;; amdgpu-corpus repo=pytorch/pytorch kind=compiled arch=gfx90a opt=O3
	.text
	.amdgcn_target "amdgcn-amd-amdhsa--gfx90a"
	.amdhsa_code_object_version 6
	.section	.text._ZN7rocprim17ROCPRIM_400000_NS6detail17trampoline_kernelINS0_14default_configENS1_22reduce_config_selectorIlEEZNS1_11reduce_implILb1ES3_PlS7_lN6thrust23THRUST_200600_302600_NS4plusIlEEEE10hipError_tPvRmT1_T2_T3_mT4_P12ihipStream_tbEUlT_E0_NS1_11comp_targetILNS1_3genE0ELNS1_11target_archE4294967295ELNS1_3gpuE0ELNS1_3repE0EEENS1_30default_config_static_selectorELNS0_4arch9wavefront6targetE1EEEvSF_,"axG",@progbits,_ZN7rocprim17ROCPRIM_400000_NS6detail17trampoline_kernelINS0_14default_configENS1_22reduce_config_selectorIlEEZNS1_11reduce_implILb1ES3_PlS7_lN6thrust23THRUST_200600_302600_NS4plusIlEEEE10hipError_tPvRmT1_T2_T3_mT4_P12ihipStream_tbEUlT_E0_NS1_11comp_targetILNS1_3genE0ELNS1_11target_archE4294967295ELNS1_3gpuE0ELNS1_3repE0EEENS1_30default_config_static_selectorELNS0_4arch9wavefront6targetE1EEEvSF_,comdat
	.protected	_ZN7rocprim17ROCPRIM_400000_NS6detail17trampoline_kernelINS0_14default_configENS1_22reduce_config_selectorIlEEZNS1_11reduce_implILb1ES3_PlS7_lN6thrust23THRUST_200600_302600_NS4plusIlEEEE10hipError_tPvRmT1_T2_T3_mT4_P12ihipStream_tbEUlT_E0_NS1_11comp_targetILNS1_3genE0ELNS1_11target_archE4294967295ELNS1_3gpuE0ELNS1_3repE0EEENS1_30default_config_static_selectorELNS0_4arch9wavefront6targetE1EEEvSF_ ; -- Begin function _ZN7rocprim17ROCPRIM_400000_NS6detail17trampoline_kernelINS0_14default_configENS1_22reduce_config_selectorIlEEZNS1_11reduce_implILb1ES3_PlS7_lN6thrust23THRUST_200600_302600_NS4plusIlEEEE10hipError_tPvRmT1_T2_T3_mT4_P12ihipStream_tbEUlT_E0_NS1_11comp_targetILNS1_3genE0ELNS1_11target_archE4294967295ELNS1_3gpuE0ELNS1_3repE0EEENS1_30default_config_static_selectorELNS0_4arch9wavefront6targetE1EEEvSF_
	.globl	_ZN7rocprim17ROCPRIM_400000_NS6detail17trampoline_kernelINS0_14default_configENS1_22reduce_config_selectorIlEEZNS1_11reduce_implILb1ES3_PlS7_lN6thrust23THRUST_200600_302600_NS4plusIlEEEE10hipError_tPvRmT1_T2_T3_mT4_P12ihipStream_tbEUlT_E0_NS1_11comp_targetILNS1_3genE0ELNS1_11target_archE4294967295ELNS1_3gpuE0ELNS1_3repE0EEENS1_30default_config_static_selectorELNS0_4arch9wavefront6targetE1EEEvSF_
	.p2align	8
	.type	_ZN7rocprim17ROCPRIM_400000_NS6detail17trampoline_kernelINS0_14default_configENS1_22reduce_config_selectorIlEEZNS1_11reduce_implILb1ES3_PlS7_lN6thrust23THRUST_200600_302600_NS4plusIlEEEE10hipError_tPvRmT1_T2_T3_mT4_P12ihipStream_tbEUlT_E0_NS1_11comp_targetILNS1_3genE0ELNS1_11target_archE4294967295ELNS1_3gpuE0ELNS1_3repE0EEENS1_30default_config_static_selectorELNS0_4arch9wavefront6targetE1EEEvSF_,@function
_ZN7rocprim17ROCPRIM_400000_NS6detail17trampoline_kernelINS0_14default_configENS1_22reduce_config_selectorIlEEZNS1_11reduce_implILb1ES3_PlS7_lN6thrust23THRUST_200600_302600_NS4plusIlEEEE10hipError_tPvRmT1_T2_T3_mT4_P12ihipStream_tbEUlT_E0_NS1_11comp_targetILNS1_3genE0ELNS1_11target_archE4294967295ELNS1_3gpuE0ELNS1_3repE0EEENS1_30default_config_static_selectorELNS0_4arch9wavefront6targetE1EEEvSF_: ; @_ZN7rocprim17ROCPRIM_400000_NS6detail17trampoline_kernelINS0_14default_configENS1_22reduce_config_selectorIlEEZNS1_11reduce_implILb1ES3_PlS7_lN6thrust23THRUST_200600_302600_NS4plusIlEEEE10hipError_tPvRmT1_T2_T3_mT4_P12ihipStream_tbEUlT_E0_NS1_11comp_targetILNS1_3genE0ELNS1_11target_archE4294967295ELNS1_3gpuE0ELNS1_3repE0EEENS1_30default_config_static_selectorELNS0_4arch9wavefront6targetE1EEEvSF_
; %bb.0:
	.section	.rodata,"a",@progbits
	.p2align	6, 0x0
	.amdhsa_kernel _ZN7rocprim17ROCPRIM_400000_NS6detail17trampoline_kernelINS0_14default_configENS1_22reduce_config_selectorIlEEZNS1_11reduce_implILb1ES3_PlS7_lN6thrust23THRUST_200600_302600_NS4plusIlEEEE10hipError_tPvRmT1_T2_T3_mT4_P12ihipStream_tbEUlT_E0_NS1_11comp_targetILNS1_3genE0ELNS1_11target_archE4294967295ELNS1_3gpuE0ELNS1_3repE0EEENS1_30default_config_static_selectorELNS0_4arch9wavefront6targetE1EEEvSF_
		.amdhsa_group_segment_fixed_size 0
		.amdhsa_private_segment_fixed_size 0
		.amdhsa_kernarg_size 64
		.amdhsa_user_sgpr_count 6
		.amdhsa_user_sgpr_private_segment_buffer 1
		.amdhsa_user_sgpr_dispatch_ptr 0
		.amdhsa_user_sgpr_queue_ptr 0
		.amdhsa_user_sgpr_kernarg_segment_ptr 1
		.amdhsa_user_sgpr_dispatch_id 0
		.amdhsa_user_sgpr_flat_scratch_init 0
		.amdhsa_user_sgpr_kernarg_preload_length 0
		.amdhsa_user_sgpr_kernarg_preload_offset 0
		.amdhsa_user_sgpr_private_segment_size 0
		.amdhsa_uses_dynamic_stack 0
		.amdhsa_system_sgpr_private_segment_wavefront_offset 0
		.amdhsa_system_sgpr_workgroup_id_x 1
		.amdhsa_system_sgpr_workgroup_id_y 0
		.amdhsa_system_sgpr_workgroup_id_z 0
		.amdhsa_system_sgpr_workgroup_info 0
		.amdhsa_system_vgpr_workitem_id 0
		.amdhsa_next_free_vgpr 1
		.amdhsa_next_free_sgpr 0
		.amdhsa_accum_offset 4
		.amdhsa_reserve_vcc 0
		.amdhsa_reserve_flat_scratch 0
		.amdhsa_float_round_mode_32 0
		.amdhsa_float_round_mode_16_64 0
		.amdhsa_float_denorm_mode_32 3
		.amdhsa_float_denorm_mode_16_64 3
		.amdhsa_dx10_clamp 1
		.amdhsa_ieee_mode 1
		.amdhsa_fp16_overflow 0
		.amdhsa_tg_split 0
		.amdhsa_exception_fp_ieee_invalid_op 0
		.amdhsa_exception_fp_denorm_src 0
		.amdhsa_exception_fp_ieee_div_zero 0
		.amdhsa_exception_fp_ieee_overflow 0
		.amdhsa_exception_fp_ieee_underflow 0
		.amdhsa_exception_fp_ieee_inexact 0
		.amdhsa_exception_int_div_zero 0
	.end_amdhsa_kernel
	.section	.text._ZN7rocprim17ROCPRIM_400000_NS6detail17trampoline_kernelINS0_14default_configENS1_22reduce_config_selectorIlEEZNS1_11reduce_implILb1ES3_PlS7_lN6thrust23THRUST_200600_302600_NS4plusIlEEEE10hipError_tPvRmT1_T2_T3_mT4_P12ihipStream_tbEUlT_E0_NS1_11comp_targetILNS1_3genE0ELNS1_11target_archE4294967295ELNS1_3gpuE0ELNS1_3repE0EEENS1_30default_config_static_selectorELNS0_4arch9wavefront6targetE1EEEvSF_,"axG",@progbits,_ZN7rocprim17ROCPRIM_400000_NS6detail17trampoline_kernelINS0_14default_configENS1_22reduce_config_selectorIlEEZNS1_11reduce_implILb1ES3_PlS7_lN6thrust23THRUST_200600_302600_NS4plusIlEEEE10hipError_tPvRmT1_T2_T3_mT4_P12ihipStream_tbEUlT_E0_NS1_11comp_targetILNS1_3genE0ELNS1_11target_archE4294967295ELNS1_3gpuE0ELNS1_3repE0EEENS1_30default_config_static_selectorELNS0_4arch9wavefront6targetE1EEEvSF_,comdat
.Lfunc_end0:
	.size	_ZN7rocprim17ROCPRIM_400000_NS6detail17trampoline_kernelINS0_14default_configENS1_22reduce_config_selectorIlEEZNS1_11reduce_implILb1ES3_PlS7_lN6thrust23THRUST_200600_302600_NS4plusIlEEEE10hipError_tPvRmT1_T2_T3_mT4_P12ihipStream_tbEUlT_E0_NS1_11comp_targetILNS1_3genE0ELNS1_11target_archE4294967295ELNS1_3gpuE0ELNS1_3repE0EEENS1_30default_config_static_selectorELNS0_4arch9wavefront6targetE1EEEvSF_, .Lfunc_end0-_ZN7rocprim17ROCPRIM_400000_NS6detail17trampoline_kernelINS0_14default_configENS1_22reduce_config_selectorIlEEZNS1_11reduce_implILb1ES3_PlS7_lN6thrust23THRUST_200600_302600_NS4plusIlEEEE10hipError_tPvRmT1_T2_T3_mT4_P12ihipStream_tbEUlT_E0_NS1_11comp_targetILNS1_3genE0ELNS1_11target_archE4294967295ELNS1_3gpuE0ELNS1_3repE0EEENS1_30default_config_static_selectorELNS0_4arch9wavefront6targetE1EEEvSF_
                                        ; -- End function
	.section	.AMDGPU.csdata,"",@progbits
; Kernel info:
; codeLenInByte = 0
; NumSgprs: 4
; NumVgprs: 0
; NumAgprs: 0
; TotalNumVgprs: 0
; ScratchSize: 0
; MemoryBound: 0
; FloatMode: 240
; IeeeMode: 1
; LDSByteSize: 0 bytes/workgroup (compile time only)
; SGPRBlocks: 0
; VGPRBlocks: 0
; NumSGPRsForWavesPerEU: 4
; NumVGPRsForWavesPerEU: 1
; AccumOffset: 4
; Occupancy: 8
; WaveLimiterHint : 0
; COMPUTE_PGM_RSRC2:SCRATCH_EN: 0
; COMPUTE_PGM_RSRC2:USER_SGPR: 6
; COMPUTE_PGM_RSRC2:TRAP_HANDLER: 0
; COMPUTE_PGM_RSRC2:TGID_X_EN: 1
; COMPUTE_PGM_RSRC2:TGID_Y_EN: 0
; COMPUTE_PGM_RSRC2:TGID_Z_EN: 0
; COMPUTE_PGM_RSRC2:TIDIG_COMP_CNT: 0
; COMPUTE_PGM_RSRC3_GFX90A:ACCUM_OFFSET: 0
; COMPUTE_PGM_RSRC3_GFX90A:TG_SPLIT: 0
	.section	.text._ZN7rocprim17ROCPRIM_400000_NS6detail17trampoline_kernelINS0_14default_configENS1_22reduce_config_selectorIlEEZNS1_11reduce_implILb1ES3_PlS7_lN6thrust23THRUST_200600_302600_NS4plusIlEEEE10hipError_tPvRmT1_T2_T3_mT4_P12ihipStream_tbEUlT_E0_NS1_11comp_targetILNS1_3genE5ELNS1_11target_archE942ELNS1_3gpuE9ELNS1_3repE0EEENS1_30default_config_static_selectorELNS0_4arch9wavefront6targetE1EEEvSF_,"axG",@progbits,_ZN7rocprim17ROCPRIM_400000_NS6detail17trampoline_kernelINS0_14default_configENS1_22reduce_config_selectorIlEEZNS1_11reduce_implILb1ES3_PlS7_lN6thrust23THRUST_200600_302600_NS4plusIlEEEE10hipError_tPvRmT1_T2_T3_mT4_P12ihipStream_tbEUlT_E0_NS1_11comp_targetILNS1_3genE5ELNS1_11target_archE942ELNS1_3gpuE9ELNS1_3repE0EEENS1_30default_config_static_selectorELNS0_4arch9wavefront6targetE1EEEvSF_,comdat
	.protected	_ZN7rocprim17ROCPRIM_400000_NS6detail17trampoline_kernelINS0_14default_configENS1_22reduce_config_selectorIlEEZNS1_11reduce_implILb1ES3_PlS7_lN6thrust23THRUST_200600_302600_NS4plusIlEEEE10hipError_tPvRmT1_T2_T3_mT4_P12ihipStream_tbEUlT_E0_NS1_11comp_targetILNS1_3genE5ELNS1_11target_archE942ELNS1_3gpuE9ELNS1_3repE0EEENS1_30default_config_static_selectorELNS0_4arch9wavefront6targetE1EEEvSF_ ; -- Begin function _ZN7rocprim17ROCPRIM_400000_NS6detail17trampoline_kernelINS0_14default_configENS1_22reduce_config_selectorIlEEZNS1_11reduce_implILb1ES3_PlS7_lN6thrust23THRUST_200600_302600_NS4plusIlEEEE10hipError_tPvRmT1_T2_T3_mT4_P12ihipStream_tbEUlT_E0_NS1_11comp_targetILNS1_3genE5ELNS1_11target_archE942ELNS1_3gpuE9ELNS1_3repE0EEENS1_30default_config_static_selectorELNS0_4arch9wavefront6targetE1EEEvSF_
	.globl	_ZN7rocprim17ROCPRIM_400000_NS6detail17trampoline_kernelINS0_14default_configENS1_22reduce_config_selectorIlEEZNS1_11reduce_implILb1ES3_PlS7_lN6thrust23THRUST_200600_302600_NS4plusIlEEEE10hipError_tPvRmT1_T2_T3_mT4_P12ihipStream_tbEUlT_E0_NS1_11comp_targetILNS1_3genE5ELNS1_11target_archE942ELNS1_3gpuE9ELNS1_3repE0EEENS1_30default_config_static_selectorELNS0_4arch9wavefront6targetE1EEEvSF_
	.p2align	8
	.type	_ZN7rocprim17ROCPRIM_400000_NS6detail17trampoline_kernelINS0_14default_configENS1_22reduce_config_selectorIlEEZNS1_11reduce_implILb1ES3_PlS7_lN6thrust23THRUST_200600_302600_NS4plusIlEEEE10hipError_tPvRmT1_T2_T3_mT4_P12ihipStream_tbEUlT_E0_NS1_11comp_targetILNS1_3genE5ELNS1_11target_archE942ELNS1_3gpuE9ELNS1_3repE0EEENS1_30default_config_static_selectorELNS0_4arch9wavefront6targetE1EEEvSF_,@function
_ZN7rocprim17ROCPRIM_400000_NS6detail17trampoline_kernelINS0_14default_configENS1_22reduce_config_selectorIlEEZNS1_11reduce_implILb1ES3_PlS7_lN6thrust23THRUST_200600_302600_NS4plusIlEEEE10hipError_tPvRmT1_T2_T3_mT4_P12ihipStream_tbEUlT_E0_NS1_11comp_targetILNS1_3genE5ELNS1_11target_archE942ELNS1_3gpuE9ELNS1_3repE0EEENS1_30default_config_static_selectorELNS0_4arch9wavefront6targetE1EEEvSF_: ; @_ZN7rocprim17ROCPRIM_400000_NS6detail17trampoline_kernelINS0_14default_configENS1_22reduce_config_selectorIlEEZNS1_11reduce_implILb1ES3_PlS7_lN6thrust23THRUST_200600_302600_NS4plusIlEEEE10hipError_tPvRmT1_T2_T3_mT4_P12ihipStream_tbEUlT_E0_NS1_11comp_targetILNS1_3genE5ELNS1_11target_archE942ELNS1_3gpuE9ELNS1_3repE0EEENS1_30default_config_static_selectorELNS0_4arch9wavefront6targetE1EEEvSF_
; %bb.0:
	.section	.rodata,"a",@progbits
	.p2align	6, 0x0
	.amdhsa_kernel _ZN7rocprim17ROCPRIM_400000_NS6detail17trampoline_kernelINS0_14default_configENS1_22reduce_config_selectorIlEEZNS1_11reduce_implILb1ES3_PlS7_lN6thrust23THRUST_200600_302600_NS4plusIlEEEE10hipError_tPvRmT1_T2_T3_mT4_P12ihipStream_tbEUlT_E0_NS1_11comp_targetILNS1_3genE5ELNS1_11target_archE942ELNS1_3gpuE9ELNS1_3repE0EEENS1_30default_config_static_selectorELNS0_4arch9wavefront6targetE1EEEvSF_
		.amdhsa_group_segment_fixed_size 0
		.amdhsa_private_segment_fixed_size 0
		.amdhsa_kernarg_size 64
		.amdhsa_user_sgpr_count 6
		.amdhsa_user_sgpr_private_segment_buffer 1
		.amdhsa_user_sgpr_dispatch_ptr 0
		.amdhsa_user_sgpr_queue_ptr 0
		.amdhsa_user_sgpr_kernarg_segment_ptr 1
		.amdhsa_user_sgpr_dispatch_id 0
		.amdhsa_user_sgpr_flat_scratch_init 0
		.amdhsa_user_sgpr_kernarg_preload_length 0
		.amdhsa_user_sgpr_kernarg_preload_offset 0
		.amdhsa_user_sgpr_private_segment_size 0
		.amdhsa_uses_dynamic_stack 0
		.amdhsa_system_sgpr_private_segment_wavefront_offset 0
		.amdhsa_system_sgpr_workgroup_id_x 1
		.amdhsa_system_sgpr_workgroup_id_y 0
		.amdhsa_system_sgpr_workgroup_id_z 0
		.amdhsa_system_sgpr_workgroup_info 0
		.amdhsa_system_vgpr_workitem_id 0
		.amdhsa_next_free_vgpr 1
		.amdhsa_next_free_sgpr 0
		.amdhsa_accum_offset 4
		.amdhsa_reserve_vcc 0
		.amdhsa_reserve_flat_scratch 0
		.amdhsa_float_round_mode_32 0
		.amdhsa_float_round_mode_16_64 0
		.amdhsa_float_denorm_mode_32 3
		.amdhsa_float_denorm_mode_16_64 3
		.amdhsa_dx10_clamp 1
		.amdhsa_ieee_mode 1
		.amdhsa_fp16_overflow 0
		.amdhsa_tg_split 0
		.amdhsa_exception_fp_ieee_invalid_op 0
		.amdhsa_exception_fp_denorm_src 0
		.amdhsa_exception_fp_ieee_div_zero 0
		.amdhsa_exception_fp_ieee_overflow 0
		.amdhsa_exception_fp_ieee_underflow 0
		.amdhsa_exception_fp_ieee_inexact 0
		.amdhsa_exception_int_div_zero 0
	.end_amdhsa_kernel
	.section	.text._ZN7rocprim17ROCPRIM_400000_NS6detail17trampoline_kernelINS0_14default_configENS1_22reduce_config_selectorIlEEZNS1_11reduce_implILb1ES3_PlS7_lN6thrust23THRUST_200600_302600_NS4plusIlEEEE10hipError_tPvRmT1_T2_T3_mT4_P12ihipStream_tbEUlT_E0_NS1_11comp_targetILNS1_3genE5ELNS1_11target_archE942ELNS1_3gpuE9ELNS1_3repE0EEENS1_30default_config_static_selectorELNS0_4arch9wavefront6targetE1EEEvSF_,"axG",@progbits,_ZN7rocprim17ROCPRIM_400000_NS6detail17trampoline_kernelINS0_14default_configENS1_22reduce_config_selectorIlEEZNS1_11reduce_implILb1ES3_PlS7_lN6thrust23THRUST_200600_302600_NS4plusIlEEEE10hipError_tPvRmT1_T2_T3_mT4_P12ihipStream_tbEUlT_E0_NS1_11comp_targetILNS1_3genE5ELNS1_11target_archE942ELNS1_3gpuE9ELNS1_3repE0EEENS1_30default_config_static_selectorELNS0_4arch9wavefront6targetE1EEEvSF_,comdat
.Lfunc_end1:
	.size	_ZN7rocprim17ROCPRIM_400000_NS6detail17trampoline_kernelINS0_14default_configENS1_22reduce_config_selectorIlEEZNS1_11reduce_implILb1ES3_PlS7_lN6thrust23THRUST_200600_302600_NS4plusIlEEEE10hipError_tPvRmT1_T2_T3_mT4_P12ihipStream_tbEUlT_E0_NS1_11comp_targetILNS1_3genE5ELNS1_11target_archE942ELNS1_3gpuE9ELNS1_3repE0EEENS1_30default_config_static_selectorELNS0_4arch9wavefront6targetE1EEEvSF_, .Lfunc_end1-_ZN7rocprim17ROCPRIM_400000_NS6detail17trampoline_kernelINS0_14default_configENS1_22reduce_config_selectorIlEEZNS1_11reduce_implILb1ES3_PlS7_lN6thrust23THRUST_200600_302600_NS4plusIlEEEE10hipError_tPvRmT1_T2_T3_mT4_P12ihipStream_tbEUlT_E0_NS1_11comp_targetILNS1_3genE5ELNS1_11target_archE942ELNS1_3gpuE9ELNS1_3repE0EEENS1_30default_config_static_selectorELNS0_4arch9wavefront6targetE1EEEvSF_
                                        ; -- End function
	.section	.AMDGPU.csdata,"",@progbits
; Kernel info:
; codeLenInByte = 0
; NumSgprs: 4
; NumVgprs: 0
; NumAgprs: 0
; TotalNumVgprs: 0
; ScratchSize: 0
; MemoryBound: 0
; FloatMode: 240
; IeeeMode: 1
; LDSByteSize: 0 bytes/workgroup (compile time only)
; SGPRBlocks: 0
; VGPRBlocks: 0
; NumSGPRsForWavesPerEU: 4
; NumVGPRsForWavesPerEU: 1
; AccumOffset: 4
; Occupancy: 8
; WaveLimiterHint : 0
; COMPUTE_PGM_RSRC2:SCRATCH_EN: 0
; COMPUTE_PGM_RSRC2:USER_SGPR: 6
; COMPUTE_PGM_RSRC2:TRAP_HANDLER: 0
; COMPUTE_PGM_RSRC2:TGID_X_EN: 1
; COMPUTE_PGM_RSRC2:TGID_Y_EN: 0
; COMPUTE_PGM_RSRC2:TGID_Z_EN: 0
; COMPUTE_PGM_RSRC2:TIDIG_COMP_CNT: 0
; COMPUTE_PGM_RSRC3_GFX90A:ACCUM_OFFSET: 0
; COMPUTE_PGM_RSRC3_GFX90A:TG_SPLIT: 0
	.section	.text._ZN7rocprim17ROCPRIM_400000_NS6detail17trampoline_kernelINS0_14default_configENS1_22reduce_config_selectorIlEEZNS1_11reduce_implILb1ES3_PlS7_lN6thrust23THRUST_200600_302600_NS4plusIlEEEE10hipError_tPvRmT1_T2_T3_mT4_P12ihipStream_tbEUlT_E0_NS1_11comp_targetILNS1_3genE4ELNS1_11target_archE910ELNS1_3gpuE8ELNS1_3repE0EEENS1_30default_config_static_selectorELNS0_4arch9wavefront6targetE1EEEvSF_,"axG",@progbits,_ZN7rocprim17ROCPRIM_400000_NS6detail17trampoline_kernelINS0_14default_configENS1_22reduce_config_selectorIlEEZNS1_11reduce_implILb1ES3_PlS7_lN6thrust23THRUST_200600_302600_NS4plusIlEEEE10hipError_tPvRmT1_T2_T3_mT4_P12ihipStream_tbEUlT_E0_NS1_11comp_targetILNS1_3genE4ELNS1_11target_archE910ELNS1_3gpuE8ELNS1_3repE0EEENS1_30default_config_static_selectorELNS0_4arch9wavefront6targetE1EEEvSF_,comdat
	.protected	_ZN7rocprim17ROCPRIM_400000_NS6detail17trampoline_kernelINS0_14default_configENS1_22reduce_config_selectorIlEEZNS1_11reduce_implILb1ES3_PlS7_lN6thrust23THRUST_200600_302600_NS4plusIlEEEE10hipError_tPvRmT1_T2_T3_mT4_P12ihipStream_tbEUlT_E0_NS1_11comp_targetILNS1_3genE4ELNS1_11target_archE910ELNS1_3gpuE8ELNS1_3repE0EEENS1_30default_config_static_selectorELNS0_4arch9wavefront6targetE1EEEvSF_ ; -- Begin function _ZN7rocprim17ROCPRIM_400000_NS6detail17trampoline_kernelINS0_14default_configENS1_22reduce_config_selectorIlEEZNS1_11reduce_implILb1ES3_PlS7_lN6thrust23THRUST_200600_302600_NS4plusIlEEEE10hipError_tPvRmT1_T2_T3_mT4_P12ihipStream_tbEUlT_E0_NS1_11comp_targetILNS1_3genE4ELNS1_11target_archE910ELNS1_3gpuE8ELNS1_3repE0EEENS1_30default_config_static_selectorELNS0_4arch9wavefront6targetE1EEEvSF_
	.globl	_ZN7rocprim17ROCPRIM_400000_NS6detail17trampoline_kernelINS0_14default_configENS1_22reduce_config_selectorIlEEZNS1_11reduce_implILb1ES3_PlS7_lN6thrust23THRUST_200600_302600_NS4plusIlEEEE10hipError_tPvRmT1_T2_T3_mT4_P12ihipStream_tbEUlT_E0_NS1_11comp_targetILNS1_3genE4ELNS1_11target_archE910ELNS1_3gpuE8ELNS1_3repE0EEENS1_30default_config_static_selectorELNS0_4arch9wavefront6targetE1EEEvSF_
	.p2align	8
	.type	_ZN7rocprim17ROCPRIM_400000_NS6detail17trampoline_kernelINS0_14default_configENS1_22reduce_config_selectorIlEEZNS1_11reduce_implILb1ES3_PlS7_lN6thrust23THRUST_200600_302600_NS4plusIlEEEE10hipError_tPvRmT1_T2_T3_mT4_P12ihipStream_tbEUlT_E0_NS1_11comp_targetILNS1_3genE4ELNS1_11target_archE910ELNS1_3gpuE8ELNS1_3repE0EEENS1_30default_config_static_selectorELNS0_4arch9wavefront6targetE1EEEvSF_,@function
_ZN7rocprim17ROCPRIM_400000_NS6detail17trampoline_kernelINS0_14default_configENS1_22reduce_config_selectorIlEEZNS1_11reduce_implILb1ES3_PlS7_lN6thrust23THRUST_200600_302600_NS4plusIlEEEE10hipError_tPvRmT1_T2_T3_mT4_P12ihipStream_tbEUlT_E0_NS1_11comp_targetILNS1_3genE4ELNS1_11target_archE910ELNS1_3gpuE8ELNS1_3repE0EEENS1_30default_config_static_selectorELNS0_4arch9wavefront6targetE1EEEvSF_: ; @_ZN7rocprim17ROCPRIM_400000_NS6detail17trampoline_kernelINS0_14default_configENS1_22reduce_config_selectorIlEEZNS1_11reduce_implILb1ES3_PlS7_lN6thrust23THRUST_200600_302600_NS4plusIlEEEE10hipError_tPvRmT1_T2_T3_mT4_P12ihipStream_tbEUlT_E0_NS1_11comp_targetILNS1_3genE4ELNS1_11target_archE910ELNS1_3gpuE8ELNS1_3repE0EEENS1_30default_config_static_selectorELNS0_4arch9wavefront6targetE1EEEvSF_
; %bb.0:
	s_load_dwordx8 s[8:15], s[4:5], 0x0
	s_load_dwordx4 s[16:19], s[4:5], 0x20
	s_load_dwordx2 s[20:21], s[4:5], 0x30
	v_lshlrev_b32_e32 v10, 3, v0
	v_mbcnt_lo_u32_b32 v1, -1, 0
	s_waitcnt lgkmcnt(0)
	s_lshl_b64 s[0:1], s[10:11], 3
	s_add_u32 s8, s8, s0
	s_addc_u32 s9, s9, s1
	s_lshl_b32 s0, s6, 10
	s_mov_b32 s1, 0
	s_lshr_b64 s[2:3], s[12:13], 10
	s_lshl_b64 s[4:5], s[0:1], 3
	s_add_u32 s4, s8, s4
	s_mov_b32 s7, s1
	s_addc_u32 s5, s9, s5
	s_cmp_lg_u64 s[2:3], s[6:7]
	s_cbranch_scc0 .LBB2_6
; %bb.1:
	v_mov_b32_e32 v2, s5
	v_add_co_u32_e32 v4, vcc, s4, v10
	v_addc_co_u32_e32 v5, vcc, 0, v2, vcc
	global_load_dwordx2 v[2:3], v10, s[4:5]
	global_load_dwordx2 v[6:7], v10, s[4:5] offset:2048
	v_add_co_u32_e32 v4, vcc, 0x1000, v4
	v_addc_co_u32_e32 v5, vcc, 0, v5, vcc
	global_load_dwordx2 v[8:9], v[4:5], off
	global_load_dwordx2 v[12:13], v[4:5], off offset:2048
	v_mbcnt_hi_u32_b32 v4, -1, v1
	v_bfrev_b32_e32 v5, 0.5
	v_lshl_or_b32 v5, v4, 2, v5
	s_waitcnt vmcnt(2)
	v_add_co_u32_e32 v2, vcc, v6, v2
	v_addc_co_u32_e32 v3, vcc, v7, v3, vcc
	s_waitcnt vmcnt(1)
	v_add_co_u32_e32 v2, vcc, v2, v8
	v_addc_co_u32_e32 v3, vcc, v3, v9, vcc
	;; [unrolled: 3-line block ×3, first 2 shown]
	s_nop 0
	v_mov_b32_dpp v6, v2 quad_perm:[1,0,3,2] row_mask:0xf bank_mask:0xf bound_ctrl:1
	v_add_co_u32_e32 v2, vcc, v2, v6
	v_mov_b32_dpp v7, v3 quad_perm:[1,0,3,2] row_mask:0xf bank_mask:0xf bound_ctrl:1
	v_addc_co_u32_e32 v3, vcc, 0, v3, vcc
	v_add_co_u32_e32 v6, vcc, 0, v2
	v_addc_co_u32_e32 v3, vcc, v7, v3, vcc
	v_mov_b32_dpp v2, v2 quad_perm:[2,3,0,1] row_mask:0xf bank_mask:0xf bound_ctrl:1
	v_add_co_u32_e32 v2, vcc, v6, v2
	v_mov_b32_dpp v7, v3 quad_perm:[2,3,0,1] row_mask:0xf bank_mask:0xf bound_ctrl:1
	v_addc_co_u32_e32 v3, vcc, 0, v3, vcc
	v_add_co_u32_e32 v6, vcc, 0, v2
	v_addc_co_u32_e32 v3, vcc, v3, v7, vcc
	v_mov_b32_dpp v2, v2 row_ror:4 row_mask:0xf bank_mask:0xf bound_ctrl:1
	v_add_co_u32_e32 v2, vcc, v6, v2
	v_mov_b32_dpp v7, v3 row_ror:4 row_mask:0xf bank_mask:0xf bound_ctrl:1
	v_addc_co_u32_e32 v3, vcc, 0, v3, vcc
	v_add_co_u32_e32 v6, vcc, 0, v2
	v_addc_co_u32_e32 v3, vcc, v3, v7, vcc
	v_mov_b32_dpp v2, v2 row_ror:8 row_mask:0xf bank_mask:0xf bound_ctrl:1
	v_add_co_u32_e32 v2, vcc, v6, v2
	v_mov_b32_dpp v7, v3 row_ror:8 row_mask:0xf bank_mask:0xf bound_ctrl:1
	v_addc_co_u32_e32 v3, vcc, 0, v3, vcc
	v_add_co_u32_e32 v6, vcc, 0, v2
	v_addc_co_u32_e32 v3, vcc, v3, v7, vcc
	v_mov_b32_dpp v2, v2 row_bcast:15 row_mask:0xf bank_mask:0xf bound_ctrl:1
	v_add_co_u32_e32 v2, vcc, v6, v2
	v_mov_b32_dpp v7, v3 row_bcast:15 row_mask:0xf bank_mask:0xf bound_ctrl:1
	v_addc_co_u32_e32 v3, vcc, 0, v3, vcc
	v_add_co_u32_e32 v6, vcc, 0, v2
	v_addc_co_u32_e32 v3, vcc, v3, v7, vcc
	v_mov_b32_dpp v2, v2 row_bcast:31 row_mask:0xf bank_mask:0xf bound_ctrl:1
	v_add_co_u32_e32 v2, vcc, v6, v2
	v_addc_co_u32_e32 v6, vcc, 0, v3, vcc
	ds_bpermute_b32 v2, v5, v2
	s_nop 0
	v_add_u32_dpp v3, v3, v6 row_bcast:31 row_mask:0xf bank_mask:0xf bound_ctrl:1
	ds_bpermute_b32 v3, v5, v3
	v_cmp_eq_u32_e32 vcc, 0, v4
	s_and_saveexec_b64 s[2:3], vcc
	s_cbranch_execz .LBB2_3
; %bb.2:
	v_lshrrev_b32_e32 v5, 3, v0
	v_and_b32_e32 v5, 24, v5
	s_waitcnt lgkmcnt(0)
	ds_write_b64 v5, v[2:3]
.LBB2_3:
	s_or_b64 exec, exec, s[2:3]
	v_cmp_gt_u32_e32 vcc, 64, v0
	s_waitcnt lgkmcnt(0)
	s_barrier
	s_and_saveexec_b64 s[2:3], vcc
	s_cbranch_execz .LBB2_5
; %bb.4:
	v_and_b32_e32 v5, 3, v4
	v_lshlrev_b32_e32 v2, 3, v5
	ds_read_b64 v[2:3], v2
	v_cmp_ne_u32_e32 vcc, 3, v5
	v_addc_co_u32_e32 v6, vcc, 0, v4, vcc
	v_lshlrev_b32_e32 v6, 2, v6
	s_waitcnt lgkmcnt(0)
	ds_bpermute_b32 v7, v6, v2
	ds_bpermute_b32 v6, v6, v3
	s_waitcnt lgkmcnt(1)
	v_add_co_u32_e32 v2, vcc, v2, v7
	v_addc_co_u32_e32 v3, vcc, 0, v3, vcc
	v_cmp_gt_u32_e32 vcc, 2, v5
	v_cndmask_b32_e64 v5, 0, 1, vcc
	v_lshlrev_b32_e32 v5, 1, v5
	v_add_lshl_u32 v4, v5, v4, 2
	ds_bpermute_b32 v5, v4, v2
	v_add_co_u32_e32 v2, vcc, 0, v2
	s_waitcnt lgkmcnt(1)
	v_addc_co_u32_e32 v3, vcc, v6, v3, vcc
	ds_bpermute_b32 v4, v4, v3
	s_waitcnt lgkmcnt(1)
	v_add_co_u32_e32 v2, vcc, v2, v5
	v_addc_co_u32_e32 v3, vcc, 0, v3, vcc
	v_add_co_u32_e32 v2, vcc, 0, v2
	s_waitcnt lgkmcnt(0)
	v_addc_co_u32_e32 v3, vcc, v3, v4, vcc
.LBB2_5:
	s_or_b64 exec, exec, s[2:3]
	s_branch .LBB2_24
.LBB2_6:
                                        ; implicit-def: $vgpr2_vgpr3
	s_cbranch_execz .LBB2_24
; %bb.7:
	s_sub_i32 s10, s12, s0
	v_cmp_gt_u32_e32 vcc, s10, v0
                                        ; implicit-def: $vgpr2_vgpr3_vgpr4_vgpr5_vgpr6_vgpr7_vgpr8_vgpr9
	s_and_saveexec_b64 s[0:1], vcc
	s_cbranch_execz .LBB2_9
; %bb.8:
	global_load_dwordx2 v[2:3], v10, s[4:5]
.LBB2_9:
	s_or_b64 exec, exec, s[0:1]
	v_or_b32_e32 v11, 0x100, v0
	v_cmp_gt_u32_e32 vcc, s10, v11
	s_and_saveexec_b64 s[0:1], vcc
	s_cbranch_execz .LBB2_11
; %bb.10:
	global_load_dwordx2 v[4:5], v10, s[4:5] offset:2048
.LBB2_11:
	s_or_b64 exec, exec, s[0:1]
	v_or_b32_e32 v10, 0x200, v0
	v_cmp_gt_u32_e64 s[0:1], s10, v10
	s_and_saveexec_b64 s[2:3], s[0:1]
	s_cbranch_execz .LBB2_13
; %bb.12:
	v_lshlrev_b32_e32 v6, 3, v10
	global_load_dwordx2 v[6:7], v6, s[4:5]
.LBB2_13:
	s_or_b64 exec, exec, s[2:3]
	v_or_b32_e32 v10, 0x300, v0
	v_cmp_gt_u32_e64 s[2:3], s10, v10
	s_and_saveexec_b64 s[8:9], s[2:3]
	s_cbranch_execz .LBB2_15
; %bb.14:
	v_lshlrev_b32_e32 v8, 3, v10
	global_load_dwordx2 v[8:9], v8, s[4:5]
.LBB2_15:
	s_or_b64 exec, exec, s[8:9]
	s_waitcnt vmcnt(0)
	v_cndmask_b32_e32 v4, 0, v4, vcc
	v_cndmask_b32_e32 v5, 0, v5, vcc
	v_add_co_u32_e32 v2, vcc, v4, v2
	v_addc_co_u32_e32 v3, vcc, v5, v3, vcc
	v_cndmask_b32_e64 v5, 0, v6, s[0:1]
	v_cndmask_b32_e64 v4, 0, v7, s[0:1]
	v_add_co_u32_e32 v2, vcc, v2, v5
	v_addc_co_u32_e32 v3, vcc, v3, v4, vcc
	v_cndmask_b32_e64 v5, 0, v8, s[2:3]
	v_cndmask_b32_e64 v4, 0, v9, s[2:3]
	v_add_co_u32_e32 v2, vcc, v2, v5
	v_mbcnt_hi_u32_b32 v5, -1, v1
	v_addc_co_u32_e32 v3, vcc, v3, v4, vcc
	v_and_b32_e32 v6, 63, v5
	v_cmp_ne_u32_e32 vcc, 63, v6
	v_addc_co_u32_e32 v4, vcc, 0, v5, vcc
	v_lshlrev_b32_e32 v4, 2, v4
	ds_bpermute_b32 v8, v4, v2
	ds_bpermute_b32 v4, v4, v3
	s_min_u32 s4, s10, 0x100
	v_and_b32_e32 v1, 0xc0, v0
	v_sub_u32_e64 v7, s4, v1 clamp
	s_waitcnt lgkmcnt(1)
	v_add_co_u32_e32 v8, vcc, v2, v8
	v_addc_co_u32_e32 v9, vcc, 0, v3, vcc
	v_add_co_u32_e32 v10, vcc, 0, v8
	v_add_u32_e32 v1, 1, v6
	s_waitcnt lgkmcnt(0)
	v_addc_co_u32_e32 v4, vcc, v4, v9, vcc
	v_cmp_lt_u32_e64 s[0:1], v1, v7
	v_cmp_gt_u32_e32 vcc, 62, v6
	v_cndmask_b32_e64 v1, v2, v8, s[0:1]
	v_cndmask_b32_e64 v8, 0, 1, vcc
	v_lshlrev_b32_e32 v8, 1, v8
	v_add_lshl_u32 v8, v8, v5, 2
	v_cndmask_b32_e64 v4, v3, v4, s[0:1]
	ds_bpermute_b32 v9, v8, v1
	ds_bpermute_b32 v8, v8, v4
	v_cndmask_b32_e64 v10, v2, v10, s[0:1]
	v_add_u32_e32 v11, 2, v6
	v_cmp_gt_u32_e64 s[2:3], 60, v6
	s_waitcnt lgkmcnt(1)
	v_add_co_u32_e32 v9, vcc, v9, v10
	s_waitcnt lgkmcnt(0)
	v_addc_co_u32_e32 v8, vcc, v8, v4, vcc
	v_cmp_lt_u32_e32 vcc, v11, v7
	v_cndmask_b32_e32 v4, v4, v8, vcc
	v_cndmask_b32_e64 v8, 0, 1, s[2:3]
	v_lshlrev_b32_e32 v8, 2, v8
	v_cndmask_b32_e32 v1, v1, v9, vcc
	v_add_lshl_u32 v8, v8, v5, 2
	ds_bpermute_b32 v11, v8, v1
	ds_bpermute_b32 v8, v8, v4
	v_cndmask_b32_e32 v9, v10, v9, vcc
	v_add_u32_e32 v10, 4, v6
	v_cmp_gt_u32_e64 s[2:3], 56, v6
	s_waitcnt lgkmcnt(1)
	v_add_co_u32_e32 v11, vcc, v11, v9
	s_waitcnt lgkmcnt(0)
	v_addc_co_u32_e32 v8, vcc, v8, v4, vcc
	v_cmp_lt_u32_e32 vcc, v10, v7
	v_cndmask_b32_e32 v4, v4, v8, vcc
	v_cndmask_b32_e64 v8, 0, 1, s[2:3]
	v_lshlrev_b32_e32 v8, 3, v8
	v_cndmask_b32_e32 v1, v1, v11, vcc
	v_add_lshl_u32 v8, v8, v5, 2
	ds_bpermute_b32 v10, v8, v1
	ds_bpermute_b32 v8, v8, v4
	v_cndmask_b32_e32 v9, v9, v11, vcc
	v_add_u32_e32 v11, 8, v6
	v_cmp_gt_u32_e64 s[2:3], 48, v6
	s_waitcnt lgkmcnt(1)
	v_add_co_u32_e32 v10, vcc, v10, v9
	s_waitcnt lgkmcnt(0)
	v_addc_co_u32_e32 v8, vcc, v8, v4, vcc
	v_cmp_lt_u32_e32 vcc, v11, v7
	v_cndmask_b32_e32 v11, v1, v10, vcc
	v_cndmask_b32_e32 v1, v4, v8, vcc
	v_cndmask_b32_e64 v4, 0, 1, s[2:3]
	v_lshlrev_b32_e32 v4, 4, v4
	v_add_lshl_u32 v8, v4, v5, 2
	ds_bpermute_b32 v12, v8, v11
	v_cndmask_b32_e32 v4, v9, v10, vcc
	ds_bpermute_b32 v9, v8, v1
	v_add_u32_e32 v10, 16, v6
	v_cmp_gt_u32_e64 s[2:3], 32, v6
	s_waitcnt lgkmcnt(1)
	v_add_co_u32_e32 v8, vcc, v12, v4
	s_waitcnt lgkmcnt(0)
	v_addc_co_u32_e32 v9, vcc, v9, v1, vcc
	v_cmp_lt_u32_e32 vcc, v10, v7
	v_cndmask_b32_e32 v10, v11, v8, vcc
	v_cndmask_b32_e64 v11, 0, 1, s[2:3]
	v_lshlrev_b32_e32 v11, 5, v11
	v_cndmask_b32_e32 v12, v1, v9, vcc
	v_add_lshl_u32 v11, v11, v5, 2
	ds_bpermute_b32 v10, v11, v10
	ds_bpermute_b32 v11, v11, v12
	s_and_saveexec_b64 s[2:3], s[0:1]
	s_cbranch_execz .LBB2_17
; %bb.16:
	v_add_u32_e32 v2, 32, v6
	v_cndmask_b32_e32 v1, v1, v9, vcc
	v_cndmask_b32_e32 v3, v4, v8, vcc
	v_cmp_lt_u32_e32 vcc, v2, v7
	s_waitcnt lgkmcnt(1)
	v_cndmask_b32_e32 v2, 0, v10, vcc
	s_waitcnt lgkmcnt(0)
	v_cndmask_b32_e32 v4, 0, v11, vcc
	v_add_co_u32_e32 v2, vcc, v2, v3
	v_addc_co_u32_e32 v3, vcc, v4, v1, vcc
.LBB2_17:
	s_or_b64 exec, exec, s[2:3]
	v_cmp_eq_u32_e32 vcc, 0, v5
	s_and_saveexec_b64 s[0:1], vcc
	s_cbranch_execz .LBB2_19
; %bb.18:
	v_lshrrev_b32_e32 v1, 3, v0
	v_and_b32_e32 v1, 24, v1
	ds_write_b64 v1, v[2:3] offset:32
.LBB2_19:
	s_or_b64 exec, exec, s[0:1]
	v_cmp_gt_u32_e32 vcc, 4, v0
	s_waitcnt lgkmcnt(0)
	s_barrier
	s_and_saveexec_b64 s[2:3], vcc
	s_cbranch_execz .LBB2_23
; %bb.20:
	v_lshlrev_b32_e32 v1, 3, v5
	ds_read_b64 v[2:3], v1 offset:32
	v_and_b32_e32 v1, 3, v5
	v_cmp_ne_u32_e32 vcc, 3, v1
	v_addc_co_u32_e32 v4, vcc, 0, v5, vcc
	v_lshlrev_b32_e32 v4, 2, v4
	s_waitcnt lgkmcnt(0)
	ds_bpermute_b32 v6, v4, v2
	ds_bpermute_b32 v8, v4, v3
	s_add_i32 s4, s4, 63
	s_lshr_b32 s4, s4, 6
	v_add_u32_e32 v7, 1, v1
	s_waitcnt lgkmcnt(1)
	v_add_co_u32_e32 v9, vcc, v2, v6
	v_addc_co_u32_e32 v6, vcc, 0, v3, vcc
	v_add_co_u32_e32 v4, vcc, 0, v9
	s_waitcnt lgkmcnt(0)
	v_addc_co_u32_e32 v6, vcc, v8, v6, vcc
	v_cmp_gt_u32_e32 vcc, s4, v7
	v_cmp_gt_u32_e64 s[0:1], 2, v1
	v_cndmask_b32_e32 v8, v2, v9, vcc
	v_cndmask_b32_e64 v9, 0, 1, s[0:1]
	v_lshlrev_b32_e32 v9, 1, v9
	v_cndmask_b32_e32 v7, v3, v6, vcc
	v_add_lshl_u32 v9, v9, v5, 2
	ds_bpermute_b32 v5, v9, v8
	ds_bpermute_b32 v7, v9, v7
	s_and_saveexec_b64 s[0:1], vcc
	s_cbranch_execz .LBB2_22
; %bb.21:
	v_add_u32_e32 v1, 2, v1
	v_cmp_gt_u32_e32 vcc, s4, v1
	s_waitcnt lgkmcnt(1)
	v_cndmask_b32_e32 v2, 0, v5, vcc
	s_waitcnt lgkmcnt(0)
	v_cndmask_b32_e32 v1, 0, v7, vcc
	v_add_co_u32_e32 v2, vcc, v2, v4
	v_addc_co_u32_e32 v3, vcc, v1, v6, vcc
.LBB2_22:
	s_or_b64 exec, exec, s[0:1]
.LBB2_23:
	s_or_b64 exec, exec, s[2:3]
.LBB2_24:
	v_cmp_eq_u32_e32 vcc, 0, v0
	s_and_saveexec_b64 s[0:1], vcc
	s_cbranch_execnz .LBB2_26
; %bb.25:
	s_endpgm
.LBB2_26:
	s_mul_i32 s0, s18, s17
	s_mul_hi_u32 s1, s18, s16
	s_add_i32 s0, s1, s0
	s_mul_i32 s1, s19, s16
	s_add_i32 s1, s0, s1
	s_mul_i32 s0, s18, s16
	s_lshl_b64 s[0:1], s[0:1], 3
	s_add_u32 s2, s14, s0
	s_addc_u32 s3, s15, s1
	s_cmp_eq_u64 s[12:13], 0
	v_mov_b32_e32 v0, s21
	s_cselect_b64 vcc, -1, 0
	s_lshl_b64 s[0:1], s[6:7], 3
	v_cndmask_b32_e32 v1, v3, v0, vcc
	v_mov_b32_e32 v0, s20
	s_add_u32 s0, s2, s0
	v_cndmask_b32_e32 v0, v2, v0, vcc
	s_addc_u32 s1, s3, s1
	v_mov_b32_e32 v2, 0
	global_store_dwordx2 v2, v[0:1], s[0:1]
	s_endpgm
	.section	.rodata,"a",@progbits
	.p2align	6, 0x0
	.amdhsa_kernel _ZN7rocprim17ROCPRIM_400000_NS6detail17trampoline_kernelINS0_14default_configENS1_22reduce_config_selectorIlEEZNS1_11reduce_implILb1ES3_PlS7_lN6thrust23THRUST_200600_302600_NS4plusIlEEEE10hipError_tPvRmT1_T2_T3_mT4_P12ihipStream_tbEUlT_E0_NS1_11comp_targetILNS1_3genE4ELNS1_11target_archE910ELNS1_3gpuE8ELNS1_3repE0EEENS1_30default_config_static_selectorELNS0_4arch9wavefront6targetE1EEEvSF_
		.amdhsa_group_segment_fixed_size 64
		.amdhsa_private_segment_fixed_size 0
		.amdhsa_kernarg_size 64
		.amdhsa_user_sgpr_count 6
		.amdhsa_user_sgpr_private_segment_buffer 1
		.amdhsa_user_sgpr_dispatch_ptr 0
		.amdhsa_user_sgpr_queue_ptr 0
		.amdhsa_user_sgpr_kernarg_segment_ptr 1
		.amdhsa_user_sgpr_dispatch_id 0
		.amdhsa_user_sgpr_flat_scratch_init 0
		.amdhsa_user_sgpr_kernarg_preload_length 0
		.amdhsa_user_sgpr_kernarg_preload_offset 0
		.amdhsa_user_sgpr_private_segment_size 0
		.amdhsa_uses_dynamic_stack 0
		.amdhsa_system_sgpr_private_segment_wavefront_offset 0
		.amdhsa_system_sgpr_workgroup_id_x 1
		.amdhsa_system_sgpr_workgroup_id_y 0
		.amdhsa_system_sgpr_workgroup_id_z 0
		.amdhsa_system_sgpr_workgroup_info 0
		.amdhsa_system_vgpr_workitem_id 0
		.amdhsa_next_free_vgpr 14
		.amdhsa_next_free_sgpr 22
		.amdhsa_accum_offset 16
		.amdhsa_reserve_vcc 1
		.amdhsa_reserve_flat_scratch 0
		.amdhsa_float_round_mode_32 0
		.amdhsa_float_round_mode_16_64 0
		.amdhsa_float_denorm_mode_32 3
		.amdhsa_float_denorm_mode_16_64 3
		.amdhsa_dx10_clamp 1
		.amdhsa_ieee_mode 1
		.amdhsa_fp16_overflow 0
		.amdhsa_tg_split 0
		.amdhsa_exception_fp_ieee_invalid_op 0
		.amdhsa_exception_fp_denorm_src 0
		.amdhsa_exception_fp_ieee_div_zero 0
		.amdhsa_exception_fp_ieee_overflow 0
		.amdhsa_exception_fp_ieee_underflow 0
		.amdhsa_exception_fp_ieee_inexact 0
		.amdhsa_exception_int_div_zero 0
	.end_amdhsa_kernel
	.section	.text._ZN7rocprim17ROCPRIM_400000_NS6detail17trampoline_kernelINS0_14default_configENS1_22reduce_config_selectorIlEEZNS1_11reduce_implILb1ES3_PlS7_lN6thrust23THRUST_200600_302600_NS4plusIlEEEE10hipError_tPvRmT1_T2_T3_mT4_P12ihipStream_tbEUlT_E0_NS1_11comp_targetILNS1_3genE4ELNS1_11target_archE910ELNS1_3gpuE8ELNS1_3repE0EEENS1_30default_config_static_selectorELNS0_4arch9wavefront6targetE1EEEvSF_,"axG",@progbits,_ZN7rocprim17ROCPRIM_400000_NS6detail17trampoline_kernelINS0_14default_configENS1_22reduce_config_selectorIlEEZNS1_11reduce_implILb1ES3_PlS7_lN6thrust23THRUST_200600_302600_NS4plusIlEEEE10hipError_tPvRmT1_T2_T3_mT4_P12ihipStream_tbEUlT_E0_NS1_11comp_targetILNS1_3genE4ELNS1_11target_archE910ELNS1_3gpuE8ELNS1_3repE0EEENS1_30default_config_static_selectorELNS0_4arch9wavefront6targetE1EEEvSF_,comdat
.Lfunc_end2:
	.size	_ZN7rocprim17ROCPRIM_400000_NS6detail17trampoline_kernelINS0_14default_configENS1_22reduce_config_selectorIlEEZNS1_11reduce_implILb1ES3_PlS7_lN6thrust23THRUST_200600_302600_NS4plusIlEEEE10hipError_tPvRmT1_T2_T3_mT4_P12ihipStream_tbEUlT_E0_NS1_11comp_targetILNS1_3genE4ELNS1_11target_archE910ELNS1_3gpuE8ELNS1_3repE0EEENS1_30default_config_static_selectorELNS0_4arch9wavefront6targetE1EEEvSF_, .Lfunc_end2-_ZN7rocprim17ROCPRIM_400000_NS6detail17trampoline_kernelINS0_14default_configENS1_22reduce_config_selectorIlEEZNS1_11reduce_implILb1ES3_PlS7_lN6thrust23THRUST_200600_302600_NS4plusIlEEEE10hipError_tPvRmT1_T2_T3_mT4_P12ihipStream_tbEUlT_E0_NS1_11comp_targetILNS1_3genE4ELNS1_11target_archE910ELNS1_3gpuE8ELNS1_3repE0EEENS1_30default_config_static_selectorELNS0_4arch9wavefront6targetE1EEEvSF_
                                        ; -- End function
	.section	.AMDGPU.csdata,"",@progbits
; Kernel info:
; codeLenInByte = 1696
; NumSgprs: 26
; NumVgprs: 14
; NumAgprs: 0
; TotalNumVgprs: 14
; ScratchSize: 0
; MemoryBound: 0
; FloatMode: 240
; IeeeMode: 1
; LDSByteSize: 64 bytes/workgroup (compile time only)
; SGPRBlocks: 3
; VGPRBlocks: 1
; NumSGPRsForWavesPerEU: 26
; NumVGPRsForWavesPerEU: 14
; AccumOffset: 16
; Occupancy: 8
; WaveLimiterHint : 1
; COMPUTE_PGM_RSRC2:SCRATCH_EN: 0
; COMPUTE_PGM_RSRC2:USER_SGPR: 6
; COMPUTE_PGM_RSRC2:TRAP_HANDLER: 0
; COMPUTE_PGM_RSRC2:TGID_X_EN: 1
; COMPUTE_PGM_RSRC2:TGID_Y_EN: 0
; COMPUTE_PGM_RSRC2:TGID_Z_EN: 0
; COMPUTE_PGM_RSRC2:TIDIG_COMP_CNT: 0
; COMPUTE_PGM_RSRC3_GFX90A:ACCUM_OFFSET: 3
; COMPUTE_PGM_RSRC3_GFX90A:TG_SPLIT: 0
	.section	.text._ZN7rocprim17ROCPRIM_400000_NS6detail17trampoline_kernelINS0_14default_configENS1_22reduce_config_selectorIlEEZNS1_11reduce_implILb1ES3_PlS7_lN6thrust23THRUST_200600_302600_NS4plusIlEEEE10hipError_tPvRmT1_T2_T3_mT4_P12ihipStream_tbEUlT_E0_NS1_11comp_targetILNS1_3genE3ELNS1_11target_archE908ELNS1_3gpuE7ELNS1_3repE0EEENS1_30default_config_static_selectorELNS0_4arch9wavefront6targetE1EEEvSF_,"axG",@progbits,_ZN7rocprim17ROCPRIM_400000_NS6detail17trampoline_kernelINS0_14default_configENS1_22reduce_config_selectorIlEEZNS1_11reduce_implILb1ES3_PlS7_lN6thrust23THRUST_200600_302600_NS4plusIlEEEE10hipError_tPvRmT1_T2_T3_mT4_P12ihipStream_tbEUlT_E0_NS1_11comp_targetILNS1_3genE3ELNS1_11target_archE908ELNS1_3gpuE7ELNS1_3repE0EEENS1_30default_config_static_selectorELNS0_4arch9wavefront6targetE1EEEvSF_,comdat
	.protected	_ZN7rocprim17ROCPRIM_400000_NS6detail17trampoline_kernelINS0_14default_configENS1_22reduce_config_selectorIlEEZNS1_11reduce_implILb1ES3_PlS7_lN6thrust23THRUST_200600_302600_NS4plusIlEEEE10hipError_tPvRmT1_T2_T3_mT4_P12ihipStream_tbEUlT_E0_NS1_11comp_targetILNS1_3genE3ELNS1_11target_archE908ELNS1_3gpuE7ELNS1_3repE0EEENS1_30default_config_static_selectorELNS0_4arch9wavefront6targetE1EEEvSF_ ; -- Begin function _ZN7rocprim17ROCPRIM_400000_NS6detail17trampoline_kernelINS0_14default_configENS1_22reduce_config_selectorIlEEZNS1_11reduce_implILb1ES3_PlS7_lN6thrust23THRUST_200600_302600_NS4plusIlEEEE10hipError_tPvRmT1_T2_T3_mT4_P12ihipStream_tbEUlT_E0_NS1_11comp_targetILNS1_3genE3ELNS1_11target_archE908ELNS1_3gpuE7ELNS1_3repE0EEENS1_30default_config_static_selectorELNS0_4arch9wavefront6targetE1EEEvSF_
	.globl	_ZN7rocprim17ROCPRIM_400000_NS6detail17trampoline_kernelINS0_14default_configENS1_22reduce_config_selectorIlEEZNS1_11reduce_implILb1ES3_PlS7_lN6thrust23THRUST_200600_302600_NS4plusIlEEEE10hipError_tPvRmT1_T2_T3_mT4_P12ihipStream_tbEUlT_E0_NS1_11comp_targetILNS1_3genE3ELNS1_11target_archE908ELNS1_3gpuE7ELNS1_3repE0EEENS1_30default_config_static_selectorELNS0_4arch9wavefront6targetE1EEEvSF_
	.p2align	8
	.type	_ZN7rocprim17ROCPRIM_400000_NS6detail17trampoline_kernelINS0_14default_configENS1_22reduce_config_selectorIlEEZNS1_11reduce_implILb1ES3_PlS7_lN6thrust23THRUST_200600_302600_NS4plusIlEEEE10hipError_tPvRmT1_T2_T3_mT4_P12ihipStream_tbEUlT_E0_NS1_11comp_targetILNS1_3genE3ELNS1_11target_archE908ELNS1_3gpuE7ELNS1_3repE0EEENS1_30default_config_static_selectorELNS0_4arch9wavefront6targetE1EEEvSF_,@function
_ZN7rocprim17ROCPRIM_400000_NS6detail17trampoline_kernelINS0_14default_configENS1_22reduce_config_selectorIlEEZNS1_11reduce_implILb1ES3_PlS7_lN6thrust23THRUST_200600_302600_NS4plusIlEEEE10hipError_tPvRmT1_T2_T3_mT4_P12ihipStream_tbEUlT_E0_NS1_11comp_targetILNS1_3genE3ELNS1_11target_archE908ELNS1_3gpuE7ELNS1_3repE0EEENS1_30default_config_static_selectorELNS0_4arch9wavefront6targetE1EEEvSF_: ; @_ZN7rocprim17ROCPRIM_400000_NS6detail17trampoline_kernelINS0_14default_configENS1_22reduce_config_selectorIlEEZNS1_11reduce_implILb1ES3_PlS7_lN6thrust23THRUST_200600_302600_NS4plusIlEEEE10hipError_tPvRmT1_T2_T3_mT4_P12ihipStream_tbEUlT_E0_NS1_11comp_targetILNS1_3genE3ELNS1_11target_archE908ELNS1_3gpuE7ELNS1_3repE0EEENS1_30default_config_static_selectorELNS0_4arch9wavefront6targetE1EEEvSF_
; %bb.0:
	.section	.rodata,"a",@progbits
	.p2align	6, 0x0
	.amdhsa_kernel _ZN7rocprim17ROCPRIM_400000_NS6detail17trampoline_kernelINS0_14default_configENS1_22reduce_config_selectorIlEEZNS1_11reduce_implILb1ES3_PlS7_lN6thrust23THRUST_200600_302600_NS4plusIlEEEE10hipError_tPvRmT1_T2_T3_mT4_P12ihipStream_tbEUlT_E0_NS1_11comp_targetILNS1_3genE3ELNS1_11target_archE908ELNS1_3gpuE7ELNS1_3repE0EEENS1_30default_config_static_selectorELNS0_4arch9wavefront6targetE1EEEvSF_
		.amdhsa_group_segment_fixed_size 0
		.amdhsa_private_segment_fixed_size 0
		.amdhsa_kernarg_size 64
		.amdhsa_user_sgpr_count 6
		.amdhsa_user_sgpr_private_segment_buffer 1
		.amdhsa_user_sgpr_dispatch_ptr 0
		.amdhsa_user_sgpr_queue_ptr 0
		.amdhsa_user_sgpr_kernarg_segment_ptr 1
		.amdhsa_user_sgpr_dispatch_id 0
		.amdhsa_user_sgpr_flat_scratch_init 0
		.amdhsa_user_sgpr_kernarg_preload_length 0
		.amdhsa_user_sgpr_kernarg_preload_offset 0
		.amdhsa_user_sgpr_private_segment_size 0
		.amdhsa_uses_dynamic_stack 0
		.amdhsa_system_sgpr_private_segment_wavefront_offset 0
		.amdhsa_system_sgpr_workgroup_id_x 1
		.amdhsa_system_sgpr_workgroup_id_y 0
		.amdhsa_system_sgpr_workgroup_id_z 0
		.amdhsa_system_sgpr_workgroup_info 0
		.amdhsa_system_vgpr_workitem_id 0
		.amdhsa_next_free_vgpr 1
		.amdhsa_next_free_sgpr 0
		.amdhsa_accum_offset 4
		.amdhsa_reserve_vcc 0
		.amdhsa_reserve_flat_scratch 0
		.amdhsa_float_round_mode_32 0
		.amdhsa_float_round_mode_16_64 0
		.amdhsa_float_denorm_mode_32 3
		.amdhsa_float_denorm_mode_16_64 3
		.amdhsa_dx10_clamp 1
		.amdhsa_ieee_mode 1
		.amdhsa_fp16_overflow 0
		.amdhsa_tg_split 0
		.amdhsa_exception_fp_ieee_invalid_op 0
		.amdhsa_exception_fp_denorm_src 0
		.amdhsa_exception_fp_ieee_div_zero 0
		.amdhsa_exception_fp_ieee_overflow 0
		.amdhsa_exception_fp_ieee_underflow 0
		.amdhsa_exception_fp_ieee_inexact 0
		.amdhsa_exception_int_div_zero 0
	.end_amdhsa_kernel
	.section	.text._ZN7rocprim17ROCPRIM_400000_NS6detail17trampoline_kernelINS0_14default_configENS1_22reduce_config_selectorIlEEZNS1_11reduce_implILb1ES3_PlS7_lN6thrust23THRUST_200600_302600_NS4plusIlEEEE10hipError_tPvRmT1_T2_T3_mT4_P12ihipStream_tbEUlT_E0_NS1_11comp_targetILNS1_3genE3ELNS1_11target_archE908ELNS1_3gpuE7ELNS1_3repE0EEENS1_30default_config_static_selectorELNS0_4arch9wavefront6targetE1EEEvSF_,"axG",@progbits,_ZN7rocprim17ROCPRIM_400000_NS6detail17trampoline_kernelINS0_14default_configENS1_22reduce_config_selectorIlEEZNS1_11reduce_implILb1ES3_PlS7_lN6thrust23THRUST_200600_302600_NS4plusIlEEEE10hipError_tPvRmT1_T2_T3_mT4_P12ihipStream_tbEUlT_E0_NS1_11comp_targetILNS1_3genE3ELNS1_11target_archE908ELNS1_3gpuE7ELNS1_3repE0EEENS1_30default_config_static_selectorELNS0_4arch9wavefront6targetE1EEEvSF_,comdat
.Lfunc_end3:
	.size	_ZN7rocprim17ROCPRIM_400000_NS6detail17trampoline_kernelINS0_14default_configENS1_22reduce_config_selectorIlEEZNS1_11reduce_implILb1ES3_PlS7_lN6thrust23THRUST_200600_302600_NS4plusIlEEEE10hipError_tPvRmT1_T2_T3_mT4_P12ihipStream_tbEUlT_E0_NS1_11comp_targetILNS1_3genE3ELNS1_11target_archE908ELNS1_3gpuE7ELNS1_3repE0EEENS1_30default_config_static_selectorELNS0_4arch9wavefront6targetE1EEEvSF_, .Lfunc_end3-_ZN7rocprim17ROCPRIM_400000_NS6detail17trampoline_kernelINS0_14default_configENS1_22reduce_config_selectorIlEEZNS1_11reduce_implILb1ES3_PlS7_lN6thrust23THRUST_200600_302600_NS4plusIlEEEE10hipError_tPvRmT1_T2_T3_mT4_P12ihipStream_tbEUlT_E0_NS1_11comp_targetILNS1_3genE3ELNS1_11target_archE908ELNS1_3gpuE7ELNS1_3repE0EEENS1_30default_config_static_selectorELNS0_4arch9wavefront6targetE1EEEvSF_
                                        ; -- End function
	.section	.AMDGPU.csdata,"",@progbits
; Kernel info:
; codeLenInByte = 0
; NumSgprs: 4
; NumVgprs: 0
; NumAgprs: 0
; TotalNumVgprs: 0
; ScratchSize: 0
; MemoryBound: 0
; FloatMode: 240
; IeeeMode: 1
; LDSByteSize: 0 bytes/workgroup (compile time only)
; SGPRBlocks: 0
; VGPRBlocks: 0
; NumSGPRsForWavesPerEU: 4
; NumVGPRsForWavesPerEU: 1
; AccumOffset: 4
; Occupancy: 8
; WaveLimiterHint : 0
; COMPUTE_PGM_RSRC2:SCRATCH_EN: 0
; COMPUTE_PGM_RSRC2:USER_SGPR: 6
; COMPUTE_PGM_RSRC2:TRAP_HANDLER: 0
; COMPUTE_PGM_RSRC2:TGID_X_EN: 1
; COMPUTE_PGM_RSRC2:TGID_Y_EN: 0
; COMPUTE_PGM_RSRC2:TGID_Z_EN: 0
; COMPUTE_PGM_RSRC2:TIDIG_COMP_CNT: 0
; COMPUTE_PGM_RSRC3_GFX90A:ACCUM_OFFSET: 0
; COMPUTE_PGM_RSRC3_GFX90A:TG_SPLIT: 0
	.section	.text._ZN7rocprim17ROCPRIM_400000_NS6detail17trampoline_kernelINS0_14default_configENS1_22reduce_config_selectorIlEEZNS1_11reduce_implILb1ES3_PlS7_lN6thrust23THRUST_200600_302600_NS4plusIlEEEE10hipError_tPvRmT1_T2_T3_mT4_P12ihipStream_tbEUlT_E0_NS1_11comp_targetILNS1_3genE2ELNS1_11target_archE906ELNS1_3gpuE6ELNS1_3repE0EEENS1_30default_config_static_selectorELNS0_4arch9wavefront6targetE1EEEvSF_,"axG",@progbits,_ZN7rocprim17ROCPRIM_400000_NS6detail17trampoline_kernelINS0_14default_configENS1_22reduce_config_selectorIlEEZNS1_11reduce_implILb1ES3_PlS7_lN6thrust23THRUST_200600_302600_NS4plusIlEEEE10hipError_tPvRmT1_T2_T3_mT4_P12ihipStream_tbEUlT_E0_NS1_11comp_targetILNS1_3genE2ELNS1_11target_archE906ELNS1_3gpuE6ELNS1_3repE0EEENS1_30default_config_static_selectorELNS0_4arch9wavefront6targetE1EEEvSF_,comdat
	.protected	_ZN7rocprim17ROCPRIM_400000_NS6detail17trampoline_kernelINS0_14default_configENS1_22reduce_config_selectorIlEEZNS1_11reduce_implILb1ES3_PlS7_lN6thrust23THRUST_200600_302600_NS4plusIlEEEE10hipError_tPvRmT1_T2_T3_mT4_P12ihipStream_tbEUlT_E0_NS1_11comp_targetILNS1_3genE2ELNS1_11target_archE906ELNS1_3gpuE6ELNS1_3repE0EEENS1_30default_config_static_selectorELNS0_4arch9wavefront6targetE1EEEvSF_ ; -- Begin function _ZN7rocprim17ROCPRIM_400000_NS6detail17trampoline_kernelINS0_14default_configENS1_22reduce_config_selectorIlEEZNS1_11reduce_implILb1ES3_PlS7_lN6thrust23THRUST_200600_302600_NS4plusIlEEEE10hipError_tPvRmT1_T2_T3_mT4_P12ihipStream_tbEUlT_E0_NS1_11comp_targetILNS1_3genE2ELNS1_11target_archE906ELNS1_3gpuE6ELNS1_3repE0EEENS1_30default_config_static_selectorELNS0_4arch9wavefront6targetE1EEEvSF_
	.globl	_ZN7rocprim17ROCPRIM_400000_NS6detail17trampoline_kernelINS0_14default_configENS1_22reduce_config_selectorIlEEZNS1_11reduce_implILb1ES3_PlS7_lN6thrust23THRUST_200600_302600_NS4plusIlEEEE10hipError_tPvRmT1_T2_T3_mT4_P12ihipStream_tbEUlT_E0_NS1_11comp_targetILNS1_3genE2ELNS1_11target_archE906ELNS1_3gpuE6ELNS1_3repE0EEENS1_30default_config_static_selectorELNS0_4arch9wavefront6targetE1EEEvSF_
	.p2align	8
	.type	_ZN7rocprim17ROCPRIM_400000_NS6detail17trampoline_kernelINS0_14default_configENS1_22reduce_config_selectorIlEEZNS1_11reduce_implILb1ES3_PlS7_lN6thrust23THRUST_200600_302600_NS4plusIlEEEE10hipError_tPvRmT1_T2_T3_mT4_P12ihipStream_tbEUlT_E0_NS1_11comp_targetILNS1_3genE2ELNS1_11target_archE906ELNS1_3gpuE6ELNS1_3repE0EEENS1_30default_config_static_selectorELNS0_4arch9wavefront6targetE1EEEvSF_,@function
_ZN7rocprim17ROCPRIM_400000_NS6detail17trampoline_kernelINS0_14default_configENS1_22reduce_config_selectorIlEEZNS1_11reduce_implILb1ES3_PlS7_lN6thrust23THRUST_200600_302600_NS4plusIlEEEE10hipError_tPvRmT1_T2_T3_mT4_P12ihipStream_tbEUlT_E0_NS1_11comp_targetILNS1_3genE2ELNS1_11target_archE906ELNS1_3gpuE6ELNS1_3repE0EEENS1_30default_config_static_selectorELNS0_4arch9wavefront6targetE1EEEvSF_: ; @_ZN7rocprim17ROCPRIM_400000_NS6detail17trampoline_kernelINS0_14default_configENS1_22reduce_config_selectorIlEEZNS1_11reduce_implILb1ES3_PlS7_lN6thrust23THRUST_200600_302600_NS4plusIlEEEE10hipError_tPvRmT1_T2_T3_mT4_P12ihipStream_tbEUlT_E0_NS1_11comp_targetILNS1_3genE2ELNS1_11target_archE906ELNS1_3gpuE6ELNS1_3repE0EEENS1_30default_config_static_selectorELNS0_4arch9wavefront6targetE1EEEvSF_
; %bb.0:
	.section	.rodata,"a",@progbits
	.p2align	6, 0x0
	.amdhsa_kernel _ZN7rocprim17ROCPRIM_400000_NS6detail17trampoline_kernelINS0_14default_configENS1_22reduce_config_selectorIlEEZNS1_11reduce_implILb1ES3_PlS7_lN6thrust23THRUST_200600_302600_NS4plusIlEEEE10hipError_tPvRmT1_T2_T3_mT4_P12ihipStream_tbEUlT_E0_NS1_11comp_targetILNS1_3genE2ELNS1_11target_archE906ELNS1_3gpuE6ELNS1_3repE0EEENS1_30default_config_static_selectorELNS0_4arch9wavefront6targetE1EEEvSF_
		.amdhsa_group_segment_fixed_size 0
		.amdhsa_private_segment_fixed_size 0
		.amdhsa_kernarg_size 64
		.amdhsa_user_sgpr_count 6
		.amdhsa_user_sgpr_private_segment_buffer 1
		.amdhsa_user_sgpr_dispatch_ptr 0
		.amdhsa_user_sgpr_queue_ptr 0
		.amdhsa_user_sgpr_kernarg_segment_ptr 1
		.amdhsa_user_sgpr_dispatch_id 0
		.amdhsa_user_sgpr_flat_scratch_init 0
		.amdhsa_user_sgpr_kernarg_preload_length 0
		.amdhsa_user_sgpr_kernarg_preload_offset 0
		.amdhsa_user_sgpr_private_segment_size 0
		.amdhsa_uses_dynamic_stack 0
		.amdhsa_system_sgpr_private_segment_wavefront_offset 0
		.amdhsa_system_sgpr_workgroup_id_x 1
		.amdhsa_system_sgpr_workgroup_id_y 0
		.amdhsa_system_sgpr_workgroup_id_z 0
		.amdhsa_system_sgpr_workgroup_info 0
		.amdhsa_system_vgpr_workitem_id 0
		.amdhsa_next_free_vgpr 1
		.amdhsa_next_free_sgpr 0
		.amdhsa_accum_offset 4
		.amdhsa_reserve_vcc 0
		.amdhsa_reserve_flat_scratch 0
		.amdhsa_float_round_mode_32 0
		.amdhsa_float_round_mode_16_64 0
		.amdhsa_float_denorm_mode_32 3
		.amdhsa_float_denorm_mode_16_64 3
		.amdhsa_dx10_clamp 1
		.amdhsa_ieee_mode 1
		.amdhsa_fp16_overflow 0
		.amdhsa_tg_split 0
		.amdhsa_exception_fp_ieee_invalid_op 0
		.amdhsa_exception_fp_denorm_src 0
		.amdhsa_exception_fp_ieee_div_zero 0
		.amdhsa_exception_fp_ieee_overflow 0
		.amdhsa_exception_fp_ieee_underflow 0
		.amdhsa_exception_fp_ieee_inexact 0
		.amdhsa_exception_int_div_zero 0
	.end_amdhsa_kernel
	.section	.text._ZN7rocprim17ROCPRIM_400000_NS6detail17trampoline_kernelINS0_14default_configENS1_22reduce_config_selectorIlEEZNS1_11reduce_implILb1ES3_PlS7_lN6thrust23THRUST_200600_302600_NS4plusIlEEEE10hipError_tPvRmT1_T2_T3_mT4_P12ihipStream_tbEUlT_E0_NS1_11comp_targetILNS1_3genE2ELNS1_11target_archE906ELNS1_3gpuE6ELNS1_3repE0EEENS1_30default_config_static_selectorELNS0_4arch9wavefront6targetE1EEEvSF_,"axG",@progbits,_ZN7rocprim17ROCPRIM_400000_NS6detail17trampoline_kernelINS0_14default_configENS1_22reduce_config_selectorIlEEZNS1_11reduce_implILb1ES3_PlS7_lN6thrust23THRUST_200600_302600_NS4plusIlEEEE10hipError_tPvRmT1_T2_T3_mT4_P12ihipStream_tbEUlT_E0_NS1_11comp_targetILNS1_3genE2ELNS1_11target_archE906ELNS1_3gpuE6ELNS1_3repE0EEENS1_30default_config_static_selectorELNS0_4arch9wavefront6targetE1EEEvSF_,comdat
.Lfunc_end4:
	.size	_ZN7rocprim17ROCPRIM_400000_NS6detail17trampoline_kernelINS0_14default_configENS1_22reduce_config_selectorIlEEZNS1_11reduce_implILb1ES3_PlS7_lN6thrust23THRUST_200600_302600_NS4plusIlEEEE10hipError_tPvRmT1_T2_T3_mT4_P12ihipStream_tbEUlT_E0_NS1_11comp_targetILNS1_3genE2ELNS1_11target_archE906ELNS1_3gpuE6ELNS1_3repE0EEENS1_30default_config_static_selectorELNS0_4arch9wavefront6targetE1EEEvSF_, .Lfunc_end4-_ZN7rocprim17ROCPRIM_400000_NS6detail17trampoline_kernelINS0_14default_configENS1_22reduce_config_selectorIlEEZNS1_11reduce_implILb1ES3_PlS7_lN6thrust23THRUST_200600_302600_NS4plusIlEEEE10hipError_tPvRmT1_T2_T3_mT4_P12ihipStream_tbEUlT_E0_NS1_11comp_targetILNS1_3genE2ELNS1_11target_archE906ELNS1_3gpuE6ELNS1_3repE0EEENS1_30default_config_static_selectorELNS0_4arch9wavefront6targetE1EEEvSF_
                                        ; -- End function
	.section	.AMDGPU.csdata,"",@progbits
; Kernel info:
; codeLenInByte = 0
; NumSgprs: 4
; NumVgprs: 0
; NumAgprs: 0
; TotalNumVgprs: 0
; ScratchSize: 0
; MemoryBound: 0
; FloatMode: 240
; IeeeMode: 1
; LDSByteSize: 0 bytes/workgroup (compile time only)
; SGPRBlocks: 0
; VGPRBlocks: 0
; NumSGPRsForWavesPerEU: 4
; NumVGPRsForWavesPerEU: 1
; AccumOffset: 4
; Occupancy: 8
; WaveLimiterHint : 0
; COMPUTE_PGM_RSRC2:SCRATCH_EN: 0
; COMPUTE_PGM_RSRC2:USER_SGPR: 6
; COMPUTE_PGM_RSRC2:TRAP_HANDLER: 0
; COMPUTE_PGM_RSRC2:TGID_X_EN: 1
; COMPUTE_PGM_RSRC2:TGID_Y_EN: 0
; COMPUTE_PGM_RSRC2:TGID_Z_EN: 0
; COMPUTE_PGM_RSRC2:TIDIG_COMP_CNT: 0
; COMPUTE_PGM_RSRC3_GFX90A:ACCUM_OFFSET: 0
; COMPUTE_PGM_RSRC3_GFX90A:TG_SPLIT: 0
	.section	.text._ZN7rocprim17ROCPRIM_400000_NS6detail17trampoline_kernelINS0_14default_configENS1_22reduce_config_selectorIlEEZNS1_11reduce_implILb1ES3_PlS7_lN6thrust23THRUST_200600_302600_NS4plusIlEEEE10hipError_tPvRmT1_T2_T3_mT4_P12ihipStream_tbEUlT_E0_NS1_11comp_targetILNS1_3genE10ELNS1_11target_archE1201ELNS1_3gpuE5ELNS1_3repE0EEENS1_30default_config_static_selectorELNS0_4arch9wavefront6targetE1EEEvSF_,"axG",@progbits,_ZN7rocprim17ROCPRIM_400000_NS6detail17trampoline_kernelINS0_14default_configENS1_22reduce_config_selectorIlEEZNS1_11reduce_implILb1ES3_PlS7_lN6thrust23THRUST_200600_302600_NS4plusIlEEEE10hipError_tPvRmT1_T2_T3_mT4_P12ihipStream_tbEUlT_E0_NS1_11comp_targetILNS1_3genE10ELNS1_11target_archE1201ELNS1_3gpuE5ELNS1_3repE0EEENS1_30default_config_static_selectorELNS0_4arch9wavefront6targetE1EEEvSF_,comdat
	.protected	_ZN7rocprim17ROCPRIM_400000_NS6detail17trampoline_kernelINS0_14default_configENS1_22reduce_config_selectorIlEEZNS1_11reduce_implILb1ES3_PlS7_lN6thrust23THRUST_200600_302600_NS4plusIlEEEE10hipError_tPvRmT1_T2_T3_mT4_P12ihipStream_tbEUlT_E0_NS1_11comp_targetILNS1_3genE10ELNS1_11target_archE1201ELNS1_3gpuE5ELNS1_3repE0EEENS1_30default_config_static_selectorELNS0_4arch9wavefront6targetE1EEEvSF_ ; -- Begin function _ZN7rocprim17ROCPRIM_400000_NS6detail17trampoline_kernelINS0_14default_configENS1_22reduce_config_selectorIlEEZNS1_11reduce_implILb1ES3_PlS7_lN6thrust23THRUST_200600_302600_NS4plusIlEEEE10hipError_tPvRmT1_T2_T3_mT4_P12ihipStream_tbEUlT_E0_NS1_11comp_targetILNS1_3genE10ELNS1_11target_archE1201ELNS1_3gpuE5ELNS1_3repE0EEENS1_30default_config_static_selectorELNS0_4arch9wavefront6targetE1EEEvSF_
	.globl	_ZN7rocprim17ROCPRIM_400000_NS6detail17trampoline_kernelINS0_14default_configENS1_22reduce_config_selectorIlEEZNS1_11reduce_implILb1ES3_PlS7_lN6thrust23THRUST_200600_302600_NS4plusIlEEEE10hipError_tPvRmT1_T2_T3_mT4_P12ihipStream_tbEUlT_E0_NS1_11comp_targetILNS1_3genE10ELNS1_11target_archE1201ELNS1_3gpuE5ELNS1_3repE0EEENS1_30default_config_static_selectorELNS0_4arch9wavefront6targetE1EEEvSF_
	.p2align	8
	.type	_ZN7rocprim17ROCPRIM_400000_NS6detail17trampoline_kernelINS0_14default_configENS1_22reduce_config_selectorIlEEZNS1_11reduce_implILb1ES3_PlS7_lN6thrust23THRUST_200600_302600_NS4plusIlEEEE10hipError_tPvRmT1_T2_T3_mT4_P12ihipStream_tbEUlT_E0_NS1_11comp_targetILNS1_3genE10ELNS1_11target_archE1201ELNS1_3gpuE5ELNS1_3repE0EEENS1_30default_config_static_selectorELNS0_4arch9wavefront6targetE1EEEvSF_,@function
_ZN7rocprim17ROCPRIM_400000_NS6detail17trampoline_kernelINS0_14default_configENS1_22reduce_config_selectorIlEEZNS1_11reduce_implILb1ES3_PlS7_lN6thrust23THRUST_200600_302600_NS4plusIlEEEE10hipError_tPvRmT1_T2_T3_mT4_P12ihipStream_tbEUlT_E0_NS1_11comp_targetILNS1_3genE10ELNS1_11target_archE1201ELNS1_3gpuE5ELNS1_3repE0EEENS1_30default_config_static_selectorELNS0_4arch9wavefront6targetE1EEEvSF_: ; @_ZN7rocprim17ROCPRIM_400000_NS6detail17trampoline_kernelINS0_14default_configENS1_22reduce_config_selectorIlEEZNS1_11reduce_implILb1ES3_PlS7_lN6thrust23THRUST_200600_302600_NS4plusIlEEEE10hipError_tPvRmT1_T2_T3_mT4_P12ihipStream_tbEUlT_E0_NS1_11comp_targetILNS1_3genE10ELNS1_11target_archE1201ELNS1_3gpuE5ELNS1_3repE0EEENS1_30default_config_static_selectorELNS0_4arch9wavefront6targetE1EEEvSF_
; %bb.0:
	.section	.rodata,"a",@progbits
	.p2align	6, 0x0
	.amdhsa_kernel _ZN7rocprim17ROCPRIM_400000_NS6detail17trampoline_kernelINS0_14default_configENS1_22reduce_config_selectorIlEEZNS1_11reduce_implILb1ES3_PlS7_lN6thrust23THRUST_200600_302600_NS4plusIlEEEE10hipError_tPvRmT1_T2_T3_mT4_P12ihipStream_tbEUlT_E0_NS1_11comp_targetILNS1_3genE10ELNS1_11target_archE1201ELNS1_3gpuE5ELNS1_3repE0EEENS1_30default_config_static_selectorELNS0_4arch9wavefront6targetE1EEEvSF_
		.amdhsa_group_segment_fixed_size 0
		.amdhsa_private_segment_fixed_size 0
		.amdhsa_kernarg_size 64
		.amdhsa_user_sgpr_count 6
		.amdhsa_user_sgpr_private_segment_buffer 1
		.amdhsa_user_sgpr_dispatch_ptr 0
		.amdhsa_user_sgpr_queue_ptr 0
		.amdhsa_user_sgpr_kernarg_segment_ptr 1
		.amdhsa_user_sgpr_dispatch_id 0
		.amdhsa_user_sgpr_flat_scratch_init 0
		.amdhsa_user_sgpr_kernarg_preload_length 0
		.amdhsa_user_sgpr_kernarg_preload_offset 0
		.amdhsa_user_sgpr_private_segment_size 0
		.amdhsa_uses_dynamic_stack 0
		.amdhsa_system_sgpr_private_segment_wavefront_offset 0
		.amdhsa_system_sgpr_workgroup_id_x 1
		.amdhsa_system_sgpr_workgroup_id_y 0
		.amdhsa_system_sgpr_workgroup_id_z 0
		.amdhsa_system_sgpr_workgroup_info 0
		.amdhsa_system_vgpr_workitem_id 0
		.amdhsa_next_free_vgpr 1
		.amdhsa_next_free_sgpr 0
		.amdhsa_accum_offset 4
		.amdhsa_reserve_vcc 0
		.amdhsa_reserve_flat_scratch 0
		.amdhsa_float_round_mode_32 0
		.amdhsa_float_round_mode_16_64 0
		.amdhsa_float_denorm_mode_32 3
		.amdhsa_float_denorm_mode_16_64 3
		.amdhsa_dx10_clamp 1
		.amdhsa_ieee_mode 1
		.amdhsa_fp16_overflow 0
		.amdhsa_tg_split 0
		.amdhsa_exception_fp_ieee_invalid_op 0
		.amdhsa_exception_fp_denorm_src 0
		.amdhsa_exception_fp_ieee_div_zero 0
		.amdhsa_exception_fp_ieee_overflow 0
		.amdhsa_exception_fp_ieee_underflow 0
		.amdhsa_exception_fp_ieee_inexact 0
		.amdhsa_exception_int_div_zero 0
	.end_amdhsa_kernel
	.section	.text._ZN7rocprim17ROCPRIM_400000_NS6detail17trampoline_kernelINS0_14default_configENS1_22reduce_config_selectorIlEEZNS1_11reduce_implILb1ES3_PlS7_lN6thrust23THRUST_200600_302600_NS4plusIlEEEE10hipError_tPvRmT1_T2_T3_mT4_P12ihipStream_tbEUlT_E0_NS1_11comp_targetILNS1_3genE10ELNS1_11target_archE1201ELNS1_3gpuE5ELNS1_3repE0EEENS1_30default_config_static_selectorELNS0_4arch9wavefront6targetE1EEEvSF_,"axG",@progbits,_ZN7rocprim17ROCPRIM_400000_NS6detail17trampoline_kernelINS0_14default_configENS1_22reduce_config_selectorIlEEZNS1_11reduce_implILb1ES3_PlS7_lN6thrust23THRUST_200600_302600_NS4plusIlEEEE10hipError_tPvRmT1_T2_T3_mT4_P12ihipStream_tbEUlT_E0_NS1_11comp_targetILNS1_3genE10ELNS1_11target_archE1201ELNS1_3gpuE5ELNS1_3repE0EEENS1_30default_config_static_selectorELNS0_4arch9wavefront6targetE1EEEvSF_,comdat
.Lfunc_end5:
	.size	_ZN7rocprim17ROCPRIM_400000_NS6detail17trampoline_kernelINS0_14default_configENS1_22reduce_config_selectorIlEEZNS1_11reduce_implILb1ES3_PlS7_lN6thrust23THRUST_200600_302600_NS4plusIlEEEE10hipError_tPvRmT1_T2_T3_mT4_P12ihipStream_tbEUlT_E0_NS1_11comp_targetILNS1_3genE10ELNS1_11target_archE1201ELNS1_3gpuE5ELNS1_3repE0EEENS1_30default_config_static_selectorELNS0_4arch9wavefront6targetE1EEEvSF_, .Lfunc_end5-_ZN7rocprim17ROCPRIM_400000_NS6detail17trampoline_kernelINS0_14default_configENS1_22reduce_config_selectorIlEEZNS1_11reduce_implILb1ES3_PlS7_lN6thrust23THRUST_200600_302600_NS4plusIlEEEE10hipError_tPvRmT1_T2_T3_mT4_P12ihipStream_tbEUlT_E0_NS1_11comp_targetILNS1_3genE10ELNS1_11target_archE1201ELNS1_3gpuE5ELNS1_3repE0EEENS1_30default_config_static_selectorELNS0_4arch9wavefront6targetE1EEEvSF_
                                        ; -- End function
	.section	.AMDGPU.csdata,"",@progbits
; Kernel info:
; codeLenInByte = 0
; NumSgprs: 4
; NumVgprs: 0
; NumAgprs: 0
; TotalNumVgprs: 0
; ScratchSize: 0
; MemoryBound: 0
; FloatMode: 240
; IeeeMode: 1
; LDSByteSize: 0 bytes/workgroup (compile time only)
; SGPRBlocks: 0
; VGPRBlocks: 0
; NumSGPRsForWavesPerEU: 4
; NumVGPRsForWavesPerEU: 1
; AccumOffset: 4
; Occupancy: 8
; WaveLimiterHint : 0
; COMPUTE_PGM_RSRC2:SCRATCH_EN: 0
; COMPUTE_PGM_RSRC2:USER_SGPR: 6
; COMPUTE_PGM_RSRC2:TRAP_HANDLER: 0
; COMPUTE_PGM_RSRC2:TGID_X_EN: 1
; COMPUTE_PGM_RSRC2:TGID_Y_EN: 0
; COMPUTE_PGM_RSRC2:TGID_Z_EN: 0
; COMPUTE_PGM_RSRC2:TIDIG_COMP_CNT: 0
; COMPUTE_PGM_RSRC3_GFX90A:ACCUM_OFFSET: 0
; COMPUTE_PGM_RSRC3_GFX90A:TG_SPLIT: 0
	.section	.text._ZN7rocprim17ROCPRIM_400000_NS6detail17trampoline_kernelINS0_14default_configENS1_22reduce_config_selectorIlEEZNS1_11reduce_implILb1ES3_PlS7_lN6thrust23THRUST_200600_302600_NS4plusIlEEEE10hipError_tPvRmT1_T2_T3_mT4_P12ihipStream_tbEUlT_E0_NS1_11comp_targetILNS1_3genE10ELNS1_11target_archE1200ELNS1_3gpuE4ELNS1_3repE0EEENS1_30default_config_static_selectorELNS0_4arch9wavefront6targetE1EEEvSF_,"axG",@progbits,_ZN7rocprim17ROCPRIM_400000_NS6detail17trampoline_kernelINS0_14default_configENS1_22reduce_config_selectorIlEEZNS1_11reduce_implILb1ES3_PlS7_lN6thrust23THRUST_200600_302600_NS4plusIlEEEE10hipError_tPvRmT1_T2_T3_mT4_P12ihipStream_tbEUlT_E0_NS1_11comp_targetILNS1_3genE10ELNS1_11target_archE1200ELNS1_3gpuE4ELNS1_3repE0EEENS1_30default_config_static_selectorELNS0_4arch9wavefront6targetE1EEEvSF_,comdat
	.protected	_ZN7rocprim17ROCPRIM_400000_NS6detail17trampoline_kernelINS0_14default_configENS1_22reduce_config_selectorIlEEZNS1_11reduce_implILb1ES3_PlS7_lN6thrust23THRUST_200600_302600_NS4plusIlEEEE10hipError_tPvRmT1_T2_T3_mT4_P12ihipStream_tbEUlT_E0_NS1_11comp_targetILNS1_3genE10ELNS1_11target_archE1200ELNS1_3gpuE4ELNS1_3repE0EEENS1_30default_config_static_selectorELNS0_4arch9wavefront6targetE1EEEvSF_ ; -- Begin function _ZN7rocprim17ROCPRIM_400000_NS6detail17trampoline_kernelINS0_14default_configENS1_22reduce_config_selectorIlEEZNS1_11reduce_implILb1ES3_PlS7_lN6thrust23THRUST_200600_302600_NS4plusIlEEEE10hipError_tPvRmT1_T2_T3_mT4_P12ihipStream_tbEUlT_E0_NS1_11comp_targetILNS1_3genE10ELNS1_11target_archE1200ELNS1_3gpuE4ELNS1_3repE0EEENS1_30default_config_static_selectorELNS0_4arch9wavefront6targetE1EEEvSF_
	.globl	_ZN7rocprim17ROCPRIM_400000_NS6detail17trampoline_kernelINS0_14default_configENS1_22reduce_config_selectorIlEEZNS1_11reduce_implILb1ES3_PlS7_lN6thrust23THRUST_200600_302600_NS4plusIlEEEE10hipError_tPvRmT1_T2_T3_mT4_P12ihipStream_tbEUlT_E0_NS1_11comp_targetILNS1_3genE10ELNS1_11target_archE1200ELNS1_3gpuE4ELNS1_3repE0EEENS1_30default_config_static_selectorELNS0_4arch9wavefront6targetE1EEEvSF_
	.p2align	8
	.type	_ZN7rocprim17ROCPRIM_400000_NS6detail17trampoline_kernelINS0_14default_configENS1_22reduce_config_selectorIlEEZNS1_11reduce_implILb1ES3_PlS7_lN6thrust23THRUST_200600_302600_NS4plusIlEEEE10hipError_tPvRmT1_T2_T3_mT4_P12ihipStream_tbEUlT_E0_NS1_11comp_targetILNS1_3genE10ELNS1_11target_archE1200ELNS1_3gpuE4ELNS1_3repE0EEENS1_30default_config_static_selectorELNS0_4arch9wavefront6targetE1EEEvSF_,@function
_ZN7rocprim17ROCPRIM_400000_NS6detail17trampoline_kernelINS0_14default_configENS1_22reduce_config_selectorIlEEZNS1_11reduce_implILb1ES3_PlS7_lN6thrust23THRUST_200600_302600_NS4plusIlEEEE10hipError_tPvRmT1_T2_T3_mT4_P12ihipStream_tbEUlT_E0_NS1_11comp_targetILNS1_3genE10ELNS1_11target_archE1200ELNS1_3gpuE4ELNS1_3repE0EEENS1_30default_config_static_selectorELNS0_4arch9wavefront6targetE1EEEvSF_: ; @_ZN7rocprim17ROCPRIM_400000_NS6detail17trampoline_kernelINS0_14default_configENS1_22reduce_config_selectorIlEEZNS1_11reduce_implILb1ES3_PlS7_lN6thrust23THRUST_200600_302600_NS4plusIlEEEE10hipError_tPvRmT1_T2_T3_mT4_P12ihipStream_tbEUlT_E0_NS1_11comp_targetILNS1_3genE10ELNS1_11target_archE1200ELNS1_3gpuE4ELNS1_3repE0EEENS1_30default_config_static_selectorELNS0_4arch9wavefront6targetE1EEEvSF_
; %bb.0:
	.section	.rodata,"a",@progbits
	.p2align	6, 0x0
	.amdhsa_kernel _ZN7rocprim17ROCPRIM_400000_NS6detail17trampoline_kernelINS0_14default_configENS1_22reduce_config_selectorIlEEZNS1_11reduce_implILb1ES3_PlS7_lN6thrust23THRUST_200600_302600_NS4plusIlEEEE10hipError_tPvRmT1_T2_T3_mT4_P12ihipStream_tbEUlT_E0_NS1_11comp_targetILNS1_3genE10ELNS1_11target_archE1200ELNS1_3gpuE4ELNS1_3repE0EEENS1_30default_config_static_selectorELNS0_4arch9wavefront6targetE1EEEvSF_
		.amdhsa_group_segment_fixed_size 0
		.amdhsa_private_segment_fixed_size 0
		.amdhsa_kernarg_size 64
		.amdhsa_user_sgpr_count 6
		.amdhsa_user_sgpr_private_segment_buffer 1
		.amdhsa_user_sgpr_dispatch_ptr 0
		.amdhsa_user_sgpr_queue_ptr 0
		.amdhsa_user_sgpr_kernarg_segment_ptr 1
		.amdhsa_user_sgpr_dispatch_id 0
		.amdhsa_user_sgpr_flat_scratch_init 0
		.amdhsa_user_sgpr_kernarg_preload_length 0
		.amdhsa_user_sgpr_kernarg_preload_offset 0
		.amdhsa_user_sgpr_private_segment_size 0
		.amdhsa_uses_dynamic_stack 0
		.amdhsa_system_sgpr_private_segment_wavefront_offset 0
		.amdhsa_system_sgpr_workgroup_id_x 1
		.amdhsa_system_sgpr_workgroup_id_y 0
		.amdhsa_system_sgpr_workgroup_id_z 0
		.amdhsa_system_sgpr_workgroup_info 0
		.amdhsa_system_vgpr_workitem_id 0
		.amdhsa_next_free_vgpr 1
		.amdhsa_next_free_sgpr 0
		.amdhsa_accum_offset 4
		.amdhsa_reserve_vcc 0
		.amdhsa_reserve_flat_scratch 0
		.amdhsa_float_round_mode_32 0
		.amdhsa_float_round_mode_16_64 0
		.amdhsa_float_denorm_mode_32 3
		.amdhsa_float_denorm_mode_16_64 3
		.amdhsa_dx10_clamp 1
		.amdhsa_ieee_mode 1
		.amdhsa_fp16_overflow 0
		.amdhsa_tg_split 0
		.amdhsa_exception_fp_ieee_invalid_op 0
		.amdhsa_exception_fp_denorm_src 0
		.amdhsa_exception_fp_ieee_div_zero 0
		.amdhsa_exception_fp_ieee_overflow 0
		.amdhsa_exception_fp_ieee_underflow 0
		.amdhsa_exception_fp_ieee_inexact 0
		.amdhsa_exception_int_div_zero 0
	.end_amdhsa_kernel
	.section	.text._ZN7rocprim17ROCPRIM_400000_NS6detail17trampoline_kernelINS0_14default_configENS1_22reduce_config_selectorIlEEZNS1_11reduce_implILb1ES3_PlS7_lN6thrust23THRUST_200600_302600_NS4plusIlEEEE10hipError_tPvRmT1_T2_T3_mT4_P12ihipStream_tbEUlT_E0_NS1_11comp_targetILNS1_3genE10ELNS1_11target_archE1200ELNS1_3gpuE4ELNS1_3repE0EEENS1_30default_config_static_selectorELNS0_4arch9wavefront6targetE1EEEvSF_,"axG",@progbits,_ZN7rocprim17ROCPRIM_400000_NS6detail17trampoline_kernelINS0_14default_configENS1_22reduce_config_selectorIlEEZNS1_11reduce_implILb1ES3_PlS7_lN6thrust23THRUST_200600_302600_NS4plusIlEEEE10hipError_tPvRmT1_T2_T3_mT4_P12ihipStream_tbEUlT_E0_NS1_11comp_targetILNS1_3genE10ELNS1_11target_archE1200ELNS1_3gpuE4ELNS1_3repE0EEENS1_30default_config_static_selectorELNS0_4arch9wavefront6targetE1EEEvSF_,comdat
.Lfunc_end6:
	.size	_ZN7rocprim17ROCPRIM_400000_NS6detail17trampoline_kernelINS0_14default_configENS1_22reduce_config_selectorIlEEZNS1_11reduce_implILb1ES3_PlS7_lN6thrust23THRUST_200600_302600_NS4plusIlEEEE10hipError_tPvRmT1_T2_T3_mT4_P12ihipStream_tbEUlT_E0_NS1_11comp_targetILNS1_3genE10ELNS1_11target_archE1200ELNS1_3gpuE4ELNS1_3repE0EEENS1_30default_config_static_selectorELNS0_4arch9wavefront6targetE1EEEvSF_, .Lfunc_end6-_ZN7rocprim17ROCPRIM_400000_NS6detail17trampoline_kernelINS0_14default_configENS1_22reduce_config_selectorIlEEZNS1_11reduce_implILb1ES3_PlS7_lN6thrust23THRUST_200600_302600_NS4plusIlEEEE10hipError_tPvRmT1_T2_T3_mT4_P12ihipStream_tbEUlT_E0_NS1_11comp_targetILNS1_3genE10ELNS1_11target_archE1200ELNS1_3gpuE4ELNS1_3repE0EEENS1_30default_config_static_selectorELNS0_4arch9wavefront6targetE1EEEvSF_
                                        ; -- End function
	.section	.AMDGPU.csdata,"",@progbits
; Kernel info:
; codeLenInByte = 0
; NumSgprs: 4
; NumVgprs: 0
; NumAgprs: 0
; TotalNumVgprs: 0
; ScratchSize: 0
; MemoryBound: 0
; FloatMode: 240
; IeeeMode: 1
; LDSByteSize: 0 bytes/workgroup (compile time only)
; SGPRBlocks: 0
; VGPRBlocks: 0
; NumSGPRsForWavesPerEU: 4
; NumVGPRsForWavesPerEU: 1
; AccumOffset: 4
; Occupancy: 8
; WaveLimiterHint : 0
; COMPUTE_PGM_RSRC2:SCRATCH_EN: 0
; COMPUTE_PGM_RSRC2:USER_SGPR: 6
; COMPUTE_PGM_RSRC2:TRAP_HANDLER: 0
; COMPUTE_PGM_RSRC2:TGID_X_EN: 1
; COMPUTE_PGM_RSRC2:TGID_Y_EN: 0
; COMPUTE_PGM_RSRC2:TGID_Z_EN: 0
; COMPUTE_PGM_RSRC2:TIDIG_COMP_CNT: 0
; COMPUTE_PGM_RSRC3_GFX90A:ACCUM_OFFSET: 0
; COMPUTE_PGM_RSRC3_GFX90A:TG_SPLIT: 0
	.section	.text._ZN7rocprim17ROCPRIM_400000_NS6detail17trampoline_kernelINS0_14default_configENS1_22reduce_config_selectorIlEEZNS1_11reduce_implILb1ES3_PlS7_lN6thrust23THRUST_200600_302600_NS4plusIlEEEE10hipError_tPvRmT1_T2_T3_mT4_P12ihipStream_tbEUlT_E0_NS1_11comp_targetILNS1_3genE9ELNS1_11target_archE1100ELNS1_3gpuE3ELNS1_3repE0EEENS1_30default_config_static_selectorELNS0_4arch9wavefront6targetE1EEEvSF_,"axG",@progbits,_ZN7rocprim17ROCPRIM_400000_NS6detail17trampoline_kernelINS0_14default_configENS1_22reduce_config_selectorIlEEZNS1_11reduce_implILb1ES3_PlS7_lN6thrust23THRUST_200600_302600_NS4plusIlEEEE10hipError_tPvRmT1_T2_T3_mT4_P12ihipStream_tbEUlT_E0_NS1_11comp_targetILNS1_3genE9ELNS1_11target_archE1100ELNS1_3gpuE3ELNS1_3repE0EEENS1_30default_config_static_selectorELNS0_4arch9wavefront6targetE1EEEvSF_,comdat
	.protected	_ZN7rocprim17ROCPRIM_400000_NS6detail17trampoline_kernelINS0_14default_configENS1_22reduce_config_selectorIlEEZNS1_11reduce_implILb1ES3_PlS7_lN6thrust23THRUST_200600_302600_NS4plusIlEEEE10hipError_tPvRmT1_T2_T3_mT4_P12ihipStream_tbEUlT_E0_NS1_11comp_targetILNS1_3genE9ELNS1_11target_archE1100ELNS1_3gpuE3ELNS1_3repE0EEENS1_30default_config_static_selectorELNS0_4arch9wavefront6targetE1EEEvSF_ ; -- Begin function _ZN7rocprim17ROCPRIM_400000_NS6detail17trampoline_kernelINS0_14default_configENS1_22reduce_config_selectorIlEEZNS1_11reduce_implILb1ES3_PlS7_lN6thrust23THRUST_200600_302600_NS4plusIlEEEE10hipError_tPvRmT1_T2_T3_mT4_P12ihipStream_tbEUlT_E0_NS1_11comp_targetILNS1_3genE9ELNS1_11target_archE1100ELNS1_3gpuE3ELNS1_3repE0EEENS1_30default_config_static_selectorELNS0_4arch9wavefront6targetE1EEEvSF_
	.globl	_ZN7rocprim17ROCPRIM_400000_NS6detail17trampoline_kernelINS0_14default_configENS1_22reduce_config_selectorIlEEZNS1_11reduce_implILb1ES3_PlS7_lN6thrust23THRUST_200600_302600_NS4plusIlEEEE10hipError_tPvRmT1_T2_T3_mT4_P12ihipStream_tbEUlT_E0_NS1_11comp_targetILNS1_3genE9ELNS1_11target_archE1100ELNS1_3gpuE3ELNS1_3repE0EEENS1_30default_config_static_selectorELNS0_4arch9wavefront6targetE1EEEvSF_
	.p2align	8
	.type	_ZN7rocprim17ROCPRIM_400000_NS6detail17trampoline_kernelINS0_14default_configENS1_22reduce_config_selectorIlEEZNS1_11reduce_implILb1ES3_PlS7_lN6thrust23THRUST_200600_302600_NS4plusIlEEEE10hipError_tPvRmT1_T2_T3_mT4_P12ihipStream_tbEUlT_E0_NS1_11comp_targetILNS1_3genE9ELNS1_11target_archE1100ELNS1_3gpuE3ELNS1_3repE0EEENS1_30default_config_static_selectorELNS0_4arch9wavefront6targetE1EEEvSF_,@function
_ZN7rocprim17ROCPRIM_400000_NS6detail17trampoline_kernelINS0_14default_configENS1_22reduce_config_selectorIlEEZNS1_11reduce_implILb1ES3_PlS7_lN6thrust23THRUST_200600_302600_NS4plusIlEEEE10hipError_tPvRmT1_T2_T3_mT4_P12ihipStream_tbEUlT_E0_NS1_11comp_targetILNS1_3genE9ELNS1_11target_archE1100ELNS1_3gpuE3ELNS1_3repE0EEENS1_30default_config_static_selectorELNS0_4arch9wavefront6targetE1EEEvSF_: ; @_ZN7rocprim17ROCPRIM_400000_NS6detail17trampoline_kernelINS0_14default_configENS1_22reduce_config_selectorIlEEZNS1_11reduce_implILb1ES3_PlS7_lN6thrust23THRUST_200600_302600_NS4plusIlEEEE10hipError_tPvRmT1_T2_T3_mT4_P12ihipStream_tbEUlT_E0_NS1_11comp_targetILNS1_3genE9ELNS1_11target_archE1100ELNS1_3gpuE3ELNS1_3repE0EEENS1_30default_config_static_selectorELNS0_4arch9wavefront6targetE1EEEvSF_
; %bb.0:
	.section	.rodata,"a",@progbits
	.p2align	6, 0x0
	.amdhsa_kernel _ZN7rocprim17ROCPRIM_400000_NS6detail17trampoline_kernelINS0_14default_configENS1_22reduce_config_selectorIlEEZNS1_11reduce_implILb1ES3_PlS7_lN6thrust23THRUST_200600_302600_NS4plusIlEEEE10hipError_tPvRmT1_T2_T3_mT4_P12ihipStream_tbEUlT_E0_NS1_11comp_targetILNS1_3genE9ELNS1_11target_archE1100ELNS1_3gpuE3ELNS1_3repE0EEENS1_30default_config_static_selectorELNS0_4arch9wavefront6targetE1EEEvSF_
		.amdhsa_group_segment_fixed_size 0
		.amdhsa_private_segment_fixed_size 0
		.amdhsa_kernarg_size 64
		.amdhsa_user_sgpr_count 6
		.amdhsa_user_sgpr_private_segment_buffer 1
		.amdhsa_user_sgpr_dispatch_ptr 0
		.amdhsa_user_sgpr_queue_ptr 0
		.amdhsa_user_sgpr_kernarg_segment_ptr 1
		.amdhsa_user_sgpr_dispatch_id 0
		.amdhsa_user_sgpr_flat_scratch_init 0
		.amdhsa_user_sgpr_kernarg_preload_length 0
		.amdhsa_user_sgpr_kernarg_preload_offset 0
		.amdhsa_user_sgpr_private_segment_size 0
		.amdhsa_uses_dynamic_stack 0
		.amdhsa_system_sgpr_private_segment_wavefront_offset 0
		.amdhsa_system_sgpr_workgroup_id_x 1
		.amdhsa_system_sgpr_workgroup_id_y 0
		.amdhsa_system_sgpr_workgroup_id_z 0
		.amdhsa_system_sgpr_workgroup_info 0
		.amdhsa_system_vgpr_workitem_id 0
		.amdhsa_next_free_vgpr 1
		.amdhsa_next_free_sgpr 0
		.amdhsa_accum_offset 4
		.amdhsa_reserve_vcc 0
		.amdhsa_reserve_flat_scratch 0
		.amdhsa_float_round_mode_32 0
		.amdhsa_float_round_mode_16_64 0
		.amdhsa_float_denorm_mode_32 3
		.amdhsa_float_denorm_mode_16_64 3
		.amdhsa_dx10_clamp 1
		.amdhsa_ieee_mode 1
		.amdhsa_fp16_overflow 0
		.amdhsa_tg_split 0
		.amdhsa_exception_fp_ieee_invalid_op 0
		.amdhsa_exception_fp_denorm_src 0
		.amdhsa_exception_fp_ieee_div_zero 0
		.amdhsa_exception_fp_ieee_overflow 0
		.amdhsa_exception_fp_ieee_underflow 0
		.amdhsa_exception_fp_ieee_inexact 0
		.amdhsa_exception_int_div_zero 0
	.end_amdhsa_kernel
	.section	.text._ZN7rocprim17ROCPRIM_400000_NS6detail17trampoline_kernelINS0_14default_configENS1_22reduce_config_selectorIlEEZNS1_11reduce_implILb1ES3_PlS7_lN6thrust23THRUST_200600_302600_NS4plusIlEEEE10hipError_tPvRmT1_T2_T3_mT4_P12ihipStream_tbEUlT_E0_NS1_11comp_targetILNS1_3genE9ELNS1_11target_archE1100ELNS1_3gpuE3ELNS1_3repE0EEENS1_30default_config_static_selectorELNS0_4arch9wavefront6targetE1EEEvSF_,"axG",@progbits,_ZN7rocprim17ROCPRIM_400000_NS6detail17trampoline_kernelINS0_14default_configENS1_22reduce_config_selectorIlEEZNS1_11reduce_implILb1ES3_PlS7_lN6thrust23THRUST_200600_302600_NS4plusIlEEEE10hipError_tPvRmT1_T2_T3_mT4_P12ihipStream_tbEUlT_E0_NS1_11comp_targetILNS1_3genE9ELNS1_11target_archE1100ELNS1_3gpuE3ELNS1_3repE0EEENS1_30default_config_static_selectorELNS0_4arch9wavefront6targetE1EEEvSF_,comdat
.Lfunc_end7:
	.size	_ZN7rocprim17ROCPRIM_400000_NS6detail17trampoline_kernelINS0_14default_configENS1_22reduce_config_selectorIlEEZNS1_11reduce_implILb1ES3_PlS7_lN6thrust23THRUST_200600_302600_NS4plusIlEEEE10hipError_tPvRmT1_T2_T3_mT4_P12ihipStream_tbEUlT_E0_NS1_11comp_targetILNS1_3genE9ELNS1_11target_archE1100ELNS1_3gpuE3ELNS1_3repE0EEENS1_30default_config_static_selectorELNS0_4arch9wavefront6targetE1EEEvSF_, .Lfunc_end7-_ZN7rocprim17ROCPRIM_400000_NS6detail17trampoline_kernelINS0_14default_configENS1_22reduce_config_selectorIlEEZNS1_11reduce_implILb1ES3_PlS7_lN6thrust23THRUST_200600_302600_NS4plusIlEEEE10hipError_tPvRmT1_T2_T3_mT4_P12ihipStream_tbEUlT_E0_NS1_11comp_targetILNS1_3genE9ELNS1_11target_archE1100ELNS1_3gpuE3ELNS1_3repE0EEENS1_30default_config_static_selectorELNS0_4arch9wavefront6targetE1EEEvSF_
                                        ; -- End function
	.section	.AMDGPU.csdata,"",@progbits
; Kernel info:
; codeLenInByte = 0
; NumSgprs: 4
; NumVgprs: 0
; NumAgprs: 0
; TotalNumVgprs: 0
; ScratchSize: 0
; MemoryBound: 0
; FloatMode: 240
; IeeeMode: 1
; LDSByteSize: 0 bytes/workgroup (compile time only)
; SGPRBlocks: 0
; VGPRBlocks: 0
; NumSGPRsForWavesPerEU: 4
; NumVGPRsForWavesPerEU: 1
; AccumOffset: 4
; Occupancy: 8
; WaveLimiterHint : 0
; COMPUTE_PGM_RSRC2:SCRATCH_EN: 0
; COMPUTE_PGM_RSRC2:USER_SGPR: 6
; COMPUTE_PGM_RSRC2:TRAP_HANDLER: 0
; COMPUTE_PGM_RSRC2:TGID_X_EN: 1
; COMPUTE_PGM_RSRC2:TGID_Y_EN: 0
; COMPUTE_PGM_RSRC2:TGID_Z_EN: 0
; COMPUTE_PGM_RSRC2:TIDIG_COMP_CNT: 0
; COMPUTE_PGM_RSRC3_GFX90A:ACCUM_OFFSET: 0
; COMPUTE_PGM_RSRC3_GFX90A:TG_SPLIT: 0
	.section	.text._ZN7rocprim17ROCPRIM_400000_NS6detail17trampoline_kernelINS0_14default_configENS1_22reduce_config_selectorIlEEZNS1_11reduce_implILb1ES3_PlS7_lN6thrust23THRUST_200600_302600_NS4plusIlEEEE10hipError_tPvRmT1_T2_T3_mT4_P12ihipStream_tbEUlT_E0_NS1_11comp_targetILNS1_3genE8ELNS1_11target_archE1030ELNS1_3gpuE2ELNS1_3repE0EEENS1_30default_config_static_selectorELNS0_4arch9wavefront6targetE1EEEvSF_,"axG",@progbits,_ZN7rocprim17ROCPRIM_400000_NS6detail17trampoline_kernelINS0_14default_configENS1_22reduce_config_selectorIlEEZNS1_11reduce_implILb1ES3_PlS7_lN6thrust23THRUST_200600_302600_NS4plusIlEEEE10hipError_tPvRmT1_T2_T3_mT4_P12ihipStream_tbEUlT_E0_NS1_11comp_targetILNS1_3genE8ELNS1_11target_archE1030ELNS1_3gpuE2ELNS1_3repE0EEENS1_30default_config_static_selectorELNS0_4arch9wavefront6targetE1EEEvSF_,comdat
	.protected	_ZN7rocprim17ROCPRIM_400000_NS6detail17trampoline_kernelINS0_14default_configENS1_22reduce_config_selectorIlEEZNS1_11reduce_implILb1ES3_PlS7_lN6thrust23THRUST_200600_302600_NS4plusIlEEEE10hipError_tPvRmT1_T2_T3_mT4_P12ihipStream_tbEUlT_E0_NS1_11comp_targetILNS1_3genE8ELNS1_11target_archE1030ELNS1_3gpuE2ELNS1_3repE0EEENS1_30default_config_static_selectorELNS0_4arch9wavefront6targetE1EEEvSF_ ; -- Begin function _ZN7rocprim17ROCPRIM_400000_NS6detail17trampoline_kernelINS0_14default_configENS1_22reduce_config_selectorIlEEZNS1_11reduce_implILb1ES3_PlS7_lN6thrust23THRUST_200600_302600_NS4plusIlEEEE10hipError_tPvRmT1_T2_T3_mT4_P12ihipStream_tbEUlT_E0_NS1_11comp_targetILNS1_3genE8ELNS1_11target_archE1030ELNS1_3gpuE2ELNS1_3repE0EEENS1_30default_config_static_selectorELNS0_4arch9wavefront6targetE1EEEvSF_
	.globl	_ZN7rocprim17ROCPRIM_400000_NS6detail17trampoline_kernelINS0_14default_configENS1_22reduce_config_selectorIlEEZNS1_11reduce_implILb1ES3_PlS7_lN6thrust23THRUST_200600_302600_NS4plusIlEEEE10hipError_tPvRmT1_T2_T3_mT4_P12ihipStream_tbEUlT_E0_NS1_11comp_targetILNS1_3genE8ELNS1_11target_archE1030ELNS1_3gpuE2ELNS1_3repE0EEENS1_30default_config_static_selectorELNS0_4arch9wavefront6targetE1EEEvSF_
	.p2align	8
	.type	_ZN7rocprim17ROCPRIM_400000_NS6detail17trampoline_kernelINS0_14default_configENS1_22reduce_config_selectorIlEEZNS1_11reduce_implILb1ES3_PlS7_lN6thrust23THRUST_200600_302600_NS4plusIlEEEE10hipError_tPvRmT1_T2_T3_mT4_P12ihipStream_tbEUlT_E0_NS1_11comp_targetILNS1_3genE8ELNS1_11target_archE1030ELNS1_3gpuE2ELNS1_3repE0EEENS1_30default_config_static_selectorELNS0_4arch9wavefront6targetE1EEEvSF_,@function
_ZN7rocprim17ROCPRIM_400000_NS6detail17trampoline_kernelINS0_14default_configENS1_22reduce_config_selectorIlEEZNS1_11reduce_implILb1ES3_PlS7_lN6thrust23THRUST_200600_302600_NS4plusIlEEEE10hipError_tPvRmT1_T2_T3_mT4_P12ihipStream_tbEUlT_E0_NS1_11comp_targetILNS1_3genE8ELNS1_11target_archE1030ELNS1_3gpuE2ELNS1_3repE0EEENS1_30default_config_static_selectorELNS0_4arch9wavefront6targetE1EEEvSF_: ; @_ZN7rocprim17ROCPRIM_400000_NS6detail17trampoline_kernelINS0_14default_configENS1_22reduce_config_selectorIlEEZNS1_11reduce_implILb1ES3_PlS7_lN6thrust23THRUST_200600_302600_NS4plusIlEEEE10hipError_tPvRmT1_T2_T3_mT4_P12ihipStream_tbEUlT_E0_NS1_11comp_targetILNS1_3genE8ELNS1_11target_archE1030ELNS1_3gpuE2ELNS1_3repE0EEENS1_30default_config_static_selectorELNS0_4arch9wavefront6targetE1EEEvSF_
; %bb.0:
	.section	.rodata,"a",@progbits
	.p2align	6, 0x0
	.amdhsa_kernel _ZN7rocprim17ROCPRIM_400000_NS6detail17trampoline_kernelINS0_14default_configENS1_22reduce_config_selectorIlEEZNS1_11reduce_implILb1ES3_PlS7_lN6thrust23THRUST_200600_302600_NS4plusIlEEEE10hipError_tPvRmT1_T2_T3_mT4_P12ihipStream_tbEUlT_E0_NS1_11comp_targetILNS1_3genE8ELNS1_11target_archE1030ELNS1_3gpuE2ELNS1_3repE0EEENS1_30default_config_static_selectorELNS0_4arch9wavefront6targetE1EEEvSF_
		.amdhsa_group_segment_fixed_size 0
		.amdhsa_private_segment_fixed_size 0
		.amdhsa_kernarg_size 64
		.amdhsa_user_sgpr_count 6
		.amdhsa_user_sgpr_private_segment_buffer 1
		.amdhsa_user_sgpr_dispatch_ptr 0
		.amdhsa_user_sgpr_queue_ptr 0
		.amdhsa_user_sgpr_kernarg_segment_ptr 1
		.amdhsa_user_sgpr_dispatch_id 0
		.amdhsa_user_sgpr_flat_scratch_init 0
		.amdhsa_user_sgpr_kernarg_preload_length 0
		.amdhsa_user_sgpr_kernarg_preload_offset 0
		.amdhsa_user_sgpr_private_segment_size 0
		.amdhsa_uses_dynamic_stack 0
		.amdhsa_system_sgpr_private_segment_wavefront_offset 0
		.amdhsa_system_sgpr_workgroup_id_x 1
		.amdhsa_system_sgpr_workgroup_id_y 0
		.amdhsa_system_sgpr_workgroup_id_z 0
		.amdhsa_system_sgpr_workgroup_info 0
		.amdhsa_system_vgpr_workitem_id 0
		.amdhsa_next_free_vgpr 1
		.amdhsa_next_free_sgpr 0
		.amdhsa_accum_offset 4
		.amdhsa_reserve_vcc 0
		.amdhsa_reserve_flat_scratch 0
		.amdhsa_float_round_mode_32 0
		.amdhsa_float_round_mode_16_64 0
		.amdhsa_float_denorm_mode_32 3
		.amdhsa_float_denorm_mode_16_64 3
		.amdhsa_dx10_clamp 1
		.amdhsa_ieee_mode 1
		.amdhsa_fp16_overflow 0
		.amdhsa_tg_split 0
		.amdhsa_exception_fp_ieee_invalid_op 0
		.amdhsa_exception_fp_denorm_src 0
		.amdhsa_exception_fp_ieee_div_zero 0
		.amdhsa_exception_fp_ieee_overflow 0
		.amdhsa_exception_fp_ieee_underflow 0
		.amdhsa_exception_fp_ieee_inexact 0
		.amdhsa_exception_int_div_zero 0
	.end_amdhsa_kernel
	.section	.text._ZN7rocprim17ROCPRIM_400000_NS6detail17trampoline_kernelINS0_14default_configENS1_22reduce_config_selectorIlEEZNS1_11reduce_implILb1ES3_PlS7_lN6thrust23THRUST_200600_302600_NS4plusIlEEEE10hipError_tPvRmT1_T2_T3_mT4_P12ihipStream_tbEUlT_E0_NS1_11comp_targetILNS1_3genE8ELNS1_11target_archE1030ELNS1_3gpuE2ELNS1_3repE0EEENS1_30default_config_static_selectorELNS0_4arch9wavefront6targetE1EEEvSF_,"axG",@progbits,_ZN7rocprim17ROCPRIM_400000_NS6detail17trampoline_kernelINS0_14default_configENS1_22reduce_config_selectorIlEEZNS1_11reduce_implILb1ES3_PlS7_lN6thrust23THRUST_200600_302600_NS4plusIlEEEE10hipError_tPvRmT1_T2_T3_mT4_P12ihipStream_tbEUlT_E0_NS1_11comp_targetILNS1_3genE8ELNS1_11target_archE1030ELNS1_3gpuE2ELNS1_3repE0EEENS1_30default_config_static_selectorELNS0_4arch9wavefront6targetE1EEEvSF_,comdat
.Lfunc_end8:
	.size	_ZN7rocprim17ROCPRIM_400000_NS6detail17trampoline_kernelINS0_14default_configENS1_22reduce_config_selectorIlEEZNS1_11reduce_implILb1ES3_PlS7_lN6thrust23THRUST_200600_302600_NS4plusIlEEEE10hipError_tPvRmT1_T2_T3_mT4_P12ihipStream_tbEUlT_E0_NS1_11comp_targetILNS1_3genE8ELNS1_11target_archE1030ELNS1_3gpuE2ELNS1_3repE0EEENS1_30default_config_static_selectorELNS0_4arch9wavefront6targetE1EEEvSF_, .Lfunc_end8-_ZN7rocprim17ROCPRIM_400000_NS6detail17trampoline_kernelINS0_14default_configENS1_22reduce_config_selectorIlEEZNS1_11reduce_implILb1ES3_PlS7_lN6thrust23THRUST_200600_302600_NS4plusIlEEEE10hipError_tPvRmT1_T2_T3_mT4_P12ihipStream_tbEUlT_E0_NS1_11comp_targetILNS1_3genE8ELNS1_11target_archE1030ELNS1_3gpuE2ELNS1_3repE0EEENS1_30default_config_static_selectorELNS0_4arch9wavefront6targetE1EEEvSF_
                                        ; -- End function
	.section	.AMDGPU.csdata,"",@progbits
; Kernel info:
; codeLenInByte = 0
; NumSgprs: 4
; NumVgprs: 0
; NumAgprs: 0
; TotalNumVgprs: 0
; ScratchSize: 0
; MemoryBound: 0
; FloatMode: 240
; IeeeMode: 1
; LDSByteSize: 0 bytes/workgroup (compile time only)
; SGPRBlocks: 0
; VGPRBlocks: 0
; NumSGPRsForWavesPerEU: 4
; NumVGPRsForWavesPerEU: 1
; AccumOffset: 4
; Occupancy: 8
; WaveLimiterHint : 0
; COMPUTE_PGM_RSRC2:SCRATCH_EN: 0
; COMPUTE_PGM_RSRC2:USER_SGPR: 6
; COMPUTE_PGM_RSRC2:TRAP_HANDLER: 0
; COMPUTE_PGM_RSRC2:TGID_X_EN: 1
; COMPUTE_PGM_RSRC2:TGID_Y_EN: 0
; COMPUTE_PGM_RSRC2:TGID_Z_EN: 0
; COMPUTE_PGM_RSRC2:TIDIG_COMP_CNT: 0
; COMPUTE_PGM_RSRC3_GFX90A:ACCUM_OFFSET: 0
; COMPUTE_PGM_RSRC3_GFX90A:TG_SPLIT: 0
	.section	.text._ZN7rocprim17ROCPRIM_400000_NS6detail17trampoline_kernelINS0_14default_configENS1_22reduce_config_selectorIlEEZNS1_11reduce_implILb1ES3_PlS7_lN6thrust23THRUST_200600_302600_NS4plusIlEEEE10hipError_tPvRmT1_T2_T3_mT4_P12ihipStream_tbEUlT_E1_NS1_11comp_targetILNS1_3genE0ELNS1_11target_archE4294967295ELNS1_3gpuE0ELNS1_3repE0EEENS1_30default_config_static_selectorELNS0_4arch9wavefront6targetE1EEEvSF_,"axG",@progbits,_ZN7rocprim17ROCPRIM_400000_NS6detail17trampoline_kernelINS0_14default_configENS1_22reduce_config_selectorIlEEZNS1_11reduce_implILb1ES3_PlS7_lN6thrust23THRUST_200600_302600_NS4plusIlEEEE10hipError_tPvRmT1_T2_T3_mT4_P12ihipStream_tbEUlT_E1_NS1_11comp_targetILNS1_3genE0ELNS1_11target_archE4294967295ELNS1_3gpuE0ELNS1_3repE0EEENS1_30default_config_static_selectorELNS0_4arch9wavefront6targetE1EEEvSF_,comdat
	.protected	_ZN7rocprim17ROCPRIM_400000_NS6detail17trampoline_kernelINS0_14default_configENS1_22reduce_config_selectorIlEEZNS1_11reduce_implILb1ES3_PlS7_lN6thrust23THRUST_200600_302600_NS4plusIlEEEE10hipError_tPvRmT1_T2_T3_mT4_P12ihipStream_tbEUlT_E1_NS1_11comp_targetILNS1_3genE0ELNS1_11target_archE4294967295ELNS1_3gpuE0ELNS1_3repE0EEENS1_30default_config_static_selectorELNS0_4arch9wavefront6targetE1EEEvSF_ ; -- Begin function _ZN7rocprim17ROCPRIM_400000_NS6detail17trampoline_kernelINS0_14default_configENS1_22reduce_config_selectorIlEEZNS1_11reduce_implILb1ES3_PlS7_lN6thrust23THRUST_200600_302600_NS4plusIlEEEE10hipError_tPvRmT1_T2_T3_mT4_P12ihipStream_tbEUlT_E1_NS1_11comp_targetILNS1_3genE0ELNS1_11target_archE4294967295ELNS1_3gpuE0ELNS1_3repE0EEENS1_30default_config_static_selectorELNS0_4arch9wavefront6targetE1EEEvSF_
	.globl	_ZN7rocprim17ROCPRIM_400000_NS6detail17trampoline_kernelINS0_14default_configENS1_22reduce_config_selectorIlEEZNS1_11reduce_implILb1ES3_PlS7_lN6thrust23THRUST_200600_302600_NS4plusIlEEEE10hipError_tPvRmT1_T2_T3_mT4_P12ihipStream_tbEUlT_E1_NS1_11comp_targetILNS1_3genE0ELNS1_11target_archE4294967295ELNS1_3gpuE0ELNS1_3repE0EEENS1_30default_config_static_selectorELNS0_4arch9wavefront6targetE1EEEvSF_
	.p2align	8
	.type	_ZN7rocprim17ROCPRIM_400000_NS6detail17trampoline_kernelINS0_14default_configENS1_22reduce_config_selectorIlEEZNS1_11reduce_implILb1ES3_PlS7_lN6thrust23THRUST_200600_302600_NS4plusIlEEEE10hipError_tPvRmT1_T2_T3_mT4_P12ihipStream_tbEUlT_E1_NS1_11comp_targetILNS1_3genE0ELNS1_11target_archE4294967295ELNS1_3gpuE0ELNS1_3repE0EEENS1_30default_config_static_selectorELNS0_4arch9wavefront6targetE1EEEvSF_,@function
_ZN7rocprim17ROCPRIM_400000_NS6detail17trampoline_kernelINS0_14default_configENS1_22reduce_config_selectorIlEEZNS1_11reduce_implILb1ES3_PlS7_lN6thrust23THRUST_200600_302600_NS4plusIlEEEE10hipError_tPvRmT1_T2_T3_mT4_P12ihipStream_tbEUlT_E1_NS1_11comp_targetILNS1_3genE0ELNS1_11target_archE4294967295ELNS1_3gpuE0ELNS1_3repE0EEENS1_30default_config_static_selectorELNS0_4arch9wavefront6targetE1EEEvSF_: ; @_ZN7rocprim17ROCPRIM_400000_NS6detail17trampoline_kernelINS0_14default_configENS1_22reduce_config_selectorIlEEZNS1_11reduce_implILb1ES3_PlS7_lN6thrust23THRUST_200600_302600_NS4plusIlEEEE10hipError_tPvRmT1_T2_T3_mT4_P12ihipStream_tbEUlT_E1_NS1_11comp_targetILNS1_3genE0ELNS1_11target_archE4294967295ELNS1_3gpuE0ELNS1_3repE0EEENS1_30default_config_static_selectorELNS0_4arch9wavefront6targetE1EEEvSF_
; %bb.0:
	.section	.rodata,"a",@progbits
	.p2align	6, 0x0
	.amdhsa_kernel _ZN7rocprim17ROCPRIM_400000_NS6detail17trampoline_kernelINS0_14default_configENS1_22reduce_config_selectorIlEEZNS1_11reduce_implILb1ES3_PlS7_lN6thrust23THRUST_200600_302600_NS4plusIlEEEE10hipError_tPvRmT1_T2_T3_mT4_P12ihipStream_tbEUlT_E1_NS1_11comp_targetILNS1_3genE0ELNS1_11target_archE4294967295ELNS1_3gpuE0ELNS1_3repE0EEENS1_30default_config_static_selectorELNS0_4arch9wavefront6targetE1EEEvSF_
		.amdhsa_group_segment_fixed_size 0
		.amdhsa_private_segment_fixed_size 0
		.amdhsa_kernarg_size 48
		.amdhsa_user_sgpr_count 6
		.amdhsa_user_sgpr_private_segment_buffer 1
		.amdhsa_user_sgpr_dispatch_ptr 0
		.amdhsa_user_sgpr_queue_ptr 0
		.amdhsa_user_sgpr_kernarg_segment_ptr 1
		.amdhsa_user_sgpr_dispatch_id 0
		.amdhsa_user_sgpr_flat_scratch_init 0
		.amdhsa_user_sgpr_kernarg_preload_length 0
		.amdhsa_user_sgpr_kernarg_preload_offset 0
		.amdhsa_user_sgpr_private_segment_size 0
		.amdhsa_uses_dynamic_stack 0
		.amdhsa_system_sgpr_private_segment_wavefront_offset 0
		.amdhsa_system_sgpr_workgroup_id_x 1
		.amdhsa_system_sgpr_workgroup_id_y 0
		.amdhsa_system_sgpr_workgroup_id_z 0
		.amdhsa_system_sgpr_workgroup_info 0
		.amdhsa_system_vgpr_workitem_id 0
		.amdhsa_next_free_vgpr 1
		.amdhsa_next_free_sgpr 0
		.amdhsa_accum_offset 4
		.amdhsa_reserve_vcc 0
		.amdhsa_reserve_flat_scratch 0
		.amdhsa_float_round_mode_32 0
		.amdhsa_float_round_mode_16_64 0
		.amdhsa_float_denorm_mode_32 3
		.amdhsa_float_denorm_mode_16_64 3
		.amdhsa_dx10_clamp 1
		.amdhsa_ieee_mode 1
		.amdhsa_fp16_overflow 0
		.amdhsa_tg_split 0
		.amdhsa_exception_fp_ieee_invalid_op 0
		.amdhsa_exception_fp_denorm_src 0
		.amdhsa_exception_fp_ieee_div_zero 0
		.amdhsa_exception_fp_ieee_overflow 0
		.amdhsa_exception_fp_ieee_underflow 0
		.amdhsa_exception_fp_ieee_inexact 0
		.amdhsa_exception_int_div_zero 0
	.end_amdhsa_kernel
	.section	.text._ZN7rocprim17ROCPRIM_400000_NS6detail17trampoline_kernelINS0_14default_configENS1_22reduce_config_selectorIlEEZNS1_11reduce_implILb1ES3_PlS7_lN6thrust23THRUST_200600_302600_NS4plusIlEEEE10hipError_tPvRmT1_T2_T3_mT4_P12ihipStream_tbEUlT_E1_NS1_11comp_targetILNS1_3genE0ELNS1_11target_archE4294967295ELNS1_3gpuE0ELNS1_3repE0EEENS1_30default_config_static_selectorELNS0_4arch9wavefront6targetE1EEEvSF_,"axG",@progbits,_ZN7rocprim17ROCPRIM_400000_NS6detail17trampoline_kernelINS0_14default_configENS1_22reduce_config_selectorIlEEZNS1_11reduce_implILb1ES3_PlS7_lN6thrust23THRUST_200600_302600_NS4plusIlEEEE10hipError_tPvRmT1_T2_T3_mT4_P12ihipStream_tbEUlT_E1_NS1_11comp_targetILNS1_3genE0ELNS1_11target_archE4294967295ELNS1_3gpuE0ELNS1_3repE0EEENS1_30default_config_static_selectorELNS0_4arch9wavefront6targetE1EEEvSF_,comdat
.Lfunc_end9:
	.size	_ZN7rocprim17ROCPRIM_400000_NS6detail17trampoline_kernelINS0_14default_configENS1_22reduce_config_selectorIlEEZNS1_11reduce_implILb1ES3_PlS7_lN6thrust23THRUST_200600_302600_NS4plusIlEEEE10hipError_tPvRmT1_T2_T3_mT4_P12ihipStream_tbEUlT_E1_NS1_11comp_targetILNS1_3genE0ELNS1_11target_archE4294967295ELNS1_3gpuE0ELNS1_3repE0EEENS1_30default_config_static_selectorELNS0_4arch9wavefront6targetE1EEEvSF_, .Lfunc_end9-_ZN7rocprim17ROCPRIM_400000_NS6detail17trampoline_kernelINS0_14default_configENS1_22reduce_config_selectorIlEEZNS1_11reduce_implILb1ES3_PlS7_lN6thrust23THRUST_200600_302600_NS4plusIlEEEE10hipError_tPvRmT1_T2_T3_mT4_P12ihipStream_tbEUlT_E1_NS1_11comp_targetILNS1_3genE0ELNS1_11target_archE4294967295ELNS1_3gpuE0ELNS1_3repE0EEENS1_30default_config_static_selectorELNS0_4arch9wavefront6targetE1EEEvSF_
                                        ; -- End function
	.section	.AMDGPU.csdata,"",@progbits
; Kernel info:
; codeLenInByte = 0
; NumSgprs: 4
; NumVgprs: 0
; NumAgprs: 0
; TotalNumVgprs: 0
; ScratchSize: 0
; MemoryBound: 0
; FloatMode: 240
; IeeeMode: 1
; LDSByteSize: 0 bytes/workgroup (compile time only)
; SGPRBlocks: 0
; VGPRBlocks: 0
; NumSGPRsForWavesPerEU: 4
; NumVGPRsForWavesPerEU: 1
; AccumOffset: 4
; Occupancy: 8
; WaveLimiterHint : 0
; COMPUTE_PGM_RSRC2:SCRATCH_EN: 0
; COMPUTE_PGM_RSRC2:USER_SGPR: 6
; COMPUTE_PGM_RSRC2:TRAP_HANDLER: 0
; COMPUTE_PGM_RSRC2:TGID_X_EN: 1
; COMPUTE_PGM_RSRC2:TGID_Y_EN: 0
; COMPUTE_PGM_RSRC2:TGID_Z_EN: 0
; COMPUTE_PGM_RSRC2:TIDIG_COMP_CNT: 0
; COMPUTE_PGM_RSRC3_GFX90A:ACCUM_OFFSET: 0
; COMPUTE_PGM_RSRC3_GFX90A:TG_SPLIT: 0
	.section	.text._ZN7rocprim17ROCPRIM_400000_NS6detail17trampoline_kernelINS0_14default_configENS1_22reduce_config_selectorIlEEZNS1_11reduce_implILb1ES3_PlS7_lN6thrust23THRUST_200600_302600_NS4plusIlEEEE10hipError_tPvRmT1_T2_T3_mT4_P12ihipStream_tbEUlT_E1_NS1_11comp_targetILNS1_3genE5ELNS1_11target_archE942ELNS1_3gpuE9ELNS1_3repE0EEENS1_30default_config_static_selectorELNS0_4arch9wavefront6targetE1EEEvSF_,"axG",@progbits,_ZN7rocprim17ROCPRIM_400000_NS6detail17trampoline_kernelINS0_14default_configENS1_22reduce_config_selectorIlEEZNS1_11reduce_implILb1ES3_PlS7_lN6thrust23THRUST_200600_302600_NS4plusIlEEEE10hipError_tPvRmT1_T2_T3_mT4_P12ihipStream_tbEUlT_E1_NS1_11comp_targetILNS1_3genE5ELNS1_11target_archE942ELNS1_3gpuE9ELNS1_3repE0EEENS1_30default_config_static_selectorELNS0_4arch9wavefront6targetE1EEEvSF_,comdat
	.protected	_ZN7rocprim17ROCPRIM_400000_NS6detail17trampoline_kernelINS0_14default_configENS1_22reduce_config_selectorIlEEZNS1_11reduce_implILb1ES3_PlS7_lN6thrust23THRUST_200600_302600_NS4plusIlEEEE10hipError_tPvRmT1_T2_T3_mT4_P12ihipStream_tbEUlT_E1_NS1_11comp_targetILNS1_3genE5ELNS1_11target_archE942ELNS1_3gpuE9ELNS1_3repE0EEENS1_30default_config_static_selectorELNS0_4arch9wavefront6targetE1EEEvSF_ ; -- Begin function _ZN7rocprim17ROCPRIM_400000_NS6detail17trampoline_kernelINS0_14default_configENS1_22reduce_config_selectorIlEEZNS1_11reduce_implILb1ES3_PlS7_lN6thrust23THRUST_200600_302600_NS4plusIlEEEE10hipError_tPvRmT1_T2_T3_mT4_P12ihipStream_tbEUlT_E1_NS1_11comp_targetILNS1_3genE5ELNS1_11target_archE942ELNS1_3gpuE9ELNS1_3repE0EEENS1_30default_config_static_selectorELNS0_4arch9wavefront6targetE1EEEvSF_
	.globl	_ZN7rocprim17ROCPRIM_400000_NS6detail17trampoline_kernelINS0_14default_configENS1_22reduce_config_selectorIlEEZNS1_11reduce_implILb1ES3_PlS7_lN6thrust23THRUST_200600_302600_NS4plusIlEEEE10hipError_tPvRmT1_T2_T3_mT4_P12ihipStream_tbEUlT_E1_NS1_11comp_targetILNS1_3genE5ELNS1_11target_archE942ELNS1_3gpuE9ELNS1_3repE0EEENS1_30default_config_static_selectorELNS0_4arch9wavefront6targetE1EEEvSF_
	.p2align	8
	.type	_ZN7rocprim17ROCPRIM_400000_NS6detail17trampoline_kernelINS0_14default_configENS1_22reduce_config_selectorIlEEZNS1_11reduce_implILb1ES3_PlS7_lN6thrust23THRUST_200600_302600_NS4plusIlEEEE10hipError_tPvRmT1_T2_T3_mT4_P12ihipStream_tbEUlT_E1_NS1_11comp_targetILNS1_3genE5ELNS1_11target_archE942ELNS1_3gpuE9ELNS1_3repE0EEENS1_30default_config_static_selectorELNS0_4arch9wavefront6targetE1EEEvSF_,@function
_ZN7rocprim17ROCPRIM_400000_NS6detail17trampoline_kernelINS0_14default_configENS1_22reduce_config_selectorIlEEZNS1_11reduce_implILb1ES3_PlS7_lN6thrust23THRUST_200600_302600_NS4plusIlEEEE10hipError_tPvRmT1_T2_T3_mT4_P12ihipStream_tbEUlT_E1_NS1_11comp_targetILNS1_3genE5ELNS1_11target_archE942ELNS1_3gpuE9ELNS1_3repE0EEENS1_30default_config_static_selectorELNS0_4arch9wavefront6targetE1EEEvSF_: ; @_ZN7rocprim17ROCPRIM_400000_NS6detail17trampoline_kernelINS0_14default_configENS1_22reduce_config_selectorIlEEZNS1_11reduce_implILb1ES3_PlS7_lN6thrust23THRUST_200600_302600_NS4plusIlEEEE10hipError_tPvRmT1_T2_T3_mT4_P12ihipStream_tbEUlT_E1_NS1_11comp_targetILNS1_3genE5ELNS1_11target_archE942ELNS1_3gpuE9ELNS1_3repE0EEENS1_30default_config_static_selectorELNS0_4arch9wavefront6targetE1EEEvSF_
; %bb.0:
	.section	.rodata,"a",@progbits
	.p2align	6, 0x0
	.amdhsa_kernel _ZN7rocprim17ROCPRIM_400000_NS6detail17trampoline_kernelINS0_14default_configENS1_22reduce_config_selectorIlEEZNS1_11reduce_implILb1ES3_PlS7_lN6thrust23THRUST_200600_302600_NS4plusIlEEEE10hipError_tPvRmT1_T2_T3_mT4_P12ihipStream_tbEUlT_E1_NS1_11comp_targetILNS1_3genE5ELNS1_11target_archE942ELNS1_3gpuE9ELNS1_3repE0EEENS1_30default_config_static_selectorELNS0_4arch9wavefront6targetE1EEEvSF_
		.amdhsa_group_segment_fixed_size 0
		.amdhsa_private_segment_fixed_size 0
		.amdhsa_kernarg_size 48
		.amdhsa_user_sgpr_count 6
		.amdhsa_user_sgpr_private_segment_buffer 1
		.amdhsa_user_sgpr_dispatch_ptr 0
		.amdhsa_user_sgpr_queue_ptr 0
		.amdhsa_user_sgpr_kernarg_segment_ptr 1
		.amdhsa_user_sgpr_dispatch_id 0
		.amdhsa_user_sgpr_flat_scratch_init 0
		.amdhsa_user_sgpr_kernarg_preload_length 0
		.amdhsa_user_sgpr_kernarg_preload_offset 0
		.amdhsa_user_sgpr_private_segment_size 0
		.amdhsa_uses_dynamic_stack 0
		.amdhsa_system_sgpr_private_segment_wavefront_offset 0
		.amdhsa_system_sgpr_workgroup_id_x 1
		.amdhsa_system_sgpr_workgroup_id_y 0
		.amdhsa_system_sgpr_workgroup_id_z 0
		.amdhsa_system_sgpr_workgroup_info 0
		.amdhsa_system_vgpr_workitem_id 0
		.amdhsa_next_free_vgpr 1
		.amdhsa_next_free_sgpr 0
		.amdhsa_accum_offset 4
		.amdhsa_reserve_vcc 0
		.amdhsa_reserve_flat_scratch 0
		.amdhsa_float_round_mode_32 0
		.amdhsa_float_round_mode_16_64 0
		.amdhsa_float_denorm_mode_32 3
		.amdhsa_float_denorm_mode_16_64 3
		.amdhsa_dx10_clamp 1
		.amdhsa_ieee_mode 1
		.amdhsa_fp16_overflow 0
		.amdhsa_tg_split 0
		.amdhsa_exception_fp_ieee_invalid_op 0
		.amdhsa_exception_fp_denorm_src 0
		.amdhsa_exception_fp_ieee_div_zero 0
		.amdhsa_exception_fp_ieee_overflow 0
		.amdhsa_exception_fp_ieee_underflow 0
		.amdhsa_exception_fp_ieee_inexact 0
		.amdhsa_exception_int_div_zero 0
	.end_amdhsa_kernel
	.section	.text._ZN7rocprim17ROCPRIM_400000_NS6detail17trampoline_kernelINS0_14default_configENS1_22reduce_config_selectorIlEEZNS1_11reduce_implILb1ES3_PlS7_lN6thrust23THRUST_200600_302600_NS4plusIlEEEE10hipError_tPvRmT1_T2_T3_mT4_P12ihipStream_tbEUlT_E1_NS1_11comp_targetILNS1_3genE5ELNS1_11target_archE942ELNS1_3gpuE9ELNS1_3repE0EEENS1_30default_config_static_selectorELNS0_4arch9wavefront6targetE1EEEvSF_,"axG",@progbits,_ZN7rocprim17ROCPRIM_400000_NS6detail17trampoline_kernelINS0_14default_configENS1_22reduce_config_selectorIlEEZNS1_11reduce_implILb1ES3_PlS7_lN6thrust23THRUST_200600_302600_NS4plusIlEEEE10hipError_tPvRmT1_T2_T3_mT4_P12ihipStream_tbEUlT_E1_NS1_11comp_targetILNS1_3genE5ELNS1_11target_archE942ELNS1_3gpuE9ELNS1_3repE0EEENS1_30default_config_static_selectorELNS0_4arch9wavefront6targetE1EEEvSF_,comdat
.Lfunc_end10:
	.size	_ZN7rocprim17ROCPRIM_400000_NS6detail17trampoline_kernelINS0_14default_configENS1_22reduce_config_selectorIlEEZNS1_11reduce_implILb1ES3_PlS7_lN6thrust23THRUST_200600_302600_NS4plusIlEEEE10hipError_tPvRmT1_T2_T3_mT4_P12ihipStream_tbEUlT_E1_NS1_11comp_targetILNS1_3genE5ELNS1_11target_archE942ELNS1_3gpuE9ELNS1_3repE0EEENS1_30default_config_static_selectorELNS0_4arch9wavefront6targetE1EEEvSF_, .Lfunc_end10-_ZN7rocprim17ROCPRIM_400000_NS6detail17trampoline_kernelINS0_14default_configENS1_22reduce_config_selectorIlEEZNS1_11reduce_implILb1ES3_PlS7_lN6thrust23THRUST_200600_302600_NS4plusIlEEEE10hipError_tPvRmT1_T2_T3_mT4_P12ihipStream_tbEUlT_E1_NS1_11comp_targetILNS1_3genE5ELNS1_11target_archE942ELNS1_3gpuE9ELNS1_3repE0EEENS1_30default_config_static_selectorELNS0_4arch9wavefront6targetE1EEEvSF_
                                        ; -- End function
	.section	.AMDGPU.csdata,"",@progbits
; Kernel info:
; codeLenInByte = 0
; NumSgprs: 4
; NumVgprs: 0
; NumAgprs: 0
; TotalNumVgprs: 0
; ScratchSize: 0
; MemoryBound: 0
; FloatMode: 240
; IeeeMode: 1
; LDSByteSize: 0 bytes/workgroup (compile time only)
; SGPRBlocks: 0
; VGPRBlocks: 0
; NumSGPRsForWavesPerEU: 4
; NumVGPRsForWavesPerEU: 1
; AccumOffset: 4
; Occupancy: 8
; WaveLimiterHint : 0
; COMPUTE_PGM_RSRC2:SCRATCH_EN: 0
; COMPUTE_PGM_RSRC2:USER_SGPR: 6
; COMPUTE_PGM_RSRC2:TRAP_HANDLER: 0
; COMPUTE_PGM_RSRC2:TGID_X_EN: 1
; COMPUTE_PGM_RSRC2:TGID_Y_EN: 0
; COMPUTE_PGM_RSRC2:TGID_Z_EN: 0
; COMPUTE_PGM_RSRC2:TIDIG_COMP_CNT: 0
; COMPUTE_PGM_RSRC3_GFX90A:ACCUM_OFFSET: 0
; COMPUTE_PGM_RSRC3_GFX90A:TG_SPLIT: 0
	.section	.text._ZN7rocprim17ROCPRIM_400000_NS6detail17trampoline_kernelINS0_14default_configENS1_22reduce_config_selectorIlEEZNS1_11reduce_implILb1ES3_PlS7_lN6thrust23THRUST_200600_302600_NS4plusIlEEEE10hipError_tPvRmT1_T2_T3_mT4_P12ihipStream_tbEUlT_E1_NS1_11comp_targetILNS1_3genE4ELNS1_11target_archE910ELNS1_3gpuE8ELNS1_3repE0EEENS1_30default_config_static_selectorELNS0_4arch9wavefront6targetE1EEEvSF_,"axG",@progbits,_ZN7rocprim17ROCPRIM_400000_NS6detail17trampoline_kernelINS0_14default_configENS1_22reduce_config_selectorIlEEZNS1_11reduce_implILb1ES3_PlS7_lN6thrust23THRUST_200600_302600_NS4plusIlEEEE10hipError_tPvRmT1_T2_T3_mT4_P12ihipStream_tbEUlT_E1_NS1_11comp_targetILNS1_3genE4ELNS1_11target_archE910ELNS1_3gpuE8ELNS1_3repE0EEENS1_30default_config_static_selectorELNS0_4arch9wavefront6targetE1EEEvSF_,comdat
	.protected	_ZN7rocprim17ROCPRIM_400000_NS6detail17trampoline_kernelINS0_14default_configENS1_22reduce_config_selectorIlEEZNS1_11reduce_implILb1ES3_PlS7_lN6thrust23THRUST_200600_302600_NS4plusIlEEEE10hipError_tPvRmT1_T2_T3_mT4_P12ihipStream_tbEUlT_E1_NS1_11comp_targetILNS1_3genE4ELNS1_11target_archE910ELNS1_3gpuE8ELNS1_3repE0EEENS1_30default_config_static_selectorELNS0_4arch9wavefront6targetE1EEEvSF_ ; -- Begin function _ZN7rocprim17ROCPRIM_400000_NS6detail17trampoline_kernelINS0_14default_configENS1_22reduce_config_selectorIlEEZNS1_11reduce_implILb1ES3_PlS7_lN6thrust23THRUST_200600_302600_NS4plusIlEEEE10hipError_tPvRmT1_T2_T3_mT4_P12ihipStream_tbEUlT_E1_NS1_11comp_targetILNS1_3genE4ELNS1_11target_archE910ELNS1_3gpuE8ELNS1_3repE0EEENS1_30default_config_static_selectorELNS0_4arch9wavefront6targetE1EEEvSF_
	.globl	_ZN7rocprim17ROCPRIM_400000_NS6detail17trampoline_kernelINS0_14default_configENS1_22reduce_config_selectorIlEEZNS1_11reduce_implILb1ES3_PlS7_lN6thrust23THRUST_200600_302600_NS4plusIlEEEE10hipError_tPvRmT1_T2_T3_mT4_P12ihipStream_tbEUlT_E1_NS1_11comp_targetILNS1_3genE4ELNS1_11target_archE910ELNS1_3gpuE8ELNS1_3repE0EEENS1_30default_config_static_selectorELNS0_4arch9wavefront6targetE1EEEvSF_
	.p2align	8
	.type	_ZN7rocprim17ROCPRIM_400000_NS6detail17trampoline_kernelINS0_14default_configENS1_22reduce_config_selectorIlEEZNS1_11reduce_implILb1ES3_PlS7_lN6thrust23THRUST_200600_302600_NS4plusIlEEEE10hipError_tPvRmT1_T2_T3_mT4_P12ihipStream_tbEUlT_E1_NS1_11comp_targetILNS1_3genE4ELNS1_11target_archE910ELNS1_3gpuE8ELNS1_3repE0EEENS1_30default_config_static_selectorELNS0_4arch9wavefront6targetE1EEEvSF_,@function
_ZN7rocprim17ROCPRIM_400000_NS6detail17trampoline_kernelINS0_14default_configENS1_22reduce_config_selectorIlEEZNS1_11reduce_implILb1ES3_PlS7_lN6thrust23THRUST_200600_302600_NS4plusIlEEEE10hipError_tPvRmT1_T2_T3_mT4_P12ihipStream_tbEUlT_E1_NS1_11comp_targetILNS1_3genE4ELNS1_11target_archE910ELNS1_3gpuE8ELNS1_3repE0EEENS1_30default_config_static_selectorELNS0_4arch9wavefront6targetE1EEEvSF_: ; @_ZN7rocprim17ROCPRIM_400000_NS6detail17trampoline_kernelINS0_14default_configENS1_22reduce_config_selectorIlEEZNS1_11reduce_implILb1ES3_PlS7_lN6thrust23THRUST_200600_302600_NS4plusIlEEEE10hipError_tPvRmT1_T2_T3_mT4_P12ihipStream_tbEUlT_E1_NS1_11comp_targetILNS1_3genE4ELNS1_11target_archE910ELNS1_3gpuE8ELNS1_3repE0EEENS1_30default_config_static_selectorELNS0_4arch9wavefront6targetE1EEEvSF_
; %bb.0:
	s_load_dword s33, s[4:5], 0x4
	s_load_dwordx8 s[36:43], s[4:5], 0x8
	s_waitcnt lgkmcnt(0)
	s_cmp_lt_i32 s33, 4
	s_cbranch_scc1 .LBB11_11
; %bb.1:
	s_cmp_gt_i32 s33, 7
	s_cbranch_scc0 .LBB11_12
; %bb.2:
	s_cmp_gt_i32 s33, 15
	s_cbranch_scc0 .LBB11_13
; %bb.3:
	s_mov_b64 s[30:31], 0
	s_cmp_eq_u32 s33, 16
	s_mov_b64 s[0:1], 0
                                        ; implicit-def: $vgpr2_vgpr3
	s_cbranch_scc0 .LBB11_14
; %bb.4:
	s_mov_b32 s7, 0
	s_lshl_b32 s0, s6, 12
	s_mov_b32 s1, s7
	s_lshr_b64 s[2:3], s[38:39], 12
	s_lshl_b64 s[4:5], s[0:1], 3
	s_add_u32 s34, s36, s4
	s_addc_u32 s35, s37, s5
	s_cmp_lg_u64 s[2:3], s[6:7]
	s_cbranch_scc0 .LBB11_22
; %bb.5:
	v_lshlrev_b32_e32 v1, 3, v0
	v_mov_b32_e32 v2, s35
	v_add_co_u32_e32 v32, vcc, s34, v1
	v_addc_co_u32_e32 v33, vcc, 0, v2, vcc
	global_load_dwordx2 v[2:3], v1, s[34:35]
	global_load_dwordx2 v[4:5], v1, s[34:35] offset:2048
	v_add_co_u32_e32 v6, vcc, 0x1000, v32
	v_addc_co_u32_e32 v7, vcc, 0, v33, vcc
	global_load_dwordx2 v[8:9], v[6:7], off
	global_load_dwordx2 v[10:11], v[6:7], off offset:2048
	v_add_co_u32_e32 v6, vcc, 0x2000, v32
	v_addc_co_u32_e32 v7, vcc, 0, v33, vcc
	global_load_dwordx2 v[12:13], v[6:7], off
	global_load_dwordx2 v[14:15], v[6:7], off offset:2048
	v_add_co_u32_e32 v6, vcc, 0x3000, v32
	v_addc_co_u32_e32 v7, vcc, 0, v33, vcc
	global_load_dwordx2 v[16:17], v[6:7], off
	global_load_dwordx2 v[18:19], v[6:7], off offset:2048
	v_add_co_u32_e32 v6, vcc, 0x4000, v32
	v_addc_co_u32_e32 v7, vcc, 0, v33, vcc
	global_load_dwordx2 v[20:21], v[6:7], off
	global_load_dwordx2 v[22:23], v[6:7], off offset:2048
	v_add_co_u32_e32 v6, vcc, 0x5000, v32
	v_addc_co_u32_e32 v7, vcc, 0, v33, vcc
	global_load_dwordx2 v[24:25], v[6:7], off
	global_load_dwordx2 v[26:27], v[6:7], off offset:2048
	v_add_co_u32_e32 v6, vcc, 0x6000, v32
	v_addc_co_u32_e32 v7, vcc, 0, v33, vcc
	global_load_dwordx2 v[28:29], v[6:7], off
	global_load_dwordx2 v[30:31], v[6:7], off offset:2048
	v_add_co_u32_e32 v6, vcc, 0x7000, v32
	v_addc_co_u32_e32 v7, vcc, 0, v33, vcc
	global_load_dwordx2 v[32:33], v[6:7], off
	global_load_dwordx2 v[34:35], v[6:7], off offset:2048
	s_waitcnt vmcnt(14)
	v_add_co_u32_e32 v1, vcc, v4, v2
	v_addc_co_u32_e32 v2, vcc, v5, v3, vcc
	s_waitcnt vmcnt(13)
	v_add_co_u32_e32 v1, vcc, v1, v8
	v_addc_co_u32_e32 v2, vcc, v2, v9, vcc
	s_waitcnt vmcnt(12)
	v_add_co_u32_e32 v1, vcc, v1, v10
	v_addc_co_u32_e32 v2, vcc, v2, v11, vcc
	s_waitcnt vmcnt(11)
	v_add_co_u32_e32 v1, vcc, v1, v12
	v_addc_co_u32_e32 v2, vcc, v2, v13, vcc
	s_waitcnt vmcnt(10)
	v_add_co_u32_e32 v1, vcc, v1, v14
	v_addc_co_u32_e32 v2, vcc, v2, v15, vcc
	s_waitcnt vmcnt(9)
	v_add_co_u32_e32 v1, vcc, v1, v16
	v_addc_co_u32_e32 v2, vcc, v2, v17, vcc
	s_waitcnt vmcnt(8)
	v_add_co_u32_e32 v1, vcc, v1, v18
	v_addc_co_u32_e32 v2, vcc, v2, v19, vcc
	s_waitcnt vmcnt(7)
	v_add_co_u32_e32 v1, vcc, v1, v20
	v_addc_co_u32_e32 v2, vcc, v2, v21, vcc
	s_waitcnt vmcnt(6)
	v_add_co_u32_e32 v1, vcc, v1, v22
	v_addc_co_u32_e32 v2, vcc, v2, v23, vcc
	s_waitcnt vmcnt(5)
	v_add_co_u32_e32 v1, vcc, v1, v24
	v_addc_co_u32_e32 v2, vcc, v2, v25, vcc
	s_waitcnt vmcnt(4)
	v_add_co_u32_e32 v1, vcc, v1, v26
	v_addc_co_u32_e32 v2, vcc, v2, v27, vcc
	s_waitcnt vmcnt(3)
	v_add_co_u32_e32 v1, vcc, v1, v28
	v_addc_co_u32_e32 v2, vcc, v2, v29, vcc
	s_waitcnt vmcnt(2)
	v_add_co_u32_e32 v1, vcc, v1, v30
	v_addc_co_u32_e32 v2, vcc, v2, v31, vcc
	s_waitcnt vmcnt(1)
	v_add_co_u32_e32 v1, vcc, v1, v32
	v_addc_co_u32_e32 v2, vcc, v2, v33, vcc
	s_waitcnt vmcnt(0)
	v_add_co_u32_e32 v3, vcc, v1, v34
	v_addc_co_u32_e32 v2, vcc, v2, v35, vcc
	s_nop 0
	v_mov_b32_dpp v4, v3 quad_perm:[1,0,3,2] row_mask:0xf bank_mask:0xf bound_ctrl:1
	v_add_co_u32_e32 v3, vcc, v3, v4
	v_mov_b32_dpp v5, v2 quad_perm:[1,0,3,2] row_mask:0xf bank_mask:0xf bound_ctrl:1
	v_addc_co_u32_e32 v2, vcc, 0, v2, vcc
	v_add_co_u32_e32 v4, vcc, 0, v3
	v_addc_co_u32_e32 v2, vcc, v5, v2, vcc
	v_mov_b32_dpp v3, v3 quad_perm:[2,3,0,1] row_mask:0xf bank_mask:0xf bound_ctrl:1
	v_add_co_u32_e32 v3, vcc, v4, v3
	v_mov_b32_dpp v5, v2 quad_perm:[2,3,0,1] row_mask:0xf bank_mask:0xf bound_ctrl:1
	v_addc_co_u32_e32 v2, vcc, 0, v2, vcc
	v_add_co_u32_e32 v4, vcc, 0, v3
	v_addc_co_u32_e32 v2, vcc, v2, v5, vcc
	v_mov_b32_dpp v3, v3 row_ror:4 row_mask:0xf bank_mask:0xf bound_ctrl:1
	v_add_co_u32_e32 v3, vcc, v4, v3
	v_mov_b32_dpp v5, v2 row_ror:4 row_mask:0xf bank_mask:0xf bound_ctrl:1
	v_addc_co_u32_e32 v2, vcc, 0, v2, vcc
	v_add_co_u32_e32 v4, vcc, 0, v3
	v_addc_co_u32_e32 v2, vcc, v2, v5, vcc
	v_mov_b32_dpp v3, v3 row_ror:8 row_mask:0xf bank_mask:0xf bound_ctrl:1
	v_add_co_u32_e32 v3, vcc, v4, v3
	v_mov_b32_dpp v5, v2 row_ror:8 row_mask:0xf bank_mask:0xf bound_ctrl:1
	v_addc_co_u32_e32 v2, vcc, 0, v2, vcc
	v_add_co_u32_e32 v4, vcc, 0, v3
	v_addc_co_u32_e32 v2, vcc, v2, v5, vcc
	v_mov_b32_dpp v3, v3 row_bcast:15 row_mask:0xf bank_mask:0xf bound_ctrl:1
	v_add_co_u32_e32 v3, vcc, v4, v3
	v_mov_b32_dpp v5, v2 row_bcast:15 row_mask:0xf bank_mask:0xf bound_ctrl:1
	v_addc_co_u32_e32 v2, vcc, 0, v2, vcc
	v_add_co_u32_e32 v4, vcc, 0, v3
	v_addc_co_u32_e32 v2, vcc, v2, v5, vcc
	v_mov_b32_dpp v3, v3 row_bcast:31 row_mask:0xf bank_mask:0xf bound_ctrl:1
	v_add_co_u32_e32 v3, vcc, v4, v3
	v_mbcnt_lo_u32_b32 v1, -1, 0
	v_addc_co_u32_e32 v4, vcc, 0, v2, vcc
	v_mbcnt_hi_u32_b32 v1, -1, v1
	s_nop 0
	v_add_u32_dpp v4, v2, v4 row_bcast:31 row_mask:0xf bank_mask:0xf bound_ctrl:1
	v_bfrev_b32_e32 v2, 0.5
	v_lshl_or_b32 v5, v1, 2, v2
	ds_bpermute_b32 v2, v5, v3
	ds_bpermute_b32 v3, v5, v4
	v_cmp_eq_u32_e32 vcc, 0, v1
	s_and_saveexec_b64 s[2:3], vcc
	s_cbranch_execz .LBB11_7
; %bb.6:
	v_lshrrev_b32_e32 v4, 3, v0
	v_and_b32_e32 v4, 24, v4
	s_waitcnt lgkmcnt(0)
	ds_write_b64 v4, v[2:3]
.LBB11_7:
	s_or_b64 exec, exec, s[2:3]
	v_cmp_gt_u32_e32 vcc, 64, v0
	s_waitcnt lgkmcnt(0)
	s_barrier
	s_and_saveexec_b64 s[2:3], vcc
	s_cbranch_execz .LBB11_9
; %bb.8:
	v_and_b32_e32 v4, 3, v1
	v_lshlrev_b32_e32 v2, 3, v4
	ds_read_b64 v[2:3], v2
	v_cmp_ne_u32_e32 vcc, 3, v4
	v_addc_co_u32_e32 v5, vcc, 0, v1, vcc
	v_lshlrev_b32_e32 v5, 2, v5
	s_waitcnt lgkmcnt(0)
	ds_bpermute_b32 v6, v5, v2
	ds_bpermute_b32 v5, v5, v3
	s_waitcnt lgkmcnt(1)
	v_add_co_u32_e32 v2, vcc, v2, v6
	v_addc_co_u32_e32 v3, vcc, 0, v3, vcc
	v_cmp_gt_u32_e32 vcc, 2, v4
	v_cndmask_b32_e64 v4, 0, 1, vcc
	v_lshlrev_b32_e32 v4, 1, v4
	v_add_lshl_u32 v1, v4, v1, 2
	ds_bpermute_b32 v4, v1, v2
	v_add_co_u32_e32 v2, vcc, 0, v2
	s_waitcnt lgkmcnt(1)
	v_addc_co_u32_e32 v3, vcc, v5, v3, vcc
	ds_bpermute_b32 v1, v1, v3
	s_waitcnt lgkmcnt(1)
	v_add_co_u32_e32 v2, vcc, v2, v4
	v_addc_co_u32_e32 v3, vcc, 0, v3, vcc
	v_add_co_u32_e32 v2, vcc, 0, v2
	s_waitcnt lgkmcnt(0)
	v_addc_co_u32_e32 v3, vcc, v3, v1, vcc
.LBB11_9:
	s_or_b64 exec, exec, s[2:3]
.LBB11_10:
	v_cmp_eq_u32_e64 s[0:1], 0, v0
	s_and_b64 vcc, exec, s[30:31]
	s_cbranch_vccnz .LBB11_15
	s_branch .LBB11_92
.LBB11_11:
	s_mov_b64 s[0:1], 0
                                        ; implicit-def: $vgpr2_vgpr3
	s_cbranch_execnz .LBB11_120
	s_branch .LBB11_153
.LBB11_12:
	s_mov_b64 s[0:1], 0
                                        ; implicit-def: $vgpr2_vgpr3
	s_cbranch_execnz .LBB11_93
	s_branch .LBB11_119
.LBB11_13:
	s_mov_b64 s[30:31], -1
	s_mov_b64 s[0:1], 0
                                        ; implicit-def: $vgpr2_vgpr3
.LBB11_14:
	s_and_b64 vcc, exec, s[30:31]
	s_cbranch_vccz .LBB11_92
.LBB11_15:
	s_cmp_eq_u32 s33, 8
                                        ; implicit-def: $vgpr2_vgpr3
	s_cbranch_scc0 .LBB11_92
; %bb.16:
	s_mov_b32 s7, 0
	s_lshl_b32 s0, s6, 11
	s_mov_b32 s1, s7
	s_lshr_b64 s[2:3], s[38:39], 11
	s_lshl_b64 s[4:5], s[0:1], 3
	s_add_u32 s14, s36, s4
	s_addc_u32 s15, s37, s5
	s_cmp_lg_u64 s[2:3], s[6:7]
	s_cbranch_scc0 .LBB11_64
; %bb.17:
	v_lshlrev_b32_e32 v1, 3, v0
	v_mov_b32_e32 v2, s15
	v_add_co_u32_e32 v16, vcc, s14, v1
	v_addc_co_u32_e32 v17, vcc, 0, v2, vcc
	global_load_dwordx2 v[2:3], v1, s[14:15]
	s_waitcnt lgkmcnt(1)
	global_load_dwordx2 v[4:5], v1, s[14:15] offset:2048
	v_add_co_u32_e32 v6, vcc, 0x1000, v16
	s_waitcnt lgkmcnt(0)
	v_addc_co_u32_e32 v7, vcc, 0, v17, vcc
	global_load_dwordx2 v[8:9], v[6:7], off
	global_load_dwordx2 v[10:11], v[6:7], off offset:2048
	v_add_co_u32_e32 v6, vcc, 0x2000, v16
	v_addc_co_u32_e32 v7, vcc, 0, v17, vcc
	global_load_dwordx2 v[12:13], v[6:7], off
	global_load_dwordx2 v[14:15], v[6:7], off offset:2048
	v_add_co_u32_e32 v6, vcc, 0x3000, v16
	v_addc_co_u32_e32 v7, vcc, 0, v17, vcc
	global_load_dwordx2 v[16:17], v[6:7], off
	global_load_dwordx2 v[18:19], v[6:7], off offset:2048
	v_mbcnt_lo_u32_b32 v1, -1, 0
	v_mbcnt_hi_u32_b32 v1, -1, v1
	s_waitcnt vmcnt(6)
	v_add_co_u32_e32 v2, vcc, v4, v2
	v_addc_co_u32_e32 v3, vcc, v5, v3, vcc
	s_waitcnt vmcnt(5)
	v_add_co_u32_e32 v2, vcc, v2, v8
	v_addc_co_u32_e32 v3, vcc, v3, v9, vcc
	;; [unrolled: 3-line block ×7, first 2 shown]
	s_nop 0
	v_mov_b32_dpp v4, v2 quad_perm:[1,0,3,2] row_mask:0xf bank_mask:0xf bound_ctrl:1
	v_add_co_u32_e32 v2, vcc, v2, v4
	v_mov_b32_dpp v5, v3 quad_perm:[1,0,3,2] row_mask:0xf bank_mask:0xf bound_ctrl:1
	v_addc_co_u32_e32 v3, vcc, 0, v3, vcc
	v_add_co_u32_e32 v4, vcc, 0, v2
	v_addc_co_u32_e32 v3, vcc, v5, v3, vcc
	v_mov_b32_dpp v2, v2 quad_perm:[2,3,0,1] row_mask:0xf bank_mask:0xf bound_ctrl:1
	v_add_co_u32_e32 v2, vcc, v4, v2
	v_mov_b32_dpp v5, v3 quad_perm:[2,3,0,1] row_mask:0xf bank_mask:0xf bound_ctrl:1
	v_addc_co_u32_e32 v3, vcc, 0, v3, vcc
	v_add_co_u32_e32 v4, vcc, 0, v2
	v_addc_co_u32_e32 v3, vcc, v3, v5, vcc
	v_mov_b32_dpp v2, v2 row_ror:4 row_mask:0xf bank_mask:0xf bound_ctrl:1
	v_add_co_u32_e32 v2, vcc, v4, v2
	v_mov_b32_dpp v5, v3 row_ror:4 row_mask:0xf bank_mask:0xf bound_ctrl:1
	v_addc_co_u32_e32 v3, vcc, 0, v3, vcc
	v_add_co_u32_e32 v4, vcc, 0, v2
	v_addc_co_u32_e32 v3, vcc, v3, v5, vcc
	v_mov_b32_dpp v2, v2 row_ror:8 row_mask:0xf bank_mask:0xf bound_ctrl:1
	v_add_co_u32_e32 v2, vcc, v4, v2
	v_mov_b32_dpp v5, v3 row_ror:8 row_mask:0xf bank_mask:0xf bound_ctrl:1
	v_addc_co_u32_e32 v3, vcc, 0, v3, vcc
	v_add_co_u32_e32 v4, vcc, 0, v2
	v_addc_co_u32_e32 v3, vcc, v3, v5, vcc
	v_mov_b32_dpp v2, v2 row_bcast:15 row_mask:0xf bank_mask:0xf bound_ctrl:1
	v_add_co_u32_e32 v2, vcc, v4, v2
	v_mov_b32_dpp v5, v3 row_bcast:15 row_mask:0xf bank_mask:0xf bound_ctrl:1
	v_addc_co_u32_e32 v3, vcc, 0, v3, vcc
	v_add_co_u32_e32 v4, vcc, 0, v2
	v_addc_co_u32_e32 v3, vcc, v3, v5, vcc
	v_mov_b32_dpp v2, v2 row_bcast:31 row_mask:0xf bank_mask:0xf bound_ctrl:1
	v_add_co_u32_e32 v2, vcc, v4, v2
	v_addc_co_u32_e32 v4, vcc, 0, v3, vcc
	v_cmp_eq_u32_e32 vcc, 0, v1
	s_nop 0
	v_add_u32_dpp v3, v3, v4 row_bcast:31 row_mask:0xf bank_mask:0xf bound_ctrl:1
	v_bfrev_b32_e32 v4, 0.5
	v_lshl_or_b32 v4, v1, 2, v4
	ds_bpermute_b32 v2, v4, v2
	ds_bpermute_b32 v3, v4, v3
	s_and_saveexec_b64 s[2:3], vcc
	s_cbranch_execz .LBB11_19
; %bb.18:
	v_lshrrev_b32_e32 v4, 3, v0
	v_and_b32_e32 v4, 24, v4
	s_waitcnt lgkmcnt(0)
	ds_write_b64 v4, v[2:3] offset:128
.LBB11_19:
	s_or_b64 exec, exec, s[2:3]
	v_cmp_gt_u32_e32 vcc, 64, v0
	s_waitcnt lgkmcnt(0)
	s_barrier
	s_and_saveexec_b64 s[2:3], vcc
	s_cbranch_execz .LBB11_21
; %bb.20:
	v_and_b32_e32 v4, 3, v1
	v_lshlrev_b32_e32 v2, 3, v4
	ds_read_b64 v[2:3], v2 offset:128
	v_cmp_ne_u32_e32 vcc, 3, v4
	v_addc_co_u32_e32 v5, vcc, 0, v1, vcc
	v_lshlrev_b32_e32 v5, 2, v5
	s_waitcnt lgkmcnt(0)
	ds_bpermute_b32 v6, v5, v2
	ds_bpermute_b32 v5, v5, v3
	s_waitcnt lgkmcnt(1)
	v_add_co_u32_e32 v2, vcc, v2, v6
	v_addc_co_u32_e32 v3, vcc, 0, v3, vcc
	v_cmp_gt_u32_e32 vcc, 2, v4
	v_cndmask_b32_e64 v4, 0, 1, vcc
	v_lshlrev_b32_e32 v4, 1, v4
	v_add_lshl_u32 v1, v4, v1, 2
	ds_bpermute_b32 v4, v1, v2
	v_add_co_u32_e32 v2, vcc, 0, v2
	s_waitcnt lgkmcnt(1)
	v_addc_co_u32_e32 v3, vcc, v5, v3, vcc
	ds_bpermute_b32 v1, v1, v3
	s_waitcnt lgkmcnt(1)
	v_add_co_u32_e32 v2, vcc, v2, v4
	v_addc_co_u32_e32 v3, vcc, 0, v3, vcc
	v_add_co_u32_e32 v2, vcc, 0, v2
	s_waitcnt lgkmcnt(0)
	v_addc_co_u32_e32 v3, vcc, v3, v1, vcc
.LBB11_21:
	s_or_b64 exec, exec, s[2:3]
	s_mov_b64 s[2:3], 0
	s_branch .LBB11_65
.LBB11_22:
                                        ; implicit-def: $vgpr2_vgpr3
	s_cbranch_execz .LBB11_10
; %bb.23:
	s_sub_i32 s46, s38, s0
	v_cmp_gt_u32_e32 vcc, s46, v0
                                        ; implicit-def: $vgpr2_vgpr3_vgpr4_vgpr5_vgpr6_vgpr7_vgpr8_vgpr9_vgpr10_vgpr11_vgpr12_vgpr13_vgpr14_vgpr15_vgpr16_vgpr17_vgpr18_vgpr19_vgpr20_vgpr21_vgpr22_vgpr23_vgpr24_vgpr25_vgpr26_vgpr27_vgpr28_vgpr29_vgpr30_vgpr31_vgpr32_vgpr33
	s_and_saveexec_b64 s[0:1], vcc
	s_cbranch_execz .LBB11_25
; %bb.24:
	v_lshlrev_b32_e32 v1, 3, v0
	global_load_dwordx2 v[2:3], v1, s[34:35]
.LBB11_25:
	s_or_b64 exec, exec, s[0:1]
	v_or_b32_e32 v1, 0x100, v0
	v_cmp_gt_u32_e32 vcc, s46, v1
	s_and_saveexec_b64 s[0:1], vcc
	s_cbranch_execz .LBB11_27
; %bb.26:
	v_lshlrev_b32_e32 v1, 3, v0
	global_load_dwordx2 v[4:5], v1, s[34:35] offset:2048
.LBB11_27:
	s_or_b64 exec, exec, s[0:1]
	v_or_b32_e32 v1, 0x200, v0
	v_cmp_gt_u32_e64 s[0:1], s46, v1
	s_and_saveexec_b64 s[2:3], s[0:1]
	s_cbranch_execz .LBB11_29
; %bb.28:
	v_lshlrev_b32_e32 v1, 3, v1
	global_load_dwordx2 v[6:7], v1, s[34:35]
.LBB11_29:
	s_or_b64 exec, exec, s[2:3]
	v_or_b32_e32 v1, 0x300, v0
	v_cmp_gt_u32_e64 s[2:3], s46, v1
	s_and_saveexec_b64 s[4:5], s[2:3]
	s_cbranch_execz .LBB11_31
; %bb.30:
	v_lshlrev_b32_e32 v1, 3, v1
	global_load_dwordx2 v[8:9], v1, s[34:35]
.LBB11_31:
	;; [unrolled: 9-line block ×14, first 2 shown]
	s_or_b64 exec, exec, s[44:45]
	s_waitcnt vmcnt(0)
	v_cndmask_b32_e32 v4, 0, v4, vcc
	v_cndmask_b32_e32 v1, 0, v5, vcc
	v_add_co_u32_e32 v2, vcc, v4, v2
	v_addc_co_u32_e32 v1, vcc, v1, v3, vcc
	v_cndmask_b32_e64 v4, 0, v6, s[0:1]
	v_cndmask_b32_e64 v3, 0, v7, s[0:1]
	v_add_co_u32_e32 v2, vcc, v2, v4
	v_addc_co_u32_e32 v1, vcc, v1, v3, vcc
	v_cndmask_b32_e64 v4, 0, v8, s[2:3]
	v_cndmask_b32_e64 v3, 0, v9, s[2:3]
	;; [unrolled: 4-line block ×14, first 2 shown]
	v_add_co_u32_e32 v2, vcc, v2, v4
	v_addc_co_u32_e32 v3, vcc, v1, v3, vcc
	v_mbcnt_lo_u32_b32 v1, -1, 0
	v_mbcnt_hi_u32_b32 v5, -1, v1
	v_and_b32_e32 v6, 63, v5
	v_cmp_ne_u32_e32 vcc, 63, v6
	v_addc_co_u32_e32 v4, vcc, 0, v5, vcc
	v_lshlrev_b32_e32 v4, 2, v4
	ds_bpermute_b32 v8, v4, v2
	ds_bpermute_b32 v4, v4, v3
	s_min_u32 s4, s46, 0x100
	v_and_b32_e32 v1, 0xc0, v0
	v_sub_u32_e64 v7, s4, v1 clamp
	s_waitcnt lgkmcnt(1)
	v_add_co_u32_e32 v8, vcc, v2, v8
	v_addc_co_u32_e32 v9, vcc, 0, v3, vcc
	v_add_co_u32_e32 v10, vcc, 0, v8
	v_add_u32_e32 v1, 1, v6
	s_waitcnt lgkmcnt(0)
	v_addc_co_u32_e32 v4, vcc, v9, v4, vcc
	v_cmp_lt_u32_e64 s[0:1], v1, v7
	v_cmp_gt_u32_e32 vcc, 62, v6
	v_cndmask_b32_e64 v1, v2, v8, s[0:1]
	v_cndmask_b32_e64 v8, 0, 1, vcc
	v_lshlrev_b32_e32 v8, 1, v8
	v_add_lshl_u32 v8, v8, v5, 2
	v_cndmask_b32_e64 v4, v3, v4, s[0:1]
	ds_bpermute_b32 v9, v8, v1
	ds_bpermute_b32 v8, v8, v4
	v_cndmask_b32_e64 v10, v2, v10, s[0:1]
	v_add_u32_e32 v11, 2, v6
	v_cmp_gt_u32_e64 s[2:3], 60, v6
	s_waitcnt lgkmcnt(1)
	v_add_co_u32_e32 v9, vcc, v9, v10
	s_waitcnt lgkmcnt(0)
	v_addc_co_u32_e32 v8, vcc, v8, v4, vcc
	v_cmp_lt_u32_e32 vcc, v11, v7
	v_cndmask_b32_e32 v4, v4, v8, vcc
	v_cndmask_b32_e64 v8, 0, 1, s[2:3]
	v_lshlrev_b32_e32 v8, 2, v8
	v_cndmask_b32_e32 v1, v1, v9, vcc
	v_add_lshl_u32 v8, v8, v5, 2
	ds_bpermute_b32 v11, v8, v1
	ds_bpermute_b32 v8, v8, v4
	v_cndmask_b32_e32 v9, v10, v9, vcc
	v_add_u32_e32 v10, 4, v6
	v_cmp_gt_u32_e64 s[2:3], 56, v6
	s_waitcnt lgkmcnt(1)
	v_add_co_u32_e32 v11, vcc, v11, v9
	s_waitcnt lgkmcnt(0)
	v_addc_co_u32_e32 v8, vcc, v8, v4, vcc
	v_cmp_lt_u32_e32 vcc, v10, v7
	v_cndmask_b32_e32 v4, v4, v8, vcc
	v_cndmask_b32_e64 v8, 0, 1, s[2:3]
	v_lshlrev_b32_e32 v8, 3, v8
	v_cndmask_b32_e32 v1, v1, v11, vcc
	v_add_lshl_u32 v8, v8, v5, 2
	ds_bpermute_b32 v10, v8, v1
	ds_bpermute_b32 v8, v8, v4
	v_cndmask_b32_e32 v9, v9, v11, vcc
	v_add_u32_e32 v11, 8, v6
	v_cmp_gt_u32_e64 s[2:3], 48, v6
	s_waitcnt lgkmcnt(1)
	v_add_co_u32_e32 v10, vcc, v10, v9
	s_waitcnt lgkmcnt(0)
	v_addc_co_u32_e32 v8, vcc, v8, v4, vcc
	v_cmp_lt_u32_e32 vcc, v11, v7
	v_cndmask_b32_e32 v11, v1, v10, vcc
	v_cndmask_b32_e32 v1, v4, v8, vcc
	v_cndmask_b32_e64 v4, 0, 1, s[2:3]
	v_lshlrev_b32_e32 v4, 4, v4
	v_add_lshl_u32 v8, v4, v5, 2
	ds_bpermute_b32 v12, v8, v11
	v_cndmask_b32_e32 v4, v9, v10, vcc
	ds_bpermute_b32 v9, v8, v1
	v_add_u32_e32 v10, 16, v6
	v_cmp_gt_u32_e64 s[2:3], 32, v6
	s_waitcnt lgkmcnt(1)
	v_add_co_u32_e32 v8, vcc, v12, v4
	s_waitcnt lgkmcnt(0)
	v_addc_co_u32_e32 v9, vcc, v9, v1, vcc
	v_cmp_lt_u32_e32 vcc, v10, v7
	v_cndmask_b32_e32 v10, v11, v8, vcc
	v_cndmask_b32_e64 v11, 0, 1, s[2:3]
	v_lshlrev_b32_e32 v11, 5, v11
	v_cndmask_b32_e32 v12, v1, v9, vcc
	v_add_lshl_u32 v11, v11, v5, 2
	ds_bpermute_b32 v10, v11, v10
	ds_bpermute_b32 v11, v11, v12
	s_and_saveexec_b64 s[2:3], s[0:1]
	s_cbranch_execz .LBB11_57
; %bb.56:
	v_add_u32_e32 v2, 32, v6
	v_cndmask_b32_e32 v1, v1, v9, vcc
	v_cndmask_b32_e32 v3, v4, v8, vcc
	v_cmp_lt_u32_e32 vcc, v2, v7
	s_waitcnt lgkmcnt(1)
	v_cndmask_b32_e32 v2, 0, v10, vcc
	s_waitcnt lgkmcnt(0)
	v_cndmask_b32_e32 v4, 0, v11, vcc
	v_add_co_u32_e32 v2, vcc, v3, v2
	v_addc_co_u32_e32 v3, vcc, v1, v4, vcc
.LBB11_57:
	s_or_b64 exec, exec, s[2:3]
	v_cmp_eq_u32_e32 vcc, 0, v5
	s_and_saveexec_b64 s[0:1], vcc
	s_cbranch_execz .LBB11_59
; %bb.58:
	v_lshrrev_b32_e32 v1, 3, v0
	v_and_b32_e32 v1, 24, v1
	ds_write_b64 v1, v[2:3] offset:160
.LBB11_59:
	s_or_b64 exec, exec, s[0:1]
	v_cmp_gt_u32_e32 vcc, 4, v0
	s_waitcnt lgkmcnt(0)
	s_barrier
	s_and_saveexec_b64 s[2:3], vcc
	s_cbranch_execz .LBB11_63
; %bb.60:
	v_lshlrev_b32_e32 v1, 3, v5
	ds_read_b64 v[2:3], v1 offset:160
	v_and_b32_e32 v1, 3, v5
	v_cmp_ne_u32_e32 vcc, 3, v1
	v_addc_co_u32_e32 v4, vcc, 0, v5, vcc
	v_lshlrev_b32_e32 v4, 2, v4
	s_waitcnt lgkmcnt(0)
	ds_bpermute_b32 v6, v4, v2
	ds_bpermute_b32 v8, v4, v3
	s_add_i32 s4, s4, 63
	s_lshr_b32 s4, s4, 6
	v_add_u32_e32 v7, 1, v1
	s_waitcnt lgkmcnt(1)
	v_add_co_u32_e32 v9, vcc, v2, v6
	v_addc_co_u32_e32 v6, vcc, 0, v3, vcc
	v_add_co_u32_e32 v4, vcc, 0, v9
	s_waitcnt lgkmcnt(0)
	v_addc_co_u32_e32 v6, vcc, v8, v6, vcc
	v_cmp_gt_u32_e32 vcc, s4, v7
	v_cmp_gt_u32_e64 s[0:1], 2, v1
	v_cndmask_b32_e32 v8, v2, v9, vcc
	v_cndmask_b32_e64 v9, 0, 1, s[0:1]
	v_lshlrev_b32_e32 v9, 1, v9
	v_cndmask_b32_e32 v7, v3, v6, vcc
	v_add_lshl_u32 v9, v9, v5, 2
	ds_bpermute_b32 v5, v9, v8
	ds_bpermute_b32 v7, v9, v7
	s_and_saveexec_b64 s[0:1], vcc
	s_cbranch_execz .LBB11_62
; %bb.61:
	v_add_u32_e32 v1, 2, v1
	v_cmp_gt_u32_e32 vcc, s4, v1
	s_waitcnt lgkmcnt(1)
	v_cndmask_b32_e32 v2, 0, v5, vcc
	s_waitcnt lgkmcnt(0)
	v_cndmask_b32_e32 v1, 0, v7, vcc
	v_add_co_u32_e32 v2, vcc, v2, v4
	v_addc_co_u32_e32 v3, vcc, v1, v6, vcc
.LBB11_62:
	s_or_b64 exec, exec, s[0:1]
.LBB11_63:
	s_or_b64 exec, exec, s[2:3]
	v_cmp_eq_u32_e64 s[0:1], 0, v0
	s_and_b64 vcc, exec, s[30:31]
	s_cbranch_vccnz .LBB11_15
	s_branch .LBB11_92
.LBB11_64:
	s_mov_b64 s[2:3], -1
                                        ; implicit-def: $vgpr2_vgpr3
.LBB11_65:
	s_and_b64 vcc, exec, s[2:3]
	s_cbranch_vccz .LBB11_91
; %bb.66:
	s_sub_i32 s18, s38, s0
	v_cmp_gt_u32_e32 vcc, s18, v0
                                        ; implicit-def: $vgpr2_vgpr3_vgpr4_vgpr5_vgpr6_vgpr7_vgpr8_vgpr9_vgpr10_vgpr11_vgpr12_vgpr13_vgpr14_vgpr15_vgpr16_vgpr17
	s_and_saveexec_b64 s[0:1], vcc
	s_cbranch_execz .LBB11_68
; %bb.67:
	v_lshlrev_b32_e32 v1, 3, v0
	global_load_dwordx2 v[2:3], v1, s[14:15]
.LBB11_68:
	s_or_b64 exec, exec, s[0:1]
	v_or_b32_e32 v1, 0x100, v0
	v_cmp_gt_u32_e32 vcc, s18, v1
	s_and_saveexec_b64 s[0:1], vcc
	s_cbranch_execz .LBB11_70
; %bb.69:
	v_lshlrev_b32_e32 v1, 3, v0
	s_waitcnt lgkmcnt(1)
	global_load_dwordx2 v[4:5], v1, s[14:15] offset:2048
.LBB11_70:
	s_or_b64 exec, exec, s[0:1]
	v_or_b32_e32 v1, 0x200, v0
	v_cmp_gt_u32_e64 s[0:1], s18, v1
	s_and_saveexec_b64 s[2:3], s[0:1]
	s_cbranch_execz .LBB11_72
; %bb.71:
	v_lshlrev_b32_e32 v1, 3, v1
	s_waitcnt lgkmcnt(0)
	global_load_dwordx2 v[6:7], v1, s[14:15]
.LBB11_72:
	s_or_b64 exec, exec, s[2:3]
	v_or_b32_e32 v1, 0x300, v0
	v_cmp_gt_u32_e64 s[2:3], s18, v1
	s_and_saveexec_b64 s[4:5], s[2:3]
	s_cbranch_execz .LBB11_74
; %bb.73:
	v_lshlrev_b32_e32 v1, 3, v1
	global_load_dwordx2 v[8:9], v1, s[14:15]
.LBB11_74:
	s_or_b64 exec, exec, s[4:5]
	v_or_b32_e32 v1, 0x400, v0
	v_cmp_gt_u32_e64 s[4:5], s18, v1
	s_and_saveexec_b64 s[8:9], s[4:5]
	s_cbranch_execz .LBB11_76
; %bb.75:
	v_lshlrev_b32_e32 v1, 3, v1
	global_load_dwordx2 v[10:11], v1, s[14:15]
.LBB11_76:
	;; [unrolled: 9-line block ×5, first 2 shown]
	s_or_b64 exec, exec, s[16:17]
	s_waitcnt vmcnt(0)
	v_cndmask_b32_e32 v4, 0, v4, vcc
	s_waitcnt lgkmcnt(1)
	v_cndmask_b32_e32 v1, 0, v5, vcc
	v_add_co_u32_e32 v2, vcc, v4, v2
	v_addc_co_u32_e32 v1, vcc, v1, v3, vcc
	v_cndmask_b32_e64 v4, 0, v6, s[0:1]
	s_waitcnt lgkmcnt(0)
	v_cndmask_b32_e64 v3, 0, v7, s[0:1]
	v_add_co_u32_e32 v2, vcc, v2, v4
	v_addc_co_u32_e32 v1, vcc, v1, v3, vcc
	v_cndmask_b32_e64 v4, 0, v8, s[2:3]
	v_cndmask_b32_e64 v3, 0, v9, s[2:3]
	v_add_co_u32_e32 v2, vcc, v2, v4
	v_addc_co_u32_e32 v1, vcc, v1, v3, vcc
	v_cndmask_b32_e64 v4, 0, v10, s[4:5]
	;; [unrolled: 4-line block ×5, first 2 shown]
	v_cndmask_b32_e64 v3, 0, v17, s[12:13]
	v_add_co_u32_e32 v2, vcc, v2, v4
	v_addc_co_u32_e32 v3, vcc, v1, v3, vcc
	v_mbcnt_lo_u32_b32 v1, -1, 0
	v_mbcnt_hi_u32_b32 v5, -1, v1
	v_and_b32_e32 v6, 63, v5
	v_cmp_ne_u32_e32 vcc, 63, v6
	v_addc_co_u32_e32 v4, vcc, 0, v5, vcc
	v_lshlrev_b32_e32 v4, 2, v4
	ds_bpermute_b32 v8, v4, v2
	ds_bpermute_b32 v4, v4, v3
	s_min_u32 s4, s18, 0x100
	v_and_b32_e32 v1, 0xc0, v0
	v_sub_u32_e64 v7, s4, v1 clamp
	s_waitcnt lgkmcnt(1)
	v_add_co_u32_e32 v8, vcc, v2, v8
	v_addc_co_u32_e32 v9, vcc, 0, v3, vcc
	v_add_co_u32_e32 v10, vcc, 0, v8
	v_add_u32_e32 v1, 1, v6
	s_waitcnt lgkmcnt(0)
	v_addc_co_u32_e32 v4, vcc, v9, v4, vcc
	v_cmp_lt_u32_e64 s[0:1], v1, v7
	v_cmp_gt_u32_e32 vcc, 62, v6
	v_cndmask_b32_e64 v1, v2, v8, s[0:1]
	v_cndmask_b32_e64 v8, 0, 1, vcc
	v_lshlrev_b32_e32 v8, 1, v8
	v_add_lshl_u32 v8, v8, v5, 2
	v_cndmask_b32_e64 v4, v3, v4, s[0:1]
	ds_bpermute_b32 v9, v8, v1
	ds_bpermute_b32 v8, v8, v4
	v_cndmask_b32_e64 v10, v2, v10, s[0:1]
	v_add_u32_e32 v11, 2, v6
	v_cmp_gt_u32_e64 s[2:3], 60, v6
	s_waitcnt lgkmcnt(1)
	v_add_co_u32_e32 v9, vcc, v9, v10
	s_waitcnt lgkmcnt(0)
	v_addc_co_u32_e32 v8, vcc, v8, v4, vcc
	v_cmp_lt_u32_e32 vcc, v11, v7
	v_cndmask_b32_e32 v4, v4, v8, vcc
	v_cndmask_b32_e64 v8, 0, 1, s[2:3]
	v_lshlrev_b32_e32 v8, 2, v8
	v_cndmask_b32_e32 v1, v1, v9, vcc
	v_add_lshl_u32 v8, v8, v5, 2
	ds_bpermute_b32 v11, v8, v1
	ds_bpermute_b32 v8, v8, v4
	v_cndmask_b32_e32 v9, v10, v9, vcc
	v_add_u32_e32 v10, 4, v6
	v_cmp_gt_u32_e64 s[2:3], 56, v6
	s_waitcnt lgkmcnt(1)
	v_add_co_u32_e32 v11, vcc, v11, v9
	s_waitcnt lgkmcnt(0)
	v_addc_co_u32_e32 v8, vcc, v8, v4, vcc
	v_cmp_lt_u32_e32 vcc, v10, v7
	v_cndmask_b32_e32 v4, v4, v8, vcc
	v_cndmask_b32_e64 v8, 0, 1, s[2:3]
	v_lshlrev_b32_e32 v8, 3, v8
	v_cndmask_b32_e32 v1, v1, v11, vcc
	v_add_lshl_u32 v8, v8, v5, 2
	ds_bpermute_b32 v10, v8, v1
	ds_bpermute_b32 v8, v8, v4
	v_cndmask_b32_e32 v9, v9, v11, vcc
	v_add_u32_e32 v11, 8, v6
	v_cmp_gt_u32_e64 s[2:3], 48, v6
	s_waitcnt lgkmcnt(1)
	v_add_co_u32_e32 v10, vcc, v10, v9
	s_waitcnt lgkmcnt(0)
	v_addc_co_u32_e32 v8, vcc, v8, v4, vcc
	v_cmp_lt_u32_e32 vcc, v11, v7
	v_cndmask_b32_e32 v11, v1, v10, vcc
	v_cndmask_b32_e32 v1, v4, v8, vcc
	v_cndmask_b32_e64 v4, 0, 1, s[2:3]
	v_lshlrev_b32_e32 v4, 4, v4
	v_add_lshl_u32 v8, v4, v5, 2
	ds_bpermute_b32 v12, v8, v11
	v_cndmask_b32_e32 v4, v9, v10, vcc
	ds_bpermute_b32 v9, v8, v1
	v_add_u32_e32 v10, 16, v6
	v_cmp_gt_u32_e64 s[2:3], 32, v6
	s_waitcnt lgkmcnt(1)
	v_add_co_u32_e32 v8, vcc, v12, v4
	s_waitcnt lgkmcnt(0)
	v_addc_co_u32_e32 v9, vcc, v9, v1, vcc
	v_cmp_lt_u32_e32 vcc, v10, v7
	v_cndmask_b32_e32 v10, v11, v8, vcc
	v_cndmask_b32_e64 v11, 0, 1, s[2:3]
	v_lshlrev_b32_e32 v11, 5, v11
	v_cndmask_b32_e32 v12, v1, v9, vcc
	v_add_lshl_u32 v11, v11, v5, 2
	ds_bpermute_b32 v10, v11, v10
	ds_bpermute_b32 v11, v11, v12
	s_and_saveexec_b64 s[2:3], s[0:1]
	s_cbranch_execz .LBB11_84
; %bb.83:
	v_add_u32_e32 v2, 32, v6
	v_cndmask_b32_e32 v1, v1, v9, vcc
	v_cndmask_b32_e32 v3, v4, v8, vcc
	v_cmp_lt_u32_e32 vcc, v2, v7
	s_waitcnt lgkmcnt(1)
	v_cndmask_b32_e32 v2, 0, v10, vcc
	s_waitcnt lgkmcnt(0)
	v_cndmask_b32_e32 v4, 0, v11, vcc
	v_add_co_u32_e32 v2, vcc, v3, v2
	v_addc_co_u32_e32 v3, vcc, v1, v4, vcc
.LBB11_84:
	s_or_b64 exec, exec, s[2:3]
	v_cmp_eq_u32_e32 vcc, 0, v5
	s_and_saveexec_b64 s[0:1], vcc
	s_cbranch_execz .LBB11_86
; %bb.85:
	v_lshrrev_b32_e32 v1, 3, v0
	v_and_b32_e32 v1, 24, v1
	ds_write_b64 v1, v[2:3] offset:160
.LBB11_86:
	s_or_b64 exec, exec, s[0:1]
	v_cmp_gt_u32_e32 vcc, 4, v0
	s_waitcnt lgkmcnt(0)
	s_barrier
	s_and_saveexec_b64 s[2:3], vcc
	s_cbranch_execz .LBB11_90
; %bb.87:
	v_lshlrev_b32_e32 v1, 3, v5
	ds_read_b64 v[2:3], v1 offset:160
	v_and_b32_e32 v1, 3, v5
	v_cmp_ne_u32_e32 vcc, 3, v1
	v_addc_co_u32_e32 v4, vcc, 0, v5, vcc
	v_lshlrev_b32_e32 v4, 2, v4
	s_waitcnt lgkmcnt(0)
	ds_bpermute_b32 v6, v4, v2
	ds_bpermute_b32 v8, v4, v3
	s_add_i32 s4, s4, 63
	s_lshr_b32 s4, s4, 6
	v_add_u32_e32 v7, 1, v1
	s_waitcnt lgkmcnt(1)
	v_add_co_u32_e32 v9, vcc, v2, v6
	v_addc_co_u32_e32 v6, vcc, 0, v3, vcc
	v_add_co_u32_e32 v4, vcc, 0, v9
	s_waitcnt lgkmcnt(0)
	v_addc_co_u32_e32 v6, vcc, v8, v6, vcc
	v_cmp_gt_u32_e32 vcc, s4, v7
	v_cmp_gt_u32_e64 s[0:1], 2, v1
	v_cndmask_b32_e32 v8, v2, v9, vcc
	v_cndmask_b32_e64 v9, 0, 1, s[0:1]
	v_lshlrev_b32_e32 v9, 1, v9
	v_cndmask_b32_e32 v7, v3, v6, vcc
	v_add_lshl_u32 v9, v9, v5, 2
	ds_bpermute_b32 v5, v9, v8
	ds_bpermute_b32 v7, v9, v7
	s_and_saveexec_b64 s[0:1], vcc
	s_cbranch_execz .LBB11_89
; %bb.88:
	v_add_u32_e32 v1, 2, v1
	v_cmp_gt_u32_e32 vcc, s4, v1
	s_waitcnt lgkmcnt(1)
	v_cndmask_b32_e32 v2, 0, v5, vcc
	s_waitcnt lgkmcnt(0)
	v_cndmask_b32_e32 v1, 0, v7, vcc
	v_add_co_u32_e32 v2, vcc, v2, v4
	v_addc_co_u32_e32 v3, vcc, v1, v6, vcc
.LBB11_89:
	s_or_b64 exec, exec, s[0:1]
.LBB11_90:
	s_or_b64 exec, exec, s[2:3]
.LBB11_91:
	v_cmp_eq_u32_e64 s[0:1], 0, v0
.LBB11_92:
	s_branch .LBB11_119
.LBB11_93:
	s_cmp_eq_u32 s33, 4
                                        ; implicit-def: $vgpr2_vgpr3
	s_cbranch_scc0 .LBB11_119
; %bb.94:
	s_mov_b32 s7, 0
	s_lshl_b32 s0, s6, 10
	s_mov_b32 s1, s7
	s_lshr_b64 s[2:3], s[38:39], 10
	s_lshl_b64 s[4:5], s[0:1], 3
	s_add_u32 s4, s36, s4
	s_addc_u32 s5, s37, s5
	s_cmp_lg_u64 s[2:3], s[6:7]
	s_cbranch_scc0 .LBB11_100
; %bb.95:
	v_lshlrev_b32_e32 v1, 3, v0
	v_mov_b32_e32 v2, s5
	v_add_co_u32_e32 v6, vcc, s4, v1
	s_waitcnt lgkmcnt(0)
	v_addc_co_u32_e32 v7, vcc, 0, v2, vcc
	global_load_dwordx2 v[2:3], v1, s[4:5]
	global_load_dwordx2 v[4:5], v1, s[4:5] offset:2048
	v_add_co_u32_e32 v6, vcc, 0x1000, v6
	v_addc_co_u32_e32 v7, vcc, 0, v7, vcc
	global_load_dwordx2 v[8:9], v[6:7], off
	global_load_dwordx2 v[10:11], v[6:7], off offset:2048
	v_mbcnt_lo_u32_b32 v1, -1, 0
	v_bfrev_b32_e32 v6, 0.5
	v_mbcnt_hi_u32_b32 v1, -1, v1
	v_lshl_or_b32 v6, v1, 2, v6
	s_waitcnt vmcnt(2)
	v_add_co_u32_e32 v2, vcc, v4, v2
	v_addc_co_u32_e32 v3, vcc, v5, v3, vcc
	s_waitcnt vmcnt(1)
	v_add_co_u32_e32 v2, vcc, v2, v8
	v_addc_co_u32_e32 v3, vcc, v3, v9, vcc
	;; [unrolled: 3-line block ×3, first 2 shown]
	s_nop 0
	v_mov_b32_dpp v4, v2 quad_perm:[1,0,3,2] row_mask:0xf bank_mask:0xf bound_ctrl:1
	v_add_co_u32_e32 v2, vcc, v2, v4
	v_mov_b32_dpp v5, v3 quad_perm:[1,0,3,2] row_mask:0xf bank_mask:0xf bound_ctrl:1
	v_addc_co_u32_e32 v3, vcc, 0, v3, vcc
	v_add_co_u32_e32 v4, vcc, 0, v2
	v_addc_co_u32_e32 v3, vcc, v5, v3, vcc
	v_mov_b32_dpp v2, v2 quad_perm:[2,3,0,1] row_mask:0xf bank_mask:0xf bound_ctrl:1
	v_add_co_u32_e32 v2, vcc, v4, v2
	v_mov_b32_dpp v5, v3 quad_perm:[2,3,0,1] row_mask:0xf bank_mask:0xf bound_ctrl:1
	v_addc_co_u32_e32 v3, vcc, 0, v3, vcc
	v_add_co_u32_e32 v4, vcc, 0, v2
	v_addc_co_u32_e32 v3, vcc, v3, v5, vcc
	v_mov_b32_dpp v2, v2 row_ror:4 row_mask:0xf bank_mask:0xf bound_ctrl:1
	v_add_co_u32_e32 v2, vcc, v4, v2
	v_mov_b32_dpp v5, v3 row_ror:4 row_mask:0xf bank_mask:0xf bound_ctrl:1
	v_addc_co_u32_e32 v3, vcc, 0, v3, vcc
	v_add_co_u32_e32 v4, vcc, 0, v2
	v_addc_co_u32_e32 v3, vcc, v3, v5, vcc
	v_mov_b32_dpp v2, v2 row_ror:8 row_mask:0xf bank_mask:0xf bound_ctrl:1
	v_add_co_u32_e32 v2, vcc, v4, v2
	v_mov_b32_dpp v5, v3 row_ror:8 row_mask:0xf bank_mask:0xf bound_ctrl:1
	v_addc_co_u32_e32 v3, vcc, 0, v3, vcc
	v_add_co_u32_e32 v4, vcc, 0, v2
	v_addc_co_u32_e32 v3, vcc, v3, v5, vcc
	v_mov_b32_dpp v2, v2 row_bcast:15 row_mask:0xf bank_mask:0xf bound_ctrl:1
	v_add_co_u32_e32 v2, vcc, v4, v2
	v_mov_b32_dpp v5, v3 row_bcast:15 row_mask:0xf bank_mask:0xf bound_ctrl:1
	v_addc_co_u32_e32 v3, vcc, 0, v3, vcc
	v_add_co_u32_e32 v4, vcc, 0, v2
	v_addc_co_u32_e32 v3, vcc, v3, v5, vcc
	v_mov_b32_dpp v2, v2 row_bcast:31 row_mask:0xf bank_mask:0xf bound_ctrl:1
	v_add_co_u32_e32 v2, vcc, v4, v2
	v_addc_co_u32_e32 v4, vcc, 0, v3, vcc
	ds_bpermute_b32 v2, v6, v2
	s_nop 0
	v_add_u32_dpp v3, v3, v4 row_bcast:31 row_mask:0xf bank_mask:0xf bound_ctrl:1
	ds_bpermute_b32 v3, v6, v3
	v_cmp_eq_u32_e32 vcc, 0, v1
	s_and_saveexec_b64 s[2:3], vcc
	s_cbranch_execz .LBB11_97
; %bb.96:
	v_lshrrev_b32_e32 v4, 3, v0
	v_and_b32_e32 v4, 24, v4
	s_waitcnt lgkmcnt(0)
	ds_write_b64 v4, v[2:3] offset:96
.LBB11_97:
	s_or_b64 exec, exec, s[2:3]
	v_cmp_gt_u32_e32 vcc, 64, v0
	s_waitcnt lgkmcnt(0)
	s_barrier
	s_and_saveexec_b64 s[2:3], vcc
	s_cbranch_execz .LBB11_99
; %bb.98:
	v_and_b32_e32 v4, 3, v1
	v_lshlrev_b32_e32 v2, 3, v4
	ds_read_b64 v[2:3], v2 offset:96
	v_cmp_ne_u32_e32 vcc, 3, v4
	v_addc_co_u32_e32 v5, vcc, 0, v1, vcc
	v_lshlrev_b32_e32 v5, 2, v5
	s_waitcnt lgkmcnt(0)
	ds_bpermute_b32 v6, v5, v2
	ds_bpermute_b32 v5, v5, v3
	s_waitcnt lgkmcnt(1)
	v_add_co_u32_e32 v2, vcc, v2, v6
	v_addc_co_u32_e32 v3, vcc, 0, v3, vcc
	v_cmp_gt_u32_e32 vcc, 2, v4
	v_cndmask_b32_e64 v4, 0, 1, vcc
	v_lshlrev_b32_e32 v4, 1, v4
	v_add_lshl_u32 v1, v4, v1, 2
	ds_bpermute_b32 v4, v1, v2
	v_add_co_u32_e32 v2, vcc, 0, v2
	s_waitcnt lgkmcnt(1)
	v_addc_co_u32_e32 v3, vcc, v5, v3, vcc
	ds_bpermute_b32 v1, v1, v3
	s_waitcnt lgkmcnt(1)
	v_add_co_u32_e32 v2, vcc, v2, v4
	v_addc_co_u32_e32 v3, vcc, 0, v3, vcc
	v_add_co_u32_e32 v2, vcc, 0, v2
	s_waitcnt lgkmcnt(0)
	v_addc_co_u32_e32 v3, vcc, v3, v1, vcc
.LBB11_99:
	s_or_b64 exec, exec, s[2:3]
	s_branch .LBB11_118
.LBB11_100:
                                        ; implicit-def: $vgpr2_vgpr3
	s_cbranch_execz .LBB11_118
; %bb.101:
	s_sub_i32 s10, s38, s0
	v_cmp_gt_u32_e32 vcc, s10, v0
                                        ; implicit-def: $vgpr2_vgpr3_vgpr4_vgpr5_vgpr6_vgpr7_vgpr8_vgpr9
	s_and_saveexec_b64 s[0:1], vcc
	s_cbranch_execz .LBB11_103
; %bb.102:
	v_lshlrev_b32_e32 v1, 3, v0
	global_load_dwordx2 v[2:3], v1, s[4:5]
.LBB11_103:
	s_or_b64 exec, exec, s[0:1]
	v_or_b32_e32 v1, 0x100, v0
	v_cmp_gt_u32_e32 vcc, s10, v1
	s_and_saveexec_b64 s[0:1], vcc
	s_cbranch_execz .LBB11_105
; %bb.104:
	v_lshlrev_b32_e32 v1, 3, v0
	s_waitcnt lgkmcnt(1)
	global_load_dwordx2 v[4:5], v1, s[4:5] offset:2048
.LBB11_105:
	s_or_b64 exec, exec, s[0:1]
	v_or_b32_e32 v1, 0x200, v0
	v_cmp_gt_u32_e64 s[0:1], s10, v1
	s_and_saveexec_b64 s[2:3], s[0:1]
	s_cbranch_execz .LBB11_107
; %bb.106:
	v_lshlrev_b32_e32 v1, 3, v1
	s_waitcnt lgkmcnt(0)
	global_load_dwordx2 v[6:7], v1, s[4:5]
.LBB11_107:
	s_or_b64 exec, exec, s[2:3]
	v_or_b32_e32 v1, 0x300, v0
	v_cmp_gt_u32_e64 s[2:3], s10, v1
	s_and_saveexec_b64 s[8:9], s[2:3]
	s_cbranch_execz .LBB11_109
; %bb.108:
	v_lshlrev_b32_e32 v1, 3, v1
	global_load_dwordx2 v[8:9], v1, s[4:5]
.LBB11_109:
	s_or_b64 exec, exec, s[8:9]
	s_waitcnt vmcnt(0)
	v_cndmask_b32_e32 v4, 0, v4, vcc
	s_waitcnt lgkmcnt(1)
	v_cndmask_b32_e32 v1, 0, v5, vcc
	v_add_co_u32_e32 v2, vcc, v4, v2
	v_addc_co_u32_e32 v1, vcc, v1, v3, vcc
	v_cndmask_b32_e64 v4, 0, v6, s[0:1]
	s_waitcnt lgkmcnt(0)
	v_cndmask_b32_e64 v3, 0, v7, s[0:1]
	v_add_co_u32_e32 v2, vcc, v2, v4
	v_addc_co_u32_e32 v1, vcc, v1, v3, vcc
	v_cndmask_b32_e64 v4, 0, v8, s[2:3]
	v_cndmask_b32_e64 v3, 0, v9, s[2:3]
	v_add_co_u32_e32 v2, vcc, v2, v4
	v_addc_co_u32_e32 v3, vcc, v1, v3, vcc
	v_mbcnt_lo_u32_b32 v1, -1, 0
	v_mbcnt_hi_u32_b32 v5, -1, v1
	v_and_b32_e32 v6, 63, v5
	v_cmp_ne_u32_e32 vcc, 63, v6
	v_addc_co_u32_e32 v4, vcc, 0, v5, vcc
	v_lshlrev_b32_e32 v4, 2, v4
	ds_bpermute_b32 v8, v4, v2
	ds_bpermute_b32 v4, v4, v3
	s_min_u32 s4, s10, 0x100
	v_and_b32_e32 v1, 0xc0, v0
	v_sub_u32_e64 v7, s4, v1 clamp
	s_waitcnt lgkmcnt(1)
	v_add_co_u32_e32 v8, vcc, v2, v8
	v_addc_co_u32_e32 v9, vcc, 0, v3, vcc
	v_add_co_u32_e32 v10, vcc, 0, v8
	v_add_u32_e32 v1, 1, v6
	s_waitcnt lgkmcnt(0)
	v_addc_co_u32_e32 v4, vcc, v4, v9, vcc
	v_cmp_lt_u32_e64 s[0:1], v1, v7
	v_cmp_gt_u32_e32 vcc, 62, v6
	v_cndmask_b32_e64 v1, v2, v8, s[0:1]
	v_cndmask_b32_e64 v8, 0, 1, vcc
	v_lshlrev_b32_e32 v8, 1, v8
	v_add_lshl_u32 v8, v8, v5, 2
	v_cndmask_b32_e64 v4, v3, v4, s[0:1]
	ds_bpermute_b32 v9, v8, v1
	ds_bpermute_b32 v8, v8, v4
	v_cndmask_b32_e64 v10, v2, v10, s[0:1]
	v_add_u32_e32 v11, 2, v6
	v_cmp_gt_u32_e64 s[2:3], 60, v6
	s_waitcnt lgkmcnt(1)
	v_add_co_u32_e32 v9, vcc, v9, v10
	s_waitcnt lgkmcnt(0)
	v_addc_co_u32_e32 v8, vcc, v8, v4, vcc
	v_cmp_lt_u32_e32 vcc, v11, v7
	v_cndmask_b32_e32 v4, v4, v8, vcc
	v_cndmask_b32_e64 v8, 0, 1, s[2:3]
	v_lshlrev_b32_e32 v8, 2, v8
	v_cndmask_b32_e32 v1, v1, v9, vcc
	v_add_lshl_u32 v8, v8, v5, 2
	ds_bpermute_b32 v11, v8, v1
	ds_bpermute_b32 v8, v8, v4
	v_cndmask_b32_e32 v9, v10, v9, vcc
	v_add_u32_e32 v10, 4, v6
	v_cmp_gt_u32_e64 s[2:3], 56, v6
	s_waitcnt lgkmcnt(1)
	v_add_co_u32_e32 v11, vcc, v11, v9
	s_waitcnt lgkmcnt(0)
	v_addc_co_u32_e32 v8, vcc, v8, v4, vcc
	v_cmp_lt_u32_e32 vcc, v10, v7
	v_cndmask_b32_e32 v4, v4, v8, vcc
	v_cndmask_b32_e64 v8, 0, 1, s[2:3]
	v_lshlrev_b32_e32 v8, 3, v8
	v_cndmask_b32_e32 v1, v1, v11, vcc
	v_add_lshl_u32 v8, v8, v5, 2
	ds_bpermute_b32 v10, v8, v1
	ds_bpermute_b32 v8, v8, v4
	v_cndmask_b32_e32 v9, v9, v11, vcc
	v_add_u32_e32 v11, 8, v6
	v_cmp_gt_u32_e64 s[2:3], 48, v6
	s_waitcnt lgkmcnt(1)
	v_add_co_u32_e32 v10, vcc, v10, v9
	s_waitcnt lgkmcnt(0)
	v_addc_co_u32_e32 v8, vcc, v8, v4, vcc
	v_cmp_lt_u32_e32 vcc, v11, v7
	v_cndmask_b32_e32 v11, v1, v10, vcc
	v_cndmask_b32_e32 v1, v4, v8, vcc
	v_cndmask_b32_e64 v4, 0, 1, s[2:3]
	v_lshlrev_b32_e32 v4, 4, v4
	v_add_lshl_u32 v8, v4, v5, 2
	ds_bpermute_b32 v12, v8, v11
	v_cndmask_b32_e32 v4, v9, v10, vcc
	ds_bpermute_b32 v9, v8, v1
	v_add_u32_e32 v10, 16, v6
	v_cmp_gt_u32_e64 s[2:3], 32, v6
	s_waitcnt lgkmcnt(1)
	v_add_co_u32_e32 v8, vcc, v12, v4
	s_waitcnt lgkmcnt(0)
	v_addc_co_u32_e32 v9, vcc, v9, v1, vcc
	v_cmp_lt_u32_e32 vcc, v10, v7
	v_cndmask_b32_e32 v10, v11, v8, vcc
	v_cndmask_b32_e64 v11, 0, 1, s[2:3]
	v_lshlrev_b32_e32 v11, 5, v11
	v_cndmask_b32_e32 v12, v1, v9, vcc
	v_add_lshl_u32 v11, v11, v5, 2
	ds_bpermute_b32 v10, v11, v10
	ds_bpermute_b32 v11, v11, v12
	s_and_saveexec_b64 s[2:3], s[0:1]
	s_cbranch_execz .LBB11_111
; %bb.110:
	v_add_u32_e32 v2, 32, v6
	v_cndmask_b32_e32 v1, v1, v9, vcc
	v_cndmask_b32_e32 v3, v4, v8, vcc
	v_cmp_lt_u32_e32 vcc, v2, v7
	s_waitcnt lgkmcnt(1)
	v_cndmask_b32_e32 v2, 0, v10, vcc
	s_waitcnt lgkmcnt(0)
	v_cndmask_b32_e32 v4, 0, v11, vcc
	v_add_co_u32_e32 v2, vcc, v2, v3
	v_addc_co_u32_e32 v3, vcc, v4, v1, vcc
.LBB11_111:
	s_or_b64 exec, exec, s[2:3]
	v_cmp_eq_u32_e32 vcc, 0, v5
	s_and_saveexec_b64 s[0:1], vcc
	s_cbranch_execz .LBB11_113
; %bb.112:
	v_lshrrev_b32_e32 v1, 3, v0
	v_and_b32_e32 v1, 24, v1
	ds_write_b64 v1, v[2:3] offset:160
.LBB11_113:
	s_or_b64 exec, exec, s[0:1]
	v_cmp_gt_u32_e32 vcc, 4, v0
	s_waitcnt lgkmcnt(0)
	s_barrier
	s_and_saveexec_b64 s[2:3], vcc
	s_cbranch_execz .LBB11_117
; %bb.114:
	v_lshlrev_b32_e32 v1, 3, v5
	ds_read_b64 v[2:3], v1 offset:160
	v_and_b32_e32 v1, 3, v5
	v_cmp_ne_u32_e32 vcc, 3, v1
	v_addc_co_u32_e32 v4, vcc, 0, v5, vcc
	v_lshlrev_b32_e32 v4, 2, v4
	s_waitcnt lgkmcnt(0)
	ds_bpermute_b32 v6, v4, v2
	ds_bpermute_b32 v8, v4, v3
	s_add_i32 s4, s4, 63
	s_lshr_b32 s4, s4, 6
	v_add_u32_e32 v7, 1, v1
	s_waitcnt lgkmcnt(1)
	v_add_co_u32_e32 v9, vcc, v2, v6
	v_addc_co_u32_e32 v6, vcc, 0, v3, vcc
	v_add_co_u32_e32 v4, vcc, 0, v9
	s_waitcnt lgkmcnt(0)
	v_addc_co_u32_e32 v6, vcc, v8, v6, vcc
	v_cmp_gt_u32_e32 vcc, s4, v7
	v_cmp_gt_u32_e64 s[0:1], 2, v1
	v_cndmask_b32_e32 v8, v2, v9, vcc
	v_cndmask_b32_e64 v9, 0, 1, s[0:1]
	v_lshlrev_b32_e32 v9, 1, v9
	v_cndmask_b32_e32 v7, v3, v6, vcc
	v_add_lshl_u32 v9, v9, v5, 2
	ds_bpermute_b32 v5, v9, v8
	ds_bpermute_b32 v7, v9, v7
	s_and_saveexec_b64 s[0:1], vcc
	s_cbranch_execz .LBB11_116
; %bb.115:
	v_add_u32_e32 v1, 2, v1
	v_cmp_gt_u32_e32 vcc, s4, v1
	s_waitcnt lgkmcnt(1)
	v_cndmask_b32_e32 v2, 0, v5, vcc
	s_waitcnt lgkmcnt(0)
	v_cndmask_b32_e32 v1, 0, v7, vcc
	v_add_co_u32_e32 v2, vcc, v2, v4
	v_addc_co_u32_e32 v3, vcc, v1, v6, vcc
.LBB11_116:
	s_or_b64 exec, exec, s[0:1]
.LBB11_117:
	s_or_b64 exec, exec, s[2:3]
.LBB11_118:
	v_cmp_eq_u32_e64 s[0:1], 0, v0
.LBB11_119:
	s_branch .LBB11_153
.LBB11_120:
	s_cmp_gt_i32 s33, 1
	s_cbranch_scc0 .LBB11_129
; %bb.121:
	s_cmp_eq_u32 s33, 2
                                        ; implicit-def: $vgpr2_vgpr3
	s_cbranch_scc0 .LBB11_130
; %bb.122:
	s_mov_b32 s7, 0
	s_lshl_b32 s2, s6, 9
	s_mov_b32 s3, s7
	s_lshr_b64 s[4:5], s[38:39], 9
	s_lshl_b64 s[0:1], s[2:3], 3
	s_add_u32 s0, s36, s0
	s_addc_u32 s1, s37, s1
	s_cmp_lg_u64 s[4:5], s[6:7]
	s_cbranch_scc0 .LBB11_131
; %bb.123:
	v_lshlrev_b32_e32 v1, 3, v0
	global_load_dwordx2 v[2:3], v1, s[0:1]
	s_waitcnt lgkmcnt(1)
	global_load_dwordx2 v[4:5], v1, s[0:1] offset:2048
	v_mbcnt_lo_u32_b32 v1, -1, 0
	v_bfrev_b32_e32 v6, 0.5
	v_mbcnt_hi_u32_b32 v1, -1, v1
	v_lshl_or_b32 v6, v1, 2, v6
	s_waitcnt vmcnt(0)
	v_add_co_u32_e32 v2, vcc, v4, v2
	v_addc_co_u32_e32 v3, vcc, v5, v3, vcc
	s_nop 0
	v_mov_b32_dpp v4, v2 quad_perm:[1,0,3,2] row_mask:0xf bank_mask:0xf bound_ctrl:1
	v_add_co_u32_e32 v2, vcc, v2, v4
	v_mov_b32_dpp v5, v3 quad_perm:[1,0,3,2] row_mask:0xf bank_mask:0xf bound_ctrl:1
	v_addc_co_u32_e32 v3, vcc, 0, v3, vcc
	v_add_co_u32_e32 v4, vcc, 0, v2
	v_addc_co_u32_e32 v3, vcc, v5, v3, vcc
	v_mov_b32_dpp v2, v2 quad_perm:[2,3,0,1] row_mask:0xf bank_mask:0xf bound_ctrl:1
	v_add_co_u32_e32 v2, vcc, v4, v2
	v_mov_b32_dpp v5, v3 quad_perm:[2,3,0,1] row_mask:0xf bank_mask:0xf bound_ctrl:1
	v_addc_co_u32_e32 v3, vcc, 0, v3, vcc
	v_add_co_u32_e32 v4, vcc, 0, v2
	v_addc_co_u32_e32 v3, vcc, v3, v5, vcc
	v_mov_b32_dpp v2, v2 row_ror:4 row_mask:0xf bank_mask:0xf bound_ctrl:1
	v_add_co_u32_e32 v2, vcc, v4, v2
	v_mov_b32_dpp v5, v3 row_ror:4 row_mask:0xf bank_mask:0xf bound_ctrl:1
	v_addc_co_u32_e32 v3, vcc, 0, v3, vcc
	v_add_co_u32_e32 v4, vcc, 0, v2
	v_addc_co_u32_e32 v3, vcc, v3, v5, vcc
	v_mov_b32_dpp v2, v2 row_ror:8 row_mask:0xf bank_mask:0xf bound_ctrl:1
	v_add_co_u32_e32 v2, vcc, v4, v2
	v_mov_b32_dpp v5, v3 row_ror:8 row_mask:0xf bank_mask:0xf bound_ctrl:1
	v_addc_co_u32_e32 v3, vcc, 0, v3, vcc
	v_add_co_u32_e32 v4, vcc, 0, v2
	v_addc_co_u32_e32 v3, vcc, v3, v5, vcc
	v_mov_b32_dpp v2, v2 row_bcast:15 row_mask:0xf bank_mask:0xf bound_ctrl:1
	v_add_co_u32_e32 v2, vcc, v4, v2
	v_mov_b32_dpp v5, v3 row_bcast:15 row_mask:0xf bank_mask:0xf bound_ctrl:1
	v_addc_co_u32_e32 v3, vcc, 0, v3, vcc
	v_add_co_u32_e32 v4, vcc, 0, v2
	v_addc_co_u32_e32 v3, vcc, v3, v5, vcc
	v_mov_b32_dpp v2, v2 row_bcast:31 row_mask:0xf bank_mask:0xf bound_ctrl:1
	v_add_co_u32_e32 v2, vcc, v4, v2
	v_addc_co_u32_e32 v4, vcc, 0, v3, vcc
	ds_bpermute_b32 v2, v6, v2
	s_nop 0
	v_add_u32_dpp v3, v3, v4 row_bcast:31 row_mask:0xf bank_mask:0xf bound_ctrl:1
	ds_bpermute_b32 v3, v6, v3
	v_cmp_eq_u32_e32 vcc, 0, v1
	s_and_saveexec_b64 s[4:5], vcc
	s_cbranch_execz .LBB11_125
; %bb.124:
	v_lshrrev_b32_e32 v4, 3, v0
	v_and_b32_e32 v4, 24, v4
	s_waitcnt lgkmcnt(0)
	ds_write_b64 v4, v[2:3] offset:64
.LBB11_125:
	s_or_b64 exec, exec, s[4:5]
	v_cmp_gt_u32_e32 vcc, 64, v0
	s_waitcnt lgkmcnt(0)
	s_barrier
	s_and_saveexec_b64 s[4:5], vcc
	s_cbranch_execz .LBB11_127
; %bb.126:
	v_and_b32_e32 v4, 3, v1
	v_lshlrev_b32_e32 v2, 3, v4
	ds_read_b64 v[2:3], v2 offset:64
	v_cmp_ne_u32_e32 vcc, 3, v4
	v_addc_co_u32_e32 v5, vcc, 0, v1, vcc
	v_lshlrev_b32_e32 v5, 2, v5
	s_waitcnt lgkmcnt(0)
	ds_bpermute_b32 v6, v5, v2
	ds_bpermute_b32 v5, v5, v3
	s_waitcnt lgkmcnt(1)
	v_add_co_u32_e32 v2, vcc, v2, v6
	v_addc_co_u32_e32 v3, vcc, 0, v3, vcc
	v_cmp_gt_u32_e32 vcc, 2, v4
	v_cndmask_b32_e64 v4, 0, 1, vcc
	v_lshlrev_b32_e32 v4, 1, v4
	v_add_lshl_u32 v1, v4, v1, 2
	ds_bpermute_b32 v4, v1, v2
	v_add_co_u32_e32 v2, vcc, 0, v2
	s_waitcnt lgkmcnt(1)
	v_addc_co_u32_e32 v3, vcc, v5, v3, vcc
	ds_bpermute_b32 v1, v1, v3
	s_waitcnt lgkmcnt(1)
	v_add_co_u32_e32 v2, vcc, v2, v4
	v_addc_co_u32_e32 v3, vcc, 0, v3, vcc
	v_add_co_u32_e32 v2, vcc, 0, v2
	s_waitcnt lgkmcnt(0)
	v_addc_co_u32_e32 v3, vcc, v3, v1, vcc
.LBB11_127:
	s_or_b64 exec, exec, s[4:5]
.LBB11_128:
	v_cmp_eq_u32_e64 s[0:1], 0, v0
	s_branch .LBB11_153
.LBB11_129:
                                        ; implicit-def: $vgpr2_vgpr3
	s_cbranch_execnz .LBB11_145
	s_branch .LBB11_153
.LBB11_130:
	s_branch .LBB11_153
.LBB11_131:
                                        ; implicit-def: $vgpr2_vgpr3
	s_cbranch_execz .LBB11_128
; %bb.132:
	s_sub_i32 s4, s38, s2
	v_cmp_gt_u32_e32 vcc, s4, v0
                                        ; implicit-def: $vgpr2_vgpr3_vgpr4_vgpr5
	s_and_saveexec_b64 s[2:3], vcc
	s_cbranch_execz .LBB11_134
; %bb.133:
	v_lshlrev_b32_e32 v1, 3, v0
	global_load_dwordx2 v[2:3], v1, s[0:1]
.LBB11_134:
	s_or_b64 exec, exec, s[2:3]
	v_or_b32_e32 v1, 0x100, v0
	v_cmp_gt_u32_e32 vcc, s4, v1
	s_and_saveexec_b64 s[2:3], vcc
	s_cbranch_execz .LBB11_136
; %bb.135:
	v_lshlrev_b32_e32 v1, 3, v0
	s_waitcnt lgkmcnt(1)
	global_load_dwordx2 v[4:5], v1, s[0:1] offset:2048
.LBB11_136:
	s_or_b64 exec, exec, s[2:3]
	s_waitcnt vmcnt(0)
	v_cndmask_b32_e32 v4, 0, v4, vcc
	s_waitcnt lgkmcnt(1)
	v_cndmask_b32_e32 v1, 0, v5, vcc
	v_add_co_u32_e32 v2, vcc, v4, v2
	v_addc_co_u32_e32 v3, vcc, v1, v3, vcc
	v_mbcnt_lo_u32_b32 v1, -1, 0
	v_mbcnt_hi_u32_b32 v5, -1, v1
	v_and_b32_e32 v6, 63, v5
	v_cmp_ne_u32_e32 vcc, 63, v6
	v_addc_co_u32_e32 v4, vcc, 0, v5, vcc
	v_lshlrev_b32_e32 v4, 2, v4
	ds_bpermute_b32 v8, v4, v2
	ds_bpermute_b32 v4, v4, v3
	s_min_u32 s4, s4, 0x100
	v_and_b32_e32 v1, 0xc0, v0
	s_waitcnt lgkmcnt(2)
	v_sub_u32_e64 v7, s4, v1 clamp
	s_waitcnt lgkmcnt(1)
	v_add_co_u32_e32 v8, vcc, v2, v8
	v_addc_co_u32_e32 v9, vcc, 0, v3, vcc
	v_add_co_u32_e32 v10, vcc, 0, v8
	v_add_u32_e32 v1, 1, v6
	s_waitcnt lgkmcnt(0)
	v_addc_co_u32_e32 v4, vcc, v4, v9, vcc
	v_cmp_lt_u32_e64 s[0:1], v1, v7
	v_cmp_gt_u32_e32 vcc, 62, v6
	v_cndmask_b32_e64 v1, v2, v8, s[0:1]
	v_cndmask_b32_e64 v8, 0, 1, vcc
	v_lshlrev_b32_e32 v8, 1, v8
	v_add_lshl_u32 v8, v8, v5, 2
	v_cndmask_b32_e64 v4, v3, v4, s[0:1]
	ds_bpermute_b32 v9, v8, v1
	ds_bpermute_b32 v8, v8, v4
	v_cndmask_b32_e64 v10, v2, v10, s[0:1]
	v_add_u32_e32 v11, 2, v6
	v_cmp_gt_u32_e64 s[2:3], 60, v6
	s_waitcnt lgkmcnt(1)
	v_add_co_u32_e32 v9, vcc, v9, v10
	s_waitcnt lgkmcnt(0)
	v_addc_co_u32_e32 v8, vcc, v8, v4, vcc
	v_cmp_lt_u32_e32 vcc, v11, v7
	v_cndmask_b32_e32 v4, v4, v8, vcc
	v_cndmask_b32_e64 v8, 0, 1, s[2:3]
	v_lshlrev_b32_e32 v8, 2, v8
	v_cndmask_b32_e32 v1, v1, v9, vcc
	v_add_lshl_u32 v8, v8, v5, 2
	ds_bpermute_b32 v11, v8, v1
	ds_bpermute_b32 v8, v8, v4
	v_cndmask_b32_e32 v9, v10, v9, vcc
	v_add_u32_e32 v10, 4, v6
	v_cmp_gt_u32_e64 s[2:3], 56, v6
	s_waitcnt lgkmcnt(1)
	v_add_co_u32_e32 v11, vcc, v11, v9
	s_waitcnt lgkmcnt(0)
	v_addc_co_u32_e32 v8, vcc, v8, v4, vcc
	v_cmp_lt_u32_e32 vcc, v10, v7
	v_cndmask_b32_e32 v4, v4, v8, vcc
	v_cndmask_b32_e64 v8, 0, 1, s[2:3]
	v_lshlrev_b32_e32 v8, 3, v8
	v_cndmask_b32_e32 v1, v1, v11, vcc
	v_add_lshl_u32 v8, v8, v5, 2
	ds_bpermute_b32 v10, v8, v1
	ds_bpermute_b32 v8, v8, v4
	v_cndmask_b32_e32 v9, v9, v11, vcc
	v_add_u32_e32 v11, 8, v6
	v_cmp_gt_u32_e64 s[2:3], 48, v6
	s_waitcnt lgkmcnt(1)
	v_add_co_u32_e32 v10, vcc, v10, v9
	s_waitcnt lgkmcnt(0)
	v_addc_co_u32_e32 v8, vcc, v8, v4, vcc
	v_cmp_lt_u32_e32 vcc, v11, v7
	v_cndmask_b32_e32 v11, v1, v10, vcc
	v_cndmask_b32_e32 v1, v4, v8, vcc
	v_cndmask_b32_e64 v4, 0, 1, s[2:3]
	v_lshlrev_b32_e32 v4, 4, v4
	v_add_lshl_u32 v8, v4, v5, 2
	ds_bpermute_b32 v12, v8, v11
	v_cndmask_b32_e32 v4, v9, v10, vcc
	ds_bpermute_b32 v9, v8, v1
	v_add_u32_e32 v10, 16, v6
	v_cmp_gt_u32_e64 s[2:3], 32, v6
	s_waitcnt lgkmcnt(1)
	v_add_co_u32_e32 v8, vcc, v12, v4
	s_waitcnt lgkmcnt(0)
	v_addc_co_u32_e32 v9, vcc, v9, v1, vcc
	v_cmp_lt_u32_e32 vcc, v10, v7
	v_cndmask_b32_e32 v10, v11, v8, vcc
	v_cndmask_b32_e64 v11, 0, 1, s[2:3]
	v_lshlrev_b32_e32 v11, 5, v11
	v_cndmask_b32_e32 v12, v1, v9, vcc
	v_add_lshl_u32 v11, v11, v5, 2
	ds_bpermute_b32 v10, v11, v10
	ds_bpermute_b32 v11, v11, v12
	s_and_saveexec_b64 s[2:3], s[0:1]
	s_cbranch_execz .LBB11_138
; %bb.137:
	v_add_u32_e32 v2, 32, v6
	v_cndmask_b32_e32 v1, v1, v9, vcc
	v_cndmask_b32_e32 v3, v4, v8, vcc
	v_cmp_lt_u32_e32 vcc, v2, v7
	s_waitcnt lgkmcnt(1)
	v_cndmask_b32_e32 v2, 0, v10, vcc
	s_waitcnt lgkmcnt(0)
	v_cndmask_b32_e32 v4, 0, v11, vcc
	v_add_co_u32_e32 v2, vcc, v2, v3
	v_addc_co_u32_e32 v3, vcc, v4, v1, vcc
.LBB11_138:
	s_or_b64 exec, exec, s[2:3]
	v_cmp_eq_u32_e32 vcc, 0, v5
	s_and_saveexec_b64 s[0:1], vcc
	s_cbranch_execz .LBB11_140
; %bb.139:
	v_lshrrev_b32_e32 v1, 3, v0
	v_and_b32_e32 v1, 24, v1
	ds_write_b64 v1, v[2:3] offset:160
.LBB11_140:
	s_or_b64 exec, exec, s[0:1]
	v_cmp_gt_u32_e32 vcc, 4, v0
	s_waitcnt lgkmcnt(0)
	s_barrier
	s_and_saveexec_b64 s[2:3], vcc
	s_cbranch_execz .LBB11_144
; %bb.141:
	v_lshlrev_b32_e32 v1, 3, v5
	ds_read_b64 v[2:3], v1 offset:160
	v_and_b32_e32 v1, 3, v5
	v_cmp_ne_u32_e32 vcc, 3, v1
	v_addc_co_u32_e32 v4, vcc, 0, v5, vcc
	v_lshlrev_b32_e32 v4, 2, v4
	s_waitcnt lgkmcnt(0)
	ds_bpermute_b32 v6, v4, v2
	ds_bpermute_b32 v8, v4, v3
	s_add_i32 s4, s4, 63
	s_lshr_b32 s4, s4, 6
	v_add_u32_e32 v7, 1, v1
	s_waitcnt lgkmcnt(1)
	v_add_co_u32_e32 v9, vcc, v2, v6
	v_addc_co_u32_e32 v6, vcc, 0, v3, vcc
	v_add_co_u32_e32 v4, vcc, 0, v9
	s_waitcnt lgkmcnt(0)
	v_addc_co_u32_e32 v6, vcc, v8, v6, vcc
	v_cmp_gt_u32_e32 vcc, s4, v7
	v_cmp_gt_u32_e64 s[0:1], 2, v1
	v_cndmask_b32_e32 v8, v2, v9, vcc
	v_cndmask_b32_e64 v9, 0, 1, s[0:1]
	v_lshlrev_b32_e32 v9, 1, v9
	v_cndmask_b32_e32 v7, v3, v6, vcc
	v_add_lshl_u32 v9, v9, v5, 2
	ds_bpermute_b32 v5, v9, v8
	ds_bpermute_b32 v7, v9, v7
	s_and_saveexec_b64 s[0:1], vcc
	s_cbranch_execz .LBB11_143
; %bb.142:
	v_add_u32_e32 v1, 2, v1
	v_cmp_gt_u32_e32 vcc, s4, v1
	s_waitcnt lgkmcnt(1)
	v_cndmask_b32_e32 v2, 0, v5, vcc
	s_waitcnt lgkmcnt(0)
	v_cndmask_b32_e32 v1, 0, v7, vcc
	v_add_co_u32_e32 v2, vcc, v2, v4
	v_addc_co_u32_e32 v3, vcc, v1, v6, vcc
.LBB11_143:
	s_or_b64 exec, exec, s[0:1]
.LBB11_144:
	s_or_b64 exec, exec, s[2:3]
	v_cmp_eq_u32_e64 s[0:1], 0, v0
	s_branch .LBB11_153
.LBB11_145:
	s_cmp_eq_u32 s33, 1
                                        ; implicit-def: $vgpr2_vgpr3
	s_cbranch_scc0 .LBB11_153
; %bb.146:
	s_mov_b32 s1, 0
	s_lshl_b32 s0, s6, 8
	s_mov_b32 s7, s1
	s_lshr_b64 s[2:3], s[38:39], 8
	s_cmp_lg_u64 s[2:3], s[6:7]
	v_mbcnt_lo_u32_b32 v1, -1, 0
	s_cbranch_scc0 .LBB11_156
; %bb.147:
	s_lshl_b64 s[2:3], s[0:1], 3
	s_add_u32 s2, s36, s2
	s_addc_u32 s3, s37, s3
	v_lshlrev_b32_e32 v2, 3, v0
	global_load_dwordx2 v[2:3], v2, s[2:3]
	v_mbcnt_hi_u32_b32 v4, -1, v1
	s_waitcnt lgkmcnt(1)
	v_bfrev_b32_e32 v5, 0.5
	v_lshl_or_b32 v5, v4, 2, v5
	s_waitcnt vmcnt(0)
	v_mov_b32_dpp v6, v2 quad_perm:[1,0,3,2] row_mask:0xf bank_mask:0xf bound_ctrl:1
	v_add_co_u32_e32 v2, vcc, v2, v6
	s_waitcnt lgkmcnt(0)
	v_mov_b32_dpp v7, v3 quad_perm:[1,0,3,2] row_mask:0xf bank_mask:0xf bound_ctrl:1
	v_addc_co_u32_e32 v3, vcc, 0, v3, vcc
	v_add_co_u32_e32 v6, vcc, 0, v2
	v_addc_co_u32_e32 v3, vcc, v7, v3, vcc
	v_mov_b32_dpp v2, v2 quad_perm:[2,3,0,1] row_mask:0xf bank_mask:0xf bound_ctrl:1
	v_add_co_u32_e32 v2, vcc, v6, v2
	v_mov_b32_dpp v7, v3 quad_perm:[2,3,0,1] row_mask:0xf bank_mask:0xf bound_ctrl:1
	v_addc_co_u32_e32 v3, vcc, 0, v3, vcc
	v_add_co_u32_e32 v6, vcc, 0, v2
	v_addc_co_u32_e32 v3, vcc, v3, v7, vcc
	v_mov_b32_dpp v2, v2 row_ror:4 row_mask:0xf bank_mask:0xf bound_ctrl:1
	v_add_co_u32_e32 v2, vcc, v6, v2
	v_mov_b32_dpp v7, v3 row_ror:4 row_mask:0xf bank_mask:0xf bound_ctrl:1
	v_addc_co_u32_e32 v3, vcc, 0, v3, vcc
	v_add_co_u32_e32 v6, vcc, 0, v2
	v_addc_co_u32_e32 v3, vcc, v3, v7, vcc
	v_mov_b32_dpp v2, v2 row_ror:8 row_mask:0xf bank_mask:0xf bound_ctrl:1
	v_add_co_u32_e32 v2, vcc, v6, v2
	v_mov_b32_dpp v7, v3 row_ror:8 row_mask:0xf bank_mask:0xf bound_ctrl:1
	v_addc_co_u32_e32 v3, vcc, 0, v3, vcc
	v_add_co_u32_e32 v6, vcc, 0, v2
	v_addc_co_u32_e32 v3, vcc, v3, v7, vcc
	v_mov_b32_dpp v2, v2 row_bcast:15 row_mask:0xf bank_mask:0xf bound_ctrl:1
	v_add_co_u32_e32 v2, vcc, v6, v2
	v_mov_b32_dpp v7, v3 row_bcast:15 row_mask:0xf bank_mask:0xf bound_ctrl:1
	v_addc_co_u32_e32 v3, vcc, 0, v3, vcc
	v_add_co_u32_e32 v6, vcc, 0, v2
	v_addc_co_u32_e32 v3, vcc, v3, v7, vcc
	v_mov_b32_dpp v2, v2 row_bcast:31 row_mask:0xf bank_mask:0xf bound_ctrl:1
	v_add_co_u32_e32 v2, vcc, v6, v2
	v_addc_co_u32_e32 v6, vcc, 0, v3, vcc
	ds_bpermute_b32 v2, v5, v2
	s_nop 0
	v_add_u32_dpp v3, v3, v6 row_bcast:31 row_mask:0xf bank_mask:0xf bound_ctrl:1
	ds_bpermute_b32 v3, v5, v3
	v_cmp_eq_u32_e32 vcc, 0, v4
	s_and_saveexec_b64 s[2:3], vcc
	s_cbranch_execz .LBB11_149
; %bb.148:
	v_lshrrev_b32_e32 v5, 3, v0
	v_and_b32_e32 v5, 24, v5
	s_waitcnt lgkmcnt(0)
	ds_write_b64 v5, v[2:3] offset:32
.LBB11_149:
	s_or_b64 exec, exec, s[2:3]
	v_cmp_gt_u32_e32 vcc, 64, v0
	s_waitcnt lgkmcnt(0)
	s_barrier
	s_and_saveexec_b64 s[2:3], vcc
	s_cbranch_execz .LBB11_151
; %bb.150:
	v_and_b32_e32 v5, 3, v4
	v_lshlrev_b32_e32 v2, 3, v5
	ds_read_b64 v[2:3], v2 offset:32
	v_cmp_ne_u32_e32 vcc, 3, v5
	v_addc_co_u32_e32 v6, vcc, 0, v4, vcc
	v_lshlrev_b32_e32 v6, 2, v6
	s_waitcnt lgkmcnt(0)
	ds_bpermute_b32 v7, v6, v2
	ds_bpermute_b32 v6, v6, v3
	s_waitcnt lgkmcnt(1)
	v_add_co_u32_e32 v2, vcc, v2, v7
	v_addc_co_u32_e32 v3, vcc, 0, v3, vcc
	v_cmp_gt_u32_e32 vcc, 2, v5
	v_cndmask_b32_e64 v5, 0, 1, vcc
	v_lshlrev_b32_e32 v5, 1, v5
	v_add_lshl_u32 v4, v5, v4, 2
	ds_bpermute_b32 v5, v4, v2
	v_add_co_u32_e32 v2, vcc, 0, v2
	s_waitcnt lgkmcnt(1)
	v_addc_co_u32_e32 v3, vcc, v6, v3, vcc
	ds_bpermute_b32 v4, v4, v3
	s_waitcnt lgkmcnt(1)
	v_add_co_u32_e32 v2, vcc, v2, v5
	v_addc_co_u32_e32 v3, vcc, 0, v3, vcc
	v_add_co_u32_e32 v2, vcc, 0, v2
	s_waitcnt lgkmcnt(0)
	v_addc_co_u32_e32 v3, vcc, v3, v4, vcc
.LBB11_151:
	s_or_b64 exec, exec, s[2:3]
.LBB11_152:
	v_cmp_eq_u32_e64 s[0:1], 0, v0
.LBB11_153:
	s_and_saveexec_b64 s[2:3], s[0:1]
	s_cbranch_execz .LBB11_155
.LBB11_154:
	s_lshl_b64 s[0:1], s[6:7], 3
	s_add_u32 s0, s40, s0
	s_addc_u32 s1, s41, s1
	s_cmp_lg_u64 s[38:39], 0
	s_cselect_b64 vcc, -1, 0
	v_cndmask_b32_e32 v0, 0, v2, vcc
	v_cndmask_b32_e32 v1, 0, v3, vcc
	v_mov_b32_e32 v2, s43
	v_add_co_u32_e32 v0, vcc, s42, v0
	v_mov_b32_e32 v4, 0
	v_addc_co_u32_e32 v1, vcc, v1, v2, vcc
	global_store_dwordx2 v4, v[0:1], s[0:1]
.LBB11_155:
	s_endpgm
.LBB11_156:
                                        ; implicit-def: $vgpr2_vgpr3
	s_cbranch_execz .LBB11_152
; %bb.157:
	s_sub_i32 s4, s38, s0
	v_cmp_gt_u32_e32 vcc, s4, v0
                                        ; implicit-def: $vgpr2_vgpr3
	s_and_saveexec_b64 s[2:3], vcc
	s_cbranch_execz .LBB11_159
; %bb.158:
	s_lshl_b64 s[0:1], s[0:1], 3
	s_add_u32 s0, s36, s0
	s_addc_u32 s1, s37, s1
	v_lshlrev_b32_e32 v2, 3, v0
	global_load_dwordx2 v[2:3], v2, s[0:1]
.LBB11_159:
	s_or_b64 exec, exec, s[2:3]
	s_waitcnt lgkmcnt(1)
	v_mbcnt_hi_u32_b32 v5, -1, v1
	v_and_b32_e32 v6, 63, v5
	v_cmp_ne_u32_e32 vcc, 63, v6
	v_addc_co_u32_e32 v4, vcc, 0, v5, vcc
	v_lshlrev_b32_e32 v4, 2, v4
	s_waitcnt vmcnt(0)
	ds_bpermute_b32 v8, v4, v2
	ds_bpermute_b32 v4, v4, v3
	s_min_u32 s4, s4, 0x100
	v_and_b32_e32 v1, 0xc0, v0
	s_waitcnt lgkmcnt(2)
	v_sub_u32_e64 v7, s4, v1 clamp
	s_waitcnt lgkmcnt(1)
	v_add_co_u32_e32 v8, vcc, v2, v8
	v_addc_co_u32_e32 v9, vcc, 0, v3, vcc
	v_add_co_u32_e32 v10, vcc, 0, v8
	v_add_u32_e32 v1, 1, v6
	s_waitcnt lgkmcnt(0)
	v_addc_co_u32_e32 v4, vcc, v4, v9, vcc
	v_cmp_lt_u32_e64 s[0:1], v1, v7
	v_cmp_gt_u32_e32 vcc, 62, v6
	v_cndmask_b32_e64 v1, v2, v8, s[0:1]
	v_cndmask_b32_e64 v8, 0, 1, vcc
	v_lshlrev_b32_e32 v8, 1, v8
	v_add_lshl_u32 v8, v8, v5, 2
	v_cndmask_b32_e64 v4, v3, v4, s[0:1]
	ds_bpermute_b32 v9, v8, v1
	ds_bpermute_b32 v8, v8, v4
	v_cndmask_b32_e64 v10, v2, v10, s[0:1]
	v_add_u32_e32 v11, 2, v6
	v_cmp_gt_u32_e64 s[2:3], 60, v6
	s_waitcnt lgkmcnt(1)
	v_add_co_u32_e32 v9, vcc, v9, v10
	s_waitcnt lgkmcnt(0)
	v_addc_co_u32_e32 v8, vcc, v8, v4, vcc
	v_cmp_lt_u32_e32 vcc, v11, v7
	v_cndmask_b32_e32 v4, v4, v8, vcc
	v_cndmask_b32_e64 v8, 0, 1, s[2:3]
	v_lshlrev_b32_e32 v8, 2, v8
	v_cndmask_b32_e32 v1, v1, v9, vcc
	v_add_lshl_u32 v8, v8, v5, 2
	ds_bpermute_b32 v11, v8, v1
	ds_bpermute_b32 v8, v8, v4
	v_cndmask_b32_e32 v9, v10, v9, vcc
	v_add_u32_e32 v10, 4, v6
	v_cmp_gt_u32_e64 s[2:3], 56, v6
	s_waitcnt lgkmcnt(1)
	v_add_co_u32_e32 v11, vcc, v11, v9
	s_waitcnt lgkmcnt(0)
	v_addc_co_u32_e32 v8, vcc, v8, v4, vcc
	v_cmp_lt_u32_e32 vcc, v10, v7
	v_cndmask_b32_e32 v4, v4, v8, vcc
	v_cndmask_b32_e64 v8, 0, 1, s[2:3]
	v_lshlrev_b32_e32 v8, 3, v8
	v_cndmask_b32_e32 v1, v1, v11, vcc
	v_add_lshl_u32 v8, v8, v5, 2
	ds_bpermute_b32 v10, v8, v1
	ds_bpermute_b32 v8, v8, v4
	v_cndmask_b32_e32 v9, v9, v11, vcc
	v_add_u32_e32 v11, 8, v6
	v_cmp_gt_u32_e64 s[2:3], 48, v6
	s_waitcnt lgkmcnt(1)
	v_add_co_u32_e32 v10, vcc, v10, v9
	s_waitcnt lgkmcnt(0)
	v_addc_co_u32_e32 v8, vcc, v8, v4, vcc
	v_cmp_lt_u32_e32 vcc, v11, v7
	v_cndmask_b32_e32 v11, v1, v10, vcc
	v_cndmask_b32_e32 v1, v4, v8, vcc
	v_cndmask_b32_e64 v4, 0, 1, s[2:3]
	v_lshlrev_b32_e32 v4, 4, v4
	v_add_lshl_u32 v8, v4, v5, 2
	ds_bpermute_b32 v12, v8, v11
	v_cndmask_b32_e32 v4, v9, v10, vcc
	ds_bpermute_b32 v9, v8, v1
	v_add_u32_e32 v10, 16, v6
	v_cmp_gt_u32_e64 s[2:3], 32, v6
	s_waitcnt lgkmcnt(1)
	v_add_co_u32_e32 v8, vcc, v12, v4
	s_waitcnt lgkmcnt(0)
	v_addc_co_u32_e32 v9, vcc, v9, v1, vcc
	v_cmp_lt_u32_e32 vcc, v10, v7
	v_cndmask_b32_e32 v10, v11, v8, vcc
	v_cndmask_b32_e64 v11, 0, 1, s[2:3]
	v_lshlrev_b32_e32 v11, 5, v11
	v_cndmask_b32_e32 v12, v1, v9, vcc
	v_add_lshl_u32 v11, v11, v5, 2
	ds_bpermute_b32 v10, v11, v10
	ds_bpermute_b32 v11, v11, v12
	s_and_saveexec_b64 s[2:3], s[0:1]
	s_cbranch_execz .LBB11_161
; %bb.160:
	v_add_u32_e32 v2, 32, v6
	v_cndmask_b32_e32 v1, v1, v9, vcc
	v_cndmask_b32_e32 v3, v4, v8, vcc
	v_cmp_lt_u32_e32 vcc, v2, v7
	s_waitcnt lgkmcnt(1)
	v_cndmask_b32_e32 v2, 0, v10, vcc
	s_waitcnt lgkmcnt(0)
	v_cndmask_b32_e32 v4, 0, v11, vcc
	v_add_co_u32_e32 v2, vcc, v2, v3
	v_addc_co_u32_e32 v3, vcc, v4, v1, vcc
.LBB11_161:
	s_or_b64 exec, exec, s[2:3]
	v_cmp_eq_u32_e32 vcc, 0, v5
	s_and_saveexec_b64 s[0:1], vcc
	s_cbranch_execz .LBB11_163
; %bb.162:
	v_lshrrev_b32_e32 v1, 3, v0
	v_and_b32_e32 v1, 24, v1
	ds_write_b64 v1, v[2:3] offset:160
.LBB11_163:
	s_or_b64 exec, exec, s[0:1]
	v_cmp_gt_u32_e32 vcc, 4, v0
	s_waitcnt lgkmcnt(0)
	s_barrier
	s_and_saveexec_b64 s[2:3], vcc
	s_cbranch_execz .LBB11_167
; %bb.164:
	v_lshlrev_b32_e32 v1, 3, v5
	ds_read_b64 v[2:3], v1 offset:160
	v_and_b32_e32 v1, 3, v5
	v_cmp_ne_u32_e32 vcc, 3, v1
	v_addc_co_u32_e32 v4, vcc, 0, v5, vcc
	v_lshlrev_b32_e32 v4, 2, v4
	s_waitcnt lgkmcnt(0)
	ds_bpermute_b32 v6, v4, v2
	ds_bpermute_b32 v8, v4, v3
	s_add_i32 s4, s4, 63
	s_lshr_b32 s4, s4, 6
	v_add_u32_e32 v7, 1, v1
	s_waitcnt lgkmcnt(1)
	v_add_co_u32_e32 v9, vcc, v2, v6
	v_addc_co_u32_e32 v6, vcc, 0, v3, vcc
	v_add_co_u32_e32 v4, vcc, 0, v9
	s_waitcnt lgkmcnt(0)
	v_addc_co_u32_e32 v6, vcc, v8, v6, vcc
	v_cmp_gt_u32_e32 vcc, s4, v7
	v_cmp_gt_u32_e64 s[0:1], 2, v1
	v_cndmask_b32_e32 v8, v2, v9, vcc
	v_cndmask_b32_e64 v9, 0, 1, s[0:1]
	v_lshlrev_b32_e32 v9, 1, v9
	v_cndmask_b32_e32 v7, v3, v6, vcc
	v_add_lshl_u32 v9, v9, v5, 2
	ds_bpermute_b32 v5, v9, v8
	ds_bpermute_b32 v7, v9, v7
	s_and_saveexec_b64 s[0:1], vcc
	s_cbranch_execz .LBB11_166
; %bb.165:
	v_add_u32_e32 v1, 2, v1
	v_cmp_gt_u32_e32 vcc, s4, v1
	s_waitcnt lgkmcnt(1)
	v_cndmask_b32_e32 v2, 0, v5, vcc
	s_waitcnt lgkmcnt(0)
	v_cndmask_b32_e32 v1, 0, v7, vcc
	v_add_co_u32_e32 v2, vcc, v2, v4
	v_addc_co_u32_e32 v3, vcc, v1, v6, vcc
.LBB11_166:
	s_or_b64 exec, exec, s[0:1]
.LBB11_167:
	s_or_b64 exec, exec, s[2:3]
	v_cmp_eq_u32_e64 s[0:1], 0, v0
	s_and_saveexec_b64 s[2:3], s[0:1]
	s_cbranch_execnz .LBB11_154
	s_branch .LBB11_155
	.section	.rodata,"a",@progbits
	.p2align	6, 0x0
	.amdhsa_kernel _ZN7rocprim17ROCPRIM_400000_NS6detail17trampoline_kernelINS0_14default_configENS1_22reduce_config_selectorIlEEZNS1_11reduce_implILb1ES3_PlS7_lN6thrust23THRUST_200600_302600_NS4plusIlEEEE10hipError_tPvRmT1_T2_T3_mT4_P12ihipStream_tbEUlT_E1_NS1_11comp_targetILNS1_3genE4ELNS1_11target_archE910ELNS1_3gpuE8ELNS1_3repE0EEENS1_30default_config_static_selectorELNS0_4arch9wavefront6targetE1EEEvSF_
		.amdhsa_group_segment_fixed_size 192
		.amdhsa_private_segment_fixed_size 0
		.amdhsa_kernarg_size 48
		.amdhsa_user_sgpr_count 6
		.amdhsa_user_sgpr_private_segment_buffer 1
		.amdhsa_user_sgpr_dispatch_ptr 0
		.amdhsa_user_sgpr_queue_ptr 0
		.amdhsa_user_sgpr_kernarg_segment_ptr 1
		.amdhsa_user_sgpr_dispatch_id 0
		.amdhsa_user_sgpr_flat_scratch_init 0
		.amdhsa_user_sgpr_kernarg_preload_length 0
		.amdhsa_user_sgpr_kernarg_preload_offset 0
		.amdhsa_user_sgpr_private_segment_size 0
		.amdhsa_uses_dynamic_stack 0
		.amdhsa_system_sgpr_private_segment_wavefront_offset 0
		.amdhsa_system_sgpr_workgroup_id_x 1
		.amdhsa_system_sgpr_workgroup_id_y 0
		.amdhsa_system_sgpr_workgroup_id_z 0
		.amdhsa_system_sgpr_workgroup_info 0
		.amdhsa_system_vgpr_workitem_id 0
		.amdhsa_next_free_vgpr 36
		.amdhsa_next_free_sgpr 47
		.amdhsa_accum_offset 36
		.amdhsa_reserve_vcc 1
		.amdhsa_reserve_flat_scratch 0
		.amdhsa_float_round_mode_32 0
		.amdhsa_float_round_mode_16_64 0
		.amdhsa_float_denorm_mode_32 3
		.amdhsa_float_denorm_mode_16_64 3
		.amdhsa_dx10_clamp 1
		.amdhsa_ieee_mode 1
		.amdhsa_fp16_overflow 0
		.amdhsa_tg_split 0
		.amdhsa_exception_fp_ieee_invalid_op 0
		.amdhsa_exception_fp_denorm_src 0
		.amdhsa_exception_fp_ieee_div_zero 0
		.amdhsa_exception_fp_ieee_overflow 0
		.amdhsa_exception_fp_ieee_underflow 0
		.amdhsa_exception_fp_ieee_inexact 0
		.amdhsa_exception_int_div_zero 0
	.end_amdhsa_kernel
	.section	.text._ZN7rocprim17ROCPRIM_400000_NS6detail17trampoline_kernelINS0_14default_configENS1_22reduce_config_selectorIlEEZNS1_11reduce_implILb1ES3_PlS7_lN6thrust23THRUST_200600_302600_NS4plusIlEEEE10hipError_tPvRmT1_T2_T3_mT4_P12ihipStream_tbEUlT_E1_NS1_11comp_targetILNS1_3genE4ELNS1_11target_archE910ELNS1_3gpuE8ELNS1_3repE0EEENS1_30default_config_static_selectorELNS0_4arch9wavefront6targetE1EEEvSF_,"axG",@progbits,_ZN7rocprim17ROCPRIM_400000_NS6detail17trampoline_kernelINS0_14default_configENS1_22reduce_config_selectorIlEEZNS1_11reduce_implILb1ES3_PlS7_lN6thrust23THRUST_200600_302600_NS4plusIlEEEE10hipError_tPvRmT1_T2_T3_mT4_P12ihipStream_tbEUlT_E1_NS1_11comp_targetILNS1_3genE4ELNS1_11target_archE910ELNS1_3gpuE8ELNS1_3repE0EEENS1_30default_config_static_selectorELNS0_4arch9wavefront6targetE1EEEvSF_,comdat
.Lfunc_end11:
	.size	_ZN7rocprim17ROCPRIM_400000_NS6detail17trampoline_kernelINS0_14default_configENS1_22reduce_config_selectorIlEEZNS1_11reduce_implILb1ES3_PlS7_lN6thrust23THRUST_200600_302600_NS4plusIlEEEE10hipError_tPvRmT1_T2_T3_mT4_P12ihipStream_tbEUlT_E1_NS1_11comp_targetILNS1_3genE4ELNS1_11target_archE910ELNS1_3gpuE8ELNS1_3repE0EEENS1_30default_config_static_selectorELNS0_4arch9wavefront6targetE1EEEvSF_, .Lfunc_end11-_ZN7rocprim17ROCPRIM_400000_NS6detail17trampoline_kernelINS0_14default_configENS1_22reduce_config_selectorIlEEZNS1_11reduce_implILb1ES3_PlS7_lN6thrust23THRUST_200600_302600_NS4plusIlEEEE10hipError_tPvRmT1_T2_T3_mT4_P12ihipStream_tbEUlT_E1_NS1_11comp_targetILNS1_3genE4ELNS1_11target_archE910ELNS1_3gpuE8ELNS1_3repE0EEENS1_30default_config_static_selectorELNS0_4arch9wavefront6targetE1EEEvSF_
                                        ; -- End function
	.section	.AMDGPU.csdata,"",@progbits
; Kernel info:
; codeLenInByte = 9236
; NumSgprs: 51
; NumVgprs: 36
; NumAgprs: 0
; TotalNumVgprs: 36
; ScratchSize: 0
; MemoryBound: 0
; FloatMode: 240
; IeeeMode: 1
; LDSByteSize: 192 bytes/workgroup (compile time only)
; SGPRBlocks: 6
; VGPRBlocks: 4
; NumSGPRsForWavesPerEU: 51
; NumVGPRsForWavesPerEU: 36
; AccumOffset: 36
; Occupancy: 8
; WaveLimiterHint : 1
; COMPUTE_PGM_RSRC2:SCRATCH_EN: 0
; COMPUTE_PGM_RSRC2:USER_SGPR: 6
; COMPUTE_PGM_RSRC2:TRAP_HANDLER: 0
; COMPUTE_PGM_RSRC2:TGID_X_EN: 1
; COMPUTE_PGM_RSRC2:TGID_Y_EN: 0
; COMPUTE_PGM_RSRC2:TGID_Z_EN: 0
; COMPUTE_PGM_RSRC2:TIDIG_COMP_CNT: 0
; COMPUTE_PGM_RSRC3_GFX90A:ACCUM_OFFSET: 8
; COMPUTE_PGM_RSRC3_GFX90A:TG_SPLIT: 0
	.section	.text._ZN7rocprim17ROCPRIM_400000_NS6detail17trampoline_kernelINS0_14default_configENS1_22reduce_config_selectorIlEEZNS1_11reduce_implILb1ES3_PlS7_lN6thrust23THRUST_200600_302600_NS4plusIlEEEE10hipError_tPvRmT1_T2_T3_mT4_P12ihipStream_tbEUlT_E1_NS1_11comp_targetILNS1_3genE3ELNS1_11target_archE908ELNS1_3gpuE7ELNS1_3repE0EEENS1_30default_config_static_selectorELNS0_4arch9wavefront6targetE1EEEvSF_,"axG",@progbits,_ZN7rocprim17ROCPRIM_400000_NS6detail17trampoline_kernelINS0_14default_configENS1_22reduce_config_selectorIlEEZNS1_11reduce_implILb1ES3_PlS7_lN6thrust23THRUST_200600_302600_NS4plusIlEEEE10hipError_tPvRmT1_T2_T3_mT4_P12ihipStream_tbEUlT_E1_NS1_11comp_targetILNS1_3genE3ELNS1_11target_archE908ELNS1_3gpuE7ELNS1_3repE0EEENS1_30default_config_static_selectorELNS0_4arch9wavefront6targetE1EEEvSF_,comdat
	.protected	_ZN7rocprim17ROCPRIM_400000_NS6detail17trampoline_kernelINS0_14default_configENS1_22reduce_config_selectorIlEEZNS1_11reduce_implILb1ES3_PlS7_lN6thrust23THRUST_200600_302600_NS4plusIlEEEE10hipError_tPvRmT1_T2_T3_mT4_P12ihipStream_tbEUlT_E1_NS1_11comp_targetILNS1_3genE3ELNS1_11target_archE908ELNS1_3gpuE7ELNS1_3repE0EEENS1_30default_config_static_selectorELNS0_4arch9wavefront6targetE1EEEvSF_ ; -- Begin function _ZN7rocprim17ROCPRIM_400000_NS6detail17trampoline_kernelINS0_14default_configENS1_22reduce_config_selectorIlEEZNS1_11reduce_implILb1ES3_PlS7_lN6thrust23THRUST_200600_302600_NS4plusIlEEEE10hipError_tPvRmT1_T2_T3_mT4_P12ihipStream_tbEUlT_E1_NS1_11comp_targetILNS1_3genE3ELNS1_11target_archE908ELNS1_3gpuE7ELNS1_3repE0EEENS1_30default_config_static_selectorELNS0_4arch9wavefront6targetE1EEEvSF_
	.globl	_ZN7rocprim17ROCPRIM_400000_NS6detail17trampoline_kernelINS0_14default_configENS1_22reduce_config_selectorIlEEZNS1_11reduce_implILb1ES3_PlS7_lN6thrust23THRUST_200600_302600_NS4plusIlEEEE10hipError_tPvRmT1_T2_T3_mT4_P12ihipStream_tbEUlT_E1_NS1_11comp_targetILNS1_3genE3ELNS1_11target_archE908ELNS1_3gpuE7ELNS1_3repE0EEENS1_30default_config_static_selectorELNS0_4arch9wavefront6targetE1EEEvSF_
	.p2align	8
	.type	_ZN7rocprim17ROCPRIM_400000_NS6detail17trampoline_kernelINS0_14default_configENS1_22reduce_config_selectorIlEEZNS1_11reduce_implILb1ES3_PlS7_lN6thrust23THRUST_200600_302600_NS4plusIlEEEE10hipError_tPvRmT1_T2_T3_mT4_P12ihipStream_tbEUlT_E1_NS1_11comp_targetILNS1_3genE3ELNS1_11target_archE908ELNS1_3gpuE7ELNS1_3repE0EEENS1_30default_config_static_selectorELNS0_4arch9wavefront6targetE1EEEvSF_,@function
_ZN7rocprim17ROCPRIM_400000_NS6detail17trampoline_kernelINS0_14default_configENS1_22reduce_config_selectorIlEEZNS1_11reduce_implILb1ES3_PlS7_lN6thrust23THRUST_200600_302600_NS4plusIlEEEE10hipError_tPvRmT1_T2_T3_mT4_P12ihipStream_tbEUlT_E1_NS1_11comp_targetILNS1_3genE3ELNS1_11target_archE908ELNS1_3gpuE7ELNS1_3repE0EEENS1_30default_config_static_selectorELNS0_4arch9wavefront6targetE1EEEvSF_: ; @_ZN7rocprim17ROCPRIM_400000_NS6detail17trampoline_kernelINS0_14default_configENS1_22reduce_config_selectorIlEEZNS1_11reduce_implILb1ES3_PlS7_lN6thrust23THRUST_200600_302600_NS4plusIlEEEE10hipError_tPvRmT1_T2_T3_mT4_P12ihipStream_tbEUlT_E1_NS1_11comp_targetILNS1_3genE3ELNS1_11target_archE908ELNS1_3gpuE7ELNS1_3repE0EEENS1_30default_config_static_selectorELNS0_4arch9wavefront6targetE1EEEvSF_
; %bb.0:
	.section	.rodata,"a",@progbits
	.p2align	6, 0x0
	.amdhsa_kernel _ZN7rocprim17ROCPRIM_400000_NS6detail17trampoline_kernelINS0_14default_configENS1_22reduce_config_selectorIlEEZNS1_11reduce_implILb1ES3_PlS7_lN6thrust23THRUST_200600_302600_NS4plusIlEEEE10hipError_tPvRmT1_T2_T3_mT4_P12ihipStream_tbEUlT_E1_NS1_11comp_targetILNS1_3genE3ELNS1_11target_archE908ELNS1_3gpuE7ELNS1_3repE0EEENS1_30default_config_static_selectorELNS0_4arch9wavefront6targetE1EEEvSF_
		.amdhsa_group_segment_fixed_size 0
		.amdhsa_private_segment_fixed_size 0
		.amdhsa_kernarg_size 48
		.amdhsa_user_sgpr_count 6
		.amdhsa_user_sgpr_private_segment_buffer 1
		.amdhsa_user_sgpr_dispatch_ptr 0
		.amdhsa_user_sgpr_queue_ptr 0
		.amdhsa_user_sgpr_kernarg_segment_ptr 1
		.amdhsa_user_sgpr_dispatch_id 0
		.amdhsa_user_sgpr_flat_scratch_init 0
		.amdhsa_user_sgpr_kernarg_preload_length 0
		.amdhsa_user_sgpr_kernarg_preload_offset 0
		.amdhsa_user_sgpr_private_segment_size 0
		.amdhsa_uses_dynamic_stack 0
		.amdhsa_system_sgpr_private_segment_wavefront_offset 0
		.amdhsa_system_sgpr_workgroup_id_x 1
		.amdhsa_system_sgpr_workgroup_id_y 0
		.amdhsa_system_sgpr_workgroup_id_z 0
		.amdhsa_system_sgpr_workgroup_info 0
		.amdhsa_system_vgpr_workitem_id 0
		.amdhsa_next_free_vgpr 1
		.amdhsa_next_free_sgpr 0
		.amdhsa_accum_offset 4
		.amdhsa_reserve_vcc 0
		.amdhsa_reserve_flat_scratch 0
		.amdhsa_float_round_mode_32 0
		.amdhsa_float_round_mode_16_64 0
		.amdhsa_float_denorm_mode_32 3
		.amdhsa_float_denorm_mode_16_64 3
		.amdhsa_dx10_clamp 1
		.amdhsa_ieee_mode 1
		.amdhsa_fp16_overflow 0
		.amdhsa_tg_split 0
		.amdhsa_exception_fp_ieee_invalid_op 0
		.amdhsa_exception_fp_denorm_src 0
		.amdhsa_exception_fp_ieee_div_zero 0
		.amdhsa_exception_fp_ieee_overflow 0
		.amdhsa_exception_fp_ieee_underflow 0
		.amdhsa_exception_fp_ieee_inexact 0
		.amdhsa_exception_int_div_zero 0
	.end_amdhsa_kernel
	.section	.text._ZN7rocprim17ROCPRIM_400000_NS6detail17trampoline_kernelINS0_14default_configENS1_22reduce_config_selectorIlEEZNS1_11reduce_implILb1ES3_PlS7_lN6thrust23THRUST_200600_302600_NS4plusIlEEEE10hipError_tPvRmT1_T2_T3_mT4_P12ihipStream_tbEUlT_E1_NS1_11comp_targetILNS1_3genE3ELNS1_11target_archE908ELNS1_3gpuE7ELNS1_3repE0EEENS1_30default_config_static_selectorELNS0_4arch9wavefront6targetE1EEEvSF_,"axG",@progbits,_ZN7rocprim17ROCPRIM_400000_NS6detail17trampoline_kernelINS0_14default_configENS1_22reduce_config_selectorIlEEZNS1_11reduce_implILb1ES3_PlS7_lN6thrust23THRUST_200600_302600_NS4plusIlEEEE10hipError_tPvRmT1_T2_T3_mT4_P12ihipStream_tbEUlT_E1_NS1_11comp_targetILNS1_3genE3ELNS1_11target_archE908ELNS1_3gpuE7ELNS1_3repE0EEENS1_30default_config_static_selectorELNS0_4arch9wavefront6targetE1EEEvSF_,comdat
.Lfunc_end12:
	.size	_ZN7rocprim17ROCPRIM_400000_NS6detail17trampoline_kernelINS0_14default_configENS1_22reduce_config_selectorIlEEZNS1_11reduce_implILb1ES3_PlS7_lN6thrust23THRUST_200600_302600_NS4plusIlEEEE10hipError_tPvRmT1_T2_T3_mT4_P12ihipStream_tbEUlT_E1_NS1_11comp_targetILNS1_3genE3ELNS1_11target_archE908ELNS1_3gpuE7ELNS1_3repE0EEENS1_30default_config_static_selectorELNS0_4arch9wavefront6targetE1EEEvSF_, .Lfunc_end12-_ZN7rocprim17ROCPRIM_400000_NS6detail17trampoline_kernelINS0_14default_configENS1_22reduce_config_selectorIlEEZNS1_11reduce_implILb1ES3_PlS7_lN6thrust23THRUST_200600_302600_NS4plusIlEEEE10hipError_tPvRmT1_T2_T3_mT4_P12ihipStream_tbEUlT_E1_NS1_11comp_targetILNS1_3genE3ELNS1_11target_archE908ELNS1_3gpuE7ELNS1_3repE0EEENS1_30default_config_static_selectorELNS0_4arch9wavefront6targetE1EEEvSF_
                                        ; -- End function
	.section	.AMDGPU.csdata,"",@progbits
; Kernel info:
; codeLenInByte = 0
; NumSgprs: 4
; NumVgprs: 0
; NumAgprs: 0
; TotalNumVgprs: 0
; ScratchSize: 0
; MemoryBound: 0
; FloatMode: 240
; IeeeMode: 1
; LDSByteSize: 0 bytes/workgroup (compile time only)
; SGPRBlocks: 0
; VGPRBlocks: 0
; NumSGPRsForWavesPerEU: 4
; NumVGPRsForWavesPerEU: 1
; AccumOffset: 4
; Occupancy: 8
; WaveLimiterHint : 0
; COMPUTE_PGM_RSRC2:SCRATCH_EN: 0
; COMPUTE_PGM_RSRC2:USER_SGPR: 6
; COMPUTE_PGM_RSRC2:TRAP_HANDLER: 0
; COMPUTE_PGM_RSRC2:TGID_X_EN: 1
; COMPUTE_PGM_RSRC2:TGID_Y_EN: 0
; COMPUTE_PGM_RSRC2:TGID_Z_EN: 0
; COMPUTE_PGM_RSRC2:TIDIG_COMP_CNT: 0
; COMPUTE_PGM_RSRC3_GFX90A:ACCUM_OFFSET: 0
; COMPUTE_PGM_RSRC3_GFX90A:TG_SPLIT: 0
	.section	.text._ZN7rocprim17ROCPRIM_400000_NS6detail17trampoline_kernelINS0_14default_configENS1_22reduce_config_selectorIlEEZNS1_11reduce_implILb1ES3_PlS7_lN6thrust23THRUST_200600_302600_NS4plusIlEEEE10hipError_tPvRmT1_T2_T3_mT4_P12ihipStream_tbEUlT_E1_NS1_11comp_targetILNS1_3genE2ELNS1_11target_archE906ELNS1_3gpuE6ELNS1_3repE0EEENS1_30default_config_static_selectorELNS0_4arch9wavefront6targetE1EEEvSF_,"axG",@progbits,_ZN7rocprim17ROCPRIM_400000_NS6detail17trampoline_kernelINS0_14default_configENS1_22reduce_config_selectorIlEEZNS1_11reduce_implILb1ES3_PlS7_lN6thrust23THRUST_200600_302600_NS4plusIlEEEE10hipError_tPvRmT1_T2_T3_mT4_P12ihipStream_tbEUlT_E1_NS1_11comp_targetILNS1_3genE2ELNS1_11target_archE906ELNS1_3gpuE6ELNS1_3repE0EEENS1_30default_config_static_selectorELNS0_4arch9wavefront6targetE1EEEvSF_,comdat
	.protected	_ZN7rocprim17ROCPRIM_400000_NS6detail17trampoline_kernelINS0_14default_configENS1_22reduce_config_selectorIlEEZNS1_11reduce_implILb1ES3_PlS7_lN6thrust23THRUST_200600_302600_NS4plusIlEEEE10hipError_tPvRmT1_T2_T3_mT4_P12ihipStream_tbEUlT_E1_NS1_11comp_targetILNS1_3genE2ELNS1_11target_archE906ELNS1_3gpuE6ELNS1_3repE0EEENS1_30default_config_static_selectorELNS0_4arch9wavefront6targetE1EEEvSF_ ; -- Begin function _ZN7rocprim17ROCPRIM_400000_NS6detail17trampoline_kernelINS0_14default_configENS1_22reduce_config_selectorIlEEZNS1_11reduce_implILb1ES3_PlS7_lN6thrust23THRUST_200600_302600_NS4plusIlEEEE10hipError_tPvRmT1_T2_T3_mT4_P12ihipStream_tbEUlT_E1_NS1_11comp_targetILNS1_3genE2ELNS1_11target_archE906ELNS1_3gpuE6ELNS1_3repE0EEENS1_30default_config_static_selectorELNS0_4arch9wavefront6targetE1EEEvSF_
	.globl	_ZN7rocprim17ROCPRIM_400000_NS6detail17trampoline_kernelINS0_14default_configENS1_22reduce_config_selectorIlEEZNS1_11reduce_implILb1ES3_PlS7_lN6thrust23THRUST_200600_302600_NS4plusIlEEEE10hipError_tPvRmT1_T2_T3_mT4_P12ihipStream_tbEUlT_E1_NS1_11comp_targetILNS1_3genE2ELNS1_11target_archE906ELNS1_3gpuE6ELNS1_3repE0EEENS1_30default_config_static_selectorELNS0_4arch9wavefront6targetE1EEEvSF_
	.p2align	8
	.type	_ZN7rocprim17ROCPRIM_400000_NS6detail17trampoline_kernelINS0_14default_configENS1_22reduce_config_selectorIlEEZNS1_11reduce_implILb1ES3_PlS7_lN6thrust23THRUST_200600_302600_NS4plusIlEEEE10hipError_tPvRmT1_T2_T3_mT4_P12ihipStream_tbEUlT_E1_NS1_11comp_targetILNS1_3genE2ELNS1_11target_archE906ELNS1_3gpuE6ELNS1_3repE0EEENS1_30default_config_static_selectorELNS0_4arch9wavefront6targetE1EEEvSF_,@function
_ZN7rocprim17ROCPRIM_400000_NS6detail17trampoline_kernelINS0_14default_configENS1_22reduce_config_selectorIlEEZNS1_11reduce_implILb1ES3_PlS7_lN6thrust23THRUST_200600_302600_NS4plusIlEEEE10hipError_tPvRmT1_T2_T3_mT4_P12ihipStream_tbEUlT_E1_NS1_11comp_targetILNS1_3genE2ELNS1_11target_archE906ELNS1_3gpuE6ELNS1_3repE0EEENS1_30default_config_static_selectorELNS0_4arch9wavefront6targetE1EEEvSF_: ; @_ZN7rocprim17ROCPRIM_400000_NS6detail17trampoline_kernelINS0_14default_configENS1_22reduce_config_selectorIlEEZNS1_11reduce_implILb1ES3_PlS7_lN6thrust23THRUST_200600_302600_NS4plusIlEEEE10hipError_tPvRmT1_T2_T3_mT4_P12ihipStream_tbEUlT_E1_NS1_11comp_targetILNS1_3genE2ELNS1_11target_archE906ELNS1_3gpuE6ELNS1_3repE0EEENS1_30default_config_static_selectorELNS0_4arch9wavefront6targetE1EEEvSF_
; %bb.0:
	.section	.rodata,"a",@progbits
	.p2align	6, 0x0
	.amdhsa_kernel _ZN7rocprim17ROCPRIM_400000_NS6detail17trampoline_kernelINS0_14default_configENS1_22reduce_config_selectorIlEEZNS1_11reduce_implILb1ES3_PlS7_lN6thrust23THRUST_200600_302600_NS4plusIlEEEE10hipError_tPvRmT1_T2_T3_mT4_P12ihipStream_tbEUlT_E1_NS1_11comp_targetILNS1_3genE2ELNS1_11target_archE906ELNS1_3gpuE6ELNS1_3repE0EEENS1_30default_config_static_selectorELNS0_4arch9wavefront6targetE1EEEvSF_
		.amdhsa_group_segment_fixed_size 0
		.amdhsa_private_segment_fixed_size 0
		.amdhsa_kernarg_size 48
		.amdhsa_user_sgpr_count 6
		.amdhsa_user_sgpr_private_segment_buffer 1
		.amdhsa_user_sgpr_dispatch_ptr 0
		.amdhsa_user_sgpr_queue_ptr 0
		.amdhsa_user_sgpr_kernarg_segment_ptr 1
		.amdhsa_user_sgpr_dispatch_id 0
		.amdhsa_user_sgpr_flat_scratch_init 0
		.amdhsa_user_sgpr_kernarg_preload_length 0
		.amdhsa_user_sgpr_kernarg_preload_offset 0
		.amdhsa_user_sgpr_private_segment_size 0
		.amdhsa_uses_dynamic_stack 0
		.amdhsa_system_sgpr_private_segment_wavefront_offset 0
		.amdhsa_system_sgpr_workgroup_id_x 1
		.amdhsa_system_sgpr_workgroup_id_y 0
		.amdhsa_system_sgpr_workgroup_id_z 0
		.amdhsa_system_sgpr_workgroup_info 0
		.amdhsa_system_vgpr_workitem_id 0
		.amdhsa_next_free_vgpr 1
		.amdhsa_next_free_sgpr 0
		.amdhsa_accum_offset 4
		.amdhsa_reserve_vcc 0
		.amdhsa_reserve_flat_scratch 0
		.amdhsa_float_round_mode_32 0
		.amdhsa_float_round_mode_16_64 0
		.amdhsa_float_denorm_mode_32 3
		.amdhsa_float_denorm_mode_16_64 3
		.amdhsa_dx10_clamp 1
		.amdhsa_ieee_mode 1
		.amdhsa_fp16_overflow 0
		.amdhsa_tg_split 0
		.amdhsa_exception_fp_ieee_invalid_op 0
		.amdhsa_exception_fp_denorm_src 0
		.amdhsa_exception_fp_ieee_div_zero 0
		.amdhsa_exception_fp_ieee_overflow 0
		.amdhsa_exception_fp_ieee_underflow 0
		.amdhsa_exception_fp_ieee_inexact 0
		.amdhsa_exception_int_div_zero 0
	.end_amdhsa_kernel
	.section	.text._ZN7rocprim17ROCPRIM_400000_NS6detail17trampoline_kernelINS0_14default_configENS1_22reduce_config_selectorIlEEZNS1_11reduce_implILb1ES3_PlS7_lN6thrust23THRUST_200600_302600_NS4plusIlEEEE10hipError_tPvRmT1_T2_T3_mT4_P12ihipStream_tbEUlT_E1_NS1_11comp_targetILNS1_3genE2ELNS1_11target_archE906ELNS1_3gpuE6ELNS1_3repE0EEENS1_30default_config_static_selectorELNS0_4arch9wavefront6targetE1EEEvSF_,"axG",@progbits,_ZN7rocprim17ROCPRIM_400000_NS6detail17trampoline_kernelINS0_14default_configENS1_22reduce_config_selectorIlEEZNS1_11reduce_implILb1ES3_PlS7_lN6thrust23THRUST_200600_302600_NS4plusIlEEEE10hipError_tPvRmT1_T2_T3_mT4_P12ihipStream_tbEUlT_E1_NS1_11comp_targetILNS1_3genE2ELNS1_11target_archE906ELNS1_3gpuE6ELNS1_3repE0EEENS1_30default_config_static_selectorELNS0_4arch9wavefront6targetE1EEEvSF_,comdat
.Lfunc_end13:
	.size	_ZN7rocprim17ROCPRIM_400000_NS6detail17trampoline_kernelINS0_14default_configENS1_22reduce_config_selectorIlEEZNS1_11reduce_implILb1ES3_PlS7_lN6thrust23THRUST_200600_302600_NS4plusIlEEEE10hipError_tPvRmT1_T2_T3_mT4_P12ihipStream_tbEUlT_E1_NS1_11comp_targetILNS1_3genE2ELNS1_11target_archE906ELNS1_3gpuE6ELNS1_3repE0EEENS1_30default_config_static_selectorELNS0_4arch9wavefront6targetE1EEEvSF_, .Lfunc_end13-_ZN7rocprim17ROCPRIM_400000_NS6detail17trampoline_kernelINS0_14default_configENS1_22reduce_config_selectorIlEEZNS1_11reduce_implILb1ES3_PlS7_lN6thrust23THRUST_200600_302600_NS4plusIlEEEE10hipError_tPvRmT1_T2_T3_mT4_P12ihipStream_tbEUlT_E1_NS1_11comp_targetILNS1_3genE2ELNS1_11target_archE906ELNS1_3gpuE6ELNS1_3repE0EEENS1_30default_config_static_selectorELNS0_4arch9wavefront6targetE1EEEvSF_
                                        ; -- End function
	.section	.AMDGPU.csdata,"",@progbits
; Kernel info:
; codeLenInByte = 0
; NumSgprs: 4
; NumVgprs: 0
; NumAgprs: 0
; TotalNumVgprs: 0
; ScratchSize: 0
; MemoryBound: 0
; FloatMode: 240
; IeeeMode: 1
; LDSByteSize: 0 bytes/workgroup (compile time only)
; SGPRBlocks: 0
; VGPRBlocks: 0
; NumSGPRsForWavesPerEU: 4
; NumVGPRsForWavesPerEU: 1
; AccumOffset: 4
; Occupancy: 8
; WaveLimiterHint : 0
; COMPUTE_PGM_RSRC2:SCRATCH_EN: 0
; COMPUTE_PGM_RSRC2:USER_SGPR: 6
; COMPUTE_PGM_RSRC2:TRAP_HANDLER: 0
; COMPUTE_PGM_RSRC2:TGID_X_EN: 1
; COMPUTE_PGM_RSRC2:TGID_Y_EN: 0
; COMPUTE_PGM_RSRC2:TGID_Z_EN: 0
; COMPUTE_PGM_RSRC2:TIDIG_COMP_CNT: 0
; COMPUTE_PGM_RSRC3_GFX90A:ACCUM_OFFSET: 0
; COMPUTE_PGM_RSRC3_GFX90A:TG_SPLIT: 0
	.section	.text._ZN7rocprim17ROCPRIM_400000_NS6detail17trampoline_kernelINS0_14default_configENS1_22reduce_config_selectorIlEEZNS1_11reduce_implILb1ES3_PlS7_lN6thrust23THRUST_200600_302600_NS4plusIlEEEE10hipError_tPvRmT1_T2_T3_mT4_P12ihipStream_tbEUlT_E1_NS1_11comp_targetILNS1_3genE10ELNS1_11target_archE1201ELNS1_3gpuE5ELNS1_3repE0EEENS1_30default_config_static_selectorELNS0_4arch9wavefront6targetE1EEEvSF_,"axG",@progbits,_ZN7rocprim17ROCPRIM_400000_NS6detail17trampoline_kernelINS0_14default_configENS1_22reduce_config_selectorIlEEZNS1_11reduce_implILb1ES3_PlS7_lN6thrust23THRUST_200600_302600_NS4plusIlEEEE10hipError_tPvRmT1_T2_T3_mT4_P12ihipStream_tbEUlT_E1_NS1_11comp_targetILNS1_3genE10ELNS1_11target_archE1201ELNS1_3gpuE5ELNS1_3repE0EEENS1_30default_config_static_selectorELNS0_4arch9wavefront6targetE1EEEvSF_,comdat
	.protected	_ZN7rocprim17ROCPRIM_400000_NS6detail17trampoline_kernelINS0_14default_configENS1_22reduce_config_selectorIlEEZNS1_11reduce_implILb1ES3_PlS7_lN6thrust23THRUST_200600_302600_NS4plusIlEEEE10hipError_tPvRmT1_T2_T3_mT4_P12ihipStream_tbEUlT_E1_NS1_11comp_targetILNS1_3genE10ELNS1_11target_archE1201ELNS1_3gpuE5ELNS1_3repE0EEENS1_30default_config_static_selectorELNS0_4arch9wavefront6targetE1EEEvSF_ ; -- Begin function _ZN7rocprim17ROCPRIM_400000_NS6detail17trampoline_kernelINS0_14default_configENS1_22reduce_config_selectorIlEEZNS1_11reduce_implILb1ES3_PlS7_lN6thrust23THRUST_200600_302600_NS4plusIlEEEE10hipError_tPvRmT1_T2_T3_mT4_P12ihipStream_tbEUlT_E1_NS1_11comp_targetILNS1_3genE10ELNS1_11target_archE1201ELNS1_3gpuE5ELNS1_3repE0EEENS1_30default_config_static_selectorELNS0_4arch9wavefront6targetE1EEEvSF_
	.globl	_ZN7rocprim17ROCPRIM_400000_NS6detail17trampoline_kernelINS0_14default_configENS1_22reduce_config_selectorIlEEZNS1_11reduce_implILb1ES3_PlS7_lN6thrust23THRUST_200600_302600_NS4plusIlEEEE10hipError_tPvRmT1_T2_T3_mT4_P12ihipStream_tbEUlT_E1_NS1_11comp_targetILNS1_3genE10ELNS1_11target_archE1201ELNS1_3gpuE5ELNS1_3repE0EEENS1_30default_config_static_selectorELNS0_4arch9wavefront6targetE1EEEvSF_
	.p2align	8
	.type	_ZN7rocprim17ROCPRIM_400000_NS6detail17trampoline_kernelINS0_14default_configENS1_22reduce_config_selectorIlEEZNS1_11reduce_implILb1ES3_PlS7_lN6thrust23THRUST_200600_302600_NS4plusIlEEEE10hipError_tPvRmT1_T2_T3_mT4_P12ihipStream_tbEUlT_E1_NS1_11comp_targetILNS1_3genE10ELNS1_11target_archE1201ELNS1_3gpuE5ELNS1_3repE0EEENS1_30default_config_static_selectorELNS0_4arch9wavefront6targetE1EEEvSF_,@function
_ZN7rocprim17ROCPRIM_400000_NS6detail17trampoline_kernelINS0_14default_configENS1_22reduce_config_selectorIlEEZNS1_11reduce_implILb1ES3_PlS7_lN6thrust23THRUST_200600_302600_NS4plusIlEEEE10hipError_tPvRmT1_T2_T3_mT4_P12ihipStream_tbEUlT_E1_NS1_11comp_targetILNS1_3genE10ELNS1_11target_archE1201ELNS1_3gpuE5ELNS1_3repE0EEENS1_30default_config_static_selectorELNS0_4arch9wavefront6targetE1EEEvSF_: ; @_ZN7rocprim17ROCPRIM_400000_NS6detail17trampoline_kernelINS0_14default_configENS1_22reduce_config_selectorIlEEZNS1_11reduce_implILb1ES3_PlS7_lN6thrust23THRUST_200600_302600_NS4plusIlEEEE10hipError_tPvRmT1_T2_T3_mT4_P12ihipStream_tbEUlT_E1_NS1_11comp_targetILNS1_3genE10ELNS1_11target_archE1201ELNS1_3gpuE5ELNS1_3repE0EEENS1_30default_config_static_selectorELNS0_4arch9wavefront6targetE1EEEvSF_
; %bb.0:
	.section	.rodata,"a",@progbits
	.p2align	6, 0x0
	.amdhsa_kernel _ZN7rocprim17ROCPRIM_400000_NS6detail17trampoline_kernelINS0_14default_configENS1_22reduce_config_selectorIlEEZNS1_11reduce_implILb1ES3_PlS7_lN6thrust23THRUST_200600_302600_NS4plusIlEEEE10hipError_tPvRmT1_T2_T3_mT4_P12ihipStream_tbEUlT_E1_NS1_11comp_targetILNS1_3genE10ELNS1_11target_archE1201ELNS1_3gpuE5ELNS1_3repE0EEENS1_30default_config_static_selectorELNS0_4arch9wavefront6targetE1EEEvSF_
		.amdhsa_group_segment_fixed_size 0
		.amdhsa_private_segment_fixed_size 0
		.amdhsa_kernarg_size 48
		.amdhsa_user_sgpr_count 6
		.amdhsa_user_sgpr_private_segment_buffer 1
		.amdhsa_user_sgpr_dispatch_ptr 0
		.amdhsa_user_sgpr_queue_ptr 0
		.amdhsa_user_sgpr_kernarg_segment_ptr 1
		.amdhsa_user_sgpr_dispatch_id 0
		.amdhsa_user_sgpr_flat_scratch_init 0
		.amdhsa_user_sgpr_kernarg_preload_length 0
		.amdhsa_user_sgpr_kernarg_preload_offset 0
		.amdhsa_user_sgpr_private_segment_size 0
		.amdhsa_uses_dynamic_stack 0
		.amdhsa_system_sgpr_private_segment_wavefront_offset 0
		.amdhsa_system_sgpr_workgroup_id_x 1
		.amdhsa_system_sgpr_workgroup_id_y 0
		.amdhsa_system_sgpr_workgroup_id_z 0
		.amdhsa_system_sgpr_workgroup_info 0
		.amdhsa_system_vgpr_workitem_id 0
		.amdhsa_next_free_vgpr 1
		.amdhsa_next_free_sgpr 0
		.amdhsa_accum_offset 4
		.amdhsa_reserve_vcc 0
		.amdhsa_reserve_flat_scratch 0
		.amdhsa_float_round_mode_32 0
		.amdhsa_float_round_mode_16_64 0
		.amdhsa_float_denorm_mode_32 3
		.amdhsa_float_denorm_mode_16_64 3
		.amdhsa_dx10_clamp 1
		.amdhsa_ieee_mode 1
		.amdhsa_fp16_overflow 0
		.amdhsa_tg_split 0
		.amdhsa_exception_fp_ieee_invalid_op 0
		.amdhsa_exception_fp_denorm_src 0
		.amdhsa_exception_fp_ieee_div_zero 0
		.amdhsa_exception_fp_ieee_overflow 0
		.amdhsa_exception_fp_ieee_underflow 0
		.amdhsa_exception_fp_ieee_inexact 0
		.amdhsa_exception_int_div_zero 0
	.end_amdhsa_kernel
	.section	.text._ZN7rocprim17ROCPRIM_400000_NS6detail17trampoline_kernelINS0_14default_configENS1_22reduce_config_selectorIlEEZNS1_11reduce_implILb1ES3_PlS7_lN6thrust23THRUST_200600_302600_NS4plusIlEEEE10hipError_tPvRmT1_T2_T3_mT4_P12ihipStream_tbEUlT_E1_NS1_11comp_targetILNS1_3genE10ELNS1_11target_archE1201ELNS1_3gpuE5ELNS1_3repE0EEENS1_30default_config_static_selectorELNS0_4arch9wavefront6targetE1EEEvSF_,"axG",@progbits,_ZN7rocprim17ROCPRIM_400000_NS6detail17trampoline_kernelINS0_14default_configENS1_22reduce_config_selectorIlEEZNS1_11reduce_implILb1ES3_PlS7_lN6thrust23THRUST_200600_302600_NS4plusIlEEEE10hipError_tPvRmT1_T2_T3_mT4_P12ihipStream_tbEUlT_E1_NS1_11comp_targetILNS1_3genE10ELNS1_11target_archE1201ELNS1_3gpuE5ELNS1_3repE0EEENS1_30default_config_static_selectorELNS0_4arch9wavefront6targetE1EEEvSF_,comdat
.Lfunc_end14:
	.size	_ZN7rocprim17ROCPRIM_400000_NS6detail17trampoline_kernelINS0_14default_configENS1_22reduce_config_selectorIlEEZNS1_11reduce_implILb1ES3_PlS7_lN6thrust23THRUST_200600_302600_NS4plusIlEEEE10hipError_tPvRmT1_T2_T3_mT4_P12ihipStream_tbEUlT_E1_NS1_11comp_targetILNS1_3genE10ELNS1_11target_archE1201ELNS1_3gpuE5ELNS1_3repE0EEENS1_30default_config_static_selectorELNS0_4arch9wavefront6targetE1EEEvSF_, .Lfunc_end14-_ZN7rocprim17ROCPRIM_400000_NS6detail17trampoline_kernelINS0_14default_configENS1_22reduce_config_selectorIlEEZNS1_11reduce_implILb1ES3_PlS7_lN6thrust23THRUST_200600_302600_NS4plusIlEEEE10hipError_tPvRmT1_T2_T3_mT4_P12ihipStream_tbEUlT_E1_NS1_11comp_targetILNS1_3genE10ELNS1_11target_archE1201ELNS1_3gpuE5ELNS1_3repE0EEENS1_30default_config_static_selectorELNS0_4arch9wavefront6targetE1EEEvSF_
                                        ; -- End function
	.section	.AMDGPU.csdata,"",@progbits
; Kernel info:
; codeLenInByte = 0
; NumSgprs: 4
; NumVgprs: 0
; NumAgprs: 0
; TotalNumVgprs: 0
; ScratchSize: 0
; MemoryBound: 0
; FloatMode: 240
; IeeeMode: 1
; LDSByteSize: 0 bytes/workgroup (compile time only)
; SGPRBlocks: 0
; VGPRBlocks: 0
; NumSGPRsForWavesPerEU: 4
; NumVGPRsForWavesPerEU: 1
; AccumOffset: 4
; Occupancy: 8
; WaveLimiterHint : 0
; COMPUTE_PGM_RSRC2:SCRATCH_EN: 0
; COMPUTE_PGM_RSRC2:USER_SGPR: 6
; COMPUTE_PGM_RSRC2:TRAP_HANDLER: 0
; COMPUTE_PGM_RSRC2:TGID_X_EN: 1
; COMPUTE_PGM_RSRC2:TGID_Y_EN: 0
; COMPUTE_PGM_RSRC2:TGID_Z_EN: 0
; COMPUTE_PGM_RSRC2:TIDIG_COMP_CNT: 0
; COMPUTE_PGM_RSRC3_GFX90A:ACCUM_OFFSET: 0
; COMPUTE_PGM_RSRC3_GFX90A:TG_SPLIT: 0
	.section	.text._ZN7rocprim17ROCPRIM_400000_NS6detail17trampoline_kernelINS0_14default_configENS1_22reduce_config_selectorIlEEZNS1_11reduce_implILb1ES3_PlS7_lN6thrust23THRUST_200600_302600_NS4plusIlEEEE10hipError_tPvRmT1_T2_T3_mT4_P12ihipStream_tbEUlT_E1_NS1_11comp_targetILNS1_3genE10ELNS1_11target_archE1200ELNS1_3gpuE4ELNS1_3repE0EEENS1_30default_config_static_selectorELNS0_4arch9wavefront6targetE1EEEvSF_,"axG",@progbits,_ZN7rocprim17ROCPRIM_400000_NS6detail17trampoline_kernelINS0_14default_configENS1_22reduce_config_selectorIlEEZNS1_11reduce_implILb1ES3_PlS7_lN6thrust23THRUST_200600_302600_NS4plusIlEEEE10hipError_tPvRmT1_T2_T3_mT4_P12ihipStream_tbEUlT_E1_NS1_11comp_targetILNS1_3genE10ELNS1_11target_archE1200ELNS1_3gpuE4ELNS1_3repE0EEENS1_30default_config_static_selectorELNS0_4arch9wavefront6targetE1EEEvSF_,comdat
	.protected	_ZN7rocprim17ROCPRIM_400000_NS6detail17trampoline_kernelINS0_14default_configENS1_22reduce_config_selectorIlEEZNS1_11reduce_implILb1ES3_PlS7_lN6thrust23THRUST_200600_302600_NS4plusIlEEEE10hipError_tPvRmT1_T2_T3_mT4_P12ihipStream_tbEUlT_E1_NS1_11comp_targetILNS1_3genE10ELNS1_11target_archE1200ELNS1_3gpuE4ELNS1_3repE0EEENS1_30default_config_static_selectorELNS0_4arch9wavefront6targetE1EEEvSF_ ; -- Begin function _ZN7rocprim17ROCPRIM_400000_NS6detail17trampoline_kernelINS0_14default_configENS1_22reduce_config_selectorIlEEZNS1_11reduce_implILb1ES3_PlS7_lN6thrust23THRUST_200600_302600_NS4plusIlEEEE10hipError_tPvRmT1_T2_T3_mT4_P12ihipStream_tbEUlT_E1_NS1_11comp_targetILNS1_3genE10ELNS1_11target_archE1200ELNS1_3gpuE4ELNS1_3repE0EEENS1_30default_config_static_selectorELNS0_4arch9wavefront6targetE1EEEvSF_
	.globl	_ZN7rocprim17ROCPRIM_400000_NS6detail17trampoline_kernelINS0_14default_configENS1_22reduce_config_selectorIlEEZNS1_11reduce_implILb1ES3_PlS7_lN6thrust23THRUST_200600_302600_NS4plusIlEEEE10hipError_tPvRmT1_T2_T3_mT4_P12ihipStream_tbEUlT_E1_NS1_11comp_targetILNS1_3genE10ELNS1_11target_archE1200ELNS1_3gpuE4ELNS1_3repE0EEENS1_30default_config_static_selectorELNS0_4arch9wavefront6targetE1EEEvSF_
	.p2align	8
	.type	_ZN7rocprim17ROCPRIM_400000_NS6detail17trampoline_kernelINS0_14default_configENS1_22reduce_config_selectorIlEEZNS1_11reduce_implILb1ES3_PlS7_lN6thrust23THRUST_200600_302600_NS4plusIlEEEE10hipError_tPvRmT1_T2_T3_mT4_P12ihipStream_tbEUlT_E1_NS1_11comp_targetILNS1_3genE10ELNS1_11target_archE1200ELNS1_3gpuE4ELNS1_3repE0EEENS1_30default_config_static_selectorELNS0_4arch9wavefront6targetE1EEEvSF_,@function
_ZN7rocprim17ROCPRIM_400000_NS6detail17trampoline_kernelINS0_14default_configENS1_22reduce_config_selectorIlEEZNS1_11reduce_implILb1ES3_PlS7_lN6thrust23THRUST_200600_302600_NS4plusIlEEEE10hipError_tPvRmT1_T2_T3_mT4_P12ihipStream_tbEUlT_E1_NS1_11comp_targetILNS1_3genE10ELNS1_11target_archE1200ELNS1_3gpuE4ELNS1_3repE0EEENS1_30default_config_static_selectorELNS0_4arch9wavefront6targetE1EEEvSF_: ; @_ZN7rocprim17ROCPRIM_400000_NS6detail17trampoline_kernelINS0_14default_configENS1_22reduce_config_selectorIlEEZNS1_11reduce_implILb1ES3_PlS7_lN6thrust23THRUST_200600_302600_NS4plusIlEEEE10hipError_tPvRmT1_T2_T3_mT4_P12ihipStream_tbEUlT_E1_NS1_11comp_targetILNS1_3genE10ELNS1_11target_archE1200ELNS1_3gpuE4ELNS1_3repE0EEENS1_30default_config_static_selectorELNS0_4arch9wavefront6targetE1EEEvSF_
; %bb.0:
	.section	.rodata,"a",@progbits
	.p2align	6, 0x0
	.amdhsa_kernel _ZN7rocprim17ROCPRIM_400000_NS6detail17trampoline_kernelINS0_14default_configENS1_22reduce_config_selectorIlEEZNS1_11reduce_implILb1ES3_PlS7_lN6thrust23THRUST_200600_302600_NS4plusIlEEEE10hipError_tPvRmT1_T2_T3_mT4_P12ihipStream_tbEUlT_E1_NS1_11comp_targetILNS1_3genE10ELNS1_11target_archE1200ELNS1_3gpuE4ELNS1_3repE0EEENS1_30default_config_static_selectorELNS0_4arch9wavefront6targetE1EEEvSF_
		.amdhsa_group_segment_fixed_size 0
		.amdhsa_private_segment_fixed_size 0
		.amdhsa_kernarg_size 48
		.amdhsa_user_sgpr_count 6
		.amdhsa_user_sgpr_private_segment_buffer 1
		.amdhsa_user_sgpr_dispatch_ptr 0
		.amdhsa_user_sgpr_queue_ptr 0
		.amdhsa_user_sgpr_kernarg_segment_ptr 1
		.amdhsa_user_sgpr_dispatch_id 0
		.amdhsa_user_sgpr_flat_scratch_init 0
		.amdhsa_user_sgpr_kernarg_preload_length 0
		.amdhsa_user_sgpr_kernarg_preload_offset 0
		.amdhsa_user_sgpr_private_segment_size 0
		.amdhsa_uses_dynamic_stack 0
		.amdhsa_system_sgpr_private_segment_wavefront_offset 0
		.amdhsa_system_sgpr_workgroup_id_x 1
		.amdhsa_system_sgpr_workgroup_id_y 0
		.amdhsa_system_sgpr_workgroup_id_z 0
		.amdhsa_system_sgpr_workgroup_info 0
		.amdhsa_system_vgpr_workitem_id 0
		.amdhsa_next_free_vgpr 1
		.amdhsa_next_free_sgpr 0
		.amdhsa_accum_offset 4
		.amdhsa_reserve_vcc 0
		.amdhsa_reserve_flat_scratch 0
		.amdhsa_float_round_mode_32 0
		.amdhsa_float_round_mode_16_64 0
		.amdhsa_float_denorm_mode_32 3
		.amdhsa_float_denorm_mode_16_64 3
		.amdhsa_dx10_clamp 1
		.amdhsa_ieee_mode 1
		.amdhsa_fp16_overflow 0
		.amdhsa_tg_split 0
		.amdhsa_exception_fp_ieee_invalid_op 0
		.amdhsa_exception_fp_denorm_src 0
		.amdhsa_exception_fp_ieee_div_zero 0
		.amdhsa_exception_fp_ieee_overflow 0
		.amdhsa_exception_fp_ieee_underflow 0
		.amdhsa_exception_fp_ieee_inexact 0
		.amdhsa_exception_int_div_zero 0
	.end_amdhsa_kernel
	.section	.text._ZN7rocprim17ROCPRIM_400000_NS6detail17trampoline_kernelINS0_14default_configENS1_22reduce_config_selectorIlEEZNS1_11reduce_implILb1ES3_PlS7_lN6thrust23THRUST_200600_302600_NS4plusIlEEEE10hipError_tPvRmT1_T2_T3_mT4_P12ihipStream_tbEUlT_E1_NS1_11comp_targetILNS1_3genE10ELNS1_11target_archE1200ELNS1_3gpuE4ELNS1_3repE0EEENS1_30default_config_static_selectorELNS0_4arch9wavefront6targetE1EEEvSF_,"axG",@progbits,_ZN7rocprim17ROCPRIM_400000_NS6detail17trampoline_kernelINS0_14default_configENS1_22reduce_config_selectorIlEEZNS1_11reduce_implILb1ES3_PlS7_lN6thrust23THRUST_200600_302600_NS4plusIlEEEE10hipError_tPvRmT1_T2_T3_mT4_P12ihipStream_tbEUlT_E1_NS1_11comp_targetILNS1_3genE10ELNS1_11target_archE1200ELNS1_3gpuE4ELNS1_3repE0EEENS1_30default_config_static_selectorELNS0_4arch9wavefront6targetE1EEEvSF_,comdat
.Lfunc_end15:
	.size	_ZN7rocprim17ROCPRIM_400000_NS6detail17trampoline_kernelINS0_14default_configENS1_22reduce_config_selectorIlEEZNS1_11reduce_implILb1ES3_PlS7_lN6thrust23THRUST_200600_302600_NS4plusIlEEEE10hipError_tPvRmT1_T2_T3_mT4_P12ihipStream_tbEUlT_E1_NS1_11comp_targetILNS1_3genE10ELNS1_11target_archE1200ELNS1_3gpuE4ELNS1_3repE0EEENS1_30default_config_static_selectorELNS0_4arch9wavefront6targetE1EEEvSF_, .Lfunc_end15-_ZN7rocprim17ROCPRIM_400000_NS6detail17trampoline_kernelINS0_14default_configENS1_22reduce_config_selectorIlEEZNS1_11reduce_implILb1ES3_PlS7_lN6thrust23THRUST_200600_302600_NS4plusIlEEEE10hipError_tPvRmT1_T2_T3_mT4_P12ihipStream_tbEUlT_E1_NS1_11comp_targetILNS1_3genE10ELNS1_11target_archE1200ELNS1_3gpuE4ELNS1_3repE0EEENS1_30default_config_static_selectorELNS0_4arch9wavefront6targetE1EEEvSF_
                                        ; -- End function
	.section	.AMDGPU.csdata,"",@progbits
; Kernel info:
; codeLenInByte = 0
; NumSgprs: 4
; NumVgprs: 0
; NumAgprs: 0
; TotalNumVgprs: 0
; ScratchSize: 0
; MemoryBound: 0
; FloatMode: 240
; IeeeMode: 1
; LDSByteSize: 0 bytes/workgroup (compile time only)
; SGPRBlocks: 0
; VGPRBlocks: 0
; NumSGPRsForWavesPerEU: 4
; NumVGPRsForWavesPerEU: 1
; AccumOffset: 4
; Occupancy: 8
; WaveLimiterHint : 0
; COMPUTE_PGM_RSRC2:SCRATCH_EN: 0
; COMPUTE_PGM_RSRC2:USER_SGPR: 6
; COMPUTE_PGM_RSRC2:TRAP_HANDLER: 0
; COMPUTE_PGM_RSRC2:TGID_X_EN: 1
; COMPUTE_PGM_RSRC2:TGID_Y_EN: 0
; COMPUTE_PGM_RSRC2:TGID_Z_EN: 0
; COMPUTE_PGM_RSRC2:TIDIG_COMP_CNT: 0
; COMPUTE_PGM_RSRC3_GFX90A:ACCUM_OFFSET: 0
; COMPUTE_PGM_RSRC3_GFX90A:TG_SPLIT: 0
	.section	.text._ZN7rocprim17ROCPRIM_400000_NS6detail17trampoline_kernelINS0_14default_configENS1_22reduce_config_selectorIlEEZNS1_11reduce_implILb1ES3_PlS7_lN6thrust23THRUST_200600_302600_NS4plusIlEEEE10hipError_tPvRmT1_T2_T3_mT4_P12ihipStream_tbEUlT_E1_NS1_11comp_targetILNS1_3genE9ELNS1_11target_archE1100ELNS1_3gpuE3ELNS1_3repE0EEENS1_30default_config_static_selectorELNS0_4arch9wavefront6targetE1EEEvSF_,"axG",@progbits,_ZN7rocprim17ROCPRIM_400000_NS6detail17trampoline_kernelINS0_14default_configENS1_22reduce_config_selectorIlEEZNS1_11reduce_implILb1ES3_PlS7_lN6thrust23THRUST_200600_302600_NS4plusIlEEEE10hipError_tPvRmT1_T2_T3_mT4_P12ihipStream_tbEUlT_E1_NS1_11comp_targetILNS1_3genE9ELNS1_11target_archE1100ELNS1_3gpuE3ELNS1_3repE0EEENS1_30default_config_static_selectorELNS0_4arch9wavefront6targetE1EEEvSF_,comdat
	.protected	_ZN7rocprim17ROCPRIM_400000_NS6detail17trampoline_kernelINS0_14default_configENS1_22reduce_config_selectorIlEEZNS1_11reduce_implILb1ES3_PlS7_lN6thrust23THRUST_200600_302600_NS4plusIlEEEE10hipError_tPvRmT1_T2_T3_mT4_P12ihipStream_tbEUlT_E1_NS1_11comp_targetILNS1_3genE9ELNS1_11target_archE1100ELNS1_3gpuE3ELNS1_3repE0EEENS1_30default_config_static_selectorELNS0_4arch9wavefront6targetE1EEEvSF_ ; -- Begin function _ZN7rocprim17ROCPRIM_400000_NS6detail17trampoline_kernelINS0_14default_configENS1_22reduce_config_selectorIlEEZNS1_11reduce_implILb1ES3_PlS7_lN6thrust23THRUST_200600_302600_NS4plusIlEEEE10hipError_tPvRmT1_T2_T3_mT4_P12ihipStream_tbEUlT_E1_NS1_11comp_targetILNS1_3genE9ELNS1_11target_archE1100ELNS1_3gpuE3ELNS1_3repE0EEENS1_30default_config_static_selectorELNS0_4arch9wavefront6targetE1EEEvSF_
	.globl	_ZN7rocprim17ROCPRIM_400000_NS6detail17trampoline_kernelINS0_14default_configENS1_22reduce_config_selectorIlEEZNS1_11reduce_implILb1ES3_PlS7_lN6thrust23THRUST_200600_302600_NS4plusIlEEEE10hipError_tPvRmT1_T2_T3_mT4_P12ihipStream_tbEUlT_E1_NS1_11comp_targetILNS1_3genE9ELNS1_11target_archE1100ELNS1_3gpuE3ELNS1_3repE0EEENS1_30default_config_static_selectorELNS0_4arch9wavefront6targetE1EEEvSF_
	.p2align	8
	.type	_ZN7rocprim17ROCPRIM_400000_NS6detail17trampoline_kernelINS0_14default_configENS1_22reduce_config_selectorIlEEZNS1_11reduce_implILb1ES3_PlS7_lN6thrust23THRUST_200600_302600_NS4plusIlEEEE10hipError_tPvRmT1_T2_T3_mT4_P12ihipStream_tbEUlT_E1_NS1_11comp_targetILNS1_3genE9ELNS1_11target_archE1100ELNS1_3gpuE3ELNS1_3repE0EEENS1_30default_config_static_selectorELNS0_4arch9wavefront6targetE1EEEvSF_,@function
_ZN7rocprim17ROCPRIM_400000_NS6detail17trampoline_kernelINS0_14default_configENS1_22reduce_config_selectorIlEEZNS1_11reduce_implILb1ES3_PlS7_lN6thrust23THRUST_200600_302600_NS4plusIlEEEE10hipError_tPvRmT1_T2_T3_mT4_P12ihipStream_tbEUlT_E1_NS1_11comp_targetILNS1_3genE9ELNS1_11target_archE1100ELNS1_3gpuE3ELNS1_3repE0EEENS1_30default_config_static_selectorELNS0_4arch9wavefront6targetE1EEEvSF_: ; @_ZN7rocprim17ROCPRIM_400000_NS6detail17trampoline_kernelINS0_14default_configENS1_22reduce_config_selectorIlEEZNS1_11reduce_implILb1ES3_PlS7_lN6thrust23THRUST_200600_302600_NS4plusIlEEEE10hipError_tPvRmT1_T2_T3_mT4_P12ihipStream_tbEUlT_E1_NS1_11comp_targetILNS1_3genE9ELNS1_11target_archE1100ELNS1_3gpuE3ELNS1_3repE0EEENS1_30default_config_static_selectorELNS0_4arch9wavefront6targetE1EEEvSF_
; %bb.0:
	.section	.rodata,"a",@progbits
	.p2align	6, 0x0
	.amdhsa_kernel _ZN7rocprim17ROCPRIM_400000_NS6detail17trampoline_kernelINS0_14default_configENS1_22reduce_config_selectorIlEEZNS1_11reduce_implILb1ES3_PlS7_lN6thrust23THRUST_200600_302600_NS4plusIlEEEE10hipError_tPvRmT1_T2_T3_mT4_P12ihipStream_tbEUlT_E1_NS1_11comp_targetILNS1_3genE9ELNS1_11target_archE1100ELNS1_3gpuE3ELNS1_3repE0EEENS1_30default_config_static_selectorELNS0_4arch9wavefront6targetE1EEEvSF_
		.amdhsa_group_segment_fixed_size 0
		.amdhsa_private_segment_fixed_size 0
		.amdhsa_kernarg_size 48
		.amdhsa_user_sgpr_count 6
		.amdhsa_user_sgpr_private_segment_buffer 1
		.amdhsa_user_sgpr_dispatch_ptr 0
		.amdhsa_user_sgpr_queue_ptr 0
		.amdhsa_user_sgpr_kernarg_segment_ptr 1
		.amdhsa_user_sgpr_dispatch_id 0
		.amdhsa_user_sgpr_flat_scratch_init 0
		.amdhsa_user_sgpr_kernarg_preload_length 0
		.amdhsa_user_sgpr_kernarg_preload_offset 0
		.amdhsa_user_sgpr_private_segment_size 0
		.amdhsa_uses_dynamic_stack 0
		.amdhsa_system_sgpr_private_segment_wavefront_offset 0
		.amdhsa_system_sgpr_workgroup_id_x 1
		.amdhsa_system_sgpr_workgroup_id_y 0
		.amdhsa_system_sgpr_workgroup_id_z 0
		.amdhsa_system_sgpr_workgroup_info 0
		.amdhsa_system_vgpr_workitem_id 0
		.amdhsa_next_free_vgpr 1
		.amdhsa_next_free_sgpr 0
		.amdhsa_accum_offset 4
		.amdhsa_reserve_vcc 0
		.amdhsa_reserve_flat_scratch 0
		.amdhsa_float_round_mode_32 0
		.amdhsa_float_round_mode_16_64 0
		.amdhsa_float_denorm_mode_32 3
		.amdhsa_float_denorm_mode_16_64 3
		.amdhsa_dx10_clamp 1
		.amdhsa_ieee_mode 1
		.amdhsa_fp16_overflow 0
		.amdhsa_tg_split 0
		.amdhsa_exception_fp_ieee_invalid_op 0
		.amdhsa_exception_fp_denorm_src 0
		.amdhsa_exception_fp_ieee_div_zero 0
		.amdhsa_exception_fp_ieee_overflow 0
		.amdhsa_exception_fp_ieee_underflow 0
		.amdhsa_exception_fp_ieee_inexact 0
		.amdhsa_exception_int_div_zero 0
	.end_amdhsa_kernel
	.section	.text._ZN7rocprim17ROCPRIM_400000_NS6detail17trampoline_kernelINS0_14default_configENS1_22reduce_config_selectorIlEEZNS1_11reduce_implILb1ES3_PlS7_lN6thrust23THRUST_200600_302600_NS4plusIlEEEE10hipError_tPvRmT1_T2_T3_mT4_P12ihipStream_tbEUlT_E1_NS1_11comp_targetILNS1_3genE9ELNS1_11target_archE1100ELNS1_3gpuE3ELNS1_3repE0EEENS1_30default_config_static_selectorELNS0_4arch9wavefront6targetE1EEEvSF_,"axG",@progbits,_ZN7rocprim17ROCPRIM_400000_NS6detail17trampoline_kernelINS0_14default_configENS1_22reduce_config_selectorIlEEZNS1_11reduce_implILb1ES3_PlS7_lN6thrust23THRUST_200600_302600_NS4plusIlEEEE10hipError_tPvRmT1_T2_T3_mT4_P12ihipStream_tbEUlT_E1_NS1_11comp_targetILNS1_3genE9ELNS1_11target_archE1100ELNS1_3gpuE3ELNS1_3repE0EEENS1_30default_config_static_selectorELNS0_4arch9wavefront6targetE1EEEvSF_,comdat
.Lfunc_end16:
	.size	_ZN7rocprim17ROCPRIM_400000_NS6detail17trampoline_kernelINS0_14default_configENS1_22reduce_config_selectorIlEEZNS1_11reduce_implILb1ES3_PlS7_lN6thrust23THRUST_200600_302600_NS4plusIlEEEE10hipError_tPvRmT1_T2_T3_mT4_P12ihipStream_tbEUlT_E1_NS1_11comp_targetILNS1_3genE9ELNS1_11target_archE1100ELNS1_3gpuE3ELNS1_3repE0EEENS1_30default_config_static_selectorELNS0_4arch9wavefront6targetE1EEEvSF_, .Lfunc_end16-_ZN7rocprim17ROCPRIM_400000_NS6detail17trampoline_kernelINS0_14default_configENS1_22reduce_config_selectorIlEEZNS1_11reduce_implILb1ES3_PlS7_lN6thrust23THRUST_200600_302600_NS4plusIlEEEE10hipError_tPvRmT1_T2_T3_mT4_P12ihipStream_tbEUlT_E1_NS1_11comp_targetILNS1_3genE9ELNS1_11target_archE1100ELNS1_3gpuE3ELNS1_3repE0EEENS1_30default_config_static_selectorELNS0_4arch9wavefront6targetE1EEEvSF_
                                        ; -- End function
	.section	.AMDGPU.csdata,"",@progbits
; Kernel info:
; codeLenInByte = 0
; NumSgprs: 4
; NumVgprs: 0
; NumAgprs: 0
; TotalNumVgprs: 0
; ScratchSize: 0
; MemoryBound: 0
; FloatMode: 240
; IeeeMode: 1
; LDSByteSize: 0 bytes/workgroup (compile time only)
; SGPRBlocks: 0
; VGPRBlocks: 0
; NumSGPRsForWavesPerEU: 4
; NumVGPRsForWavesPerEU: 1
; AccumOffset: 4
; Occupancy: 8
; WaveLimiterHint : 0
; COMPUTE_PGM_RSRC2:SCRATCH_EN: 0
; COMPUTE_PGM_RSRC2:USER_SGPR: 6
; COMPUTE_PGM_RSRC2:TRAP_HANDLER: 0
; COMPUTE_PGM_RSRC2:TGID_X_EN: 1
; COMPUTE_PGM_RSRC2:TGID_Y_EN: 0
; COMPUTE_PGM_RSRC2:TGID_Z_EN: 0
; COMPUTE_PGM_RSRC2:TIDIG_COMP_CNT: 0
; COMPUTE_PGM_RSRC3_GFX90A:ACCUM_OFFSET: 0
; COMPUTE_PGM_RSRC3_GFX90A:TG_SPLIT: 0
	.section	.text._ZN7rocprim17ROCPRIM_400000_NS6detail17trampoline_kernelINS0_14default_configENS1_22reduce_config_selectorIlEEZNS1_11reduce_implILb1ES3_PlS7_lN6thrust23THRUST_200600_302600_NS4plusIlEEEE10hipError_tPvRmT1_T2_T3_mT4_P12ihipStream_tbEUlT_E1_NS1_11comp_targetILNS1_3genE8ELNS1_11target_archE1030ELNS1_3gpuE2ELNS1_3repE0EEENS1_30default_config_static_selectorELNS0_4arch9wavefront6targetE1EEEvSF_,"axG",@progbits,_ZN7rocprim17ROCPRIM_400000_NS6detail17trampoline_kernelINS0_14default_configENS1_22reduce_config_selectorIlEEZNS1_11reduce_implILb1ES3_PlS7_lN6thrust23THRUST_200600_302600_NS4plusIlEEEE10hipError_tPvRmT1_T2_T3_mT4_P12ihipStream_tbEUlT_E1_NS1_11comp_targetILNS1_3genE8ELNS1_11target_archE1030ELNS1_3gpuE2ELNS1_3repE0EEENS1_30default_config_static_selectorELNS0_4arch9wavefront6targetE1EEEvSF_,comdat
	.protected	_ZN7rocprim17ROCPRIM_400000_NS6detail17trampoline_kernelINS0_14default_configENS1_22reduce_config_selectorIlEEZNS1_11reduce_implILb1ES3_PlS7_lN6thrust23THRUST_200600_302600_NS4plusIlEEEE10hipError_tPvRmT1_T2_T3_mT4_P12ihipStream_tbEUlT_E1_NS1_11comp_targetILNS1_3genE8ELNS1_11target_archE1030ELNS1_3gpuE2ELNS1_3repE0EEENS1_30default_config_static_selectorELNS0_4arch9wavefront6targetE1EEEvSF_ ; -- Begin function _ZN7rocprim17ROCPRIM_400000_NS6detail17trampoline_kernelINS0_14default_configENS1_22reduce_config_selectorIlEEZNS1_11reduce_implILb1ES3_PlS7_lN6thrust23THRUST_200600_302600_NS4plusIlEEEE10hipError_tPvRmT1_T2_T3_mT4_P12ihipStream_tbEUlT_E1_NS1_11comp_targetILNS1_3genE8ELNS1_11target_archE1030ELNS1_3gpuE2ELNS1_3repE0EEENS1_30default_config_static_selectorELNS0_4arch9wavefront6targetE1EEEvSF_
	.globl	_ZN7rocprim17ROCPRIM_400000_NS6detail17trampoline_kernelINS0_14default_configENS1_22reduce_config_selectorIlEEZNS1_11reduce_implILb1ES3_PlS7_lN6thrust23THRUST_200600_302600_NS4plusIlEEEE10hipError_tPvRmT1_T2_T3_mT4_P12ihipStream_tbEUlT_E1_NS1_11comp_targetILNS1_3genE8ELNS1_11target_archE1030ELNS1_3gpuE2ELNS1_3repE0EEENS1_30default_config_static_selectorELNS0_4arch9wavefront6targetE1EEEvSF_
	.p2align	8
	.type	_ZN7rocprim17ROCPRIM_400000_NS6detail17trampoline_kernelINS0_14default_configENS1_22reduce_config_selectorIlEEZNS1_11reduce_implILb1ES3_PlS7_lN6thrust23THRUST_200600_302600_NS4plusIlEEEE10hipError_tPvRmT1_T2_T3_mT4_P12ihipStream_tbEUlT_E1_NS1_11comp_targetILNS1_3genE8ELNS1_11target_archE1030ELNS1_3gpuE2ELNS1_3repE0EEENS1_30default_config_static_selectorELNS0_4arch9wavefront6targetE1EEEvSF_,@function
_ZN7rocprim17ROCPRIM_400000_NS6detail17trampoline_kernelINS0_14default_configENS1_22reduce_config_selectorIlEEZNS1_11reduce_implILb1ES3_PlS7_lN6thrust23THRUST_200600_302600_NS4plusIlEEEE10hipError_tPvRmT1_T2_T3_mT4_P12ihipStream_tbEUlT_E1_NS1_11comp_targetILNS1_3genE8ELNS1_11target_archE1030ELNS1_3gpuE2ELNS1_3repE0EEENS1_30default_config_static_selectorELNS0_4arch9wavefront6targetE1EEEvSF_: ; @_ZN7rocprim17ROCPRIM_400000_NS6detail17trampoline_kernelINS0_14default_configENS1_22reduce_config_selectorIlEEZNS1_11reduce_implILb1ES3_PlS7_lN6thrust23THRUST_200600_302600_NS4plusIlEEEE10hipError_tPvRmT1_T2_T3_mT4_P12ihipStream_tbEUlT_E1_NS1_11comp_targetILNS1_3genE8ELNS1_11target_archE1030ELNS1_3gpuE2ELNS1_3repE0EEENS1_30default_config_static_selectorELNS0_4arch9wavefront6targetE1EEEvSF_
; %bb.0:
	.section	.rodata,"a",@progbits
	.p2align	6, 0x0
	.amdhsa_kernel _ZN7rocprim17ROCPRIM_400000_NS6detail17trampoline_kernelINS0_14default_configENS1_22reduce_config_selectorIlEEZNS1_11reduce_implILb1ES3_PlS7_lN6thrust23THRUST_200600_302600_NS4plusIlEEEE10hipError_tPvRmT1_T2_T3_mT4_P12ihipStream_tbEUlT_E1_NS1_11comp_targetILNS1_3genE8ELNS1_11target_archE1030ELNS1_3gpuE2ELNS1_3repE0EEENS1_30default_config_static_selectorELNS0_4arch9wavefront6targetE1EEEvSF_
		.amdhsa_group_segment_fixed_size 0
		.amdhsa_private_segment_fixed_size 0
		.amdhsa_kernarg_size 48
		.amdhsa_user_sgpr_count 6
		.amdhsa_user_sgpr_private_segment_buffer 1
		.amdhsa_user_sgpr_dispatch_ptr 0
		.amdhsa_user_sgpr_queue_ptr 0
		.amdhsa_user_sgpr_kernarg_segment_ptr 1
		.amdhsa_user_sgpr_dispatch_id 0
		.amdhsa_user_sgpr_flat_scratch_init 0
		.amdhsa_user_sgpr_kernarg_preload_length 0
		.amdhsa_user_sgpr_kernarg_preload_offset 0
		.amdhsa_user_sgpr_private_segment_size 0
		.amdhsa_uses_dynamic_stack 0
		.amdhsa_system_sgpr_private_segment_wavefront_offset 0
		.amdhsa_system_sgpr_workgroup_id_x 1
		.amdhsa_system_sgpr_workgroup_id_y 0
		.amdhsa_system_sgpr_workgroup_id_z 0
		.amdhsa_system_sgpr_workgroup_info 0
		.amdhsa_system_vgpr_workitem_id 0
		.amdhsa_next_free_vgpr 1
		.amdhsa_next_free_sgpr 0
		.amdhsa_accum_offset 4
		.amdhsa_reserve_vcc 0
		.amdhsa_reserve_flat_scratch 0
		.amdhsa_float_round_mode_32 0
		.amdhsa_float_round_mode_16_64 0
		.amdhsa_float_denorm_mode_32 3
		.amdhsa_float_denorm_mode_16_64 3
		.amdhsa_dx10_clamp 1
		.amdhsa_ieee_mode 1
		.amdhsa_fp16_overflow 0
		.amdhsa_tg_split 0
		.amdhsa_exception_fp_ieee_invalid_op 0
		.amdhsa_exception_fp_denorm_src 0
		.amdhsa_exception_fp_ieee_div_zero 0
		.amdhsa_exception_fp_ieee_overflow 0
		.amdhsa_exception_fp_ieee_underflow 0
		.amdhsa_exception_fp_ieee_inexact 0
		.amdhsa_exception_int_div_zero 0
	.end_amdhsa_kernel
	.section	.text._ZN7rocprim17ROCPRIM_400000_NS6detail17trampoline_kernelINS0_14default_configENS1_22reduce_config_selectorIlEEZNS1_11reduce_implILb1ES3_PlS7_lN6thrust23THRUST_200600_302600_NS4plusIlEEEE10hipError_tPvRmT1_T2_T3_mT4_P12ihipStream_tbEUlT_E1_NS1_11comp_targetILNS1_3genE8ELNS1_11target_archE1030ELNS1_3gpuE2ELNS1_3repE0EEENS1_30default_config_static_selectorELNS0_4arch9wavefront6targetE1EEEvSF_,"axG",@progbits,_ZN7rocprim17ROCPRIM_400000_NS6detail17trampoline_kernelINS0_14default_configENS1_22reduce_config_selectorIlEEZNS1_11reduce_implILb1ES3_PlS7_lN6thrust23THRUST_200600_302600_NS4plusIlEEEE10hipError_tPvRmT1_T2_T3_mT4_P12ihipStream_tbEUlT_E1_NS1_11comp_targetILNS1_3genE8ELNS1_11target_archE1030ELNS1_3gpuE2ELNS1_3repE0EEENS1_30default_config_static_selectorELNS0_4arch9wavefront6targetE1EEEvSF_,comdat
.Lfunc_end17:
	.size	_ZN7rocprim17ROCPRIM_400000_NS6detail17trampoline_kernelINS0_14default_configENS1_22reduce_config_selectorIlEEZNS1_11reduce_implILb1ES3_PlS7_lN6thrust23THRUST_200600_302600_NS4plusIlEEEE10hipError_tPvRmT1_T2_T3_mT4_P12ihipStream_tbEUlT_E1_NS1_11comp_targetILNS1_3genE8ELNS1_11target_archE1030ELNS1_3gpuE2ELNS1_3repE0EEENS1_30default_config_static_selectorELNS0_4arch9wavefront6targetE1EEEvSF_, .Lfunc_end17-_ZN7rocprim17ROCPRIM_400000_NS6detail17trampoline_kernelINS0_14default_configENS1_22reduce_config_selectorIlEEZNS1_11reduce_implILb1ES3_PlS7_lN6thrust23THRUST_200600_302600_NS4plusIlEEEE10hipError_tPvRmT1_T2_T3_mT4_P12ihipStream_tbEUlT_E1_NS1_11comp_targetILNS1_3genE8ELNS1_11target_archE1030ELNS1_3gpuE2ELNS1_3repE0EEENS1_30default_config_static_selectorELNS0_4arch9wavefront6targetE1EEEvSF_
                                        ; -- End function
	.section	.AMDGPU.csdata,"",@progbits
; Kernel info:
; codeLenInByte = 0
; NumSgprs: 4
; NumVgprs: 0
; NumAgprs: 0
; TotalNumVgprs: 0
; ScratchSize: 0
; MemoryBound: 0
; FloatMode: 240
; IeeeMode: 1
; LDSByteSize: 0 bytes/workgroup (compile time only)
; SGPRBlocks: 0
; VGPRBlocks: 0
; NumSGPRsForWavesPerEU: 4
; NumVGPRsForWavesPerEU: 1
; AccumOffset: 4
; Occupancy: 8
; WaveLimiterHint : 0
; COMPUTE_PGM_RSRC2:SCRATCH_EN: 0
; COMPUTE_PGM_RSRC2:USER_SGPR: 6
; COMPUTE_PGM_RSRC2:TRAP_HANDLER: 0
; COMPUTE_PGM_RSRC2:TGID_X_EN: 1
; COMPUTE_PGM_RSRC2:TGID_Y_EN: 0
; COMPUTE_PGM_RSRC2:TGID_Z_EN: 0
; COMPUTE_PGM_RSRC2:TIDIG_COMP_CNT: 0
; COMPUTE_PGM_RSRC3_GFX90A:ACCUM_OFFSET: 0
; COMPUTE_PGM_RSRC3_GFX90A:TG_SPLIT: 0
	.section	.text._ZN7rocprim17ROCPRIM_400000_NS6detail17trampoline_kernelINS0_14default_configENS1_22reduce_config_selectorIlEEZNS1_11reduce_implILb1ES3_N6thrust23THRUST_200600_302600_NS11hip_rocprim26transform_input_iterator_tIlPKhZN2at6native8ModeImplIbEclEPKbSI_EUlhE_EEPllNS8_4plusIlEEEE10hipError_tPvRmT1_T2_T3_mT4_P12ihipStream_tbEUlT_E0_NS1_11comp_targetILNS1_3genE0ELNS1_11target_archE4294967295ELNS1_3gpuE0ELNS1_3repE0EEENS1_30default_config_static_selectorELNS0_4arch9wavefront6targetE1EEEvSR_,"axG",@progbits,_ZN7rocprim17ROCPRIM_400000_NS6detail17trampoline_kernelINS0_14default_configENS1_22reduce_config_selectorIlEEZNS1_11reduce_implILb1ES3_N6thrust23THRUST_200600_302600_NS11hip_rocprim26transform_input_iterator_tIlPKhZN2at6native8ModeImplIbEclEPKbSI_EUlhE_EEPllNS8_4plusIlEEEE10hipError_tPvRmT1_T2_T3_mT4_P12ihipStream_tbEUlT_E0_NS1_11comp_targetILNS1_3genE0ELNS1_11target_archE4294967295ELNS1_3gpuE0ELNS1_3repE0EEENS1_30default_config_static_selectorELNS0_4arch9wavefront6targetE1EEEvSR_,comdat
	.protected	_ZN7rocprim17ROCPRIM_400000_NS6detail17trampoline_kernelINS0_14default_configENS1_22reduce_config_selectorIlEEZNS1_11reduce_implILb1ES3_N6thrust23THRUST_200600_302600_NS11hip_rocprim26transform_input_iterator_tIlPKhZN2at6native8ModeImplIbEclEPKbSI_EUlhE_EEPllNS8_4plusIlEEEE10hipError_tPvRmT1_T2_T3_mT4_P12ihipStream_tbEUlT_E0_NS1_11comp_targetILNS1_3genE0ELNS1_11target_archE4294967295ELNS1_3gpuE0ELNS1_3repE0EEENS1_30default_config_static_selectorELNS0_4arch9wavefront6targetE1EEEvSR_ ; -- Begin function _ZN7rocprim17ROCPRIM_400000_NS6detail17trampoline_kernelINS0_14default_configENS1_22reduce_config_selectorIlEEZNS1_11reduce_implILb1ES3_N6thrust23THRUST_200600_302600_NS11hip_rocprim26transform_input_iterator_tIlPKhZN2at6native8ModeImplIbEclEPKbSI_EUlhE_EEPllNS8_4plusIlEEEE10hipError_tPvRmT1_T2_T3_mT4_P12ihipStream_tbEUlT_E0_NS1_11comp_targetILNS1_3genE0ELNS1_11target_archE4294967295ELNS1_3gpuE0ELNS1_3repE0EEENS1_30default_config_static_selectorELNS0_4arch9wavefront6targetE1EEEvSR_
	.globl	_ZN7rocprim17ROCPRIM_400000_NS6detail17trampoline_kernelINS0_14default_configENS1_22reduce_config_selectorIlEEZNS1_11reduce_implILb1ES3_N6thrust23THRUST_200600_302600_NS11hip_rocprim26transform_input_iterator_tIlPKhZN2at6native8ModeImplIbEclEPKbSI_EUlhE_EEPllNS8_4plusIlEEEE10hipError_tPvRmT1_T2_T3_mT4_P12ihipStream_tbEUlT_E0_NS1_11comp_targetILNS1_3genE0ELNS1_11target_archE4294967295ELNS1_3gpuE0ELNS1_3repE0EEENS1_30default_config_static_selectorELNS0_4arch9wavefront6targetE1EEEvSR_
	.p2align	8
	.type	_ZN7rocprim17ROCPRIM_400000_NS6detail17trampoline_kernelINS0_14default_configENS1_22reduce_config_selectorIlEEZNS1_11reduce_implILb1ES3_N6thrust23THRUST_200600_302600_NS11hip_rocprim26transform_input_iterator_tIlPKhZN2at6native8ModeImplIbEclEPKbSI_EUlhE_EEPllNS8_4plusIlEEEE10hipError_tPvRmT1_T2_T3_mT4_P12ihipStream_tbEUlT_E0_NS1_11comp_targetILNS1_3genE0ELNS1_11target_archE4294967295ELNS1_3gpuE0ELNS1_3repE0EEENS1_30default_config_static_selectorELNS0_4arch9wavefront6targetE1EEEvSR_,@function
_ZN7rocprim17ROCPRIM_400000_NS6detail17trampoline_kernelINS0_14default_configENS1_22reduce_config_selectorIlEEZNS1_11reduce_implILb1ES3_N6thrust23THRUST_200600_302600_NS11hip_rocprim26transform_input_iterator_tIlPKhZN2at6native8ModeImplIbEclEPKbSI_EUlhE_EEPllNS8_4plusIlEEEE10hipError_tPvRmT1_T2_T3_mT4_P12ihipStream_tbEUlT_E0_NS1_11comp_targetILNS1_3genE0ELNS1_11target_archE4294967295ELNS1_3gpuE0ELNS1_3repE0EEENS1_30default_config_static_selectorELNS0_4arch9wavefront6targetE1EEEvSR_: ; @_ZN7rocprim17ROCPRIM_400000_NS6detail17trampoline_kernelINS0_14default_configENS1_22reduce_config_selectorIlEEZNS1_11reduce_implILb1ES3_N6thrust23THRUST_200600_302600_NS11hip_rocprim26transform_input_iterator_tIlPKhZN2at6native8ModeImplIbEclEPKbSI_EUlhE_EEPllNS8_4plusIlEEEE10hipError_tPvRmT1_T2_T3_mT4_P12ihipStream_tbEUlT_E0_NS1_11comp_targetILNS1_3genE0ELNS1_11target_archE4294967295ELNS1_3gpuE0ELNS1_3repE0EEENS1_30default_config_static_selectorELNS0_4arch9wavefront6targetE1EEEvSR_
; %bb.0:
	.section	.rodata,"a",@progbits
	.p2align	6, 0x0
	.amdhsa_kernel _ZN7rocprim17ROCPRIM_400000_NS6detail17trampoline_kernelINS0_14default_configENS1_22reduce_config_selectorIlEEZNS1_11reduce_implILb1ES3_N6thrust23THRUST_200600_302600_NS11hip_rocprim26transform_input_iterator_tIlPKhZN2at6native8ModeImplIbEclEPKbSI_EUlhE_EEPllNS8_4plusIlEEEE10hipError_tPvRmT1_T2_T3_mT4_P12ihipStream_tbEUlT_E0_NS1_11comp_targetILNS1_3genE0ELNS1_11target_archE4294967295ELNS1_3gpuE0ELNS1_3repE0EEENS1_30default_config_static_selectorELNS0_4arch9wavefront6targetE1EEEvSR_
		.amdhsa_group_segment_fixed_size 0
		.amdhsa_private_segment_fixed_size 0
		.amdhsa_kernarg_size 72
		.amdhsa_user_sgpr_count 6
		.amdhsa_user_sgpr_private_segment_buffer 1
		.amdhsa_user_sgpr_dispatch_ptr 0
		.amdhsa_user_sgpr_queue_ptr 0
		.amdhsa_user_sgpr_kernarg_segment_ptr 1
		.amdhsa_user_sgpr_dispatch_id 0
		.amdhsa_user_sgpr_flat_scratch_init 0
		.amdhsa_user_sgpr_kernarg_preload_length 0
		.amdhsa_user_sgpr_kernarg_preload_offset 0
		.amdhsa_user_sgpr_private_segment_size 0
		.amdhsa_uses_dynamic_stack 0
		.amdhsa_system_sgpr_private_segment_wavefront_offset 0
		.amdhsa_system_sgpr_workgroup_id_x 1
		.amdhsa_system_sgpr_workgroup_id_y 0
		.amdhsa_system_sgpr_workgroup_id_z 0
		.amdhsa_system_sgpr_workgroup_info 0
		.amdhsa_system_vgpr_workitem_id 0
		.amdhsa_next_free_vgpr 1
		.amdhsa_next_free_sgpr 0
		.amdhsa_accum_offset 4
		.amdhsa_reserve_vcc 0
		.amdhsa_reserve_flat_scratch 0
		.amdhsa_float_round_mode_32 0
		.amdhsa_float_round_mode_16_64 0
		.amdhsa_float_denorm_mode_32 3
		.amdhsa_float_denorm_mode_16_64 3
		.amdhsa_dx10_clamp 1
		.amdhsa_ieee_mode 1
		.amdhsa_fp16_overflow 0
		.amdhsa_tg_split 0
		.amdhsa_exception_fp_ieee_invalid_op 0
		.amdhsa_exception_fp_denorm_src 0
		.amdhsa_exception_fp_ieee_div_zero 0
		.amdhsa_exception_fp_ieee_overflow 0
		.amdhsa_exception_fp_ieee_underflow 0
		.amdhsa_exception_fp_ieee_inexact 0
		.amdhsa_exception_int_div_zero 0
	.end_amdhsa_kernel
	.section	.text._ZN7rocprim17ROCPRIM_400000_NS6detail17trampoline_kernelINS0_14default_configENS1_22reduce_config_selectorIlEEZNS1_11reduce_implILb1ES3_N6thrust23THRUST_200600_302600_NS11hip_rocprim26transform_input_iterator_tIlPKhZN2at6native8ModeImplIbEclEPKbSI_EUlhE_EEPllNS8_4plusIlEEEE10hipError_tPvRmT1_T2_T3_mT4_P12ihipStream_tbEUlT_E0_NS1_11comp_targetILNS1_3genE0ELNS1_11target_archE4294967295ELNS1_3gpuE0ELNS1_3repE0EEENS1_30default_config_static_selectorELNS0_4arch9wavefront6targetE1EEEvSR_,"axG",@progbits,_ZN7rocprim17ROCPRIM_400000_NS6detail17trampoline_kernelINS0_14default_configENS1_22reduce_config_selectorIlEEZNS1_11reduce_implILb1ES3_N6thrust23THRUST_200600_302600_NS11hip_rocprim26transform_input_iterator_tIlPKhZN2at6native8ModeImplIbEclEPKbSI_EUlhE_EEPllNS8_4plusIlEEEE10hipError_tPvRmT1_T2_T3_mT4_P12ihipStream_tbEUlT_E0_NS1_11comp_targetILNS1_3genE0ELNS1_11target_archE4294967295ELNS1_3gpuE0ELNS1_3repE0EEENS1_30default_config_static_selectorELNS0_4arch9wavefront6targetE1EEEvSR_,comdat
.Lfunc_end18:
	.size	_ZN7rocprim17ROCPRIM_400000_NS6detail17trampoline_kernelINS0_14default_configENS1_22reduce_config_selectorIlEEZNS1_11reduce_implILb1ES3_N6thrust23THRUST_200600_302600_NS11hip_rocprim26transform_input_iterator_tIlPKhZN2at6native8ModeImplIbEclEPKbSI_EUlhE_EEPllNS8_4plusIlEEEE10hipError_tPvRmT1_T2_T3_mT4_P12ihipStream_tbEUlT_E0_NS1_11comp_targetILNS1_3genE0ELNS1_11target_archE4294967295ELNS1_3gpuE0ELNS1_3repE0EEENS1_30default_config_static_selectorELNS0_4arch9wavefront6targetE1EEEvSR_, .Lfunc_end18-_ZN7rocprim17ROCPRIM_400000_NS6detail17trampoline_kernelINS0_14default_configENS1_22reduce_config_selectorIlEEZNS1_11reduce_implILb1ES3_N6thrust23THRUST_200600_302600_NS11hip_rocprim26transform_input_iterator_tIlPKhZN2at6native8ModeImplIbEclEPKbSI_EUlhE_EEPllNS8_4plusIlEEEE10hipError_tPvRmT1_T2_T3_mT4_P12ihipStream_tbEUlT_E0_NS1_11comp_targetILNS1_3genE0ELNS1_11target_archE4294967295ELNS1_3gpuE0ELNS1_3repE0EEENS1_30default_config_static_selectorELNS0_4arch9wavefront6targetE1EEEvSR_
                                        ; -- End function
	.section	.AMDGPU.csdata,"",@progbits
; Kernel info:
; codeLenInByte = 0
; NumSgprs: 4
; NumVgprs: 0
; NumAgprs: 0
; TotalNumVgprs: 0
; ScratchSize: 0
; MemoryBound: 0
; FloatMode: 240
; IeeeMode: 1
; LDSByteSize: 0 bytes/workgroup (compile time only)
; SGPRBlocks: 0
; VGPRBlocks: 0
; NumSGPRsForWavesPerEU: 4
; NumVGPRsForWavesPerEU: 1
; AccumOffset: 4
; Occupancy: 8
; WaveLimiterHint : 0
; COMPUTE_PGM_RSRC2:SCRATCH_EN: 0
; COMPUTE_PGM_RSRC2:USER_SGPR: 6
; COMPUTE_PGM_RSRC2:TRAP_HANDLER: 0
; COMPUTE_PGM_RSRC2:TGID_X_EN: 1
; COMPUTE_PGM_RSRC2:TGID_Y_EN: 0
; COMPUTE_PGM_RSRC2:TGID_Z_EN: 0
; COMPUTE_PGM_RSRC2:TIDIG_COMP_CNT: 0
; COMPUTE_PGM_RSRC3_GFX90A:ACCUM_OFFSET: 0
; COMPUTE_PGM_RSRC3_GFX90A:TG_SPLIT: 0
	.section	.text._ZN7rocprim17ROCPRIM_400000_NS6detail17trampoline_kernelINS0_14default_configENS1_22reduce_config_selectorIlEEZNS1_11reduce_implILb1ES3_N6thrust23THRUST_200600_302600_NS11hip_rocprim26transform_input_iterator_tIlPKhZN2at6native8ModeImplIbEclEPKbSI_EUlhE_EEPllNS8_4plusIlEEEE10hipError_tPvRmT1_T2_T3_mT4_P12ihipStream_tbEUlT_E0_NS1_11comp_targetILNS1_3genE5ELNS1_11target_archE942ELNS1_3gpuE9ELNS1_3repE0EEENS1_30default_config_static_selectorELNS0_4arch9wavefront6targetE1EEEvSR_,"axG",@progbits,_ZN7rocprim17ROCPRIM_400000_NS6detail17trampoline_kernelINS0_14default_configENS1_22reduce_config_selectorIlEEZNS1_11reduce_implILb1ES3_N6thrust23THRUST_200600_302600_NS11hip_rocprim26transform_input_iterator_tIlPKhZN2at6native8ModeImplIbEclEPKbSI_EUlhE_EEPllNS8_4plusIlEEEE10hipError_tPvRmT1_T2_T3_mT4_P12ihipStream_tbEUlT_E0_NS1_11comp_targetILNS1_3genE5ELNS1_11target_archE942ELNS1_3gpuE9ELNS1_3repE0EEENS1_30default_config_static_selectorELNS0_4arch9wavefront6targetE1EEEvSR_,comdat
	.protected	_ZN7rocprim17ROCPRIM_400000_NS6detail17trampoline_kernelINS0_14default_configENS1_22reduce_config_selectorIlEEZNS1_11reduce_implILb1ES3_N6thrust23THRUST_200600_302600_NS11hip_rocprim26transform_input_iterator_tIlPKhZN2at6native8ModeImplIbEclEPKbSI_EUlhE_EEPllNS8_4plusIlEEEE10hipError_tPvRmT1_T2_T3_mT4_P12ihipStream_tbEUlT_E0_NS1_11comp_targetILNS1_3genE5ELNS1_11target_archE942ELNS1_3gpuE9ELNS1_3repE0EEENS1_30default_config_static_selectorELNS0_4arch9wavefront6targetE1EEEvSR_ ; -- Begin function _ZN7rocprim17ROCPRIM_400000_NS6detail17trampoline_kernelINS0_14default_configENS1_22reduce_config_selectorIlEEZNS1_11reduce_implILb1ES3_N6thrust23THRUST_200600_302600_NS11hip_rocprim26transform_input_iterator_tIlPKhZN2at6native8ModeImplIbEclEPKbSI_EUlhE_EEPllNS8_4plusIlEEEE10hipError_tPvRmT1_T2_T3_mT4_P12ihipStream_tbEUlT_E0_NS1_11comp_targetILNS1_3genE5ELNS1_11target_archE942ELNS1_3gpuE9ELNS1_3repE0EEENS1_30default_config_static_selectorELNS0_4arch9wavefront6targetE1EEEvSR_
	.globl	_ZN7rocprim17ROCPRIM_400000_NS6detail17trampoline_kernelINS0_14default_configENS1_22reduce_config_selectorIlEEZNS1_11reduce_implILb1ES3_N6thrust23THRUST_200600_302600_NS11hip_rocprim26transform_input_iterator_tIlPKhZN2at6native8ModeImplIbEclEPKbSI_EUlhE_EEPllNS8_4plusIlEEEE10hipError_tPvRmT1_T2_T3_mT4_P12ihipStream_tbEUlT_E0_NS1_11comp_targetILNS1_3genE5ELNS1_11target_archE942ELNS1_3gpuE9ELNS1_3repE0EEENS1_30default_config_static_selectorELNS0_4arch9wavefront6targetE1EEEvSR_
	.p2align	8
	.type	_ZN7rocprim17ROCPRIM_400000_NS6detail17trampoline_kernelINS0_14default_configENS1_22reduce_config_selectorIlEEZNS1_11reduce_implILb1ES3_N6thrust23THRUST_200600_302600_NS11hip_rocprim26transform_input_iterator_tIlPKhZN2at6native8ModeImplIbEclEPKbSI_EUlhE_EEPllNS8_4plusIlEEEE10hipError_tPvRmT1_T2_T3_mT4_P12ihipStream_tbEUlT_E0_NS1_11comp_targetILNS1_3genE5ELNS1_11target_archE942ELNS1_3gpuE9ELNS1_3repE0EEENS1_30default_config_static_selectorELNS0_4arch9wavefront6targetE1EEEvSR_,@function
_ZN7rocprim17ROCPRIM_400000_NS6detail17trampoline_kernelINS0_14default_configENS1_22reduce_config_selectorIlEEZNS1_11reduce_implILb1ES3_N6thrust23THRUST_200600_302600_NS11hip_rocprim26transform_input_iterator_tIlPKhZN2at6native8ModeImplIbEclEPKbSI_EUlhE_EEPllNS8_4plusIlEEEE10hipError_tPvRmT1_T2_T3_mT4_P12ihipStream_tbEUlT_E0_NS1_11comp_targetILNS1_3genE5ELNS1_11target_archE942ELNS1_3gpuE9ELNS1_3repE0EEENS1_30default_config_static_selectorELNS0_4arch9wavefront6targetE1EEEvSR_: ; @_ZN7rocprim17ROCPRIM_400000_NS6detail17trampoline_kernelINS0_14default_configENS1_22reduce_config_selectorIlEEZNS1_11reduce_implILb1ES3_N6thrust23THRUST_200600_302600_NS11hip_rocprim26transform_input_iterator_tIlPKhZN2at6native8ModeImplIbEclEPKbSI_EUlhE_EEPllNS8_4plusIlEEEE10hipError_tPvRmT1_T2_T3_mT4_P12ihipStream_tbEUlT_E0_NS1_11comp_targetILNS1_3genE5ELNS1_11target_archE942ELNS1_3gpuE9ELNS1_3repE0EEENS1_30default_config_static_selectorELNS0_4arch9wavefront6targetE1EEEvSR_
; %bb.0:
	.section	.rodata,"a",@progbits
	.p2align	6, 0x0
	.amdhsa_kernel _ZN7rocprim17ROCPRIM_400000_NS6detail17trampoline_kernelINS0_14default_configENS1_22reduce_config_selectorIlEEZNS1_11reduce_implILb1ES3_N6thrust23THRUST_200600_302600_NS11hip_rocprim26transform_input_iterator_tIlPKhZN2at6native8ModeImplIbEclEPKbSI_EUlhE_EEPllNS8_4plusIlEEEE10hipError_tPvRmT1_T2_T3_mT4_P12ihipStream_tbEUlT_E0_NS1_11comp_targetILNS1_3genE5ELNS1_11target_archE942ELNS1_3gpuE9ELNS1_3repE0EEENS1_30default_config_static_selectorELNS0_4arch9wavefront6targetE1EEEvSR_
		.amdhsa_group_segment_fixed_size 0
		.amdhsa_private_segment_fixed_size 0
		.amdhsa_kernarg_size 72
		.amdhsa_user_sgpr_count 6
		.amdhsa_user_sgpr_private_segment_buffer 1
		.amdhsa_user_sgpr_dispatch_ptr 0
		.amdhsa_user_sgpr_queue_ptr 0
		.amdhsa_user_sgpr_kernarg_segment_ptr 1
		.amdhsa_user_sgpr_dispatch_id 0
		.amdhsa_user_sgpr_flat_scratch_init 0
		.amdhsa_user_sgpr_kernarg_preload_length 0
		.amdhsa_user_sgpr_kernarg_preload_offset 0
		.amdhsa_user_sgpr_private_segment_size 0
		.amdhsa_uses_dynamic_stack 0
		.amdhsa_system_sgpr_private_segment_wavefront_offset 0
		.amdhsa_system_sgpr_workgroup_id_x 1
		.amdhsa_system_sgpr_workgroup_id_y 0
		.amdhsa_system_sgpr_workgroup_id_z 0
		.amdhsa_system_sgpr_workgroup_info 0
		.amdhsa_system_vgpr_workitem_id 0
		.amdhsa_next_free_vgpr 1
		.amdhsa_next_free_sgpr 0
		.amdhsa_accum_offset 4
		.amdhsa_reserve_vcc 0
		.amdhsa_reserve_flat_scratch 0
		.amdhsa_float_round_mode_32 0
		.amdhsa_float_round_mode_16_64 0
		.amdhsa_float_denorm_mode_32 3
		.amdhsa_float_denorm_mode_16_64 3
		.amdhsa_dx10_clamp 1
		.amdhsa_ieee_mode 1
		.amdhsa_fp16_overflow 0
		.amdhsa_tg_split 0
		.amdhsa_exception_fp_ieee_invalid_op 0
		.amdhsa_exception_fp_denorm_src 0
		.amdhsa_exception_fp_ieee_div_zero 0
		.amdhsa_exception_fp_ieee_overflow 0
		.amdhsa_exception_fp_ieee_underflow 0
		.amdhsa_exception_fp_ieee_inexact 0
		.amdhsa_exception_int_div_zero 0
	.end_amdhsa_kernel
	.section	.text._ZN7rocprim17ROCPRIM_400000_NS6detail17trampoline_kernelINS0_14default_configENS1_22reduce_config_selectorIlEEZNS1_11reduce_implILb1ES3_N6thrust23THRUST_200600_302600_NS11hip_rocprim26transform_input_iterator_tIlPKhZN2at6native8ModeImplIbEclEPKbSI_EUlhE_EEPllNS8_4plusIlEEEE10hipError_tPvRmT1_T2_T3_mT4_P12ihipStream_tbEUlT_E0_NS1_11comp_targetILNS1_3genE5ELNS1_11target_archE942ELNS1_3gpuE9ELNS1_3repE0EEENS1_30default_config_static_selectorELNS0_4arch9wavefront6targetE1EEEvSR_,"axG",@progbits,_ZN7rocprim17ROCPRIM_400000_NS6detail17trampoline_kernelINS0_14default_configENS1_22reduce_config_selectorIlEEZNS1_11reduce_implILb1ES3_N6thrust23THRUST_200600_302600_NS11hip_rocprim26transform_input_iterator_tIlPKhZN2at6native8ModeImplIbEclEPKbSI_EUlhE_EEPllNS8_4plusIlEEEE10hipError_tPvRmT1_T2_T3_mT4_P12ihipStream_tbEUlT_E0_NS1_11comp_targetILNS1_3genE5ELNS1_11target_archE942ELNS1_3gpuE9ELNS1_3repE0EEENS1_30default_config_static_selectorELNS0_4arch9wavefront6targetE1EEEvSR_,comdat
.Lfunc_end19:
	.size	_ZN7rocprim17ROCPRIM_400000_NS6detail17trampoline_kernelINS0_14default_configENS1_22reduce_config_selectorIlEEZNS1_11reduce_implILb1ES3_N6thrust23THRUST_200600_302600_NS11hip_rocprim26transform_input_iterator_tIlPKhZN2at6native8ModeImplIbEclEPKbSI_EUlhE_EEPllNS8_4plusIlEEEE10hipError_tPvRmT1_T2_T3_mT4_P12ihipStream_tbEUlT_E0_NS1_11comp_targetILNS1_3genE5ELNS1_11target_archE942ELNS1_3gpuE9ELNS1_3repE0EEENS1_30default_config_static_selectorELNS0_4arch9wavefront6targetE1EEEvSR_, .Lfunc_end19-_ZN7rocprim17ROCPRIM_400000_NS6detail17trampoline_kernelINS0_14default_configENS1_22reduce_config_selectorIlEEZNS1_11reduce_implILb1ES3_N6thrust23THRUST_200600_302600_NS11hip_rocprim26transform_input_iterator_tIlPKhZN2at6native8ModeImplIbEclEPKbSI_EUlhE_EEPllNS8_4plusIlEEEE10hipError_tPvRmT1_T2_T3_mT4_P12ihipStream_tbEUlT_E0_NS1_11comp_targetILNS1_3genE5ELNS1_11target_archE942ELNS1_3gpuE9ELNS1_3repE0EEENS1_30default_config_static_selectorELNS0_4arch9wavefront6targetE1EEEvSR_
                                        ; -- End function
	.section	.AMDGPU.csdata,"",@progbits
; Kernel info:
; codeLenInByte = 0
; NumSgprs: 4
; NumVgprs: 0
; NumAgprs: 0
; TotalNumVgprs: 0
; ScratchSize: 0
; MemoryBound: 0
; FloatMode: 240
; IeeeMode: 1
; LDSByteSize: 0 bytes/workgroup (compile time only)
; SGPRBlocks: 0
; VGPRBlocks: 0
; NumSGPRsForWavesPerEU: 4
; NumVGPRsForWavesPerEU: 1
; AccumOffset: 4
; Occupancy: 8
; WaveLimiterHint : 0
; COMPUTE_PGM_RSRC2:SCRATCH_EN: 0
; COMPUTE_PGM_RSRC2:USER_SGPR: 6
; COMPUTE_PGM_RSRC2:TRAP_HANDLER: 0
; COMPUTE_PGM_RSRC2:TGID_X_EN: 1
; COMPUTE_PGM_RSRC2:TGID_Y_EN: 0
; COMPUTE_PGM_RSRC2:TGID_Z_EN: 0
; COMPUTE_PGM_RSRC2:TIDIG_COMP_CNT: 0
; COMPUTE_PGM_RSRC3_GFX90A:ACCUM_OFFSET: 0
; COMPUTE_PGM_RSRC3_GFX90A:TG_SPLIT: 0
	.section	.text._ZN7rocprim17ROCPRIM_400000_NS6detail17trampoline_kernelINS0_14default_configENS1_22reduce_config_selectorIlEEZNS1_11reduce_implILb1ES3_N6thrust23THRUST_200600_302600_NS11hip_rocprim26transform_input_iterator_tIlPKhZN2at6native8ModeImplIbEclEPKbSI_EUlhE_EEPllNS8_4plusIlEEEE10hipError_tPvRmT1_T2_T3_mT4_P12ihipStream_tbEUlT_E0_NS1_11comp_targetILNS1_3genE4ELNS1_11target_archE910ELNS1_3gpuE8ELNS1_3repE0EEENS1_30default_config_static_selectorELNS0_4arch9wavefront6targetE1EEEvSR_,"axG",@progbits,_ZN7rocprim17ROCPRIM_400000_NS6detail17trampoline_kernelINS0_14default_configENS1_22reduce_config_selectorIlEEZNS1_11reduce_implILb1ES3_N6thrust23THRUST_200600_302600_NS11hip_rocprim26transform_input_iterator_tIlPKhZN2at6native8ModeImplIbEclEPKbSI_EUlhE_EEPllNS8_4plusIlEEEE10hipError_tPvRmT1_T2_T3_mT4_P12ihipStream_tbEUlT_E0_NS1_11comp_targetILNS1_3genE4ELNS1_11target_archE910ELNS1_3gpuE8ELNS1_3repE0EEENS1_30default_config_static_selectorELNS0_4arch9wavefront6targetE1EEEvSR_,comdat
	.protected	_ZN7rocprim17ROCPRIM_400000_NS6detail17trampoline_kernelINS0_14default_configENS1_22reduce_config_selectorIlEEZNS1_11reduce_implILb1ES3_N6thrust23THRUST_200600_302600_NS11hip_rocprim26transform_input_iterator_tIlPKhZN2at6native8ModeImplIbEclEPKbSI_EUlhE_EEPllNS8_4plusIlEEEE10hipError_tPvRmT1_T2_T3_mT4_P12ihipStream_tbEUlT_E0_NS1_11comp_targetILNS1_3genE4ELNS1_11target_archE910ELNS1_3gpuE8ELNS1_3repE0EEENS1_30default_config_static_selectorELNS0_4arch9wavefront6targetE1EEEvSR_ ; -- Begin function _ZN7rocprim17ROCPRIM_400000_NS6detail17trampoline_kernelINS0_14default_configENS1_22reduce_config_selectorIlEEZNS1_11reduce_implILb1ES3_N6thrust23THRUST_200600_302600_NS11hip_rocprim26transform_input_iterator_tIlPKhZN2at6native8ModeImplIbEclEPKbSI_EUlhE_EEPllNS8_4plusIlEEEE10hipError_tPvRmT1_T2_T3_mT4_P12ihipStream_tbEUlT_E0_NS1_11comp_targetILNS1_3genE4ELNS1_11target_archE910ELNS1_3gpuE8ELNS1_3repE0EEENS1_30default_config_static_selectorELNS0_4arch9wavefront6targetE1EEEvSR_
	.globl	_ZN7rocprim17ROCPRIM_400000_NS6detail17trampoline_kernelINS0_14default_configENS1_22reduce_config_selectorIlEEZNS1_11reduce_implILb1ES3_N6thrust23THRUST_200600_302600_NS11hip_rocprim26transform_input_iterator_tIlPKhZN2at6native8ModeImplIbEclEPKbSI_EUlhE_EEPllNS8_4plusIlEEEE10hipError_tPvRmT1_T2_T3_mT4_P12ihipStream_tbEUlT_E0_NS1_11comp_targetILNS1_3genE4ELNS1_11target_archE910ELNS1_3gpuE8ELNS1_3repE0EEENS1_30default_config_static_selectorELNS0_4arch9wavefront6targetE1EEEvSR_
	.p2align	8
	.type	_ZN7rocprim17ROCPRIM_400000_NS6detail17trampoline_kernelINS0_14default_configENS1_22reduce_config_selectorIlEEZNS1_11reduce_implILb1ES3_N6thrust23THRUST_200600_302600_NS11hip_rocprim26transform_input_iterator_tIlPKhZN2at6native8ModeImplIbEclEPKbSI_EUlhE_EEPllNS8_4plusIlEEEE10hipError_tPvRmT1_T2_T3_mT4_P12ihipStream_tbEUlT_E0_NS1_11comp_targetILNS1_3genE4ELNS1_11target_archE910ELNS1_3gpuE8ELNS1_3repE0EEENS1_30default_config_static_selectorELNS0_4arch9wavefront6targetE1EEEvSR_,@function
_ZN7rocprim17ROCPRIM_400000_NS6detail17trampoline_kernelINS0_14default_configENS1_22reduce_config_selectorIlEEZNS1_11reduce_implILb1ES3_N6thrust23THRUST_200600_302600_NS11hip_rocprim26transform_input_iterator_tIlPKhZN2at6native8ModeImplIbEclEPKbSI_EUlhE_EEPllNS8_4plusIlEEEE10hipError_tPvRmT1_T2_T3_mT4_P12ihipStream_tbEUlT_E0_NS1_11comp_targetILNS1_3genE4ELNS1_11target_archE910ELNS1_3gpuE8ELNS1_3repE0EEENS1_30default_config_static_selectorELNS0_4arch9wavefront6targetE1EEEvSR_: ; @_ZN7rocprim17ROCPRIM_400000_NS6detail17trampoline_kernelINS0_14default_configENS1_22reduce_config_selectorIlEEZNS1_11reduce_implILb1ES3_N6thrust23THRUST_200600_302600_NS11hip_rocprim26transform_input_iterator_tIlPKhZN2at6native8ModeImplIbEclEPKbSI_EUlhE_EEPllNS8_4plusIlEEEE10hipError_tPvRmT1_T2_T3_mT4_P12ihipStream_tbEUlT_E0_NS1_11comp_targetILNS1_3genE4ELNS1_11target_archE910ELNS1_3gpuE8ELNS1_3repE0EEENS1_30default_config_static_selectorELNS0_4arch9wavefront6targetE1EEEvSR_
; %bb.0:
	s_load_dwordx2 s[0:1], s[4:5], 0x0
	s_load_dwordx8 s[8:15], s[4:5], 0x10
	s_load_dwordx4 s[16:19], s[4:5], 0x30
	s_mov_b32 s7, 0
	v_mbcnt_lo_u32_b32 v1, -1, 0
	s_waitcnt lgkmcnt(0)
	s_add_u32 s3, s0, s8
	s_addc_u32 s5, s1, s9
	s_lshl_b32 s2, s6, 10
	s_lshr_b64 s[0:1], s[10:11], 10
	s_add_u32 s4, s3, s2
	s_addc_u32 s5, s5, 0
	s_cmp_lg_u64 s[0:1], s[6:7]
	s_cbranch_scc0 .LBB20_6
; %bb.1:
	global_load_ubyte v2, v0, s[4:5]
	global_load_ubyte v3, v0, s[4:5] offset:256
	global_load_ubyte v5, v0, s[4:5] offset:512
	;; [unrolled: 1-line block ×3, first 2 shown]
	v_mov_b32_e32 v7, 0
	v_mbcnt_hi_u32_b32 v4, -1, v1
	v_bfrev_b32_e32 v8, 0.5
	v_mov_b32_dpp v7, v7 quad_perm:[1,0,3,2] row_mask:0xf bank_mask:0xf bound_ctrl:1
	v_lshl_or_b32 v8, v4, 2, v8
	s_waitcnt vmcnt(3)
	v_cmp_ne_u16_e32 vcc, 0, v2
	v_cndmask_b32_e64 v2, 0, 1, vcc
	s_waitcnt vmcnt(2)
	v_cmp_ne_u16_e32 vcc, 0, v3
	v_cndmask_b32_e64 v3, 0, 1, vcc
	;; [unrolled: 3-line block ×4, first 2 shown]
	v_add_co_u32_e32 v2, vcc, v3, v2
	v_addc_co_u32_e64 v3, s[0:1], 0, 0, vcc
	v_add_co_u32_e32 v2, vcc, v2, v5
	v_addc_co_u32_e32 v3, vcc, 0, v3, vcc
	v_add_co_u32_e32 v2, vcc, v2, v6
	v_addc_co_u32_e32 v3, vcc, 0, v3, vcc
	s_nop 0
	v_mov_b32_dpp v5, v2 quad_perm:[1,0,3,2] row_mask:0xf bank_mask:0xf bound_ctrl:1
	v_add_co_u32_e32 v2, vcc, v2, v5
	v_addc_co_u32_e32 v3, vcc, 0, v3, vcc
	v_add_co_u32_e32 v5, vcc, 0, v2
	v_addc_co_u32_e32 v3, vcc, v7, v3, vcc
	v_mov_b32_dpp v2, v2 quad_perm:[2,3,0,1] row_mask:0xf bank_mask:0xf bound_ctrl:1
	v_add_co_u32_e32 v2, vcc, v5, v2
	v_mov_b32_dpp v6, v3 quad_perm:[2,3,0,1] row_mask:0xf bank_mask:0xf bound_ctrl:1
	v_addc_co_u32_e32 v3, vcc, 0, v3, vcc
	v_add_co_u32_e32 v5, vcc, 0, v2
	v_addc_co_u32_e32 v3, vcc, v3, v6, vcc
	v_mov_b32_dpp v2, v2 row_ror:4 row_mask:0xf bank_mask:0xf bound_ctrl:1
	v_add_co_u32_e32 v2, vcc, v5, v2
	v_mov_b32_dpp v6, v3 row_ror:4 row_mask:0xf bank_mask:0xf bound_ctrl:1
	v_addc_co_u32_e32 v3, vcc, 0, v3, vcc
	v_add_co_u32_e32 v5, vcc, 0, v2
	v_addc_co_u32_e32 v3, vcc, v3, v6, vcc
	v_mov_b32_dpp v2, v2 row_ror:8 row_mask:0xf bank_mask:0xf bound_ctrl:1
	v_add_co_u32_e32 v2, vcc, v5, v2
	v_mov_b32_dpp v6, v3 row_ror:8 row_mask:0xf bank_mask:0xf bound_ctrl:1
	v_addc_co_u32_e32 v3, vcc, 0, v3, vcc
	v_add_co_u32_e32 v5, vcc, 0, v2
	v_addc_co_u32_e32 v3, vcc, v3, v6, vcc
	v_mov_b32_dpp v2, v2 row_bcast:15 row_mask:0xf bank_mask:0xf bound_ctrl:1
	v_add_co_u32_e32 v2, vcc, v5, v2
	v_mov_b32_dpp v6, v3 row_bcast:15 row_mask:0xf bank_mask:0xf bound_ctrl:1
	v_addc_co_u32_e32 v3, vcc, 0, v3, vcc
	v_add_co_u32_e32 v5, vcc, 0, v2
	v_addc_co_u32_e32 v3, vcc, v3, v6, vcc
	v_mov_b32_dpp v2, v2 row_bcast:31 row_mask:0xf bank_mask:0xf bound_ctrl:1
	v_add_co_u32_e32 v2, vcc, v5, v2
	v_addc_co_u32_e32 v5, vcc, 0, v3, vcc
	ds_bpermute_b32 v2, v8, v2
	s_nop 0
	v_add_u32_dpp v3, v3, v5 row_bcast:31 row_mask:0xf bank_mask:0xf bound_ctrl:1
	ds_bpermute_b32 v3, v8, v3
	v_cmp_eq_u32_e32 vcc, 0, v4
	s_and_saveexec_b64 s[0:1], vcc
	s_cbranch_execz .LBB20_3
; %bb.2:
	v_lshrrev_b32_e32 v5, 3, v0
	v_and_b32_e32 v5, 24, v5
	s_waitcnt lgkmcnt(0)
	ds_write_b64 v5, v[2:3]
.LBB20_3:
	s_or_b64 exec, exec, s[0:1]
	v_cmp_gt_u32_e32 vcc, 64, v0
	s_waitcnt lgkmcnt(0)
	s_barrier
	s_and_saveexec_b64 s[0:1], vcc
	s_cbranch_execz .LBB20_5
; %bb.4:
	v_and_b32_e32 v5, 3, v4
	v_lshlrev_b32_e32 v2, 3, v5
	ds_read_b64 v[2:3], v2
	v_cmp_ne_u32_e32 vcc, 3, v5
	v_addc_co_u32_e32 v6, vcc, 0, v4, vcc
	v_lshlrev_b32_e32 v6, 2, v6
	s_waitcnt lgkmcnt(0)
	ds_bpermute_b32 v7, v6, v2
	ds_bpermute_b32 v6, v6, v3
	s_waitcnt lgkmcnt(1)
	v_add_co_u32_e32 v2, vcc, v2, v7
	v_addc_co_u32_e32 v3, vcc, 0, v3, vcc
	v_cmp_gt_u32_e32 vcc, 2, v5
	v_cndmask_b32_e64 v5, 0, 1, vcc
	v_lshlrev_b32_e32 v5, 1, v5
	v_add_lshl_u32 v4, v5, v4, 2
	ds_bpermute_b32 v5, v4, v2
	v_add_co_u32_e32 v2, vcc, 0, v2
	s_waitcnt lgkmcnt(1)
	v_addc_co_u32_e32 v3, vcc, v6, v3, vcc
	ds_bpermute_b32 v4, v4, v3
	s_waitcnt lgkmcnt(1)
	v_add_co_u32_e32 v2, vcc, v2, v5
	v_addc_co_u32_e32 v3, vcc, 0, v3, vcc
	v_add_co_u32_e32 v2, vcc, 0, v2
	s_waitcnt lgkmcnt(0)
	v_addc_co_u32_e32 v3, vcc, v3, v4, vcc
.LBB20_5:
	s_or_b64 exec, exec, s[0:1]
	s_branch .LBB20_24
.LBB20_6:
                                        ; implicit-def: $vgpr2_vgpr3
	s_cbranch_execz .LBB20_24
; %bb.7:
	s_sub_i32 s20, s10, s2
	v_cmp_gt_u32_e32 vcc, s20, v0
                                        ; implicit-def: $vgpr2_vgpr3_vgpr4_vgpr5_vgpr6_vgpr7_vgpr8_vgpr9
	s_and_saveexec_b64 s[0:1], vcc
	s_cbranch_execz .LBB20_9
; %bb.8:
	global_load_ubyte v2, v0, s[4:5]
	v_mov_b32_e32 v3, 0
	s_waitcnt vmcnt(0)
	v_cmp_ne_u16_e32 vcc, 0, v2
	v_cndmask_b32_e64 v2, 0, 1, vcc
.LBB20_9:
	s_or_b64 exec, exec, s[0:1]
	v_or_b32_e32 v10, 0x100, v0
	v_cmp_gt_u32_e32 vcc, s20, v10
	s_and_saveexec_b64 s[2:3], vcc
	s_cbranch_execz .LBB20_11
; %bb.10:
	global_load_ubyte v4, v0, s[4:5] offset:256
	v_mov_b32_e32 v5, 0
	s_waitcnt vmcnt(0)
	v_cmp_ne_u16_e64 s[0:1], 0, v4
	v_cndmask_b32_e64 v4, 0, 1, s[0:1]
.LBB20_11:
	s_or_b64 exec, exec, s[2:3]
	v_or_b32_e32 v10, 0x200, v0
	v_cmp_gt_u32_e64 s[0:1], s20, v10
	s_and_saveexec_b64 s[8:9], s[0:1]
	s_cbranch_execz .LBB20_13
; %bb.12:
	global_load_ubyte v6, v0, s[4:5] offset:512
	v_mov_b32_e32 v7, 0
	s_waitcnt vmcnt(0)
	v_cmp_ne_u16_e64 s[2:3], 0, v6
	v_cndmask_b32_e64 v6, 0, 1, s[2:3]
.LBB20_13:
	s_or_b64 exec, exec, s[8:9]
	v_or_b32_e32 v10, 0x300, v0
	v_cmp_gt_u32_e64 s[2:3], s20, v10
	s_and_saveexec_b64 s[8:9], s[2:3]
	s_cbranch_execz .LBB20_15
; %bb.14:
	global_load_ubyte v8, v0, s[4:5] offset:768
	v_mov_b32_e32 v9, 0
	s_waitcnt vmcnt(0)
	v_cmp_ne_u16_e64 s[4:5], 0, v8
	v_cndmask_b32_e64 v8, 0, 1, s[4:5]
.LBB20_15:
	s_or_b64 exec, exec, s[8:9]
	v_cndmask_b32_e32 v4, 0, v4, vcc
	v_cndmask_b32_e32 v5, 0, v5, vcc
	v_add_co_u32_e32 v2, vcc, v4, v2
	v_addc_co_u32_e32 v3, vcc, v5, v3, vcc
	v_cndmask_b32_e64 v5, 0, v6, s[0:1]
	v_cndmask_b32_e64 v4, 0, v7, s[0:1]
	v_add_co_u32_e32 v2, vcc, v2, v5
	v_addc_co_u32_e32 v3, vcc, v3, v4, vcc
	v_cndmask_b32_e64 v5, 0, v8, s[2:3]
	v_cndmask_b32_e64 v4, 0, v9, s[2:3]
	v_add_co_u32_e32 v2, vcc, v2, v5
	v_mbcnt_hi_u32_b32 v5, -1, v1
	v_addc_co_u32_e32 v3, vcc, v3, v4, vcc
	v_and_b32_e32 v6, 63, v5
	v_cmp_ne_u32_e32 vcc, 63, v6
	v_addc_co_u32_e32 v4, vcc, 0, v5, vcc
	v_lshlrev_b32_e32 v4, 2, v4
	ds_bpermute_b32 v8, v4, v2
	ds_bpermute_b32 v4, v4, v3
	s_min_u32 s4, s20, 0x100
	v_and_b32_e32 v1, 0xc0, v0
	v_sub_u32_e64 v7, s4, v1 clamp
	s_waitcnt lgkmcnt(1)
	v_add_co_u32_e32 v8, vcc, v2, v8
	v_addc_co_u32_e32 v9, vcc, 0, v3, vcc
	v_add_co_u32_e32 v10, vcc, 0, v8
	v_add_u32_e32 v1, 1, v6
	s_waitcnt lgkmcnt(0)
	v_addc_co_u32_e32 v4, vcc, v4, v9, vcc
	v_cmp_lt_u32_e64 s[0:1], v1, v7
	v_cmp_gt_u32_e32 vcc, 62, v6
	v_cndmask_b32_e64 v1, v2, v8, s[0:1]
	v_cndmask_b32_e64 v8, 0, 1, vcc
	v_lshlrev_b32_e32 v8, 1, v8
	v_add_lshl_u32 v8, v8, v5, 2
	v_cndmask_b32_e64 v4, v3, v4, s[0:1]
	ds_bpermute_b32 v9, v8, v1
	ds_bpermute_b32 v8, v8, v4
	v_cndmask_b32_e64 v10, v2, v10, s[0:1]
	v_add_u32_e32 v11, 2, v6
	v_cmp_gt_u32_e64 s[2:3], 60, v6
	s_waitcnt lgkmcnt(1)
	v_add_co_u32_e32 v9, vcc, v9, v10
	s_waitcnt lgkmcnt(0)
	v_addc_co_u32_e32 v8, vcc, v8, v4, vcc
	v_cmp_lt_u32_e32 vcc, v11, v7
	v_cndmask_b32_e32 v4, v4, v8, vcc
	v_cndmask_b32_e64 v8, 0, 1, s[2:3]
	v_lshlrev_b32_e32 v8, 2, v8
	v_cndmask_b32_e32 v1, v1, v9, vcc
	v_add_lshl_u32 v8, v8, v5, 2
	ds_bpermute_b32 v11, v8, v1
	ds_bpermute_b32 v8, v8, v4
	v_cndmask_b32_e32 v9, v10, v9, vcc
	v_add_u32_e32 v10, 4, v6
	v_cmp_gt_u32_e64 s[2:3], 56, v6
	s_waitcnt lgkmcnt(1)
	v_add_co_u32_e32 v11, vcc, v11, v9
	s_waitcnt lgkmcnt(0)
	v_addc_co_u32_e32 v8, vcc, v8, v4, vcc
	v_cmp_lt_u32_e32 vcc, v10, v7
	v_cndmask_b32_e32 v4, v4, v8, vcc
	v_cndmask_b32_e64 v8, 0, 1, s[2:3]
	v_lshlrev_b32_e32 v8, 3, v8
	v_cndmask_b32_e32 v1, v1, v11, vcc
	v_add_lshl_u32 v8, v8, v5, 2
	ds_bpermute_b32 v10, v8, v1
	ds_bpermute_b32 v8, v8, v4
	v_cndmask_b32_e32 v9, v9, v11, vcc
	v_add_u32_e32 v11, 8, v6
	v_cmp_gt_u32_e64 s[2:3], 48, v6
	s_waitcnt lgkmcnt(1)
	v_add_co_u32_e32 v10, vcc, v10, v9
	s_waitcnt lgkmcnt(0)
	v_addc_co_u32_e32 v8, vcc, v8, v4, vcc
	v_cmp_lt_u32_e32 vcc, v11, v7
	v_cndmask_b32_e32 v11, v1, v10, vcc
	v_cndmask_b32_e32 v1, v4, v8, vcc
	v_cndmask_b32_e64 v4, 0, 1, s[2:3]
	v_lshlrev_b32_e32 v4, 4, v4
	v_add_lshl_u32 v8, v4, v5, 2
	ds_bpermute_b32 v12, v8, v11
	v_cndmask_b32_e32 v4, v9, v10, vcc
	ds_bpermute_b32 v9, v8, v1
	v_add_u32_e32 v10, 16, v6
	v_cmp_gt_u32_e64 s[2:3], 32, v6
	s_waitcnt lgkmcnt(1)
	v_add_co_u32_e32 v8, vcc, v12, v4
	s_waitcnt lgkmcnt(0)
	v_addc_co_u32_e32 v9, vcc, v9, v1, vcc
	v_cmp_lt_u32_e32 vcc, v10, v7
	v_cndmask_b32_e32 v10, v11, v8, vcc
	v_cndmask_b32_e64 v11, 0, 1, s[2:3]
	v_lshlrev_b32_e32 v11, 5, v11
	v_cndmask_b32_e32 v12, v1, v9, vcc
	v_add_lshl_u32 v11, v11, v5, 2
	ds_bpermute_b32 v10, v11, v10
	ds_bpermute_b32 v11, v11, v12
	s_and_saveexec_b64 s[2:3], s[0:1]
	s_cbranch_execz .LBB20_17
; %bb.16:
	v_add_u32_e32 v2, 32, v6
	v_cndmask_b32_e32 v1, v1, v9, vcc
	v_cndmask_b32_e32 v3, v4, v8, vcc
	v_cmp_lt_u32_e32 vcc, v2, v7
	s_waitcnt lgkmcnt(1)
	v_cndmask_b32_e32 v2, 0, v10, vcc
	s_waitcnt lgkmcnt(0)
	v_cndmask_b32_e32 v4, 0, v11, vcc
	v_add_co_u32_e32 v2, vcc, v2, v3
	v_addc_co_u32_e32 v3, vcc, v4, v1, vcc
.LBB20_17:
	s_or_b64 exec, exec, s[2:3]
	v_cmp_eq_u32_e32 vcc, 0, v5
	s_and_saveexec_b64 s[0:1], vcc
	s_cbranch_execz .LBB20_19
; %bb.18:
	v_lshrrev_b32_e32 v1, 3, v0
	v_and_b32_e32 v1, 24, v1
	ds_write_b64 v1, v[2:3] offset:32
.LBB20_19:
	s_or_b64 exec, exec, s[0:1]
	v_cmp_gt_u32_e32 vcc, 4, v0
	s_waitcnt lgkmcnt(0)
	s_barrier
	s_and_saveexec_b64 s[2:3], vcc
	s_cbranch_execz .LBB20_23
; %bb.20:
	v_lshlrev_b32_e32 v1, 3, v5
	ds_read_b64 v[2:3], v1 offset:32
	v_and_b32_e32 v1, 3, v5
	v_cmp_ne_u32_e32 vcc, 3, v1
	v_addc_co_u32_e32 v4, vcc, 0, v5, vcc
	v_lshlrev_b32_e32 v4, 2, v4
	s_waitcnt lgkmcnt(0)
	ds_bpermute_b32 v6, v4, v2
	ds_bpermute_b32 v8, v4, v3
	s_add_i32 s4, s4, 63
	s_lshr_b32 s4, s4, 6
	v_add_u32_e32 v7, 1, v1
	s_waitcnt lgkmcnt(1)
	v_add_co_u32_e32 v9, vcc, v2, v6
	v_addc_co_u32_e32 v6, vcc, 0, v3, vcc
	v_add_co_u32_e32 v4, vcc, 0, v9
	s_waitcnt lgkmcnt(0)
	v_addc_co_u32_e32 v6, vcc, v8, v6, vcc
	v_cmp_gt_u32_e32 vcc, s4, v7
	v_cmp_gt_u32_e64 s[0:1], 2, v1
	v_cndmask_b32_e32 v8, v2, v9, vcc
	v_cndmask_b32_e64 v9, 0, 1, s[0:1]
	v_lshlrev_b32_e32 v9, 1, v9
	v_cndmask_b32_e32 v7, v3, v6, vcc
	v_add_lshl_u32 v9, v9, v5, 2
	ds_bpermute_b32 v5, v9, v8
	ds_bpermute_b32 v7, v9, v7
	s_and_saveexec_b64 s[0:1], vcc
	s_cbranch_execz .LBB20_22
; %bb.21:
	v_add_u32_e32 v1, 2, v1
	v_cmp_gt_u32_e32 vcc, s4, v1
	s_waitcnt lgkmcnt(1)
	v_cndmask_b32_e32 v2, 0, v5, vcc
	s_waitcnt lgkmcnt(0)
	v_cndmask_b32_e32 v1, 0, v7, vcc
	v_add_co_u32_e32 v2, vcc, v2, v4
	v_addc_co_u32_e32 v3, vcc, v1, v6, vcc
.LBB20_22:
	s_or_b64 exec, exec, s[0:1]
.LBB20_23:
	s_or_b64 exec, exec, s[2:3]
.LBB20_24:
	v_cmp_eq_u32_e32 vcc, 0, v0
	s_and_saveexec_b64 s[0:1], vcc
	s_cbranch_execnz .LBB20_26
; %bb.25:
	s_endpgm
.LBB20_26:
	s_mul_i32 s0, s16, s15
	s_mul_hi_u32 s1, s16, s14
	s_add_i32 s0, s1, s0
	s_mul_i32 s1, s17, s14
	s_add_i32 s1, s0, s1
	s_mul_i32 s0, s16, s14
	s_lshl_b64 s[0:1], s[0:1], 3
	s_add_u32 s2, s12, s0
	s_addc_u32 s3, s13, s1
	s_cmp_eq_u64 s[10:11], 0
	v_mov_b32_e32 v0, s19
	s_cselect_b64 vcc, -1, 0
	s_lshl_b64 s[0:1], s[6:7], 3
	v_cndmask_b32_e32 v1, v3, v0, vcc
	v_mov_b32_e32 v0, s18
	s_add_u32 s0, s2, s0
	v_cndmask_b32_e32 v0, v2, v0, vcc
	s_addc_u32 s1, s3, s1
	v_mov_b32_e32 v2, 0
	global_store_dwordx2 v2, v[0:1], s[0:1]
	s_endpgm
	.section	.rodata,"a",@progbits
	.p2align	6, 0x0
	.amdhsa_kernel _ZN7rocprim17ROCPRIM_400000_NS6detail17trampoline_kernelINS0_14default_configENS1_22reduce_config_selectorIlEEZNS1_11reduce_implILb1ES3_N6thrust23THRUST_200600_302600_NS11hip_rocprim26transform_input_iterator_tIlPKhZN2at6native8ModeImplIbEclEPKbSI_EUlhE_EEPllNS8_4plusIlEEEE10hipError_tPvRmT1_T2_T3_mT4_P12ihipStream_tbEUlT_E0_NS1_11comp_targetILNS1_3genE4ELNS1_11target_archE910ELNS1_3gpuE8ELNS1_3repE0EEENS1_30default_config_static_selectorELNS0_4arch9wavefront6targetE1EEEvSR_
		.amdhsa_group_segment_fixed_size 64
		.amdhsa_private_segment_fixed_size 0
		.amdhsa_kernarg_size 72
		.amdhsa_user_sgpr_count 6
		.amdhsa_user_sgpr_private_segment_buffer 1
		.amdhsa_user_sgpr_dispatch_ptr 0
		.amdhsa_user_sgpr_queue_ptr 0
		.amdhsa_user_sgpr_kernarg_segment_ptr 1
		.amdhsa_user_sgpr_dispatch_id 0
		.amdhsa_user_sgpr_flat_scratch_init 0
		.amdhsa_user_sgpr_kernarg_preload_length 0
		.amdhsa_user_sgpr_kernarg_preload_offset 0
		.amdhsa_user_sgpr_private_segment_size 0
		.amdhsa_uses_dynamic_stack 0
		.amdhsa_system_sgpr_private_segment_wavefront_offset 0
		.amdhsa_system_sgpr_workgroup_id_x 1
		.amdhsa_system_sgpr_workgroup_id_y 0
		.amdhsa_system_sgpr_workgroup_id_z 0
		.amdhsa_system_sgpr_workgroup_info 0
		.amdhsa_system_vgpr_workitem_id 0
		.amdhsa_next_free_vgpr 13
		.amdhsa_next_free_sgpr 21
		.amdhsa_accum_offset 16
		.amdhsa_reserve_vcc 1
		.amdhsa_reserve_flat_scratch 0
		.amdhsa_float_round_mode_32 0
		.amdhsa_float_round_mode_16_64 0
		.amdhsa_float_denorm_mode_32 3
		.amdhsa_float_denorm_mode_16_64 3
		.amdhsa_dx10_clamp 1
		.amdhsa_ieee_mode 1
		.amdhsa_fp16_overflow 0
		.amdhsa_tg_split 0
		.amdhsa_exception_fp_ieee_invalid_op 0
		.amdhsa_exception_fp_denorm_src 0
		.amdhsa_exception_fp_ieee_div_zero 0
		.amdhsa_exception_fp_ieee_overflow 0
		.amdhsa_exception_fp_ieee_underflow 0
		.amdhsa_exception_fp_ieee_inexact 0
		.amdhsa_exception_int_div_zero 0
	.end_amdhsa_kernel
	.section	.text._ZN7rocprim17ROCPRIM_400000_NS6detail17trampoline_kernelINS0_14default_configENS1_22reduce_config_selectorIlEEZNS1_11reduce_implILb1ES3_N6thrust23THRUST_200600_302600_NS11hip_rocprim26transform_input_iterator_tIlPKhZN2at6native8ModeImplIbEclEPKbSI_EUlhE_EEPllNS8_4plusIlEEEE10hipError_tPvRmT1_T2_T3_mT4_P12ihipStream_tbEUlT_E0_NS1_11comp_targetILNS1_3genE4ELNS1_11target_archE910ELNS1_3gpuE8ELNS1_3repE0EEENS1_30default_config_static_selectorELNS0_4arch9wavefront6targetE1EEEvSR_,"axG",@progbits,_ZN7rocprim17ROCPRIM_400000_NS6detail17trampoline_kernelINS0_14default_configENS1_22reduce_config_selectorIlEEZNS1_11reduce_implILb1ES3_N6thrust23THRUST_200600_302600_NS11hip_rocprim26transform_input_iterator_tIlPKhZN2at6native8ModeImplIbEclEPKbSI_EUlhE_EEPllNS8_4plusIlEEEE10hipError_tPvRmT1_T2_T3_mT4_P12ihipStream_tbEUlT_E0_NS1_11comp_targetILNS1_3genE4ELNS1_11target_archE910ELNS1_3gpuE8ELNS1_3repE0EEENS1_30default_config_static_selectorELNS0_4arch9wavefront6targetE1EEEvSR_,comdat
.Lfunc_end20:
	.size	_ZN7rocprim17ROCPRIM_400000_NS6detail17trampoline_kernelINS0_14default_configENS1_22reduce_config_selectorIlEEZNS1_11reduce_implILb1ES3_N6thrust23THRUST_200600_302600_NS11hip_rocprim26transform_input_iterator_tIlPKhZN2at6native8ModeImplIbEclEPKbSI_EUlhE_EEPllNS8_4plusIlEEEE10hipError_tPvRmT1_T2_T3_mT4_P12ihipStream_tbEUlT_E0_NS1_11comp_targetILNS1_3genE4ELNS1_11target_archE910ELNS1_3gpuE8ELNS1_3repE0EEENS1_30default_config_static_selectorELNS0_4arch9wavefront6targetE1EEEvSR_, .Lfunc_end20-_ZN7rocprim17ROCPRIM_400000_NS6detail17trampoline_kernelINS0_14default_configENS1_22reduce_config_selectorIlEEZNS1_11reduce_implILb1ES3_N6thrust23THRUST_200600_302600_NS11hip_rocprim26transform_input_iterator_tIlPKhZN2at6native8ModeImplIbEclEPKbSI_EUlhE_EEPllNS8_4plusIlEEEE10hipError_tPvRmT1_T2_T3_mT4_P12ihipStream_tbEUlT_E0_NS1_11comp_targetILNS1_3genE4ELNS1_11target_archE910ELNS1_3gpuE8ELNS1_3repE0EEENS1_30default_config_static_selectorELNS0_4arch9wavefront6targetE1EEEvSR_
                                        ; -- End function
	.section	.AMDGPU.csdata,"",@progbits
; Kernel info:
; codeLenInByte = 1796
; NumSgprs: 25
; NumVgprs: 13
; NumAgprs: 0
; TotalNumVgprs: 13
; ScratchSize: 0
; MemoryBound: 0
; FloatMode: 240
; IeeeMode: 1
; LDSByteSize: 64 bytes/workgroup (compile time only)
; SGPRBlocks: 3
; VGPRBlocks: 1
; NumSGPRsForWavesPerEU: 25
; NumVGPRsForWavesPerEU: 13
; AccumOffset: 16
; Occupancy: 8
; WaveLimiterHint : 1
; COMPUTE_PGM_RSRC2:SCRATCH_EN: 0
; COMPUTE_PGM_RSRC2:USER_SGPR: 6
; COMPUTE_PGM_RSRC2:TRAP_HANDLER: 0
; COMPUTE_PGM_RSRC2:TGID_X_EN: 1
; COMPUTE_PGM_RSRC2:TGID_Y_EN: 0
; COMPUTE_PGM_RSRC2:TGID_Z_EN: 0
; COMPUTE_PGM_RSRC2:TIDIG_COMP_CNT: 0
; COMPUTE_PGM_RSRC3_GFX90A:ACCUM_OFFSET: 3
; COMPUTE_PGM_RSRC3_GFX90A:TG_SPLIT: 0
	.section	.text._ZN7rocprim17ROCPRIM_400000_NS6detail17trampoline_kernelINS0_14default_configENS1_22reduce_config_selectorIlEEZNS1_11reduce_implILb1ES3_N6thrust23THRUST_200600_302600_NS11hip_rocprim26transform_input_iterator_tIlPKhZN2at6native8ModeImplIbEclEPKbSI_EUlhE_EEPllNS8_4plusIlEEEE10hipError_tPvRmT1_T2_T3_mT4_P12ihipStream_tbEUlT_E0_NS1_11comp_targetILNS1_3genE3ELNS1_11target_archE908ELNS1_3gpuE7ELNS1_3repE0EEENS1_30default_config_static_selectorELNS0_4arch9wavefront6targetE1EEEvSR_,"axG",@progbits,_ZN7rocprim17ROCPRIM_400000_NS6detail17trampoline_kernelINS0_14default_configENS1_22reduce_config_selectorIlEEZNS1_11reduce_implILb1ES3_N6thrust23THRUST_200600_302600_NS11hip_rocprim26transform_input_iterator_tIlPKhZN2at6native8ModeImplIbEclEPKbSI_EUlhE_EEPllNS8_4plusIlEEEE10hipError_tPvRmT1_T2_T3_mT4_P12ihipStream_tbEUlT_E0_NS1_11comp_targetILNS1_3genE3ELNS1_11target_archE908ELNS1_3gpuE7ELNS1_3repE0EEENS1_30default_config_static_selectorELNS0_4arch9wavefront6targetE1EEEvSR_,comdat
	.protected	_ZN7rocprim17ROCPRIM_400000_NS6detail17trampoline_kernelINS0_14default_configENS1_22reduce_config_selectorIlEEZNS1_11reduce_implILb1ES3_N6thrust23THRUST_200600_302600_NS11hip_rocprim26transform_input_iterator_tIlPKhZN2at6native8ModeImplIbEclEPKbSI_EUlhE_EEPllNS8_4plusIlEEEE10hipError_tPvRmT1_T2_T3_mT4_P12ihipStream_tbEUlT_E0_NS1_11comp_targetILNS1_3genE3ELNS1_11target_archE908ELNS1_3gpuE7ELNS1_3repE0EEENS1_30default_config_static_selectorELNS0_4arch9wavefront6targetE1EEEvSR_ ; -- Begin function _ZN7rocprim17ROCPRIM_400000_NS6detail17trampoline_kernelINS0_14default_configENS1_22reduce_config_selectorIlEEZNS1_11reduce_implILb1ES3_N6thrust23THRUST_200600_302600_NS11hip_rocprim26transform_input_iterator_tIlPKhZN2at6native8ModeImplIbEclEPKbSI_EUlhE_EEPllNS8_4plusIlEEEE10hipError_tPvRmT1_T2_T3_mT4_P12ihipStream_tbEUlT_E0_NS1_11comp_targetILNS1_3genE3ELNS1_11target_archE908ELNS1_3gpuE7ELNS1_3repE0EEENS1_30default_config_static_selectorELNS0_4arch9wavefront6targetE1EEEvSR_
	.globl	_ZN7rocprim17ROCPRIM_400000_NS6detail17trampoline_kernelINS0_14default_configENS1_22reduce_config_selectorIlEEZNS1_11reduce_implILb1ES3_N6thrust23THRUST_200600_302600_NS11hip_rocprim26transform_input_iterator_tIlPKhZN2at6native8ModeImplIbEclEPKbSI_EUlhE_EEPllNS8_4plusIlEEEE10hipError_tPvRmT1_T2_T3_mT4_P12ihipStream_tbEUlT_E0_NS1_11comp_targetILNS1_3genE3ELNS1_11target_archE908ELNS1_3gpuE7ELNS1_3repE0EEENS1_30default_config_static_selectorELNS0_4arch9wavefront6targetE1EEEvSR_
	.p2align	8
	.type	_ZN7rocprim17ROCPRIM_400000_NS6detail17trampoline_kernelINS0_14default_configENS1_22reduce_config_selectorIlEEZNS1_11reduce_implILb1ES3_N6thrust23THRUST_200600_302600_NS11hip_rocprim26transform_input_iterator_tIlPKhZN2at6native8ModeImplIbEclEPKbSI_EUlhE_EEPllNS8_4plusIlEEEE10hipError_tPvRmT1_T2_T3_mT4_P12ihipStream_tbEUlT_E0_NS1_11comp_targetILNS1_3genE3ELNS1_11target_archE908ELNS1_3gpuE7ELNS1_3repE0EEENS1_30default_config_static_selectorELNS0_4arch9wavefront6targetE1EEEvSR_,@function
_ZN7rocprim17ROCPRIM_400000_NS6detail17trampoline_kernelINS0_14default_configENS1_22reduce_config_selectorIlEEZNS1_11reduce_implILb1ES3_N6thrust23THRUST_200600_302600_NS11hip_rocprim26transform_input_iterator_tIlPKhZN2at6native8ModeImplIbEclEPKbSI_EUlhE_EEPllNS8_4plusIlEEEE10hipError_tPvRmT1_T2_T3_mT4_P12ihipStream_tbEUlT_E0_NS1_11comp_targetILNS1_3genE3ELNS1_11target_archE908ELNS1_3gpuE7ELNS1_3repE0EEENS1_30default_config_static_selectorELNS0_4arch9wavefront6targetE1EEEvSR_: ; @_ZN7rocprim17ROCPRIM_400000_NS6detail17trampoline_kernelINS0_14default_configENS1_22reduce_config_selectorIlEEZNS1_11reduce_implILb1ES3_N6thrust23THRUST_200600_302600_NS11hip_rocprim26transform_input_iterator_tIlPKhZN2at6native8ModeImplIbEclEPKbSI_EUlhE_EEPllNS8_4plusIlEEEE10hipError_tPvRmT1_T2_T3_mT4_P12ihipStream_tbEUlT_E0_NS1_11comp_targetILNS1_3genE3ELNS1_11target_archE908ELNS1_3gpuE7ELNS1_3repE0EEENS1_30default_config_static_selectorELNS0_4arch9wavefront6targetE1EEEvSR_
; %bb.0:
	.section	.rodata,"a",@progbits
	.p2align	6, 0x0
	.amdhsa_kernel _ZN7rocprim17ROCPRIM_400000_NS6detail17trampoline_kernelINS0_14default_configENS1_22reduce_config_selectorIlEEZNS1_11reduce_implILb1ES3_N6thrust23THRUST_200600_302600_NS11hip_rocprim26transform_input_iterator_tIlPKhZN2at6native8ModeImplIbEclEPKbSI_EUlhE_EEPllNS8_4plusIlEEEE10hipError_tPvRmT1_T2_T3_mT4_P12ihipStream_tbEUlT_E0_NS1_11comp_targetILNS1_3genE3ELNS1_11target_archE908ELNS1_3gpuE7ELNS1_3repE0EEENS1_30default_config_static_selectorELNS0_4arch9wavefront6targetE1EEEvSR_
		.amdhsa_group_segment_fixed_size 0
		.amdhsa_private_segment_fixed_size 0
		.amdhsa_kernarg_size 72
		.amdhsa_user_sgpr_count 6
		.amdhsa_user_sgpr_private_segment_buffer 1
		.amdhsa_user_sgpr_dispatch_ptr 0
		.amdhsa_user_sgpr_queue_ptr 0
		.amdhsa_user_sgpr_kernarg_segment_ptr 1
		.amdhsa_user_sgpr_dispatch_id 0
		.amdhsa_user_sgpr_flat_scratch_init 0
		.amdhsa_user_sgpr_kernarg_preload_length 0
		.amdhsa_user_sgpr_kernarg_preload_offset 0
		.amdhsa_user_sgpr_private_segment_size 0
		.amdhsa_uses_dynamic_stack 0
		.amdhsa_system_sgpr_private_segment_wavefront_offset 0
		.amdhsa_system_sgpr_workgroup_id_x 1
		.amdhsa_system_sgpr_workgroup_id_y 0
		.amdhsa_system_sgpr_workgroup_id_z 0
		.amdhsa_system_sgpr_workgroup_info 0
		.amdhsa_system_vgpr_workitem_id 0
		.amdhsa_next_free_vgpr 1
		.amdhsa_next_free_sgpr 0
		.amdhsa_accum_offset 4
		.amdhsa_reserve_vcc 0
		.amdhsa_reserve_flat_scratch 0
		.amdhsa_float_round_mode_32 0
		.amdhsa_float_round_mode_16_64 0
		.amdhsa_float_denorm_mode_32 3
		.amdhsa_float_denorm_mode_16_64 3
		.amdhsa_dx10_clamp 1
		.amdhsa_ieee_mode 1
		.amdhsa_fp16_overflow 0
		.amdhsa_tg_split 0
		.amdhsa_exception_fp_ieee_invalid_op 0
		.amdhsa_exception_fp_denorm_src 0
		.amdhsa_exception_fp_ieee_div_zero 0
		.amdhsa_exception_fp_ieee_overflow 0
		.amdhsa_exception_fp_ieee_underflow 0
		.amdhsa_exception_fp_ieee_inexact 0
		.amdhsa_exception_int_div_zero 0
	.end_amdhsa_kernel
	.section	.text._ZN7rocprim17ROCPRIM_400000_NS6detail17trampoline_kernelINS0_14default_configENS1_22reduce_config_selectorIlEEZNS1_11reduce_implILb1ES3_N6thrust23THRUST_200600_302600_NS11hip_rocprim26transform_input_iterator_tIlPKhZN2at6native8ModeImplIbEclEPKbSI_EUlhE_EEPllNS8_4plusIlEEEE10hipError_tPvRmT1_T2_T3_mT4_P12ihipStream_tbEUlT_E0_NS1_11comp_targetILNS1_3genE3ELNS1_11target_archE908ELNS1_3gpuE7ELNS1_3repE0EEENS1_30default_config_static_selectorELNS0_4arch9wavefront6targetE1EEEvSR_,"axG",@progbits,_ZN7rocprim17ROCPRIM_400000_NS6detail17trampoline_kernelINS0_14default_configENS1_22reduce_config_selectorIlEEZNS1_11reduce_implILb1ES3_N6thrust23THRUST_200600_302600_NS11hip_rocprim26transform_input_iterator_tIlPKhZN2at6native8ModeImplIbEclEPKbSI_EUlhE_EEPllNS8_4plusIlEEEE10hipError_tPvRmT1_T2_T3_mT4_P12ihipStream_tbEUlT_E0_NS1_11comp_targetILNS1_3genE3ELNS1_11target_archE908ELNS1_3gpuE7ELNS1_3repE0EEENS1_30default_config_static_selectorELNS0_4arch9wavefront6targetE1EEEvSR_,comdat
.Lfunc_end21:
	.size	_ZN7rocprim17ROCPRIM_400000_NS6detail17trampoline_kernelINS0_14default_configENS1_22reduce_config_selectorIlEEZNS1_11reduce_implILb1ES3_N6thrust23THRUST_200600_302600_NS11hip_rocprim26transform_input_iterator_tIlPKhZN2at6native8ModeImplIbEclEPKbSI_EUlhE_EEPllNS8_4plusIlEEEE10hipError_tPvRmT1_T2_T3_mT4_P12ihipStream_tbEUlT_E0_NS1_11comp_targetILNS1_3genE3ELNS1_11target_archE908ELNS1_3gpuE7ELNS1_3repE0EEENS1_30default_config_static_selectorELNS0_4arch9wavefront6targetE1EEEvSR_, .Lfunc_end21-_ZN7rocprim17ROCPRIM_400000_NS6detail17trampoline_kernelINS0_14default_configENS1_22reduce_config_selectorIlEEZNS1_11reduce_implILb1ES3_N6thrust23THRUST_200600_302600_NS11hip_rocprim26transform_input_iterator_tIlPKhZN2at6native8ModeImplIbEclEPKbSI_EUlhE_EEPllNS8_4plusIlEEEE10hipError_tPvRmT1_T2_T3_mT4_P12ihipStream_tbEUlT_E0_NS1_11comp_targetILNS1_3genE3ELNS1_11target_archE908ELNS1_3gpuE7ELNS1_3repE0EEENS1_30default_config_static_selectorELNS0_4arch9wavefront6targetE1EEEvSR_
                                        ; -- End function
	.section	.AMDGPU.csdata,"",@progbits
; Kernel info:
; codeLenInByte = 0
; NumSgprs: 4
; NumVgprs: 0
; NumAgprs: 0
; TotalNumVgprs: 0
; ScratchSize: 0
; MemoryBound: 0
; FloatMode: 240
; IeeeMode: 1
; LDSByteSize: 0 bytes/workgroup (compile time only)
; SGPRBlocks: 0
; VGPRBlocks: 0
; NumSGPRsForWavesPerEU: 4
; NumVGPRsForWavesPerEU: 1
; AccumOffset: 4
; Occupancy: 8
; WaveLimiterHint : 0
; COMPUTE_PGM_RSRC2:SCRATCH_EN: 0
; COMPUTE_PGM_RSRC2:USER_SGPR: 6
; COMPUTE_PGM_RSRC2:TRAP_HANDLER: 0
; COMPUTE_PGM_RSRC2:TGID_X_EN: 1
; COMPUTE_PGM_RSRC2:TGID_Y_EN: 0
; COMPUTE_PGM_RSRC2:TGID_Z_EN: 0
; COMPUTE_PGM_RSRC2:TIDIG_COMP_CNT: 0
; COMPUTE_PGM_RSRC3_GFX90A:ACCUM_OFFSET: 0
; COMPUTE_PGM_RSRC3_GFX90A:TG_SPLIT: 0
	.section	.text._ZN7rocprim17ROCPRIM_400000_NS6detail17trampoline_kernelINS0_14default_configENS1_22reduce_config_selectorIlEEZNS1_11reduce_implILb1ES3_N6thrust23THRUST_200600_302600_NS11hip_rocprim26transform_input_iterator_tIlPKhZN2at6native8ModeImplIbEclEPKbSI_EUlhE_EEPllNS8_4plusIlEEEE10hipError_tPvRmT1_T2_T3_mT4_P12ihipStream_tbEUlT_E0_NS1_11comp_targetILNS1_3genE2ELNS1_11target_archE906ELNS1_3gpuE6ELNS1_3repE0EEENS1_30default_config_static_selectorELNS0_4arch9wavefront6targetE1EEEvSR_,"axG",@progbits,_ZN7rocprim17ROCPRIM_400000_NS6detail17trampoline_kernelINS0_14default_configENS1_22reduce_config_selectorIlEEZNS1_11reduce_implILb1ES3_N6thrust23THRUST_200600_302600_NS11hip_rocprim26transform_input_iterator_tIlPKhZN2at6native8ModeImplIbEclEPKbSI_EUlhE_EEPllNS8_4plusIlEEEE10hipError_tPvRmT1_T2_T3_mT4_P12ihipStream_tbEUlT_E0_NS1_11comp_targetILNS1_3genE2ELNS1_11target_archE906ELNS1_3gpuE6ELNS1_3repE0EEENS1_30default_config_static_selectorELNS0_4arch9wavefront6targetE1EEEvSR_,comdat
	.protected	_ZN7rocprim17ROCPRIM_400000_NS6detail17trampoline_kernelINS0_14default_configENS1_22reduce_config_selectorIlEEZNS1_11reduce_implILb1ES3_N6thrust23THRUST_200600_302600_NS11hip_rocprim26transform_input_iterator_tIlPKhZN2at6native8ModeImplIbEclEPKbSI_EUlhE_EEPllNS8_4plusIlEEEE10hipError_tPvRmT1_T2_T3_mT4_P12ihipStream_tbEUlT_E0_NS1_11comp_targetILNS1_3genE2ELNS1_11target_archE906ELNS1_3gpuE6ELNS1_3repE0EEENS1_30default_config_static_selectorELNS0_4arch9wavefront6targetE1EEEvSR_ ; -- Begin function _ZN7rocprim17ROCPRIM_400000_NS6detail17trampoline_kernelINS0_14default_configENS1_22reduce_config_selectorIlEEZNS1_11reduce_implILb1ES3_N6thrust23THRUST_200600_302600_NS11hip_rocprim26transform_input_iterator_tIlPKhZN2at6native8ModeImplIbEclEPKbSI_EUlhE_EEPllNS8_4plusIlEEEE10hipError_tPvRmT1_T2_T3_mT4_P12ihipStream_tbEUlT_E0_NS1_11comp_targetILNS1_3genE2ELNS1_11target_archE906ELNS1_3gpuE6ELNS1_3repE0EEENS1_30default_config_static_selectorELNS0_4arch9wavefront6targetE1EEEvSR_
	.globl	_ZN7rocprim17ROCPRIM_400000_NS6detail17trampoline_kernelINS0_14default_configENS1_22reduce_config_selectorIlEEZNS1_11reduce_implILb1ES3_N6thrust23THRUST_200600_302600_NS11hip_rocprim26transform_input_iterator_tIlPKhZN2at6native8ModeImplIbEclEPKbSI_EUlhE_EEPllNS8_4plusIlEEEE10hipError_tPvRmT1_T2_T3_mT4_P12ihipStream_tbEUlT_E0_NS1_11comp_targetILNS1_3genE2ELNS1_11target_archE906ELNS1_3gpuE6ELNS1_3repE0EEENS1_30default_config_static_selectorELNS0_4arch9wavefront6targetE1EEEvSR_
	.p2align	8
	.type	_ZN7rocprim17ROCPRIM_400000_NS6detail17trampoline_kernelINS0_14default_configENS1_22reduce_config_selectorIlEEZNS1_11reduce_implILb1ES3_N6thrust23THRUST_200600_302600_NS11hip_rocprim26transform_input_iterator_tIlPKhZN2at6native8ModeImplIbEclEPKbSI_EUlhE_EEPllNS8_4plusIlEEEE10hipError_tPvRmT1_T2_T3_mT4_P12ihipStream_tbEUlT_E0_NS1_11comp_targetILNS1_3genE2ELNS1_11target_archE906ELNS1_3gpuE6ELNS1_3repE0EEENS1_30default_config_static_selectorELNS0_4arch9wavefront6targetE1EEEvSR_,@function
_ZN7rocprim17ROCPRIM_400000_NS6detail17trampoline_kernelINS0_14default_configENS1_22reduce_config_selectorIlEEZNS1_11reduce_implILb1ES3_N6thrust23THRUST_200600_302600_NS11hip_rocprim26transform_input_iterator_tIlPKhZN2at6native8ModeImplIbEclEPKbSI_EUlhE_EEPllNS8_4plusIlEEEE10hipError_tPvRmT1_T2_T3_mT4_P12ihipStream_tbEUlT_E0_NS1_11comp_targetILNS1_3genE2ELNS1_11target_archE906ELNS1_3gpuE6ELNS1_3repE0EEENS1_30default_config_static_selectorELNS0_4arch9wavefront6targetE1EEEvSR_: ; @_ZN7rocprim17ROCPRIM_400000_NS6detail17trampoline_kernelINS0_14default_configENS1_22reduce_config_selectorIlEEZNS1_11reduce_implILb1ES3_N6thrust23THRUST_200600_302600_NS11hip_rocprim26transform_input_iterator_tIlPKhZN2at6native8ModeImplIbEclEPKbSI_EUlhE_EEPllNS8_4plusIlEEEE10hipError_tPvRmT1_T2_T3_mT4_P12ihipStream_tbEUlT_E0_NS1_11comp_targetILNS1_3genE2ELNS1_11target_archE906ELNS1_3gpuE6ELNS1_3repE0EEENS1_30default_config_static_selectorELNS0_4arch9wavefront6targetE1EEEvSR_
; %bb.0:
	.section	.rodata,"a",@progbits
	.p2align	6, 0x0
	.amdhsa_kernel _ZN7rocprim17ROCPRIM_400000_NS6detail17trampoline_kernelINS0_14default_configENS1_22reduce_config_selectorIlEEZNS1_11reduce_implILb1ES3_N6thrust23THRUST_200600_302600_NS11hip_rocprim26transform_input_iterator_tIlPKhZN2at6native8ModeImplIbEclEPKbSI_EUlhE_EEPllNS8_4plusIlEEEE10hipError_tPvRmT1_T2_T3_mT4_P12ihipStream_tbEUlT_E0_NS1_11comp_targetILNS1_3genE2ELNS1_11target_archE906ELNS1_3gpuE6ELNS1_3repE0EEENS1_30default_config_static_selectorELNS0_4arch9wavefront6targetE1EEEvSR_
		.amdhsa_group_segment_fixed_size 0
		.amdhsa_private_segment_fixed_size 0
		.amdhsa_kernarg_size 72
		.amdhsa_user_sgpr_count 6
		.amdhsa_user_sgpr_private_segment_buffer 1
		.amdhsa_user_sgpr_dispatch_ptr 0
		.amdhsa_user_sgpr_queue_ptr 0
		.amdhsa_user_sgpr_kernarg_segment_ptr 1
		.amdhsa_user_sgpr_dispatch_id 0
		.amdhsa_user_sgpr_flat_scratch_init 0
		.amdhsa_user_sgpr_kernarg_preload_length 0
		.amdhsa_user_sgpr_kernarg_preload_offset 0
		.amdhsa_user_sgpr_private_segment_size 0
		.amdhsa_uses_dynamic_stack 0
		.amdhsa_system_sgpr_private_segment_wavefront_offset 0
		.amdhsa_system_sgpr_workgroup_id_x 1
		.amdhsa_system_sgpr_workgroup_id_y 0
		.amdhsa_system_sgpr_workgroup_id_z 0
		.amdhsa_system_sgpr_workgroup_info 0
		.amdhsa_system_vgpr_workitem_id 0
		.amdhsa_next_free_vgpr 1
		.amdhsa_next_free_sgpr 0
		.amdhsa_accum_offset 4
		.amdhsa_reserve_vcc 0
		.amdhsa_reserve_flat_scratch 0
		.amdhsa_float_round_mode_32 0
		.amdhsa_float_round_mode_16_64 0
		.amdhsa_float_denorm_mode_32 3
		.amdhsa_float_denorm_mode_16_64 3
		.amdhsa_dx10_clamp 1
		.amdhsa_ieee_mode 1
		.amdhsa_fp16_overflow 0
		.amdhsa_tg_split 0
		.amdhsa_exception_fp_ieee_invalid_op 0
		.amdhsa_exception_fp_denorm_src 0
		.amdhsa_exception_fp_ieee_div_zero 0
		.amdhsa_exception_fp_ieee_overflow 0
		.amdhsa_exception_fp_ieee_underflow 0
		.amdhsa_exception_fp_ieee_inexact 0
		.amdhsa_exception_int_div_zero 0
	.end_amdhsa_kernel
	.section	.text._ZN7rocprim17ROCPRIM_400000_NS6detail17trampoline_kernelINS0_14default_configENS1_22reduce_config_selectorIlEEZNS1_11reduce_implILb1ES3_N6thrust23THRUST_200600_302600_NS11hip_rocprim26transform_input_iterator_tIlPKhZN2at6native8ModeImplIbEclEPKbSI_EUlhE_EEPllNS8_4plusIlEEEE10hipError_tPvRmT1_T2_T3_mT4_P12ihipStream_tbEUlT_E0_NS1_11comp_targetILNS1_3genE2ELNS1_11target_archE906ELNS1_3gpuE6ELNS1_3repE0EEENS1_30default_config_static_selectorELNS0_4arch9wavefront6targetE1EEEvSR_,"axG",@progbits,_ZN7rocprim17ROCPRIM_400000_NS6detail17trampoline_kernelINS0_14default_configENS1_22reduce_config_selectorIlEEZNS1_11reduce_implILb1ES3_N6thrust23THRUST_200600_302600_NS11hip_rocprim26transform_input_iterator_tIlPKhZN2at6native8ModeImplIbEclEPKbSI_EUlhE_EEPllNS8_4plusIlEEEE10hipError_tPvRmT1_T2_T3_mT4_P12ihipStream_tbEUlT_E0_NS1_11comp_targetILNS1_3genE2ELNS1_11target_archE906ELNS1_3gpuE6ELNS1_3repE0EEENS1_30default_config_static_selectorELNS0_4arch9wavefront6targetE1EEEvSR_,comdat
.Lfunc_end22:
	.size	_ZN7rocprim17ROCPRIM_400000_NS6detail17trampoline_kernelINS0_14default_configENS1_22reduce_config_selectorIlEEZNS1_11reduce_implILb1ES3_N6thrust23THRUST_200600_302600_NS11hip_rocprim26transform_input_iterator_tIlPKhZN2at6native8ModeImplIbEclEPKbSI_EUlhE_EEPllNS8_4plusIlEEEE10hipError_tPvRmT1_T2_T3_mT4_P12ihipStream_tbEUlT_E0_NS1_11comp_targetILNS1_3genE2ELNS1_11target_archE906ELNS1_3gpuE6ELNS1_3repE0EEENS1_30default_config_static_selectorELNS0_4arch9wavefront6targetE1EEEvSR_, .Lfunc_end22-_ZN7rocprim17ROCPRIM_400000_NS6detail17trampoline_kernelINS0_14default_configENS1_22reduce_config_selectorIlEEZNS1_11reduce_implILb1ES3_N6thrust23THRUST_200600_302600_NS11hip_rocprim26transform_input_iterator_tIlPKhZN2at6native8ModeImplIbEclEPKbSI_EUlhE_EEPllNS8_4plusIlEEEE10hipError_tPvRmT1_T2_T3_mT4_P12ihipStream_tbEUlT_E0_NS1_11comp_targetILNS1_3genE2ELNS1_11target_archE906ELNS1_3gpuE6ELNS1_3repE0EEENS1_30default_config_static_selectorELNS0_4arch9wavefront6targetE1EEEvSR_
                                        ; -- End function
	.section	.AMDGPU.csdata,"",@progbits
; Kernel info:
; codeLenInByte = 0
; NumSgprs: 4
; NumVgprs: 0
; NumAgprs: 0
; TotalNumVgprs: 0
; ScratchSize: 0
; MemoryBound: 0
; FloatMode: 240
; IeeeMode: 1
; LDSByteSize: 0 bytes/workgroup (compile time only)
; SGPRBlocks: 0
; VGPRBlocks: 0
; NumSGPRsForWavesPerEU: 4
; NumVGPRsForWavesPerEU: 1
; AccumOffset: 4
; Occupancy: 8
; WaveLimiterHint : 0
; COMPUTE_PGM_RSRC2:SCRATCH_EN: 0
; COMPUTE_PGM_RSRC2:USER_SGPR: 6
; COMPUTE_PGM_RSRC2:TRAP_HANDLER: 0
; COMPUTE_PGM_RSRC2:TGID_X_EN: 1
; COMPUTE_PGM_RSRC2:TGID_Y_EN: 0
; COMPUTE_PGM_RSRC2:TGID_Z_EN: 0
; COMPUTE_PGM_RSRC2:TIDIG_COMP_CNT: 0
; COMPUTE_PGM_RSRC3_GFX90A:ACCUM_OFFSET: 0
; COMPUTE_PGM_RSRC3_GFX90A:TG_SPLIT: 0
	.section	.text._ZN7rocprim17ROCPRIM_400000_NS6detail17trampoline_kernelINS0_14default_configENS1_22reduce_config_selectorIlEEZNS1_11reduce_implILb1ES3_N6thrust23THRUST_200600_302600_NS11hip_rocprim26transform_input_iterator_tIlPKhZN2at6native8ModeImplIbEclEPKbSI_EUlhE_EEPllNS8_4plusIlEEEE10hipError_tPvRmT1_T2_T3_mT4_P12ihipStream_tbEUlT_E0_NS1_11comp_targetILNS1_3genE10ELNS1_11target_archE1201ELNS1_3gpuE5ELNS1_3repE0EEENS1_30default_config_static_selectorELNS0_4arch9wavefront6targetE1EEEvSR_,"axG",@progbits,_ZN7rocprim17ROCPRIM_400000_NS6detail17trampoline_kernelINS0_14default_configENS1_22reduce_config_selectorIlEEZNS1_11reduce_implILb1ES3_N6thrust23THRUST_200600_302600_NS11hip_rocprim26transform_input_iterator_tIlPKhZN2at6native8ModeImplIbEclEPKbSI_EUlhE_EEPllNS8_4plusIlEEEE10hipError_tPvRmT1_T2_T3_mT4_P12ihipStream_tbEUlT_E0_NS1_11comp_targetILNS1_3genE10ELNS1_11target_archE1201ELNS1_3gpuE5ELNS1_3repE0EEENS1_30default_config_static_selectorELNS0_4arch9wavefront6targetE1EEEvSR_,comdat
	.protected	_ZN7rocprim17ROCPRIM_400000_NS6detail17trampoline_kernelINS0_14default_configENS1_22reduce_config_selectorIlEEZNS1_11reduce_implILb1ES3_N6thrust23THRUST_200600_302600_NS11hip_rocprim26transform_input_iterator_tIlPKhZN2at6native8ModeImplIbEclEPKbSI_EUlhE_EEPllNS8_4plusIlEEEE10hipError_tPvRmT1_T2_T3_mT4_P12ihipStream_tbEUlT_E0_NS1_11comp_targetILNS1_3genE10ELNS1_11target_archE1201ELNS1_3gpuE5ELNS1_3repE0EEENS1_30default_config_static_selectorELNS0_4arch9wavefront6targetE1EEEvSR_ ; -- Begin function _ZN7rocprim17ROCPRIM_400000_NS6detail17trampoline_kernelINS0_14default_configENS1_22reduce_config_selectorIlEEZNS1_11reduce_implILb1ES3_N6thrust23THRUST_200600_302600_NS11hip_rocprim26transform_input_iterator_tIlPKhZN2at6native8ModeImplIbEclEPKbSI_EUlhE_EEPllNS8_4plusIlEEEE10hipError_tPvRmT1_T2_T3_mT4_P12ihipStream_tbEUlT_E0_NS1_11comp_targetILNS1_3genE10ELNS1_11target_archE1201ELNS1_3gpuE5ELNS1_3repE0EEENS1_30default_config_static_selectorELNS0_4arch9wavefront6targetE1EEEvSR_
	.globl	_ZN7rocprim17ROCPRIM_400000_NS6detail17trampoline_kernelINS0_14default_configENS1_22reduce_config_selectorIlEEZNS1_11reduce_implILb1ES3_N6thrust23THRUST_200600_302600_NS11hip_rocprim26transform_input_iterator_tIlPKhZN2at6native8ModeImplIbEclEPKbSI_EUlhE_EEPllNS8_4plusIlEEEE10hipError_tPvRmT1_T2_T3_mT4_P12ihipStream_tbEUlT_E0_NS1_11comp_targetILNS1_3genE10ELNS1_11target_archE1201ELNS1_3gpuE5ELNS1_3repE0EEENS1_30default_config_static_selectorELNS0_4arch9wavefront6targetE1EEEvSR_
	.p2align	8
	.type	_ZN7rocprim17ROCPRIM_400000_NS6detail17trampoline_kernelINS0_14default_configENS1_22reduce_config_selectorIlEEZNS1_11reduce_implILb1ES3_N6thrust23THRUST_200600_302600_NS11hip_rocprim26transform_input_iterator_tIlPKhZN2at6native8ModeImplIbEclEPKbSI_EUlhE_EEPllNS8_4plusIlEEEE10hipError_tPvRmT1_T2_T3_mT4_P12ihipStream_tbEUlT_E0_NS1_11comp_targetILNS1_3genE10ELNS1_11target_archE1201ELNS1_3gpuE5ELNS1_3repE0EEENS1_30default_config_static_selectorELNS0_4arch9wavefront6targetE1EEEvSR_,@function
_ZN7rocprim17ROCPRIM_400000_NS6detail17trampoline_kernelINS0_14default_configENS1_22reduce_config_selectorIlEEZNS1_11reduce_implILb1ES3_N6thrust23THRUST_200600_302600_NS11hip_rocprim26transform_input_iterator_tIlPKhZN2at6native8ModeImplIbEclEPKbSI_EUlhE_EEPllNS8_4plusIlEEEE10hipError_tPvRmT1_T2_T3_mT4_P12ihipStream_tbEUlT_E0_NS1_11comp_targetILNS1_3genE10ELNS1_11target_archE1201ELNS1_3gpuE5ELNS1_3repE0EEENS1_30default_config_static_selectorELNS0_4arch9wavefront6targetE1EEEvSR_: ; @_ZN7rocprim17ROCPRIM_400000_NS6detail17trampoline_kernelINS0_14default_configENS1_22reduce_config_selectorIlEEZNS1_11reduce_implILb1ES3_N6thrust23THRUST_200600_302600_NS11hip_rocprim26transform_input_iterator_tIlPKhZN2at6native8ModeImplIbEclEPKbSI_EUlhE_EEPllNS8_4plusIlEEEE10hipError_tPvRmT1_T2_T3_mT4_P12ihipStream_tbEUlT_E0_NS1_11comp_targetILNS1_3genE10ELNS1_11target_archE1201ELNS1_3gpuE5ELNS1_3repE0EEENS1_30default_config_static_selectorELNS0_4arch9wavefront6targetE1EEEvSR_
; %bb.0:
	.section	.rodata,"a",@progbits
	.p2align	6, 0x0
	.amdhsa_kernel _ZN7rocprim17ROCPRIM_400000_NS6detail17trampoline_kernelINS0_14default_configENS1_22reduce_config_selectorIlEEZNS1_11reduce_implILb1ES3_N6thrust23THRUST_200600_302600_NS11hip_rocprim26transform_input_iterator_tIlPKhZN2at6native8ModeImplIbEclEPKbSI_EUlhE_EEPllNS8_4plusIlEEEE10hipError_tPvRmT1_T2_T3_mT4_P12ihipStream_tbEUlT_E0_NS1_11comp_targetILNS1_3genE10ELNS1_11target_archE1201ELNS1_3gpuE5ELNS1_3repE0EEENS1_30default_config_static_selectorELNS0_4arch9wavefront6targetE1EEEvSR_
		.amdhsa_group_segment_fixed_size 0
		.amdhsa_private_segment_fixed_size 0
		.amdhsa_kernarg_size 72
		.amdhsa_user_sgpr_count 6
		.amdhsa_user_sgpr_private_segment_buffer 1
		.amdhsa_user_sgpr_dispatch_ptr 0
		.amdhsa_user_sgpr_queue_ptr 0
		.amdhsa_user_sgpr_kernarg_segment_ptr 1
		.amdhsa_user_sgpr_dispatch_id 0
		.amdhsa_user_sgpr_flat_scratch_init 0
		.amdhsa_user_sgpr_kernarg_preload_length 0
		.amdhsa_user_sgpr_kernarg_preload_offset 0
		.amdhsa_user_sgpr_private_segment_size 0
		.amdhsa_uses_dynamic_stack 0
		.amdhsa_system_sgpr_private_segment_wavefront_offset 0
		.amdhsa_system_sgpr_workgroup_id_x 1
		.amdhsa_system_sgpr_workgroup_id_y 0
		.amdhsa_system_sgpr_workgroup_id_z 0
		.amdhsa_system_sgpr_workgroup_info 0
		.amdhsa_system_vgpr_workitem_id 0
		.amdhsa_next_free_vgpr 1
		.amdhsa_next_free_sgpr 0
		.amdhsa_accum_offset 4
		.amdhsa_reserve_vcc 0
		.amdhsa_reserve_flat_scratch 0
		.amdhsa_float_round_mode_32 0
		.amdhsa_float_round_mode_16_64 0
		.amdhsa_float_denorm_mode_32 3
		.amdhsa_float_denorm_mode_16_64 3
		.amdhsa_dx10_clamp 1
		.amdhsa_ieee_mode 1
		.amdhsa_fp16_overflow 0
		.amdhsa_tg_split 0
		.amdhsa_exception_fp_ieee_invalid_op 0
		.amdhsa_exception_fp_denorm_src 0
		.amdhsa_exception_fp_ieee_div_zero 0
		.amdhsa_exception_fp_ieee_overflow 0
		.amdhsa_exception_fp_ieee_underflow 0
		.amdhsa_exception_fp_ieee_inexact 0
		.amdhsa_exception_int_div_zero 0
	.end_amdhsa_kernel
	.section	.text._ZN7rocprim17ROCPRIM_400000_NS6detail17trampoline_kernelINS0_14default_configENS1_22reduce_config_selectorIlEEZNS1_11reduce_implILb1ES3_N6thrust23THRUST_200600_302600_NS11hip_rocprim26transform_input_iterator_tIlPKhZN2at6native8ModeImplIbEclEPKbSI_EUlhE_EEPllNS8_4plusIlEEEE10hipError_tPvRmT1_T2_T3_mT4_P12ihipStream_tbEUlT_E0_NS1_11comp_targetILNS1_3genE10ELNS1_11target_archE1201ELNS1_3gpuE5ELNS1_3repE0EEENS1_30default_config_static_selectorELNS0_4arch9wavefront6targetE1EEEvSR_,"axG",@progbits,_ZN7rocprim17ROCPRIM_400000_NS6detail17trampoline_kernelINS0_14default_configENS1_22reduce_config_selectorIlEEZNS1_11reduce_implILb1ES3_N6thrust23THRUST_200600_302600_NS11hip_rocprim26transform_input_iterator_tIlPKhZN2at6native8ModeImplIbEclEPKbSI_EUlhE_EEPllNS8_4plusIlEEEE10hipError_tPvRmT1_T2_T3_mT4_P12ihipStream_tbEUlT_E0_NS1_11comp_targetILNS1_3genE10ELNS1_11target_archE1201ELNS1_3gpuE5ELNS1_3repE0EEENS1_30default_config_static_selectorELNS0_4arch9wavefront6targetE1EEEvSR_,comdat
.Lfunc_end23:
	.size	_ZN7rocprim17ROCPRIM_400000_NS6detail17trampoline_kernelINS0_14default_configENS1_22reduce_config_selectorIlEEZNS1_11reduce_implILb1ES3_N6thrust23THRUST_200600_302600_NS11hip_rocprim26transform_input_iterator_tIlPKhZN2at6native8ModeImplIbEclEPKbSI_EUlhE_EEPllNS8_4plusIlEEEE10hipError_tPvRmT1_T2_T3_mT4_P12ihipStream_tbEUlT_E0_NS1_11comp_targetILNS1_3genE10ELNS1_11target_archE1201ELNS1_3gpuE5ELNS1_3repE0EEENS1_30default_config_static_selectorELNS0_4arch9wavefront6targetE1EEEvSR_, .Lfunc_end23-_ZN7rocprim17ROCPRIM_400000_NS6detail17trampoline_kernelINS0_14default_configENS1_22reduce_config_selectorIlEEZNS1_11reduce_implILb1ES3_N6thrust23THRUST_200600_302600_NS11hip_rocprim26transform_input_iterator_tIlPKhZN2at6native8ModeImplIbEclEPKbSI_EUlhE_EEPllNS8_4plusIlEEEE10hipError_tPvRmT1_T2_T3_mT4_P12ihipStream_tbEUlT_E0_NS1_11comp_targetILNS1_3genE10ELNS1_11target_archE1201ELNS1_3gpuE5ELNS1_3repE0EEENS1_30default_config_static_selectorELNS0_4arch9wavefront6targetE1EEEvSR_
                                        ; -- End function
	.section	.AMDGPU.csdata,"",@progbits
; Kernel info:
; codeLenInByte = 0
; NumSgprs: 4
; NumVgprs: 0
; NumAgprs: 0
; TotalNumVgprs: 0
; ScratchSize: 0
; MemoryBound: 0
; FloatMode: 240
; IeeeMode: 1
; LDSByteSize: 0 bytes/workgroup (compile time only)
; SGPRBlocks: 0
; VGPRBlocks: 0
; NumSGPRsForWavesPerEU: 4
; NumVGPRsForWavesPerEU: 1
; AccumOffset: 4
; Occupancy: 8
; WaveLimiterHint : 0
; COMPUTE_PGM_RSRC2:SCRATCH_EN: 0
; COMPUTE_PGM_RSRC2:USER_SGPR: 6
; COMPUTE_PGM_RSRC2:TRAP_HANDLER: 0
; COMPUTE_PGM_RSRC2:TGID_X_EN: 1
; COMPUTE_PGM_RSRC2:TGID_Y_EN: 0
; COMPUTE_PGM_RSRC2:TGID_Z_EN: 0
; COMPUTE_PGM_RSRC2:TIDIG_COMP_CNT: 0
; COMPUTE_PGM_RSRC3_GFX90A:ACCUM_OFFSET: 0
; COMPUTE_PGM_RSRC3_GFX90A:TG_SPLIT: 0
	.section	.text._ZN7rocprim17ROCPRIM_400000_NS6detail17trampoline_kernelINS0_14default_configENS1_22reduce_config_selectorIlEEZNS1_11reduce_implILb1ES3_N6thrust23THRUST_200600_302600_NS11hip_rocprim26transform_input_iterator_tIlPKhZN2at6native8ModeImplIbEclEPKbSI_EUlhE_EEPllNS8_4plusIlEEEE10hipError_tPvRmT1_T2_T3_mT4_P12ihipStream_tbEUlT_E0_NS1_11comp_targetILNS1_3genE10ELNS1_11target_archE1200ELNS1_3gpuE4ELNS1_3repE0EEENS1_30default_config_static_selectorELNS0_4arch9wavefront6targetE1EEEvSR_,"axG",@progbits,_ZN7rocprim17ROCPRIM_400000_NS6detail17trampoline_kernelINS0_14default_configENS1_22reduce_config_selectorIlEEZNS1_11reduce_implILb1ES3_N6thrust23THRUST_200600_302600_NS11hip_rocprim26transform_input_iterator_tIlPKhZN2at6native8ModeImplIbEclEPKbSI_EUlhE_EEPllNS8_4plusIlEEEE10hipError_tPvRmT1_T2_T3_mT4_P12ihipStream_tbEUlT_E0_NS1_11comp_targetILNS1_3genE10ELNS1_11target_archE1200ELNS1_3gpuE4ELNS1_3repE0EEENS1_30default_config_static_selectorELNS0_4arch9wavefront6targetE1EEEvSR_,comdat
	.protected	_ZN7rocprim17ROCPRIM_400000_NS6detail17trampoline_kernelINS0_14default_configENS1_22reduce_config_selectorIlEEZNS1_11reduce_implILb1ES3_N6thrust23THRUST_200600_302600_NS11hip_rocprim26transform_input_iterator_tIlPKhZN2at6native8ModeImplIbEclEPKbSI_EUlhE_EEPllNS8_4plusIlEEEE10hipError_tPvRmT1_T2_T3_mT4_P12ihipStream_tbEUlT_E0_NS1_11comp_targetILNS1_3genE10ELNS1_11target_archE1200ELNS1_3gpuE4ELNS1_3repE0EEENS1_30default_config_static_selectorELNS0_4arch9wavefront6targetE1EEEvSR_ ; -- Begin function _ZN7rocprim17ROCPRIM_400000_NS6detail17trampoline_kernelINS0_14default_configENS1_22reduce_config_selectorIlEEZNS1_11reduce_implILb1ES3_N6thrust23THRUST_200600_302600_NS11hip_rocprim26transform_input_iterator_tIlPKhZN2at6native8ModeImplIbEclEPKbSI_EUlhE_EEPllNS8_4plusIlEEEE10hipError_tPvRmT1_T2_T3_mT4_P12ihipStream_tbEUlT_E0_NS1_11comp_targetILNS1_3genE10ELNS1_11target_archE1200ELNS1_3gpuE4ELNS1_3repE0EEENS1_30default_config_static_selectorELNS0_4arch9wavefront6targetE1EEEvSR_
	.globl	_ZN7rocprim17ROCPRIM_400000_NS6detail17trampoline_kernelINS0_14default_configENS1_22reduce_config_selectorIlEEZNS1_11reduce_implILb1ES3_N6thrust23THRUST_200600_302600_NS11hip_rocprim26transform_input_iterator_tIlPKhZN2at6native8ModeImplIbEclEPKbSI_EUlhE_EEPllNS8_4plusIlEEEE10hipError_tPvRmT1_T2_T3_mT4_P12ihipStream_tbEUlT_E0_NS1_11comp_targetILNS1_3genE10ELNS1_11target_archE1200ELNS1_3gpuE4ELNS1_3repE0EEENS1_30default_config_static_selectorELNS0_4arch9wavefront6targetE1EEEvSR_
	.p2align	8
	.type	_ZN7rocprim17ROCPRIM_400000_NS6detail17trampoline_kernelINS0_14default_configENS1_22reduce_config_selectorIlEEZNS1_11reduce_implILb1ES3_N6thrust23THRUST_200600_302600_NS11hip_rocprim26transform_input_iterator_tIlPKhZN2at6native8ModeImplIbEclEPKbSI_EUlhE_EEPllNS8_4plusIlEEEE10hipError_tPvRmT1_T2_T3_mT4_P12ihipStream_tbEUlT_E0_NS1_11comp_targetILNS1_3genE10ELNS1_11target_archE1200ELNS1_3gpuE4ELNS1_3repE0EEENS1_30default_config_static_selectorELNS0_4arch9wavefront6targetE1EEEvSR_,@function
_ZN7rocprim17ROCPRIM_400000_NS6detail17trampoline_kernelINS0_14default_configENS1_22reduce_config_selectorIlEEZNS1_11reduce_implILb1ES3_N6thrust23THRUST_200600_302600_NS11hip_rocprim26transform_input_iterator_tIlPKhZN2at6native8ModeImplIbEclEPKbSI_EUlhE_EEPllNS8_4plusIlEEEE10hipError_tPvRmT1_T2_T3_mT4_P12ihipStream_tbEUlT_E0_NS1_11comp_targetILNS1_3genE10ELNS1_11target_archE1200ELNS1_3gpuE4ELNS1_3repE0EEENS1_30default_config_static_selectorELNS0_4arch9wavefront6targetE1EEEvSR_: ; @_ZN7rocprim17ROCPRIM_400000_NS6detail17trampoline_kernelINS0_14default_configENS1_22reduce_config_selectorIlEEZNS1_11reduce_implILb1ES3_N6thrust23THRUST_200600_302600_NS11hip_rocprim26transform_input_iterator_tIlPKhZN2at6native8ModeImplIbEclEPKbSI_EUlhE_EEPllNS8_4plusIlEEEE10hipError_tPvRmT1_T2_T3_mT4_P12ihipStream_tbEUlT_E0_NS1_11comp_targetILNS1_3genE10ELNS1_11target_archE1200ELNS1_3gpuE4ELNS1_3repE0EEENS1_30default_config_static_selectorELNS0_4arch9wavefront6targetE1EEEvSR_
; %bb.0:
	.section	.rodata,"a",@progbits
	.p2align	6, 0x0
	.amdhsa_kernel _ZN7rocprim17ROCPRIM_400000_NS6detail17trampoline_kernelINS0_14default_configENS1_22reduce_config_selectorIlEEZNS1_11reduce_implILb1ES3_N6thrust23THRUST_200600_302600_NS11hip_rocprim26transform_input_iterator_tIlPKhZN2at6native8ModeImplIbEclEPKbSI_EUlhE_EEPllNS8_4plusIlEEEE10hipError_tPvRmT1_T2_T3_mT4_P12ihipStream_tbEUlT_E0_NS1_11comp_targetILNS1_3genE10ELNS1_11target_archE1200ELNS1_3gpuE4ELNS1_3repE0EEENS1_30default_config_static_selectorELNS0_4arch9wavefront6targetE1EEEvSR_
		.amdhsa_group_segment_fixed_size 0
		.amdhsa_private_segment_fixed_size 0
		.amdhsa_kernarg_size 72
		.amdhsa_user_sgpr_count 6
		.amdhsa_user_sgpr_private_segment_buffer 1
		.amdhsa_user_sgpr_dispatch_ptr 0
		.amdhsa_user_sgpr_queue_ptr 0
		.amdhsa_user_sgpr_kernarg_segment_ptr 1
		.amdhsa_user_sgpr_dispatch_id 0
		.amdhsa_user_sgpr_flat_scratch_init 0
		.amdhsa_user_sgpr_kernarg_preload_length 0
		.amdhsa_user_sgpr_kernarg_preload_offset 0
		.amdhsa_user_sgpr_private_segment_size 0
		.amdhsa_uses_dynamic_stack 0
		.amdhsa_system_sgpr_private_segment_wavefront_offset 0
		.amdhsa_system_sgpr_workgroup_id_x 1
		.amdhsa_system_sgpr_workgroup_id_y 0
		.amdhsa_system_sgpr_workgroup_id_z 0
		.amdhsa_system_sgpr_workgroup_info 0
		.amdhsa_system_vgpr_workitem_id 0
		.amdhsa_next_free_vgpr 1
		.amdhsa_next_free_sgpr 0
		.amdhsa_accum_offset 4
		.amdhsa_reserve_vcc 0
		.amdhsa_reserve_flat_scratch 0
		.amdhsa_float_round_mode_32 0
		.amdhsa_float_round_mode_16_64 0
		.amdhsa_float_denorm_mode_32 3
		.amdhsa_float_denorm_mode_16_64 3
		.amdhsa_dx10_clamp 1
		.amdhsa_ieee_mode 1
		.amdhsa_fp16_overflow 0
		.amdhsa_tg_split 0
		.amdhsa_exception_fp_ieee_invalid_op 0
		.amdhsa_exception_fp_denorm_src 0
		.amdhsa_exception_fp_ieee_div_zero 0
		.amdhsa_exception_fp_ieee_overflow 0
		.amdhsa_exception_fp_ieee_underflow 0
		.amdhsa_exception_fp_ieee_inexact 0
		.amdhsa_exception_int_div_zero 0
	.end_amdhsa_kernel
	.section	.text._ZN7rocprim17ROCPRIM_400000_NS6detail17trampoline_kernelINS0_14default_configENS1_22reduce_config_selectorIlEEZNS1_11reduce_implILb1ES3_N6thrust23THRUST_200600_302600_NS11hip_rocprim26transform_input_iterator_tIlPKhZN2at6native8ModeImplIbEclEPKbSI_EUlhE_EEPllNS8_4plusIlEEEE10hipError_tPvRmT1_T2_T3_mT4_P12ihipStream_tbEUlT_E0_NS1_11comp_targetILNS1_3genE10ELNS1_11target_archE1200ELNS1_3gpuE4ELNS1_3repE0EEENS1_30default_config_static_selectorELNS0_4arch9wavefront6targetE1EEEvSR_,"axG",@progbits,_ZN7rocprim17ROCPRIM_400000_NS6detail17trampoline_kernelINS0_14default_configENS1_22reduce_config_selectorIlEEZNS1_11reduce_implILb1ES3_N6thrust23THRUST_200600_302600_NS11hip_rocprim26transform_input_iterator_tIlPKhZN2at6native8ModeImplIbEclEPKbSI_EUlhE_EEPllNS8_4plusIlEEEE10hipError_tPvRmT1_T2_T3_mT4_P12ihipStream_tbEUlT_E0_NS1_11comp_targetILNS1_3genE10ELNS1_11target_archE1200ELNS1_3gpuE4ELNS1_3repE0EEENS1_30default_config_static_selectorELNS0_4arch9wavefront6targetE1EEEvSR_,comdat
.Lfunc_end24:
	.size	_ZN7rocprim17ROCPRIM_400000_NS6detail17trampoline_kernelINS0_14default_configENS1_22reduce_config_selectorIlEEZNS1_11reduce_implILb1ES3_N6thrust23THRUST_200600_302600_NS11hip_rocprim26transform_input_iterator_tIlPKhZN2at6native8ModeImplIbEclEPKbSI_EUlhE_EEPllNS8_4plusIlEEEE10hipError_tPvRmT1_T2_T3_mT4_P12ihipStream_tbEUlT_E0_NS1_11comp_targetILNS1_3genE10ELNS1_11target_archE1200ELNS1_3gpuE4ELNS1_3repE0EEENS1_30default_config_static_selectorELNS0_4arch9wavefront6targetE1EEEvSR_, .Lfunc_end24-_ZN7rocprim17ROCPRIM_400000_NS6detail17trampoline_kernelINS0_14default_configENS1_22reduce_config_selectorIlEEZNS1_11reduce_implILb1ES3_N6thrust23THRUST_200600_302600_NS11hip_rocprim26transform_input_iterator_tIlPKhZN2at6native8ModeImplIbEclEPKbSI_EUlhE_EEPllNS8_4plusIlEEEE10hipError_tPvRmT1_T2_T3_mT4_P12ihipStream_tbEUlT_E0_NS1_11comp_targetILNS1_3genE10ELNS1_11target_archE1200ELNS1_3gpuE4ELNS1_3repE0EEENS1_30default_config_static_selectorELNS0_4arch9wavefront6targetE1EEEvSR_
                                        ; -- End function
	.section	.AMDGPU.csdata,"",@progbits
; Kernel info:
; codeLenInByte = 0
; NumSgprs: 4
; NumVgprs: 0
; NumAgprs: 0
; TotalNumVgprs: 0
; ScratchSize: 0
; MemoryBound: 0
; FloatMode: 240
; IeeeMode: 1
; LDSByteSize: 0 bytes/workgroup (compile time only)
; SGPRBlocks: 0
; VGPRBlocks: 0
; NumSGPRsForWavesPerEU: 4
; NumVGPRsForWavesPerEU: 1
; AccumOffset: 4
; Occupancy: 8
; WaveLimiterHint : 0
; COMPUTE_PGM_RSRC2:SCRATCH_EN: 0
; COMPUTE_PGM_RSRC2:USER_SGPR: 6
; COMPUTE_PGM_RSRC2:TRAP_HANDLER: 0
; COMPUTE_PGM_RSRC2:TGID_X_EN: 1
; COMPUTE_PGM_RSRC2:TGID_Y_EN: 0
; COMPUTE_PGM_RSRC2:TGID_Z_EN: 0
; COMPUTE_PGM_RSRC2:TIDIG_COMP_CNT: 0
; COMPUTE_PGM_RSRC3_GFX90A:ACCUM_OFFSET: 0
; COMPUTE_PGM_RSRC3_GFX90A:TG_SPLIT: 0
	.section	.text._ZN7rocprim17ROCPRIM_400000_NS6detail17trampoline_kernelINS0_14default_configENS1_22reduce_config_selectorIlEEZNS1_11reduce_implILb1ES3_N6thrust23THRUST_200600_302600_NS11hip_rocprim26transform_input_iterator_tIlPKhZN2at6native8ModeImplIbEclEPKbSI_EUlhE_EEPllNS8_4plusIlEEEE10hipError_tPvRmT1_T2_T3_mT4_P12ihipStream_tbEUlT_E0_NS1_11comp_targetILNS1_3genE9ELNS1_11target_archE1100ELNS1_3gpuE3ELNS1_3repE0EEENS1_30default_config_static_selectorELNS0_4arch9wavefront6targetE1EEEvSR_,"axG",@progbits,_ZN7rocprim17ROCPRIM_400000_NS6detail17trampoline_kernelINS0_14default_configENS1_22reduce_config_selectorIlEEZNS1_11reduce_implILb1ES3_N6thrust23THRUST_200600_302600_NS11hip_rocprim26transform_input_iterator_tIlPKhZN2at6native8ModeImplIbEclEPKbSI_EUlhE_EEPllNS8_4plusIlEEEE10hipError_tPvRmT1_T2_T3_mT4_P12ihipStream_tbEUlT_E0_NS1_11comp_targetILNS1_3genE9ELNS1_11target_archE1100ELNS1_3gpuE3ELNS1_3repE0EEENS1_30default_config_static_selectorELNS0_4arch9wavefront6targetE1EEEvSR_,comdat
	.protected	_ZN7rocprim17ROCPRIM_400000_NS6detail17trampoline_kernelINS0_14default_configENS1_22reduce_config_selectorIlEEZNS1_11reduce_implILb1ES3_N6thrust23THRUST_200600_302600_NS11hip_rocprim26transform_input_iterator_tIlPKhZN2at6native8ModeImplIbEclEPKbSI_EUlhE_EEPllNS8_4plusIlEEEE10hipError_tPvRmT1_T2_T3_mT4_P12ihipStream_tbEUlT_E0_NS1_11comp_targetILNS1_3genE9ELNS1_11target_archE1100ELNS1_3gpuE3ELNS1_3repE0EEENS1_30default_config_static_selectorELNS0_4arch9wavefront6targetE1EEEvSR_ ; -- Begin function _ZN7rocprim17ROCPRIM_400000_NS6detail17trampoline_kernelINS0_14default_configENS1_22reduce_config_selectorIlEEZNS1_11reduce_implILb1ES3_N6thrust23THRUST_200600_302600_NS11hip_rocprim26transform_input_iterator_tIlPKhZN2at6native8ModeImplIbEclEPKbSI_EUlhE_EEPllNS8_4plusIlEEEE10hipError_tPvRmT1_T2_T3_mT4_P12ihipStream_tbEUlT_E0_NS1_11comp_targetILNS1_3genE9ELNS1_11target_archE1100ELNS1_3gpuE3ELNS1_3repE0EEENS1_30default_config_static_selectorELNS0_4arch9wavefront6targetE1EEEvSR_
	.globl	_ZN7rocprim17ROCPRIM_400000_NS6detail17trampoline_kernelINS0_14default_configENS1_22reduce_config_selectorIlEEZNS1_11reduce_implILb1ES3_N6thrust23THRUST_200600_302600_NS11hip_rocprim26transform_input_iterator_tIlPKhZN2at6native8ModeImplIbEclEPKbSI_EUlhE_EEPllNS8_4plusIlEEEE10hipError_tPvRmT1_T2_T3_mT4_P12ihipStream_tbEUlT_E0_NS1_11comp_targetILNS1_3genE9ELNS1_11target_archE1100ELNS1_3gpuE3ELNS1_3repE0EEENS1_30default_config_static_selectorELNS0_4arch9wavefront6targetE1EEEvSR_
	.p2align	8
	.type	_ZN7rocprim17ROCPRIM_400000_NS6detail17trampoline_kernelINS0_14default_configENS1_22reduce_config_selectorIlEEZNS1_11reduce_implILb1ES3_N6thrust23THRUST_200600_302600_NS11hip_rocprim26transform_input_iterator_tIlPKhZN2at6native8ModeImplIbEclEPKbSI_EUlhE_EEPllNS8_4plusIlEEEE10hipError_tPvRmT1_T2_T3_mT4_P12ihipStream_tbEUlT_E0_NS1_11comp_targetILNS1_3genE9ELNS1_11target_archE1100ELNS1_3gpuE3ELNS1_3repE0EEENS1_30default_config_static_selectorELNS0_4arch9wavefront6targetE1EEEvSR_,@function
_ZN7rocprim17ROCPRIM_400000_NS6detail17trampoline_kernelINS0_14default_configENS1_22reduce_config_selectorIlEEZNS1_11reduce_implILb1ES3_N6thrust23THRUST_200600_302600_NS11hip_rocprim26transform_input_iterator_tIlPKhZN2at6native8ModeImplIbEclEPKbSI_EUlhE_EEPllNS8_4plusIlEEEE10hipError_tPvRmT1_T2_T3_mT4_P12ihipStream_tbEUlT_E0_NS1_11comp_targetILNS1_3genE9ELNS1_11target_archE1100ELNS1_3gpuE3ELNS1_3repE0EEENS1_30default_config_static_selectorELNS0_4arch9wavefront6targetE1EEEvSR_: ; @_ZN7rocprim17ROCPRIM_400000_NS6detail17trampoline_kernelINS0_14default_configENS1_22reduce_config_selectorIlEEZNS1_11reduce_implILb1ES3_N6thrust23THRUST_200600_302600_NS11hip_rocprim26transform_input_iterator_tIlPKhZN2at6native8ModeImplIbEclEPKbSI_EUlhE_EEPllNS8_4plusIlEEEE10hipError_tPvRmT1_T2_T3_mT4_P12ihipStream_tbEUlT_E0_NS1_11comp_targetILNS1_3genE9ELNS1_11target_archE1100ELNS1_3gpuE3ELNS1_3repE0EEENS1_30default_config_static_selectorELNS0_4arch9wavefront6targetE1EEEvSR_
; %bb.0:
	.section	.rodata,"a",@progbits
	.p2align	6, 0x0
	.amdhsa_kernel _ZN7rocprim17ROCPRIM_400000_NS6detail17trampoline_kernelINS0_14default_configENS1_22reduce_config_selectorIlEEZNS1_11reduce_implILb1ES3_N6thrust23THRUST_200600_302600_NS11hip_rocprim26transform_input_iterator_tIlPKhZN2at6native8ModeImplIbEclEPKbSI_EUlhE_EEPllNS8_4plusIlEEEE10hipError_tPvRmT1_T2_T3_mT4_P12ihipStream_tbEUlT_E0_NS1_11comp_targetILNS1_3genE9ELNS1_11target_archE1100ELNS1_3gpuE3ELNS1_3repE0EEENS1_30default_config_static_selectorELNS0_4arch9wavefront6targetE1EEEvSR_
		.amdhsa_group_segment_fixed_size 0
		.amdhsa_private_segment_fixed_size 0
		.amdhsa_kernarg_size 72
		.amdhsa_user_sgpr_count 6
		.amdhsa_user_sgpr_private_segment_buffer 1
		.amdhsa_user_sgpr_dispatch_ptr 0
		.amdhsa_user_sgpr_queue_ptr 0
		.amdhsa_user_sgpr_kernarg_segment_ptr 1
		.amdhsa_user_sgpr_dispatch_id 0
		.amdhsa_user_sgpr_flat_scratch_init 0
		.amdhsa_user_sgpr_kernarg_preload_length 0
		.amdhsa_user_sgpr_kernarg_preload_offset 0
		.amdhsa_user_sgpr_private_segment_size 0
		.amdhsa_uses_dynamic_stack 0
		.amdhsa_system_sgpr_private_segment_wavefront_offset 0
		.amdhsa_system_sgpr_workgroup_id_x 1
		.amdhsa_system_sgpr_workgroup_id_y 0
		.amdhsa_system_sgpr_workgroup_id_z 0
		.amdhsa_system_sgpr_workgroup_info 0
		.amdhsa_system_vgpr_workitem_id 0
		.amdhsa_next_free_vgpr 1
		.amdhsa_next_free_sgpr 0
		.amdhsa_accum_offset 4
		.amdhsa_reserve_vcc 0
		.amdhsa_reserve_flat_scratch 0
		.amdhsa_float_round_mode_32 0
		.amdhsa_float_round_mode_16_64 0
		.amdhsa_float_denorm_mode_32 3
		.amdhsa_float_denorm_mode_16_64 3
		.amdhsa_dx10_clamp 1
		.amdhsa_ieee_mode 1
		.amdhsa_fp16_overflow 0
		.amdhsa_tg_split 0
		.amdhsa_exception_fp_ieee_invalid_op 0
		.amdhsa_exception_fp_denorm_src 0
		.amdhsa_exception_fp_ieee_div_zero 0
		.amdhsa_exception_fp_ieee_overflow 0
		.amdhsa_exception_fp_ieee_underflow 0
		.amdhsa_exception_fp_ieee_inexact 0
		.amdhsa_exception_int_div_zero 0
	.end_amdhsa_kernel
	.section	.text._ZN7rocprim17ROCPRIM_400000_NS6detail17trampoline_kernelINS0_14default_configENS1_22reduce_config_selectorIlEEZNS1_11reduce_implILb1ES3_N6thrust23THRUST_200600_302600_NS11hip_rocprim26transform_input_iterator_tIlPKhZN2at6native8ModeImplIbEclEPKbSI_EUlhE_EEPllNS8_4plusIlEEEE10hipError_tPvRmT1_T2_T3_mT4_P12ihipStream_tbEUlT_E0_NS1_11comp_targetILNS1_3genE9ELNS1_11target_archE1100ELNS1_3gpuE3ELNS1_3repE0EEENS1_30default_config_static_selectorELNS0_4arch9wavefront6targetE1EEEvSR_,"axG",@progbits,_ZN7rocprim17ROCPRIM_400000_NS6detail17trampoline_kernelINS0_14default_configENS1_22reduce_config_selectorIlEEZNS1_11reduce_implILb1ES3_N6thrust23THRUST_200600_302600_NS11hip_rocprim26transform_input_iterator_tIlPKhZN2at6native8ModeImplIbEclEPKbSI_EUlhE_EEPllNS8_4plusIlEEEE10hipError_tPvRmT1_T2_T3_mT4_P12ihipStream_tbEUlT_E0_NS1_11comp_targetILNS1_3genE9ELNS1_11target_archE1100ELNS1_3gpuE3ELNS1_3repE0EEENS1_30default_config_static_selectorELNS0_4arch9wavefront6targetE1EEEvSR_,comdat
.Lfunc_end25:
	.size	_ZN7rocprim17ROCPRIM_400000_NS6detail17trampoline_kernelINS0_14default_configENS1_22reduce_config_selectorIlEEZNS1_11reduce_implILb1ES3_N6thrust23THRUST_200600_302600_NS11hip_rocprim26transform_input_iterator_tIlPKhZN2at6native8ModeImplIbEclEPKbSI_EUlhE_EEPllNS8_4plusIlEEEE10hipError_tPvRmT1_T2_T3_mT4_P12ihipStream_tbEUlT_E0_NS1_11comp_targetILNS1_3genE9ELNS1_11target_archE1100ELNS1_3gpuE3ELNS1_3repE0EEENS1_30default_config_static_selectorELNS0_4arch9wavefront6targetE1EEEvSR_, .Lfunc_end25-_ZN7rocprim17ROCPRIM_400000_NS6detail17trampoline_kernelINS0_14default_configENS1_22reduce_config_selectorIlEEZNS1_11reduce_implILb1ES3_N6thrust23THRUST_200600_302600_NS11hip_rocprim26transform_input_iterator_tIlPKhZN2at6native8ModeImplIbEclEPKbSI_EUlhE_EEPllNS8_4plusIlEEEE10hipError_tPvRmT1_T2_T3_mT4_P12ihipStream_tbEUlT_E0_NS1_11comp_targetILNS1_3genE9ELNS1_11target_archE1100ELNS1_3gpuE3ELNS1_3repE0EEENS1_30default_config_static_selectorELNS0_4arch9wavefront6targetE1EEEvSR_
                                        ; -- End function
	.section	.AMDGPU.csdata,"",@progbits
; Kernel info:
; codeLenInByte = 0
; NumSgprs: 4
; NumVgprs: 0
; NumAgprs: 0
; TotalNumVgprs: 0
; ScratchSize: 0
; MemoryBound: 0
; FloatMode: 240
; IeeeMode: 1
; LDSByteSize: 0 bytes/workgroup (compile time only)
; SGPRBlocks: 0
; VGPRBlocks: 0
; NumSGPRsForWavesPerEU: 4
; NumVGPRsForWavesPerEU: 1
; AccumOffset: 4
; Occupancy: 8
; WaveLimiterHint : 0
; COMPUTE_PGM_RSRC2:SCRATCH_EN: 0
; COMPUTE_PGM_RSRC2:USER_SGPR: 6
; COMPUTE_PGM_RSRC2:TRAP_HANDLER: 0
; COMPUTE_PGM_RSRC2:TGID_X_EN: 1
; COMPUTE_PGM_RSRC2:TGID_Y_EN: 0
; COMPUTE_PGM_RSRC2:TGID_Z_EN: 0
; COMPUTE_PGM_RSRC2:TIDIG_COMP_CNT: 0
; COMPUTE_PGM_RSRC3_GFX90A:ACCUM_OFFSET: 0
; COMPUTE_PGM_RSRC3_GFX90A:TG_SPLIT: 0
	.section	.text._ZN7rocprim17ROCPRIM_400000_NS6detail17trampoline_kernelINS0_14default_configENS1_22reduce_config_selectorIlEEZNS1_11reduce_implILb1ES3_N6thrust23THRUST_200600_302600_NS11hip_rocprim26transform_input_iterator_tIlPKhZN2at6native8ModeImplIbEclEPKbSI_EUlhE_EEPllNS8_4plusIlEEEE10hipError_tPvRmT1_T2_T3_mT4_P12ihipStream_tbEUlT_E0_NS1_11comp_targetILNS1_3genE8ELNS1_11target_archE1030ELNS1_3gpuE2ELNS1_3repE0EEENS1_30default_config_static_selectorELNS0_4arch9wavefront6targetE1EEEvSR_,"axG",@progbits,_ZN7rocprim17ROCPRIM_400000_NS6detail17trampoline_kernelINS0_14default_configENS1_22reduce_config_selectorIlEEZNS1_11reduce_implILb1ES3_N6thrust23THRUST_200600_302600_NS11hip_rocprim26transform_input_iterator_tIlPKhZN2at6native8ModeImplIbEclEPKbSI_EUlhE_EEPllNS8_4plusIlEEEE10hipError_tPvRmT1_T2_T3_mT4_P12ihipStream_tbEUlT_E0_NS1_11comp_targetILNS1_3genE8ELNS1_11target_archE1030ELNS1_3gpuE2ELNS1_3repE0EEENS1_30default_config_static_selectorELNS0_4arch9wavefront6targetE1EEEvSR_,comdat
	.protected	_ZN7rocprim17ROCPRIM_400000_NS6detail17trampoline_kernelINS0_14default_configENS1_22reduce_config_selectorIlEEZNS1_11reduce_implILb1ES3_N6thrust23THRUST_200600_302600_NS11hip_rocprim26transform_input_iterator_tIlPKhZN2at6native8ModeImplIbEclEPKbSI_EUlhE_EEPllNS8_4plusIlEEEE10hipError_tPvRmT1_T2_T3_mT4_P12ihipStream_tbEUlT_E0_NS1_11comp_targetILNS1_3genE8ELNS1_11target_archE1030ELNS1_3gpuE2ELNS1_3repE0EEENS1_30default_config_static_selectorELNS0_4arch9wavefront6targetE1EEEvSR_ ; -- Begin function _ZN7rocprim17ROCPRIM_400000_NS6detail17trampoline_kernelINS0_14default_configENS1_22reduce_config_selectorIlEEZNS1_11reduce_implILb1ES3_N6thrust23THRUST_200600_302600_NS11hip_rocprim26transform_input_iterator_tIlPKhZN2at6native8ModeImplIbEclEPKbSI_EUlhE_EEPllNS8_4plusIlEEEE10hipError_tPvRmT1_T2_T3_mT4_P12ihipStream_tbEUlT_E0_NS1_11comp_targetILNS1_3genE8ELNS1_11target_archE1030ELNS1_3gpuE2ELNS1_3repE0EEENS1_30default_config_static_selectorELNS0_4arch9wavefront6targetE1EEEvSR_
	.globl	_ZN7rocprim17ROCPRIM_400000_NS6detail17trampoline_kernelINS0_14default_configENS1_22reduce_config_selectorIlEEZNS1_11reduce_implILb1ES3_N6thrust23THRUST_200600_302600_NS11hip_rocprim26transform_input_iterator_tIlPKhZN2at6native8ModeImplIbEclEPKbSI_EUlhE_EEPllNS8_4plusIlEEEE10hipError_tPvRmT1_T2_T3_mT4_P12ihipStream_tbEUlT_E0_NS1_11comp_targetILNS1_3genE8ELNS1_11target_archE1030ELNS1_3gpuE2ELNS1_3repE0EEENS1_30default_config_static_selectorELNS0_4arch9wavefront6targetE1EEEvSR_
	.p2align	8
	.type	_ZN7rocprim17ROCPRIM_400000_NS6detail17trampoline_kernelINS0_14default_configENS1_22reduce_config_selectorIlEEZNS1_11reduce_implILb1ES3_N6thrust23THRUST_200600_302600_NS11hip_rocprim26transform_input_iterator_tIlPKhZN2at6native8ModeImplIbEclEPKbSI_EUlhE_EEPllNS8_4plusIlEEEE10hipError_tPvRmT1_T2_T3_mT4_P12ihipStream_tbEUlT_E0_NS1_11comp_targetILNS1_3genE8ELNS1_11target_archE1030ELNS1_3gpuE2ELNS1_3repE0EEENS1_30default_config_static_selectorELNS0_4arch9wavefront6targetE1EEEvSR_,@function
_ZN7rocprim17ROCPRIM_400000_NS6detail17trampoline_kernelINS0_14default_configENS1_22reduce_config_selectorIlEEZNS1_11reduce_implILb1ES3_N6thrust23THRUST_200600_302600_NS11hip_rocprim26transform_input_iterator_tIlPKhZN2at6native8ModeImplIbEclEPKbSI_EUlhE_EEPllNS8_4plusIlEEEE10hipError_tPvRmT1_T2_T3_mT4_P12ihipStream_tbEUlT_E0_NS1_11comp_targetILNS1_3genE8ELNS1_11target_archE1030ELNS1_3gpuE2ELNS1_3repE0EEENS1_30default_config_static_selectorELNS0_4arch9wavefront6targetE1EEEvSR_: ; @_ZN7rocprim17ROCPRIM_400000_NS6detail17trampoline_kernelINS0_14default_configENS1_22reduce_config_selectorIlEEZNS1_11reduce_implILb1ES3_N6thrust23THRUST_200600_302600_NS11hip_rocprim26transform_input_iterator_tIlPKhZN2at6native8ModeImplIbEclEPKbSI_EUlhE_EEPllNS8_4plusIlEEEE10hipError_tPvRmT1_T2_T3_mT4_P12ihipStream_tbEUlT_E0_NS1_11comp_targetILNS1_3genE8ELNS1_11target_archE1030ELNS1_3gpuE2ELNS1_3repE0EEENS1_30default_config_static_selectorELNS0_4arch9wavefront6targetE1EEEvSR_
; %bb.0:
	.section	.rodata,"a",@progbits
	.p2align	6, 0x0
	.amdhsa_kernel _ZN7rocprim17ROCPRIM_400000_NS6detail17trampoline_kernelINS0_14default_configENS1_22reduce_config_selectorIlEEZNS1_11reduce_implILb1ES3_N6thrust23THRUST_200600_302600_NS11hip_rocprim26transform_input_iterator_tIlPKhZN2at6native8ModeImplIbEclEPKbSI_EUlhE_EEPllNS8_4plusIlEEEE10hipError_tPvRmT1_T2_T3_mT4_P12ihipStream_tbEUlT_E0_NS1_11comp_targetILNS1_3genE8ELNS1_11target_archE1030ELNS1_3gpuE2ELNS1_3repE0EEENS1_30default_config_static_selectorELNS0_4arch9wavefront6targetE1EEEvSR_
		.amdhsa_group_segment_fixed_size 0
		.amdhsa_private_segment_fixed_size 0
		.amdhsa_kernarg_size 72
		.amdhsa_user_sgpr_count 6
		.amdhsa_user_sgpr_private_segment_buffer 1
		.amdhsa_user_sgpr_dispatch_ptr 0
		.amdhsa_user_sgpr_queue_ptr 0
		.amdhsa_user_sgpr_kernarg_segment_ptr 1
		.amdhsa_user_sgpr_dispatch_id 0
		.amdhsa_user_sgpr_flat_scratch_init 0
		.amdhsa_user_sgpr_kernarg_preload_length 0
		.amdhsa_user_sgpr_kernarg_preload_offset 0
		.amdhsa_user_sgpr_private_segment_size 0
		.amdhsa_uses_dynamic_stack 0
		.amdhsa_system_sgpr_private_segment_wavefront_offset 0
		.amdhsa_system_sgpr_workgroup_id_x 1
		.amdhsa_system_sgpr_workgroup_id_y 0
		.amdhsa_system_sgpr_workgroup_id_z 0
		.amdhsa_system_sgpr_workgroup_info 0
		.amdhsa_system_vgpr_workitem_id 0
		.amdhsa_next_free_vgpr 1
		.amdhsa_next_free_sgpr 0
		.amdhsa_accum_offset 4
		.amdhsa_reserve_vcc 0
		.amdhsa_reserve_flat_scratch 0
		.amdhsa_float_round_mode_32 0
		.amdhsa_float_round_mode_16_64 0
		.amdhsa_float_denorm_mode_32 3
		.amdhsa_float_denorm_mode_16_64 3
		.amdhsa_dx10_clamp 1
		.amdhsa_ieee_mode 1
		.amdhsa_fp16_overflow 0
		.amdhsa_tg_split 0
		.amdhsa_exception_fp_ieee_invalid_op 0
		.amdhsa_exception_fp_denorm_src 0
		.amdhsa_exception_fp_ieee_div_zero 0
		.amdhsa_exception_fp_ieee_overflow 0
		.amdhsa_exception_fp_ieee_underflow 0
		.amdhsa_exception_fp_ieee_inexact 0
		.amdhsa_exception_int_div_zero 0
	.end_amdhsa_kernel
	.section	.text._ZN7rocprim17ROCPRIM_400000_NS6detail17trampoline_kernelINS0_14default_configENS1_22reduce_config_selectorIlEEZNS1_11reduce_implILb1ES3_N6thrust23THRUST_200600_302600_NS11hip_rocprim26transform_input_iterator_tIlPKhZN2at6native8ModeImplIbEclEPKbSI_EUlhE_EEPllNS8_4plusIlEEEE10hipError_tPvRmT1_T2_T3_mT4_P12ihipStream_tbEUlT_E0_NS1_11comp_targetILNS1_3genE8ELNS1_11target_archE1030ELNS1_3gpuE2ELNS1_3repE0EEENS1_30default_config_static_selectorELNS0_4arch9wavefront6targetE1EEEvSR_,"axG",@progbits,_ZN7rocprim17ROCPRIM_400000_NS6detail17trampoline_kernelINS0_14default_configENS1_22reduce_config_selectorIlEEZNS1_11reduce_implILb1ES3_N6thrust23THRUST_200600_302600_NS11hip_rocprim26transform_input_iterator_tIlPKhZN2at6native8ModeImplIbEclEPKbSI_EUlhE_EEPllNS8_4plusIlEEEE10hipError_tPvRmT1_T2_T3_mT4_P12ihipStream_tbEUlT_E0_NS1_11comp_targetILNS1_3genE8ELNS1_11target_archE1030ELNS1_3gpuE2ELNS1_3repE0EEENS1_30default_config_static_selectorELNS0_4arch9wavefront6targetE1EEEvSR_,comdat
.Lfunc_end26:
	.size	_ZN7rocprim17ROCPRIM_400000_NS6detail17trampoline_kernelINS0_14default_configENS1_22reduce_config_selectorIlEEZNS1_11reduce_implILb1ES3_N6thrust23THRUST_200600_302600_NS11hip_rocprim26transform_input_iterator_tIlPKhZN2at6native8ModeImplIbEclEPKbSI_EUlhE_EEPllNS8_4plusIlEEEE10hipError_tPvRmT1_T2_T3_mT4_P12ihipStream_tbEUlT_E0_NS1_11comp_targetILNS1_3genE8ELNS1_11target_archE1030ELNS1_3gpuE2ELNS1_3repE0EEENS1_30default_config_static_selectorELNS0_4arch9wavefront6targetE1EEEvSR_, .Lfunc_end26-_ZN7rocprim17ROCPRIM_400000_NS6detail17trampoline_kernelINS0_14default_configENS1_22reduce_config_selectorIlEEZNS1_11reduce_implILb1ES3_N6thrust23THRUST_200600_302600_NS11hip_rocprim26transform_input_iterator_tIlPKhZN2at6native8ModeImplIbEclEPKbSI_EUlhE_EEPllNS8_4plusIlEEEE10hipError_tPvRmT1_T2_T3_mT4_P12ihipStream_tbEUlT_E0_NS1_11comp_targetILNS1_3genE8ELNS1_11target_archE1030ELNS1_3gpuE2ELNS1_3repE0EEENS1_30default_config_static_selectorELNS0_4arch9wavefront6targetE1EEEvSR_
                                        ; -- End function
	.section	.AMDGPU.csdata,"",@progbits
; Kernel info:
; codeLenInByte = 0
; NumSgprs: 4
; NumVgprs: 0
; NumAgprs: 0
; TotalNumVgprs: 0
; ScratchSize: 0
; MemoryBound: 0
; FloatMode: 240
; IeeeMode: 1
; LDSByteSize: 0 bytes/workgroup (compile time only)
; SGPRBlocks: 0
; VGPRBlocks: 0
; NumSGPRsForWavesPerEU: 4
; NumVGPRsForWavesPerEU: 1
; AccumOffset: 4
; Occupancy: 8
; WaveLimiterHint : 0
; COMPUTE_PGM_RSRC2:SCRATCH_EN: 0
; COMPUTE_PGM_RSRC2:USER_SGPR: 6
; COMPUTE_PGM_RSRC2:TRAP_HANDLER: 0
; COMPUTE_PGM_RSRC2:TGID_X_EN: 1
; COMPUTE_PGM_RSRC2:TGID_Y_EN: 0
; COMPUTE_PGM_RSRC2:TGID_Z_EN: 0
; COMPUTE_PGM_RSRC2:TIDIG_COMP_CNT: 0
; COMPUTE_PGM_RSRC3_GFX90A:ACCUM_OFFSET: 0
; COMPUTE_PGM_RSRC3_GFX90A:TG_SPLIT: 0
	.section	.text._ZN7rocprim17ROCPRIM_400000_NS6detail17trampoline_kernelINS0_14default_configENS1_22reduce_config_selectorIlEEZNS1_11reduce_implILb1ES3_N6thrust23THRUST_200600_302600_NS11hip_rocprim26transform_input_iterator_tIlPKhZN2at6native8ModeImplIbEclEPKbSI_EUlhE_EEPllNS8_4plusIlEEEE10hipError_tPvRmT1_T2_T3_mT4_P12ihipStream_tbEUlT_E1_NS1_11comp_targetILNS1_3genE0ELNS1_11target_archE4294967295ELNS1_3gpuE0ELNS1_3repE0EEENS1_30default_config_static_selectorELNS0_4arch9wavefront6targetE1EEEvSR_,"axG",@progbits,_ZN7rocprim17ROCPRIM_400000_NS6detail17trampoline_kernelINS0_14default_configENS1_22reduce_config_selectorIlEEZNS1_11reduce_implILb1ES3_N6thrust23THRUST_200600_302600_NS11hip_rocprim26transform_input_iterator_tIlPKhZN2at6native8ModeImplIbEclEPKbSI_EUlhE_EEPllNS8_4plusIlEEEE10hipError_tPvRmT1_T2_T3_mT4_P12ihipStream_tbEUlT_E1_NS1_11comp_targetILNS1_3genE0ELNS1_11target_archE4294967295ELNS1_3gpuE0ELNS1_3repE0EEENS1_30default_config_static_selectorELNS0_4arch9wavefront6targetE1EEEvSR_,comdat
	.protected	_ZN7rocprim17ROCPRIM_400000_NS6detail17trampoline_kernelINS0_14default_configENS1_22reduce_config_selectorIlEEZNS1_11reduce_implILb1ES3_N6thrust23THRUST_200600_302600_NS11hip_rocprim26transform_input_iterator_tIlPKhZN2at6native8ModeImplIbEclEPKbSI_EUlhE_EEPllNS8_4plusIlEEEE10hipError_tPvRmT1_T2_T3_mT4_P12ihipStream_tbEUlT_E1_NS1_11comp_targetILNS1_3genE0ELNS1_11target_archE4294967295ELNS1_3gpuE0ELNS1_3repE0EEENS1_30default_config_static_selectorELNS0_4arch9wavefront6targetE1EEEvSR_ ; -- Begin function _ZN7rocprim17ROCPRIM_400000_NS6detail17trampoline_kernelINS0_14default_configENS1_22reduce_config_selectorIlEEZNS1_11reduce_implILb1ES3_N6thrust23THRUST_200600_302600_NS11hip_rocprim26transform_input_iterator_tIlPKhZN2at6native8ModeImplIbEclEPKbSI_EUlhE_EEPllNS8_4plusIlEEEE10hipError_tPvRmT1_T2_T3_mT4_P12ihipStream_tbEUlT_E1_NS1_11comp_targetILNS1_3genE0ELNS1_11target_archE4294967295ELNS1_3gpuE0ELNS1_3repE0EEENS1_30default_config_static_selectorELNS0_4arch9wavefront6targetE1EEEvSR_
	.globl	_ZN7rocprim17ROCPRIM_400000_NS6detail17trampoline_kernelINS0_14default_configENS1_22reduce_config_selectorIlEEZNS1_11reduce_implILb1ES3_N6thrust23THRUST_200600_302600_NS11hip_rocprim26transform_input_iterator_tIlPKhZN2at6native8ModeImplIbEclEPKbSI_EUlhE_EEPllNS8_4plusIlEEEE10hipError_tPvRmT1_T2_T3_mT4_P12ihipStream_tbEUlT_E1_NS1_11comp_targetILNS1_3genE0ELNS1_11target_archE4294967295ELNS1_3gpuE0ELNS1_3repE0EEENS1_30default_config_static_selectorELNS0_4arch9wavefront6targetE1EEEvSR_
	.p2align	8
	.type	_ZN7rocprim17ROCPRIM_400000_NS6detail17trampoline_kernelINS0_14default_configENS1_22reduce_config_selectorIlEEZNS1_11reduce_implILb1ES3_N6thrust23THRUST_200600_302600_NS11hip_rocprim26transform_input_iterator_tIlPKhZN2at6native8ModeImplIbEclEPKbSI_EUlhE_EEPllNS8_4plusIlEEEE10hipError_tPvRmT1_T2_T3_mT4_P12ihipStream_tbEUlT_E1_NS1_11comp_targetILNS1_3genE0ELNS1_11target_archE4294967295ELNS1_3gpuE0ELNS1_3repE0EEENS1_30default_config_static_selectorELNS0_4arch9wavefront6targetE1EEEvSR_,@function
_ZN7rocprim17ROCPRIM_400000_NS6detail17trampoline_kernelINS0_14default_configENS1_22reduce_config_selectorIlEEZNS1_11reduce_implILb1ES3_N6thrust23THRUST_200600_302600_NS11hip_rocprim26transform_input_iterator_tIlPKhZN2at6native8ModeImplIbEclEPKbSI_EUlhE_EEPllNS8_4plusIlEEEE10hipError_tPvRmT1_T2_T3_mT4_P12ihipStream_tbEUlT_E1_NS1_11comp_targetILNS1_3genE0ELNS1_11target_archE4294967295ELNS1_3gpuE0ELNS1_3repE0EEENS1_30default_config_static_selectorELNS0_4arch9wavefront6targetE1EEEvSR_: ; @_ZN7rocprim17ROCPRIM_400000_NS6detail17trampoline_kernelINS0_14default_configENS1_22reduce_config_selectorIlEEZNS1_11reduce_implILb1ES3_N6thrust23THRUST_200600_302600_NS11hip_rocprim26transform_input_iterator_tIlPKhZN2at6native8ModeImplIbEclEPKbSI_EUlhE_EEPllNS8_4plusIlEEEE10hipError_tPvRmT1_T2_T3_mT4_P12ihipStream_tbEUlT_E1_NS1_11comp_targetILNS1_3genE0ELNS1_11target_archE4294967295ELNS1_3gpuE0ELNS1_3repE0EEENS1_30default_config_static_selectorELNS0_4arch9wavefront6targetE1EEEvSR_
; %bb.0:
	.section	.rodata,"a",@progbits
	.p2align	6, 0x0
	.amdhsa_kernel _ZN7rocprim17ROCPRIM_400000_NS6detail17trampoline_kernelINS0_14default_configENS1_22reduce_config_selectorIlEEZNS1_11reduce_implILb1ES3_N6thrust23THRUST_200600_302600_NS11hip_rocprim26transform_input_iterator_tIlPKhZN2at6native8ModeImplIbEclEPKbSI_EUlhE_EEPllNS8_4plusIlEEEE10hipError_tPvRmT1_T2_T3_mT4_P12ihipStream_tbEUlT_E1_NS1_11comp_targetILNS1_3genE0ELNS1_11target_archE4294967295ELNS1_3gpuE0ELNS1_3repE0EEENS1_30default_config_static_selectorELNS0_4arch9wavefront6targetE1EEEvSR_
		.amdhsa_group_segment_fixed_size 0
		.amdhsa_private_segment_fixed_size 0
		.amdhsa_kernarg_size 56
		.amdhsa_user_sgpr_count 6
		.amdhsa_user_sgpr_private_segment_buffer 1
		.amdhsa_user_sgpr_dispatch_ptr 0
		.amdhsa_user_sgpr_queue_ptr 0
		.amdhsa_user_sgpr_kernarg_segment_ptr 1
		.amdhsa_user_sgpr_dispatch_id 0
		.amdhsa_user_sgpr_flat_scratch_init 0
		.amdhsa_user_sgpr_kernarg_preload_length 0
		.amdhsa_user_sgpr_kernarg_preload_offset 0
		.amdhsa_user_sgpr_private_segment_size 0
		.amdhsa_uses_dynamic_stack 0
		.amdhsa_system_sgpr_private_segment_wavefront_offset 0
		.amdhsa_system_sgpr_workgroup_id_x 1
		.amdhsa_system_sgpr_workgroup_id_y 0
		.amdhsa_system_sgpr_workgroup_id_z 0
		.amdhsa_system_sgpr_workgroup_info 0
		.amdhsa_system_vgpr_workitem_id 0
		.amdhsa_next_free_vgpr 1
		.amdhsa_next_free_sgpr 0
		.amdhsa_accum_offset 4
		.amdhsa_reserve_vcc 0
		.amdhsa_reserve_flat_scratch 0
		.amdhsa_float_round_mode_32 0
		.amdhsa_float_round_mode_16_64 0
		.amdhsa_float_denorm_mode_32 3
		.amdhsa_float_denorm_mode_16_64 3
		.amdhsa_dx10_clamp 1
		.amdhsa_ieee_mode 1
		.amdhsa_fp16_overflow 0
		.amdhsa_tg_split 0
		.amdhsa_exception_fp_ieee_invalid_op 0
		.amdhsa_exception_fp_denorm_src 0
		.amdhsa_exception_fp_ieee_div_zero 0
		.amdhsa_exception_fp_ieee_overflow 0
		.amdhsa_exception_fp_ieee_underflow 0
		.amdhsa_exception_fp_ieee_inexact 0
		.amdhsa_exception_int_div_zero 0
	.end_amdhsa_kernel
	.section	.text._ZN7rocprim17ROCPRIM_400000_NS6detail17trampoline_kernelINS0_14default_configENS1_22reduce_config_selectorIlEEZNS1_11reduce_implILb1ES3_N6thrust23THRUST_200600_302600_NS11hip_rocprim26transform_input_iterator_tIlPKhZN2at6native8ModeImplIbEclEPKbSI_EUlhE_EEPllNS8_4plusIlEEEE10hipError_tPvRmT1_T2_T3_mT4_P12ihipStream_tbEUlT_E1_NS1_11comp_targetILNS1_3genE0ELNS1_11target_archE4294967295ELNS1_3gpuE0ELNS1_3repE0EEENS1_30default_config_static_selectorELNS0_4arch9wavefront6targetE1EEEvSR_,"axG",@progbits,_ZN7rocprim17ROCPRIM_400000_NS6detail17trampoline_kernelINS0_14default_configENS1_22reduce_config_selectorIlEEZNS1_11reduce_implILb1ES3_N6thrust23THRUST_200600_302600_NS11hip_rocprim26transform_input_iterator_tIlPKhZN2at6native8ModeImplIbEclEPKbSI_EUlhE_EEPllNS8_4plusIlEEEE10hipError_tPvRmT1_T2_T3_mT4_P12ihipStream_tbEUlT_E1_NS1_11comp_targetILNS1_3genE0ELNS1_11target_archE4294967295ELNS1_3gpuE0ELNS1_3repE0EEENS1_30default_config_static_selectorELNS0_4arch9wavefront6targetE1EEEvSR_,comdat
.Lfunc_end27:
	.size	_ZN7rocprim17ROCPRIM_400000_NS6detail17trampoline_kernelINS0_14default_configENS1_22reduce_config_selectorIlEEZNS1_11reduce_implILb1ES3_N6thrust23THRUST_200600_302600_NS11hip_rocprim26transform_input_iterator_tIlPKhZN2at6native8ModeImplIbEclEPKbSI_EUlhE_EEPllNS8_4plusIlEEEE10hipError_tPvRmT1_T2_T3_mT4_P12ihipStream_tbEUlT_E1_NS1_11comp_targetILNS1_3genE0ELNS1_11target_archE4294967295ELNS1_3gpuE0ELNS1_3repE0EEENS1_30default_config_static_selectorELNS0_4arch9wavefront6targetE1EEEvSR_, .Lfunc_end27-_ZN7rocprim17ROCPRIM_400000_NS6detail17trampoline_kernelINS0_14default_configENS1_22reduce_config_selectorIlEEZNS1_11reduce_implILb1ES3_N6thrust23THRUST_200600_302600_NS11hip_rocprim26transform_input_iterator_tIlPKhZN2at6native8ModeImplIbEclEPKbSI_EUlhE_EEPllNS8_4plusIlEEEE10hipError_tPvRmT1_T2_T3_mT4_P12ihipStream_tbEUlT_E1_NS1_11comp_targetILNS1_3genE0ELNS1_11target_archE4294967295ELNS1_3gpuE0ELNS1_3repE0EEENS1_30default_config_static_selectorELNS0_4arch9wavefront6targetE1EEEvSR_
                                        ; -- End function
	.section	.AMDGPU.csdata,"",@progbits
; Kernel info:
; codeLenInByte = 0
; NumSgprs: 4
; NumVgprs: 0
; NumAgprs: 0
; TotalNumVgprs: 0
; ScratchSize: 0
; MemoryBound: 0
; FloatMode: 240
; IeeeMode: 1
; LDSByteSize: 0 bytes/workgroup (compile time only)
; SGPRBlocks: 0
; VGPRBlocks: 0
; NumSGPRsForWavesPerEU: 4
; NumVGPRsForWavesPerEU: 1
; AccumOffset: 4
; Occupancy: 8
; WaveLimiterHint : 0
; COMPUTE_PGM_RSRC2:SCRATCH_EN: 0
; COMPUTE_PGM_RSRC2:USER_SGPR: 6
; COMPUTE_PGM_RSRC2:TRAP_HANDLER: 0
; COMPUTE_PGM_RSRC2:TGID_X_EN: 1
; COMPUTE_PGM_RSRC2:TGID_Y_EN: 0
; COMPUTE_PGM_RSRC2:TGID_Z_EN: 0
; COMPUTE_PGM_RSRC2:TIDIG_COMP_CNT: 0
; COMPUTE_PGM_RSRC3_GFX90A:ACCUM_OFFSET: 0
; COMPUTE_PGM_RSRC3_GFX90A:TG_SPLIT: 0
	.section	.text._ZN7rocprim17ROCPRIM_400000_NS6detail17trampoline_kernelINS0_14default_configENS1_22reduce_config_selectorIlEEZNS1_11reduce_implILb1ES3_N6thrust23THRUST_200600_302600_NS11hip_rocprim26transform_input_iterator_tIlPKhZN2at6native8ModeImplIbEclEPKbSI_EUlhE_EEPllNS8_4plusIlEEEE10hipError_tPvRmT1_T2_T3_mT4_P12ihipStream_tbEUlT_E1_NS1_11comp_targetILNS1_3genE5ELNS1_11target_archE942ELNS1_3gpuE9ELNS1_3repE0EEENS1_30default_config_static_selectorELNS0_4arch9wavefront6targetE1EEEvSR_,"axG",@progbits,_ZN7rocprim17ROCPRIM_400000_NS6detail17trampoline_kernelINS0_14default_configENS1_22reduce_config_selectorIlEEZNS1_11reduce_implILb1ES3_N6thrust23THRUST_200600_302600_NS11hip_rocprim26transform_input_iterator_tIlPKhZN2at6native8ModeImplIbEclEPKbSI_EUlhE_EEPllNS8_4plusIlEEEE10hipError_tPvRmT1_T2_T3_mT4_P12ihipStream_tbEUlT_E1_NS1_11comp_targetILNS1_3genE5ELNS1_11target_archE942ELNS1_3gpuE9ELNS1_3repE0EEENS1_30default_config_static_selectorELNS0_4arch9wavefront6targetE1EEEvSR_,comdat
	.protected	_ZN7rocprim17ROCPRIM_400000_NS6detail17trampoline_kernelINS0_14default_configENS1_22reduce_config_selectorIlEEZNS1_11reduce_implILb1ES3_N6thrust23THRUST_200600_302600_NS11hip_rocprim26transform_input_iterator_tIlPKhZN2at6native8ModeImplIbEclEPKbSI_EUlhE_EEPllNS8_4plusIlEEEE10hipError_tPvRmT1_T2_T3_mT4_P12ihipStream_tbEUlT_E1_NS1_11comp_targetILNS1_3genE5ELNS1_11target_archE942ELNS1_3gpuE9ELNS1_3repE0EEENS1_30default_config_static_selectorELNS0_4arch9wavefront6targetE1EEEvSR_ ; -- Begin function _ZN7rocprim17ROCPRIM_400000_NS6detail17trampoline_kernelINS0_14default_configENS1_22reduce_config_selectorIlEEZNS1_11reduce_implILb1ES3_N6thrust23THRUST_200600_302600_NS11hip_rocprim26transform_input_iterator_tIlPKhZN2at6native8ModeImplIbEclEPKbSI_EUlhE_EEPllNS8_4plusIlEEEE10hipError_tPvRmT1_T2_T3_mT4_P12ihipStream_tbEUlT_E1_NS1_11comp_targetILNS1_3genE5ELNS1_11target_archE942ELNS1_3gpuE9ELNS1_3repE0EEENS1_30default_config_static_selectorELNS0_4arch9wavefront6targetE1EEEvSR_
	.globl	_ZN7rocprim17ROCPRIM_400000_NS6detail17trampoline_kernelINS0_14default_configENS1_22reduce_config_selectorIlEEZNS1_11reduce_implILb1ES3_N6thrust23THRUST_200600_302600_NS11hip_rocprim26transform_input_iterator_tIlPKhZN2at6native8ModeImplIbEclEPKbSI_EUlhE_EEPllNS8_4plusIlEEEE10hipError_tPvRmT1_T2_T3_mT4_P12ihipStream_tbEUlT_E1_NS1_11comp_targetILNS1_3genE5ELNS1_11target_archE942ELNS1_3gpuE9ELNS1_3repE0EEENS1_30default_config_static_selectorELNS0_4arch9wavefront6targetE1EEEvSR_
	.p2align	8
	.type	_ZN7rocprim17ROCPRIM_400000_NS6detail17trampoline_kernelINS0_14default_configENS1_22reduce_config_selectorIlEEZNS1_11reduce_implILb1ES3_N6thrust23THRUST_200600_302600_NS11hip_rocprim26transform_input_iterator_tIlPKhZN2at6native8ModeImplIbEclEPKbSI_EUlhE_EEPllNS8_4plusIlEEEE10hipError_tPvRmT1_T2_T3_mT4_P12ihipStream_tbEUlT_E1_NS1_11comp_targetILNS1_3genE5ELNS1_11target_archE942ELNS1_3gpuE9ELNS1_3repE0EEENS1_30default_config_static_selectorELNS0_4arch9wavefront6targetE1EEEvSR_,@function
_ZN7rocprim17ROCPRIM_400000_NS6detail17trampoline_kernelINS0_14default_configENS1_22reduce_config_selectorIlEEZNS1_11reduce_implILb1ES3_N6thrust23THRUST_200600_302600_NS11hip_rocprim26transform_input_iterator_tIlPKhZN2at6native8ModeImplIbEclEPKbSI_EUlhE_EEPllNS8_4plusIlEEEE10hipError_tPvRmT1_T2_T3_mT4_P12ihipStream_tbEUlT_E1_NS1_11comp_targetILNS1_3genE5ELNS1_11target_archE942ELNS1_3gpuE9ELNS1_3repE0EEENS1_30default_config_static_selectorELNS0_4arch9wavefront6targetE1EEEvSR_: ; @_ZN7rocprim17ROCPRIM_400000_NS6detail17trampoline_kernelINS0_14default_configENS1_22reduce_config_selectorIlEEZNS1_11reduce_implILb1ES3_N6thrust23THRUST_200600_302600_NS11hip_rocprim26transform_input_iterator_tIlPKhZN2at6native8ModeImplIbEclEPKbSI_EUlhE_EEPllNS8_4plusIlEEEE10hipError_tPvRmT1_T2_T3_mT4_P12ihipStream_tbEUlT_E1_NS1_11comp_targetILNS1_3genE5ELNS1_11target_archE942ELNS1_3gpuE9ELNS1_3repE0EEENS1_30default_config_static_selectorELNS0_4arch9wavefront6targetE1EEEvSR_
; %bb.0:
	.section	.rodata,"a",@progbits
	.p2align	6, 0x0
	.amdhsa_kernel _ZN7rocprim17ROCPRIM_400000_NS6detail17trampoline_kernelINS0_14default_configENS1_22reduce_config_selectorIlEEZNS1_11reduce_implILb1ES3_N6thrust23THRUST_200600_302600_NS11hip_rocprim26transform_input_iterator_tIlPKhZN2at6native8ModeImplIbEclEPKbSI_EUlhE_EEPllNS8_4plusIlEEEE10hipError_tPvRmT1_T2_T3_mT4_P12ihipStream_tbEUlT_E1_NS1_11comp_targetILNS1_3genE5ELNS1_11target_archE942ELNS1_3gpuE9ELNS1_3repE0EEENS1_30default_config_static_selectorELNS0_4arch9wavefront6targetE1EEEvSR_
		.amdhsa_group_segment_fixed_size 0
		.amdhsa_private_segment_fixed_size 0
		.amdhsa_kernarg_size 56
		.amdhsa_user_sgpr_count 6
		.amdhsa_user_sgpr_private_segment_buffer 1
		.amdhsa_user_sgpr_dispatch_ptr 0
		.amdhsa_user_sgpr_queue_ptr 0
		.amdhsa_user_sgpr_kernarg_segment_ptr 1
		.amdhsa_user_sgpr_dispatch_id 0
		.amdhsa_user_sgpr_flat_scratch_init 0
		.amdhsa_user_sgpr_kernarg_preload_length 0
		.amdhsa_user_sgpr_kernarg_preload_offset 0
		.amdhsa_user_sgpr_private_segment_size 0
		.amdhsa_uses_dynamic_stack 0
		.amdhsa_system_sgpr_private_segment_wavefront_offset 0
		.amdhsa_system_sgpr_workgroup_id_x 1
		.amdhsa_system_sgpr_workgroup_id_y 0
		.amdhsa_system_sgpr_workgroup_id_z 0
		.amdhsa_system_sgpr_workgroup_info 0
		.amdhsa_system_vgpr_workitem_id 0
		.amdhsa_next_free_vgpr 1
		.amdhsa_next_free_sgpr 0
		.amdhsa_accum_offset 4
		.amdhsa_reserve_vcc 0
		.amdhsa_reserve_flat_scratch 0
		.amdhsa_float_round_mode_32 0
		.amdhsa_float_round_mode_16_64 0
		.amdhsa_float_denorm_mode_32 3
		.amdhsa_float_denorm_mode_16_64 3
		.amdhsa_dx10_clamp 1
		.amdhsa_ieee_mode 1
		.amdhsa_fp16_overflow 0
		.amdhsa_tg_split 0
		.amdhsa_exception_fp_ieee_invalid_op 0
		.amdhsa_exception_fp_denorm_src 0
		.amdhsa_exception_fp_ieee_div_zero 0
		.amdhsa_exception_fp_ieee_overflow 0
		.amdhsa_exception_fp_ieee_underflow 0
		.amdhsa_exception_fp_ieee_inexact 0
		.amdhsa_exception_int_div_zero 0
	.end_amdhsa_kernel
	.section	.text._ZN7rocprim17ROCPRIM_400000_NS6detail17trampoline_kernelINS0_14default_configENS1_22reduce_config_selectorIlEEZNS1_11reduce_implILb1ES3_N6thrust23THRUST_200600_302600_NS11hip_rocprim26transform_input_iterator_tIlPKhZN2at6native8ModeImplIbEclEPKbSI_EUlhE_EEPllNS8_4plusIlEEEE10hipError_tPvRmT1_T2_T3_mT4_P12ihipStream_tbEUlT_E1_NS1_11comp_targetILNS1_3genE5ELNS1_11target_archE942ELNS1_3gpuE9ELNS1_3repE0EEENS1_30default_config_static_selectorELNS0_4arch9wavefront6targetE1EEEvSR_,"axG",@progbits,_ZN7rocprim17ROCPRIM_400000_NS6detail17trampoline_kernelINS0_14default_configENS1_22reduce_config_selectorIlEEZNS1_11reduce_implILb1ES3_N6thrust23THRUST_200600_302600_NS11hip_rocprim26transform_input_iterator_tIlPKhZN2at6native8ModeImplIbEclEPKbSI_EUlhE_EEPllNS8_4plusIlEEEE10hipError_tPvRmT1_T2_T3_mT4_P12ihipStream_tbEUlT_E1_NS1_11comp_targetILNS1_3genE5ELNS1_11target_archE942ELNS1_3gpuE9ELNS1_3repE0EEENS1_30default_config_static_selectorELNS0_4arch9wavefront6targetE1EEEvSR_,comdat
.Lfunc_end28:
	.size	_ZN7rocprim17ROCPRIM_400000_NS6detail17trampoline_kernelINS0_14default_configENS1_22reduce_config_selectorIlEEZNS1_11reduce_implILb1ES3_N6thrust23THRUST_200600_302600_NS11hip_rocprim26transform_input_iterator_tIlPKhZN2at6native8ModeImplIbEclEPKbSI_EUlhE_EEPllNS8_4plusIlEEEE10hipError_tPvRmT1_T2_T3_mT4_P12ihipStream_tbEUlT_E1_NS1_11comp_targetILNS1_3genE5ELNS1_11target_archE942ELNS1_3gpuE9ELNS1_3repE0EEENS1_30default_config_static_selectorELNS0_4arch9wavefront6targetE1EEEvSR_, .Lfunc_end28-_ZN7rocprim17ROCPRIM_400000_NS6detail17trampoline_kernelINS0_14default_configENS1_22reduce_config_selectorIlEEZNS1_11reduce_implILb1ES3_N6thrust23THRUST_200600_302600_NS11hip_rocprim26transform_input_iterator_tIlPKhZN2at6native8ModeImplIbEclEPKbSI_EUlhE_EEPllNS8_4plusIlEEEE10hipError_tPvRmT1_T2_T3_mT4_P12ihipStream_tbEUlT_E1_NS1_11comp_targetILNS1_3genE5ELNS1_11target_archE942ELNS1_3gpuE9ELNS1_3repE0EEENS1_30default_config_static_selectorELNS0_4arch9wavefront6targetE1EEEvSR_
                                        ; -- End function
	.section	.AMDGPU.csdata,"",@progbits
; Kernel info:
; codeLenInByte = 0
; NumSgprs: 4
; NumVgprs: 0
; NumAgprs: 0
; TotalNumVgprs: 0
; ScratchSize: 0
; MemoryBound: 0
; FloatMode: 240
; IeeeMode: 1
; LDSByteSize: 0 bytes/workgroup (compile time only)
; SGPRBlocks: 0
; VGPRBlocks: 0
; NumSGPRsForWavesPerEU: 4
; NumVGPRsForWavesPerEU: 1
; AccumOffset: 4
; Occupancy: 8
; WaveLimiterHint : 0
; COMPUTE_PGM_RSRC2:SCRATCH_EN: 0
; COMPUTE_PGM_RSRC2:USER_SGPR: 6
; COMPUTE_PGM_RSRC2:TRAP_HANDLER: 0
; COMPUTE_PGM_RSRC2:TGID_X_EN: 1
; COMPUTE_PGM_RSRC2:TGID_Y_EN: 0
; COMPUTE_PGM_RSRC2:TGID_Z_EN: 0
; COMPUTE_PGM_RSRC2:TIDIG_COMP_CNT: 0
; COMPUTE_PGM_RSRC3_GFX90A:ACCUM_OFFSET: 0
; COMPUTE_PGM_RSRC3_GFX90A:TG_SPLIT: 0
	.section	.text._ZN7rocprim17ROCPRIM_400000_NS6detail17trampoline_kernelINS0_14default_configENS1_22reduce_config_selectorIlEEZNS1_11reduce_implILb1ES3_N6thrust23THRUST_200600_302600_NS11hip_rocprim26transform_input_iterator_tIlPKhZN2at6native8ModeImplIbEclEPKbSI_EUlhE_EEPllNS8_4plusIlEEEE10hipError_tPvRmT1_T2_T3_mT4_P12ihipStream_tbEUlT_E1_NS1_11comp_targetILNS1_3genE4ELNS1_11target_archE910ELNS1_3gpuE8ELNS1_3repE0EEENS1_30default_config_static_selectorELNS0_4arch9wavefront6targetE1EEEvSR_,"axG",@progbits,_ZN7rocprim17ROCPRIM_400000_NS6detail17trampoline_kernelINS0_14default_configENS1_22reduce_config_selectorIlEEZNS1_11reduce_implILb1ES3_N6thrust23THRUST_200600_302600_NS11hip_rocprim26transform_input_iterator_tIlPKhZN2at6native8ModeImplIbEclEPKbSI_EUlhE_EEPllNS8_4plusIlEEEE10hipError_tPvRmT1_T2_T3_mT4_P12ihipStream_tbEUlT_E1_NS1_11comp_targetILNS1_3genE4ELNS1_11target_archE910ELNS1_3gpuE8ELNS1_3repE0EEENS1_30default_config_static_selectorELNS0_4arch9wavefront6targetE1EEEvSR_,comdat
	.protected	_ZN7rocprim17ROCPRIM_400000_NS6detail17trampoline_kernelINS0_14default_configENS1_22reduce_config_selectorIlEEZNS1_11reduce_implILb1ES3_N6thrust23THRUST_200600_302600_NS11hip_rocprim26transform_input_iterator_tIlPKhZN2at6native8ModeImplIbEclEPKbSI_EUlhE_EEPllNS8_4plusIlEEEE10hipError_tPvRmT1_T2_T3_mT4_P12ihipStream_tbEUlT_E1_NS1_11comp_targetILNS1_3genE4ELNS1_11target_archE910ELNS1_3gpuE8ELNS1_3repE0EEENS1_30default_config_static_selectorELNS0_4arch9wavefront6targetE1EEEvSR_ ; -- Begin function _ZN7rocprim17ROCPRIM_400000_NS6detail17trampoline_kernelINS0_14default_configENS1_22reduce_config_selectorIlEEZNS1_11reduce_implILb1ES3_N6thrust23THRUST_200600_302600_NS11hip_rocprim26transform_input_iterator_tIlPKhZN2at6native8ModeImplIbEclEPKbSI_EUlhE_EEPllNS8_4plusIlEEEE10hipError_tPvRmT1_T2_T3_mT4_P12ihipStream_tbEUlT_E1_NS1_11comp_targetILNS1_3genE4ELNS1_11target_archE910ELNS1_3gpuE8ELNS1_3repE0EEENS1_30default_config_static_selectorELNS0_4arch9wavefront6targetE1EEEvSR_
	.globl	_ZN7rocprim17ROCPRIM_400000_NS6detail17trampoline_kernelINS0_14default_configENS1_22reduce_config_selectorIlEEZNS1_11reduce_implILb1ES3_N6thrust23THRUST_200600_302600_NS11hip_rocprim26transform_input_iterator_tIlPKhZN2at6native8ModeImplIbEclEPKbSI_EUlhE_EEPllNS8_4plusIlEEEE10hipError_tPvRmT1_T2_T3_mT4_P12ihipStream_tbEUlT_E1_NS1_11comp_targetILNS1_3genE4ELNS1_11target_archE910ELNS1_3gpuE8ELNS1_3repE0EEENS1_30default_config_static_selectorELNS0_4arch9wavefront6targetE1EEEvSR_
	.p2align	8
	.type	_ZN7rocprim17ROCPRIM_400000_NS6detail17trampoline_kernelINS0_14default_configENS1_22reduce_config_selectorIlEEZNS1_11reduce_implILb1ES3_N6thrust23THRUST_200600_302600_NS11hip_rocprim26transform_input_iterator_tIlPKhZN2at6native8ModeImplIbEclEPKbSI_EUlhE_EEPllNS8_4plusIlEEEE10hipError_tPvRmT1_T2_T3_mT4_P12ihipStream_tbEUlT_E1_NS1_11comp_targetILNS1_3genE4ELNS1_11target_archE910ELNS1_3gpuE8ELNS1_3repE0EEENS1_30default_config_static_selectorELNS0_4arch9wavefront6targetE1EEEvSR_,@function
_ZN7rocprim17ROCPRIM_400000_NS6detail17trampoline_kernelINS0_14default_configENS1_22reduce_config_selectorIlEEZNS1_11reduce_implILb1ES3_N6thrust23THRUST_200600_302600_NS11hip_rocprim26transform_input_iterator_tIlPKhZN2at6native8ModeImplIbEclEPKbSI_EUlhE_EEPllNS8_4plusIlEEEE10hipError_tPvRmT1_T2_T3_mT4_P12ihipStream_tbEUlT_E1_NS1_11comp_targetILNS1_3genE4ELNS1_11target_archE910ELNS1_3gpuE8ELNS1_3repE0EEENS1_30default_config_static_selectorELNS0_4arch9wavefront6targetE1EEEvSR_: ; @_ZN7rocprim17ROCPRIM_400000_NS6detail17trampoline_kernelINS0_14default_configENS1_22reduce_config_selectorIlEEZNS1_11reduce_implILb1ES3_N6thrust23THRUST_200600_302600_NS11hip_rocprim26transform_input_iterator_tIlPKhZN2at6native8ModeImplIbEclEPKbSI_EUlhE_EEPllNS8_4plusIlEEEE10hipError_tPvRmT1_T2_T3_mT4_P12ihipStream_tbEUlT_E1_NS1_11comp_targetILNS1_3genE4ELNS1_11target_archE910ELNS1_3gpuE8ELNS1_3repE0EEENS1_30default_config_static_selectorELNS0_4arch9wavefront6targetE1EEEvSR_
; %bb.0:
	s_load_dword s33, s[4:5], 0x4
	s_load_dwordx2 s[40:41], s[4:5], 0x8
	s_load_dwordx4 s[36:39], s[4:5], 0x18
	s_waitcnt lgkmcnt(0)
	s_cmp_lt_i32 s33, 4
	s_cbranch_scc1 .LBB29_11
; %bb.1:
	s_cmp_gt_i32 s33, 7
	s_cbranch_scc0 .LBB29_12
; %bb.2:
	s_cmp_gt_i32 s33, 15
	s_cbranch_scc0 .LBB29_13
; %bb.3:
	s_mov_b64 s[42:43], 0
	s_cmp_eq_u32 s33, 16
	s_mov_b64 s[0:1], 0
                                        ; implicit-def: $vgpr2_vgpr3
	s_cbranch_scc0 .LBB29_14
; %bb.4:
	s_lshl_b32 s2, s6, 12
	s_lshr_b64 s[0:1], s[36:37], 12
	s_add_u32 s34, s40, s2
	s_mov_b32 s7, 0
	s_addc_u32 s35, s41, 0
	s_cmp_lg_u64 s[0:1], s[6:7]
	s_cbranch_scc0 .LBB29_22
; %bb.5:
	global_load_ubyte v1, v0, s[34:35]
	global_load_ubyte v2, v0, s[34:35] offset:256
	global_load_ubyte v3, v0, s[34:35] offset:512
	;; [unrolled: 1-line block ×15, first 2 shown]
	s_waitcnt vmcnt(15)
	v_cmp_ne_u16_e32 vcc, 0, v1
	v_cndmask_b32_e64 v1, 0, 1, vcc
	s_waitcnt vmcnt(14)
	v_cmp_ne_u16_e32 vcc, 0, v2
	v_cndmask_b32_e64 v2, 0, 1, vcc
	s_waitcnt vmcnt(13)
	v_cmp_ne_u16_e32 vcc, 0, v3
	v_cndmask_b32_e64 v3, 0, 1, vcc
	s_waitcnt vmcnt(12)
	v_cmp_ne_u16_e32 vcc, 0, v4
	v_cndmask_b32_e64 v4, 0, 1, vcc
	s_waitcnt vmcnt(11)
	v_cmp_ne_u16_e32 vcc, 0, v5
	v_cndmask_b32_e64 v5, 0, 1, vcc
	s_waitcnt vmcnt(10)
	v_cmp_ne_u16_e32 vcc, 0, v6
	v_cndmask_b32_e64 v6, 0, 1, vcc
	s_waitcnt vmcnt(9)
	v_cmp_ne_u16_e32 vcc, 0, v7
	v_cndmask_b32_e64 v7, 0, 1, vcc
	s_waitcnt vmcnt(8)
	v_cmp_ne_u16_e32 vcc, 0, v8
	v_cndmask_b32_e64 v8, 0, 1, vcc
	s_waitcnt vmcnt(7)
	v_cmp_ne_u16_e32 vcc, 0, v9
	v_cndmask_b32_e64 v9, 0, 1, vcc
	s_waitcnt vmcnt(6)
	v_cmp_ne_u16_e32 vcc, 0, v10
	v_cndmask_b32_e64 v10, 0, 1, vcc
	s_waitcnt vmcnt(5)
	v_cmp_ne_u16_e32 vcc, 0, v11
	v_cndmask_b32_e64 v11, 0, 1, vcc
	s_waitcnt vmcnt(4)
	v_cmp_ne_u16_e32 vcc, 0, v12
	v_cndmask_b32_e64 v12, 0, 1, vcc
	s_waitcnt vmcnt(3)
	v_cmp_ne_u16_e32 vcc, 0, v13
	v_cndmask_b32_e64 v13, 0, 1, vcc
	s_waitcnt vmcnt(2)
	v_cmp_ne_u16_e32 vcc, 0, v14
	v_cndmask_b32_e64 v14, 0, 1, vcc
	s_waitcnt vmcnt(1)
	v_cmp_ne_u16_e32 vcc, 0, v15
	v_cndmask_b32_e64 v15, 0, 1, vcc
	s_waitcnt vmcnt(0)
	v_cmp_ne_u16_e32 vcc, 0, v16
	v_cndmask_b32_e64 v16, 0, 1, vcc
	v_add_co_u32_e32 v1, vcc, v2, v1
	v_addc_co_u32_e64 v2, s[0:1], 0, 0, vcc
	v_add_co_u32_e32 v1, vcc, v1, v3
	v_addc_co_u32_e32 v2, vcc, 0, v2, vcc
	v_add_co_u32_e32 v1, vcc, v1, v4
	v_addc_co_u32_e32 v2, vcc, 0, v2, vcc
	;; [unrolled: 2-line block ×14, first 2 shown]
	s_nop 0
	v_mov_b32_dpp v5, v3 quad_perm:[1,0,3,2] row_mask:0xf bank_mask:0xf bound_ctrl:1
	v_add_co_u32_e32 v3, vcc, v3, v5
	v_mov_b32_e32 v4, 0
	v_addc_co_u32_e32 v2, vcc, 0, v2, vcc
	s_nop 0
	v_mov_b32_dpp v4, v4 quad_perm:[1,0,3,2] row_mask:0xf bank_mask:0xf bound_ctrl:1
	v_add_co_u32_e32 v5, vcc, 0, v3
	v_addc_co_u32_e32 v2, vcc, v4, v2, vcc
	v_mov_b32_dpp v3, v3 quad_perm:[2,3,0,1] row_mask:0xf bank_mask:0xf bound_ctrl:1
	v_add_co_u32_e32 v3, vcc, v5, v3
	v_mov_b32_dpp v4, v2 quad_perm:[2,3,0,1] row_mask:0xf bank_mask:0xf bound_ctrl:1
	v_addc_co_u32_e32 v2, vcc, 0, v2, vcc
	v_add_co_u32_e32 v5, vcc, 0, v3
	v_addc_co_u32_e32 v2, vcc, v2, v4, vcc
	v_mov_b32_dpp v3, v3 row_ror:4 row_mask:0xf bank_mask:0xf bound_ctrl:1
	v_add_co_u32_e32 v3, vcc, v5, v3
	v_mov_b32_dpp v4, v2 row_ror:4 row_mask:0xf bank_mask:0xf bound_ctrl:1
	v_addc_co_u32_e32 v2, vcc, 0, v2, vcc
	v_add_co_u32_e32 v5, vcc, 0, v3
	v_addc_co_u32_e32 v2, vcc, v2, v4, vcc
	v_mov_b32_dpp v3, v3 row_ror:8 row_mask:0xf bank_mask:0xf bound_ctrl:1
	v_add_co_u32_e32 v3, vcc, v5, v3
	v_mov_b32_dpp v4, v2 row_ror:8 row_mask:0xf bank_mask:0xf bound_ctrl:1
	v_addc_co_u32_e32 v2, vcc, 0, v2, vcc
	v_add_co_u32_e32 v5, vcc, 0, v3
	v_addc_co_u32_e32 v2, vcc, v2, v4, vcc
	v_mov_b32_dpp v3, v3 row_bcast:15 row_mask:0xf bank_mask:0xf bound_ctrl:1
	v_add_co_u32_e32 v3, vcc, v5, v3
	v_mov_b32_dpp v4, v2 row_bcast:15 row_mask:0xf bank_mask:0xf bound_ctrl:1
	v_addc_co_u32_e32 v2, vcc, 0, v2, vcc
	v_add_co_u32_e32 v5, vcc, 0, v3
	v_addc_co_u32_e32 v2, vcc, v2, v4, vcc
	v_mov_b32_dpp v3, v3 row_bcast:31 row_mask:0xf bank_mask:0xf bound_ctrl:1
	v_add_co_u32_e32 v3, vcc, v5, v3
	v_mbcnt_lo_u32_b32 v1, -1, 0
	v_addc_co_u32_e32 v4, vcc, 0, v2, vcc
	v_mbcnt_hi_u32_b32 v1, -1, v1
	s_nop 0
	v_add_u32_dpp v4, v2, v4 row_bcast:31 row_mask:0xf bank_mask:0xf bound_ctrl:1
	v_bfrev_b32_e32 v2, 0.5
	v_lshl_or_b32 v5, v1, 2, v2
	ds_bpermute_b32 v2, v5, v3
	ds_bpermute_b32 v3, v5, v4
	v_cmp_eq_u32_e32 vcc, 0, v1
	s_and_saveexec_b64 s[0:1], vcc
	s_cbranch_execz .LBB29_7
; %bb.6:
	v_lshrrev_b32_e32 v4, 3, v0
	v_and_b32_e32 v4, 24, v4
	s_waitcnt lgkmcnt(0)
	ds_write_b64 v4, v[2:3]
.LBB29_7:
	s_or_b64 exec, exec, s[0:1]
	v_cmp_gt_u32_e32 vcc, 64, v0
	s_waitcnt lgkmcnt(0)
	s_barrier
	s_and_saveexec_b64 s[0:1], vcc
	s_cbranch_execz .LBB29_9
; %bb.8:
	v_and_b32_e32 v4, 3, v1
	v_lshlrev_b32_e32 v2, 3, v4
	ds_read_b64 v[2:3], v2
	v_cmp_ne_u32_e32 vcc, 3, v4
	v_addc_co_u32_e32 v5, vcc, 0, v1, vcc
	v_lshlrev_b32_e32 v5, 2, v5
	s_waitcnt lgkmcnt(0)
	ds_bpermute_b32 v6, v5, v2
	ds_bpermute_b32 v5, v5, v3
	s_waitcnt lgkmcnt(1)
	v_add_co_u32_e32 v2, vcc, v2, v6
	v_addc_co_u32_e32 v3, vcc, 0, v3, vcc
	v_cmp_gt_u32_e32 vcc, 2, v4
	v_cndmask_b32_e64 v4, 0, 1, vcc
	v_lshlrev_b32_e32 v4, 1, v4
	v_add_lshl_u32 v1, v4, v1, 2
	ds_bpermute_b32 v4, v1, v2
	v_add_co_u32_e32 v2, vcc, 0, v2
	s_waitcnt lgkmcnt(1)
	v_addc_co_u32_e32 v3, vcc, v5, v3, vcc
	ds_bpermute_b32 v1, v1, v3
	s_waitcnt lgkmcnt(1)
	v_add_co_u32_e32 v2, vcc, v2, v4
	v_addc_co_u32_e32 v3, vcc, 0, v3, vcc
	v_add_co_u32_e32 v2, vcc, 0, v2
	s_waitcnt lgkmcnt(0)
	v_addc_co_u32_e32 v3, vcc, v3, v1, vcc
.LBB29_9:
	s_or_b64 exec, exec, s[0:1]
.LBB29_10:
	v_cmp_eq_u32_e64 s[0:1], 0, v0
	s_and_b64 vcc, exec, s[42:43]
	s_cbranch_vccnz .LBB29_15
	s_branch .LBB29_92
.LBB29_11:
	s_mov_b64 s[0:1], 0
                                        ; implicit-def: $vgpr2_vgpr3
	s_cbranch_execnz .LBB29_120
	s_branch .LBB29_153
.LBB29_12:
	s_mov_b64 s[0:1], 0
                                        ; implicit-def: $vgpr2_vgpr3
	s_cbranch_execnz .LBB29_93
	s_branch .LBB29_119
.LBB29_13:
	s_mov_b64 s[42:43], -1
	s_mov_b64 s[0:1], 0
                                        ; implicit-def: $vgpr2_vgpr3
.LBB29_14:
	s_and_b64 vcc, exec, s[42:43]
	s_cbranch_vccz .LBB29_92
.LBB29_15:
	s_cmp_eq_u32 s33, 8
                                        ; implicit-def: $vgpr2_vgpr3
	s_cbranch_scc0 .LBB29_92
; %bb.16:
	s_lshl_b32 s2, s6, 11
	s_lshr_b64 s[0:1], s[36:37], 11
	s_add_u32 s16, s40, s2
	s_mov_b32 s7, 0
	s_addc_u32 s17, s41, 0
	s_cmp_lg_u64 s[0:1], s[6:7]
	s_cbranch_scc0 .LBB29_64
; %bb.17:
	global_load_ubyte v2, v0, s[16:17]
	global_load_ubyte v3, v0, s[16:17] offset:256
	global_load_ubyte v4, v0, s[16:17] offset:512
	s_waitcnt lgkmcnt(1)
	global_load_ubyte v5, v0, s[16:17] offset:768
	global_load_ubyte v6, v0, s[16:17] offset:1024
	s_waitcnt lgkmcnt(0)
	global_load_ubyte v7, v0, s[16:17] offset:1280
	global_load_ubyte v8, v0, s[16:17] offset:1536
	;; [unrolled: 1-line block ×3, first 2 shown]
	v_mov_b32_e32 v10, 0
	v_mbcnt_lo_u32_b32 v1, -1, 0
	v_mbcnt_hi_u32_b32 v1, -1, v1
	v_mov_b32_dpp v10, v10 quad_perm:[1,0,3,2] row_mask:0xf bank_mask:0xf bound_ctrl:1
	s_waitcnt vmcnt(7)
	v_cmp_ne_u16_e32 vcc, 0, v2
	v_cndmask_b32_e64 v2, 0, 1, vcc
	s_waitcnt vmcnt(6)
	v_cmp_ne_u16_e32 vcc, 0, v3
	v_cndmask_b32_e64 v3, 0, 1, vcc
	;; [unrolled: 3-line block ×8, first 2 shown]
	v_add_co_u32_e32 v2, vcc, v3, v2
	v_addc_co_u32_e64 v3, s[0:1], 0, 0, vcc
	v_add_co_u32_e32 v2, vcc, v2, v4
	v_addc_co_u32_e32 v3, vcc, 0, v3, vcc
	v_add_co_u32_e32 v2, vcc, v2, v5
	v_addc_co_u32_e32 v3, vcc, 0, v3, vcc
	;; [unrolled: 2-line block ×6, first 2 shown]
	s_nop 0
	v_mov_b32_dpp v4, v2 quad_perm:[1,0,3,2] row_mask:0xf bank_mask:0xf bound_ctrl:1
	v_add_co_u32_e32 v2, vcc, v2, v4
	v_addc_co_u32_e32 v3, vcc, 0, v3, vcc
	v_add_co_u32_e32 v4, vcc, 0, v2
	v_addc_co_u32_e32 v3, vcc, v10, v3, vcc
	v_mov_b32_dpp v2, v2 quad_perm:[2,3,0,1] row_mask:0xf bank_mask:0xf bound_ctrl:1
	v_add_co_u32_e32 v2, vcc, v4, v2
	v_mov_b32_dpp v5, v3 quad_perm:[2,3,0,1] row_mask:0xf bank_mask:0xf bound_ctrl:1
	v_addc_co_u32_e32 v3, vcc, 0, v3, vcc
	v_add_co_u32_e32 v4, vcc, 0, v2
	v_addc_co_u32_e32 v3, vcc, v3, v5, vcc
	v_mov_b32_dpp v2, v2 row_ror:4 row_mask:0xf bank_mask:0xf bound_ctrl:1
	v_add_co_u32_e32 v2, vcc, v4, v2
	v_mov_b32_dpp v5, v3 row_ror:4 row_mask:0xf bank_mask:0xf bound_ctrl:1
	v_addc_co_u32_e32 v3, vcc, 0, v3, vcc
	v_add_co_u32_e32 v4, vcc, 0, v2
	v_addc_co_u32_e32 v3, vcc, v3, v5, vcc
	v_mov_b32_dpp v2, v2 row_ror:8 row_mask:0xf bank_mask:0xf bound_ctrl:1
	v_add_co_u32_e32 v2, vcc, v4, v2
	v_mov_b32_dpp v5, v3 row_ror:8 row_mask:0xf bank_mask:0xf bound_ctrl:1
	v_addc_co_u32_e32 v3, vcc, 0, v3, vcc
	v_add_co_u32_e32 v4, vcc, 0, v2
	v_addc_co_u32_e32 v3, vcc, v3, v5, vcc
	v_mov_b32_dpp v2, v2 row_bcast:15 row_mask:0xf bank_mask:0xf bound_ctrl:1
	v_add_co_u32_e32 v2, vcc, v4, v2
	v_mov_b32_dpp v5, v3 row_bcast:15 row_mask:0xf bank_mask:0xf bound_ctrl:1
	v_addc_co_u32_e32 v3, vcc, 0, v3, vcc
	v_add_co_u32_e32 v4, vcc, 0, v2
	v_addc_co_u32_e32 v3, vcc, v3, v5, vcc
	v_mov_b32_dpp v2, v2 row_bcast:31 row_mask:0xf bank_mask:0xf bound_ctrl:1
	v_add_co_u32_e32 v2, vcc, v4, v2
	v_addc_co_u32_e32 v4, vcc, 0, v3, vcc
	v_cmp_eq_u32_e32 vcc, 0, v1
	s_nop 0
	v_add_u32_dpp v3, v3, v4 row_bcast:31 row_mask:0xf bank_mask:0xf bound_ctrl:1
	v_bfrev_b32_e32 v4, 0.5
	v_lshl_or_b32 v4, v1, 2, v4
	ds_bpermute_b32 v2, v4, v2
	ds_bpermute_b32 v3, v4, v3
	s_and_saveexec_b64 s[0:1], vcc
	s_cbranch_execz .LBB29_19
; %bb.18:
	v_lshrrev_b32_e32 v4, 3, v0
	v_and_b32_e32 v4, 24, v4
	s_waitcnt lgkmcnt(0)
	ds_write_b64 v4, v[2:3] offset:128
.LBB29_19:
	s_or_b64 exec, exec, s[0:1]
	v_cmp_gt_u32_e32 vcc, 64, v0
	s_waitcnt lgkmcnt(0)
	s_barrier
	s_and_saveexec_b64 s[0:1], vcc
	s_cbranch_execz .LBB29_21
; %bb.20:
	v_and_b32_e32 v4, 3, v1
	v_lshlrev_b32_e32 v2, 3, v4
	ds_read_b64 v[2:3], v2 offset:128
	v_cmp_ne_u32_e32 vcc, 3, v4
	v_addc_co_u32_e32 v5, vcc, 0, v1, vcc
	v_lshlrev_b32_e32 v5, 2, v5
	s_waitcnt lgkmcnt(0)
	ds_bpermute_b32 v6, v5, v2
	ds_bpermute_b32 v5, v5, v3
	s_waitcnt lgkmcnt(1)
	v_add_co_u32_e32 v2, vcc, v2, v6
	v_addc_co_u32_e32 v3, vcc, 0, v3, vcc
	v_cmp_gt_u32_e32 vcc, 2, v4
	v_cndmask_b32_e64 v4, 0, 1, vcc
	v_lshlrev_b32_e32 v4, 1, v4
	v_add_lshl_u32 v1, v4, v1, 2
	ds_bpermute_b32 v4, v1, v2
	v_add_co_u32_e32 v2, vcc, 0, v2
	s_waitcnt lgkmcnt(1)
	v_addc_co_u32_e32 v3, vcc, v5, v3, vcc
	ds_bpermute_b32 v1, v1, v3
	s_waitcnt lgkmcnt(1)
	v_add_co_u32_e32 v2, vcc, v2, v4
	v_addc_co_u32_e32 v3, vcc, 0, v3, vcc
	v_add_co_u32_e32 v2, vcc, 0, v2
	s_waitcnt lgkmcnt(0)
	v_addc_co_u32_e32 v3, vcc, v3, v1, vcc
.LBB29_21:
	s_or_b64 exec, exec, s[0:1]
	s_mov_b64 s[0:1], 0
	s_branch .LBB29_65
.LBB29_22:
                                        ; implicit-def: $vgpr2_vgpr3
	s_cbranch_execz .LBB29_10
; %bb.23:
	s_sub_i32 s46, s36, s2
	v_cmp_gt_u32_e32 vcc, s46, v0
                                        ; implicit-def: $vgpr2_vgpr3_vgpr4_vgpr5_vgpr6_vgpr7_vgpr8_vgpr9_vgpr10_vgpr11_vgpr12_vgpr13_vgpr14_vgpr15_vgpr16_vgpr17_vgpr18_vgpr19_vgpr20_vgpr21_vgpr22_vgpr23_vgpr24_vgpr25_vgpr26_vgpr27_vgpr28_vgpr29_vgpr30_vgpr31_vgpr32_vgpr33
	s_and_saveexec_b64 s[0:1], vcc
	s_cbranch_execz .LBB29_25
; %bb.24:
	global_load_ubyte v1, v0, s[34:35]
	v_mov_b32_e32 v3, 0
	s_waitcnt vmcnt(0)
	v_cmp_ne_u16_e32 vcc, 0, v1
	v_cndmask_b32_e64 v2, 0, 1, vcc
.LBB29_25:
	s_or_b64 exec, exec, s[0:1]
	v_or_b32_e32 v1, 0x100, v0
	v_cmp_gt_u32_e32 vcc, s46, v1
	s_and_saveexec_b64 s[2:3], vcc
	s_cbranch_execz .LBB29_27
; %bb.26:
	global_load_ubyte v1, v0, s[34:35] offset:256
	v_mov_b32_e32 v5, 0
	s_waitcnt vmcnt(0)
	v_cmp_ne_u16_e64 s[0:1], 0, v1
	v_cndmask_b32_e64 v4, 0, 1, s[0:1]
.LBB29_27:
	s_or_b64 exec, exec, s[2:3]
	v_or_b32_e32 v1, 0x200, v0
	v_cmp_gt_u32_e64 s[0:1], s46, v1
	s_and_saveexec_b64 s[8:9], s[0:1]
	s_cbranch_execz .LBB29_29
; %bb.28:
	global_load_ubyte v1, v0, s[34:35] offset:512
	v_mov_b32_e32 v7, 0
	s_waitcnt vmcnt(0)
	v_cmp_ne_u16_e64 s[2:3], 0, v1
	v_cndmask_b32_e64 v6, 0, 1, s[2:3]
.LBB29_29:
	s_or_b64 exec, exec, s[8:9]
	v_or_b32_e32 v1, 0x300, v0
	v_cmp_gt_u32_e64 s[2:3], s46, v1
	s_and_saveexec_b64 s[10:11], s[2:3]
	;; [unrolled: 12-line block ×14, first 2 shown]
	s_cbranch_execz .LBB29_55
; %bb.54:
	global_load_ubyte v1, v0, s[34:35] offset:3840
	v_mov_b32_e32 v33, 0
	s_waitcnt vmcnt(0)
	v_cmp_ne_u16_e64 s[34:35], 0, v1
	v_cndmask_b32_e64 v32, 0, 1, s[34:35]
.LBB29_55:
	s_or_b64 exec, exec, s[44:45]
	v_cndmask_b32_e32 v4, 0, v4, vcc
	v_cndmask_b32_e32 v1, 0, v5, vcc
	v_add_co_u32_e32 v2, vcc, v4, v2
	v_addc_co_u32_e32 v1, vcc, v1, v3, vcc
	v_cndmask_b32_e64 v4, 0, v6, s[0:1]
	v_cndmask_b32_e64 v3, 0, v7, s[0:1]
	v_add_co_u32_e32 v2, vcc, v2, v4
	v_addc_co_u32_e32 v1, vcc, v1, v3, vcc
	v_cndmask_b32_e64 v4, 0, v8, s[2:3]
	v_cndmask_b32_e64 v3, 0, v9, s[2:3]
	;; [unrolled: 4-line block ×14, first 2 shown]
	v_add_co_u32_e32 v2, vcc, v2, v4
	v_addc_co_u32_e32 v3, vcc, v1, v3, vcc
	v_mbcnt_lo_u32_b32 v1, -1, 0
	v_mbcnt_hi_u32_b32 v5, -1, v1
	v_and_b32_e32 v6, 63, v5
	v_cmp_ne_u32_e32 vcc, 63, v6
	v_addc_co_u32_e32 v4, vcc, 0, v5, vcc
	v_lshlrev_b32_e32 v4, 2, v4
	ds_bpermute_b32 v8, v4, v2
	ds_bpermute_b32 v4, v4, v3
	s_min_u32 s8, s46, 0x100
	v_and_b32_e32 v1, 0xc0, v0
	v_sub_u32_e64 v7, s8, v1 clamp
	s_waitcnt lgkmcnt(1)
	v_add_co_u32_e32 v8, vcc, v2, v8
	v_addc_co_u32_e32 v9, vcc, 0, v3, vcc
	v_add_co_u32_e32 v10, vcc, 0, v8
	v_add_u32_e32 v1, 1, v6
	s_waitcnt lgkmcnt(0)
	v_addc_co_u32_e32 v4, vcc, v9, v4, vcc
	v_cmp_lt_u32_e64 s[0:1], v1, v7
	v_cmp_gt_u32_e32 vcc, 62, v6
	v_cndmask_b32_e64 v1, v2, v8, s[0:1]
	v_cndmask_b32_e64 v8, 0, 1, vcc
	v_lshlrev_b32_e32 v8, 1, v8
	v_add_lshl_u32 v8, v8, v5, 2
	v_cndmask_b32_e64 v4, v3, v4, s[0:1]
	ds_bpermute_b32 v9, v8, v1
	ds_bpermute_b32 v8, v8, v4
	v_cndmask_b32_e64 v10, v2, v10, s[0:1]
	v_add_u32_e32 v11, 2, v6
	v_cmp_gt_u32_e64 s[2:3], 60, v6
	s_waitcnt lgkmcnt(1)
	v_add_co_u32_e32 v9, vcc, v9, v10
	s_waitcnt lgkmcnt(0)
	v_addc_co_u32_e32 v8, vcc, v8, v4, vcc
	v_cmp_lt_u32_e32 vcc, v11, v7
	v_cndmask_b32_e32 v4, v4, v8, vcc
	v_cndmask_b32_e64 v8, 0, 1, s[2:3]
	v_lshlrev_b32_e32 v8, 2, v8
	v_cndmask_b32_e32 v1, v1, v9, vcc
	v_add_lshl_u32 v8, v8, v5, 2
	ds_bpermute_b32 v11, v8, v1
	ds_bpermute_b32 v8, v8, v4
	v_cndmask_b32_e32 v9, v10, v9, vcc
	v_add_u32_e32 v10, 4, v6
	v_cmp_gt_u32_e64 s[2:3], 56, v6
	s_waitcnt lgkmcnt(1)
	v_add_co_u32_e32 v11, vcc, v11, v9
	s_waitcnt lgkmcnt(0)
	v_addc_co_u32_e32 v8, vcc, v8, v4, vcc
	v_cmp_lt_u32_e32 vcc, v10, v7
	v_cndmask_b32_e32 v4, v4, v8, vcc
	v_cndmask_b32_e64 v8, 0, 1, s[2:3]
	v_lshlrev_b32_e32 v8, 3, v8
	v_cndmask_b32_e32 v1, v1, v11, vcc
	v_add_lshl_u32 v8, v8, v5, 2
	ds_bpermute_b32 v10, v8, v1
	ds_bpermute_b32 v8, v8, v4
	v_cndmask_b32_e32 v9, v9, v11, vcc
	v_add_u32_e32 v11, 8, v6
	v_cmp_gt_u32_e64 s[2:3], 48, v6
	s_waitcnt lgkmcnt(1)
	v_add_co_u32_e32 v10, vcc, v10, v9
	s_waitcnt lgkmcnt(0)
	v_addc_co_u32_e32 v8, vcc, v8, v4, vcc
	v_cmp_lt_u32_e32 vcc, v11, v7
	v_cndmask_b32_e32 v11, v1, v10, vcc
	v_cndmask_b32_e32 v1, v4, v8, vcc
	v_cndmask_b32_e64 v4, 0, 1, s[2:3]
	v_lshlrev_b32_e32 v4, 4, v4
	v_add_lshl_u32 v8, v4, v5, 2
	ds_bpermute_b32 v12, v8, v11
	v_cndmask_b32_e32 v4, v9, v10, vcc
	ds_bpermute_b32 v9, v8, v1
	v_add_u32_e32 v10, 16, v6
	v_cmp_gt_u32_e64 s[2:3], 32, v6
	s_waitcnt lgkmcnt(1)
	v_add_co_u32_e32 v8, vcc, v12, v4
	s_waitcnt lgkmcnt(0)
	v_addc_co_u32_e32 v9, vcc, v9, v1, vcc
	v_cmp_lt_u32_e32 vcc, v10, v7
	v_cndmask_b32_e32 v10, v11, v8, vcc
	v_cndmask_b32_e64 v11, 0, 1, s[2:3]
	v_lshlrev_b32_e32 v11, 5, v11
	v_cndmask_b32_e32 v12, v1, v9, vcc
	v_add_lshl_u32 v11, v11, v5, 2
	ds_bpermute_b32 v10, v11, v10
	ds_bpermute_b32 v11, v11, v12
	s_and_saveexec_b64 s[2:3], s[0:1]
	s_cbranch_execz .LBB29_57
; %bb.56:
	v_add_u32_e32 v2, 32, v6
	v_cndmask_b32_e32 v1, v1, v9, vcc
	v_cndmask_b32_e32 v3, v4, v8, vcc
	v_cmp_lt_u32_e32 vcc, v2, v7
	s_waitcnt lgkmcnt(1)
	v_cndmask_b32_e32 v2, 0, v10, vcc
	s_waitcnt lgkmcnt(0)
	v_cndmask_b32_e32 v4, 0, v11, vcc
	v_add_co_u32_e32 v2, vcc, v3, v2
	v_addc_co_u32_e32 v3, vcc, v1, v4, vcc
.LBB29_57:
	s_or_b64 exec, exec, s[2:3]
	v_cmp_eq_u32_e32 vcc, 0, v5
	s_and_saveexec_b64 s[0:1], vcc
	s_cbranch_execz .LBB29_59
; %bb.58:
	v_lshrrev_b32_e32 v1, 3, v0
	v_and_b32_e32 v1, 24, v1
	ds_write_b64 v1, v[2:3] offset:160
.LBB29_59:
	s_or_b64 exec, exec, s[0:1]
	v_cmp_gt_u32_e32 vcc, 4, v0
	s_waitcnt lgkmcnt(0)
	s_barrier
	s_and_saveexec_b64 s[2:3], vcc
	s_cbranch_execz .LBB29_63
; %bb.60:
	v_lshlrev_b32_e32 v1, 3, v5
	ds_read_b64 v[2:3], v1 offset:160
	v_and_b32_e32 v1, 3, v5
	v_cmp_ne_u32_e32 vcc, 3, v1
	v_addc_co_u32_e32 v4, vcc, 0, v5, vcc
	v_lshlrev_b32_e32 v4, 2, v4
	s_waitcnt lgkmcnt(0)
	ds_bpermute_b32 v6, v4, v2
	ds_bpermute_b32 v8, v4, v3
	s_add_i32 s8, s8, 63
	s_lshr_b32 s8, s8, 6
	v_add_u32_e32 v7, 1, v1
	s_waitcnt lgkmcnt(1)
	v_add_co_u32_e32 v9, vcc, v2, v6
	v_addc_co_u32_e32 v6, vcc, 0, v3, vcc
	v_add_co_u32_e32 v4, vcc, 0, v9
	s_waitcnt lgkmcnt(0)
	v_addc_co_u32_e32 v6, vcc, v8, v6, vcc
	v_cmp_gt_u32_e32 vcc, s8, v7
	v_cmp_gt_u32_e64 s[0:1], 2, v1
	v_cndmask_b32_e32 v8, v2, v9, vcc
	v_cndmask_b32_e64 v9, 0, 1, s[0:1]
	v_lshlrev_b32_e32 v9, 1, v9
	v_cndmask_b32_e32 v7, v3, v6, vcc
	v_add_lshl_u32 v9, v9, v5, 2
	ds_bpermute_b32 v5, v9, v8
	ds_bpermute_b32 v7, v9, v7
	s_and_saveexec_b64 s[0:1], vcc
	s_cbranch_execz .LBB29_62
; %bb.61:
	v_add_u32_e32 v1, 2, v1
	v_cmp_gt_u32_e32 vcc, s8, v1
	s_waitcnt lgkmcnt(1)
	v_cndmask_b32_e32 v2, 0, v5, vcc
	s_waitcnt lgkmcnt(0)
	v_cndmask_b32_e32 v1, 0, v7, vcc
	v_add_co_u32_e32 v2, vcc, v2, v4
	v_addc_co_u32_e32 v3, vcc, v1, v6, vcc
.LBB29_62:
	s_or_b64 exec, exec, s[0:1]
.LBB29_63:
	s_or_b64 exec, exec, s[2:3]
	v_cmp_eq_u32_e64 s[0:1], 0, v0
	s_and_b64 vcc, exec, s[42:43]
	s_cbranch_vccnz .LBB29_15
	s_branch .LBB29_92
.LBB29_64:
	s_mov_b64 s[0:1], -1
                                        ; implicit-def: $vgpr2_vgpr3
.LBB29_65:
	s_and_b64 vcc, exec, s[0:1]
	s_cbranch_vccz .LBB29_91
; %bb.66:
	s_sub_i32 s20, s36, s2
	v_cmp_gt_u32_e32 vcc, s20, v0
                                        ; implicit-def: $vgpr2_vgpr3_vgpr4_vgpr5_vgpr6_vgpr7_vgpr8_vgpr9_vgpr10_vgpr11_vgpr12_vgpr13_vgpr14_vgpr15_vgpr16_vgpr17
	s_and_saveexec_b64 s[0:1], vcc
	s_cbranch_execz .LBB29_68
; %bb.67:
	global_load_ubyte v1, v0, s[16:17]
	v_mov_b32_e32 v3, 0
	s_waitcnt vmcnt(0)
	v_cmp_ne_u16_e32 vcc, 0, v1
	v_cndmask_b32_e64 v2, 0, 1, vcc
.LBB29_68:
	s_or_b64 exec, exec, s[0:1]
	v_or_b32_e32 v1, 0x100, v0
	v_cmp_gt_u32_e32 vcc, s20, v1
	s_and_saveexec_b64 s[2:3], vcc
	s_cbranch_execz .LBB29_70
; %bb.69:
	global_load_ubyte v1, v0, s[16:17] offset:256
	s_waitcnt lgkmcnt(1)
	v_mov_b32_e32 v5, 0
	s_waitcnt vmcnt(0)
	v_cmp_ne_u16_e64 s[0:1], 0, v1
	v_cndmask_b32_e64 v4, 0, 1, s[0:1]
.LBB29_70:
	s_or_b64 exec, exec, s[2:3]
	v_or_b32_e32 v1, 0x200, v0
	v_cmp_gt_u32_e64 s[0:1], s20, v1
	s_and_saveexec_b64 s[8:9], s[0:1]
	s_cbranch_execz .LBB29_72
; %bb.71:
	global_load_ubyte v1, v0, s[16:17] offset:512
	s_waitcnt lgkmcnt(0)
	v_mov_b32_e32 v7, 0
	s_waitcnt vmcnt(0)
	v_cmp_ne_u16_e64 s[2:3], 0, v1
	v_cndmask_b32_e64 v6, 0, 1, s[2:3]
.LBB29_72:
	s_or_b64 exec, exec, s[8:9]
	v_or_b32_e32 v1, 0x300, v0
	v_cmp_gt_u32_e64 s[2:3], s20, v1
	s_and_saveexec_b64 s[10:11], s[2:3]
	s_cbranch_execz .LBB29_74
; %bb.73:
	global_load_ubyte v1, v0, s[16:17] offset:768
	v_mov_b32_e32 v9, 0
	s_waitcnt vmcnt(0)
	v_cmp_ne_u16_e64 s[8:9], 0, v1
	v_cndmask_b32_e64 v8, 0, 1, s[8:9]
.LBB29_74:
	s_or_b64 exec, exec, s[10:11]
	v_or_b32_e32 v1, 0x400, v0
	v_cmp_gt_u32_e64 s[8:9], s20, v1
	s_and_saveexec_b64 s[12:13], s[8:9]
	s_cbranch_execz .LBB29_76
; %bb.75:
	global_load_ubyte v1, v0, s[16:17] offset:1024
	v_mov_b32_e32 v11, 0
	s_waitcnt vmcnt(0)
	v_cmp_ne_u16_e64 s[10:11], 0, v1
	v_cndmask_b32_e64 v10, 0, 1, s[10:11]
.LBB29_76:
	;; [unrolled: 12-line block ×5, first 2 shown]
	s_or_b64 exec, exec, s[18:19]
	v_cndmask_b32_e32 v4, 0, v4, vcc
	s_waitcnt lgkmcnt(1)
	v_cndmask_b32_e32 v1, 0, v5, vcc
	v_add_co_u32_e32 v2, vcc, v4, v2
	v_addc_co_u32_e32 v1, vcc, v1, v3, vcc
	v_cndmask_b32_e64 v4, 0, v6, s[0:1]
	s_waitcnt lgkmcnt(0)
	v_cndmask_b32_e64 v3, 0, v7, s[0:1]
	v_add_co_u32_e32 v2, vcc, v2, v4
	v_addc_co_u32_e32 v1, vcc, v1, v3, vcc
	v_cndmask_b32_e64 v4, 0, v8, s[2:3]
	v_cndmask_b32_e64 v3, 0, v9, s[2:3]
	v_add_co_u32_e32 v2, vcc, v2, v4
	v_addc_co_u32_e32 v1, vcc, v1, v3, vcc
	v_cndmask_b32_e64 v4, 0, v10, s[8:9]
	;; [unrolled: 4-line block ×5, first 2 shown]
	v_cndmask_b32_e64 v3, 0, v17, s[14:15]
	v_add_co_u32_e32 v2, vcc, v2, v4
	v_addc_co_u32_e32 v3, vcc, v1, v3, vcc
	v_mbcnt_lo_u32_b32 v1, -1, 0
	v_mbcnt_hi_u32_b32 v5, -1, v1
	v_and_b32_e32 v6, 63, v5
	v_cmp_ne_u32_e32 vcc, 63, v6
	v_addc_co_u32_e32 v4, vcc, 0, v5, vcc
	v_lshlrev_b32_e32 v4, 2, v4
	ds_bpermute_b32 v8, v4, v2
	ds_bpermute_b32 v4, v4, v3
	s_min_u32 s8, s20, 0x100
	v_and_b32_e32 v1, 0xc0, v0
	v_sub_u32_e64 v7, s8, v1 clamp
	s_waitcnt lgkmcnt(1)
	v_add_co_u32_e32 v8, vcc, v2, v8
	v_addc_co_u32_e32 v9, vcc, 0, v3, vcc
	v_add_co_u32_e32 v10, vcc, 0, v8
	v_add_u32_e32 v1, 1, v6
	s_waitcnt lgkmcnt(0)
	v_addc_co_u32_e32 v4, vcc, v9, v4, vcc
	v_cmp_lt_u32_e64 s[0:1], v1, v7
	v_cmp_gt_u32_e32 vcc, 62, v6
	v_cndmask_b32_e64 v1, v2, v8, s[0:1]
	v_cndmask_b32_e64 v8, 0, 1, vcc
	v_lshlrev_b32_e32 v8, 1, v8
	v_add_lshl_u32 v8, v8, v5, 2
	v_cndmask_b32_e64 v4, v3, v4, s[0:1]
	ds_bpermute_b32 v9, v8, v1
	ds_bpermute_b32 v8, v8, v4
	v_cndmask_b32_e64 v10, v2, v10, s[0:1]
	v_add_u32_e32 v11, 2, v6
	v_cmp_gt_u32_e64 s[2:3], 60, v6
	s_waitcnt lgkmcnt(1)
	v_add_co_u32_e32 v9, vcc, v9, v10
	s_waitcnt lgkmcnt(0)
	v_addc_co_u32_e32 v8, vcc, v8, v4, vcc
	v_cmp_lt_u32_e32 vcc, v11, v7
	v_cndmask_b32_e32 v4, v4, v8, vcc
	v_cndmask_b32_e64 v8, 0, 1, s[2:3]
	v_lshlrev_b32_e32 v8, 2, v8
	v_cndmask_b32_e32 v1, v1, v9, vcc
	v_add_lshl_u32 v8, v8, v5, 2
	ds_bpermute_b32 v11, v8, v1
	ds_bpermute_b32 v8, v8, v4
	v_cndmask_b32_e32 v9, v10, v9, vcc
	v_add_u32_e32 v10, 4, v6
	v_cmp_gt_u32_e64 s[2:3], 56, v6
	s_waitcnt lgkmcnt(1)
	v_add_co_u32_e32 v11, vcc, v11, v9
	s_waitcnt lgkmcnt(0)
	v_addc_co_u32_e32 v8, vcc, v8, v4, vcc
	v_cmp_lt_u32_e32 vcc, v10, v7
	v_cndmask_b32_e32 v4, v4, v8, vcc
	v_cndmask_b32_e64 v8, 0, 1, s[2:3]
	v_lshlrev_b32_e32 v8, 3, v8
	v_cndmask_b32_e32 v1, v1, v11, vcc
	v_add_lshl_u32 v8, v8, v5, 2
	ds_bpermute_b32 v10, v8, v1
	ds_bpermute_b32 v8, v8, v4
	v_cndmask_b32_e32 v9, v9, v11, vcc
	v_add_u32_e32 v11, 8, v6
	v_cmp_gt_u32_e64 s[2:3], 48, v6
	s_waitcnt lgkmcnt(1)
	v_add_co_u32_e32 v10, vcc, v10, v9
	s_waitcnt lgkmcnt(0)
	v_addc_co_u32_e32 v8, vcc, v8, v4, vcc
	v_cmp_lt_u32_e32 vcc, v11, v7
	v_cndmask_b32_e32 v11, v1, v10, vcc
	v_cndmask_b32_e32 v1, v4, v8, vcc
	v_cndmask_b32_e64 v4, 0, 1, s[2:3]
	v_lshlrev_b32_e32 v4, 4, v4
	v_add_lshl_u32 v8, v4, v5, 2
	ds_bpermute_b32 v12, v8, v11
	v_cndmask_b32_e32 v4, v9, v10, vcc
	ds_bpermute_b32 v9, v8, v1
	v_add_u32_e32 v10, 16, v6
	v_cmp_gt_u32_e64 s[2:3], 32, v6
	s_waitcnt lgkmcnt(1)
	v_add_co_u32_e32 v8, vcc, v12, v4
	s_waitcnt lgkmcnt(0)
	v_addc_co_u32_e32 v9, vcc, v9, v1, vcc
	v_cmp_lt_u32_e32 vcc, v10, v7
	v_cndmask_b32_e32 v10, v11, v8, vcc
	v_cndmask_b32_e64 v11, 0, 1, s[2:3]
	v_lshlrev_b32_e32 v11, 5, v11
	v_cndmask_b32_e32 v12, v1, v9, vcc
	v_add_lshl_u32 v11, v11, v5, 2
	ds_bpermute_b32 v10, v11, v10
	ds_bpermute_b32 v11, v11, v12
	s_and_saveexec_b64 s[2:3], s[0:1]
	s_cbranch_execz .LBB29_84
; %bb.83:
	v_add_u32_e32 v2, 32, v6
	v_cndmask_b32_e32 v1, v1, v9, vcc
	v_cndmask_b32_e32 v3, v4, v8, vcc
	v_cmp_lt_u32_e32 vcc, v2, v7
	s_waitcnt lgkmcnt(1)
	v_cndmask_b32_e32 v2, 0, v10, vcc
	s_waitcnt lgkmcnt(0)
	v_cndmask_b32_e32 v4, 0, v11, vcc
	v_add_co_u32_e32 v2, vcc, v3, v2
	v_addc_co_u32_e32 v3, vcc, v1, v4, vcc
.LBB29_84:
	s_or_b64 exec, exec, s[2:3]
	v_cmp_eq_u32_e32 vcc, 0, v5
	s_and_saveexec_b64 s[0:1], vcc
	s_cbranch_execz .LBB29_86
; %bb.85:
	v_lshrrev_b32_e32 v1, 3, v0
	v_and_b32_e32 v1, 24, v1
	ds_write_b64 v1, v[2:3] offset:160
.LBB29_86:
	s_or_b64 exec, exec, s[0:1]
	v_cmp_gt_u32_e32 vcc, 4, v0
	s_waitcnt lgkmcnt(0)
	s_barrier
	s_and_saveexec_b64 s[2:3], vcc
	s_cbranch_execz .LBB29_90
; %bb.87:
	v_lshlrev_b32_e32 v1, 3, v5
	ds_read_b64 v[2:3], v1 offset:160
	v_and_b32_e32 v1, 3, v5
	v_cmp_ne_u32_e32 vcc, 3, v1
	v_addc_co_u32_e32 v4, vcc, 0, v5, vcc
	v_lshlrev_b32_e32 v4, 2, v4
	s_waitcnt lgkmcnt(0)
	ds_bpermute_b32 v6, v4, v2
	ds_bpermute_b32 v8, v4, v3
	s_add_i32 s8, s8, 63
	s_lshr_b32 s8, s8, 6
	v_add_u32_e32 v7, 1, v1
	s_waitcnt lgkmcnt(1)
	v_add_co_u32_e32 v9, vcc, v2, v6
	v_addc_co_u32_e32 v6, vcc, 0, v3, vcc
	v_add_co_u32_e32 v4, vcc, 0, v9
	s_waitcnt lgkmcnt(0)
	v_addc_co_u32_e32 v6, vcc, v8, v6, vcc
	v_cmp_gt_u32_e32 vcc, s8, v7
	v_cmp_gt_u32_e64 s[0:1], 2, v1
	v_cndmask_b32_e32 v8, v2, v9, vcc
	v_cndmask_b32_e64 v9, 0, 1, s[0:1]
	v_lshlrev_b32_e32 v9, 1, v9
	v_cndmask_b32_e32 v7, v3, v6, vcc
	v_add_lshl_u32 v9, v9, v5, 2
	ds_bpermute_b32 v5, v9, v8
	ds_bpermute_b32 v7, v9, v7
	s_and_saveexec_b64 s[0:1], vcc
	s_cbranch_execz .LBB29_89
; %bb.88:
	v_add_u32_e32 v1, 2, v1
	v_cmp_gt_u32_e32 vcc, s8, v1
	s_waitcnt lgkmcnt(1)
	v_cndmask_b32_e32 v2, 0, v5, vcc
	s_waitcnt lgkmcnt(0)
	v_cndmask_b32_e32 v1, 0, v7, vcc
	v_add_co_u32_e32 v2, vcc, v2, v4
	v_addc_co_u32_e32 v3, vcc, v1, v6, vcc
.LBB29_89:
	s_or_b64 exec, exec, s[0:1]
.LBB29_90:
	s_or_b64 exec, exec, s[2:3]
.LBB29_91:
	v_cmp_eq_u32_e64 s[0:1], 0, v0
.LBB29_92:
	s_branch .LBB29_119
.LBB29_93:
	s_cmp_eq_u32 s33, 4
                                        ; implicit-def: $vgpr2_vgpr3
	s_cbranch_scc0 .LBB29_119
; %bb.94:
	s_lshl_b32 s2, s6, 10
	s_lshr_b64 s[0:1], s[36:37], 10
	s_add_u32 s8, s40, s2
	s_mov_b32 s7, 0
	s_addc_u32 s9, s41, 0
	s_cmp_lg_u64 s[0:1], s[6:7]
	s_cbranch_scc0 .LBB29_100
; %bb.95:
	global_load_ubyte v2, v0, s[8:9]
	global_load_ubyte v3, v0, s[8:9] offset:256
	global_load_ubyte v4, v0, s[8:9] offset:512
	s_waitcnt lgkmcnt(1)
	global_load_ubyte v5, v0, s[8:9] offset:768
	v_mov_b32_e32 v6, 0
	v_mbcnt_lo_u32_b32 v1, -1, 0
	s_waitcnt lgkmcnt(0)
	v_bfrev_b32_e32 v7, 0.5
	v_mov_b32_dpp v6, v6 quad_perm:[1,0,3,2] row_mask:0xf bank_mask:0xf bound_ctrl:1
	v_mbcnt_hi_u32_b32 v1, -1, v1
	v_lshl_or_b32 v7, v1, 2, v7
	s_waitcnt vmcnt(3)
	v_cmp_ne_u16_e32 vcc, 0, v2
	v_cndmask_b32_e64 v2, 0, 1, vcc
	s_waitcnt vmcnt(2)
	v_cmp_ne_u16_e32 vcc, 0, v3
	v_cndmask_b32_e64 v3, 0, 1, vcc
	;; [unrolled: 3-line block ×4, first 2 shown]
	v_add_co_u32_e32 v2, vcc, v3, v2
	v_addc_co_u32_e64 v3, s[0:1], 0, 0, vcc
	v_add_co_u32_e32 v2, vcc, v2, v4
	v_addc_co_u32_e32 v3, vcc, 0, v3, vcc
	v_add_co_u32_e32 v2, vcc, v2, v5
	v_addc_co_u32_e32 v3, vcc, 0, v3, vcc
	s_nop 0
	v_mov_b32_dpp v4, v2 quad_perm:[1,0,3,2] row_mask:0xf bank_mask:0xf bound_ctrl:1
	v_add_co_u32_e32 v2, vcc, v2, v4
	v_addc_co_u32_e32 v3, vcc, 0, v3, vcc
	v_add_co_u32_e32 v4, vcc, 0, v2
	v_addc_co_u32_e32 v3, vcc, v6, v3, vcc
	v_mov_b32_dpp v2, v2 quad_perm:[2,3,0,1] row_mask:0xf bank_mask:0xf bound_ctrl:1
	v_add_co_u32_e32 v2, vcc, v4, v2
	v_mov_b32_dpp v5, v3 quad_perm:[2,3,0,1] row_mask:0xf bank_mask:0xf bound_ctrl:1
	v_addc_co_u32_e32 v3, vcc, 0, v3, vcc
	v_add_co_u32_e32 v4, vcc, 0, v2
	v_addc_co_u32_e32 v3, vcc, v3, v5, vcc
	v_mov_b32_dpp v2, v2 row_ror:4 row_mask:0xf bank_mask:0xf bound_ctrl:1
	v_add_co_u32_e32 v2, vcc, v4, v2
	v_mov_b32_dpp v5, v3 row_ror:4 row_mask:0xf bank_mask:0xf bound_ctrl:1
	v_addc_co_u32_e32 v3, vcc, 0, v3, vcc
	v_add_co_u32_e32 v4, vcc, 0, v2
	v_addc_co_u32_e32 v3, vcc, v3, v5, vcc
	v_mov_b32_dpp v2, v2 row_ror:8 row_mask:0xf bank_mask:0xf bound_ctrl:1
	v_add_co_u32_e32 v2, vcc, v4, v2
	v_mov_b32_dpp v5, v3 row_ror:8 row_mask:0xf bank_mask:0xf bound_ctrl:1
	v_addc_co_u32_e32 v3, vcc, 0, v3, vcc
	v_add_co_u32_e32 v4, vcc, 0, v2
	v_addc_co_u32_e32 v3, vcc, v3, v5, vcc
	v_mov_b32_dpp v2, v2 row_bcast:15 row_mask:0xf bank_mask:0xf bound_ctrl:1
	v_add_co_u32_e32 v2, vcc, v4, v2
	v_mov_b32_dpp v5, v3 row_bcast:15 row_mask:0xf bank_mask:0xf bound_ctrl:1
	v_addc_co_u32_e32 v3, vcc, 0, v3, vcc
	v_add_co_u32_e32 v4, vcc, 0, v2
	v_addc_co_u32_e32 v3, vcc, v3, v5, vcc
	v_mov_b32_dpp v2, v2 row_bcast:31 row_mask:0xf bank_mask:0xf bound_ctrl:1
	v_add_co_u32_e32 v2, vcc, v4, v2
	v_addc_co_u32_e32 v4, vcc, 0, v3, vcc
	ds_bpermute_b32 v2, v7, v2
	s_nop 0
	v_add_u32_dpp v3, v3, v4 row_bcast:31 row_mask:0xf bank_mask:0xf bound_ctrl:1
	ds_bpermute_b32 v3, v7, v3
	v_cmp_eq_u32_e32 vcc, 0, v1
	s_and_saveexec_b64 s[0:1], vcc
	s_cbranch_execz .LBB29_97
; %bb.96:
	v_lshrrev_b32_e32 v4, 3, v0
	v_and_b32_e32 v4, 24, v4
	s_waitcnt lgkmcnt(0)
	ds_write_b64 v4, v[2:3] offset:96
.LBB29_97:
	s_or_b64 exec, exec, s[0:1]
	v_cmp_gt_u32_e32 vcc, 64, v0
	s_waitcnt lgkmcnt(0)
	s_barrier
	s_and_saveexec_b64 s[0:1], vcc
	s_cbranch_execz .LBB29_99
; %bb.98:
	v_and_b32_e32 v4, 3, v1
	v_lshlrev_b32_e32 v2, 3, v4
	ds_read_b64 v[2:3], v2 offset:96
	v_cmp_ne_u32_e32 vcc, 3, v4
	v_addc_co_u32_e32 v5, vcc, 0, v1, vcc
	v_lshlrev_b32_e32 v5, 2, v5
	s_waitcnt lgkmcnt(0)
	ds_bpermute_b32 v6, v5, v2
	ds_bpermute_b32 v5, v5, v3
	s_waitcnt lgkmcnt(1)
	v_add_co_u32_e32 v2, vcc, v2, v6
	v_addc_co_u32_e32 v3, vcc, 0, v3, vcc
	v_cmp_gt_u32_e32 vcc, 2, v4
	v_cndmask_b32_e64 v4, 0, 1, vcc
	v_lshlrev_b32_e32 v4, 1, v4
	v_add_lshl_u32 v1, v4, v1, 2
	ds_bpermute_b32 v4, v1, v2
	v_add_co_u32_e32 v2, vcc, 0, v2
	s_waitcnt lgkmcnt(1)
	v_addc_co_u32_e32 v3, vcc, v5, v3, vcc
	ds_bpermute_b32 v1, v1, v3
	s_waitcnt lgkmcnt(1)
	v_add_co_u32_e32 v2, vcc, v2, v4
	v_addc_co_u32_e32 v3, vcc, 0, v3, vcc
	v_add_co_u32_e32 v2, vcc, 0, v2
	s_waitcnt lgkmcnt(0)
	v_addc_co_u32_e32 v3, vcc, v3, v1, vcc
.LBB29_99:
	s_or_b64 exec, exec, s[0:1]
	s_branch .LBB29_118
.LBB29_100:
                                        ; implicit-def: $vgpr2_vgpr3
	s_cbranch_execz .LBB29_118
; %bb.101:
	s_sub_i32 s12, s36, s2
	v_cmp_gt_u32_e32 vcc, s12, v0
                                        ; implicit-def: $vgpr2_vgpr3_vgpr4_vgpr5_vgpr6_vgpr7_vgpr8_vgpr9
	s_and_saveexec_b64 s[0:1], vcc
	s_cbranch_execz .LBB29_103
; %bb.102:
	global_load_ubyte v1, v0, s[8:9]
	v_mov_b32_e32 v3, 0
	s_waitcnt vmcnt(0)
	v_cmp_ne_u16_e32 vcc, 0, v1
	v_cndmask_b32_e64 v2, 0, 1, vcc
.LBB29_103:
	s_or_b64 exec, exec, s[0:1]
	v_or_b32_e32 v1, 0x100, v0
	v_cmp_gt_u32_e32 vcc, s12, v1
	s_and_saveexec_b64 s[2:3], vcc
	s_cbranch_execz .LBB29_105
; %bb.104:
	global_load_ubyte v1, v0, s[8:9] offset:256
	s_waitcnt lgkmcnt(1)
	v_mov_b32_e32 v5, 0
	s_waitcnt vmcnt(0)
	v_cmp_ne_u16_e64 s[0:1], 0, v1
	v_cndmask_b32_e64 v4, 0, 1, s[0:1]
.LBB29_105:
	s_or_b64 exec, exec, s[2:3]
	v_or_b32_e32 v1, 0x200, v0
	v_cmp_gt_u32_e64 s[0:1], s12, v1
	s_and_saveexec_b64 s[10:11], s[0:1]
	s_cbranch_execz .LBB29_107
; %bb.106:
	global_load_ubyte v1, v0, s[8:9] offset:512
	s_waitcnt lgkmcnt(0)
	v_mov_b32_e32 v7, 0
	s_waitcnt vmcnt(0)
	v_cmp_ne_u16_e64 s[2:3], 0, v1
	v_cndmask_b32_e64 v6, 0, 1, s[2:3]
.LBB29_107:
	s_or_b64 exec, exec, s[10:11]
	v_or_b32_e32 v1, 0x300, v0
	v_cmp_gt_u32_e64 s[2:3], s12, v1
	s_and_saveexec_b64 s[10:11], s[2:3]
	s_cbranch_execz .LBB29_109
; %bb.108:
	global_load_ubyte v1, v0, s[8:9] offset:768
	v_mov_b32_e32 v9, 0
	s_waitcnt vmcnt(0)
	v_cmp_ne_u16_e64 s[8:9], 0, v1
	v_cndmask_b32_e64 v8, 0, 1, s[8:9]
.LBB29_109:
	s_or_b64 exec, exec, s[10:11]
	v_cndmask_b32_e32 v4, 0, v4, vcc
	s_waitcnt lgkmcnt(1)
	v_cndmask_b32_e32 v1, 0, v5, vcc
	v_add_co_u32_e32 v2, vcc, v4, v2
	v_addc_co_u32_e32 v1, vcc, v1, v3, vcc
	v_cndmask_b32_e64 v4, 0, v6, s[0:1]
	s_waitcnt lgkmcnt(0)
	v_cndmask_b32_e64 v3, 0, v7, s[0:1]
	v_add_co_u32_e32 v2, vcc, v2, v4
	v_addc_co_u32_e32 v1, vcc, v1, v3, vcc
	v_cndmask_b32_e64 v4, 0, v8, s[2:3]
	v_cndmask_b32_e64 v3, 0, v9, s[2:3]
	v_add_co_u32_e32 v2, vcc, v2, v4
	v_addc_co_u32_e32 v3, vcc, v1, v3, vcc
	v_mbcnt_lo_u32_b32 v1, -1, 0
	v_mbcnt_hi_u32_b32 v5, -1, v1
	v_and_b32_e32 v6, 63, v5
	v_cmp_ne_u32_e32 vcc, 63, v6
	v_addc_co_u32_e32 v4, vcc, 0, v5, vcc
	v_lshlrev_b32_e32 v4, 2, v4
	ds_bpermute_b32 v8, v4, v2
	ds_bpermute_b32 v4, v4, v3
	s_min_u32 s8, s12, 0x100
	v_and_b32_e32 v1, 0xc0, v0
	v_sub_u32_e64 v7, s8, v1 clamp
	s_waitcnt lgkmcnt(1)
	v_add_co_u32_e32 v8, vcc, v2, v8
	v_addc_co_u32_e32 v9, vcc, 0, v3, vcc
	v_add_co_u32_e32 v10, vcc, 0, v8
	v_add_u32_e32 v1, 1, v6
	s_waitcnt lgkmcnt(0)
	v_addc_co_u32_e32 v4, vcc, v4, v9, vcc
	v_cmp_lt_u32_e64 s[0:1], v1, v7
	v_cmp_gt_u32_e32 vcc, 62, v6
	v_cndmask_b32_e64 v1, v2, v8, s[0:1]
	v_cndmask_b32_e64 v8, 0, 1, vcc
	v_lshlrev_b32_e32 v8, 1, v8
	v_add_lshl_u32 v8, v8, v5, 2
	v_cndmask_b32_e64 v4, v3, v4, s[0:1]
	ds_bpermute_b32 v9, v8, v1
	ds_bpermute_b32 v8, v8, v4
	v_cndmask_b32_e64 v10, v2, v10, s[0:1]
	v_add_u32_e32 v11, 2, v6
	v_cmp_gt_u32_e64 s[2:3], 60, v6
	s_waitcnt lgkmcnt(1)
	v_add_co_u32_e32 v9, vcc, v9, v10
	s_waitcnt lgkmcnt(0)
	v_addc_co_u32_e32 v8, vcc, v8, v4, vcc
	v_cmp_lt_u32_e32 vcc, v11, v7
	v_cndmask_b32_e32 v4, v4, v8, vcc
	v_cndmask_b32_e64 v8, 0, 1, s[2:3]
	v_lshlrev_b32_e32 v8, 2, v8
	v_cndmask_b32_e32 v1, v1, v9, vcc
	v_add_lshl_u32 v8, v8, v5, 2
	ds_bpermute_b32 v11, v8, v1
	ds_bpermute_b32 v8, v8, v4
	v_cndmask_b32_e32 v9, v10, v9, vcc
	v_add_u32_e32 v10, 4, v6
	v_cmp_gt_u32_e64 s[2:3], 56, v6
	s_waitcnt lgkmcnt(1)
	v_add_co_u32_e32 v11, vcc, v11, v9
	s_waitcnt lgkmcnt(0)
	v_addc_co_u32_e32 v8, vcc, v8, v4, vcc
	v_cmp_lt_u32_e32 vcc, v10, v7
	v_cndmask_b32_e32 v4, v4, v8, vcc
	v_cndmask_b32_e64 v8, 0, 1, s[2:3]
	v_lshlrev_b32_e32 v8, 3, v8
	v_cndmask_b32_e32 v1, v1, v11, vcc
	v_add_lshl_u32 v8, v8, v5, 2
	ds_bpermute_b32 v10, v8, v1
	ds_bpermute_b32 v8, v8, v4
	v_cndmask_b32_e32 v9, v9, v11, vcc
	v_add_u32_e32 v11, 8, v6
	v_cmp_gt_u32_e64 s[2:3], 48, v6
	s_waitcnt lgkmcnt(1)
	v_add_co_u32_e32 v10, vcc, v10, v9
	s_waitcnt lgkmcnt(0)
	v_addc_co_u32_e32 v8, vcc, v8, v4, vcc
	v_cmp_lt_u32_e32 vcc, v11, v7
	v_cndmask_b32_e32 v11, v1, v10, vcc
	v_cndmask_b32_e32 v1, v4, v8, vcc
	v_cndmask_b32_e64 v4, 0, 1, s[2:3]
	v_lshlrev_b32_e32 v4, 4, v4
	v_add_lshl_u32 v8, v4, v5, 2
	ds_bpermute_b32 v12, v8, v11
	v_cndmask_b32_e32 v4, v9, v10, vcc
	ds_bpermute_b32 v9, v8, v1
	v_add_u32_e32 v10, 16, v6
	v_cmp_gt_u32_e64 s[2:3], 32, v6
	s_waitcnt lgkmcnt(1)
	v_add_co_u32_e32 v8, vcc, v12, v4
	s_waitcnt lgkmcnt(0)
	v_addc_co_u32_e32 v9, vcc, v9, v1, vcc
	v_cmp_lt_u32_e32 vcc, v10, v7
	v_cndmask_b32_e32 v10, v11, v8, vcc
	v_cndmask_b32_e64 v11, 0, 1, s[2:3]
	v_lshlrev_b32_e32 v11, 5, v11
	v_cndmask_b32_e32 v12, v1, v9, vcc
	v_add_lshl_u32 v11, v11, v5, 2
	ds_bpermute_b32 v10, v11, v10
	ds_bpermute_b32 v11, v11, v12
	s_and_saveexec_b64 s[2:3], s[0:1]
	s_cbranch_execz .LBB29_111
; %bb.110:
	v_add_u32_e32 v2, 32, v6
	v_cndmask_b32_e32 v1, v1, v9, vcc
	v_cndmask_b32_e32 v3, v4, v8, vcc
	v_cmp_lt_u32_e32 vcc, v2, v7
	s_waitcnt lgkmcnt(1)
	v_cndmask_b32_e32 v2, 0, v10, vcc
	s_waitcnt lgkmcnt(0)
	v_cndmask_b32_e32 v4, 0, v11, vcc
	v_add_co_u32_e32 v2, vcc, v2, v3
	v_addc_co_u32_e32 v3, vcc, v4, v1, vcc
.LBB29_111:
	s_or_b64 exec, exec, s[2:3]
	v_cmp_eq_u32_e32 vcc, 0, v5
	s_and_saveexec_b64 s[0:1], vcc
	s_cbranch_execz .LBB29_113
; %bb.112:
	v_lshrrev_b32_e32 v1, 3, v0
	v_and_b32_e32 v1, 24, v1
	ds_write_b64 v1, v[2:3] offset:160
.LBB29_113:
	s_or_b64 exec, exec, s[0:1]
	v_cmp_gt_u32_e32 vcc, 4, v0
	s_waitcnt lgkmcnt(0)
	s_barrier
	s_and_saveexec_b64 s[2:3], vcc
	s_cbranch_execz .LBB29_117
; %bb.114:
	v_lshlrev_b32_e32 v1, 3, v5
	ds_read_b64 v[2:3], v1 offset:160
	v_and_b32_e32 v1, 3, v5
	v_cmp_ne_u32_e32 vcc, 3, v1
	v_addc_co_u32_e32 v4, vcc, 0, v5, vcc
	v_lshlrev_b32_e32 v4, 2, v4
	s_waitcnt lgkmcnt(0)
	ds_bpermute_b32 v6, v4, v2
	ds_bpermute_b32 v8, v4, v3
	s_add_i32 s8, s8, 63
	s_lshr_b32 s8, s8, 6
	v_add_u32_e32 v7, 1, v1
	s_waitcnt lgkmcnt(1)
	v_add_co_u32_e32 v9, vcc, v2, v6
	v_addc_co_u32_e32 v6, vcc, 0, v3, vcc
	v_add_co_u32_e32 v4, vcc, 0, v9
	s_waitcnt lgkmcnt(0)
	v_addc_co_u32_e32 v6, vcc, v8, v6, vcc
	v_cmp_gt_u32_e32 vcc, s8, v7
	v_cmp_gt_u32_e64 s[0:1], 2, v1
	v_cndmask_b32_e32 v8, v2, v9, vcc
	v_cndmask_b32_e64 v9, 0, 1, s[0:1]
	v_lshlrev_b32_e32 v9, 1, v9
	v_cndmask_b32_e32 v7, v3, v6, vcc
	v_add_lshl_u32 v9, v9, v5, 2
	ds_bpermute_b32 v5, v9, v8
	ds_bpermute_b32 v7, v9, v7
	s_and_saveexec_b64 s[0:1], vcc
	s_cbranch_execz .LBB29_116
; %bb.115:
	v_add_u32_e32 v1, 2, v1
	v_cmp_gt_u32_e32 vcc, s8, v1
	s_waitcnt lgkmcnt(1)
	v_cndmask_b32_e32 v2, 0, v5, vcc
	s_waitcnt lgkmcnt(0)
	v_cndmask_b32_e32 v1, 0, v7, vcc
	v_add_co_u32_e32 v2, vcc, v2, v4
	v_addc_co_u32_e32 v3, vcc, v1, v6, vcc
.LBB29_116:
	s_or_b64 exec, exec, s[0:1]
.LBB29_117:
	s_or_b64 exec, exec, s[2:3]
.LBB29_118:
	v_cmp_eq_u32_e64 s[0:1], 0, v0
.LBB29_119:
	s_branch .LBB29_153
.LBB29_120:
	s_cmp_gt_i32 s33, 1
	s_cbranch_scc0 .LBB29_129
; %bb.121:
	s_cmp_eq_u32 s33, 2
                                        ; implicit-def: $vgpr2_vgpr3
	s_cbranch_scc0 .LBB29_130
; %bb.122:
	s_lshl_b32 s8, s6, 9
	s_lshr_b64 s[2:3], s[36:37], 9
	s_add_u32 s0, s40, s8
	s_mov_b32 s7, 0
	s_addc_u32 s1, s41, 0
	s_cmp_lg_u64 s[2:3], s[6:7]
	s_cbranch_scc0 .LBB29_131
; %bb.123:
	global_load_ubyte v2, v0, s[0:1]
	global_load_ubyte v3, v0, s[0:1] offset:256
	v_mov_b32_e32 v4, 0
	v_mbcnt_lo_u32_b32 v1, -1, 0
	s_waitcnt lgkmcnt(1)
	v_bfrev_b32_e32 v5, 0.5
	v_mov_b32_dpp v4, v4 quad_perm:[1,0,3,2] row_mask:0xf bank_mask:0xf bound_ctrl:1
	v_mbcnt_hi_u32_b32 v1, -1, v1
	v_lshl_or_b32 v5, v1, 2, v5
	s_waitcnt vmcnt(1)
	v_cmp_ne_u16_e32 vcc, 0, v2
	v_cndmask_b32_e64 v2, 0, 1, vcc
	s_waitcnt vmcnt(0)
	v_cmp_ne_u16_e32 vcc, 0, v3
	v_cndmask_b32_e64 v3, 0, 1, vcc
	v_add_co_u32_e32 v2, vcc, v3, v2
	v_addc_co_u32_e64 v3, s[2:3], 0, 0, vcc
	s_nop 0
	v_mov_b32_dpp v6, v2 quad_perm:[1,0,3,2] row_mask:0xf bank_mask:0xf bound_ctrl:1
	v_add_co_u32_e32 v2, vcc, v2, v6
	v_addc_co_u32_e32 v3, vcc, 0, v3, vcc
	v_add_co_u32_e32 v6, vcc, 0, v2
	v_addc_co_u32_e32 v3, vcc, v4, v3, vcc
	v_mov_b32_dpp v2, v2 quad_perm:[2,3,0,1] row_mask:0xf bank_mask:0xf bound_ctrl:1
	v_add_co_u32_e32 v2, vcc, v6, v2
	v_mov_b32_dpp v4, v3 quad_perm:[2,3,0,1] row_mask:0xf bank_mask:0xf bound_ctrl:1
	v_addc_co_u32_e32 v3, vcc, 0, v3, vcc
	v_add_co_u32_e32 v6, vcc, 0, v2
	v_addc_co_u32_e32 v3, vcc, v3, v4, vcc
	v_mov_b32_dpp v2, v2 row_ror:4 row_mask:0xf bank_mask:0xf bound_ctrl:1
	v_add_co_u32_e32 v2, vcc, v6, v2
	v_mov_b32_dpp v4, v3 row_ror:4 row_mask:0xf bank_mask:0xf bound_ctrl:1
	v_addc_co_u32_e32 v3, vcc, 0, v3, vcc
	v_add_co_u32_e32 v6, vcc, 0, v2
	v_addc_co_u32_e32 v3, vcc, v3, v4, vcc
	v_mov_b32_dpp v2, v2 row_ror:8 row_mask:0xf bank_mask:0xf bound_ctrl:1
	v_add_co_u32_e32 v2, vcc, v6, v2
	v_mov_b32_dpp v4, v3 row_ror:8 row_mask:0xf bank_mask:0xf bound_ctrl:1
	v_addc_co_u32_e32 v3, vcc, 0, v3, vcc
	v_add_co_u32_e32 v6, vcc, 0, v2
	v_addc_co_u32_e32 v3, vcc, v3, v4, vcc
	v_mov_b32_dpp v2, v2 row_bcast:15 row_mask:0xf bank_mask:0xf bound_ctrl:1
	v_add_co_u32_e32 v2, vcc, v6, v2
	v_mov_b32_dpp v4, v3 row_bcast:15 row_mask:0xf bank_mask:0xf bound_ctrl:1
	v_addc_co_u32_e32 v3, vcc, 0, v3, vcc
	v_add_co_u32_e32 v6, vcc, 0, v2
	v_addc_co_u32_e32 v3, vcc, v3, v4, vcc
	v_mov_b32_dpp v2, v2 row_bcast:31 row_mask:0xf bank_mask:0xf bound_ctrl:1
	v_add_co_u32_e32 v2, vcc, v6, v2
	v_addc_co_u32_e32 v4, vcc, 0, v3, vcc
	ds_bpermute_b32 v2, v5, v2
	s_nop 0
	v_add_u32_dpp v3, v3, v4 row_bcast:31 row_mask:0xf bank_mask:0xf bound_ctrl:1
	ds_bpermute_b32 v3, v5, v3
	v_cmp_eq_u32_e32 vcc, 0, v1
	s_and_saveexec_b64 s[2:3], vcc
	s_cbranch_execz .LBB29_125
; %bb.124:
	v_lshrrev_b32_e32 v4, 3, v0
	v_and_b32_e32 v4, 24, v4
	s_waitcnt lgkmcnt(0)
	ds_write_b64 v4, v[2:3] offset:64
.LBB29_125:
	s_or_b64 exec, exec, s[2:3]
	v_cmp_gt_u32_e32 vcc, 64, v0
	s_waitcnt lgkmcnt(0)
	s_barrier
	s_and_saveexec_b64 s[2:3], vcc
	s_cbranch_execz .LBB29_127
; %bb.126:
	v_and_b32_e32 v4, 3, v1
	v_lshlrev_b32_e32 v2, 3, v4
	ds_read_b64 v[2:3], v2 offset:64
	v_cmp_ne_u32_e32 vcc, 3, v4
	v_addc_co_u32_e32 v5, vcc, 0, v1, vcc
	v_lshlrev_b32_e32 v5, 2, v5
	s_waitcnt lgkmcnt(0)
	ds_bpermute_b32 v6, v5, v2
	ds_bpermute_b32 v5, v5, v3
	s_waitcnt lgkmcnt(1)
	v_add_co_u32_e32 v2, vcc, v2, v6
	v_addc_co_u32_e32 v3, vcc, 0, v3, vcc
	v_cmp_gt_u32_e32 vcc, 2, v4
	v_cndmask_b32_e64 v4, 0, 1, vcc
	v_lshlrev_b32_e32 v4, 1, v4
	v_add_lshl_u32 v1, v4, v1, 2
	ds_bpermute_b32 v4, v1, v2
	v_add_co_u32_e32 v2, vcc, 0, v2
	s_waitcnt lgkmcnt(1)
	v_addc_co_u32_e32 v3, vcc, v5, v3, vcc
	ds_bpermute_b32 v1, v1, v3
	s_waitcnt lgkmcnt(1)
	v_add_co_u32_e32 v2, vcc, v2, v4
	v_addc_co_u32_e32 v3, vcc, 0, v3, vcc
	v_add_co_u32_e32 v2, vcc, 0, v2
	s_waitcnt lgkmcnt(0)
	v_addc_co_u32_e32 v3, vcc, v3, v1, vcc
.LBB29_127:
	s_or_b64 exec, exec, s[2:3]
.LBB29_128:
	v_cmp_eq_u32_e64 s[0:1], 0, v0
	s_branch .LBB29_153
.LBB29_129:
                                        ; implicit-def: $vgpr2_vgpr3
	s_cbranch_execnz .LBB29_145
	s_branch .LBB29_153
.LBB29_130:
	s_branch .LBB29_153
.LBB29_131:
                                        ; implicit-def: $vgpr2_vgpr3
	s_cbranch_execz .LBB29_128
; %bb.132:
	s_sub_i32 s8, s36, s8
	v_cmp_gt_u32_e32 vcc, s8, v0
                                        ; implicit-def: $vgpr2_vgpr3_vgpr4_vgpr5
	s_and_saveexec_b64 s[2:3], vcc
	s_cbranch_execz .LBB29_134
; %bb.133:
	global_load_ubyte v1, v0, s[0:1]
	v_mov_b32_e32 v3, 0
	s_waitcnt vmcnt(0)
	v_cmp_ne_u16_e32 vcc, 0, v1
	v_cndmask_b32_e64 v2, 0, 1, vcc
.LBB29_134:
	s_or_b64 exec, exec, s[2:3]
	v_or_b32_e32 v1, 0x100, v0
	v_cmp_gt_u32_e32 vcc, s8, v1
	s_and_saveexec_b64 s[2:3], vcc
	s_cbranch_execz .LBB29_136
; %bb.135:
	global_load_ubyte v1, v0, s[0:1] offset:256
	s_waitcnt lgkmcnt(1)
	v_mov_b32_e32 v5, 0
	s_waitcnt vmcnt(0)
	v_cmp_ne_u16_e64 s[0:1], 0, v1
	v_cndmask_b32_e64 v4, 0, 1, s[0:1]
.LBB29_136:
	s_or_b64 exec, exec, s[2:3]
	v_cndmask_b32_e32 v4, 0, v4, vcc
	s_waitcnt lgkmcnt(1)
	v_cndmask_b32_e32 v1, 0, v5, vcc
	v_add_co_u32_e32 v2, vcc, v4, v2
	v_addc_co_u32_e32 v3, vcc, v1, v3, vcc
	v_mbcnt_lo_u32_b32 v1, -1, 0
	v_mbcnt_hi_u32_b32 v5, -1, v1
	v_and_b32_e32 v6, 63, v5
	v_cmp_ne_u32_e32 vcc, 63, v6
	v_addc_co_u32_e32 v4, vcc, 0, v5, vcc
	v_lshlrev_b32_e32 v4, 2, v4
	ds_bpermute_b32 v8, v4, v2
	ds_bpermute_b32 v4, v4, v3
	s_min_u32 s8, s8, 0x100
	v_and_b32_e32 v1, 0xc0, v0
	s_waitcnt lgkmcnt(2)
	v_sub_u32_e64 v7, s8, v1 clamp
	s_waitcnt lgkmcnt(1)
	v_add_co_u32_e32 v8, vcc, v2, v8
	v_addc_co_u32_e32 v9, vcc, 0, v3, vcc
	v_add_co_u32_e32 v10, vcc, 0, v8
	v_add_u32_e32 v1, 1, v6
	s_waitcnt lgkmcnt(0)
	v_addc_co_u32_e32 v4, vcc, v4, v9, vcc
	v_cmp_lt_u32_e64 s[0:1], v1, v7
	v_cmp_gt_u32_e32 vcc, 62, v6
	v_cndmask_b32_e64 v1, v2, v8, s[0:1]
	v_cndmask_b32_e64 v8, 0, 1, vcc
	v_lshlrev_b32_e32 v8, 1, v8
	v_add_lshl_u32 v8, v8, v5, 2
	v_cndmask_b32_e64 v4, v3, v4, s[0:1]
	ds_bpermute_b32 v9, v8, v1
	ds_bpermute_b32 v8, v8, v4
	v_cndmask_b32_e64 v10, v2, v10, s[0:1]
	v_add_u32_e32 v11, 2, v6
	v_cmp_gt_u32_e64 s[2:3], 60, v6
	s_waitcnt lgkmcnt(1)
	v_add_co_u32_e32 v9, vcc, v9, v10
	s_waitcnt lgkmcnt(0)
	v_addc_co_u32_e32 v8, vcc, v8, v4, vcc
	v_cmp_lt_u32_e32 vcc, v11, v7
	v_cndmask_b32_e32 v4, v4, v8, vcc
	v_cndmask_b32_e64 v8, 0, 1, s[2:3]
	v_lshlrev_b32_e32 v8, 2, v8
	v_cndmask_b32_e32 v1, v1, v9, vcc
	v_add_lshl_u32 v8, v8, v5, 2
	ds_bpermute_b32 v11, v8, v1
	ds_bpermute_b32 v8, v8, v4
	v_cndmask_b32_e32 v9, v10, v9, vcc
	v_add_u32_e32 v10, 4, v6
	v_cmp_gt_u32_e64 s[2:3], 56, v6
	s_waitcnt lgkmcnt(1)
	v_add_co_u32_e32 v11, vcc, v11, v9
	s_waitcnt lgkmcnt(0)
	v_addc_co_u32_e32 v8, vcc, v8, v4, vcc
	v_cmp_lt_u32_e32 vcc, v10, v7
	v_cndmask_b32_e32 v4, v4, v8, vcc
	v_cndmask_b32_e64 v8, 0, 1, s[2:3]
	v_lshlrev_b32_e32 v8, 3, v8
	v_cndmask_b32_e32 v1, v1, v11, vcc
	v_add_lshl_u32 v8, v8, v5, 2
	ds_bpermute_b32 v10, v8, v1
	ds_bpermute_b32 v8, v8, v4
	v_cndmask_b32_e32 v9, v9, v11, vcc
	v_add_u32_e32 v11, 8, v6
	v_cmp_gt_u32_e64 s[2:3], 48, v6
	s_waitcnt lgkmcnt(1)
	v_add_co_u32_e32 v10, vcc, v10, v9
	s_waitcnt lgkmcnt(0)
	v_addc_co_u32_e32 v8, vcc, v8, v4, vcc
	v_cmp_lt_u32_e32 vcc, v11, v7
	v_cndmask_b32_e32 v11, v1, v10, vcc
	v_cndmask_b32_e32 v1, v4, v8, vcc
	v_cndmask_b32_e64 v4, 0, 1, s[2:3]
	v_lshlrev_b32_e32 v4, 4, v4
	v_add_lshl_u32 v8, v4, v5, 2
	ds_bpermute_b32 v12, v8, v11
	v_cndmask_b32_e32 v4, v9, v10, vcc
	ds_bpermute_b32 v9, v8, v1
	v_add_u32_e32 v10, 16, v6
	v_cmp_gt_u32_e64 s[2:3], 32, v6
	s_waitcnt lgkmcnt(1)
	v_add_co_u32_e32 v8, vcc, v12, v4
	s_waitcnt lgkmcnt(0)
	v_addc_co_u32_e32 v9, vcc, v9, v1, vcc
	v_cmp_lt_u32_e32 vcc, v10, v7
	v_cndmask_b32_e32 v10, v11, v8, vcc
	v_cndmask_b32_e64 v11, 0, 1, s[2:3]
	v_lshlrev_b32_e32 v11, 5, v11
	v_cndmask_b32_e32 v12, v1, v9, vcc
	v_add_lshl_u32 v11, v11, v5, 2
	ds_bpermute_b32 v10, v11, v10
	ds_bpermute_b32 v11, v11, v12
	s_and_saveexec_b64 s[2:3], s[0:1]
	s_cbranch_execz .LBB29_138
; %bb.137:
	v_add_u32_e32 v2, 32, v6
	v_cndmask_b32_e32 v1, v1, v9, vcc
	v_cndmask_b32_e32 v3, v4, v8, vcc
	v_cmp_lt_u32_e32 vcc, v2, v7
	s_waitcnt lgkmcnt(1)
	v_cndmask_b32_e32 v2, 0, v10, vcc
	s_waitcnt lgkmcnt(0)
	v_cndmask_b32_e32 v4, 0, v11, vcc
	v_add_co_u32_e32 v2, vcc, v2, v3
	v_addc_co_u32_e32 v3, vcc, v4, v1, vcc
.LBB29_138:
	s_or_b64 exec, exec, s[2:3]
	v_cmp_eq_u32_e32 vcc, 0, v5
	s_and_saveexec_b64 s[0:1], vcc
	s_cbranch_execz .LBB29_140
; %bb.139:
	v_lshrrev_b32_e32 v1, 3, v0
	v_and_b32_e32 v1, 24, v1
	ds_write_b64 v1, v[2:3] offset:160
.LBB29_140:
	s_or_b64 exec, exec, s[0:1]
	v_cmp_gt_u32_e32 vcc, 4, v0
	s_waitcnt lgkmcnt(0)
	s_barrier
	s_and_saveexec_b64 s[2:3], vcc
	s_cbranch_execz .LBB29_144
; %bb.141:
	v_lshlrev_b32_e32 v1, 3, v5
	ds_read_b64 v[2:3], v1 offset:160
	v_and_b32_e32 v1, 3, v5
	v_cmp_ne_u32_e32 vcc, 3, v1
	v_addc_co_u32_e32 v4, vcc, 0, v5, vcc
	v_lshlrev_b32_e32 v4, 2, v4
	s_waitcnt lgkmcnt(0)
	ds_bpermute_b32 v6, v4, v2
	ds_bpermute_b32 v8, v4, v3
	s_add_i32 s8, s8, 63
	s_lshr_b32 s8, s8, 6
	v_add_u32_e32 v7, 1, v1
	s_waitcnt lgkmcnt(1)
	v_add_co_u32_e32 v9, vcc, v2, v6
	v_addc_co_u32_e32 v6, vcc, 0, v3, vcc
	v_add_co_u32_e32 v4, vcc, 0, v9
	s_waitcnt lgkmcnt(0)
	v_addc_co_u32_e32 v6, vcc, v8, v6, vcc
	v_cmp_gt_u32_e32 vcc, s8, v7
	v_cmp_gt_u32_e64 s[0:1], 2, v1
	v_cndmask_b32_e32 v8, v2, v9, vcc
	v_cndmask_b32_e64 v9, 0, 1, s[0:1]
	v_lshlrev_b32_e32 v9, 1, v9
	v_cndmask_b32_e32 v7, v3, v6, vcc
	v_add_lshl_u32 v9, v9, v5, 2
	ds_bpermute_b32 v5, v9, v8
	ds_bpermute_b32 v7, v9, v7
	s_and_saveexec_b64 s[0:1], vcc
	s_cbranch_execz .LBB29_143
; %bb.142:
	v_add_u32_e32 v1, 2, v1
	v_cmp_gt_u32_e32 vcc, s8, v1
	s_waitcnt lgkmcnt(1)
	v_cndmask_b32_e32 v2, 0, v5, vcc
	s_waitcnt lgkmcnt(0)
	v_cndmask_b32_e32 v1, 0, v7, vcc
	v_add_co_u32_e32 v2, vcc, v2, v4
	v_addc_co_u32_e32 v3, vcc, v1, v6, vcc
.LBB29_143:
	s_or_b64 exec, exec, s[0:1]
.LBB29_144:
	s_or_b64 exec, exec, s[2:3]
	v_cmp_eq_u32_e64 s[0:1], 0, v0
	s_branch .LBB29_153
.LBB29_145:
	s_cmp_eq_u32 s33, 1
                                        ; implicit-def: $vgpr2_vgpr3
	s_cbranch_scc0 .LBB29_153
; %bb.146:
	s_lshl_b32 s2, s6, 8
	s_mov_b32 s7, 0
	s_lshr_b64 s[0:1], s[36:37], 8
	s_cmp_lg_u64 s[0:1], s[6:7]
	v_mbcnt_lo_u32_b32 v1, -1, 0
	s_cbranch_scc0 .LBB29_156
; %bb.147:
	s_add_u32 s0, s40, s2
	s_addc_u32 s1, s41, 0
	global_load_ubyte v2, v0, s[0:1]
	v_mov_b32_e32 v3, 0
	v_mbcnt_hi_u32_b32 v4, -1, v1
	s_waitcnt lgkmcnt(1)
	v_bfrev_b32_e32 v5, 0.5
	v_mov_b32_dpp v3, v3 quad_perm:[1,0,3,2] row_mask:0xf bank_mask:0xf bound_ctrl:1
	v_lshl_or_b32 v5, v4, 2, v5
	s_waitcnt vmcnt(0)
	v_cmp_ne_u16_e32 vcc, 0, v2
	v_cndmask_b32_e64 v2, 0, 1, vcc
	s_nop 1
	v_mov_b32_dpp v6, v2 quad_perm:[1,0,3,2] row_mask:0xf bank_mask:0xf bound_ctrl:1
	v_add_co_u32_e32 v2, vcc, v6, v2
	v_addc_co_u32_e64 v6, s[0:1], 0, 0, vcc
	s_waitcnt lgkmcnt(0)
	v_add_co_u32_e32 v7, vcc, 0, v2
	v_addc_co_u32_e32 v3, vcc, v3, v6, vcc
	v_mov_b32_dpp v2, v2 quad_perm:[2,3,0,1] row_mask:0xf bank_mask:0xf bound_ctrl:1
	v_add_co_u32_e32 v2, vcc, v7, v2
	v_mov_b32_dpp v6, v3 quad_perm:[2,3,0,1] row_mask:0xf bank_mask:0xf bound_ctrl:1
	v_addc_co_u32_e32 v3, vcc, 0, v3, vcc
	v_add_co_u32_e32 v7, vcc, 0, v2
	v_addc_co_u32_e32 v3, vcc, v3, v6, vcc
	v_mov_b32_dpp v2, v2 row_ror:4 row_mask:0xf bank_mask:0xf bound_ctrl:1
	v_add_co_u32_e32 v2, vcc, v7, v2
	v_mov_b32_dpp v6, v3 row_ror:4 row_mask:0xf bank_mask:0xf bound_ctrl:1
	v_addc_co_u32_e32 v3, vcc, 0, v3, vcc
	v_add_co_u32_e32 v7, vcc, 0, v2
	v_addc_co_u32_e32 v3, vcc, v3, v6, vcc
	v_mov_b32_dpp v2, v2 row_ror:8 row_mask:0xf bank_mask:0xf bound_ctrl:1
	v_add_co_u32_e32 v2, vcc, v7, v2
	v_mov_b32_dpp v6, v3 row_ror:8 row_mask:0xf bank_mask:0xf bound_ctrl:1
	v_addc_co_u32_e32 v3, vcc, 0, v3, vcc
	v_add_co_u32_e32 v7, vcc, 0, v2
	v_addc_co_u32_e32 v3, vcc, v3, v6, vcc
	v_mov_b32_dpp v2, v2 row_bcast:15 row_mask:0xf bank_mask:0xf bound_ctrl:1
	v_add_co_u32_e32 v2, vcc, v7, v2
	v_mov_b32_dpp v6, v3 row_bcast:15 row_mask:0xf bank_mask:0xf bound_ctrl:1
	v_addc_co_u32_e32 v3, vcc, 0, v3, vcc
	v_add_co_u32_e32 v7, vcc, 0, v2
	v_addc_co_u32_e32 v3, vcc, v3, v6, vcc
	v_mov_b32_dpp v2, v2 row_bcast:31 row_mask:0xf bank_mask:0xf bound_ctrl:1
	v_add_co_u32_e32 v2, vcc, v7, v2
	v_addc_co_u32_e32 v6, vcc, 0, v3, vcc
	ds_bpermute_b32 v2, v5, v2
	s_nop 0
	v_add_u32_dpp v3, v3, v6 row_bcast:31 row_mask:0xf bank_mask:0xf bound_ctrl:1
	ds_bpermute_b32 v3, v5, v3
	v_cmp_eq_u32_e32 vcc, 0, v4
	s_and_saveexec_b64 s[0:1], vcc
	s_cbranch_execz .LBB29_149
; %bb.148:
	v_lshrrev_b32_e32 v5, 3, v0
	v_and_b32_e32 v5, 24, v5
	s_waitcnt lgkmcnt(0)
	ds_write_b64 v5, v[2:3] offset:32
.LBB29_149:
	s_or_b64 exec, exec, s[0:1]
	v_cmp_gt_u32_e32 vcc, 64, v0
	s_waitcnt lgkmcnt(0)
	s_barrier
	s_and_saveexec_b64 s[0:1], vcc
	s_cbranch_execz .LBB29_151
; %bb.150:
	v_and_b32_e32 v5, 3, v4
	v_lshlrev_b32_e32 v2, 3, v5
	ds_read_b64 v[2:3], v2 offset:32
	v_cmp_ne_u32_e32 vcc, 3, v5
	v_addc_co_u32_e32 v6, vcc, 0, v4, vcc
	v_lshlrev_b32_e32 v6, 2, v6
	s_waitcnt lgkmcnt(0)
	ds_bpermute_b32 v7, v6, v2
	ds_bpermute_b32 v6, v6, v3
	s_waitcnt lgkmcnt(1)
	v_add_co_u32_e32 v2, vcc, v2, v7
	v_addc_co_u32_e32 v3, vcc, 0, v3, vcc
	v_cmp_gt_u32_e32 vcc, 2, v5
	v_cndmask_b32_e64 v5, 0, 1, vcc
	v_lshlrev_b32_e32 v5, 1, v5
	v_add_lshl_u32 v4, v5, v4, 2
	ds_bpermute_b32 v5, v4, v2
	v_add_co_u32_e32 v2, vcc, 0, v2
	s_waitcnt lgkmcnt(1)
	v_addc_co_u32_e32 v3, vcc, v6, v3, vcc
	ds_bpermute_b32 v4, v4, v3
	s_waitcnt lgkmcnt(1)
	v_add_co_u32_e32 v2, vcc, v2, v5
	v_addc_co_u32_e32 v3, vcc, 0, v3, vcc
	v_add_co_u32_e32 v2, vcc, 0, v2
	s_waitcnt lgkmcnt(0)
	v_addc_co_u32_e32 v3, vcc, v3, v4, vcc
.LBB29_151:
	s_or_b64 exec, exec, s[0:1]
.LBB29_152:
	v_cmp_eq_u32_e64 s[0:1], 0, v0
.LBB29_153:
	s_and_saveexec_b64 s[2:3], s[0:1]
	s_cbranch_execz .LBB29_155
.LBB29_154:
	s_lshl_b64 s[2:3], s[6:7], 3
	s_load_dwordx2 s[0:1], s[4:5], 0x28
	s_add_u32 s2, s38, s2
	s_addc_u32 s3, s39, s3
	s_cmp_lg_u64 s[36:37], 0
	s_cselect_b64 vcc, -1, 0
	v_cndmask_b32_e32 v0, 0, v2, vcc
	v_cndmask_b32_e32 v1, 0, v3, vcc
	s_waitcnt lgkmcnt(0)
	v_mov_b32_e32 v2, s1
	v_add_co_u32_e32 v0, vcc, s0, v0
	v_mov_b32_e32 v4, 0
	v_addc_co_u32_e32 v1, vcc, v1, v2, vcc
	global_store_dwordx2 v4, v[0:1], s[2:3]
.LBB29_155:
	s_endpgm
.LBB29_156:
                                        ; implicit-def: $vgpr2_vgpr3
	s_cbranch_execz .LBB29_152
; %bb.157:
	s_sub_i32 s3, s36, s2
	v_cmp_gt_u32_e32 vcc, s3, v0
                                        ; implicit-def: $vgpr2_vgpr3
	s_and_saveexec_b64 s[0:1], vcc
	s_cbranch_execz .LBB29_159
; %bb.158:
	s_add_u32 s8, s40, s2
	s_addc_u32 s9, s41, 0
	global_load_ubyte v2, v0, s[8:9]
	s_mov_b32 s2, 0
	v_mov_b32_e32 v3, s2
	s_waitcnt vmcnt(0)
	v_cmp_ne_u16_e32 vcc, 0, v2
	v_cndmask_b32_e64 v2, 0, 1, vcc
.LBB29_159:
	s_or_b64 exec, exec, s[0:1]
	s_waitcnt lgkmcnt(1)
	v_mbcnt_hi_u32_b32 v5, -1, v1
	v_and_b32_e32 v6, 63, v5
	v_cmp_ne_u32_e32 vcc, 63, v6
	v_addc_co_u32_e32 v4, vcc, 0, v5, vcc
	v_lshlrev_b32_e32 v4, 2, v4
	ds_bpermute_b32 v8, v4, v2
	ds_bpermute_b32 v4, v4, v3
	s_min_u32 s8, s3, 0x100
	v_and_b32_e32 v1, 0xc0, v0
	s_waitcnt lgkmcnt(2)
	v_sub_u32_e64 v7, s8, v1 clamp
	s_waitcnt lgkmcnt(1)
	v_add_co_u32_e32 v8, vcc, v2, v8
	v_addc_co_u32_e32 v9, vcc, 0, v3, vcc
	v_add_co_u32_e32 v10, vcc, 0, v8
	v_add_u32_e32 v1, 1, v6
	s_waitcnt lgkmcnt(0)
	v_addc_co_u32_e32 v4, vcc, v4, v9, vcc
	v_cmp_lt_u32_e64 s[0:1], v1, v7
	v_cmp_gt_u32_e32 vcc, 62, v6
	v_cndmask_b32_e64 v1, v2, v8, s[0:1]
	v_cndmask_b32_e64 v8, 0, 1, vcc
	v_lshlrev_b32_e32 v8, 1, v8
	v_add_lshl_u32 v8, v8, v5, 2
	v_cndmask_b32_e64 v4, v3, v4, s[0:1]
	ds_bpermute_b32 v9, v8, v1
	ds_bpermute_b32 v8, v8, v4
	v_cndmask_b32_e64 v10, v2, v10, s[0:1]
	v_add_u32_e32 v11, 2, v6
	v_cmp_gt_u32_e64 s[2:3], 60, v6
	s_waitcnt lgkmcnt(1)
	v_add_co_u32_e32 v9, vcc, v9, v10
	s_waitcnt lgkmcnt(0)
	v_addc_co_u32_e32 v8, vcc, v8, v4, vcc
	v_cmp_lt_u32_e32 vcc, v11, v7
	v_cndmask_b32_e32 v4, v4, v8, vcc
	v_cndmask_b32_e64 v8, 0, 1, s[2:3]
	v_lshlrev_b32_e32 v8, 2, v8
	v_cndmask_b32_e32 v1, v1, v9, vcc
	v_add_lshl_u32 v8, v8, v5, 2
	ds_bpermute_b32 v11, v8, v1
	ds_bpermute_b32 v8, v8, v4
	v_cndmask_b32_e32 v9, v10, v9, vcc
	v_add_u32_e32 v10, 4, v6
	v_cmp_gt_u32_e64 s[2:3], 56, v6
	s_waitcnt lgkmcnt(1)
	v_add_co_u32_e32 v11, vcc, v11, v9
	s_waitcnt lgkmcnt(0)
	v_addc_co_u32_e32 v8, vcc, v8, v4, vcc
	v_cmp_lt_u32_e32 vcc, v10, v7
	v_cndmask_b32_e32 v4, v4, v8, vcc
	v_cndmask_b32_e64 v8, 0, 1, s[2:3]
	v_lshlrev_b32_e32 v8, 3, v8
	v_cndmask_b32_e32 v1, v1, v11, vcc
	v_add_lshl_u32 v8, v8, v5, 2
	ds_bpermute_b32 v10, v8, v1
	ds_bpermute_b32 v8, v8, v4
	v_cndmask_b32_e32 v9, v9, v11, vcc
	v_add_u32_e32 v11, 8, v6
	v_cmp_gt_u32_e64 s[2:3], 48, v6
	s_waitcnt lgkmcnt(1)
	v_add_co_u32_e32 v10, vcc, v10, v9
	s_waitcnt lgkmcnt(0)
	v_addc_co_u32_e32 v8, vcc, v8, v4, vcc
	v_cmp_lt_u32_e32 vcc, v11, v7
	v_cndmask_b32_e32 v11, v1, v10, vcc
	v_cndmask_b32_e32 v1, v4, v8, vcc
	v_cndmask_b32_e64 v4, 0, 1, s[2:3]
	v_lshlrev_b32_e32 v4, 4, v4
	v_add_lshl_u32 v8, v4, v5, 2
	ds_bpermute_b32 v12, v8, v11
	v_cndmask_b32_e32 v4, v9, v10, vcc
	ds_bpermute_b32 v9, v8, v1
	v_add_u32_e32 v10, 16, v6
	v_cmp_gt_u32_e64 s[2:3], 32, v6
	s_waitcnt lgkmcnt(1)
	v_add_co_u32_e32 v8, vcc, v12, v4
	s_waitcnt lgkmcnt(0)
	v_addc_co_u32_e32 v9, vcc, v9, v1, vcc
	v_cmp_lt_u32_e32 vcc, v10, v7
	v_cndmask_b32_e32 v10, v11, v8, vcc
	v_cndmask_b32_e64 v11, 0, 1, s[2:3]
	v_lshlrev_b32_e32 v11, 5, v11
	v_cndmask_b32_e32 v12, v1, v9, vcc
	v_add_lshl_u32 v11, v11, v5, 2
	ds_bpermute_b32 v10, v11, v10
	ds_bpermute_b32 v11, v11, v12
	s_and_saveexec_b64 s[2:3], s[0:1]
	s_cbranch_execz .LBB29_161
; %bb.160:
	v_add_u32_e32 v2, 32, v6
	v_cndmask_b32_e32 v1, v1, v9, vcc
	v_cndmask_b32_e32 v3, v4, v8, vcc
	v_cmp_lt_u32_e32 vcc, v2, v7
	s_waitcnt lgkmcnt(1)
	v_cndmask_b32_e32 v2, 0, v10, vcc
	s_waitcnt lgkmcnt(0)
	v_cndmask_b32_e32 v4, 0, v11, vcc
	v_add_co_u32_e32 v2, vcc, v2, v3
	v_addc_co_u32_e32 v3, vcc, v4, v1, vcc
.LBB29_161:
	s_or_b64 exec, exec, s[2:3]
	v_cmp_eq_u32_e32 vcc, 0, v5
	s_and_saveexec_b64 s[0:1], vcc
	s_cbranch_execz .LBB29_163
; %bb.162:
	v_lshrrev_b32_e32 v1, 3, v0
	v_and_b32_e32 v1, 24, v1
	ds_write_b64 v1, v[2:3] offset:160
.LBB29_163:
	s_or_b64 exec, exec, s[0:1]
	v_cmp_gt_u32_e32 vcc, 4, v0
	s_waitcnt lgkmcnt(0)
	s_barrier
	s_and_saveexec_b64 s[2:3], vcc
	s_cbranch_execz .LBB29_167
; %bb.164:
	v_lshlrev_b32_e32 v1, 3, v5
	ds_read_b64 v[2:3], v1 offset:160
	v_and_b32_e32 v1, 3, v5
	v_cmp_ne_u32_e32 vcc, 3, v1
	v_addc_co_u32_e32 v4, vcc, 0, v5, vcc
	v_lshlrev_b32_e32 v4, 2, v4
	s_waitcnt lgkmcnt(0)
	ds_bpermute_b32 v6, v4, v2
	ds_bpermute_b32 v8, v4, v3
	s_add_i32 s8, s8, 63
	s_lshr_b32 s8, s8, 6
	v_add_u32_e32 v7, 1, v1
	s_waitcnt lgkmcnt(1)
	v_add_co_u32_e32 v9, vcc, v2, v6
	v_addc_co_u32_e32 v6, vcc, 0, v3, vcc
	v_add_co_u32_e32 v4, vcc, 0, v9
	s_waitcnt lgkmcnt(0)
	v_addc_co_u32_e32 v6, vcc, v8, v6, vcc
	v_cmp_gt_u32_e32 vcc, s8, v7
	v_cmp_gt_u32_e64 s[0:1], 2, v1
	v_cndmask_b32_e32 v8, v2, v9, vcc
	v_cndmask_b32_e64 v9, 0, 1, s[0:1]
	v_lshlrev_b32_e32 v9, 1, v9
	v_cndmask_b32_e32 v7, v3, v6, vcc
	v_add_lshl_u32 v9, v9, v5, 2
	ds_bpermute_b32 v5, v9, v8
	ds_bpermute_b32 v7, v9, v7
	s_and_saveexec_b64 s[0:1], vcc
	s_cbranch_execz .LBB29_166
; %bb.165:
	v_add_u32_e32 v1, 2, v1
	v_cmp_gt_u32_e32 vcc, s8, v1
	s_waitcnt lgkmcnt(1)
	v_cndmask_b32_e32 v2, 0, v5, vcc
	s_waitcnt lgkmcnt(0)
	v_cndmask_b32_e32 v1, 0, v7, vcc
	v_add_co_u32_e32 v2, vcc, v2, v4
	v_addc_co_u32_e32 v3, vcc, v1, v6, vcc
.LBB29_166:
	s_or_b64 exec, exec, s[0:1]
.LBB29_167:
	s_or_b64 exec, exec, s[2:3]
	v_cmp_eq_u32_e64 s[0:1], 0, v0
	s_and_saveexec_b64 s[2:3], s[0:1]
	s_cbranch_execnz .LBB29_154
	s_branch .LBB29_155
	.section	.rodata,"a",@progbits
	.p2align	6, 0x0
	.amdhsa_kernel _ZN7rocprim17ROCPRIM_400000_NS6detail17trampoline_kernelINS0_14default_configENS1_22reduce_config_selectorIlEEZNS1_11reduce_implILb1ES3_N6thrust23THRUST_200600_302600_NS11hip_rocprim26transform_input_iterator_tIlPKhZN2at6native8ModeImplIbEclEPKbSI_EUlhE_EEPllNS8_4plusIlEEEE10hipError_tPvRmT1_T2_T3_mT4_P12ihipStream_tbEUlT_E1_NS1_11comp_targetILNS1_3genE4ELNS1_11target_archE910ELNS1_3gpuE8ELNS1_3repE0EEENS1_30default_config_static_selectorELNS0_4arch9wavefront6targetE1EEEvSR_
		.amdhsa_group_segment_fixed_size 192
		.amdhsa_private_segment_fixed_size 0
		.amdhsa_kernarg_size 56
		.amdhsa_user_sgpr_count 6
		.amdhsa_user_sgpr_private_segment_buffer 1
		.amdhsa_user_sgpr_dispatch_ptr 0
		.amdhsa_user_sgpr_queue_ptr 0
		.amdhsa_user_sgpr_kernarg_segment_ptr 1
		.amdhsa_user_sgpr_dispatch_id 0
		.amdhsa_user_sgpr_flat_scratch_init 0
		.amdhsa_user_sgpr_kernarg_preload_length 0
		.amdhsa_user_sgpr_kernarg_preload_offset 0
		.amdhsa_user_sgpr_private_segment_size 0
		.amdhsa_uses_dynamic_stack 0
		.amdhsa_system_sgpr_private_segment_wavefront_offset 0
		.amdhsa_system_sgpr_workgroup_id_x 1
		.amdhsa_system_sgpr_workgroup_id_y 0
		.amdhsa_system_sgpr_workgroup_id_z 0
		.amdhsa_system_sgpr_workgroup_info 0
		.amdhsa_system_vgpr_workitem_id 0
		.amdhsa_next_free_vgpr 34
		.amdhsa_next_free_sgpr 47
		.amdhsa_accum_offset 36
		.amdhsa_reserve_vcc 1
		.amdhsa_reserve_flat_scratch 0
		.amdhsa_float_round_mode_32 0
		.amdhsa_float_round_mode_16_64 0
		.amdhsa_float_denorm_mode_32 3
		.amdhsa_float_denorm_mode_16_64 3
		.amdhsa_dx10_clamp 1
		.amdhsa_ieee_mode 1
		.amdhsa_fp16_overflow 0
		.amdhsa_tg_split 0
		.amdhsa_exception_fp_ieee_invalid_op 0
		.amdhsa_exception_fp_denorm_src 0
		.amdhsa_exception_fp_ieee_div_zero 0
		.amdhsa_exception_fp_ieee_overflow 0
		.amdhsa_exception_fp_ieee_underflow 0
		.amdhsa_exception_fp_ieee_inexact 0
		.amdhsa_exception_int_div_zero 0
	.end_amdhsa_kernel
	.section	.text._ZN7rocprim17ROCPRIM_400000_NS6detail17trampoline_kernelINS0_14default_configENS1_22reduce_config_selectorIlEEZNS1_11reduce_implILb1ES3_N6thrust23THRUST_200600_302600_NS11hip_rocprim26transform_input_iterator_tIlPKhZN2at6native8ModeImplIbEclEPKbSI_EUlhE_EEPllNS8_4plusIlEEEE10hipError_tPvRmT1_T2_T3_mT4_P12ihipStream_tbEUlT_E1_NS1_11comp_targetILNS1_3genE4ELNS1_11target_archE910ELNS1_3gpuE8ELNS1_3repE0EEENS1_30default_config_static_selectorELNS0_4arch9wavefront6targetE1EEEvSR_,"axG",@progbits,_ZN7rocprim17ROCPRIM_400000_NS6detail17trampoline_kernelINS0_14default_configENS1_22reduce_config_selectorIlEEZNS1_11reduce_implILb1ES3_N6thrust23THRUST_200600_302600_NS11hip_rocprim26transform_input_iterator_tIlPKhZN2at6native8ModeImplIbEclEPKbSI_EUlhE_EEPllNS8_4plusIlEEEE10hipError_tPvRmT1_T2_T3_mT4_P12ihipStream_tbEUlT_E1_NS1_11comp_targetILNS1_3genE4ELNS1_11target_archE910ELNS1_3gpuE8ELNS1_3repE0EEENS1_30default_config_static_selectorELNS0_4arch9wavefront6targetE1EEEvSR_,comdat
.Lfunc_end29:
	.size	_ZN7rocprim17ROCPRIM_400000_NS6detail17trampoline_kernelINS0_14default_configENS1_22reduce_config_selectorIlEEZNS1_11reduce_implILb1ES3_N6thrust23THRUST_200600_302600_NS11hip_rocprim26transform_input_iterator_tIlPKhZN2at6native8ModeImplIbEclEPKbSI_EUlhE_EEPllNS8_4plusIlEEEE10hipError_tPvRmT1_T2_T3_mT4_P12ihipStream_tbEUlT_E1_NS1_11comp_targetILNS1_3genE4ELNS1_11target_archE910ELNS1_3gpuE8ELNS1_3repE0EEENS1_30default_config_static_selectorELNS0_4arch9wavefront6targetE1EEEvSR_, .Lfunc_end29-_ZN7rocprim17ROCPRIM_400000_NS6detail17trampoline_kernelINS0_14default_configENS1_22reduce_config_selectorIlEEZNS1_11reduce_implILb1ES3_N6thrust23THRUST_200600_302600_NS11hip_rocprim26transform_input_iterator_tIlPKhZN2at6native8ModeImplIbEclEPKbSI_EUlhE_EEPllNS8_4plusIlEEEE10hipError_tPvRmT1_T2_T3_mT4_P12ihipStream_tbEUlT_E1_NS1_11comp_targetILNS1_3genE4ELNS1_11target_archE910ELNS1_3gpuE8ELNS1_3repE0EEENS1_30default_config_static_selectorELNS0_4arch9wavefront6targetE1EEEvSR_
                                        ; -- End function
	.section	.AMDGPU.csdata,"",@progbits
; Kernel info:
; codeLenInByte = 10048
; NumSgprs: 51
; NumVgprs: 34
; NumAgprs: 0
; TotalNumVgprs: 34
; ScratchSize: 0
; MemoryBound: 0
; FloatMode: 240
; IeeeMode: 1
; LDSByteSize: 192 bytes/workgroup (compile time only)
; SGPRBlocks: 6
; VGPRBlocks: 4
; NumSGPRsForWavesPerEU: 51
; NumVGPRsForWavesPerEU: 34
; AccumOffset: 36
; Occupancy: 8
; WaveLimiterHint : 1
; COMPUTE_PGM_RSRC2:SCRATCH_EN: 0
; COMPUTE_PGM_RSRC2:USER_SGPR: 6
; COMPUTE_PGM_RSRC2:TRAP_HANDLER: 0
; COMPUTE_PGM_RSRC2:TGID_X_EN: 1
; COMPUTE_PGM_RSRC2:TGID_Y_EN: 0
; COMPUTE_PGM_RSRC2:TGID_Z_EN: 0
; COMPUTE_PGM_RSRC2:TIDIG_COMP_CNT: 0
; COMPUTE_PGM_RSRC3_GFX90A:ACCUM_OFFSET: 8
; COMPUTE_PGM_RSRC3_GFX90A:TG_SPLIT: 0
	.section	.text._ZN7rocprim17ROCPRIM_400000_NS6detail17trampoline_kernelINS0_14default_configENS1_22reduce_config_selectorIlEEZNS1_11reduce_implILb1ES3_N6thrust23THRUST_200600_302600_NS11hip_rocprim26transform_input_iterator_tIlPKhZN2at6native8ModeImplIbEclEPKbSI_EUlhE_EEPllNS8_4plusIlEEEE10hipError_tPvRmT1_T2_T3_mT4_P12ihipStream_tbEUlT_E1_NS1_11comp_targetILNS1_3genE3ELNS1_11target_archE908ELNS1_3gpuE7ELNS1_3repE0EEENS1_30default_config_static_selectorELNS0_4arch9wavefront6targetE1EEEvSR_,"axG",@progbits,_ZN7rocprim17ROCPRIM_400000_NS6detail17trampoline_kernelINS0_14default_configENS1_22reduce_config_selectorIlEEZNS1_11reduce_implILb1ES3_N6thrust23THRUST_200600_302600_NS11hip_rocprim26transform_input_iterator_tIlPKhZN2at6native8ModeImplIbEclEPKbSI_EUlhE_EEPllNS8_4plusIlEEEE10hipError_tPvRmT1_T2_T3_mT4_P12ihipStream_tbEUlT_E1_NS1_11comp_targetILNS1_3genE3ELNS1_11target_archE908ELNS1_3gpuE7ELNS1_3repE0EEENS1_30default_config_static_selectorELNS0_4arch9wavefront6targetE1EEEvSR_,comdat
	.protected	_ZN7rocprim17ROCPRIM_400000_NS6detail17trampoline_kernelINS0_14default_configENS1_22reduce_config_selectorIlEEZNS1_11reduce_implILb1ES3_N6thrust23THRUST_200600_302600_NS11hip_rocprim26transform_input_iterator_tIlPKhZN2at6native8ModeImplIbEclEPKbSI_EUlhE_EEPllNS8_4plusIlEEEE10hipError_tPvRmT1_T2_T3_mT4_P12ihipStream_tbEUlT_E1_NS1_11comp_targetILNS1_3genE3ELNS1_11target_archE908ELNS1_3gpuE7ELNS1_3repE0EEENS1_30default_config_static_selectorELNS0_4arch9wavefront6targetE1EEEvSR_ ; -- Begin function _ZN7rocprim17ROCPRIM_400000_NS6detail17trampoline_kernelINS0_14default_configENS1_22reduce_config_selectorIlEEZNS1_11reduce_implILb1ES3_N6thrust23THRUST_200600_302600_NS11hip_rocprim26transform_input_iterator_tIlPKhZN2at6native8ModeImplIbEclEPKbSI_EUlhE_EEPllNS8_4plusIlEEEE10hipError_tPvRmT1_T2_T3_mT4_P12ihipStream_tbEUlT_E1_NS1_11comp_targetILNS1_3genE3ELNS1_11target_archE908ELNS1_3gpuE7ELNS1_3repE0EEENS1_30default_config_static_selectorELNS0_4arch9wavefront6targetE1EEEvSR_
	.globl	_ZN7rocprim17ROCPRIM_400000_NS6detail17trampoline_kernelINS0_14default_configENS1_22reduce_config_selectorIlEEZNS1_11reduce_implILb1ES3_N6thrust23THRUST_200600_302600_NS11hip_rocprim26transform_input_iterator_tIlPKhZN2at6native8ModeImplIbEclEPKbSI_EUlhE_EEPllNS8_4plusIlEEEE10hipError_tPvRmT1_T2_T3_mT4_P12ihipStream_tbEUlT_E1_NS1_11comp_targetILNS1_3genE3ELNS1_11target_archE908ELNS1_3gpuE7ELNS1_3repE0EEENS1_30default_config_static_selectorELNS0_4arch9wavefront6targetE1EEEvSR_
	.p2align	8
	.type	_ZN7rocprim17ROCPRIM_400000_NS6detail17trampoline_kernelINS0_14default_configENS1_22reduce_config_selectorIlEEZNS1_11reduce_implILb1ES3_N6thrust23THRUST_200600_302600_NS11hip_rocprim26transform_input_iterator_tIlPKhZN2at6native8ModeImplIbEclEPKbSI_EUlhE_EEPllNS8_4plusIlEEEE10hipError_tPvRmT1_T2_T3_mT4_P12ihipStream_tbEUlT_E1_NS1_11comp_targetILNS1_3genE3ELNS1_11target_archE908ELNS1_3gpuE7ELNS1_3repE0EEENS1_30default_config_static_selectorELNS0_4arch9wavefront6targetE1EEEvSR_,@function
_ZN7rocprim17ROCPRIM_400000_NS6detail17trampoline_kernelINS0_14default_configENS1_22reduce_config_selectorIlEEZNS1_11reduce_implILb1ES3_N6thrust23THRUST_200600_302600_NS11hip_rocprim26transform_input_iterator_tIlPKhZN2at6native8ModeImplIbEclEPKbSI_EUlhE_EEPllNS8_4plusIlEEEE10hipError_tPvRmT1_T2_T3_mT4_P12ihipStream_tbEUlT_E1_NS1_11comp_targetILNS1_3genE3ELNS1_11target_archE908ELNS1_3gpuE7ELNS1_3repE0EEENS1_30default_config_static_selectorELNS0_4arch9wavefront6targetE1EEEvSR_: ; @_ZN7rocprim17ROCPRIM_400000_NS6detail17trampoline_kernelINS0_14default_configENS1_22reduce_config_selectorIlEEZNS1_11reduce_implILb1ES3_N6thrust23THRUST_200600_302600_NS11hip_rocprim26transform_input_iterator_tIlPKhZN2at6native8ModeImplIbEclEPKbSI_EUlhE_EEPllNS8_4plusIlEEEE10hipError_tPvRmT1_T2_T3_mT4_P12ihipStream_tbEUlT_E1_NS1_11comp_targetILNS1_3genE3ELNS1_11target_archE908ELNS1_3gpuE7ELNS1_3repE0EEENS1_30default_config_static_selectorELNS0_4arch9wavefront6targetE1EEEvSR_
; %bb.0:
	.section	.rodata,"a",@progbits
	.p2align	6, 0x0
	.amdhsa_kernel _ZN7rocprim17ROCPRIM_400000_NS6detail17trampoline_kernelINS0_14default_configENS1_22reduce_config_selectorIlEEZNS1_11reduce_implILb1ES3_N6thrust23THRUST_200600_302600_NS11hip_rocprim26transform_input_iterator_tIlPKhZN2at6native8ModeImplIbEclEPKbSI_EUlhE_EEPllNS8_4plusIlEEEE10hipError_tPvRmT1_T2_T3_mT4_P12ihipStream_tbEUlT_E1_NS1_11comp_targetILNS1_3genE3ELNS1_11target_archE908ELNS1_3gpuE7ELNS1_3repE0EEENS1_30default_config_static_selectorELNS0_4arch9wavefront6targetE1EEEvSR_
		.amdhsa_group_segment_fixed_size 0
		.amdhsa_private_segment_fixed_size 0
		.amdhsa_kernarg_size 56
		.amdhsa_user_sgpr_count 6
		.amdhsa_user_sgpr_private_segment_buffer 1
		.amdhsa_user_sgpr_dispatch_ptr 0
		.amdhsa_user_sgpr_queue_ptr 0
		.amdhsa_user_sgpr_kernarg_segment_ptr 1
		.amdhsa_user_sgpr_dispatch_id 0
		.amdhsa_user_sgpr_flat_scratch_init 0
		.amdhsa_user_sgpr_kernarg_preload_length 0
		.amdhsa_user_sgpr_kernarg_preload_offset 0
		.amdhsa_user_sgpr_private_segment_size 0
		.amdhsa_uses_dynamic_stack 0
		.amdhsa_system_sgpr_private_segment_wavefront_offset 0
		.amdhsa_system_sgpr_workgroup_id_x 1
		.amdhsa_system_sgpr_workgroup_id_y 0
		.amdhsa_system_sgpr_workgroup_id_z 0
		.amdhsa_system_sgpr_workgroup_info 0
		.amdhsa_system_vgpr_workitem_id 0
		.amdhsa_next_free_vgpr 1
		.amdhsa_next_free_sgpr 0
		.amdhsa_accum_offset 4
		.amdhsa_reserve_vcc 0
		.amdhsa_reserve_flat_scratch 0
		.amdhsa_float_round_mode_32 0
		.amdhsa_float_round_mode_16_64 0
		.amdhsa_float_denorm_mode_32 3
		.amdhsa_float_denorm_mode_16_64 3
		.amdhsa_dx10_clamp 1
		.amdhsa_ieee_mode 1
		.amdhsa_fp16_overflow 0
		.amdhsa_tg_split 0
		.amdhsa_exception_fp_ieee_invalid_op 0
		.amdhsa_exception_fp_denorm_src 0
		.amdhsa_exception_fp_ieee_div_zero 0
		.amdhsa_exception_fp_ieee_overflow 0
		.amdhsa_exception_fp_ieee_underflow 0
		.amdhsa_exception_fp_ieee_inexact 0
		.amdhsa_exception_int_div_zero 0
	.end_amdhsa_kernel
	.section	.text._ZN7rocprim17ROCPRIM_400000_NS6detail17trampoline_kernelINS0_14default_configENS1_22reduce_config_selectorIlEEZNS1_11reduce_implILb1ES3_N6thrust23THRUST_200600_302600_NS11hip_rocprim26transform_input_iterator_tIlPKhZN2at6native8ModeImplIbEclEPKbSI_EUlhE_EEPllNS8_4plusIlEEEE10hipError_tPvRmT1_T2_T3_mT4_P12ihipStream_tbEUlT_E1_NS1_11comp_targetILNS1_3genE3ELNS1_11target_archE908ELNS1_3gpuE7ELNS1_3repE0EEENS1_30default_config_static_selectorELNS0_4arch9wavefront6targetE1EEEvSR_,"axG",@progbits,_ZN7rocprim17ROCPRIM_400000_NS6detail17trampoline_kernelINS0_14default_configENS1_22reduce_config_selectorIlEEZNS1_11reduce_implILb1ES3_N6thrust23THRUST_200600_302600_NS11hip_rocprim26transform_input_iterator_tIlPKhZN2at6native8ModeImplIbEclEPKbSI_EUlhE_EEPllNS8_4plusIlEEEE10hipError_tPvRmT1_T2_T3_mT4_P12ihipStream_tbEUlT_E1_NS1_11comp_targetILNS1_3genE3ELNS1_11target_archE908ELNS1_3gpuE7ELNS1_3repE0EEENS1_30default_config_static_selectorELNS0_4arch9wavefront6targetE1EEEvSR_,comdat
.Lfunc_end30:
	.size	_ZN7rocprim17ROCPRIM_400000_NS6detail17trampoline_kernelINS0_14default_configENS1_22reduce_config_selectorIlEEZNS1_11reduce_implILb1ES3_N6thrust23THRUST_200600_302600_NS11hip_rocprim26transform_input_iterator_tIlPKhZN2at6native8ModeImplIbEclEPKbSI_EUlhE_EEPllNS8_4plusIlEEEE10hipError_tPvRmT1_T2_T3_mT4_P12ihipStream_tbEUlT_E1_NS1_11comp_targetILNS1_3genE3ELNS1_11target_archE908ELNS1_3gpuE7ELNS1_3repE0EEENS1_30default_config_static_selectorELNS0_4arch9wavefront6targetE1EEEvSR_, .Lfunc_end30-_ZN7rocprim17ROCPRIM_400000_NS6detail17trampoline_kernelINS0_14default_configENS1_22reduce_config_selectorIlEEZNS1_11reduce_implILb1ES3_N6thrust23THRUST_200600_302600_NS11hip_rocprim26transform_input_iterator_tIlPKhZN2at6native8ModeImplIbEclEPKbSI_EUlhE_EEPllNS8_4plusIlEEEE10hipError_tPvRmT1_T2_T3_mT4_P12ihipStream_tbEUlT_E1_NS1_11comp_targetILNS1_3genE3ELNS1_11target_archE908ELNS1_3gpuE7ELNS1_3repE0EEENS1_30default_config_static_selectorELNS0_4arch9wavefront6targetE1EEEvSR_
                                        ; -- End function
	.section	.AMDGPU.csdata,"",@progbits
; Kernel info:
; codeLenInByte = 0
; NumSgprs: 4
; NumVgprs: 0
; NumAgprs: 0
; TotalNumVgprs: 0
; ScratchSize: 0
; MemoryBound: 0
; FloatMode: 240
; IeeeMode: 1
; LDSByteSize: 0 bytes/workgroup (compile time only)
; SGPRBlocks: 0
; VGPRBlocks: 0
; NumSGPRsForWavesPerEU: 4
; NumVGPRsForWavesPerEU: 1
; AccumOffset: 4
; Occupancy: 8
; WaveLimiterHint : 0
; COMPUTE_PGM_RSRC2:SCRATCH_EN: 0
; COMPUTE_PGM_RSRC2:USER_SGPR: 6
; COMPUTE_PGM_RSRC2:TRAP_HANDLER: 0
; COMPUTE_PGM_RSRC2:TGID_X_EN: 1
; COMPUTE_PGM_RSRC2:TGID_Y_EN: 0
; COMPUTE_PGM_RSRC2:TGID_Z_EN: 0
; COMPUTE_PGM_RSRC2:TIDIG_COMP_CNT: 0
; COMPUTE_PGM_RSRC3_GFX90A:ACCUM_OFFSET: 0
; COMPUTE_PGM_RSRC3_GFX90A:TG_SPLIT: 0
	.section	.text._ZN7rocprim17ROCPRIM_400000_NS6detail17trampoline_kernelINS0_14default_configENS1_22reduce_config_selectorIlEEZNS1_11reduce_implILb1ES3_N6thrust23THRUST_200600_302600_NS11hip_rocprim26transform_input_iterator_tIlPKhZN2at6native8ModeImplIbEclEPKbSI_EUlhE_EEPllNS8_4plusIlEEEE10hipError_tPvRmT1_T2_T3_mT4_P12ihipStream_tbEUlT_E1_NS1_11comp_targetILNS1_3genE2ELNS1_11target_archE906ELNS1_3gpuE6ELNS1_3repE0EEENS1_30default_config_static_selectorELNS0_4arch9wavefront6targetE1EEEvSR_,"axG",@progbits,_ZN7rocprim17ROCPRIM_400000_NS6detail17trampoline_kernelINS0_14default_configENS1_22reduce_config_selectorIlEEZNS1_11reduce_implILb1ES3_N6thrust23THRUST_200600_302600_NS11hip_rocprim26transform_input_iterator_tIlPKhZN2at6native8ModeImplIbEclEPKbSI_EUlhE_EEPllNS8_4plusIlEEEE10hipError_tPvRmT1_T2_T3_mT4_P12ihipStream_tbEUlT_E1_NS1_11comp_targetILNS1_3genE2ELNS1_11target_archE906ELNS1_3gpuE6ELNS1_3repE0EEENS1_30default_config_static_selectorELNS0_4arch9wavefront6targetE1EEEvSR_,comdat
	.protected	_ZN7rocprim17ROCPRIM_400000_NS6detail17trampoline_kernelINS0_14default_configENS1_22reduce_config_selectorIlEEZNS1_11reduce_implILb1ES3_N6thrust23THRUST_200600_302600_NS11hip_rocprim26transform_input_iterator_tIlPKhZN2at6native8ModeImplIbEclEPKbSI_EUlhE_EEPllNS8_4plusIlEEEE10hipError_tPvRmT1_T2_T3_mT4_P12ihipStream_tbEUlT_E1_NS1_11comp_targetILNS1_3genE2ELNS1_11target_archE906ELNS1_3gpuE6ELNS1_3repE0EEENS1_30default_config_static_selectorELNS0_4arch9wavefront6targetE1EEEvSR_ ; -- Begin function _ZN7rocprim17ROCPRIM_400000_NS6detail17trampoline_kernelINS0_14default_configENS1_22reduce_config_selectorIlEEZNS1_11reduce_implILb1ES3_N6thrust23THRUST_200600_302600_NS11hip_rocprim26transform_input_iterator_tIlPKhZN2at6native8ModeImplIbEclEPKbSI_EUlhE_EEPllNS8_4plusIlEEEE10hipError_tPvRmT1_T2_T3_mT4_P12ihipStream_tbEUlT_E1_NS1_11comp_targetILNS1_3genE2ELNS1_11target_archE906ELNS1_3gpuE6ELNS1_3repE0EEENS1_30default_config_static_selectorELNS0_4arch9wavefront6targetE1EEEvSR_
	.globl	_ZN7rocprim17ROCPRIM_400000_NS6detail17trampoline_kernelINS0_14default_configENS1_22reduce_config_selectorIlEEZNS1_11reduce_implILb1ES3_N6thrust23THRUST_200600_302600_NS11hip_rocprim26transform_input_iterator_tIlPKhZN2at6native8ModeImplIbEclEPKbSI_EUlhE_EEPllNS8_4plusIlEEEE10hipError_tPvRmT1_T2_T3_mT4_P12ihipStream_tbEUlT_E1_NS1_11comp_targetILNS1_3genE2ELNS1_11target_archE906ELNS1_3gpuE6ELNS1_3repE0EEENS1_30default_config_static_selectorELNS0_4arch9wavefront6targetE1EEEvSR_
	.p2align	8
	.type	_ZN7rocprim17ROCPRIM_400000_NS6detail17trampoline_kernelINS0_14default_configENS1_22reduce_config_selectorIlEEZNS1_11reduce_implILb1ES3_N6thrust23THRUST_200600_302600_NS11hip_rocprim26transform_input_iterator_tIlPKhZN2at6native8ModeImplIbEclEPKbSI_EUlhE_EEPllNS8_4plusIlEEEE10hipError_tPvRmT1_T2_T3_mT4_P12ihipStream_tbEUlT_E1_NS1_11comp_targetILNS1_3genE2ELNS1_11target_archE906ELNS1_3gpuE6ELNS1_3repE0EEENS1_30default_config_static_selectorELNS0_4arch9wavefront6targetE1EEEvSR_,@function
_ZN7rocprim17ROCPRIM_400000_NS6detail17trampoline_kernelINS0_14default_configENS1_22reduce_config_selectorIlEEZNS1_11reduce_implILb1ES3_N6thrust23THRUST_200600_302600_NS11hip_rocprim26transform_input_iterator_tIlPKhZN2at6native8ModeImplIbEclEPKbSI_EUlhE_EEPllNS8_4plusIlEEEE10hipError_tPvRmT1_T2_T3_mT4_P12ihipStream_tbEUlT_E1_NS1_11comp_targetILNS1_3genE2ELNS1_11target_archE906ELNS1_3gpuE6ELNS1_3repE0EEENS1_30default_config_static_selectorELNS0_4arch9wavefront6targetE1EEEvSR_: ; @_ZN7rocprim17ROCPRIM_400000_NS6detail17trampoline_kernelINS0_14default_configENS1_22reduce_config_selectorIlEEZNS1_11reduce_implILb1ES3_N6thrust23THRUST_200600_302600_NS11hip_rocprim26transform_input_iterator_tIlPKhZN2at6native8ModeImplIbEclEPKbSI_EUlhE_EEPllNS8_4plusIlEEEE10hipError_tPvRmT1_T2_T3_mT4_P12ihipStream_tbEUlT_E1_NS1_11comp_targetILNS1_3genE2ELNS1_11target_archE906ELNS1_3gpuE6ELNS1_3repE0EEENS1_30default_config_static_selectorELNS0_4arch9wavefront6targetE1EEEvSR_
; %bb.0:
	.section	.rodata,"a",@progbits
	.p2align	6, 0x0
	.amdhsa_kernel _ZN7rocprim17ROCPRIM_400000_NS6detail17trampoline_kernelINS0_14default_configENS1_22reduce_config_selectorIlEEZNS1_11reduce_implILb1ES3_N6thrust23THRUST_200600_302600_NS11hip_rocprim26transform_input_iterator_tIlPKhZN2at6native8ModeImplIbEclEPKbSI_EUlhE_EEPllNS8_4plusIlEEEE10hipError_tPvRmT1_T2_T3_mT4_P12ihipStream_tbEUlT_E1_NS1_11comp_targetILNS1_3genE2ELNS1_11target_archE906ELNS1_3gpuE6ELNS1_3repE0EEENS1_30default_config_static_selectorELNS0_4arch9wavefront6targetE1EEEvSR_
		.amdhsa_group_segment_fixed_size 0
		.amdhsa_private_segment_fixed_size 0
		.amdhsa_kernarg_size 56
		.amdhsa_user_sgpr_count 6
		.amdhsa_user_sgpr_private_segment_buffer 1
		.amdhsa_user_sgpr_dispatch_ptr 0
		.amdhsa_user_sgpr_queue_ptr 0
		.amdhsa_user_sgpr_kernarg_segment_ptr 1
		.amdhsa_user_sgpr_dispatch_id 0
		.amdhsa_user_sgpr_flat_scratch_init 0
		.amdhsa_user_sgpr_kernarg_preload_length 0
		.amdhsa_user_sgpr_kernarg_preload_offset 0
		.amdhsa_user_sgpr_private_segment_size 0
		.amdhsa_uses_dynamic_stack 0
		.amdhsa_system_sgpr_private_segment_wavefront_offset 0
		.amdhsa_system_sgpr_workgroup_id_x 1
		.amdhsa_system_sgpr_workgroup_id_y 0
		.amdhsa_system_sgpr_workgroup_id_z 0
		.amdhsa_system_sgpr_workgroup_info 0
		.amdhsa_system_vgpr_workitem_id 0
		.amdhsa_next_free_vgpr 1
		.amdhsa_next_free_sgpr 0
		.amdhsa_accum_offset 4
		.amdhsa_reserve_vcc 0
		.amdhsa_reserve_flat_scratch 0
		.amdhsa_float_round_mode_32 0
		.amdhsa_float_round_mode_16_64 0
		.amdhsa_float_denorm_mode_32 3
		.amdhsa_float_denorm_mode_16_64 3
		.amdhsa_dx10_clamp 1
		.amdhsa_ieee_mode 1
		.amdhsa_fp16_overflow 0
		.amdhsa_tg_split 0
		.amdhsa_exception_fp_ieee_invalid_op 0
		.amdhsa_exception_fp_denorm_src 0
		.amdhsa_exception_fp_ieee_div_zero 0
		.amdhsa_exception_fp_ieee_overflow 0
		.amdhsa_exception_fp_ieee_underflow 0
		.amdhsa_exception_fp_ieee_inexact 0
		.amdhsa_exception_int_div_zero 0
	.end_amdhsa_kernel
	.section	.text._ZN7rocprim17ROCPRIM_400000_NS6detail17trampoline_kernelINS0_14default_configENS1_22reduce_config_selectorIlEEZNS1_11reduce_implILb1ES3_N6thrust23THRUST_200600_302600_NS11hip_rocprim26transform_input_iterator_tIlPKhZN2at6native8ModeImplIbEclEPKbSI_EUlhE_EEPllNS8_4plusIlEEEE10hipError_tPvRmT1_T2_T3_mT4_P12ihipStream_tbEUlT_E1_NS1_11comp_targetILNS1_3genE2ELNS1_11target_archE906ELNS1_3gpuE6ELNS1_3repE0EEENS1_30default_config_static_selectorELNS0_4arch9wavefront6targetE1EEEvSR_,"axG",@progbits,_ZN7rocprim17ROCPRIM_400000_NS6detail17trampoline_kernelINS0_14default_configENS1_22reduce_config_selectorIlEEZNS1_11reduce_implILb1ES3_N6thrust23THRUST_200600_302600_NS11hip_rocprim26transform_input_iterator_tIlPKhZN2at6native8ModeImplIbEclEPKbSI_EUlhE_EEPllNS8_4plusIlEEEE10hipError_tPvRmT1_T2_T3_mT4_P12ihipStream_tbEUlT_E1_NS1_11comp_targetILNS1_3genE2ELNS1_11target_archE906ELNS1_3gpuE6ELNS1_3repE0EEENS1_30default_config_static_selectorELNS0_4arch9wavefront6targetE1EEEvSR_,comdat
.Lfunc_end31:
	.size	_ZN7rocprim17ROCPRIM_400000_NS6detail17trampoline_kernelINS0_14default_configENS1_22reduce_config_selectorIlEEZNS1_11reduce_implILb1ES3_N6thrust23THRUST_200600_302600_NS11hip_rocprim26transform_input_iterator_tIlPKhZN2at6native8ModeImplIbEclEPKbSI_EUlhE_EEPllNS8_4plusIlEEEE10hipError_tPvRmT1_T2_T3_mT4_P12ihipStream_tbEUlT_E1_NS1_11comp_targetILNS1_3genE2ELNS1_11target_archE906ELNS1_3gpuE6ELNS1_3repE0EEENS1_30default_config_static_selectorELNS0_4arch9wavefront6targetE1EEEvSR_, .Lfunc_end31-_ZN7rocprim17ROCPRIM_400000_NS6detail17trampoline_kernelINS0_14default_configENS1_22reduce_config_selectorIlEEZNS1_11reduce_implILb1ES3_N6thrust23THRUST_200600_302600_NS11hip_rocprim26transform_input_iterator_tIlPKhZN2at6native8ModeImplIbEclEPKbSI_EUlhE_EEPllNS8_4plusIlEEEE10hipError_tPvRmT1_T2_T3_mT4_P12ihipStream_tbEUlT_E1_NS1_11comp_targetILNS1_3genE2ELNS1_11target_archE906ELNS1_3gpuE6ELNS1_3repE0EEENS1_30default_config_static_selectorELNS0_4arch9wavefront6targetE1EEEvSR_
                                        ; -- End function
	.section	.AMDGPU.csdata,"",@progbits
; Kernel info:
; codeLenInByte = 0
; NumSgprs: 4
; NumVgprs: 0
; NumAgprs: 0
; TotalNumVgprs: 0
; ScratchSize: 0
; MemoryBound: 0
; FloatMode: 240
; IeeeMode: 1
; LDSByteSize: 0 bytes/workgroup (compile time only)
; SGPRBlocks: 0
; VGPRBlocks: 0
; NumSGPRsForWavesPerEU: 4
; NumVGPRsForWavesPerEU: 1
; AccumOffset: 4
; Occupancy: 8
; WaveLimiterHint : 0
; COMPUTE_PGM_RSRC2:SCRATCH_EN: 0
; COMPUTE_PGM_RSRC2:USER_SGPR: 6
; COMPUTE_PGM_RSRC2:TRAP_HANDLER: 0
; COMPUTE_PGM_RSRC2:TGID_X_EN: 1
; COMPUTE_PGM_RSRC2:TGID_Y_EN: 0
; COMPUTE_PGM_RSRC2:TGID_Z_EN: 0
; COMPUTE_PGM_RSRC2:TIDIG_COMP_CNT: 0
; COMPUTE_PGM_RSRC3_GFX90A:ACCUM_OFFSET: 0
; COMPUTE_PGM_RSRC3_GFX90A:TG_SPLIT: 0
	.section	.text._ZN7rocprim17ROCPRIM_400000_NS6detail17trampoline_kernelINS0_14default_configENS1_22reduce_config_selectorIlEEZNS1_11reduce_implILb1ES3_N6thrust23THRUST_200600_302600_NS11hip_rocprim26transform_input_iterator_tIlPKhZN2at6native8ModeImplIbEclEPKbSI_EUlhE_EEPllNS8_4plusIlEEEE10hipError_tPvRmT1_T2_T3_mT4_P12ihipStream_tbEUlT_E1_NS1_11comp_targetILNS1_3genE10ELNS1_11target_archE1201ELNS1_3gpuE5ELNS1_3repE0EEENS1_30default_config_static_selectorELNS0_4arch9wavefront6targetE1EEEvSR_,"axG",@progbits,_ZN7rocprim17ROCPRIM_400000_NS6detail17trampoline_kernelINS0_14default_configENS1_22reduce_config_selectorIlEEZNS1_11reduce_implILb1ES3_N6thrust23THRUST_200600_302600_NS11hip_rocprim26transform_input_iterator_tIlPKhZN2at6native8ModeImplIbEclEPKbSI_EUlhE_EEPllNS8_4plusIlEEEE10hipError_tPvRmT1_T2_T3_mT4_P12ihipStream_tbEUlT_E1_NS1_11comp_targetILNS1_3genE10ELNS1_11target_archE1201ELNS1_3gpuE5ELNS1_3repE0EEENS1_30default_config_static_selectorELNS0_4arch9wavefront6targetE1EEEvSR_,comdat
	.protected	_ZN7rocprim17ROCPRIM_400000_NS6detail17trampoline_kernelINS0_14default_configENS1_22reduce_config_selectorIlEEZNS1_11reduce_implILb1ES3_N6thrust23THRUST_200600_302600_NS11hip_rocprim26transform_input_iterator_tIlPKhZN2at6native8ModeImplIbEclEPKbSI_EUlhE_EEPllNS8_4plusIlEEEE10hipError_tPvRmT1_T2_T3_mT4_P12ihipStream_tbEUlT_E1_NS1_11comp_targetILNS1_3genE10ELNS1_11target_archE1201ELNS1_3gpuE5ELNS1_3repE0EEENS1_30default_config_static_selectorELNS0_4arch9wavefront6targetE1EEEvSR_ ; -- Begin function _ZN7rocprim17ROCPRIM_400000_NS6detail17trampoline_kernelINS0_14default_configENS1_22reduce_config_selectorIlEEZNS1_11reduce_implILb1ES3_N6thrust23THRUST_200600_302600_NS11hip_rocprim26transform_input_iterator_tIlPKhZN2at6native8ModeImplIbEclEPKbSI_EUlhE_EEPllNS8_4plusIlEEEE10hipError_tPvRmT1_T2_T3_mT4_P12ihipStream_tbEUlT_E1_NS1_11comp_targetILNS1_3genE10ELNS1_11target_archE1201ELNS1_3gpuE5ELNS1_3repE0EEENS1_30default_config_static_selectorELNS0_4arch9wavefront6targetE1EEEvSR_
	.globl	_ZN7rocprim17ROCPRIM_400000_NS6detail17trampoline_kernelINS0_14default_configENS1_22reduce_config_selectorIlEEZNS1_11reduce_implILb1ES3_N6thrust23THRUST_200600_302600_NS11hip_rocprim26transform_input_iterator_tIlPKhZN2at6native8ModeImplIbEclEPKbSI_EUlhE_EEPllNS8_4plusIlEEEE10hipError_tPvRmT1_T2_T3_mT4_P12ihipStream_tbEUlT_E1_NS1_11comp_targetILNS1_3genE10ELNS1_11target_archE1201ELNS1_3gpuE5ELNS1_3repE0EEENS1_30default_config_static_selectorELNS0_4arch9wavefront6targetE1EEEvSR_
	.p2align	8
	.type	_ZN7rocprim17ROCPRIM_400000_NS6detail17trampoline_kernelINS0_14default_configENS1_22reduce_config_selectorIlEEZNS1_11reduce_implILb1ES3_N6thrust23THRUST_200600_302600_NS11hip_rocprim26transform_input_iterator_tIlPKhZN2at6native8ModeImplIbEclEPKbSI_EUlhE_EEPllNS8_4plusIlEEEE10hipError_tPvRmT1_T2_T3_mT4_P12ihipStream_tbEUlT_E1_NS1_11comp_targetILNS1_3genE10ELNS1_11target_archE1201ELNS1_3gpuE5ELNS1_3repE0EEENS1_30default_config_static_selectorELNS0_4arch9wavefront6targetE1EEEvSR_,@function
_ZN7rocprim17ROCPRIM_400000_NS6detail17trampoline_kernelINS0_14default_configENS1_22reduce_config_selectorIlEEZNS1_11reduce_implILb1ES3_N6thrust23THRUST_200600_302600_NS11hip_rocprim26transform_input_iterator_tIlPKhZN2at6native8ModeImplIbEclEPKbSI_EUlhE_EEPllNS8_4plusIlEEEE10hipError_tPvRmT1_T2_T3_mT4_P12ihipStream_tbEUlT_E1_NS1_11comp_targetILNS1_3genE10ELNS1_11target_archE1201ELNS1_3gpuE5ELNS1_3repE0EEENS1_30default_config_static_selectorELNS0_4arch9wavefront6targetE1EEEvSR_: ; @_ZN7rocprim17ROCPRIM_400000_NS6detail17trampoline_kernelINS0_14default_configENS1_22reduce_config_selectorIlEEZNS1_11reduce_implILb1ES3_N6thrust23THRUST_200600_302600_NS11hip_rocprim26transform_input_iterator_tIlPKhZN2at6native8ModeImplIbEclEPKbSI_EUlhE_EEPllNS8_4plusIlEEEE10hipError_tPvRmT1_T2_T3_mT4_P12ihipStream_tbEUlT_E1_NS1_11comp_targetILNS1_3genE10ELNS1_11target_archE1201ELNS1_3gpuE5ELNS1_3repE0EEENS1_30default_config_static_selectorELNS0_4arch9wavefront6targetE1EEEvSR_
; %bb.0:
	.section	.rodata,"a",@progbits
	.p2align	6, 0x0
	.amdhsa_kernel _ZN7rocprim17ROCPRIM_400000_NS6detail17trampoline_kernelINS0_14default_configENS1_22reduce_config_selectorIlEEZNS1_11reduce_implILb1ES3_N6thrust23THRUST_200600_302600_NS11hip_rocprim26transform_input_iterator_tIlPKhZN2at6native8ModeImplIbEclEPKbSI_EUlhE_EEPllNS8_4plusIlEEEE10hipError_tPvRmT1_T2_T3_mT4_P12ihipStream_tbEUlT_E1_NS1_11comp_targetILNS1_3genE10ELNS1_11target_archE1201ELNS1_3gpuE5ELNS1_3repE0EEENS1_30default_config_static_selectorELNS0_4arch9wavefront6targetE1EEEvSR_
		.amdhsa_group_segment_fixed_size 0
		.amdhsa_private_segment_fixed_size 0
		.amdhsa_kernarg_size 56
		.amdhsa_user_sgpr_count 6
		.amdhsa_user_sgpr_private_segment_buffer 1
		.amdhsa_user_sgpr_dispatch_ptr 0
		.amdhsa_user_sgpr_queue_ptr 0
		.amdhsa_user_sgpr_kernarg_segment_ptr 1
		.amdhsa_user_sgpr_dispatch_id 0
		.amdhsa_user_sgpr_flat_scratch_init 0
		.amdhsa_user_sgpr_kernarg_preload_length 0
		.amdhsa_user_sgpr_kernarg_preload_offset 0
		.amdhsa_user_sgpr_private_segment_size 0
		.amdhsa_uses_dynamic_stack 0
		.amdhsa_system_sgpr_private_segment_wavefront_offset 0
		.amdhsa_system_sgpr_workgroup_id_x 1
		.amdhsa_system_sgpr_workgroup_id_y 0
		.amdhsa_system_sgpr_workgroup_id_z 0
		.amdhsa_system_sgpr_workgroup_info 0
		.amdhsa_system_vgpr_workitem_id 0
		.amdhsa_next_free_vgpr 1
		.amdhsa_next_free_sgpr 0
		.amdhsa_accum_offset 4
		.amdhsa_reserve_vcc 0
		.amdhsa_reserve_flat_scratch 0
		.amdhsa_float_round_mode_32 0
		.amdhsa_float_round_mode_16_64 0
		.amdhsa_float_denorm_mode_32 3
		.amdhsa_float_denorm_mode_16_64 3
		.amdhsa_dx10_clamp 1
		.amdhsa_ieee_mode 1
		.amdhsa_fp16_overflow 0
		.amdhsa_tg_split 0
		.amdhsa_exception_fp_ieee_invalid_op 0
		.amdhsa_exception_fp_denorm_src 0
		.amdhsa_exception_fp_ieee_div_zero 0
		.amdhsa_exception_fp_ieee_overflow 0
		.amdhsa_exception_fp_ieee_underflow 0
		.amdhsa_exception_fp_ieee_inexact 0
		.amdhsa_exception_int_div_zero 0
	.end_amdhsa_kernel
	.section	.text._ZN7rocprim17ROCPRIM_400000_NS6detail17trampoline_kernelINS0_14default_configENS1_22reduce_config_selectorIlEEZNS1_11reduce_implILb1ES3_N6thrust23THRUST_200600_302600_NS11hip_rocprim26transform_input_iterator_tIlPKhZN2at6native8ModeImplIbEclEPKbSI_EUlhE_EEPllNS8_4plusIlEEEE10hipError_tPvRmT1_T2_T3_mT4_P12ihipStream_tbEUlT_E1_NS1_11comp_targetILNS1_3genE10ELNS1_11target_archE1201ELNS1_3gpuE5ELNS1_3repE0EEENS1_30default_config_static_selectorELNS0_4arch9wavefront6targetE1EEEvSR_,"axG",@progbits,_ZN7rocprim17ROCPRIM_400000_NS6detail17trampoline_kernelINS0_14default_configENS1_22reduce_config_selectorIlEEZNS1_11reduce_implILb1ES3_N6thrust23THRUST_200600_302600_NS11hip_rocprim26transform_input_iterator_tIlPKhZN2at6native8ModeImplIbEclEPKbSI_EUlhE_EEPllNS8_4plusIlEEEE10hipError_tPvRmT1_T2_T3_mT4_P12ihipStream_tbEUlT_E1_NS1_11comp_targetILNS1_3genE10ELNS1_11target_archE1201ELNS1_3gpuE5ELNS1_3repE0EEENS1_30default_config_static_selectorELNS0_4arch9wavefront6targetE1EEEvSR_,comdat
.Lfunc_end32:
	.size	_ZN7rocprim17ROCPRIM_400000_NS6detail17trampoline_kernelINS0_14default_configENS1_22reduce_config_selectorIlEEZNS1_11reduce_implILb1ES3_N6thrust23THRUST_200600_302600_NS11hip_rocprim26transform_input_iterator_tIlPKhZN2at6native8ModeImplIbEclEPKbSI_EUlhE_EEPllNS8_4plusIlEEEE10hipError_tPvRmT1_T2_T3_mT4_P12ihipStream_tbEUlT_E1_NS1_11comp_targetILNS1_3genE10ELNS1_11target_archE1201ELNS1_3gpuE5ELNS1_3repE0EEENS1_30default_config_static_selectorELNS0_4arch9wavefront6targetE1EEEvSR_, .Lfunc_end32-_ZN7rocprim17ROCPRIM_400000_NS6detail17trampoline_kernelINS0_14default_configENS1_22reduce_config_selectorIlEEZNS1_11reduce_implILb1ES3_N6thrust23THRUST_200600_302600_NS11hip_rocprim26transform_input_iterator_tIlPKhZN2at6native8ModeImplIbEclEPKbSI_EUlhE_EEPllNS8_4plusIlEEEE10hipError_tPvRmT1_T2_T3_mT4_P12ihipStream_tbEUlT_E1_NS1_11comp_targetILNS1_3genE10ELNS1_11target_archE1201ELNS1_3gpuE5ELNS1_3repE0EEENS1_30default_config_static_selectorELNS0_4arch9wavefront6targetE1EEEvSR_
                                        ; -- End function
	.section	.AMDGPU.csdata,"",@progbits
; Kernel info:
; codeLenInByte = 0
; NumSgprs: 4
; NumVgprs: 0
; NumAgprs: 0
; TotalNumVgprs: 0
; ScratchSize: 0
; MemoryBound: 0
; FloatMode: 240
; IeeeMode: 1
; LDSByteSize: 0 bytes/workgroup (compile time only)
; SGPRBlocks: 0
; VGPRBlocks: 0
; NumSGPRsForWavesPerEU: 4
; NumVGPRsForWavesPerEU: 1
; AccumOffset: 4
; Occupancy: 8
; WaveLimiterHint : 0
; COMPUTE_PGM_RSRC2:SCRATCH_EN: 0
; COMPUTE_PGM_RSRC2:USER_SGPR: 6
; COMPUTE_PGM_RSRC2:TRAP_HANDLER: 0
; COMPUTE_PGM_RSRC2:TGID_X_EN: 1
; COMPUTE_PGM_RSRC2:TGID_Y_EN: 0
; COMPUTE_PGM_RSRC2:TGID_Z_EN: 0
; COMPUTE_PGM_RSRC2:TIDIG_COMP_CNT: 0
; COMPUTE_PGM_RSRC3_GFX90A:ACCUM_OFFSET: 0
; COMPUTE_PGM_RSRC3_GFX90A:TG_SPLIT: 0
	.section	.text._ZN7rocprim17ROCPRIM_400000_NS6detail17trampoline_kernelINS0_14default_configENS1_22reduce_config_selectorIlEEZNS1_11reduce_implILb1ES3_N6thrust23THRUST_200600_302600_NS11hip_rocprim26transform_input_iterator_tIlPKhZN2at6native8ModeImplIbEclEPKbSI_EUlhE_EEPllNS8_4plusIlEEEE10hipError_tPvRmT1_T2_T3_mT4_P12ihipStream_tbEUlT_E1_NS1_11comp_targetILNS1_3genE10ELNS1_11target_archE1200ELNS1_3gpuE4ELNS1_3repE0EEENS1_30default_config_static_selectorELNS0_4arch9wavefront6targetE1EEEvSR_,"axG",@progbits,_ZN7rocprim17ROCPRIM_400000_NS6detail17trampoline_kernelINS0_14default_configENS1_22reduce_config_selectorIlEEZNS1_11reduce_implILb1ES3_N6thrust23THRUST_200600_302600_NS11hip_rocprim26transform_input_iterator_tIlPKhZN2at6native8ModeImplIbEclEPKbSI_EUlhE_EEPllNS8_4plusIlEEEE10hipError_tPvRmT1_T2_T3_mT4_P12ihipStream_tbEUlT_E1_NS1_11comp_targetILNS1_3genE10ELNS1_11target_archE1200ELNS1_3gpuE4ELNS1_3repE0EEENS1_30default_config_static_selectorELNS0_4arch9wavefront6targetE1EEEvSR_,comdat
	.protected	_ZN7rocprim17ROCPRIM_400000_NS6detail17trampoline_kernelINS0_14default_configENS1_22reduce_config_selectorIlEEZNS1_11reduce_implILb1ES3_N6thrust23THRUST_200600_302600_NS11hip_rocprim26transform_input_iterator_tIlPKhZN2at6native8ModeImplIbEclEPKbSI_EUlhE_EEPllNS8_4plusIlEEEE10hipError_tPvRmT1_T2_T3_mT4_P12ihipStream_tbEUlT_E1_NS1_11comp_targetILNS1_3genE10ELNS1_11target_archE1200ELNS1_3gpuE4ELNS1_3repE0EEENS1_30default_config_static_selectorELNS0_4arch9wavefront6targetE1EEEvSR_ ; -- Begin function _ZN7rocprim17ROCPRIM_400000_NS6detail17trampoline_kernelINS0_14default_configENS1_22reduce_config_selectorIlEEZNS1_11reduce_implILb1ES3_N6thrust23THRUST_200600_302600_NS11hip_rocprim26transform_input_iterator_tIlPKhZN2at6native8ModeImplIbEclEPKbSI_EUlhE_EEPllNS8_4plusIlEEEE10hipError_tPvRmT1_T2_T3_mT4_P12ihipStream_tbEUlT_E1_NS1_11comp_targetILNS1_3genE10ELNS1_11target_archE1200ELNS1_3gpuE4ELNS1_3repE0EEENS1_30default_config_static_selectorELNS0_4arch9wavefront6targetE1EEEvSR_
	.globl	_ZN7rocprim17ROCPRIM_400000_NS6detail17trampoline_kernelINS0_14default_configENS1_22reduce_config_selectorIlEEZNS1_11reduce_implILb1ES3_N6thrust23THRUST_200600_302600_NS11hip_rocprim26transform_input_iterator_tIlPKhZN2at6native8ModeImplIbEclEPKbSI_EUlhE_EEPllNS8_4plusIlEEEE10hipError_tPvRmT1_T2_T3_mT4_P12ihipStream_tbEUlT_E1_NS1_11comp_targetILNS1_3genE10ELNS1_11target_archE1200ELNS1_3gpuE4ELNS1_3repE0EEENS1_30default_config_static_selectorELNS0_4arch9wavefront6targetE1EEEvSR_
	.p2align	8
	.type	_ZN7rocprim17ROCPRIM_400000_NS6detail17trampoline_kernelINS0_14default_configENS1_22reduce_config_selectorIlEEZNS1_11reduce_implILb1ES3_N6thrust23THRUST_200600_302600_NS11hip_rocprim26transform_input_iterator_tIlPKhZN2at6native8ModeImplIbEclEPKbSI_EUlhE_EEPllNS8_4plusIlEEEE10hipError_tPvRmT1_T2_T3_mT4_P12ihipStream_tbEUlT_E1_NS1_11comp_targetILNS1_3genE10ELNS1_11target_archE1200ELNS1_3gpuE4ELNS1_3repE0EEENS1_30default_config_static_selectorELNS0_4arch9wavefront6targetE1EEEvSR_,@function
_ZN7rocprim17ROCPRIM_400000_NS6detail17trampoline_kernelINS0_14default_configENS1_22reduce_config_selectorIlEEZNS1_11reduce_implILb1ES3_N6thrust23THRUST_200600_302600_NS11hip_rocprim26transform_input_iterator_tIlPKhZN2at6native8ModeImplIbEclEPKbSI_EUlhE_EEPllNS8_4plusIlEEEE10hipError_tPvRmT1_T2_T3_mT4_P12ihipStream_tbEUlT_E1_NS1_11comp_targetILNS1_3genE10ELNS1_11target_archE1200ELNS1_3gpuE4ELNS1_3repE0EEENS1_30default_config_static_selectorELNS0_4arch9wavefront6targetE1EEEvSR_: ; @_ZN7rocprim17ROCPRIM_400000_NS6detail17trampoline_kernelINS0_14default_configENS1_22reduce_config_selectorIlEEZNS1_11reduce_implILb1ES3_N6thrust23THRUST_200600_302600_NS11hip_rocprim26transform_input_iterator_tIlPKhZN2at6native8ModeImplIbEclEPKbSI_EUlhE_EEPllNS8_4plusIlEEEE10hipError_tPvRmT1_T2_T3_mT4_P12ihipStream_tbEUlT_E1_NS1_11comp_targetILNS1_3genE10ELNS1_11target_archE1200ELNS1_3gpuE4ELNS1_3repE0EEENS1_30default_config_static_selectorELNS0_4arch9wavefront6targetE1EEEvSR_
; %bb.0:
	.section	.rodata,"a",@progbits
	.p2align	6, 0x0
	.amdhsa_kernel _ZN7rocprim17ROCPRIM_400000_NS6detail17trampoline_kernelINS0_14default_configENS1_22reduce_config_selectorIlEEZNS1_11reduce_implILb1ES3_N6thrust23THRUST_200600_302600_NS11hip_rocprim26transform_input_iterator_tIlPKhZN2at6native8ModeImplIbEclEPKbSI_EUlhE_EEPllNS8_4plusIlEEEE10hipError_tPvRmT1_T2_T3_mT4_P12ihipStream_tbEUlT_E1_NS1_11comp_targetILNS1_3genE10ELNS1_11target_archE1200ELNS1_3gpuE4ELNS1_3repE0EEENS1_30default_config_static_selectorELNS0_4arch9wavefront6targetE1EEEvSR_
		.amdhsa_group_segment_fixed_size 0
		.amdhsa_private_segment_fixed_size 0
		.amdhsa_kernarg_size 56
		.amdhsa_user_sgpr_count 6
		.amdhsa_user_sgpr_private_segment_buffer 1
		.amdhsa_user_sgpr_dispatch_ptr 0
		.amdhsa_user_sgpr_queue_ptr 0
		.amdhsa_user_sgpr_kernarg_segment_ptr 1
		.amdhsa_user_sgpr_dispatch_id 0
		.amdhsa_user_sgpr_flat_scratch_init 0
		.amdhsa_user_sgpr_kernarg_preload_length 0
		.amdhsa_user_sgpr_kernarg_preload_offset 0
		.amdhsa_user_sgpr_private_segment_size 0
		.amdhsa_uses_dynamic_stack 0
		.amdhsa_system_sgpr_private_segment_wavefront_offset 0
		.amdhsa_system_sgpr_workgroup_id_x 1
		.amdhsa_system_sgpr_workgroup_id_y 0
		.amdhsa_system_sgpr_workgroup_id_z 0
		.amdhsa_system_sgpr_workgroup_info 0
		.amdhsa_system_vgpr_workitem_id 0
		.amdhsa_next_free_vgpr 1
		.amdhsa_next_free_sgpr 0
		.amdhsa_accum_offset 4
		.amdhsa_reserve_vcc 0
		.amdhsa_reserve_flat_scratch 0
		.amdhsa_float_round_mode_32 0
		.amdhsa_float_round_mode_16_64 0
		.amdhsa_float_denorm_mode_32 3
		.amdhsa_float_denorm_mode_16_64 3
		.amdhsa_dx10_clamp 1
		.amdhsa_ieee_mode 1
		.amdhsa_fp16_overflow 0
		.amdhsa_tg_split 0
		.amdhsa_exception_fp_ieee_invalid_op 0
		.amdhsa_exception_fp_denorm_src 0
		.amdhsa_exception_fp_ieee_div_zero 0
		.amdhsa_exception_fp_ieee_overflow 0
		.amdhsa_exception_fp_ieee_underflow 0
		.amdhsa_exception_fp_ieee_inexact 0
		.amdhsa_exception_int_div_zero 0
	.end_amdhsa_kernel
	.section	.text._ZN7rocprim17ROCPRIM_400000_NS6detail17trampoline_kernelINS0_14default_configENS1_22reduce_config_selectorIlEEZNS1_11reduce_implILb1ES3_N6thrust23THRUST_200600_302600_NS11hip_rocprim26transform_input_iterator_tIlPKhZN2at6native8ModeImplIbEclEPKbSI_EUlhE_EEPllNS8_4plusIlEEEE10hipError_tPvRmT1_T2_T3_mT4_P12ihipStream_tbEUlT_E1_NS1_11comp_targetILNS1_3genE10ELNS1_11target_archE1200ELNS1_3gpuE4ELNS1_3repE0EEENS1_30default_config_static_selectorELNS0_4arch9wavefront6targetE1EEEvSR_,"axG",@progbits,_ZN7rocprim17ROCPRIM_400000_NS6detail17trampoline_kernelINS0_14default_configENS1_22reduce_config_selectorIlEEZNS1_11reduce_implILb1ES3_N6thrust23THRUST_200600_302600_NS11hip_rocprim26transform_input_iterator_tIlPKhZN2at6native8ModeImplIbEclEPKbSI_EUlhE_EEPllNS8_4plusIlEEEE10hipError_tPvRmT1_T2_T3_mT4_P12ihipStream_tbEUlT_E1_NS1_11comp_targetILNS1_3genE10ELNS1_11target_archE1200ELNS1_3gpuE4ELNS1_3repE0EEENS1_30default_config_static_selectorELNS0_4arch9wavefront6targetE1EEEvSR_,comdat
.Lfunc_end33:
	.size	_ZN7rocprim17ROCPRIM_400000_NS6detail17trampoline_kernelINS0_14default_configENS1_22reduce_config_selectorIlEEZNS1_11reduce_implILb1ES3_N6thrust23THRUST_200600_302600_NS11hip_rocprim26transform_input_iterator_tIlPKhZN2at6native8ModeImplIbEclEPKbSI_EUlhE_EEPllNS8_4plusIlEEEE10hipError_tPvRmT1_T2_T3_mT4_P12ihipStream_tbEUlT_E1_NS1_11comp_targetILNS1_3genE10ELNS1_11target_archE1200ELNS1_3gpuE4ELNS1_3repE0EEENS1_30default_config_static_selectorELNS0_4arch9wavefront6targetE1EEEvSR_, .Lfunc_end33-_ZN7rocprim17ROCPRIM_400000_NS6detail17trampoline_kernelINS0_14default_configENS1_22reduce_config_selectorIlEEZNS1_11reduce_implILb1ES3_N6thrust23THRUST_200600_302600_NS11hip_rocprim26transform_input_iterator_tIlPKhZN2at6native8ModeImplIbEclEPKbSI_EUlhE_EEPllNS8_4plusIlEEEE10hipError_tPvRmT1_T2_T3_mT4_P12ihipStream_tbEUlT_E1_NS1_11comp_targetILNS1_3genE10ELNS1_11target_archE1200ELNS1_3gpuE4ELNS1_3repE0EEENS1_30default_config_static_selectorELNS0_4arch9wavefront6targetE1EEEvSR_
                                        ; -- End function
	.section	.AMDGPU.csdata,"",@progbits
; Kernel info:
; codeLenInByte = 0
; NumSgprs: 4
; NumVgprs: 0
; NumAgprs: 0
; TotalNumVgprs: 0
; ScratchSize: 0
; MemoryBound: 0
; FloatMode: 240
; IeeeMode: 1
; LDSByteSize: 0 bytes/workgroup (compile time only)
; SGPRBlocks: 0
; VGPRBlocks: 0
; NumSGPRsForWavesPerEU: 4
; NumVGPRsForWavesPerEU: 1
; AccumOffset: 4
; Occupancy: 8
; WaveLimiterHint : 0
; COMPUTE_PGM_RSRC2:SCRATCH_EN: 0
; COMPUTE_PGM_RSRC2:USER_SGPR: 6
; COMPUTE_PGM_RSRC2:TRAP_HANDLER: 0
; COMPUTE_PGM_RSRC2:TGID_X_EN: 1
; COMPUTE_PGM_RSRC2:TGID_Y_EN: 0
; COMPUTE_PGM_RSRC2:TGID_Z_EN: 0
; COMPUTE_PGM_RSRC2:TIDIG_COMP_CNT: 0
; COMPUTE_PGM_RSRC3_GFX90A:ACCUM_OFFSET: 0
; COMPUTE_PGM_RSRC3_GFX90A:TG_SPLIT: 0
	.section	.text._ZN7rocprim17ROCPRIM_400000_NS6detail17trampoline_kernelINS0_14default_configENS1_22reduce_config_selectorIlEEZNS1_11reduce_implILb1ES3_N6thrust23THRUST_200600_302600_NS11hip_rocprim26transform_input_iterator_tIlPKhZN2at6native8ModeImplIbEclEPKbSI_EUlhE_EEPllNS8_4plusIlEEEE10hipError_tPvRmT1_T2_T3_mT4_P12ihipStream_tbEUlT_E1_NS1_11comp_targetILNS1_3genE9ELNS1_11target_archE1100ELNS1_3gpuE3ELNS1_3repE0EEENS1_30default_config_static_selectorELNS0_4arch9wavefront6targetE1EEEvSR_,"axG",@progbits,_ZN7rocprim17ROCPRIM_400000_NS6detail17trampoline_kernelINS0_14default_configENS1_22reduce_config_selectorIlEEZNS1_11reduce_implILb1ES3_N6thrust23THRUST_200600_302600_NS11hip_rocprim26transform_input_iterator_tIlPKhZN2at6native8ModeImplIbEclEPKbSI_EUlhE_EEPllNS8_4plusIlEEEE10hipError_tPvRmT1_T2_T3_mT4_P12ihipStream_tbEUlT_E1_NS1_11comp_targetILNS1_3genE9ELNS1_11target_archE1100ELNS1_3gpuE3ELNS1_3repE0EEENS1_30default_config_static_selectorELNS0_4arch9wavefront6targetE1EEEvSR_,comdat
	.protected	_ZN7rocprim17ROCPRIM_400000_NS6detail17trampoline_kernelINS0_14default_configENS1_22reduce_config_selectorIlEEZNS1_11reduce_implILb1ES3_N6thrust23THRUST_200600_302600_NS11hip_rocprim26transform_input_iterator_tIlPKhZN2at6native8ModeImplIbEclEPKbSI_EUlhE_EEPllNS8_4plusIlEEEE10hipError_tPvRmT1_T2_T3_mT4_P12ihipStream_tbEUlT_E1_NS1_11comp_targetILNS1_3genE9ELNS1_11target_archE1100ELNS1_3gpuE3ELNS1_3repE0EEENS1_30default_config_static_selectorELNS0_4arch9wavefront6targetE1EEEvSR_ ; -- Begin function _ZN7rocprim17ROCPRIM_400000_NS6detail17trampoline_kernelINS0_14default_configENS1_22reduce_config_selectorIlEEZNS1_11reduce_implILb1ES3_N6thrust23THRUST_200600_302600_NS11hip_rocprim26transform_input_iterator_tIlPKhZN2at6native8ModeImplIbEclEPKbSI_EUlhE_EEPllNS8_4plusIlEEEE10hipError_tPvRmT1_T2_T3_mT4_P12ihipStream_tbEUlT_E1_NS1_11comp_targetILNS1_3genE9ELNS1_11target_archE1100ELNS1_3gpuE3ELNS1_3repE0EEENS1_30default_config_static_selectorELNS0_4arch9wavefront6targetE1EEEvSR_
	.globl	_ZN7rocprim17ROCPRIM_400000_NS6detail17trampoline_kernelINS0_14default_configENS1_22reduce_config_selectorIlEEZNS1_11reduce_implILb1ES3_N6thrust23THRUST_200600_302600_NS11hip_rocprim26transform_input_iterator_tIlPKhZN2at6native8ModeImplIbEclEPKbSI_EUlhE_EEPllNS8_4plusIlEEEE10hipError_tPvRmT1_T2_T3_mT4_P12ihipStream_tbEUlT_E1_NS1_11comp_targetILNS1_3genE9ELNS1_11target_archE1100ELNS1_3gpuE3ELNS1_3repE0EEENS1_30default_config_static_selectorELNS0_4arch9wavefront6targetE1EEEvSR_
	.p2align	8
	.type	_ZN7rocprim17ROCPRIM_400000_NS6detail17trampoline_kernelINS0_14default_configENS1_22reduce_config_selectorIlEEZNS1_11reduce_implILb1ES3_N6thrust23THRUST_200600_302600_NS11hip_rocprim26transform_input_iterator_tIlPKhZN2at6native8ModeImplIbEclEPKbSI_EUlhE_EEPllNS8_4plusIlEEEE10hipError_tPvRmT1_T2_T3_mT4_P12ihipStream_tbEUlT_E1_NS1_11comp_targetILNS1_3genE9ELNS1_11target_archE1100ELNS1_3gpuE3ELNS1_3repE0EEENS1_30default_config_static_selectorELNS0_4arch9wavefront6targetE1EEEvSR_,@function
_ZN7rocprim17ROCPRIM_400000_NS6detail17trampoline_kernelINS0_14default_configENS1_22reduce_config_selectorIlEEZNS1_11reduce_implILb1ES3_N6thrust23THRUST_200600_302600_NS11hip_rocprim26transform_input_iterator_tIlPKhZN2at6native8ModeImplIbEclEPKbSI_EUlhE_EEPllNS8_4plusIlEEEE10hipError_tPvRmT1_T2_T3_mT4_P12ihipStream_tbEUlT_E1_NS1_11comp_targetILNS1_3genE9ELNS1_11target_archE1100ELNS1_3gpuE3ELNS1_3repE0EEENS1_30default_config_static_selectorELNS0_4arch9wavefront6targetE1EEEvSR_: ; @_ZN7rocprim17ROCPRIM_400000_NS6detail17trampoline_kernelINS0_14default_configENS1_22reduce_config_selectorIlEEZNS1_11reduce_implILb1ES3_N6thrust23THRUST_200600_302600_NS11hip_rocprim26transform_input_iterator_tIlPKhZN2at6native8ModeImplIbEclEPKbSI_EUlhE_EEPllNS8_4plusIlEEEE10hipError_tPvRmT1_T2_T3_mT4_P12ihipStream_tbEUlT_E1_NS1_11comp_targetILNS1_3genE9ELNS1_11target_archE1100ELNS1_3gpuE3ELNS1_3repE0EEENS1_30default_config_static_selectorELNS0_4arch9wavefront6targetE1EEEvSR_
; %bb.0:
	.section	.rodata,"a",@progbits
	.p2align	6, 0x0
	.amdhsa_kernel _ZN7rocprim17ROCPRIM_400000_NS6detail17trampoline_kernelINS0_14default_configENS1_22reduce_config_selectorIlEEZNS1_11reduce_implILb1ES3_N6thrust23THRUST_200600_302600_NS11hip_rocprim26transform_input_iterator_tIlPKhZN2at6native8ModeImplIbEclEPKbSI_EUlhE_EEPllNS8_4plusIlEEEE10hipError_tPvRmT1_T2_T3_mT4_P12ihipStream_tbEUlT_E1_NS1_11comp_targetILNS1_3genE9ELNS1_11target_archE1100ELNS1_3gpuE3ELNS1_3repE0EEENS1_30default_config_static_selectorELNS0_4arch9wavefront6targetE1EEEvSR_
		.amdhsa_group_segment_fixed_size 0
		.amdhsa_private_segment_fixed_size 0
		.amdhsa_kernarg_size 56
		.amdhsa_user_sgpr_count 6
		.amdhsa_user_sgpr_private_segment_buffer 1
		.amdhsa_user_sgpr_dispatch_ptr 0
		.amdhsa_user_sgpr_queue_ptr 0
		.amdhsa_user_sgpr_kernarg_segment_ptr 1
		.amdhsa_user_sgpr_dispatch_id 0
		.amdhsa_user_sgpr_flat_scratch_init 0
		.amdhsa_user_sgpr_kernarg_preload_length 0
		.amdhsa_user_sgpr_kernarg_preload_offset 0
		.amdhsa_user_sgpr_private_segment_size 0
		.amdhsa_uses_dynamic_stack 0
		.amdhsa_system_sgpr_private_segment_wavefront_offset 0
		.amdhsa_system_sgpr_workgroup_id_x 1
		.amdhsa_system_sgpr_workgroup_id_y 0
		.amdhsa_system_sgpr_workgroup_id_z 0
		.amdhsa_system_sgpr_workgroup_info 0
		.amdhsa_system_vgpr_workitem_id 0
		.amdhsa_next_free_vgpr 1
		.amdhsa_next_free_sgpr 0
		.amdhsa_accum_offset 4
		.amdhsa_reserve_vcc 0
		.amdhsa_reserve_flat_scratch 0
		.amdhsa_float_round_mode_32 0
		.amdhsa_float_round_mode_16_64 0
		.amdhsa_float_denorm_mode_32 3
		.amdhsa_float_denorm_mode_16_64 3
		.amdhsa_dx10_clamp 1
		.amdhsa_ieee_mode 1
		.amdhsa_fp16_overflow 0
		.amdhsa_tg_split 0
		.amdhsa_exception_fp_ieee_invalid_op 0
		.amdhsa_exception_fp_denorm_src 0
		.amdhsa_exception_fp_ieee_div_zero 0
		.amdhsa_exception_fp_ieee_overflow 0
		.amdhsa_exception_fp_ieee_underflow 0
		.amdhsa_exception_fp_ieee_inexact 0
		.amdhsa_exception_int_div_zero 0
	.end_amdhsa_kernel
	.section	.text._ZN7rocprim17ROCPRIM_400000_NS6detail17trampoline_kernelINS0_14default_configENS1_22reduce_config_selectorIlEEZNS1_11reduce_implILb1ES3_N6thrust23THRUST_200600_302600_NS11hip_rocprim26transform_input_iterator_tIlPKhZN2at6native8ModeImplIbEclEPKbSI_EUlhE_EEPllNS8_4plusIlEEEE10hipError_tPvRmT1_T2_T3_mT4_P12ihipStream_tbEUlT_E1_NS1_11comp_targetILNS1_3genE9ELNS1_11target_archE1100ELNS1_3gpuE3ELNS1_3repE0EEENS1_30default_config_static_selectorELNS0_4arch9wavefront6targetE1EEEvSR_,"axG",@progbits,_ZN7rocprim17ROCPRIM_400000_NS6detail17trampoline_kernelINS0_14default_configENS1_22reduce_config_selectorIlEEZNS1_11reduce_implILb1ES3_N6thrust23THRUST_200600_302600_NS11hip_rocprim26transform_input_iterator_tIlPKhZN2at6native8ModeImplIbEclEPKbSI_EUlhE_EEPllNS8_4plusIlEEEE10hipError_tPvRmT1_T2_T3_mT4_P12ihipStream_tbEUlT_E1_NS1_11comp_targetILNS1_3genE9ELNS1_11target_archE1100ELNS1_3gpuE3ELNS1_3repE0EEENS1_30default_config_static_selectorELNS0_4arch9wavefront6targetE1EEEvSR_,comdat
.Lfunc_end34:
	.size	_ZN7rocprim17ROCPRIM_400000_NS6detail17trampoline_kernelINS0_14default_configENS1_22reduce_config_selectorIlEEZNS1_11reduce_implILb1ES3_N6thrust23THRUST_200600_302600_NS11hip_rocprim26transform_input_iterator_tIlPKhZN2at6native8ModeImplIbEclEPKbSI_EUlhE_EEPllNS8_4plusIlEEEE10hipError_tPvRmT1_T2_T3_mT4_P12ihipStream_tbEUlT_E1_NS1_11comp_targetILNS1_3genE9ELNS1_11target_archE1100ELNS1_3gpuE3ELNS1_3repE0EEENS1_30default_config_static_selectorELNS0_4arch9wavefront6targetE1EEEvSR_, .Lfunc_end34-_ZN7rocprim17ROCPRIM_400000_NS6detail17trampoline_kernelINS0_14default_configENS1_22reduce_config_selectorIlEEZNS1_11reduce_implILb1ES3_N6thrust23THRUST_200600_302600_NS11hip_rocprim26transform_input_iterator_tIlPKhZN2at6native8ModeImplIbEclEPKbSI_EUlhE_EEPllNS8_4plusIlEEEE10hipError_tPvRmT1_T2_T3_mT4_P12ihipStream_tbEUlT_E1_NS1_11comp_targetILNS1_3genE9ELNS1_11target_archE1100ELNS1_3gpuE3ELNS1_3repE0EEENS1_30default_config_static_selectorELNS0_4arch9wavefront6targetE1EEEvSR_
                                        ; -- End function
	.section	.AMDGPU.csdata,"",@progbits
; Kernel info:
; codeLenInByte = 0
; NumSgprs: 4
; NumVgprs: 0
; NumAgprs: 0
; TotalNumVgprs: 0
; ScratchSize: 0
; MemoryBound: 0
; FloatMode: 240
; IeeeMode: 1
; LDSByteSize: 0 bytes/workgroup (compile time only)
; SGPRBlocks: 0
; VGPRBlocks: 0
; NumSGPRsForWavesPerEU: 4
; NumVGPRsForWavesPerEU: 1
; AccumOffset: 4
; Occupancy: 8
; WaveLimiterHint : 0
; COMPUTE_PGM_RSRC2:SCRATCH_EN: 0
; COMPUTE_PGM_RSRC2:USER_SGPR: 6
; COMPUTE_PGM_RSRC2:TRAP_HANDLER: 0
; COMPUTE_PGM_RSRC2:TGID_X_EN: 1
; COMPUTE_PGM_RSRC2:TGID_Y_EN: 0
; COMPUTE_PGM_RSRC2:TGID_Z_EN: 0
; COMPUTE_PGM_RSRC2:TIDIG_COMP_CNT: 0
; COMPUTE_PGM_RSRC3_GFX90A:ACCUM_OFFSET: 0
; COMPUTE_PGM_RSRC3_GFX90A:TG_SPLIT: 0
	.section	.text._ZN7rocprim17ROCPRIM_400000_NS6detail17trampoline_kernelINS0_14default_configENS1_22reduce_config_selectorIlEEZNS1_11reduce_implILb1ES3_N6thrust23THRUST_200600_302600_NS11hip_rocprim26transform_input_iterator_tIlPKhZN2at6native8ModeImplIbEclEPKbSI_EUlhE_EEPllNS8_4plusIlEEEE10hipError_tPvRmT1_T2_T3_mT4_P12ihipStream_tbEUlT_E1_NS1_11comp_targetILNS1_3genE8ELNS1_11target_archE1030ELNS1_3gpuE2ELNS1_3repE0EEENS1_30default_config_static_selectorELNS0_4arch9wavefront6targetE1EEEvSR_,"axG",@progbits,_ZN7rocprim17ROCPRIM_400000_NS6detail17trampoline_kernelINS0_14default_configENS1_22reduce_config_selectorIlEEZNS1_11reduce_implILb1ES3_N6thrust23THRUST_200600_302600_NS11hip_rocprim26transform_input_iterator_tIlPKhZN2at6native8ModeImplIbEclEPKbSI_EUlhE_EEPllNS8_4plusIlEEEE10hipError_tPvRmT1_T2_T3_mT4_P12ihipStream_tbEUlT_E1_NS1_11comp_targetILNS1_3genE8ELNS1_11target_archE1030ELNS1_3gpuE2ELNS1_3repE0EEENS1_30default_config_static_selectorELNS0_4arch9wavefront6targetE1EEEvSR_,comdat
	.protected	_ZN7rocprim17ROCPRIM_400000_NS6detail17trampoline_kernelINS0_14default_configENS1_22reduce_config_selectorIlEEZNS1_11reduce_implILb1ES3_N6thrust23THRUST_200600_302600_NS11hip_rocprim26transform_input_iterator_tIlPKhZN2at6native8ModeImplIbEclEPKbSI_EUlhE_EEPllNS8_4plusIlEEEE10hipError_tPvRmT1_T2_T3_mT4_P12ihipStream_tbEUlT_E1_NS1_11comp_targetILNS1_3genE8ELNS1_11target_archE1030ELNS1_3gpuE2ELNS1_3repE0EEENS1_30default_config_static_selectorELNS0_4arch9wavefront6targetE1EEEvSR_ ; -- Begin function _ZN7rocprim17ROCPRIM_400000_NS6detail17trampoline_kernelINS0_14default_configENS1_22reduce_config_selectorIlEEZNS1_11reduce_implILb1ES3_N6thrust23THRUST_200600_302600_NS11hip_rocprim26transform_input_iterator_tIlPKhZN2at6native8ModeImplIbEclEPKbSI_EUlhE_EEPllNS8_4plusIlEEEE10hipError_tPvRmT1_T2_T3_mT4_P12ihipStream_tbEUlT_E1_NS1_11comp_targetILNS1_3genE8ELNS1_11target_archE1030ELNS1_3gpuE2ELNS1_3repE0EEENS1_30default_config_static_selectorELNS0_4arch9wavefront6targetE1EEEvSR_
	.globl	_ZN7rocprim17ROCPRIM_400000_NS6detail17trampoline_kernelINS0_14default_configENS1_22reduce_config_selectorIlEEZNS1_11reduce_implILb1ES3_N6thrust23THRUST_200600_302600_NS11hip_rocprim26transform_input_iterator_tIlPKhZN2at6native8ModeImplIbEclEPKbSI_EUlhE_EEPllNS8_4plusIlEEEE10hipError_tPvRmT1_T2_T3_mT4_P12ihipStream_tbEUlT_E1_NS1_11comp_targetILNS1_3genE8ELNS1_11target_archE1030ELNS1_3gpuE2ELNS1_3repE0EEENS1_30default_config_static_selectorELNS0_4arch9wavefront6targetE1EEEvSR_
	.p2align	8
	.type	_ZN7rocprim17ROCPRIM_400000_NS6detail17trampoline_kernelINS0_14default_configENS1_22reduce_config_selectorIlEEZNS1_11reduce_implILb1ES3_N6thrust23THRUST_200600_302600_NS11hip_rocprim26transform_input_iterator_tIlPKhZN2at6native8ModeImplIbEclEPKbSI_EUlhE_EEPllNS8_4plusIlEEEE10hipError_tPvRmT1_T2_T3_mT4_P12ihipStream_tbEUlT_E1_NS1_11comp_targetILNS1_3genE8ELNS1_11target_archE1030ELNS1_3gpuE2ELNS1_3repE0EEENS1_30default_config_static_selectorELNS0_4arch9wavefront6targetE1EEEvSR_,@function
_ZN7rocprim17ROCPRIM_400000_NS6detail17trampoline_kernelINS0_14default_configENS1_22reduce_config_selectorIlEEZNS1_11reduce_implILb1ES3_N6thrust23THRUST_200600_302600_NS11hip_rocprim26transform_input_iterator_tIlPKhZN2at6native8ModeImplIbEclEPKbSI_EUlhE_EEPllNS8_4plusIlEEEE10hipError_tPvRmT1_T2_T3_mT4_P12ihipStream_tbEUlT_E1_NS1_11comp_targetILNS1_3genE8ELNS1_11target_archE1030ELNS1_3gpuE2ELNS1_3repE0EEENS1_30default_config_static_selectorELNS0_4arch9wavefront6targetE1EEEvSR_: ; @_ZN7rocprim17ROCPRIM_400000_NS6detail17trampoline_kernelINS0_14default_configENS1_22reduce_config_selectorIlEEZNS1_11reduce_implILb1ES3_N6thrust23THRUST_200600_302600_NS11hip_rocprim26transform_input_iterator_tIlPKhZN2at6native8ModeImplIbEclEPKbSI_EUlhE_EEPllNS8_4plusIlEEEE10hipError_tPvRmT1_T2_T3_mT4_P12ihipStream_tbEUlT_E1_NS1_11comp_targetILNS1_3genE8ELNS1_11target_archE1030ELNS1_3gpuE2ELNS1_3repE0EEENS1_30default_config_static_selectorELNS0_4arch9wavefront6targetE1EEEvSR_
; %bb.0:
	.section	.rodata,"a",@progbits
	.p2align	6, 0x0
	.amdhsa_kernel _ZN7rocprim17ROCPRIM_400000_NS6detail17trampoline_kernelINS0_14default_configENS1_22reduce_config_selectorIlEEZNS1_11reduce_implILb1ES3_N6thrust23THRUST_200600_302600_NS11hip_rocprim26transform_input_iterator_tIlPKhZN2at6native8ModeImplIbEclEPKbSI_EUlhE_EEPllNS8_4plusIlEEEE10hipError_tPvRmT1_T2_T3_mT4_P12ihipStream_tbEUlT_E1_NS1_11comp_targetILNS1_3genE8ELNS1_11target_archE1030ELNS1_3gpuE2ELNS1_3repE0EEENS1_30default_config_static_selectorELNS0_4arch9wavefront6targetE1EEEvSR_
		.amdhsa_group_segment_fixed_size 0
		.amdhsa_private_segment_fixed_size 0
		.amdhsa_kernarg_size 56
		.amdhsa_user_sgpr_count 6
		.amdhsa_user_sgpr_private_segment_buffer 1
		.amdhsa_user_sgpr_dispatch_ptr 0
		.amdhsa_user_sgpr_queue_ptr 0
		.amdhsa_user_sgpr_kernarg_segment_ptr 1
		.amdhsa_user_sgpr_dispatch_id 0
		.amdhsa_user_sgpr_flat_scratch_init 0
		.amdhsa_user_sgpr_kernarg_preload_length 0
		.amdhsa_user_sgpr_kernarg_preload_offset 0
		.amdhsa_user_sgpr_private_segment_size 0
		.amdhsa_uses_dynamic_stack 0
		.amdhsa_system_sgpr_private_segment_wavefront_offset 0
		.amdhsa_system_sgpr_workgroup_id_x 1
		.amdhsa_system_sgpr_workgroup_id_y 0
		.amdhsa_system_sgpr_workgroup_id_z 0
		.amdhsa_system_sgpr_workgroup_info 0
		.amdhsa_system_vgpr_workitem_id 0
		.amdhsa_next_free_vgpr 1
		.amdhsa_next_free_sgpr 0
		.amdhsa_accum_offset 4
		.amdhsa_reserve_vcc 0
		.amdhsa_reserve_flat_scratch 0
		.amdhsa_float_round_mode_32 0
		.amdhsa_float_round_mode_16_64 0
		.amdhsa_float_denorm_mode_32 3
		.amdhsa_float_denorm_mode_16_64 3
		.amdhsa_dx10_clamp 1
		.amdhsa_ieee_mode 1
		.amdhsa_fp16_overflow 0
		.amdhsa_tg_split 0
		.amdhsa_exception_fp_ieee_invalid_op 0
		.amdhsa_exception_fp_denorm_src 0
		.amdhsa_exception_fp_ieee_div_zero 0
		.amdhsa_exception_fp_ieee_overflow 0
		.amdhsa_exception_fp_ieee_underflow 0
		.amdhsa_exception_fp_ieee_inexact 0
		.amdhsa_exception_int_div_zero 0
	.end_amdhsa_kernel
	.section	.text._ZN7rocprim17ROCPRIM_400000_NS6detail17trampoline_kernelINS0_14default_configENS1_22reduce_config_selectorIlEEZNS1_11reduce_implILb1ES3_N6thrust23THRUST_200600_302600_NS11hip_rocprim26transform_input_iterator_tIlPKhZN2at6native8ModeImplIbEclEPKbSI_EUlhE_EEPllNS8_4plusIlEEEE10hipError_tPvRmT1_T2_T3_mT4_P12ihipStream_tbEUlT_E1_NS1_11comp_targetILNS1_3genE8ELNS1_11target_archE1030ELNS1_3gpuE2ELNS1_3repE0EEENS1_30default_config_static_selectorELNS0_4arch9wavefront6targetE1EEEvSR_,"axG",@progbits,_ZN7rocprim17ROCPRIM_400000_NS6detail17trampoline_kernelINS0_14default_configENS1_22reduce_config_selectorIlEEZNS1_11reduce_implILb1ES3_N6thrust23THRUST_200600_302600_NS11hip_rocprim26transform_input_iterator_tIlPKhZN2at6native8ModeImplIbEclEPKbSI_EUlhE_EEPllNS8_4plusIlEEEE10hipError_tPvRmT1_T2_T3_mT4_P12ihipStream_tbEUlT_E1_NS1_11comp_targetILNS1_3genE8ELNS1_11target_archE1030ELNS1_3gpuE2ELNS1_3repE0EEENS1_30default_config_static_selectorELNS0_4arch9wavefront6targetE1EEEvSR_,comdat
.Lfunc_end35:
	.size	_ZN7rocprim17ROCPRIM_400000_NS6detail17trampoline_kernelINS0_14default_configENS1_22reduce_config_selectorIlEEZNS1_11reduce_implILb1ES3_N6thrust23THRUST_200600_302600_NS11hip_rocprim26transform_input_iterator_tIlPKhZN2at6native8ModeImplIbEclEPKbSI_EUlhE_EEPllNS8_4plusIlEEEE10hipError_tPvRmT1_T2_T3_mT4_P12ihipStream_tbEUlT_E1_NS1_11comp_targetILNS1_3genE8ELNS1_11target_archE1030ELNS1_3gpuE2ELNS1_3repE0EEENS1_30default_config_static_selectorELNS0_4arch9wavefront6targetE1EEEvSR_, .Lfunc_end35-_ZN7rocprim17ROCPRIM_400000_NS6detail17trampoline_kernelINS0_14default_configENS1_22reduce_config_selectorIlEEZNS1_11reduce_implILb1ES3_N6thrust23THRUST_200600_302600_NS11hip_rocprim26transform_input_iterator_tIlPKhZN2at6native8ModeImplIbEclEPKbSI_EUlhE_EEPllNS8_4plusIlEEEE10hipError_tPvRmT1_T2_T3_mT4_P12ihipStream_tbEUlT_E1_NS1_11comp_targetILNS1_3genE8ELNS1_11target_archE1030ELNS1_3gpuE2ELNS1_3repE0EEENS1_30default_config_static_selectorELNS0_4arch9wavefront6targetE1EEEvSR_
                                        ; -- End function
	.section	.AMDGPU.csdata,"",@progbits
; Kernel info:
; codeLenInByte = 0
; NumSgprs: 4
; NumVgprs: 0
; NumAgprs: 0
; TotalNumVgprs: 0
; ScratchSize: 0
; MemoryBound: 0
; FloatMode: 240
; IeeeMode: 1
; LDSByteSize: 0 bytes/workgroup (compile time only)
; SGPRBlocks: 0
; VGPRBlocks: 0
; NumSGPRsForWavesPerEU: 4
; NumVGPRsForWavesPerEU: 1
; AccumOffset: 4
; Occupancy: 8
; WaveLimiterHint : 0
; COMPUTE_PGM_RSRC2:SCRATCH_EN: 0
; COMPUTE_PGM_RSRC2:USER_SGPR: 6
; COMPUTE_PGM_RSRC2:TRAP_HANDLER: 0
; COMPUTE_PGM_RSRC2:TGID_X_EN: 1
; COMPUTE_PGM_RSRC2:TGID_Y_EN: 0
; COMPUTE_PGM_RSRC2:TGID_Z_EN: 0
; COMPUTE_PGM_RSRC2:TIDIG_COMP_CNT: 0
; COMPUTE_PGM_RSRC3_GFX90A:ACCUM_OFFSET: 0
; COMPUTE_PGM_RSRC3_GFX90A:TG_SPLIT: 0
	.section	.text._ZN7rocprim17ROCPRIM_400000_NS6detail17trampoline_kernelINS0_14default_configENS1_22reduce_config_selectorIN6thrust23THRUST_200600_302600_NS5tupleIblNS6_9null_typeES8_S8_S8_S8_S8_S8_S8_EEEEZNS1_11reduce_implILb1ES3_PS9_SC_S9_NS6_11hip_rocprim9__find_if7functorIS9_EEEE10hipError_tPvRmT1_T2_T3_mT4_P12ihipStream_tbEUlT_E0_NS1_11comp_targetILNS1_3genE0ELNS1_11target_archE4294967295ELNS1_3gpuE0ELNS1_3repE0EEENS1_30default_config_static_selectorELNS0_4arch9wavefront6targetE1EEEvSK_,"axG",@progbits,_ZN7rocprim17ROCPRIM_400000_NS6detail17trampoline_kernelINS0_14default_configENS1_22reduce_config_selectorIN6thrust23THRUST_200600_302600_NS5tupleIblNS6_9null_typeES8_S8_S8_S8_S8_S8_S8_EEEEZNS1_11reduce_implILb1ES3_PS9_SC_S9_NS6_11hip_rocprim9__find_if7functorIS9_EEEE10hipError_tPvRmT1_T2_T3_mT4_P12ihipStream_tbEUlT_E0_NS1_11comp_targetILNS1_3genE0ELNS1_11target_archE4294967295ELNS1_3gpuE0ELNS1_3repE0EEENS1_30default_config_static_selectorELNS0_4arch9wavefront6targetE1EEEvSK_,comdat
	.protected	_ZN7rocprim17ROCPRIM_400000_NS6detail17trampoline_kernelINS0_14default_configENS1_22reduce_config_selectorIN6thrust23THRUST_200600_302600_NS5tupleIblNS6_9null_typeES8_S8_S8_S8_S8_S8_S8_EEEEZNS1_11reduce_implILb1ES3_PS9_SC_S9_NS6_11hip_rocprim9__find_if7functorIS9_EEEE10hipError_tPvRmT1_T2_T3_mT4_P12ihipStream_tbEUlT_E0_NS1_11comp_targetILNS1_3genE0ELNS1_11target_archE4294967295ELNS1_3gpuE0ELNS1_3repE0EEENS1_30default_config_static_selectorELNS0_4arch9wavefront6targetE1EEEvSK_ ; -- Begin function _ZN7rocprim17ROCPRIM_400000_NS6detail17trampoline_kernelINS0_14default_configENS1_22reduce_config_selectorIN6thrust23THRUST_200600_302600_NS5tupleIblNS6_9null_typeES8_S8_S8_S8_S8_S8_S8_EEEEZNS1_11reduce_implILb1ES3_PS9_SC_S9_NS6_11hip_rocprim9__find_if7functorIS9_EEEE10hipError_tPvRmT1_T2_T3_mT4_P12ihipStream_tbEUlT_E0_NS1_11comp_targetILNS1_3genE0ELNS1_11target_archE4294967295ELNS1_3gpuE0ELNS1_3repE0EEENS1_30default_config_static_selectorELNS0_4arch9wavefront6targetE1EEEvSK_
	.globl	_ZN7rocprim17ROCPRIM_400000_NS6detail17trampoline_kernelINS0_14default_configENS1_22reduce_config_selectorIN6thrust23THRUST_200600_302600_NS5tupleIblNS6_9null_typeES8_S8_S8_S8_S8_S8_S8_EEEEZNS1_11reduce_implILb1ES3_PS9_SC_S9_NS6_11hip_rocprim9__find_if7functorIS9_EEEE10hipError_tPvRmT1_T2_T3_mT4_P12ihipStream_tbEUlT_E0_NS1_11comp_targetILNS1_3genE0ELNS1_11target_archE4294967295ELNS1_3gpuE0ELNS1_3repE0EEENS1_30default_config_static_selectorELNS0_4arch9wavefront6targetE1EEEvSK_
	.p2align	8
	.type	_ZN7rocprim17ROCPRIM_400000_NS6detail17trampoline_kernelINS0_14default_configENS1_22reduce_config_selectorIN6thrust23THRUST_200600_302600_NS5tupleIblNS6_9null_typeES8_S8_S8_S8_S8_S8_S8_EEEEZNS1_11reduce_implILb1ES3_PS9_SC_S9_NS6_11hip_rocprim9__find_if7functorIS9_EEEE10hipError_tPvRmT1_T2_T3_mT4_P12ihipStream_tbEUlT_E0_NS1_11comp_targetILNS1_3genE0ELNS1_11target_archE4294967295ELNS1_3gpuE0ELNS1_3repE0EEENS1_30default_config_static_selectorELNS0_4arch9wavefront6targetE1EEEvSK_,@function
_ZN7rocprim17ROCPRIM_400000_NS6detail17trampoline_kernelINS0_14default_configENS1_22reduce_config_selectorIN6thrust23THRUST_200600_302600_NS5tupleIblNS6_9null_typeES8_S8_S8_S8_S8_S8_S8_EEEEZNS1_11reduce_implILb1ES3_PS9_SC_S9_NS6_11hip_rocprim9__find_if7functorIS9_EEEE10hipError_tPvRmT1_T2_T3_mT4_P12ihipStream_tbEUlT_E0_NS1_11comp_targetILNS1_3genE0ELNS1_11target_archE4294967295ELNS1_3gpuE0ELNS1_3repE0EEENS1_30default_config_static_selectorELNS0_4arch9wavefront6targetE1EEEvSK_: ; @_ZN7rocprim17ROCPRIM_400000_NS6detail17trampoline_kernelINS0_14default_configENS1_22reduce_config_selectorIN6thrust23THRUST_200600_302600_NS5tupleIblNS6_9null_typeES8_S8_S8_S8_S8_S8_S8_EEEEZNS1_11reduce_implILb1ES3_PS9_SC_S9_NS6_11hip_rocprim9__find_if7functorIS9_EEEE10hipError_tPvRmT1_T2_T3_mT4_P12ihipStream_tbEUlT_E0_NS1_11comp_targetILNS1_3genE0ELNS1_11target_archE4294967295ELNS1_3gpuE0ELNS1_3repE0EEENS1_30default_config_static_selectorELNS0_4arch9wavefront6targetE1EEEvSK_
; %bb.0:
	.section	.rodata,"a",@progbits
	.p2align	6, 0x0
	.amdhsa_kernel _ZN7rocprim17ROCPRIM_400000_NS6detail17trampoline_kernelINS0_14default_configENS1_22reduce_config_selectorIN6thrust23THRUST_200600_302600_NS5tupleIblNS6_9null_typeES8_S8_S8_S8_S8_S8_S8_EEEEZNS1_11reduce_implILb1ES3_PS9_SC_S9_NS6_11hip_rocprim9__find_if7functorIS9_EEEE10hipError_tPvRmT1_T2_T3_mT4_P12ihipStream_tbEUlT_E0_NS1_11comp_targetILNS1_3genE0ELNS1_11target_archE4294967295ELNS1_3gpuE0ELNS1_3repE0EEENS1_30default_config_static_selectorELNS0_4arch9wavefront6targetE1EEEvSK_
		.amdhsa_group_segment_fixed_size 0
		.amdhsa_private_segment_fixed_size 0
		.amdhsa_kernarg_size 72
		.amdhsa_user_sgpr_count 6
		.amdhsa_user_sgpr_private_segment_buffer 1
		.amdhsa_user_sgpr_dispatch_ptr 0
		.amdhsa_user_sgpr_queue_ptr 0
		.amdhsa_user_sgpr_kernarg_segment_ptr 1
		.amdhsa_user_sgpr_dispatch_id 0
		.amdhsa_user_sgpr_flat_scratch_init 0
		.amdhsa_user_sgpr_kernarg_preload_length 0
		.amdhsa_user_sgpr_kernarg_preload_offset 0
		.amdhsa_user_sgpr_private_segment_size 0
		.amdhsa_uses_dynamic_stack 0
		.amdhsa_system_sgpr_private_segment_wavefront_offset 0
		.amdhsa_system_sgpr_workgroup_id_x 1
		.amdhsa_system_sgpr_workgroup_id_y 0
		.amdhsa_system_sgpr_workgroup_id_z 0
		.amdhsa_system_sgpr_workgroup_info 0
		.amdhsa_system_vgpr_workitem_id 0
		.amdhsa_next_free_vgpr 1
		.amdhsa_next_free_sgpr 0
		.amdhsa_accum_offset 4
		.amdhsa_reserve_vcc 0
		.amdhsa_reserve_flat_scratch 0
		.amdhsa_float_round_mode_32 0
		.amdhsa_float_round_mode_16_64 0
		.amdhsa_float_denorm_mode_32 3
		.amdhsa_float_denorm_mode_16_64 3
		.amdhsa_dx10_clamp 1
		.amdhsa_ieee_mode 1
		.amdhsa_fp16_overflow 0
		.amdhsa_tg_split 0
		.amdhsa_exception_fp_ieee_invalid_op 0
		.amdhsa_exception_fp_denorm_src 0
		.amdhsa_exception_fp_ieee_div_zero 0
		.amdhsa_exception_fp_ieee_overflow 0
		.amdhsa_exception_fp_ieee_underflow 0
		.amdhsa_exception_fp_ieee_inexact 0
		.amdhsa_exception_int_div_zero 0
	.end_amdhsa_kernel
	.section	.text._ZN7rocprim17ROCPRIM_400000_NS6detail17trampoline_kernelINS0_14default_configENS1_22reduce_config_selectorIN6thrust23THRUST_200600_302600_NS5tupleIblNS6_9null_typeES8_S8_S8_S8_S8_S8_S8_EEEEZNS1_11reduce_implILb1ES3_PS9_SC_S9_NS6_11hip_rocprim9__find_if7functorIS9_EEEE10hipError_tPvRmT1_T2_T3_mT4_P12ihipStream_tbEUlT_E0_NS1_11comp_targetILNS1_3genE0ELNS1_11target_archE4294967295ELNS1_3gpuE0ELNS1_3repE0EEENS1_30default_config_static_selectorELNS0_4arch9wavefront6targetE1EEEvSK_,"axG",@progbits,_ZN7rocprim17ROCPRIM_400000_NS6detail17trampoline_kernelINS0_14default_configENS1_22reduce_config_selectorIN6thrust23THRUST_200600_302600_NS5tupleIblNS6_9null_typeES8_S8_S8_S8_S8_S8_S8_EEEEZNS1_11reduce_implILb1ES3_PS9_SC_S9_NS6_11hip_rocprim9__find_if7functorIS9_EEEE10hipError_tPvRmT1_T2_T3_mT4_P12ihipStream_tbEUlT_E0_NS1_11comp_targetILNS1_3genE0ELNS1_11target_archE4294967295ELNS1_3gpuE0ELNS1_3repE0EEENS1_30default_config_static_selectorELNS0_4arch9wavefront6targetE1EEEvSK_,comdat
.Lfunc_end36:
	.size	_ZN7rocprim17ROCPRIM_400000_NS6detail17trampoline_kernelINS0_14default_configENS1_22reduce_config_selectorIN6thrust23THRUST_200600_302600_NS5tupleIblNS6_9null_typeES8_S8_S8_S8_S8_S8_S8_EEEEZNS1_11reduce_implILb1ES3_PS9_SC_S9_NS6_11hip_rocprim9__find_if7functorIS9_EEEE10hipError_tPvRmT1_T2_T3_mT4_P12ihipStream_tbEUlT_E0_NS1_11comp_targetILNS1_3genE0ELNS1_11target_archE4294967295ELNS1_3gpuE0ELNS1_3repE0EEENS1_30default_config_static_selectorELNS0_4arch9wavefront6targetE1EEEvSK_, .Lfunc_end36-_ZN7rocprim17ROCPRIM_400000_NS6detail17trampoline_kernelINS0_14default_configENS1_22reduce_config_selectorIN6thrust23THRUST_200600_302600_NS5tupleIblNS6_9null_typeES8_S8_S8_S8_S8_S8_S8_EEEEZNS1_11reduce_implILb1ES3_PS9_SC_S9_NS6_11hip_rocprim9__find_if7functorIS9_EEEE10hipError_tPvRmT1_T2_T3_mT4_P12ihipStream_tbEUlT_E0_NS1_11comp_targetILNS1_3genE0ELNS1_11target_archE4294967295ELNS1_3gpuE0ELNS1_3repE0EEENS1_30default_config_static_selectorELNS0_4arch9wavefront6targetE1EEEvSK_
                                        ; -- End function
	.section	.AMDGPU.csdata,"",@progbits
; Kernel info:
; codeLenInByte = 0
; NumSgprs: 4
; NumVgprs: 0
; NumAgprs: 0
; TotalNumVgprs: 0
; ScratchSize: 0
; MemoryBound: 0
; FloatMode: 240
; IeeeMode: 1
; LDSByteSize: 0 bytes/workgroup (compile time only)
; SGPRBlocks: 0
; VGPRBlocks: 0
; NumSGPRsForWavesPerEU: 4
; NumVGPRsForWavesPerEU: 1
; AccumOffset: 4
; Occupancy: 8
; WaveLimiterHint : 0
; COMPUTE_PGM_RSRC2:SCRATCH_EN: 0
; COMPUTE_PGM_RSRC2:USER_SGPR: 6
; COMPUTE_PGM_RSRC2:TRAP_HANDLER: 0
; COMPUTE_PGM_RSRC2:TGID_X_EN: 1
; COMPUTE_PGM_RSRC2:TGID_Y_EN: 0
; COMPUTE_PGM_RSRC2:TGID_Z_EN: 0
; COMPUTE_PGM_RSRC2:TIDIG_COMP_CNT: 0
; COMPUTE_PGM_RSRC3_GFX90A:ACCUM_OFFSET: 0
; COMPUTE_PGM_RSRC3_GFX90A:TG_SPLIT: 0
	.section	.text._ZN7rocprim17ROCPRIM_400000_NS6detail17trampoline_kernelINS0_14default_configENS1_22reduce_config_selectorIN6thrust23THRUST_200600_302600_NS5tupleIblNS6_9null_typeES8_S8_S8_S8_S8_S8_S8_EEEEZNS1_11reduce_implILb1ES3_PS9_SC_S9_NS6_11hip_rocprim9__find_if7functorIS9_EEEE10hipError_tPvRmT1_T2_T3_mT4_P12ihipStream_tbEUlT_E0_NS1_11comp_targetILNS1_3genE5ELNS1_11target_archE942ELNS1_3gpuE9ELNS1_3repE0EEENS1_30default_config_static_selectorELNS0_4arch9wavefront6targetE1EEEvSK_,"axG",@progbits,_ZN7rocprim17ROCPRIM_400000_NS6detail17trampoline_kernelINS0_14default_configENS1_22reduce_config_selectorIN6thrust23THRUST_200600_302600_NS5tupleIblNS6_9null_typeES8_S8_S8_S8_S8_S8_S8_EEEEZNS1_11reduce_implILb1ES3_PS9_SC_S9_NS6_11hip_rocprim9__find_if7functorIS9_EEEE10hipError_tPvRmT1_T2_T3_mT4_P12ihipStream_tbEUlT_E0_NS1_11comp_targetILNS1_3genE5ELNS1_11target_archE942ELNS1_3gpuE9ELNS1_3repE0EEENS1_30default_config_static_selectorELNS0_4arch9wavefront6targetE1EEEvSK_,comdat
	.protected	_ZN7rocprim17ROCPRIM_400000_NS6detail17trampoline_kernelINS0_14default_configENS1_22reduce_config_selectorIN6thrust23THRUST_200600_302600_NS5tupleIblNS6_9null_typeES8_S8_S8_S8_S8_S8_S8_EEEEZNS1_11reduce_implILb1ES3_PS9_SC_S9_NS6_11hip_rocprim9__find_if7functorIS9_EEEE10hipError_tPvRmT1_T2_T3_mT4_P12ihipStream_tbEUlT_E0_NS1_11comp_targetILNS1_3genE5ELNS1_11target_archE942ELNS1_3gpuE9ELNS1_3repE0EEENS1_30default_config_static_selectorELNS0_4arch9wavefront6targetE1EEEvSK_ ; -- Begin function _ZN7rocprim17ROCPRIM_400000_NS6detail17trampoline_kernelINS0_14default_configENS1_22reduce_config_selectorIN6thrust23THRUST_200600_302600_NS5tupleIblNS6_9null_typeES8_S8_S8_S8_S8_S8_S8_EEEEZNS1_11reduce_implILb1ES3_PS9_SC_S9_NS6_11hip_rocprim9__find_if7functorIS9_EEEE10hipError_tPvRmT1_T2_T3_mT4_P12ihipStream_tbEUlT_E0_NS1_11comp_targetILNS1_3genE5ELNS1_11target_archE942ELNS1_3gpuE9ELNS1_3repE0EEENS1_30default_config_static_selectorELNS0_4arch9wavefront6targetE1EEEvSK_
	.globl	_ZN7rocprim17ROCPRIM_400000_NS6detail17trampoline_kernelINS0_14default_configENS1_22reduce_config_selectorIN6thrust23THRUST_200600_302600_NS5tupleIblNS6_9null_typeES8_S8_S8_S8_S8_S8_S8_EEEEZNS1_11reduce_implILb1ES3_PS9_SC_S9_NS6_11hip_rocprim9__find_if7functorIS9_EEEE10hipError_tPvRmT1_T2_T3_mT4_P12ihipStream_tbEUlT_E0_NS1_11comp_targetILNS1_3genE5ELNS1_11target_archE942ELNS1_3gpuE9ELNS1_3repE0EEENS1_30default_config_static_selectorELNS0_4arch9wavefront6targetE1EEEvSK_
	.p2align	8
	.type	_ZN7rocprim17ROCPRIM_400000_NS6detail17trampoline_kernelINS0_14default_configENS1_22reduce_config_selectorIN6thrust23THRUST_200600_302600_NS5tupleIblNS6_9null_typeES8_S8_S8_S8_S8_S8_S8_EEEEZNS1_11reduce_implILb1ES3_PS9_SC_S9_NS6_11hip_rocprim9__find_if7functorIS9_EEEE10hipError_tPvRmT1_T2_T3_mT4_P12ihipStream_tbEUlT_E0_NS1_11comp_targetILNS1_3genE5ELNS1_11target_archE942ELNS1_3gpuE9ELNS1_3repE0EEENS1_30default_config_static_selectorELNS0_4arch9wavefront6targetE1EEEvSK_,@function
_ZN7rocprim17ROCPRIM_400000_NS6detail17trampoline_kernelINS0_14default_configENS1_22reduce_config_selectorIN6thrust23THRUST_200600_302600_NS5tupleIblNS6_9null_typeES8_S8_S8_S8_S8_S8_S8_EEEEZNS1_11reduce_implILb1ES3_PS9_SC_S9_NS6_11hip_rocprim9__find_if7functorIS9_EEEE10hipError_tPvRmT1_T2_T3_mT4_P12ihipStream_tbEUlT_E0_NS1_11comp_targetILNS1_3genE5ELNS1_11target_archE942ELNS1_3gpuE9ELNS1_3repE0EEENS1_30default_config_static_selectorELNS0_4arch9wavefront6targetE1EEEvSK_: ; @_ZN7rocprim17ROCPRIM_400000_NS6detail17trampoline_kernelINS0_14default_configENS1_22reduce_config_selectorIN6thrust23THRUST_200600_302600_NS5tupleIblNS6_9null_typeES8_S8_S8_S8_S8_S8_S8_EEEEZNS1_11reduce_implILb1ES3_PS9_SC_S9_NS6_11hip_rocprim9__find_if7functorIS9_EEEE10hipError_tPvRmT1_T2_T3_mT4_P12ihipStream_tbEUlT_E0_NS1_11comp_targetILNS1_3genE5ELNS1_11target_archE942ELNS1_3gpuE9ELNS1_3repE0EEENS1_30default_config_static_selectorELNS0_4arch9wavefront6targetE1EEEvSK_
; %bb.0:
	.section	.rodata,"a",@progbits
	.p2align	6, 0x0
	.amdhsa_kernel _ZN7rocprim17ROCPRIM_400000_NS6detail17trampoline_kernelINS0_14default_configENS1_22reduce_config_selectorIN6thrust23THRUST_200600_302600_NS5tupleIblNS6_9null_typeES8_S8_S8_S8_S8_S8_S8_EEEEZNS1_11reduce_implILb1ES3_PS9_SC_S9_NS6_11hip_rocprim9__find_if7functorIS9_EEEE10hipError_tPvRmT1_T2_T3_mT4_P12ihipStream_tbEUlT_E0_NS1_11comp_targetILNS1_3genE5ELNS1_11target_archE942ELNS1_3gpuE9ELNS1_3repE0EEENS1_30default_config_static_selectorELNS0_4arch9wavefront6targetE1EEEvSK_
		.amdhsa_group_segment_fixed_size 0
		.amdhsa_private_segment_fixed_size 0
		.amdhsa_kernarg_size 72
		.amdhsa_user_sgpr_count 6
		.amdhsa_user_sgpr_private_segment_buffer 1
		.amdhsa_user_sgpr_dispatch_ptr 0
		.amdhsa_user_sgpr_queue_ptr 0
		.amdhsa_user_sgpr_kernarg_segment_ptr 1
		.amdhsa_user_sgpr_dispatch_id 0
		.amdhsa_user_sgpr_flat_scratch_init 0
		.amdhsa_user_sgpr_kernarg_preload_length 0
		.amdhsa_user_sgpr_kernarg_preload_offset 0
		.amdhsa_user_sgpr_private_segment_size 0
		.amdhsa_uses_dynamic_stack 0
		.amdhsa_system_sgpr_private_segment_wavefront_offset 0
		.amdhsa_system_sgpr_workgroup_id_x 1
		.amdhsa_system_sgpr_workgroup_id_y 0
		.amdhsa_system_sgpr_workgroup_id_z 0
		.amdhsa_system_sgpr_workgroup_info 0
		.amdhsa_system_vgpr_workitem_id 0
		.amdhsa_next_free_vgpr 1
		.amdhsa_next_free_sgpr 0
		.amdhsa_accum_offset 4
		.amdhsa_reserve_vcc 0
		.amdhsa_reserve_flat_scratch 0
		.amdhsa_float_round_mode_32 0
		.amdhsa_float_round_mode_16_64 0
		.amdhsa_float_denorm_mode_32 3
		.amdhsa_float_denorm_mode_16_64 3
		.amdhsa_dx10_clamp 1
		.amdhsa_ieee_mode 1
		.amdhsa_fp16_overflow 0
		.amdhsa_tg_split 0
		.amdhsa_exception_fp_ieee_invalid_op 0
		.amdhsa_exception_fp_denorm_src 0
		.amdhsa_exception_fp_ieee_div_zero 0
		.amdhsa_exception_fp_ieee_overflow 0
		.amdhsa_exception_fp_ieee_underflow 0
		.amdhsa_exception_fp_ieee_inexact 0
		.amdhsa_exception_int_div_zero 0
	.end_amdhsa_kernel
	.section	.text._ZN7rocprim17ROCPRIM_400000_NS6detail17trampoline_kernelINS0_14default_configENS1_22reduce_config_selectorIN6thrust23THRUST_200600_302600_NS5tupleIblNS6_9null_typeES8_S8_S8_S8_S8_S8_S8_EEEEZNS1_11reduce_implILb1ES3_PS9_SC_S9_NS6_11hip_rocprim9__find_if7functorIS9_EEEE10hipError_tPvRmT1_T2_T3_mT4_P12ihipStream_tbEUlT_E0_NS1_11comp_targetILNS1_3genE5ELNS1_11target_archE942ELNS1_3gpuE9ELNS1_3repE0EEENS1_30default_config_static_selectorELNS0_4arch9wavefront6targetE1EEEvSK_,"axG",@progbits,_ZN7rocprim17ROCPRIM_400000_NS6detail17trampoline_kernelINS0_14default_configENS1_22reduce_config_selectorIN6thrust23THRUST_200600_302600_NS5tupleIblNS6_9null_typeES8_S8_S8_S8_S8_S8_S8_EEEEZNS1_11reduce_implILb1ES3_PS9_SC_S9_NS6_11hip_rocprim9__find_if7functorIS9_EEEE10hipError_tPvRmT1_T2_T3_mT4_P12ihipStream_tbEUlT_E0_NS1_11comp_targetILNS1_3genE5ELNS1_11target_archE942ELNS1_3gpuE9ELNS1_3repE0EEENS1_30default_config_static_selectorELNS0_4arch9wavefront6targetE1EEEvSK_,comdat
.Lfunc_end37:
	.size	_ZN7rocprim17ROCPRIM_400000_NS6detail17trampoline_kernelINS0_14default_configENS1_22reduce_config_selectorIN6thrust23THRUST_200600_302600_NS5tupleIblNS6_9null_typeES8_S8_S8_S8_S8_S8_S8_EEEEZNS1_11reduce_implILb1ES3_PS9_SC_S9_NS6_11hip_rocprim9__find_if7functorIS9_EEEE10hipError_tPvRmT1_T2_T3_mT4_P12ihipStream_tbEUlT_E0_NS1_11comp_targetILNS1_3genE5ELNS1_11target_archE942ELNS1_3gpuE9ELNS1_3repE0EEENS1_30default_config_static_selectorELNS0_4arch9wavefront6targetE1EEEvSK_, .Lfunc_end37-_ZN7rocprim17ROCPRIM_400000_NS6detail17trampoline_kernelINS0_14default_configENS1_22reduce_config_selectorIN6thrust23THRUST_200600_302600_NS5tupleIblNS6_9null_typeES8_S8_S8_S8_S8_S8_S8_EEEEZNS1_11reduce_implILb1ES3_PS9_SC_S9_NS6_11hip_rocprim9__find_if7functorIS9_EEEE10hipError_tPvRmT1_T2_T3_mT4_P12ihipStream_tbEUlT_E0_NS1_11comp_targetILNS1_3genE5ELNS1_11target_archE942ELNS1_3gpuE9ELNS1_3repE0EEENS1_30default_config_static_selectorELNS0_4arch9wavefront6targetE1EEEvSK_
                                        ; -- End function
	.section	.AMDGPU.csdata,"",@progbits
; Kernel info:
; codeLenInByte = 0
; NumSgprs: 4
; NumVgprs: 0
; NumAgprs: 0
; TotalNumVgprs: 0
; ScratchSize: 0
; MemoryBound: 0
; FloatMode: 240
; IeeeMode: 1
; LDSByteSize: 0 bytes/workgroup (compile time only)
; SGPRBlocks: 0
; VGPRBlocks: 0
; NumSGPRsForWavesPerEU: 4
; NumVGPRsForWavesPerEU: 1
; AccumOffset: 4
; Occupancy: 8
; WaveLimiterHint : 0
; COMPUTE_PGM_RSRC2:SCRATCH_EN: 0
; COMPUTE_PGM_RSRC2:USER_SGPR: 6
; COMPUTE_PGM_RSRC2:TRAP_HANDLER: 0
; COMPUTE_PGM_RSRC2:TGID_X_EN: 1
; COMPUTE_PGM_RSRC2:TGID_Y_EN: 0
; COMPUTE_PGM_RSRC2:TGID_Z_EN: 0
; COMPUTE_PGM_RSRC2:TIDIG_COMP_CNT: 0
; COMPUTE_PGM_RSRC3_GFX90A:ACCUM_OFFSET: 0
; COMPUTE_PGM_RSRC3_GFX90A:TG_SPLIT: 0
	.section	.text._ZN7rocprim17ROCPRIM_400000_NS6detail17trampoline_kernelINS0_14default_configENS1_22reduce_config_selectorIN6thrust23THRUST_200600_302600_NS5tupleIblNS6_9null_typeES8_S8_S8_S8_S8_S8_S8_EEEEZNS1_11reduce_implILb1ES3_PS9_SC_S9_NS6_11hip_rocprim9__find_if7functorIS9_EEEE10hipError_tPvRmT1_T2_T3_mT4_P12ihipStream_tbEUlT_E0_NS1_11comp_targetILNS1_3genE4ELNS1_11target_archE910ELNS1_3gpuE8ELNS1_3repE0EEENS1_30default_config_static_selectorELNS0_4arch9wavefront6targetE1EEEvSK_,"axG",@progbits,_ZN7rocprim17ROCPRIM_400000_NS6detail17trampoline_kernelINS0_14default_configENS1_22reduce_config_selectorIN6thrust23THRUST_200600_302600_NS5tupleIblNS6_9null_typeES8_S8_S8_S8_S8_S8_S8_EEEEZNS1_11reduce_implILb1ES3_PS9_SC_S9_NS6_11hip_rocprim9__find_if7functorIS9_EEEE10hipError_tPvRmT1_T2_T3_mT4_P12ihipStream_tbEUlT_E0_NS1_11comp_targetILNS1_3genE4ELNS1_11target_archE910ELNS1_3gpuE8ELNS1_3repE0EEENS1_30default_config_static_selectorELNS0_4arch9wavefront6targetE1EEEvSK_,comdat
	.protected	_ZN7rocprim17ROCPRIM_400000_NS6detail17trampoline_kernelINS0_14default_configENS1_22reduce_config_selectorIN6thrust23THRUST_200600_302600_NS5tupleIblNS6_9null_typeES8_S8_S8_S8_S8_S8_S8_EEEEZNS1_11reduce_implILb1ES3_PS9_SC_S9_NS6_11hip_rocprim9__find_if7functorIS9_EEEE10hipError_tPvRmT1_T2_T3_mT4_P12ihipStream_tbEUlT_E0_NS1_11comp_targetILNS1_3genE4ELNS1_11target_archE910ELNS1_3gpuE8ELNS1_3repE0EEENS1_30default_config_static_selectorELNS0_4arch9wavefront6targetE1EEEvSK_ ; -- Begin function _ZN7rocprim17ROCPRIM_400000_NS6detail17trampoline_kernelINS0_14default_configENS1_22reduce_config_selectorIN6thrust23THRUST_200600_302600_NS5tupleIblNS6_9null_typeES8_S8_S8_S8_S8_S8_S8_EEEEZNS1_11reduce_implILb1ES3_PS9_SC_S9_NS6_11hip_rocprim9__find_if7functorIS9_EEEE10hipError_tPvRmT1_T2_T3_mT4_P12ihipStream_tbEUlT_E0_NS1_11comp_targetILNS1_3genE4ELNS1_11target_archE910ELNS1_3gpuE8ELNS1_3repE0EEENS1_30default_config_static_selectorELNS0_4arch9wavefront6targetE1EEEvSK_
	.globl	_ZN7rocprim17ROCPRIM_400000_NS6detail17trampoline_kernelINS0_14default_configENS1_22reduce_config_selectorIN6thrust23THRUST_200600_302600_NS5tupleIblNS6_9null_typeES8_S8_S8_S8_S8_S8_S8_EEEEZNS1_11reduce_implILb1ES3_PS9_SC_S9_NS6_11hip_rocprim9__find_if7functorIS9_EEEE10hipError_tPvRmT1_T2_T3_mT4_P12ihipStream_tbEUlT_E0_NS1_11comp_targetILNS1_3genE4ELNS1_11target_archE910ELNS1_3gpuE8ELNS1_3repE0EEENS1_30default_config_static_selectorELNS0_4arch9wavefront6targetE1EEEvSK_
	.p2align	8
	.type	_ZN7rocprim17ROCPRIM_400000_NS6detail17trampoline_kernelINS0_14default_configENS1_22reduce_config_selectorIN6thrust23THRUST_200600_302600_NS5tupleIblNS6_9null_typeES8_S8_S8_S8_S8_S8_S8_EEEEZNS1_11reduce_implILb1ES3_PS9_SC_S9_NS6_11hip_rocprim9__find_if7functorIS9_EEEE10hipError_tPvRmT1_T2_T3_mT4_P12ihipStream_tbEUlT_E0_NS1_11comp_targetILNS1_3genE4ELNS1_11target_archE910ELNS1_3gpuE8ELNS1_3repE0EEENS1_30default_config_static_selectorELNS0_4arch9wavefront6targetE1EEEvSK_,@function
_ZN7rocprim17ROCPRIM_400000_NS6detail17trampoline_kernelINS0_14default_configENS1_22reduce_config_selectorIN6thrust23THRUST_200600_302600_NS5tupleIblNS6_9null_typeES8_S8_S8_S8_S8_S8_S8_EEEEZNS1_11reduce_implILb1ES3_PS9_SC_S9_NS6_11hip_rocprim9__find_if7functorIS9_EEEE10hipError_tPvRmT1_T2_T3_mT4_P12ihipStream_tbEUlT_E0_NS1_11comp_targetILNS1_3genE4ELNS1_11target_archE910ELNS1_3gpuE8ELNS1_3repE0EEENS1_30default_config_static_selectorELNS0_4arch9wavefront6targetE1EEEvSK_: ; @_ZN7rocprim17ROCPRIM_400000_NS6detail17trampoline_kernelINS0_14default_configENS1_22reduce_config_selectorIN6thrust23THRUST_200600_302600_NS5tupleIblNS6_9null_typeES8_S8_S8_S8_S8_S8_S8_EEEEZNS1_11reduce_implILb1ES3_PS9_SC_S9_NS6_11hip_rocprim9__find_if7functorIS9_EEEE10hipError_tPvRmT1_T2_T3_mT4_P12ihipStream_tbEUlT_E0_NS1_11comp_targetILNS1_3genE4ELNS1_11target_archE910ELNS1_3gpuE8ELNS1_3repE0EEENS1_30default_config_static_selectorELNS0_4arch9wavefront6targetE1EEEvSK_
; %bb.0:
	s_load_dwordx8 s[8:15], s[4:5], 0x0
	s_load_dwordx4 s[16:19], s[4:5], 0x20
	s_waitcnt lgkmcnt(0)
	s_lshl_b64 s[0:1], s[10:11], 4
	s_add_u32 s8, s8, s0
	s_addc_u32 s9, s9, s1
	s_lshl_b32 s10, s6, 9
	s_mov_b32 s11, 0
	s_lshr_b64 s[0:1], s[12:13], 9
	s_lshl_b64 s[2:3], s[10:11], 4
	s_add_u32 s8, s8, s2
	s_mov_b32 s7, s11
	s_addc_u32 s9, s9, s3
	s_cmp_lg_u64 s[0:1], s[6:7]
	s_cbranch_scc0 .LBB38_20
; %bb.1:
	v_lshlrev_b32_e32 v7, 4, v0
	v_mov_b32_e32 v1, s9
	v_add_co_u32_e32 v4, vcc, s8, v7
	v_addc_co_u32_e32 v5, vcc, 0, v1, vcc
	v_add_co_u32_e32 v8, vcc, 0x1000, v4
	v_addc_co_u32_e32 v9, vcc, 0, v5, vcc
	global_load_ubyte v1, v7, s[8:9]
	global_load_ubyte v6, v[8:9], off
	global_load_dwordx2 v[2:3], v[8:9], off offset:8
	s_waitcnt vmcnt(2)
	v_and_b32_e32 v7, 1, v1
	v_cmp_eq_u32_e32 vcc, 1, v7
	s_and_saveexec_b64 s[2:3], vcc
	s_cbranch_execz .LBB38_3
; %bb.2:
	global_load_dwordx2 v[4:5], v[4:5], off offset:8
	s_waitcnt vmcnt(2)
	v_and_b32_e32 v6, 1, v6
	v_cmp_eq_u32_e32 vcc, 1, v6
	v_cndmask_b32_e64 v6, v1, 1, vcc
	s_waitcnt vmcnt(0)
	v_cmp_lt_i64_e64 s[0:1], v[2:3], v[4:5]
	v_cndmask_b32_e64 v1, v5, v3, s[0:1]
	v_cndmask_b32_e32 v3, v5, v1, vcc
	s_and_b64 vcc, vcc, s[0:1]
	v_cndmask_b32_e32 v2, v4, v2, vcc
.LBB38_3:
	s_or_b64 exec, exec, s[2:3]
	s_waitcnt vmcnt(1)
	v_and_b32_e32 v1, 0xff, v6
	v_and_b32_e32 v6, 1, v6
	s_waitcnt vmcnt(0)
	v_mov_b32_dpp v4, v2 quad_perm:[1,0,3,2] row_mask:0xf bank_mask:0xf bound_ctrl:1
	v_mov_b32_dpp v7, v1 quad_perm:[1,0,3,2] row_mask:0xf bank_mask:0xf bound_ctrl:1
	v_and_b32_e32 v8, 1, v7
	v_mov_b32_dpp v5, v3 quad_perm:[1,0,3,2] row_mask:0xf bank_mask:0xf bound_ctrl:1
	v_cmp_eq_u32_e32 vcc, 1, v8
	v_cmp_eq_u32_e64 s[0:1], 1, v6
	s_and_saveexec_b64 s[2:3], vcc
; %bb.4:
	v_cmp_lt_i64_e32 vcc, v[2:3], v[4:5]
	v_cndmask_b32_e64 v6, v7, 1, s[0:1]
	s_and_b64 vcc, s[0:1], vcc
	v_cndmask_b32_e32 v2, v4, v2, vcc
	v_and_b32_e32 v4, 1, v6
	v_cndmask_b32_e32 v3, v5, v3, vcc
	v_cmp_eq_u32_e32 vcc, 1, v4
	s_andn2_b64 s[0:1], s[0:1], exec
	s_and_b64 s[20:21], vcc, exec
	v_and_b32_e32 v1, 0xff, v6
	s_or_b64 s[0:1], s[0:1], s[20:21]
; %bb.5:
	s_or_b64 exec, exec, s[2:3]
	v_mov_b32_dpp v6, v1 quad_perm:[2,3,0,1] row_mask:0xf bank_mask:0xf bound_ctrl:1
	v_and_b32_e32 v7, 1, v6
	v_mov_b32_dpp v4, v2 quad_perm:[2,3,0,1] row_mask:0xf bank_mask:0xf bound_ctrl:1
	v_mov_b32_dpp v5, v3 quad_perm:[2,3,0,1] row_mask:0xf bank_mask:0xf bound_ctrl:1
	v_cmp_eq_u32_e32 vcc, 1, v7
	s_and_saveexec_b64 s[2:3], vcc
; %bb.6:
	v_cmp_lt_i64_e32 vcc, v[2:3], v[4:5]
	v_cndmask_b32_e64 v6, v6, 1, s[0:1]
	s_and_b64 vcc, s[0:1], vcc
	v_cndmask_b32_e32 v2, v4, v2, vcc
	v_and_b32_e32 v4, 1, v6
	v_cndmask_b32_e32 v3, v5, v3, vcc
	v_cmp_eq_u32_e32 vcc, 1, v4
	s_andn2_b64 s[0:1], s[0:1], exec
	s_and_b64 s[20:21], vcc, exec
	v_and_b32_e32 v1, 0xff, v6
	s_or_b64 s[0:1], s[0:1], s[20:21]
; %bb.7:
	s_or_b64 exec, exec, s[2:3]
	v_mov_b32_dpp v6, v1 row_ror:4 row_mask:0xf bank_mask:0xf bound_ctrl:1
	v_and_b32_e32 v7, 1, v6
	v_mov_b32_dpp v4, v2 row_ror:4 row_mask:0xf bank_mask:0xf bound_ctrl:1
	v_mov_b32_dpp v5, v3 row_ror:4 row_mask:0xf bank_mask:0xf bound_ctrl:1
	v_cmp_eq_u32_e32 vcc, 1, v7
	s_and_saveexec_b64 s[2:3], vcc
; %bb.8:
	v_cmp_lt_i64_e32 vcc, v[2:3], v[4:5]
	v_cndmask_b32_e64 v6, v6, 1, s[0:1]
	s_and_b64 vcc, s[0:1], vcc
	v_cndmask_b32_e32 v2, v4, v2, vcc
	v_and_b32_e32 v4, 1, v6
	v_cndmask_b32_e32 v3, v5, v3, vcc
	v_cmp_eq_u32_e32 vcc, 1, v4
	s_andn2_b64 s[0:1], s[0:1], exec
	s_and_b64 s[20:21], vcc, exec
	v_and_b32_e32 v1, 0xff, v6
	s_or_b64 s[0:1], s[0:1], s[20:21]
; %bb.9:
	s_or_b64 exec, exec, s[2:3]
	v_mov_b32_dpp v6, v1 row_ror:8 row_mask:0xf bank_mask:0xf bound_ctrl:1
	v_and_b32_e32 v7, 1, v6
	v_mov_b32_dpp v4, v2 row_ror:8 row_mask:0xf bank_mask:0xf bound_ctrl:1
	v_mov_b32_dpp v5, v3 row_ror:8 row_mask:0xf bank_mask:0xf bound_ctrl:1
	v_cmp_eq_u32_e32 vcc, 1, v7
	s_and_saveexec_b64 s[2:3], vcc
; %bb.10:
	v_cmp_lt_i64_e32 vcc, v[2:3], v[4:5]
	v_cndmask_b32_e64 v6, v6, 1, s[0:1]
	s_and_b64 vcc, s[0:1], vcc
	v_cndmask_b32_e32 v2, v4, v2, vcc
	v_and_b32_e32 v4, 1, v6
	v_cndmask_b32_e32 v3, v5, v3, vcc
	v_cmp_eq_u32_e32 vcc, 1, v4
	s_andn2_b64 s[0:1], s[0:1], exec
	s_and_b64 s[20:21], vcc, exec
	v_and_b32_e32 v1, 0xff, v6
	s_or_b64 s[0:1], s[0:1], s[20:21]
; %bb.11:
	s_or_b64 exec, exec, s[2:3]
	v_mov_b32_dpp v6, v1 row_bcast:15 row_mask:0xf bank_mask:0xf bound_ctrl:1
	v_and_b32_e32 v7, 1, v6
	v_mov_b32_dpp v4, v2 row_bcast:15 row_mask:0xf bank_mask:0xf bound_ctrl:1
	v_mov_b32_dpp v5, v3 row_bcast:15 row_mask:0xf bank_mask:0xf bound_ctrl:1
	v_cmp_eq_u32_e32 vcc, 1, v7
	s_and_saveexec_b64 s[2:3], vcc
; %bb.12:
	v_cmp_lt_i64_e32 vcc, v[2:3], v[4:5]
	v_cndmask_b32_e64 v6, v6, 1, s[0:1]
	s_and_b64 vcc, s[0:1], vcc
	v_cndmask_b32_e32 v2, v4, v2, vcc
	v_and_b32_e32 v4, 1, v6
	v_cndmask_b32_e32 v3, v5, v3, vcc
	v_cmp_eq_u32_e32 vcc, 1, v4
	s_andn2_b64 s[0:1], s[0:1], exec
	s_and_b64 s[20:21], vcc, exec
	v_and_b32_e32 v1, 0xff, v6
	s_or_b64 s[0:1], s[0:1], s[20:21]
; %bb.13:
	s_or_b64 exec, exec, s[2:3]
	v_mov_b32_dpp v6, v1 row_bcast:31 row_mask:0xf bank_mask:0xf bound_ctrl:1
	v_and_b32_e32 v7, 1, v6
	v_mov_b32_dpp v4, v2 row_bcast:31 row_mask:0xf bank_mask:0xf bound_ctrl:1
	v_mov_b32_dpp v5, v3 row_bcast:31 row_mask:0xf bank_mask:0xf bound_ctrl:1
	v_cmp_eq_u32_e32 vcc, 1, v7
	s_and_saveexec_b64 s[2:3], vcc
; %bb.14:
	v_cmp_lt_i64_e32 vcc, v[2:3], v[4:5]
	v_and_b32_e32 v1, 0xff, v6
	s_and_b64 vcc, s[0:1], vcc
	v_cndmask_b32_e32 v2, v4, v2, vcc
	v_cndmask_b32_e32 v3, v5, v3, vcc
	v_cndmask_b32_e64 v1, v1, 1, s[0:1]
; %bb.15:
	s_or_b64 exec, exec, s[2:3]
	v_mbcnt_lo_u32_b32 v4, -1, 0
	v_mbcnt_hi_u32_b32 v4, -1, v4
	v_bfrev_b32_e32 v5, 0.5
	v_lshl_or_b32 v5, v4, 2, v5
	ds_bpermute_b32 v6, v5, v1
	ds_bpermute_b32 v2, v5, v2
	;; [unrolled: 1-line block ×3, first 2 shown]
	v_cmp_eq_u32_e32 vcc, 0, v4
	s_and_saveexec_b64 s[0:1], vcc
	s_cbranch_execz .LBB38_17
; %bb.16:
	v_lshrrev_b32_e32 v1, 2, v0
	v_and_b32_e32 v1, 48, v1
	s_waitcnt lgkmcnt(2)
	ds_write_b8 v1, v6
	s_waitcnt lgkmcnt(1)
	ds_write_b64 v1, v[2:3] offset:8
.LBB38_17:
	s_or_b64 exec, exec, s[0:1]
	v_cmp_gt_u32_e32 vcc, 64, v0
	s_waitcnt lgkmcnt(0)
	s_barrier
	s_and_saveexec_b64 s[2:3], vcc
	s_cbranch_execz .LBB38_19
; %bb.18:
	v_and_b32_e32 v1, 3, v4
	v_lshlrev_b32_e32 v2, 4, v1
	ds_read_u8 v5, v2
	ds_read_b64 v[2:3], v2 offset:8
	v_cmp_ne_u32_e32 vcc, 3, v1
	v_addc_co_u32_e32 v6, vcc, 0, v4, vcc
	s_waitcnt lgkmcnt(1)
	v_and_b32_e32 v7, 0xff, v5
	v_lshlrev_b32_e32 v8, 2, v6
	ds_bpermute_b32 v9, v8, v7
	s_waitcnt lgkmcnt(1)
	ds_bpermute_b32 v6, v8, v2
	ds_bpermute_b32 v7, v8, v3
	v_and_b32_e32 v8, 1, v5
	s_waitcnt lgkmcnt(2)
	v_and_b32_e32 v10, 1, v9
	v_cmp_eq_u32_e64 s[0:1], 1, v10
	s_waitcnt lgkmcnt(0)
	v_cmp_lt_i64_e32 vcc, v[6:7], v[2:3]
	s_and_b64 vcc, s[0:1], vcc
	v_cndmask_b32_e64 v5, v5, 1, s[0:1]
	v_cndmask_b32_e32 v2, v2, v6, vcc
	v_cndmask_b32_e32 v3, v3, v7, vcc
	v_cmp_eq_u32_e32 vcc, 1, v8
	v_cndmask_b32_e32 v8, v9, v5, vcc
	v_cndmask_b32_e32 v3, v7, v3, vcc
	;; [unrolled: 1-line block ×3, first 2 shown]
	v_cmp_gt_u32_e32 vcc, 2, v1
	v_cndmask_b32_e64 v1, 0, 1, vcc
	v_lshlrev_b32_e32 v1, 1, v1
	v_and_b32_e32 v5, 0xff, v8
	v_add_lshl_u32 v1, v1, v4, 2
	ds_bpermute_b32 v6, v1, v5
	ds_bpermute_b32 v4, v1, v2
	;; [unrolled: 1-line block ×3, first 2 shown]
	v_and_b32_e32 v1, 1, v8
	s_waitcnt lgkmcnt(2)
	v_and_b32_e32 v7, 1, v6
	v_cmp_eq_u32_e64 s[0:1], 1, v7
	s_waitcnt lgkmcnt(0)
	v_cmp_lt_i64_e32 vcc, v[4:5], v[2:3]
	s_and_b64 vcc, s[0:1], vcc
	v_cndmask_b32_e64 v7, v8, 1, s[0:1]
	v_cndmask_b32_e32 v2, v2, v4, vcc
	v_cndmask_b32_e32 v3, v3, v5, vcc
	v_cmp_eq_u32_e32 vcc, 1, v1
	v_cndmask_b32_e32 v1, v6, v7, vcc
	v_cndmask_b32_e32 v3, v5, v3, vcc
	v_cndmask_b32_e32 v2, v4, v2, vcc
	v_and_b32_e32 v6, 0xff, v1
.LBB38_19:
	s_or_b64 exec, exec, s[2:3]
	s_load_dword s11, s[4:5], 0x30
	s_load_dwordx2 s[2:3], s[4:5], 0x38
	s_branch .LBB38_48
.LBB38_20:
                                        ; implicit-def: $vgpr2_vgpr3
                                        ; implicit-def: $vgpr6
	s_load_dword s11, s[4:5], 0x30
	s_load_dwordx2 s[2:3], s[4:5], 0x38
	s_cbranch_execz .LBB38_48
; %bb.21:
	s_sub_i32 s10, s12, s10
	v_pk_mov_b32 v[4:5], 0, 0
	v_cmp_gt_u32_e32 vcc, s10, v0
	v_mov_b32_e32 v1, 0
	v_pk_mov_b32 v[2:3], v[4:5], v[4:5] op_sel:[0,1]
	v_mov_b32_e32 v7, 0
	s_and_saveexec_b64 s[0:1], vcc
	s_cbranch_execz .LBB38_23
; %bb.22:
	v_lshlrev_b32_e32 v6, 4, v0
	global_load_ubyte v7, v6, s[8:9]
	global_load_dwordx2 v[2:3], v6, s[8:9] offset:8
.LBB38_23:
	s_or_b64 exec, exec, s[0:1]
	v_or_b32_e32 v6, 0x100, v0
	v_cmp_gt_u32_e32 vcc, s10, v6
	s_and_saveexec_b64 s[0:1], vcc
	s_cbranch_execz .LBB38_25
; %bb.24:
	v_lshlrev_b32_e32 v6, 4, v6
	global_load_ubyte v1, v6, s[8:9]
	global_load_dwordx2 v[4:5], v6, s[8:9] offset:8
.LBB38_25:
	s_or_b64 exec, exec, s[0:1]
	s_and_saveexec_b64 s[4:5], vcc
	s_cbranch_execz .LBB38_27
; %bb.26:
	s_waitcnt vmcnt(1)
	v_and_b32_e32 v8, 1, v1
	s_waitcnt vmcnt(0)
	v_cmp_lt_i64_e32 vcc, v[4:5], v[2:3]
	v_cmp_eq_u32_e64 s[0:1], 1, v8
	v_and_b32_e32 v6, 1, v7
	s_and_b64 vcc, s[0:1], vcc
	v_cndmask_b32_e64 v7, v7, 1, s[0:1]
	v_cndmask_b32_e32 v2, v2, v4, vcc
	v_cndmask_b32_e32 v3, v3, v5, vcc
	v_cmp_eq_u32_e32 vcc, 1, v6
	v_cndmask_b32_e32 v7, v1, v7, vcc
	v_cndmask_b32_e32 v3, v5, v3, vcc
	v_cndmask_b32_e32 v2, v4, v2, vcc
.LBB38_27:
	s_or_b64 exec, exec, s[4:5]
	s_waitcnt vmcnt(1)
	v_mbcnt_lo_u32_b32 v1, -1, 0
	v_mbcnt_hi_u32_b32 v1, -1, v1
	v_and_b32_e32 v8, 63, v1
	v_cmp_ne_u32_e32 vcc, 63, v8
	s_waitcnt vmcnt(0)
	v_addc_co_u32_e32 v4, vcc, 0, v1, vcc
	v_and_b32_e32 v6, 0xff, v7
	v_lshlrev_b32_e32 v5, 2, v4
	ds_bpermute_b32 v10, v5, v6
	ds_bpermute_b32 v4, v5, v2
	;; [unrolled: 1-line block ×3, first 2 shown]
	s_min_u32 s8, s10, 0x100
	v_and_b32_e32 v9, 0xc0, v0
	v_sub_u32_e64 v9, s8, v9 clamp
	v_add_u32_e32 v11, 1, v8
	v_cmp_lt_u32_e32 vcc, v11, v9
	s_and_saveexec_b64 s[4:5], vcc
	s_cbranch_execz .LBB38_29
; %bb.28:
	s_waitcnt lgkmcnt(0)
	v_and_b32_e32 v11, 1, v10
	v_cmp_lt_i64_e32 vcc, v[4:5], v[2:3]
	v_cmp_eq_u32_e64 s[0:1], 1, v11
	v_and_b32_e32 v6, 1, v7
	s_and_b64 vcc, s[0:1], vcc
	v_cndmask_b32_e64 v7, v7, 1, s[0:1]
	v_cndmask_b32_e32 v2, v2, v4, vcc
	v_cndmask_b32_e32 v3, v3, v5, vcc
	v_cmp_eq_u32_e32 vcc, 1, v6
	v_cndmask_b32_e32 v7, v10, v7, vcc
	v_cndmask_b32_e32 v3, v5, v3, vcc
	;; [unrolled: 1-line block ×3, first 2 shown]
	v_and_b32_e32 v6, 0xff, v7
.LBB38_29:
	s_or_b64 exec, exec, s[4:5]
	v_cmp_gt_u32_e32 vcc, 62, v8
	s_waitcnt lgkmcnt(0)
	v_cndmask_b32_e64 v4, 0, 1, vcc
	v_lshlrev_b32_e32 v4, 1, v4
	v_add_lshl_u32 v5, v4, v1, 2
	ds_bpermute_b32 v10, v5, v6
	ds_bpermute_b32 v4, v5, v2
	ds_bpermute_b32 v5, v5, v3
	v_add_u32_e32 v11, 2, v8
	v_cmp_lt_u32_e32 vcc, v11, v9
	s_and_saveexec_b64 s[4:5], vcc
	s_cbranch_execz .LBB38_31
; %bb.30:
	s_waitcnt lgkmcnt(2)
	v_and_b32_e32 v11, 1, v10
	s_waitcnt lgkmcnt(0)
	v_cmp_lt_i64_e32 vcc, v[4:5], v[2:3]
	v_cmp_eq_u32_e64 s[0:1], 1, v11
	v_and_b32_e32 v6, 1, v7
	s_and_b64 vcc, s[0:1], vcc
	v_cndmask_b32_e64 v7, v7, 1, s[0:1]
	v_cndmask_b32_e32 v2, v2, v4, vcc
	v_cndmask_b32_e32 v3, v3, v5, vcc
	v_cmp_eq_u32_e32 vcc, 1, v6
	v_cndmask_b32_e32 v7, v10, v7, vcc
	v_cndmask_b32_e32 v3, v5, v3, vcc
	v_cndmask_b32_e32 v2, v4, v2, vcc
	v_and_b32_e32 v6, 0xff, v7
.LBB38_31:
	s_or_b64 exec, exec, s[4:5]
	v_cmp_gt_u32_e32 vcc, 60, v8
	s_waitcnt lgkmcnt(1)
	v_cndmask_b32_e64 v4, 0, 1, vcc
	v_lshlrev_b32_e32 v4, 2, v4
	s_waitcnt lgkmcnt(0)
	v_add_lshl_u32 v5, v4, v1, 2
	ds_bpermute_b32 v10, v5, v6
	ds_bpermute_b32 v4, v5, v2
	ds_bpermute_b32 v5, v5, v3
	v_add_u32_e32 v11, 4, v8
	v_cmp_lt_u32_e32 vcc, v11, v9
	s_and_saveexec_b64 s[4:5], vcc
	s_cbranch_execz .LBB38_33
; %bb.32:
	s_waitcnt lgkmcnt(2)
	v_and_b32_e32 v11, 1, v10
	s_waitcnt lgkmcnt(0)
	v_cmp_lt_i64_e32 vcc, v[4:5], v[2:3]
	v_cmp_eq_u32_e64 s[0:1], 1, v11
	v_and_b32_e32 v6, 1, v7
	s_and_b64 vcc, s[0:1], vcc
	v_cndmask_b32_e64 v7, v7, 1, s[0:1]
	v_cndmask_b32_e32 v2, v2, v4, vcc
	v_cndmask_b32_e32 v3, v3, v5, vcc
	v_cmp_eq_u32_e32 vcc, 1, v6
	v_cndmask_b32_e32 v7, v10, v7, vcc
	v_cndmask_b32_e32 v3, v5, v3, vcc
	v_cndmask_b32_e32 v2, v4, v2, vcc
	v_and_b32_e32 v6, 0xff, v7
.LBB38_33:
	s_or_b64 exec, exec, s[4:5]
	v_cmp_gt_u32_e32 vcc, 56, v8
	s_waitcnt lgkmcnt(1)
	v_cndmask_b32_e64 v4, 0, 1, vcc
	v_lshlrev_b32_e32 v4, 3, v4
	s_waitcnt lgkmcnt(0)
	;; [unrolled: 31-line block ×4, first 2 shown]
	v_add_lshl_u32 v5, v4, v1, 2
	ds_bpermute_b32 v10, v5, v6
	ds_bpermute_b32 v4, v5, v2
	;; [unrolled: 1-line block ×3, first 2 shown]
	v_add_u32_e32 v8, 32, v8
	v_cmp_lt_u32_e32 vcc, v8, v9
	s_and_saveexec_b64 s[4:5], vcc
	s_cbranch_execz .LBB38_39
; %bb.38:
	s_waitcnt lgkmcnt(2)
	v_and_b32_e32 v8, 1, v10
	s_waitcnt lgkmcnt(0)
	v_cmp_lt_i64_e32 vcc, v[4:5], v[2:3]
	v_cmp_eq_u32_e64 s[0:1], 1, v8
	v_and_b32_e32 v6, 1, v7
	s_and_b64 vcc, s[0:1], vcc
	v_cndmask_b32_e64 v7, v7, 1, s[0:1]
	v_cndmask_b32_e32 v2, v2, v4, vcc
	v_cndmask_b32_e32 v3, v3, v5, vcc
	v_cmp_eq_u32_e32 vcc, 1, v6
	v_cndmask_b32_e32 v7, v10, v7, vcc
	v_cndmask_b32_e32 v3, v5, v3, vcc
	;; [unrolled: 1-line block ×3, first 2 shown]
	v_and_b32_e32 v6, 0xff, v7
.LBB38_39:
	s_or_b64 exec, exec, s[4:5]
	v_cmp_eq_u32_e32 vcc, 0, v1
	s_and_saveexec_b64 s[0:1], vcc
	s_cbranch_execz .LBB38_41
; %bb.40:
	s_waitcnt lgkmcnt(1)
	v_lshrrev_b32_e32 v4, 2, v0
	v_and_b32_e32 v4, 48, v4
	ds_write_b8 v4, v7 offset:64
	ds_write_b64 v4, v[2:3] offset:72
.LBB38_41:
	s_or_b64 exec, exec, s[0:1]
	v_cmp_gt_u32_e32 vcc, 4, v0
	s_waitcnt lgkmcnt(0)
	s_barrier
	s_and_saveexec_b64 s[4:5], vcc
	s_cbranch_execz .LBB38_47
; %bb.42:
	v_lshlrev_b32_e32 v2, 4, v1
	ds_read_u8 v7, v2 offset:64
	ds_read_b64 v[2:3], v2 offset:72
	v_and_b32_e32 v8, 3, v1
	v_cmp_ne_u32_e32 vcc, 3, v8
	v_addc_co_u32_e32 v4, vcc, 0, v1, vcc
	s_waitcnt lgkmcnt(1)
	v_and_b32_e32 v6, 0xff, v7
	v_lshlrev_b32_e32 v5, 2, v4
	ds_bpermute_b32 v9, v5, v6
	s_waitcnt lgkmcnt(1)
	ds_bpermute_b32 v4, v5, v2
	ds_bpermute_b32 v5, v5, v3
	s_add_i32 s8, s8, 63
	s_lshr_b32 s10, s8, 6
	v_add_u32_e32 v10, 1, v8
	v_cmp_gt_u32_e32 vcc, s10, v10
	s_and_saveexec_b64 s[8:9], vcc
	s_cbranch_execz .LBB38_44
; %bb.43:
	s_waitcnt lgkmcnt(2)
	v_and_b32_e32 v10, 1, v9
	s_waitcnt lgkmcnt(0)
	v_cmp_lt_i64_e32 vcc, v[4:5], v[2:3]
	v_cmp_eq_u32_e64 s[0:1], 1, v10
	v_and_b32_e32 v6, 1, v7
	s_and_b64 vcc, s[0:1], vcc
	v_cndmask_b32_e64 v7, v7, 1, s[0:1]
	v_cndmask_b32_e32 v2, v2, v4, vcc
	v_cndmask_b32_e32 v3, v3, v5, vcc
	v_cmp_eq_u32_e32 vcc, 1, v6
	v_cndmask_b32_e32 v7, v9, v7, vcc
	v_cndmask_b32_e32 v3, v5, v3, vcc
	v_cndmask_b32_e32 v2, v4, v2, vcc
	v_and_b32_e32 v6, 0xff, v7
.LBB38_44:
	s_or_b64 exec, exec, s[8:9]
	v_cmp_gt_u32_e32 vcc, 2, v8
	s_waitcnt lgkmcnt(1)
	v_cndmask_b32_e64 v4, 0, 1, vcc
	v_lshlrev_b32_e32 v4, 1, v4
	s_waitcnt lgkmcnt(0)
	v_add_lshl_u32 v5, v4, v1, 2
	ds_bpermute_b32 v1, v5, v6
	ds_bpermute_b32 v4, v5, v2
	ds_bpermute_b32 v5, v5, v3
	v_add_u32_e32 v8, 2, v8
	v_cmp_gt_u32_e32 vcc, s10, v8
	s_and_saveexec_b64 s[8:9], vcc
	s_cbranch_execz .LBB38_46
; %bb.45:
	s_waitcnt lgkmcnt(2)
	v_and_b32_e32 v8, 1, v1
	s_waitcnt lgkmcnt(0)
	v_cmp_lt_i64_e32 vcc, v[4:5], v[2:3]
	v_cmp_eq_u32_e64 s[0:1], 1, v8
	v_and_b32_e32 v6, 1, v7
	s_and_b64 vcc, s[0:1], vcc
	v_cndmask_b32_e64 v7, v7, 1, s[0:1]
	v_cndmask_b32_e32 v2, v2, v4, vcc
	v_cndmask_b32_e32 v3, v3, v5, vcc
	v_cmp_eq_u32_e32 vcc, 1, v6
	v_cndmask_b32_e32 v1, v1, v7, vcc
	v_cndmask_b32_e32 v3, v5, v3, vcc
	;; [unrolled: 1-line block ×3, first 2 shown]
	v_and_b32_e32 v6, 0xff, v1
.LBB38_46:
	s_or_b64 exec, exec, s[8:9]
.LBB38_47:
	s_or_b64 exec, exec, s[4:5]
.LBB38_48:
	v_cmp_eq_u32_e32 vcc, 0, v0
	s_and_saveexec_b64 s[0:1], vcc
	s_cbranch_execnz .LBB38_50
; %bb.49:
	s_endpgm
.LBB38_50:
	s_mul_i32 s0, s18, s17
	s_mul_hi_u32 s1, s18, s16
	s_add_i32 s0, s1, s0
	s_mul_i32 s1, s19, s16
	s_add_i32 s1, s0, s1
	s_mul_i32 s0, s18, s16
	s_lshl_b64 s[0:1], s[0:1], 4
	s_add_u32 s4, s14, s0
	s_addc_u32 s5, s15, s1
	s_cmp_eq_u64 s[12:13], 0
	s_waitcnt lgkmcnt(0)
	v_mov_b32_e32 v0, s3
	s_cselect_b64 vcc, -1, 0
	v_cndmask_b32_e32 v1, v3, v0, vcc
	v_mov_b32_e32 v0, s2
	s_lshl_b64 s[0:1], s[6:7], 4
	v_cndmask_b32_e32 v0, v2, v0, vcc
	v_mov_b32_e32 v2, s11
	s_add_u32 s0, s4, s0
	v_cndmask_b32_e32 v2, v6, v2, vcc
	s_addc_u32 s1, s5, s1
	v_mov_b32_e32 v3, 0
	global_store_byte v3, v2, s[0:1]
	global_store_dwordx2 v3, v[0:1], s[0:1] offset:8
	s_endpgm
	.section	.rodata,"a",@progbits
	.p2align	6, 0x0
	.amdhsa_kernel _ZN7rocprim17ROCPRIM_400000_NS6detail17trampoline_kernelINS0_14default_configENS1_22reduce_config_selectorIN6thrust23THRUST_200600_302600_NS5tupleIblNS6_9null_typeES8_S8_S8_S8_S8_S8_S8_EEEEZNS1_11reduce_implILb1ES3_PS9_SC_S9_NS6_11hip_rocprim9__find_if7functorIS9_EEEE10hipError_tPvRmT1_T2_T3_mT4_P12ihipStream_tbEUlT_E0_NS1_11comp_targetILNS1_3genE4ELNS1_11target_archE910ELNS1_3gpuE8ELNS1_3repE0EEENS1_30default_config_static_selectorELNS0_4arch9wavefront6targetE1EEEvSK_
		.amdhsa_group_segment_fixed_size 128
		.amdhsa_private_segment_fixed_size 0
		.amdhsa_kernarg_size 72
		.amdhsa_user_sgpr_count 6
		.amdhsa_user_sgpr_private_segment_buffer 1
		.amdhsa_user_sgpr_dispatch_ptr 0
		.amdhsa_user_sgpr_queue_ptr 0
		.amdhsa_user_sgpr_kernarg_segment_ptr 1
		.amdhsa_user_sgpr_dispatch_id 0
		.amdhsa_user_sgpr_flat_scratch_init 0
		.amdhsa_user_sgpr_kernarg_preload_length 0
		.amdhsa_user_sgpr_kernarg_preload_offset 0
		.amdhsa_user_sgpr_private_segment_size 0
		.amdhsa_uses_dynamic_stack 0
		.amdhsa_system_sgpr_private_segment_wavefront_offset 0
		.amdhsa_system_sgpr_workgroup_id_x 1
		.amdhsa_system_sgpr_workgroup_id_y 0
		.amdhsa_system_sgpr_workgroup_id_z 0
		.amdhsa_system_sgpr_workgroup_info 0
		.amdhsa_system_vgpr_workitem_id 0
		.amdhsa_next_free_vgpr 12
		.amdhsa_next_free_sgpr 22
		.amdhsa_accum_offset 12
		.amdhsa_reserve_vcc 1
		.amdhsa_reserve_flat_scratch 0
		.amdhsa_float_round_mode_32 0
		.amdhsa_float_round_mode_16_64 0
		.amdhsa_float_denorm_mode_32 3
		.amdhsa_float_denorm_mode_16_64 3
		.amdhsa_dx10_clamp 1
		.amdhsa_ieee_mode 1
		.amdhsa_fp16_overflow 0
		.amdhsa_tg_split 0
		.amdhsa_exception_fp_ieee_invalid_op 0
		.amdhsa_exception_fp_denorm_src 0
		.amdhsa_exception_fp_ieee_div_zero 0
		.amdhsa_exception_fp_ieee_overflow 0
		.amdhsa_exception_fp_ieee_underflow 0
		.amdhsa_exception_fp_ieee_inexact 0
		.amdhsa_exception_int_div_zero 0
	.end_amdhsa_kernel
	.section	.text._ZN7rocprim17ROCPRIM_400000_NS6detail17trampoline_kernelINS0_14default_configENS1_22reduce_config_selectorIN6thrust23THRUST_200600_302600_NS5tupleIblNS6_9null_typeES8_S8_S8_S8_S8_S8_S8_EEEEZNS1_11reduce_implILb1ES3_PS9_SC_S9_NS6_11hip_rocprim9__find_if7functorIS9_EEEE10hipError_tPvRmT1_T2_T3_mT4_P12ihipStream_tbEUlT_E0_NS1_11comp_targetILNS1_3genE4ELNS1_11target_archE910ELNS1_3gpuE8ELNS1_3repE0EEENS1_30default_config_static_selectorELNS0_4arch9wavefront6targetE1EEEvSK_,"axG",@progbits,_ZN7rocprim17ROCPRIM_400000_NS6detail17trampoline_kernelINS0_14default_configENS1_22reduce_config_selectorIN6thrust23THRUST_200600_302600_NS5tupleIblNS6_9null_typeES8_S8_S8_S8_S8_S8_S8_EEEEZNS1_11reduce_implILb1ES3_PS9_SC_S9_NS6_11hip_rocprim9__find_if7functorIS9_EEEE10hipError_tPvRmT1_T2_T3_mT4_P12ihipStream_tbEUlT_E0_NS1_11comp_targetILNS1_3genE4ELNS1_11target_archE910ELNS1_3gpuE8ELNS1_3repE0EEENS1_30default_config_static_selectorELNS0_4arch9wavefront6targetE1EEEvSK_,comdat
.Lfunc_end38:
	.size	_ZN7rocprim17ROCPRIM_400000_NS6detail17trampoline_kernelINS0_14default_configENS1_22reduce_config_selectorIN6thrust23THRUST_200600_302600_NS5tupleIblNS6_9null_typeES8_S8_S8_S8_S8_S8_S8_EEEEZNS1_11reduce_implILb1ES3_PS9_SC_S9_NS6_11hip_rocprim9__find_if7functorIS9_EEEE10hipError_tPvRmT1_T2_T3_mT4_P12ihipStream_tbEUlT_E0_NS1_11comp_targetILNS1_3genE4ELNS1_11target_archE910ELNS1_3gpuE8ELNS1_3repE0EEENS1_30default_config_static_selectorELNS0_4arch9wavefront6targetE1EEEvSK_, .Lfunc_end38-_ZN7rocprim17ROCPRIM_400000_NS6detail17trampoline_kernelINS0_14default_configENS1_22reduce_config_selectorIN6thrust23THRUST_200600_302600_NS5tupleIblNS6_9null_typeES8_S8_S8_S8_S8_S8_S8_EEEEZNS1_11reduce_implILb1ES3_PS9_SC_S9_NS6_11hip_rocprim9__find_if7functorIS9_EEEE10hipError_tPvRmT1_T2_T3_mT4_P12ihipStream_tbEUlT_E0_NS1_11comp_targetILNS1_3genE4ELNS1_11target_archE910ELNS1_3gpuE8ELNS1_3repE0EEENS1_30default_config_static_selectorELNS0_4arch9wavefront6targetE1EEEvSK_
                                        ; -- End function
	.section	.AMDGPU.csdata,"",@progbits
; Kernel info:
; codeLenInByte = 2816
; NumSgprs: 26
; NumVgprs: 12
; NumAgprs: 0
; TotalNumVgprs: 12
; ScratchSize: 0
; MemoryBound: 0
; FloatMode: 240
; IeeeMode: 1
; LDSByteSize: 128 bytes/workgroup (compile time only)
; SGPRBlocks: 3
; VGPRBlocks: 1
; NumSGPRsForWavesPerEU: 26
; NumVGPRsForWavesPerEU: 12
; AccumOffset: 12
; Occupancy: 8
; WaveLimiterHint : 1
; COMPUTE_PGM_RSRC2:SCRATCH_EN: 0
; COMPUTE_PGM_RSRC2:USER_SGPR: 6
; COMPUTE_PGM_RSRC2:TRAP_HANDLER: 0
; COMPUTE_PGM_RSRC2:TGID_X_EN: 1
; COMPUTE_PGM_RSRC2:TGID_Y_EN: 0
; COMPUTE_PGM_RSRC2:TGID_Z_EN: 0
; COMPUTE_PGM_RSRC2:TIDIG_COMP_CNT: 0
; COMPUTE_PGM_RSRC3_GFX90A:ACCUM_OFFSET: 2
; COMPUTE_PGM_RSRC3_GFX90A:TG_SPLIT: 0
	.section	.text._ZN7rocprim17ROCPRIM_400000_NS6detail17trampoline_kernelINS0_14default_configENS1_22reduce_config_selectorIN6thrust23THRUST_200600_302600_NS5tupleIblNS6_9null_typeES8_S8_S8_S8_S8_S8_S8_EEEEZNS1_11reduce_implILb1ES3_PS9_SC_S9_NS6_11hip_rocprim9__find_if7functorIS9_EEEE10hipError_tPvRmT1_T2_T3_mT4_P12ihipStream_tbEUlT_E0_NS1_11comp_targetILNS1_3genE3ELNS1_11target_archE908ELNS1_3gpuE7ELNS1_3repE0EEENS1_30default_config_static_selectorELNS0_4arch9wavefront6targetE1EEEvSK_,"axG",@progbits,_ZN7rocprim17ROCPRIM_400000_NS6detail17trampoline_kernelINS0_14default_configENS1_22reduce_config_selectorIN6thrust23THRUST_200600_302600_NS5tupleIblNS6_9null_typeES8_S8_S8_S8_S8_S8_S8_EEEEZNS1_11reduce_implILb1ES3_PS9_SC_S9_NS6_11hip_rocprim9__find_if7functorIS9_EEEE10hipError_tPvRmT1_T2_T3_mT4_P12ihipStream_tbEUlT_E0_NS1_11comp_targetILNS1_3genE3ELNS1_11target_archE908ELNS1_3gpuE7ELNS1_3repE0EEENS1_30default_config_static_selectorELNS0_4arch9wavefront6targetE1EEEvSK_,comdat
	.protected	_ZN7rocprim17ROCPRIM_400000_NS6detail17trampoline_kernelINS0_14default_configENS1_22reduce_config_selectorIN6thrust23THRUST_200600_302600_NS5tupleIblNS6_9null_typeES8_S8_S8_S8_S8_S8_S8_EEEEZNS1_11reduce_implILb1ES3_PS9_SC_S9_NS6_11hip_rocprim9__find_if7functorIS9_EEEE10hipError_tPvRmT1_T2_T3_mT4_P12ihipStream_tbEUlT_E0_NS1_11comp_targetILNS1_3genE3ELNS1_11target_archE908ELNS1_3gpuE7ELNS1_3repE0EEENS1_30default_config_static_selectorELNS0_4arch9wavefront6targetE1EEEvSK_ ; -- Begin function _ZN7rocprim17ROCPRIM_400000_NS6detail17trampoline_kernelINS0_14default_configENS1_22reduce_config_selectorIN6thrust23THRUST_200600_302600_NS5tupleIblNS6_9null_typeES8_S8_S8_S8_S8_S8_S8_EEEEZNS1_11reduce_implILb1ES3_PS9_SC_S9_NS6_11hip_rocprim9__find_if7functorIS9_EEEE10hipError_tPvRmT1_T2_T3_mT4_P12ihipStream_tbEUlT_E0_NS1_11comp_targetILNS1_3genE3ELNS1_11target_archE908ELNS1_3gpuE7ELNS1_3repE0EEENS1_30default_config_static_selectorELNS0_4arch9wavefront6targetE1EEEvSK_
	.globl	_ZN7rocprim17ROCPRIM_400000_NS6detail17trampoline_kernelINS0_14default_configENS1_22reduce_config_selectorIN6thrust23THRUST_200600_302600_NS5tupleIblNS6_9null_typeES8_S8_S8_S8_S8_S8_S8_EEEEZNS1_11reduce_implILb1ES3_PS9_SC_S9_NS6_11hip_rocprim9__find_if7functorIS9_EEEE10hipError_tPvRmT1_T2_T3_mT4_P12ihipStream_tbEUlT_E0_NS1_11comp_targetILNS1_3genE3ELNS1_11target_archE908ELNS1_3gpuE7ELNS1_3repE0EEENS1_30default_config_static_selectorELNS0_4arch9wavefront6targetE1EEEvSK_
	.p2align	8
	.type	_ZN7rocprim17ROCPRIM_400000_NS6detail17trampoline_kernelINS0_14default_configENS1_22reduce_config_selectorIN6thrust23THRUST_200600_302600_NS5tupleIblNS6_9null_typeES8_S8_S8_S8_S8_S8_S8_EEEEZNS1_11reduce_implILb1ES3_PS9_SC_S9_NS6_11hip_rocprim9__find_if7functorIS9_EEEE10hipError_tPvRmT1_T2_T3_mT4_P12ihipStream_tbEUlT_E0_NS1_11comp_targetILNS1_3genE3ELNS1_11target_archE908ELNS1_3gpuE7ELNS1_3repE0EEENS1_30default_config_static_selectorELNS0_4arch9wavefront6targetE1EEEvSK_,@function
_ZN7rocprim17ROCPRIM_400000_NS6detail17trampoline_kernelINS0_14default_configENS1_22reduce_config_selectorIN6thrust23THRUST_200600_302600_NS5tupleIblNS6_9null_typeES8_S8_S8_S8_S8_S8_S8_EEEEZNS1_11reduce_implILb1ES3_PS9_SC_S9_NS6_11hip_rocprim9__find_if7functorIS9_EEEE10hipError_tPvRmT1_T2_T3_mT4_P12ihipStream_tbEUlT_E0_NS1_11comp_targetILNS1_3genE3ELNS1_11target_archE908ELNS1_3gpuE7ELNS1_3repE0EEENS1_30default_config_static_selectorELNS0_4arch9wavefront6targetE1EEEvSK_: ; @_ZN7rocprim17ROCPRIM_400000_NS6detail17trampoline_kernelINS0_14default_configENS1_22reduce_config_selectorIN6thrust23THRUST_200600_302600_NS5tupleIblNS6_9null_typeES8_S8_S8_S8_S8_S8_S8_EEEEZNS1_11reduce_implILb1ES3_PS9_SC_S9_NS6_11hip_rocprim9__find_if7functorIS9_EEEE10hipError_tPvRmT1_T2_T3_mT4_P12ihipStream_tbEUlT_E0_NS1_11comp_targetILNS1_3genE3ELNS1_11target_archE908ELNS1_3gpuE7ELNS1_3repE0EEENS1_30default_config_static_selectorELNS0_4arch9wavefront6targetE1EEEvSK_
; %bb.0:
	.section	.rodata,"a",@progbits
	.p2align	6, 0x0
	.amdhsa_kernel _ZN7rocprim17ROCPRIM_400000_NS6detail17trampoline_kernelINS0_14default_configENS1_22reduce_config_selectorIN6thrust23THRUST_200600_302600_NS5tupleIblNS6_9null_typeES8_S8_S8_S8_S8_S8_S8_EEEEZNS1_11reduce_implILb1ES3_PS9_SC_S9_NS6_11hip_rocprim9__find_if7functorIS9_EEEE10hipError_tPvRmT1_T2_T3_mT4_P12ihipStream_tbEUlT_E0_NS1_11comp_targetILNS1_3genE3ELNS1_11target_archE908ELNS1_3gpuE7ELNS1_3repE0EEENS1_30default_config_static_selectorELNS0_4arch9wavefront6targetE1EEEvSK_
		.amdhsa_group_segment_fixed_size 0
		.amdhsa_private_segment_fixed_size 0
		.amdhsa_kernarg_size 72
		.amdhsa_user_sgpr_count 6
		.amdhsa_user_sgpr_private_segment_buffer 1
		.amdhsa_user_sgpr_dispatch_ptr 0
		.amdhsa_user_sgpr_queue_ptr 0
		.amdhsa_user_sgpr_kernarg_segment_ptr 1
		.amdhsa_user_sgpr_dispatch_id 0
		.amdhsa_user_sgpr_flat_scratch_init 0
		.amdhsa_user_sgpr_kernarg_preload_length 0
		.amdhsa_user_sgpr_kernarg_preload_offset 0
		.amdhsa_user_sgpr_private_segment_size 0
		.amdhsa_uses_dynamic_stack 0
		.amdhsa_system_sgpr_private_segment_wavefront_offset 0
		.amdhsa_system_sgpr_workgroup_id_x 1
		.amdhsa_system_sgpr_workgroup_id_y 0
		.amdhsa_system_sgpr_workgroup_id_z 0
		.amdhsa_system_sgpr_workgroup_info 0
		.amdhsa_system_vgpr_workitem_id 0
		.amdhsa_next_free_vgpr 1
		.amdhsa_next_free_sgpr 0
		.amdhsa_accum_offset 4
		.amdhsa_reserve_vcc 0
		.amdhsa_reserve_flat_scratch 0
		.amdhsa_float_round_mode_32 0
		.amdhsa_float_round_mode_16_64 0
		.amdhsa_float_denorm_mode_32 3
		.amdhsa_float_denorm_mode_16_64 3
		.amdhsa_dx10_clamp 1
		.amdhsa_ieee_mode 1
		.amdhsa_fp16_overflow 0
		.amdhsa_tg_split 0
		.amdhsa_exception_fp_ieee_invalid_op 0
		.amdhsa_exception_fp_denorm_src 0
		.amdhsa_exception_fp_ieee_div_zero 0
		.amdhsa_exception_fp_ieee_overflow 0
		.amdhsa_exception_fp_ieee_underflow 0
		.amdhsa_exception_fp_ieee_inexact 0
		.amdhsa_exception_int_div_zero 0
	.end_amdhsa_kernel
	.section	.text._ZN7rocprim17ROCPRIM_400000_NS6detail17trampoline_kernelINS0_14default_configENS1_22reduce_config_selectorIN6thrust23THRUST_200600_302600_NS5tupleIblNS6_9null_typeES8_S8_S8_S8_S8_S8_S8_EEEEZNS1_11reduce_implILb1ES3_PS9_SC_S9_NS6_11hip_rocprim9__find_if7functorIS9_EEEE10hipError_tPvRmT1_T2_T3_mT4_P12ihipStream_tbEUlT_E0_NS1_11comp_targetILNS1_3genE3ELNS1_11target_archE908ELNS1_3gpuE7ELNS1_3repE0EEENS1_30default_config_static_selectorELNS0_4arch9wavefront6targetE1EEEvSK_,"axG",@progbits,_ZN7rocprim17ROCPRIM_400000_NS6detail17trampoline_kernelINS0_14default_configENS1_22reduce_config_selectorIN6thrust23THRUST_200600_302600_NS5tupleIblNS6_9null_typeES8_S8_S8_S8_S8_S8_S8_EEEEZNS1_11reduce_implILb1ES3_PS9_SC_S9_NS6_11hip_rocprim9__find_if7functorIS9_EEEE10hipError_tPvRmT1_T2_T3_mT4_P12ihipStream_tbEUlT_E0_NS1_11comp_targetILNS1_3genE3ELNS1_11target_archE908ELNS1_3gpuE7ELNS1_3repE0EEENS1_30default_config_static_selectorELNS0_4arch9wavefront6targetE1EEEvSK_,comdat
.Lfunc_end39:
	.size	_ZN7rocprim17ROCPRIM_400000_NS6detail17trampoline_kernelINS0_14default_configENS1_22reduce_config_selectorIN6thrust23THRUST_200600_302600_NS5tupleIblNS6_9null_typeES8_S8_S8_S8_S8_S8_S8_EEEEZNS1_11reduce_implILb1ES3_PS9_SC_S9_NS6_11hip_rocprim9__find_if7functorIS9_EEEE10hipError_tPvRmT1_T2_T3_mT4_P12ihipStream_tbEUlT_E0_NS1_11comp_targetILNS1_3genE3ELNS1_11target_archE908ELNS1_3gpuE7ELNS1_3repE0EEENS1_30default_config_static_selectorELNS0_4arch9wavefront6targetE1EEEvSK_, .Lfunc_end39-_ZN7rocprim17ROCPRIM_400000_NS6detail17trampoline_kernelINS0_14default_configENS1_22reduce_config_selectorIN6thrust23THRUST_200600_302600_NS5tupleIblNS6_9null_typeES8_S8_S8_S8_S8_S8_S8_EEEEZNS1_11reduce_implILb1ES3_PS9_SC_S9_NS6_11hip_rocprim9__find_if7functorIS9_EEEE10hipError_tPvRmT1_T2_T3_mT4_P12ihipStream_tbEUlT_E0_NS1_11comp_targetILNS1_3genE3ELNS1_11target_archE908ELNS1_3gpuE7ELNS1_3repE0EEENS1_30default_config_static_selectorELNS0_4arch9wavefront6targetE1EEEvSK_
                                        ; -- End function
	.section	.AMDGPU.csdata,"",@progbits
; Kernel info:
; codeLenInByte = 0
; NumSgprs: 4
; NumVgprs: 0
; NumAgprs: 0
; TotalNumVgprs: 0
; ScratchSize: 0
; MemoryBound: 0
; FloatMode: 240
; IeeeMode: 1
; LDSByteSize: 0 bytes/workgroup (compile time only)
; SGPRBlocks: 0
; VGPRBlocks: 0
; NumSGPRsForWavesPerEU: 4
; NumVGPRsForWavesPerEU: 1
; AccumOffset: 4
; Occupancy: 8
; WaveLimiterHint : 0
; COMPUTE_PGM_RSRC2:SCRATCH_EN: 0
; COMPUTE_PGM_RSRC2:USER_SGPR: 6
; COMPUTE_PGM_RSRC2:TRAP_HANDLER: 0
; COMPUTE_PGM_RSRC2:TGID_X_EN: 1
; COMPUTE_PGM_RSRC2:TGID_Y_EN: 0
; COMPUTE_PGM_RSRC2:TGID_Z_EN: 0
; COMPUTE_PGM_RSRC2:TIDIG_COMP_CNT: 0
; COMPUTE_PGM_RSRC3_GFX90A:ACCUM_OFFSET: 0
; COMPUTE_PGM_RSRC3_GFX90A:TG_SPLIT: 0
	.section	.text._ZN7rocprim17ROCPRIM_400000_NS6detail17trampoline_kernelINS0_14default_configENS1_22reduce_config_selectorIN6thrust23THRUST_200600_302600_NS5tupleIblNS6_9null_typeES8_S8_S8_S8_S8_S8_S8_EEEEZNS1_11reduce_implILb1ES3_PS9_SC_S9_NS6_11hip_rocprim9__find_if7functorIS9_EEEE10hipError_tPvRmT1_T2_T3_mT4_P12ihipStream_tbEUlT_E0_NS1_11comp_targetILNS1_3genE2ELNS1_11target_archE906ELNS1_3gpuE6ELNS1_3repE0EEENS1_30default_config_static_selectorELNS0_4arch9wavefront6targetE1EEEvSK_,"axG",@progbits,_ZN7rocprim17ROCPRIM_400000_NS6detail17trampoline_kernelINS0_14default_configENS1_22reduce_config_selectorIN6thrust23THRUST_200600_302600_NS5tupleIblNS6_9null_typeES8_S8_S8_S8_S8_S8_S8_EEEEZNS1_11reduce_implILb1ES3_PS9_SC_S9_NS6_11hip_rocprim9__find_if7functorIS9_EEEE10hipError_tPvRmT1_T2_T3_mT4_P12ihipStream_tbEUlT_E0_NS1_11comp_targetILNS1_3genE2ELNS1_11target_archE906ELNS1_3gpuE6ELNS1_3repE0EEENS1_30default_config_static_selectorELNS0_4arch9wavefront6targetE1EEEvSK_,comdat
	.protected	_ZN7rocprim17ROCPRIM_400000_NS6detail17trampoline_kernelINS0_14default_configENS1_22reduce_config_selectorIN6thrust23THRUST_200600_302600_NS5tupleIblNS6_9null_typeES8_S8_S8_S8_S8_S8_S8_EEEEZNS1_11reduce_implILb1ES3_PS9_SC_S9_NS6_11hip_rocprim9__find_if7functorIS9_EEEE10hipError_tPvRmT1_T2_T3_mT4_P12ihipStream_tbEUlT_E0_NS1_11comp_targetILNS1_3genE2ELNS1_11target_archE906ELNS1_3gpuE6ELNS1_3repE0EEENS1_30default_config_static_selectorELNS0_4arch9wavefront6targetE1EEEvSK_ ; -- Begin function _ZN7rocprim17ROCPRIM_400000_NS6detail17trampoline_kernelINS0_14default_configENS1_22reduce_config_selectorIN6thrust23THRUST_200600_302600_NS5tupleIblNS6_9null_typeES8_S8_S8_S8_S8_S8_S8_EEEEZNS1_11reduce_implILb1ES3_PS9_SC_S9_NS6_11hip_rocprim9__find_if7functorIS9_EEEE10hipError_tPvRmT1_T2_T3_mT4_P12ihipStream_tbEUlT_E0_NS1_11comp_targetILNS1_3genE2ELNS1_11target_archE906ELNS1_3gpuE6ELNS1_3repE0EEENS1_30default_config_static_selectorELNS0_4arch9wavefront6targetE1EEEvSK_
	.globl	_ZN7rocprim17ROCPRIM_400000_NS6detail17trampoline_kernelINS0_14default_configENS1_22reduce_config_selectorIN6thrust23THRUST_200600_302600_NS5tupleIblNS6_9null_typeES8_S8_S8_S8_S8_S8_S8_EEEEZNS1_11reduce_implILb1ES3_PS9_SC_S9_NS6_11hip_rocprim9__find_if7functorIS9_EEEE10hipError_tPvRmT1_T2_T3_mT4_P12ihipStream_tbEUlT_E0_NS1_11comp_targetILNS1_3genE2ELNS1_11target_archE906ELNS1_3gpuE6ELNS1_3repE0EEENS1_30default_config_static_selectorELNS0_4arch9wavefront6targetE1EEEvSK_
	.p2align	8
	.type	_ZN7rocprim17ROCPRIM_400000_NS6detail17trampoline_kernelINS0_14default_configENS1_22reduce_config_selectorIN6thrust23THRUST_200600_302600_NS5tupleIblNS6_9null_typeES8_S8_S8_S8_S8_S8_S8_EEEEZNS1_11reduce_implILb1ES3_PS9_SC_S9_NS6_11hip_rocprim9__find_if7functorIS9_EEEE10hipError_tPvRmT1_T2_T3_mT4_P12ihipStream_tbEUlT_E0_NS1_11comp_targetILNS1_3genE2ELNS1_11target_archE906ELNS1_3gpuE6ELNS1_3repE0EEENS1_30default_config_static_selectorELNS0_4arch9wavefront6targetE1EEEvSK_,@function
_ZN7rocprim17ROCPRIM_400000_NS6detail17trampoline_kernelINS0_14default_configENS1_22reduce_config_selectorIN6thrust23THRUST_200600_302600_NS5tupleIblNS6_9null_typeES8_S8_S8_S8_S8_S8_S8_EEEEZNS1_11reduce_implILb1ES3_PS9_SC_S9_NS6_11hip_rocprim9__find_if7functorIS9_EEEE10hipError_tPvRmT1_T2_T3_mT4_P12ihipStream_tbEUlT_E0_NS1_11comp_targetILNS1_3genE2ELNS1_11target_archE906ELNS1_3gpuE6ELNS1_3repE0EEENS1_30default_config_static_selectorELNS0_4arch9wavefront6targetE1EEEvSK_: ; @_ZN7rocprim17ROCPRIM_400000_NS6detail17trampoline_kernelINS0_14default_configENS1_22reduce_config_selectorIN6thrust23THRUST_200600_302600_NS5tupleIblNS6_9null_typeES8_S8_S8_S8_S8_S8_S8_EEEEZNS1_11reduce_implILb1ES3_PS9_SC_S9_NS6_11hip_rocprim9__find_if7functorIS9_EEEE10hipError_tPvRmT1_T2_T3_mT4_P12ihipStream_tbEUlT_E0_NS1_11comp_targetILNS1_3genE2ELNS1_11target_archE906ELNS1_3gpuE6ELNS1_3repE0EEENS1_30default_config_static_selectorELNS0_4arch9wavefront6targetE1EEEvSK_
; %bb.0:
	.section	.rodata,"a",@progbits
	.p2align	6, 0x0
	.amdhsa_kernel _ZN7rocprim17ROCPRIM_400000_NS6detail17trampoline_kernelINS0_14default_configENS1_22reduce_config_selectorIN6thrust23THRUST_200600_302600_NS5tupleIblNS6_9null_typeES8_S8_S8_S8_S8_S8_S8_EEEEZNS1_11reduce_implILb1ES3_PS9_SC_S9_NS6_11hip_rocprim9__find_if7functorIS9_EEEE10hipError_tPvRmT1_T2_T3_mT4_P12ihipStream_tbEUlT_E0_NS1_11comp_targetILNS1_3genE2ELNS1_11target_archE906ELNS1_3gpuE6ELNS1_3repE0EEENS1_30default_config_static_selectorELNS0_4arch9wavefront6targetE1EEEvSK_
		.amdhsa_group_segment_fixed_size 0
		.amdhsa_private_segment_fixed_size 0
		.amdhsa_kernarg_size 72
		.amdhsa_user_sgpr_count 6
		.amdhsa_user_sgpr_private_segment_buffer 1
		.amdhsa_user_sgpr_dispatch_ptr 0
		.amdhsa_user_sgpr_queue_ptr 0
		.amdhsa_user_sgpr_kernarg_segment_ptr 1
		.amdhsa_user_sgpr_dispatch_id 0
		.amdhsa_user_sgpr_flat_scratch_init 0
		.amdhsa_user_sgpr_kernarg_preload_length 0
		.amdhsa_user_sgpr_kernarg_preload_offset 0
		.amdhsa_user_sgpr_private_segment_size 0
		.amdhsa_uses_dynamic_stack 0
		.amdhsa_system_sgpr_private_segment_wavefront_offset 0
		.amdhsa_system_sgpr_workgroup_id_x 1
		.amdhsa_system_sgpr_workgroup_id_y 0
		.amdhsa_system_sgpr_workgroup_id_z 0
		.amdhsa_system_sgpr_workgroup_info 0
		.amdhsa_system_vgpr_workitem_id 0
		.amdhsa_next_free_vgpr 1
		.amdhsa_next_free_sgpr 0
		.amdhsa_accum_offset 4
		.amdhsa_reserve_vcc 0
		.amdhsa_reserve_flat_scratch 0
		.amdhsa_float_round_mode_32 0
		.amdhsa_float_round_mode_16_64 0
		.amdhsa_float_denorm_mode_32 3
		.amdhsa_float_denorm_mode_16_64 3
		.amdhsa_dx10_clamp 1
		.amdhsa_ieee_mode 1
		.amdhsa_fp16_overflow 0
		.amdhsa_tg_split 0
		.amdhsa_exception_fp_ieee_invalid_op 0
		.amdhsa_exception_fp_denorm_src 0
		.amdhsa_exception_fp_ieee_div_zero 0
		.amdhsa_exception_fp_ieee_overflow 0
		.amdhsa_exception_fp_ieee_underflow 0
		.amdhsa_exception_fp_ieee_inexact 0
		.amdhsa_exception_int_div_zero 0
	.end_amdhsa_kernel
	.section	.text._ZN7rocprim17ROCPRIM_400000_NS6detail17trampoline_kernelINS0_14default_configENS1_22reduce_config_selectorIN6thrust23THRUST_200600_302600_NS5tupleIblNS6_9null_typeES8_S8_S8_S8_S8_S8_S8_EEEEZNS1_11reduce_implILb1ES3_PS9_SC_S9_NS6_11hip_rocprim9__find_if7functorIS9_EEEE10hipError_tPvRmT1_T2_T3_mT4_P12ihipStream_tbEUlT_E0_NS1_11comp_targetILNS1_3genE2ELNS1_11target_archE906ELNS1_3gpuE6ELNS1_3repE0EEENS1_30default_config_static_selectorELNS0_4arch9wavefront6targetE1EEEvSK_,"axG",@progbits,_ZN7rocprim17ROCPRIM_400000_NS6detail17trampoline_kernelINS0_14default_configENS1_22reduce_config_selectorIN6thrust23THRUST_200600_302600_NS5tupleIblNS6_9null_typeES8_S8_S8_S8_S8_S8_S8_EEEEZNS1_11reduce_implILb1ES3_PS9_SC_S9_NS6_11hip_rocprim9__find_if7functorIS9_EEEE10hipError_tPvRmT1_T2_T3_mT4_P12ihipStream_tbEUlT_E0_NS1_11comp_targetILNS1_3genE2ELNS1_11target_archE906ELNS1_3gpuE6ELNS1_3repE0EEENS1_30default_config_static_selectorELNS0_4arch9wavefront6targetE1EEEvSK_,comdat
.Lfunc_end40:
	.size	_ZN7rocprim17ROCPRIM_400000_NS6detail17trampoline_kernelINS0_14default_configENS1_22reduce_config_selectorIN6thrust23THRUST_200600_302600_NS5tupleIblNS6_9null_typeES8_S8_S8_S8_S8_S8_S8_EEEEZNS1_11reduce_implILb1ES3_PS9_SC_S9_NS6_11hip_rocprim9__find_if7functorIS9_EEEE10hipError_tPvRmT1_T2_T3_mT4_P12ihipStream_tbEUlT_E0_NS1_11comp_targetILNS1_3genE2ELNS1_11target_archE906ELNS1_3gpuE6ELNS1_3repE0EEENS1_30default_config_static_selectorELNS0_4arch9wavefront6targetE1EEEvSK_, .Lfunc_end40-_ZN7rocprim17ROCPRIM_400000_NS6detail17trampoline_kernelINS0_14default_configENS1_22reduce_config_selectorIN6thrust23THRUST_200600_302600_NS5tupleIblNS6_9null_typeES8_S8_S8_S8_S8_S8_S8_EEEEZNS1_11reduce_implILb1ES3_PS9_SC_S9_NS6_11hip_rocprim9__find_if7functorIS9_EEEE10hipError_tPvRmT1_T2_T3_mT4_P12ihipStream_tbEUlT_E0_NS1_11comp_targetILNS1_3genE2ELNS1_11target_archE906ELNS1_3gpuE6ELNS1_3repE0EEENS1_30default_config_static_selectorELNS0_4arch9wavefront6targetE1EEEvSK_
                                        ; -- End function
	.section	.AMDGPU.csdata,"",@progbits
; Kernel info:
; codeLenInByte = 0
; NumSgprs: 4
; NumVgprs: 0
; NumAgprs: 0
; TotalNumVgprs: 0
; ScratchSize: 0
; MemoryBound: 0
; FloatMode: 240
; IeeeMode: 1
; LDSByteSize: 0 bytes/workgroup (compile time only)
; SGPRBlocks: 0
; VGPRBlocks: 0
; NumSGPRsForWavesPerEU: 4
; NumVGPRsForWavesPerEU: 1
; AccumOffset: 4
; Occupancy: 8
; WaveLimiterHint : 0
; COMPUTE_PGM_RSRC2:SCRATCH_EN: 0
; COMPUTE_PGM_RSRC2:USER_SGPR: 6
; COMPUTE_PGM_RSRC2:TRAP_HANDLER: 0
; COMPUTE_PGM_RSRC2:TGID_X_EN: 1
; COMPUTE_PGM_RSRC2:TGID_Y_EN: 0
; COMPUTE_PGM_RSRC2:TGID_Z_EN: 0
; COMPUTE_PGM_RSRC2:TIDIG_COMP_CNT: 0
; COMPUTE_PGM_RSRC3_GFX90A:ACCUM_OFFSET: 0
; COMPUTE_PGM_RSRC3_GFX90A:TG_SPLIT: 0
	.section	.text._ZN7rocprim17ROCPRIM_400000_NS6detail17trampoline_kernelINS0_14default_configENS1_22reduce_config_selectorIN6thrust23THRUST_200600_302600_NS5tupleIblNS6_9null_typeES8_S8_S8_S8_S8_S8_S8_EEEEZNS1_11reduce_implILb1ES3_PS9_SC_S9_NS6_11hip_rocprim9__find_if7functorIS9_EEEE10hipError_tPvRmT1_T2_T3_mT4_P12ihipStream_tbEUlT_E0_NS1_11comp_targetILNS1_3genE10ELNS1_11target_archE1201ELNS1_3gpuE5ELNS1_3repE0EEENS1_30default_config_static_selectorELNS0_4arch9wavefront6targetE1EEEvSK_,"axG",@progbits,_ZN7rocprim17ROCPRIM_400000_NS6detail17trampoline_kernelINS0_14default_configENS1_22reduce_config_selectorIN6thrust23THRUST_200600_302600_NS5tupleIblNS6_9null_typeES8_S8_S8_S8_S8_S8_S8_EEEEZNS1_11reduce_implILb1ES3_PS9_SC_S9_NS6_11hip_rocprim9__find_if7functorIS9_EEEE10hipError_tPvRmT1_T2_T3_mT4_P12ihipStream_tbEUlT_E0_NS1_11comp_targetILNS1_3genE10ELNS1_11target_archE1201ELNS1_3gpuE5ELNS1_3repE0EEENS1_30default_config_static_selectorELNS0_4arch9wavefront6targetE1EEEvSK_,comdat
	.protected	_ZN7rocprim17ROCPRIM_400000_NS6detail17trampoline_kernelINS0_14default_configENS1_22reduce_config_selectorIN6thrust23THRUST_200600_302600_NS5tupleIblNS6_9null_typeES8_S8_S8_S8_S8_S8_S8_EEEEZNS1_11reduce_implILb1ES3_PS9_SC_S9_NS6_11hip_rocprim9__find_if7functorIS9_EEEE10hipError_tPvRmT1_T2_T3_mT4_P12ihipStream_tbEUlT_E0_NS1_11comp_targetILNS1_3genE10ELNS1_11target_archE1201ELNS1_3gpuE5ELNS1_3repE0EEENS1_30default_config_static_selectorELNS0_4arch9wavefront6targetE1EEEvSK_ ; -- Begin function _ZN7rocprim17ROCPRIM_400000_NS6detail17trampoline_kernelINS0_14default_configENS1_22reduce_config_selectorIN6thrust23THRUST_200600_302600_NS5tupleIblNS6_9null_typeES8_S8_S8_S8_S8_S8_S8_EEEEZNS1_11reduce_implILb1ES3_PS9_SC_S9_NS6_11hip_rocprim9__find_if7functorIS9_EEEE10hipError_tPvRmT1_T2_T3_mT4_P12ihipStream_tbEUlT_E0_NS1_11comp_targetILNS1_3genE10ELNS1_11target_archE1201ELNS1_3gpuE5ELNS1_3repE0EEENS1_30default_config_static_selectorELNS0_4arch9wavefront6targetE1EEEvSK_
	.globl	_ZN7rocprim17ROCPRIM_400000_NS6detail17trampoline_kernelINS0_14default_configENS1_22reduce_config_selectorIN6thrust23THRUST_200600_302600_NS5tupleIblNS6_9null_typeES8_S8_S8_S8_S8_S8_S8_EEEEZNS1_11reduce_implILb1ES3_PS9_SC_S9_NS6_11hip_rocprim9__find_if7functorIS9_EEEE10hipError_tPvRmT1_T2_T3_mT4_P12ihipStream_tbEUlT_E0_NS1_11comp_targetILNS1_3genE10ELNS1_11target_archE1201ELNS1_3gpuE5ELNS1_3repE0EEENS1_30default_config_static_selectorELNS0_4arch9wavefront6targetE1EEEvSK_
	.p2align	8
	.type	_ZN7rocprim17ROCPRIM_400000_NS6detail17trampoline_kernelINS0_14default_configENS1_22reduce_config_selectorIN6thrust23THRUST_200600_302600_NS5tupleIblNS6_9null_typeES8_S8_S8_S8_S8_S8_S8_EEEEZNS1_11reduce_implILb1ES3_PS9_SC_S9_NS6_11hip_rocprim9__find_if7functorIS9_EEEE10hipError_tPvRmT1_T2_T3_mT4_P12ihipStream_tbEUlT_E0_NS1_11comp_targetILNS1_3genE10ELNS1_11target_archE1201ELNS1_3gpuE5ELNS1_3repE0EEENS1_30default_config_static_selectorELNS0_4arch9wavefront6targetE1EEEvSK_,@function
_ZN7rocprim17ROCPRIM_400000_NS6detail17trampoline_kernelINS0_14default_configENS1_22reduce_config_selectorIN6thrust23THRUST_200600_302600_NS5tupleIblNS6_9null_typeES8_S8_S8_S8_S8_S8_S8_EEEEZNS1_11reduce_implILb1ES3_PS9_SC_S9_NS6_11hip_rocprim9__find_if7functorIS9_EEEE10hipError_tPvRmT1_T2_T3_mT4_P12ihipStream_tbEUlT_E0_NS1_11comp_targetILNS1_3genE10ELNS1_11target_archE1201ELNS1_3gpuE5ELNS1_3repE0EEENS1_30default_config_static_selectorELNS0_4arch9wavefront6targetE1EEEvSK_: ; @_ZN7rocprim17ROCPRIM_400000_NS6detail17trampoline_kernelINS0_14default_configENS1_22reduce_config_selectorIN6thrust23THRUST_200600_302600_NS5tupleIblNS6_9null_typeES8_S8_S8_S8_S8_S8_S8_EEEEZNS1_11reduce_implILb1ES3_PS9_SC_S9_NS6_11hip_rocprim9__find_if7functorIS9_EEEE10hipError_tPvRmT1_T2_T3_mT4_P12ihipStream_tbEUlT_E0_NS1_11comp_targetILNS1_3genE10ELNS1_11target_archE1201ELNS1_3gpuE5ELNS1_3repE0EEENS1_30default_config_static_selectorELNS0_4arch9wavefront6targetE1EEEvSK_
; %bb.0:
	.section	.rodata,"a",@progbits
	.p2align	6, 0x0
	.amdhsa_kernel _ZN7rocprim17ROCPRIM_400000_NS6detail17trampoline_kernelINS0_14default_configENS1_22reduce_config_selectorIN6thrust23THRUST_200600_302600_NS5tupleIblNS6_9null_typeES8_S8_S8_S8_S8_S8_S8_EEEEZNS1_11reduce_implILb1ES3_PS9_SC_S9_NS6_11hip_rocprim9__find_if7functorIS9_EEEE10hipError_tPvRmT1_T2_T3_mT4_P12ihipStream_tbEUlT_E0_NS1_11comp_targetILNS1_3genE10ELNS1_11target_archE1201ELNS1_3gpuE5ELNS1_3repE0EEENS1_30default_config_static_selectorELNS0_4arch9wavefront6targetE1EEEvSK_
		.amdhsa_group_segment_fixed_size 0
		.amdhsa_private_segment_fixed_size 0
		.amdhsa_kernarg_size 72
		.amdhsa_user_sgpr_count 6
		.amdhsa_user_sgpr_private_segment_buffer 1
		.amdhsa_user_sgpr_dispatch_ptr 0
		.amdhsa_user_sgpr_queue_ptr 0
		.amdhsa_user_sgpr_kernarg_segment_ptr 1
		.amdhsa_user_sgpr_dispatch_id 0
		.amdhsa_user_sgpr_flat_scratch_init 0
		.amdhsa_user_sgpr_kernarg_preload_length 0
		.amdhsa_user_sgpr_kernarg_preload_offset 0
		.amdhsa_user_sgpr_private_segment_size 0
		.amdhsa_uses_dynamic_stack 0
		.amdhsa_system_sgpr_private_segment_wavefront_offset 0
		.amdhsa_system_sgpr_workgroup_id_x 1
		.amdhsa_system_sgpr_workgroup_id_y 0
		.amdhsa_system_sgpr_workgroup_id_z 0
		.amdhsa_system_sgpr_workgroup_info 0
		.amdhsa_system_vgpr_workitem_id 0
		.amdhsa_next_free_vgpr 1
		.amdhsa_next_free_sgpr 0
		.amdhsa_accum_offset 4
		.amdhsa_reserve_vcc 0
		.amdhsa_reserve_flat_scratch 0
		.amdhsa_float_round_mode_32 0
		.amdhsa_float_round_mode_16_64 0
		.amdhsa_float_denorm_mode_32 3
		.amdhsa_float_denorm_mode_16_64 3
		.amdhsa_dx10_clamp 1
		.amdhsa_ieee_mode 1
		.amdhsa_fp16_overflow 0
		.amdhsa_tg_split 0
		.amdhsa_exception_fp_ieee_invalid_op 0
		.amdhsa_exception_fp_denorm_src 0
		.amdhsa_exception_fp_ieee_div_zero 0
		.amdhsa_exception_fp_ieee_overflow 0
		.amdhsa_exception_fp_ieee_underflow 0
		.amdhsa_exception_fp_ieee_inexact 0
		.amdhsa_exception_int_div_zero 0
	.end_amdhsa_kernel
	.section	.text._ZN7rocprim17ROCPRIM_400000_NS6detail17trampoline_kernelINS0_14default_configENS1_22reduce_config_selectorIN6thrust23THRUST_200600_302600_NS5tupleIblNS6_9null_typeES8_S8_S8_S8_S8_S8_S8_EEEEZNS1_11reduce_implILb1ES3_PS9_SC_S9_NS6_11hip_rocprim9__find_if7functorIS9_EEEE10hipError_tPvRmT1_T2_T3_mT4_P12ihipStream_tbEUlT_E0_NS1_11comp_targetILNS1_3genE10ELNS1_11target_archE1201ELNS1_3gpuE5ELNS1_3repE0EEENS1_30default_config_static_selectorELNS0_4arch9wavefront6targetE1EEEvSK_,"axG",@progbits,_ZN7rocprim17ROCPRIM_400000_NS6detail17trampoline_kernelINS0_14default_configENS1_22reduce_config_selectorIN6thrust23THRUST_200600_302600_NS5tupleIblNS6_9null_typeES8_S8_S8_S8_S8_S8_S8_EEEEZNS1_11reduce_implILb1ES3_PS9_SC_S9_NS6_11hip_rocprim9__find_if7functorIS9_EEEE10hipError_tPvRmT1_T2_T3_mT4_P12ihipStream_tbEUlT_E0_NS1_11comp_targetILNS1_3genE10ELNS1_11target_archE1201ELNS1_3gpuE5ELNS1_3repE0EEENS1_30default_config_static_selectorELNS0_4arch9wavefront6targetE1EEEvSK_,comdat
.Lfunc_end41:
	.size	_ZN7rocprim17ROCPRIM_400000_NS6detail17trampoline_kernelINS0_14default_configENS1_22reduce_config_selectorIN6thrust23THRUST_200600_302600_NS5tupleIblNS6_9null_typeES8_S8_S8_S8_S8_S8_S8_EEEEZNS1_11reduce_implILb1ES3_PS9_SC_S9_NS6_11hip_rocprim9__find_if7functorIS9_EEEE10hipError_tPvRmT1_T2_T3_mT4_P12ihipStream_tbEUlT_E0_NS1_11comp_targetILNS1_3genE10ELNS1_11target_archE1201ELNS1_3gpuE5ELNS1_3repE0EEENS1_30default_config_static_selectorELNS0_4arch9wavefront6targetE1EEEvSK_, .Lfunc_end41-_ZN7rocprim17ROCPRIM_400000_NS6detail17trampoline_kernelINS0_14default_configENS1_22reduce_config_selectorIN6thrust23THRUST_200600_302600_NS5tupleIblNS6_9null_typeES8_S8_S8_S8_S8_S8_S8_EEEEZNS1_11reduce_implILb1ES3_PS9_SC_S9_NS6_11hip_rocprim9__find_if7functorIS9_EEEE10hipError_tPvRmT1_T2_T3_mT4_P12ihipStream_tbEUlT_E0_NS1_11comp_targetILNS1_3genE10ELNS1_11target_archE1201ELNS1_3gpuE5ELNS1_3repE0EEENS1_30default_config_static_selectorELNS0_4arch9wavefront6targetE1EEEvSK_
                                        ; -- End function
	.section	.AMDGPU.csdata,"",@progbits
; Kernel info:
; codeLenInByte = 0
; NumSgprs: 4
; NumVgprs: 0
; NumAgprs: 0
; TotalNumVgprs: 0
; ScratchSize: 0
; MemoryBound: 0
; FloatMode: 240
; IeeeMode: 1
; LDSByteSize: 0 bytes/workgroup (compile time only)
; SGPRBlocks: 0
; VGPRBlocks: 0
; NumSGPRsForWavesPerEU: 4
; NumVGPRsForWavesPerEU: 1
; AccumOffset: 4
; Occupancy: 8
; WaveLimiterHint : 0
; COMPUTE_PGM_RSRC2:SCRATCH_EN: 0
; COMPUTE_PGM_RSRC2:USER_SGPR: 6
; COMPUTE_PGM_RSRC2:TRAP_HANDLER: 0
; COMPUTE_PGM_RSRC2:TGID_X_EN: 1
; COMPUTE_PGM_RSRC2:TGID_Y_EN: 0
; COMPUTE_PGM_RSRC2:TGID_Z_EN: 0
; COMPUTE_PGM_RSRC2:TIDIG_COMP_CNT: 0
; COMPUTE_PGM_RSRC3_GFX90A:ACCUM_OFFSET: 0
; COMPUTE_PGM_RSRC3_GFX90A:TG_SPLIT: 0
	.section	.text._ZN7rocprim17ROCPRIM_400000_NS6detail17trampoline_kernelINS0_14default_configENS1_22reduce_config_selectorIN6thrust23THRUST_200600_302600_NS5tupleIblNS6_9null_typeES8_S8_S8_S8_S8_S8_S8_EEEEZNS1_11reduce_implILb1ES3_PS9_SC_S9_NS6_11hip_rocprim9__find_if7functorIS9_EEEE10hipError_tPvRmT1_T2_T3_mT4_P12ihipStream_tbEUlT_E0_NS1_11comp_targetILNS1_3genE10ELNS1_11target_archE1200ELNS1_3gpuE4ELNS1_3repE0EEENS1_30default_config_static_selectorELNS0_4arch9wavefront6targetE1EEEvSK_,"axG",@progbits,_ZN7rocprim17ROCPRIM_400000_NS6detail17trampoline_kernelINS0_14default_configENS1_22reduce_config_selectorIN6thrust23THRUST_200600_302600_NS5tupleIblNS6_9null_typeES8_S8_S8_S8_S8_S8_S8_EEEEZNS1_11reduce_implILb1ES3_PS9_SC_S9_NS6_11hip_rocprim9__find_if7functorIS9_EEEE10hipError_tPvRmT1_T2_T3_mT4_P12ihipStream_tbEUlT_E0_NS1_11comp_targetILNS1_3genE10ELNS1_11target_archE1200ELNS1_3gpuE4ELNS1_3repE0EEENS1_30default_config_static_selectorELNS0_4arch9wavefront6targetE1EEEvSK_,comdat
	.protected	_ZN7rocprim17ROCPRIM_400000_NS6detail17trampoline_kernelINS0_14default_configENS1_22reduce_config_selectorIN6thrust23THRUST_200600_302600_NS5tupleIblNS6_9null_typeES8_S8_S8_S8_S8_S8_S8_EEEEZNS1_11reduce_implILb1ES3_PS9_SC_S9_NS6_11hip_rocprim9__find_if7functorIS9_EEEE10hipError_tPvRmT1_T2_T3_mT4_P12ihipStream_tbEUlT_E0_NS1_11comp_targetILNS1_3genE10ELNS1_11target_archE1200ELNS1_3gpuE4ELNS1_3repE0EEENS1_30default_config_static_selectorELNS0_4arch9wavefront6targetE1EEEvSK_ ; -- Begin function _ZN7rocprim17ROCPRIM_400000_NS6detail17trampoline_kernelINS0_14default_configENS1_22reduce_config_selectorIN6thrust23THRUST_200600_302600_NS5tupleIblNS6_9null_typeES8_S8_S8_S8_S8_S8_S8_EEEEZNS1_11reduce_implILb1ES3_PS9_SC_S9_NS6_11hip_rocprim9__find_if7functorIS9_EEEE10hipError_tPvRmT1_T2_T3_mT4_P12ihipStream_tbEUlT_E0_NS1_11comp_targetILNS1_3genE10ELNS1_11target_archE1200ELNS1_3gpuE4ELNS1_3repE0EEENS1_30default_config_static_selectorELNS0_4arch9wavefront6targetE1EEEvSK_
	.globl	_ZN7rocprim17ROCPRIM_400000_NS6detail17trampoline_kernelINS0_14default_configENS1_22reduce_config_selectorIN6thrust23THRUST_200600_302600_NS5tupleIblNS6_9null_typeES8_S8_S8_S8_S8_S8_S8_EEEEZNS1_11reduce_implILb1ES3_PS9_SC_S9_NS6_11hip_rocprim9__find_if7functorIS9_EEEE10hipError_tPvRmT1_T2_T3_mT4_P12ihipStream_tbEUlT_E0_NS1_11comp_targetILNS1_3genE10ELNS1_11target_archE1200ELNS1_3gpuE4ELNS1_3repE0EEENS1_30default_config_static_selectorELNS0_4arch9wavefront6targetE1EEEvSK_
	.p2align	8
	.type	_ZN7rocprim17ROCPRIM_400000_NS6detail17trampoline_kernelINS0_14default_configENS1_22reduce_config_selectorIN6thrust23THRUST_200600_302600_NS5tupleIblNS6_9null_typeES8_S8_S8_S8_S8_S8_S8_EEEEZNS1_11reduce_implILb1ES3_PS9_SC_S9_NS6_11hip_rocprim9__find_if7functorIS9_EEEE10hipError_tPvRmT1_T2_T3_mT4_P12ihipStream_tbEUlT_E0_NS1_11comp_targetILNS1_3genE10ELNS1_11target_archE1200ELNS1_3gpuE4ELNS1_3repE0EEENS1_30default_config_static_selectorELNS0_4arch9wavefront6targetE1EEEvSK_,@function
_ZN7rocprim17ROCPRIM_400000_NS6detail17trampoline_kernelINS0_14default_configENS1_22reduce_config_selectorIN6thrust23THRUST_200600_302600_NS5tupleIblNS6_9null_typeES8_S8_S8_S8_S8_S8_S8_EEEEZNS1_11reduce_implILb1ES3_PS9_SC_S9_NS6_11hip_rocprim9__find_if7functorIS9_EEEE10hipError_tPvRmT1_T2_T3_mT4_P12ihipStream_tbEUlT_E0_NS1_11comp_targetILNS1_3genE10ELNS1_11target_archE1200ELNS1_3gpuE4ELNS1_3repE0EEENS1_30default_config_static_selectorELNS0_4arch9wavefront6targetE1EEEvSK_: ; @_ZN7rocprim17ROCPRIM_400000_NS6detail17trampoline_kernelINS0_14default_configENS1_22reduce_config_selectorIN6thrust23THRUST_200600_302600_NS5tupleIblNS6_9null_typeES8_S8_S8_S8_S8_S8_S8_EEEEZNS1_11reduce_implILb1ES3_PS9_SC_S9_NS6_11hip_rocprim9__find_if7functorIS9_EEEE10hipError_tPvRmT1_T2_T3_mT4_P12ihipStream_tbEUlT_E0_NS1_11comp_targetILNS1_3genE10ELNS1_11target_archE1200ELNS1_3gpuE4ELNS1_3repE0EEENS1_30default_config_static_selectorELNS0_4arch9wavefront6targetE1EEEvSK_
; %bb.0:
	.section	.rodata,"a",@progbits
	.p2align	6, 0x0
	.amdhsa_kernel _ZN7rocprim17ROCPRIM_400000_NS6detail17trampoline_kernelINS0_14default_configENS1_22reduce_config_selectorIN6thrust23THRUST_200600_302600_NS5tupleIblNS6_9null_typeES8_S8_S8_S8_S8_S8_S8_EEEEZNS1_11reduce_implILb1ES3_PS9_SC_S9_NS6_11hip_rocprim9__find_if7functorIS9_EEEE10hipError_tPvRmT1_T2_T3_mT4_P12ihipStream_tbEUlT_E0_NS1_11comp_targetILNS1_3genE10ELNS1_11target_archE1200ELNS1_3gpuE4ELNS1_3repE0EEENS1_30default_config_static_selectorELNS0_4arch9wavefront6targetE1EEEvSK_
		.amdhsa_group_segment_fixed_size 0
		.amdhsa_private_segment_fixed_size 0
		.amdhsa_kernarg_size 72
		.amdhsa_user_sgpr_count 6
		.amdhsa_user_sgpr_private_segment_buffer 1
		.amdhsa_user_sgpr_dispatch_ptr 0
		.amdhsa_user_sgpr_queue_ptr 0
		.amdhsa_user_sgpr_kernarg_segment_ptr 1
		.amdhsa_user_sgpr_dispatch_id 0
		.amdhsa_user_sgpr_flat_scratch_init 0
		.amdhsa_user_sgpr_kernarg_preload_length 0
		.amdhsa_user_sgpr_kernarg_preload_offset 0
		.amdhsa_user_sgpr_private_segment_size 0
		.amdhsa_uses_dynamic_stack 0
		.amdhsa_system_sgpr_private_segment_wavefront_offset 0
		.amdhsa_system_sgpr_workgroup_id_x 1
		.amdhsa_system_sgpr_workgroup_id_y 0
		.amdhsa_system_sgpr_workgroup_id_z 0
		.amdhsa_system_sgpr_workgroup_info 0
		.amdhsa_system_vgpr_workitem_id 0
		.amdhsa_next_free_vgpr 1
		.amdhsa_next_free_sgpr 0
		.amdhsa_accum_offset 4
		.amdhsa_reserve_vcc 0
		.amdhsa_reserve_flat_scratch 0
		.amdhsa_float_round_mode_32 0
		.amdhsa_float_round_mode_16_64 0
		.amdhsa_float_denorm_mode_32 3
		.amdhsa_float_denorm_mode_16_64 3
		.amdhsa_dx10_clamp 1
		.amdhsa_ieee_mode 1
		.amdhsa_fp16_overflow 0
		.amdhsa_tg_split 0
		.amdhsa_exception_fp_ieee_invalid_op 0
		.amdhsa_exception_fp_denorm_src 0
		.amdhsa_exception_fp_ieee_div_zero 0
		.amdhsa_exception_fp_ieee_overflow 0
		.amdhsa_exception_fp_ieee_underflow 0
		.amdhsa_exception_fp_ieee_inexact 0
		.amdhsa_exception_int_div_zero 0
	.end_amdhsa_kernel
	.section	.text._ZN7rocprim17ROCPRIM_400000_NS6detail17trampoline_kernelINS0_14default_configENS1_22reduce_config_selectorIN6thrust23THRUST_200600_302600_NS5tupleIblNS6_9null_typeES8_S8_S8_S8_S8_S8_S8_EEEEZNS1_11reduce_implILb1ES3_PS9_SC_S9_NS6_11hip_rocprim9__find_if7functorIS9_EEEE10hipError_tPvRmT1_T2_T3_mT4_P12ihipStream_tbEUlT_E0_NS1_11comp_targetILNS1_3genE10ELNS1_11target_archE1200ELNS1_3gpuE4ELNS1_3repE0EEENS1_30default_config_static_selectorELNS0_4arch9wavefront6targetE1EEEvSK_,"axG",@progbits,_ZN7rocprim17ROCPRIM_400000_NS6detail17trampoline_kernelINS0_14default_configENS1_22reduce_config_selectorIN6thrust23THRUST_200600_302600_NS5tupleIblNS6_9null_typeES8_S8_S8_S8_S8_S8_S8_EEEEZNS1_11reduce_implILb1ES3_PS9_SC_S9_NS6_11hip_rocprim9__find_if7functorIS9_EEEE10hipError_tPvRmT1_T2_T3_mT4_P12ihipStream_tbEUlT_E0_NS1_11comp_targetILNS1_3genE10ELNS1_11target_archE1200ELNS1_3gpuE4ELNS1_3repE0EEENS1_30default_config_static_selectorELNS0_4arch9wavefront6targetE1EEEvSK_,comdat
.Lfunc_end42:
	.size	_ZN7rocprim17ROCPRIM_400000_NS6detail17trampoline_kernelINS0_14default_configENS1_22reduce_config_selectorIN6thrust23THRUST_200600_302600_NS5tupleIblNS6_9null_typeES8_S8_S8_S8_S8_S8_S8_EEEEZNS1_11reduce_implILb1ES3_PS9_SC_S9_NS6_11hip_rocprim9__find_if7functorIS9_EEEE10hipError_tPvRmT1_T2_T3_mT4_P12ihipStream_tbEUlT_E0_NS1_11comp_targetILNS1_3genE10ELNS1_11target_archE1200ELNS1_3gpuE4ELNS1_3repE0EEENS1_30default_config_static_selectorELNS0_4arch9wavefront6targetE1EEEvSK_, .Lfunc_end42-_ZN7rocprim17ROCPRIM_400000_NS6detail17trampoline_kernelINS0_14default_configENS1_22reduce_config_selectorIN6thrust23THRUST_200600_302600_NS5tupleIblNS6_9null_typeES8_S8_S8_S8_S8_S8_S8_EEEEZNS1_11reduce_implILb1ES3_PS9_SC_S9_NS6_11hip_rocprim9__find_if7functorIS9_EEEE10hipError_tPvRmT1_T2_T3_mT4_P12ihipStream_tbEUlT_E0_NS1_11comp_targetILNS1_3genE10ELNS1_11target_archE1200ELNS1_3gpuE4ELNS1_3repE0EEENS1_30default_config_static_selectorELNS0_4arch9wavefront6targetE1EEEvSK_
                                        ; -- End function
	.section	.AMDGPU.csdata,"",@progbits
; Kernel info:
; codeLenInByte = 0
; NumSgprs: 4
; NumVgprs: 0
; NumAgprs: 0
; TotalNumVgprs: 0
; ScratchSize: 0
; MemoryBound: 0
; FloatMode: 240
; IeeeMode: 1
; LDSByteSize: 0 bytes/workgroup (compile time only)
; SGPRBlocks: 0
; VGPRBlocks: 0
; NumSGPRsForWavesPerEU: 4
; NumVGPRsForWavesPerEU: 1
; AccumOffset: 4
; Occupancy: 8
; WaveLimiterHint : 0
; COMPUTE_PGM_RSRC2:SCRATCH_EN: 0
; COMPUTE_PGM_RSRC2:USER_SGPR: 6
; COMPUTE_PGM_RSRC2:TRAP_HANDLER: 0
; COMPUTE_PGM_RSRC2:TGID_X_EN: 1
; COMPUTE_PGM_RSRC2:TGID_Y_EN: 0
; COMPUTE_PGM_RSRC2:TGID_Z_EN: 0
; COMPUTE_PGM_RSRC2:TIDIG_COMP_CNT: 0
; COMPUTE_PGM_RSRC3_GFX90A:ACCUM_OFFSET: 0
; COMPUTE_PGM_RSRC3_GFX90A:TG_SPLIT: 0
	.section	.text._ZN7rocprim17ROCPRIM_400000_NS6detail17trampoline_kernelINS0_14default_configENS1_22reduce_config_selectorIN6thrust23THRUST_200600_302600_NS5tupleIblNS6_9null_typeES8_S8_S8_S8_S8_S8_S8_EEEEZNS1_11reduce_implILb1ES3_PS9_SC_S9_NS6_11hip_rocprim9__find_if7functorIS9_EEEE10hipError_tPvRmT1_T2_T3_mT4_P12ihipStream_tbEUlT_E0_NS1_11comp_targetILNS1_3genE9ELNS1_11target_archE1100ELNS1_3gpuE3ELNS1_3repE0EEENS1_30default_config_static_selectorELNS0_4arch9wavefront6targetE1EEEvSK_,"axG",@progbits,_ZN7rocprim17ROCPRIM_400000_NS6detail17trampoline_kernelINS0_14default_configENS1_22reduce_config_selectorIN6thrust23THRUST_200600_302600_NS5tupleIblNS6_9null_typeES8_S8_S8_S8_S8_S8_S8_EEEEZNS1_11reduce_implILb1ES3_PS9_SC_S9_NS6_11hip_rocprim9__find_if7functorIS9_EEEE10hipError_tPvRmT1_T2_T3_mT4_P12ihipStream_tbEUlT_E0_NS1_11comp_targetILNS1_3genE9ELNS1_11target_archE1100ELNS1_3gpuE3ELNS1_3repE0EEENS1_30default_config_static_selectorELNS0_4arch9wavefront6targetE1EEEvSK_,comdat
	.protected	_ZN7rocprim17ROCPRIM_400000_NS6detail17trampoline_kernelINS0_14default_configENS1_22reduce_config_selectorIN6thrust23THRUST_200600_302600_NS5tupleIblNS6_9null_typeES8_S8_S8_S8_S8_S8_S8_EEEEZNS1_11reduce_implILb1ES3_PS9_SC_S9_NS6_11hip_rocprim9__find_if7functorIS9_EEEE10hipError_tPvRmT1_T2_T3_mT4_P12ihipStream_tbEUlT_E0_NS1_11comp_targetILNS1_3genE9ELNS1_11target_archE1100ELNS1_3gpuE3ELNS1_3repE0EEENS1_30default_config_static_selectorELNS0_4arch9wavefront6targetE1EEEvSK_ ; -- Begin function _ZN7rocprim17ROCPRIM_400000_NS6detail17trampoline_kernelINS0_14default_configENS1_22reduce_config_selectorIN6thrust23THRUST_200600_302600_NS5tupleIblNS6_9null_typeES8_S8_S8_S8_S8_S8_S8_EEEEZNS1_11reduce_implILb1ES3_PS9_SC_S9_NS6_11hip_rocprim9__find_if7functorIS9_EEEE10hipError_tPvRmT1_T2_T3_mT4_P12ihipStream_tbEUlT_E0_NS1_11comp_targetILNS1_3genE9ELNS1_11target_archE1100ELNS1_3gpuE3ELNS1_3repE0EEENS1_30default_config_static_selectorELNS0_4arch9wavefront6targetE1EEEvSK_
	.globl	_ZN7rocprim17ROCPRIM_400000_NS6detail17trampoline_kernelINS0_14default_configENS1_22reduce_config_selectorIN6thrust23THRUST_200600_302600_NS5tupleIblNS6_9null_typeES8_S8_S8_S8_S8_S8_S8_EEEEZNS1_11reduce_implILb1ES3_PS9_SC_S9_NS6_11hip_rocprim9__find_if7functorIS9_EEEE10hipError_tPvRmT1_T2_T3_mT4_P12ihipStream_tbEUlT_E0_NS1_11comp_targetILNS1_3genE9ELNS1_11target_archE1100ELNS1_3gpuE3ELNS1_3repE0EEENS1_30default_config_static_selectorELNS0_4arch9wavefront6targetE1EEEvSK_
	.p2align	8
	.type	_ZN7rocprim17ROCPRIM_400000_NS6detail17trampoline_kernelINS0_14default_configENS1_22reduce_config_selectorIN6thrust23THRUST_200600_302600_NS5tupleIblNS6_9null_typeES8_S8_S8_S8_S8_S8_S8_EEEEZNS1_11reduce_implILb1ES3_PS9_SC_S9_NS6_11hip_rocprim9__find_if7functorIS9_EEEE10hipError_tPvRmT1_T2_T3_mT4_P12ihipStream_tbEUlT_E0_NS1_11comp_targetILNS1_3genE9ELNS1_11target_archE1100ELNS1_3gpuE3ELNS1_3repE0EEENS1_30default_config_static_selectorELNS0_4arch9wavefront6targetE1EEEvSK_,@function
_ZN7rocprim17ROCPRIM_400000_NS6detail17trampoline_kernelINS0_14default_configENS1_22reduce_config_selectorIN6thrust23THRUST_200600_302600_NS5tupleIblNS6_9null_typeES8_S8_S8_S8_S8_S8_S8_EEEEZNS1_11reduce_implILb1ES3_PS9_SC_S9_NS6_11hip_rocprim9__find_if7functorIS9_EEEE10hipError_tPvRmT1_T2_T3_mT4_P12ihipStream_tbEUlT_E0_NS1_11comp_targetILNS1_3genE9ELNS1_11target_archE1100ELNS1_3gpuE3ELNS1_3repE0EEENS1_30default_config_static_selectorELNS0_4arch9wavefront6targetE1EEEvSK_: ; @_ZN7rocprim17ROCPRIM_400000_NS6detail17trampoline_kernelINS0_14default_configENS1_22reduce_config_selectorIN6thrust23THRUST_200600_302600_NS5tupleIblNS6_9null_typeES8_S8_S8_S8_S8_S8_S8_EEEEZNS1_11reduce_implILb1ES3_PS9_SC_S9_NS6_11hip_rocprim9__find_if7functorIS9_EEEE10hipError_tPvRmT1_T2_T3_mT4_P12ihipStream_tbEUlT_E0_NS1_11comp_targetILNS1_3genE9ELNS1_11target_archE1100ELNS1_3gpuE3ELNS1_3repE0EEENS1_30default_config_static_selectorELNS0_4arch9wavefront6targetE1EEEvSK_
; %bb.0:
	.section	.rodata,"a",@progbits
	.p2align	6, 0x0
	.amdhsa_kernel _ZN7rocprim17ROCPRIM_400000_NS6detail17trampoline_kernelINS0_14default_configENS1_22reduce_config_selectorIN6thrust23THRUST_200600_302600_NS5tupleIblNS6_9null_typeES8_S8_S8_S8_S8_S8_S8_EEEEZNS1_11reduce_implILb1ES3_PS9_SC_S9_NS6_11hip_rocprim9__find_if7functorIS9_EEEE10hipError_tPvRmT1_T2_T3_mT4_P12ihipStream_tbEUlT_E0_NS1_11comp_targetILNS1_3genE9ELNS1_11target_archE1100ELNS1_3gpuE3ELNS1_3repE0EEENS1_30default_config_static_selectorELNS0_4arch9wavefront6targetE1EEEvSK_
		.amdhsa_group_segment_fixed_size 0
		.amdhsa_private_segment_fixed_size 0
		.amdhsa_kernarg_size 72
		.amdhsa_user_sgpr_count 6
		.amdhsa_user_sgpr_private_segment_buffer 1
		.amdhsa_user_sgpr_dispatch_ptr 0
		.amdhsa_user_sgpr_queue_ptr 0
		.amdhsa_user_sgpr_kernarg_segment_ptr 1
		.amdhsa_user_sgpr_dispatch_id 0
		.amdhsa_user_sgpr_flat_scratch_init 0
		.amdhsa_user_sgpr_kernarg_preload_length 0
		.amdhsa_user_sgpr_kernarg_preload_offset 0
		.amdhsa_user_sgpr_private_segment_size 0
		.amdhsa_uses_dynamic_stack 0
		.amdhsa_system_sgpr_private_segment_wavefront_offset 0
		.amdhsa_system_sgpr_workgroup_id_x 1
		.amdhsa_system_sgpr_workgroup_id_y 0
		.amdhsa_system_sgpr_workgroup_id_z 0
		.amdhsa_system_sgpr_workgroup_info 0
		.amdhsa_system_vgpr_workitem_id 0
		.amdhsa_next_free_vgpr 1
		.amdhsa_next_free_sgpr 0
		.amdhsa_accum_offset 4
		.amdhsa_reserve_vcc 0
		.amdhsa_reserve_flat_scratch 0
		.amdhsa_float_round_mode_32 0
		.amdhsa_float_round_mode_16_64 0
		.amdhsa_float_denorm_mode_32 3
		.amdhsa_float_denorm_mode_16_64 3
		.amdhsa_dx10_clamp 1
		.amdhsa_ieee_mode 1
		.amdhsa_fp16_overflow 0
		.amdhsa_tg_split 0
		.amdhsa_exception_fp_ieee_invalid_op 0
		.amdhsa_exception_fp_denorm_src 0
		.amdhsa_exception_fp_ieee_div_zero 0
		.amdhsa_exception_fp_ieee_overflow 0
		.amdhsa_exception_fp_ieee_underflow 0
		.amdhsa_exception_fp_ieee_inexact 0
		.amdhsa_exception_int_div_zero 0
	.end_amdhsa_kernel
	.section	.text._ZN7rocprim17ROCPRIM_400000_NS6detail17trampoline_kernelINS0_14default_configENS1_22reduce_config_selectorIN6thrust23THRUST_200600_302600_NS5tupleIblNS6_9null_typeES8_S8_S8_S8_S8_S8_S8_EEEEZNS1_11reduce_implILb1ES3_PS9_SC_S9_NS6_11hip_rocprim9__find_if7functorIS9_EEEE10hipError_tPvRmT1_T2_T3_mT4_P12ihipStream_tbEUlT_E0_NS1_11comp_targetILNS1_3genE9ELNS1_11target_archE1100ELNS1_3gpuE3ELNS1_3repE0EEENS1_30default_config_static_selectorELNS0_4arch9wavefront6targetE1EEEvSK_,"axG",@progbits,_ZN7rocprim17ROCPRIM_400000_NS6detail17trampoline_kernelINS0_14default_configENS1_22reduce_config_selectorIN6thrust23THRUST_200600_302600_NS5tupleIblNS6_9null_typeES8_S8_S8_S8_S8_S8_S8_EEEEZNS1_11reduce_implILb1ES3_PS9_SC_S9_NS6_11hip_rocprim9__find_if7functorIS9_EEEE10hipError_tPvRmT1_T2_T3_mT4_P12ihipStream_tbEUlT_E0_NS1_11comp_targetILNS1_3genE9ELNS1_11target_archE1100ELNS1_3gpuE3ELNS1_3repE0EEENS1_30default_config_static_selectorELNS0_4arch9wavefront6targetE1EEEvSK_,comdat
.Lfunc_end43:
	.size	_ZN7rocprim17ROCPRIM_400000_NS6detail17trampoline_kernelINS0_14default_configENS1_22reduce_config_selectorIN6thrust23THRUST_200600_302600_NS5tupleIblNS6_9null_typeES8_S8_S8_S8_S8_S8_S8_EEEEZNS1_11reduce_implILb1ES3_PS9_SC_S9_NS6_11hip_rocprim9__find_if7functorIS9_EEEE10hipError_tPvRmT1_T2_T3_mT4_P12ihipStream_tbEUlT_E0_NS1_11comp_targetILNS1_3genE9ELNS1_11target_archE1100ELNS1_3gpuE3ELNS1_3repE0EEENS1_30default_config_static_selectorELNS0_4arch9wavefront6targetE1EEEvSK_, .Lfunc_end43-_ZN7rocprim17ROCPRIM_400000_NS6detail17trampoline_kernelINS0_14default_configENS1_22reduce_config_selectorIN6thrust23THRUST_200600_302600_NS5tupleIblNS6_9null_typeES8_S8_S8_S8_S8_S8_S8_EEEEZNS1_11reduce_implILb1ES3_PS9_SC_S9_NS6_11hip_rocprim9__find_if7functorIS9_EEEE10hipError_tPvRmT1_T2_T3_mT4_P12ihipStream_tbEUlT_E0_NS1_11comp_targetILNS1_3genE9ELNS1_11target_archE1100ELNS1_3gpuE3ELNS1_3repE0EEENS1_30default_config_static_selectorELNS0_4arch9wavefront6targetE1EEEvSK_
                                        ; -- End function
	.section	.AMDGPU.csdata,"",@progbits
; Kernel info:
; codeLenInByte = 0
; NumSgprs: 4
; NumVgprs: 0
; NumAgprs: 0
; TotalNumVgprs: 0
; ScratchSize: 0
; MemoryBound: 0
; FloatMode: 240
; IeeeMode: 1
; LDSByteSize: 0 bytes/workgroup (compile time only)
; SGPRBlocks: 0
; VGPRBlocks: 0
; NumSGPRsForWavesPerEU: 4
; NumVGPRsForWavesPerEU: 1
; AccumOffset: 4
; Occupancy: 8
; WaveLimiterHint : 0
; COMPUTE_PGM_RSRC2:SCRATCH_EN: 0
; COMPUTE_PGM_RSRC2:USER_SGPR: 6
; COMPUTE_PGM_RSRC2:TRAP_HANDLER: 0
; COMPUTE_PGM_RSRC2:TGID_X_EN: 1
; COMPUTE_PGM_RSRC2:TGID_Y_EN: 0
; COMPUTE_PGM_RSRC2:TGID_Z_EN: 0
; COMPUTE_PGM_RSRC2:TIDIG_COMP_CNT: 0
; COMPUTE_PGM_RSRC3_GFX90A:ACCUM_OFFSET: 0
; COMPUTE_PGM_RSRC3_GFX90A:TG_SPLIT: 0
	.section	.text._ZN7rocprim17ROCPRIM_400000_NS6detail17trampoline_kernelINS0_14default_configENS1_22reduce_config_selectorIN6thrust23THRUST_200600_302600_NS5tupleIblNS6_9null_typeES8_S8_S8_S8_S8_S8_S8_EEEEZNS1_11reduce_implILb1ES3_PS9_SC_S9_NS6_11hip_rocprim9__find_if7functorIS9_EEEE10hipError_tPvRmT1_T2_T3_mT4_P12ihipStream_tbEUlT_E0_NS1_11comp_targetILNS1_3genE8ELNS1_11target_archE1030ELNS1_3gpuE2ELNS1_3repE0EEENS1_30default_config_static_selectorELNS0_4arch9wavefront6targetE1EEEvSK_,"axG",@progbits,_ZN7rocprim17ROCPRIM_400000_NS6detail17trampoline_kernelINS0_14default_configENS1_22reduce_config_selectorIN6thrust23THRUST_200600_302600_NS5tupleIblNS6_9null_typeES8_S8_S8_S8_S8_S8_S8_EEEEZNS1_11reduce_implILb1ES3_PS9_SC_S9_NS6_11hip_rocprim9__find_if7functorIS9_EEEE10hipError_tPvRmT1_T2_T3_mT4_P12ihipStream_tbEUlT_E0_NS1_11comp_targetILNS1_3genE8ELNS1_11target_archE1030ELNS1_3gpuE2ELNS1_3repE0EEENS1_30default_config_static_selectorELNS0_4arch9wavefront6targetE1EEEvSK_,comdat
	.protected	_ZN7rocprim17ROCPRIM_400000_NS6detail17trampoline_kernelINS0_14default_configENS1_22reduce_config_selectorIN6thrust23THRUST_200600_302600_NS5tupleIblNS6_9null_typeES8_S8_S8_S8_S8_S8_S8_EEEEZNS1_11reduce_implILb1ES3_PS9_SC_S9_NS6_11hip_rocprim9__find_if7functorIS9_EEEE10hipError_tPvRmT1_T2_T3_mT4_P12ihipStream_tbEUlT_E0_NS1_11comp_targetILNS1_3genE8ELNS1_11target_archE1030ELNS1_3gpuE2ELNS1_3repE0EEENS1_30default_config_static_selectorELNS0_4arch9wavefront6targetE1EEEvSK_ ; -- Begin function _ZN7rocprim17ROCPRIM_400000_NS6detail17trampoline_kernelINS0_14default_configENS1_22reduce_config_selectorIN6thrust23THRUST_200600_302600_NS5tupleIblNS6_9null_typeES8_S8_S8_S8_S8_S8_S8_EEEEZNS1_11reduce_implILb1ES3_PS9_SC_S9_NS6_11hip_rocprim9__find_if7functorIS9_EEEE10hipError_tPvRmT1_T2_T3_mT4_P12ihipStream_tbEUlT_E0_NS1_11comp_targetILNS1_3genE8ELNS1_11target_archE1030ELNS1_3gpuE2ELNS1_3repE0EEENS1_30default_config_static_selectorELNS0_4arch9wavefront6targetE1EEEvSK_
	.globl	_ZN7rocprim17ROCPRIM_400000_NS6detail17trampoline_kernelINS0_14default_configENS1_22reduce_config_selectorIN6thrust23THRUST_200600_302600_NS5tupleIblNS6_9null_typeES8_S8_S8_S8_S8_S8_S8_EEEEZNS1_11reduce_implILb1ES3_PS9_SC_S9_NS6_11hip_rocprim9__find_if7functorIS9_EEEE10hipError_tPvRmT1_T2_T3_mT4_P12ihipStream_tbEUlT_E0_NS1_11comp_targetILNS1_3genE8ELNS1_11target_archE1030ELNS1_3gpuE2ELNS1_3repE0EEENS1_30default_config_static_selectorELNS0_4arch9wavefront6targetE1EEEvSK_
	.p2align	8
	.type	_ZN7rocprim17ROCPRIM_400000_NS6detail17trampoline_kernelINS0_14default_configENS1_22reduce_config_selectorIN6thrust23THRUST_200600_302600_NS5tupleIblNS6_9null_typeES8_S8_S8_S8_S8_S8_S8_EEEEZNS1_11reduce_implILb1ES3_PS9_SC_S9_NS6_11hip_rocprim9__find_if7functorIS9_EEEE10hipError_tPvRmT1_T2_T3_mT4_P12ihipStream_tbEUlT_E0_NS1_11comp_targetILNS1_3genE8ELNS1_11target_archE1030ELNS1_3gpuE2ELNS1_3repE0EEENS1_30default_config_static_selectorELNS0_4arch9wavefront6targetE1EEEvSK_,@function
_ZN7rocprim17ROCPRIM_400000_NS6detail17trampoline_kernelINS0_14default_configENS1_22reduce_config_selectorIN6thrust23THRUST_200600_302600_NS5tupleIblNS6_9null_typeES8_S8_S8_S8_S8_S8_S8_EEEEZNS1_11reduce_implILb1ES3_PS9_SC_S9_NS6_11hip_rocprim9__find_if7functorIS9_EEEE10hipError_tPvRmT1_T2_T3_mT4_P12ihipStream_tbEUlT_E0_NS1_11comp_targetILNS1_3genE8ELNS1_11target_archE1030ELNS1_3gpuE2ELNS1_3repE0EEENS1_30default_config_static_selectorELNS0_4arch9wavefront6targetE1EEEvSK_: ; @_ZN7rocprim17ROCPRIM_400000_NS6detail17trampoline_kernelINS0_14default_configENS1_22reduce_config_selectorIN6thrust23THRUST_200600_302600_NS5tupleIblNS6_9null_typeES8_S8_S8_S8_S8_S8_S8_EEEEZNS1_11reduce_implILb1ES3_PS9_SC_S9_NS6_11hip_rocprim9__find_if7functorIS9_EEEE10hipError_tPvRmT1_T2_T3_mT4_P12ihipStream_tbEUlT_E0_NS1_11comp_targetILNS1_3genE8ELNS1_11target_archE1030ELNS1_3gpuE2ELNS1_3repE0EEENS1_30default_config_static_selectorELNS0_4arch9wavefront6targetE1EEEvSK_
; %bb.0:
	.section	.rodata,"a",@progbits
	.p2align	6, 0x0
	.amdhsa_kernel _ZN7rocprim17ROCPRIM_400000_NS6detail17trampoline_kernelINS0_14default_configENS1_22reduce_config_selectorIN6thrust23THRUST_200600_302600_NS5tupleIblNS6_9null_typeES8_S8_S8_S8_S8_S8_S8_EEEEZNS1_11reduce_implILb1ES3_PS9_SC_S9_NS6_11hip_rocprim9__find_if7functorIS9_EEEE10hipError_tPvRmT1_T2_T3_mT4_P12ihipStream_tbEUlT_E0_NS1_11comp_targetILNS1_3genE8ELNS1_11target_archE1030ELNS1_3gpuE2ELNS1_3repE0EEENS1_30default_config_static_selectorELNS0_4arch9wavefront6targetE1EEEvSK_
		.amdhsa_group_segment_fixed_size 0
		.amdhsa_private_segment_fixed_size 0
		.amdhsa_kernarg_size 72
		.amdhsa_user_sgpr_count 6
		.amdhsa_user_sgpr_private_segment_buffer 1
		.amdhsa_user_sgpr_dispatch_ptr 0
		.amdhsa_user_sgpr_queue_ptr 0
		.amdhsa_user_sgpr_kernarg_segment_ptr 1
		.amdhsa_user_sgpr_dispatch_id 0
		.amdhsa_user_sgpr_flat_scratch_init 0
		.amdhsa_user_sgpr_kernarg_preload_length 0
		.amdhsa_user_sgpr_kernarg_preload_offset 0
		.amdhsa_user_sgpr_private_segment_size 0
		.amdhsa_uses_dynamic_stack 0
		.amdhsa_system_sgpr_private_segment_wavefront_offset 0
		.amdhsa_system_sgpr_workgroup_id_x 1
		.amdhsa_system_sgpr_workgroup_id_y 0
		.amdhsa_system_sgpr_workgroup_id_z 0
		.amdhsa_system_sgpr_workgroup_info 0
		.amdhsa_system_vgpr_workitem_id 0
		.amdhsa_next_free_vgpr 1
		.amdhsa_next_free_sgpr 0
		.amdhsa_accum_offset 4
		.amdhsa_reserve_vcc 0
		.amdhsa_reserve_flat_scratch 0
		.amdhsa_float_round_mode_32 0
		.amdhsa_float_round_mode_16_64 0
		.amdhsa_float_denorm_mode_32 3
		.amdhsa_float_denorm_mode_16_64 3
		.amdhsa_dx10_clamp 1
		.amdhsa_ieee_mode 1
		.amdhsa_fp16_overflow 0
		.amdhsa_tg_split 0
		.amdhsa_exception_fp_ieee_invalid_op 0
		.amdhsa_exception_fp_denorm_src 0
		.amdhsa_exception_fp_ieee_div_zero 0
		.amdhsa_exception_fp_ieee_overflow 0
		.amdhsa_exception_fp_ieee_underflow 0
		.amdhsa_exception_fp_ieee_inexact 0
		.amdhsa_exception_int_div_zero 0
	.end_amdhsa_kernel
	.section	.text._ZN7rocprim17ROCPRIM_400000_NS6detail17trampoline_kernelINS0_14default_configENS1_22reduce_config_selectorIN6thrust23THRUST_200600_302600_NS5tupleIblNS6_9null_typeES8_S8_S8_S8_S8_S8_S8_EEEEZNS1_11reduce_implILb1ES3_PS9_SC_S9_NS6_11hip_rocprim9__find_if7functorIS9_EEEE10hipError_tPvRmT1_T2_T3_mT4_P12ihipStream_tbEUlT_E0_NS1_11comp_targetILNS1_3genE8ELNS1_11target_archE1030ELNS1_3gpuE2ELNS1_3repE0EEENS1_30default_config_static_selectorELNS0_4arch9wavefront6targetE1EEEvSK_,"axG",@progbits,_ZN7rocprim17ROCPRIM_400000_NS6detail17trampoline_kernelINS0_14default_configENS1_22reduce_config_selectorIN6thrust23THRUST_200600_302600_NS5tupleIblNS6_9null_typeES8_S8_S8_S8_S8_S8_S8_EEEEZNS1_11reduce_implILb1ES3_PS9_SC_S9_NS6_11hip_rocprim9__find_if7functorIS9_EEEE10hipError_tPvRmT1_T2_T3_mT4_P12ihipStream_tbEUlT_E0_NS1_11comp_targetILNS1_3genE8ELNS1_11target_archE1030ELNS1_3gpuE2ELNS1_3repE0EEENS1_30default_config_static_selectorELNS0_4arch9wavefront6targetE1EEEvSK_,comdat
.Lfunc_end44:
	.size	_ZN7rocprim17ROCPRIM_400000_NS6detail17trampoline_kernelINS0_14default_configENS1_22reduce_config_selectorIN6thrust23THRUST_200600_302600_NS5tupleIblNS6_9null_typeES8_S8_S8_S8_S8_S8_S8_EEEEZNS1_11reduce_implILb1ES3_PS9_SC_S9_NS6_11hip_rocprim9__find_if7functorIS9_EEEE10hipError_tPvRmT1_T2_T3_mT4_P12ihipStream_tbEUlT_E0_NS1_11comp_targetILNS1_3genE8ELNS1_11target_archE1030ELNS1_3gpuE2ELNS1_3repE0EEENS1_30default_config_static_selectorELNS0_4arch9wavefront6targetE1EEEvSK_, .Lfunc_end44-_ZN7rocprim17ROCPRIM_400000_NS6detail17trampoline_kernelINS0_14default_configENS1_22reduce_config_selectorIN6thrust23THRUST_200600_302600_NS5tupleIblNS6_9null_typeES8_S8_S8_S8_S8_S8_S8_EEEEZNS1_11reduce_implILb1ES3_PS9_SC_S9_NS6_11hip_rocprim9__find_if7functorIS9_EEEE10hipError_tPvRmT1_T2_T3_mT4_P12ihipStream_tbEUlT_E0_NS1_11comp_targetILNS1_3genE8ELNS1_11target_archE1030ELNS1_3gpuE2ELNS1_3repE0EEENS1_30default_config_static_selectorELNS0_4arch9wavefront6targetE1EEEvSK_
                                        ; -- End function
	.section	.AMDGPU.csdata,"",@progbits
; Kernel info:
; codeLenInByte = 0
; NumSgprs: 4
; NumVgprs: 0
; NumAgprs: 0
; TotalNumVgprs: 0
; ScratchSize: 0
; MemoryBound: 0
; FloatMode: 240
; IeeeMode: 1
; LDSByteSize: 0 bytes/workgroup (compile time only)
; SGPRBlocks: 0
; VGPRBlocks: 0
; NumSGPRsForWavesPerEU: 4
; NumVGPRsForWavesPerEU: 1
; AccumOffset: 4
; Occupancy: 8
; WaveLimiterHint : 0
; COMPUTE_PGM_RSRC2:SCRATCH_EN: 0
; COMPUTE_PGM_RSRC2:USER_SGPR: 6
; COMPUTE_PGM_RSRC2:TRAP_HANDLER: 0
; COMPUTE_PGM_RSRC2:TGID_X_EN: 1
; COMPUTE_PGM_RSRC2:TGID_Y_EN: 0
; COMPUTE_PGM_RSRC2:TGID_Z_EN: 0
; COMPUTE_PGM_RSRC2:TIDIG_COMP_CNT: 0
; COMPUTE_PGM_RSRC3_GFX90A:ACCUM_OFFSET: 0
; COMPUTE_PGM_RSRC3_GFX90A:TG_SPLIT: 0
	.section	.text._ZN7rocprim17ROCPRIM_400000_NS6detail17trampoline_kernelINS0_14default_configENS1_22reduce_config_selectorIN6thrust23THRUST_200600_302600_NS5tupleIblNS6_9null_typeES8_S8_S8_S8_S8_S8_S8_EEEEZNS1_11reduce_implILb1ES3_PS9_SC_S9_NS6_11hip_rocprim9__find_if7functorIS9_EEEE10hipError_tPvRmT1_T2_T3_mT4_P12ihipStream_tbEUlT_E1_NS1_11comp_targetILNS1_3genE0ELNS1_11target_archE4294967295ELNS1_3gpuE0ELNS1_3repE0EEENS1_30default_config_static_selectorELNS0_4arch9wavefront6targetE1EEEvSK_,"axG",@progbits,_ZN7rocprim17ROCPRIM_400000_NS6detail17trampoline_kernelINS0_14default_configENS1_22reduce_config_selectorIN6thrust23THRUST_200600_302600_NS5tupleIblNS6_9null_typeES8_S8_S8_S8_S8_S8_S8_EEEEZNS1_11reduce_implILb1ES3_PS9_SC_S9_NS6_11hip_rocprim9__find_if7functorIS9_EEEE10hipError_tPvRmT1_T2_T3_mT4_P12ihipStream_tbEUlT_E1_NS1_11comp_targetILNS1_3genE0ELNS1_11target_archE4294967295ELNS1_3gpuE0ELNS1_3repE0EEENS1_30default_config_static_selectorELNS0_4arch9wavefront6targetE1EEEvSK_,comdat
	.protected	_ZN7rocprim17ROCPRIM_400000_NS6detail17trampoline_kernelINS0_14default_configENS1_22reduce_config_selectorIN6thrust23THRUST_200600_302600_NS5tupleIblNS6_9null_typeES8_S8_S8_S8_S8_S8_S8_EEEEZNS1_11reduce_implILb1ES3_PS9_SC_S9_NS6_11hip_rocprim9__find_if7functorIS9_EEEE10hipError_tPvRmT1_T2_T3_mT4_P12ihipStream_tbEUlT_E1_NS1_11comp_targetILNS1_3genE0ELNS1_11target_archE4294967295ELNS1_3gpuE0ELNS1_3repE0EEENS1_30default_config_static_selectorELNS0_4arch9wavefront6targetE1EEEvSK_ ; -- Begin function _ZN7rocprim17ROCPRIM_400000_NS6detail17trampoline_kernelINS0_14default_configENS1_22reduce_config_selectorIN6thrust23THRUST_200600_302600_NS5tupleIblNS6_9null_typeES8_S8_S8_S8_S8_S8_S8_EEEEZNS1_11reduce_implILb1ES3_PS9_SC_S9_NS6_11hip_rocprim9__find_if7functorIS9_EEEE10hipError_tPvRmT1_T2_T3_mT4_P12ihipStream_tbEUlT_E1_NS1_11comp_targetILNS1_3genE0ELNS1_11target_archE4294967295ELNS1_3gpuE0ELNS1_3repE0EEENS1_30default_config_static_selectorELNS0_4arch9wavefront6targetE1EEEvSK_
	.globl	_ZN7rocprim17ROCPRIM_400000_NS6detail17trampoline_kernelINS0_14default_configENS1_22reduce_config_selectorIN6thrust23THRUST_200600_302600_NS5tupleIblNS6_9null_typeES8_S8_S8_S8_S8_S8_S8_EEEEZNS1_11reduce_implILb1ES3_PS9_SC_S9_NS6_11hip_rocprim9__find_if7functorIS9_EEEE10hipError_tPvRmT1_T2_T3_mT4_P12ihipStream_tbEUlT_E1_NS1_11comp_targetILNS1_3genE0ELNS1_11target_archE4294967295ELNS1_3gpuE0ELNS1_3repE0EEENS1_30default_config_static_selectorELNS0_4arch9wavefront6targetE1EEEvSK_
	.p2align	8
	.type	_ZN7rocprim17ROCPRIM_400000_NS6detail17trampoline_kernelINS0_14default_configENS1_22reduce_config_selectorIN6thrust23THRUST_200600_302600_NS5tupleIblNS6_9null_typeES8_S8_S8_S8_S8_S8_S8_EEEEZNS1_11reduce_implILb1ES3_PS9_SC_S9_NS6_11hip_rocprim9__find_if7functorIS9_EEEE10hipError_tPvRmT1_T2_T3_mT4_P12ihipStream_tbEUlT_E1_NS1_11comp_targetILNS1_3genE0ELNS1_11target_archE4294967295ELNS1_3gpuE0ELNS1_3repE0EEENS1_30default_config_static_selectorELNS0_4arch9wavefront6targetE1EEEvSK_,@function
_ZN7rocprim17ROCPRIM_400000_NS6detail17trampoline_kernelINS0_14default_configENS1_22reduce_config_selectorIN6thrust23THRUST_200600_302600_NS5tupleIblNS6_9null_typeES8_S8_S8_S8_S8_S8_S8_EEEEZNS1_11reduce_implILb1ES3_PS9_SC_S9_NS6_11hip_rocprim9__find_if7functorIS9_EEEE10hipError_tPvRmT1_T2_T3_mT4_P12ihipStream_tbEUlT_E1_NS1_11comp_targetILNS1_3genE0ELNS1_11target_archE4294967295ELNS1_3gpuE0ELNS1_3repE0EEENS1_30default_config_static_selectorELNS0_4arch9wavefront6targetE1EEEvSK_: ; @_ZN7rocprim17ROCPRIM_400000_NS6detail17trampoline_kernelINS0_14default_configENS1_22reduce_config_selectorIN6thrust23THRUST_200600_302600_NS5tupleIblNS6_9null_typeES8_S8_S8_S8_S8_S8_S8_EEEEZNS1_11reduce_implILb1ES3_PS9_SC_S9_NS6_11hip_rocprim9__find_if7functorIS9_EEEE10hipError_tPvRmT1_T2_T3_mT4_P12ihipStream_tbEUlT_E1_NS1_11comp_targetILNS1_3genE0ELNS1_11target_archE4294967295ELNS1_3gpuE0ELNS1_3repE0EEENS1_30default_config_static_selectorELNS0_4arch9wavefront6targetE1EEEvSK_
; %bb.0:
	.section	.rodata,"a",@progbits
	.p2align	6, 0x0
	.amdhsa_kernel _ZN7rocprim17ROCPRIM_400000_NS6detail17trampoline_kernelINS0_14default_configENS1_22reduce_config_selectorIN6thrust23THRUST_200600_302600_NS5tupleIblNS6_9null_typeES8_S8_S8_S8_S8_S8_S8_EEEEZNS1_11reduce_implILb1ES3_PS9_SC_S9_NS6_11hip_rocprim9__find_if7functorIS9_EEEE10hipError_tPvRmT1_T2_T3_mT4_P12ihipStream_tbEUlT_E1_NS1_11comp_targetILNS1_3genE0ELNS1_11target_archE4294967295ELNS1_3gpuE0ELNS1_3repE0EEENS1_30default_config_static_selectorELNS0_4arch9wavefront6targetE1EEEvSK_
		.amdhsa_group_segment_fixed_size 0
		.amdhsa_private_segment_fixed_size 0
		.amdhsa_kernarg_size 56
		.amdhsa_user_sgpr_count 6
		.amdhsa_user_sgpr_private_segment_buffer 1
		.amdhsa_user_sgpr_dispatch_ptr 0
		.amdhsa_user_sgpr_queue_ptr 0
		.amdhsa_user_sgpr_kernarg_segment_ptr 1
		.amdhsa_user_sgpr_dispatch_id 0
		.amdhsa_user_sgpr_flat_scratch_init 0
		.amdhsa_user_sgpr_kernarg_preload_length 0
		.amdhsa_user_sgpr_kernarg_preload_offset 0
		.amdhsa_user_sgpr_private_segment_size 0
		.amdhsa_uses_dynamic_stack 0
		.amdhsa_system_sgpr_private_segment_wavefront_offset 0
		.amdhsa_system_sgpr_workgroup_id_x 1
		.amdhsa_system_sgpr_workgroup_id_y 0
		.amdhsa_system_sgpr_workgroup_id_z 0
		.amdhsa_system_sgpr_workgroup_info 0
		.amdhsa_system_vgpr_workitem_id 0
		.amdhsa_next_free_vgpr 1
		.amdhsa_next_free_sgpr 0
		.amdhsa_accum_offset 4
		.amdhsa_reserve_vcc 0
		.amdhsa_reserve_flat_scratch 0
		.amdhsa_float_round_mode_32 0
		.amdhsa_float_round_mode_16_64 0
		.amdhsa_float_denorm_mode_32 3
		.amdhsa_float_denorm_mode_16_64 3
		.amdhsa_dx10_clamp 1
		.amdhsa_ieee_mode 1
		.amdhsa_fp16_overflow 0
		.amdhsa_tg_split 0
		.amdhsa_exception_fp_ieee_invalid_op 0
		.amdhsa_exception_fp_denorm_src 0
		.amdhsa_exception_fp_ieee_div_zero 0
		.amdhsa_exception_fp_ieee_overflow 0
		.amdhsa_exception_fp_ieee_underflow 0
		.amdhsa_exception_fp_ieee_inexact 0
		.amdhsa_exception_int_div_zero 0
	.end_amdhsa_kernel
	.section	.text._ZN7rocprim17ROCPRIM_400000_NS6detail17trampoline_kernelINS0_14default_configENS1_22reduce_config_selectorIN6thrust23THRUST_200600_302600_NS5tupleIblNS6_9null_typeES8_S8_S8_S8_S8_S8_S8_EEEEZNS1_11reduce_implILb1ES3_PS9_SC_S9_NS6_11hip_rocprim9__find_if7functorIS9_EEEE10hipError_tPvRmT1_T2_T3_mT4_P12ihipStream_tbEUlT_E1_NS1_11comp_targetILNS1_3genE0ELNS1_11target_archE4294967295ELNS1_3gpuE0ELNS1_3repE0EEENS1_30default_config_static_selectorELNS0_4arch9wavefront6targetE1EEEvSK_,"axG",@progbits,_ZN7rocprim17ROCPRIM_400000_NS6detail17trampoline_kernelINS0_14default_configENS1_22reduce_config_selectorIN6thrust23THRUST_200600_302600_NS5tupleIblNS6_9null_typeES8_S8_S8_S8_S8_S8_S8_EEEEZNS1_11reduce_implILb1ES3_PS9_SC_S9_NS6_11hip_rocprim9__find_if7functorIS9_EEEE10hipError_tPvRmT1_T2_T3_mT4_P12ihipStream_tbEUlT_E1_NS1_11comp_targetILNS1_3genE0ELNS1_11target_archE4294967295ELNS1_3gpuE0ELNS1_3repE0EEENS1_30default_config_static_selectorELNS0_4arch9wavefront6targetE1EEEvSK_,comdat
.Lfunc_end45:
	.size	_ZN7rocprim17ROCPRIM_400000_NS6detail17trampoline_kernelINS0_14default_configENS1_22reduce_config_selectorIN6thrust23THRUST_200600_302600_NS5tupleIblNS6_9null_typeES8_S8_S8_S8_S8_S8_S8_EEEEZNS1_11reduce_implILb1ES3_PS9_SC_S9_NS6_11hip_rocprim9__find_if7functorIS9_EEEE10hipError_tPvRmT1_T2_T3_mT4_P12ihipStream_tbEUlT_E1_NS1_11comp_targetILNS1_3genE0ELNS1_11target_archE4294967295ELNS1_3gpuE0ELNS1_3repE0EEENS1_30default_config_static_selectorELNS0_4arch9wavefront6targetE1EEEvSK_, .Lfunc_end45-_ZN7rocprim17ROCPRIM_400000_NS6detail17trampoline_kernelINS0_14default_configENS1_22reduce_config_selectorIN6thrust23THRUST_200600_302600_NS5tupleIblNS6_9null_typeES8_S8_S8_S8_S8_S8_S8_EEEEZNS1_11reduce_implILb1ES3_PS9_SC_S9_NS6_11hip_rocprim9__find_if7functorIS9_EEEE10hipError_tPvRmT1_T2_T3_mT4_P12ihipStream_tbEUlT_E1_NS1_11comp_targetILNS1_3genE0ELNS1_11target_archE4294967295ELNS1_3gpuE0ELNS1_3repE0EEENS1_30default_config_static_selectorELNS0_4arch9wavefront6targetE1EEEvSK_
                                        ; -- End function
	.section	.AMDGPU.csdata,"",@progbits
; Kernel info:
; codeLenInByte = 0
; NumSgprs: 4
; NumVgprs: 0
; NumAgprs: 0
; TotalNumVgprs: 0
; ScratchSize: 0
; MemoryBound: 0
; FloatMode: 240
; IeeeMode: 1
; LDSByteSize: 0 bytes/workgroup (compile time only)
; SGPRBlocks: 0
; VGPRBlocks: 0
; NumSGPRsForWavesPerEU: 4
; NumVGPRsForWavesPerEU: 1
; AccumOffset: 4
; Occupancy: 8
; WaveLimiterHint : 0
; COMPUTE_PGM_RSRC2:SCRATCH_EN: 0
; COMPUTE_PGM_RSRC2:USER_SGPR: 6
; COMPUTE_PGM_RSRC2:TRAP_HANDLER: 0
; COMPUTE_PGM_RSRC2:TGID_X_EN: 1
; COMPUTE_PGM_RSRC2:TGID_Y_EN: 0
; COMPUTE_PGM_RSRC2:TGID_Z_EN: 0
; COMPUTE_PGM_RSRC2:TIDIG_COMP_CNT: 0
; COMPUTE_PGM_RSRC3_GFX90A:ACCUM_OFFSET: 0
; COMPUTE_PGM_RSRC3_GFX90A:TG_SPLIT: 0
	.section	.text._ZN7rocprim17ROCPRIM_400000_NS6detail17trampoline_kernelINS0_14default_configENS1_22reduce_config_selectorIN6thrust23THRUST_200600_302600_NS5tupleIblNS6_9null_typeES8_S8_S8_S8_S8_S8_S8_EEEEZNS1_11reduce_implILb1ES3_PS9_SC_S9_NS6_11hip_rocprim9__find_if7functorIS9_EEEE10hipError_tPvRmT1_T2_T3_mT4_P12ihipStream_tbEUlT_E1_NS1_11comp_targetILNS1_3genE5ELNS1_11target_archE942ELNS1_3gpuE9ELNS1_3repE0EEENS1_30default_config_static_selectorELNS0_4arch9wavefront6targetE1EEEvSK_,"axG",@progbits,_ZN7rocprim17ROCPRIM_400000_NS6detail17trampoline_kernelINS0_14default_configENS1_22reduce_config_selectorIN6thrust23THRUST_200600_302600_NS5tupleIblNS6_9null_typeES8_S8_S8_S8_S8_S8_S8_EEEEZNS1_11reduce_implILb1ES3_PS9_SC_S9_NS6_11hip_rocprim9__find_if7functorIS9_EEEE10hipError_tPvRmT1_T2_T3_mT4_P12ihipStream_tbEUlT_E1_NS1_11comp_targetILNS1_3genE5ELNS1_11target_archE942ELNS1_3gpuE9ELNS1_3repE0EEENS1_30default_config_static_selectorELNS0_4arch9wavefront6targetE1EEEvSK_,comdat
	.protected	_ZN7rocprim17ROCPRIM_400000_NS6detail17trampoline_kernelINS0_14default_configENS1_22reduce_config_selectorIN6thrust23THRUST_200600_302600_NS5tupleIblNS6_9null_typeES8_S8_S8_S8_S8_S8_S8_EEEEZNS1_11reduce_implILb1ES3_PS9_SC_S9_NS6_11hip_rocprim9__find_if7functorIS9_EEEE10hipError_tPvRmT1_T2_T3_mT4_P12ihipStream_tbEUlT_E1_NS1_11comp_targetILNS1_3genE5ELNS1_11target_archE942ELNS1_3gpuE9ELNS1_3repE0EEENS1_30default_config_static_selectorELNS0_4arch9wavefront6targetE1EEEvSK_ ; -- Begin function _ZN7rocprim17ROCPRIM_400000_NS6detail17trampoline_kernelINS0_14default_configENS1_22reduce_config_selectorIN6thrust23THRUST_200600_302600_NS5tupleIblNS6_9null_typeES8_S8_S8_S8_S8_S8_S8_EEEEZNS1_11reduce_implILb1ES3_PS9_SC_S9_NS6_11hip_rocprim9__find_if7functorIS9_EEEE10hipError_tPvRmT1_T2_T3_mT4_P12ihipStream_tbEUlT_E1_NS1_11comp_targetILNS1_3genE5ELNS1_11target_archE942ELNS1_3gpuE9ELNS1_3repE0EEENS1_30default_config_static_selectorELNS0_4arch9wavefront6targetE1EEEvSK_
	.globl	_ZN7rocprim17ROCPRIM_400000_NS6detail17trampoline_kernelINS0_14default_configENS1_22reduce_config_selectorIN6thrust23THRUST_200600_302600_NS5tupleIblNS6_9null_typeES8_S8_S8_S8_S8_S8_S8_EEEEZNS1_11reduce_implILb1ES3_PS9_SC_S9_NS6_11hip_rocprim9__find_if7functorIS9_EEEE10hipError_tPvRmT1_T2_T3_mT4_P12ihipStream_tbEUlT_E1_NS1_11comp_targetILNS1_3genE5ELNS1_11target_archE942ELNS1_3gpuE9ELNS1_3repE0EEENS1_30default_config_static_selectorELNS0_4arch9wavefront6targetE1EEEvSK_
	.p2align	8
	.type	_ZN7rocprim17ROCPRIM_400000_NS6detail17trampoline_kernelINS0_14default_configENS1_22reduce_config_selectorIN6thrust23THRUST_200600_302600_NS5tupleIblNS6_9null_typeES8_S8_S8_S8_S8_S8_S8_EEEEZNS1_11reduce_implILb1ES3_PS9_SC_S9_NS6_11hip_rocprim9__find_if7functorIS9_EEEE10hipError_tPvRmT1_T2_T3_mT4_P12ihipStream_tbEUlT_E1_NS1_11comp_targetILNS1_3genE5ELNS1_11target_archE942ELNS1_3gpuE9ELNS1_3repE0EEENS1_30default_config_static_selectorELNS0_4arch9wavefront6targetE1EEEvSK_,@function
_ZN7rocprim17ROCPRIM_400000_NS6detail17trampoline_kernelINS0_14default_configENS1_22reduce_config_selectorIN6thrust23THRUST_200600_302600_NS5tupleIblNS6_9null_typeES8_S8_S8_S8_S8_S8_S8_EEEEZNS1_11reduce_implILb1ES3_PS9_SC_S9_NS6_11hip_rocprim9__find_if7functorIS9_EEEE10hipError_tPvRmT1_T2_T3_mT4_P12ihipStream_tbEUlT_E1_NS1_11comp_targetILNS1_3genE5ELNS1_11target_archE942ELNS1_3gpuE9ELNS1_3repE0EEENS1_30default_config_static_selectorELNS0_4arch9wavefront6targetE1EEEvSK_: ; @_ZN7rocprim17ROCPRIM_400000_NS6detail17trampoline_kernelINS0_14default_configENS1_22reduce_config_selectorIN6thrust23THRUST_200600_302600_NS5tupleIblNS6_9null_typeES8_S8_S8_S8_S8_S8_S8_EEEEZNS1_11reduce_implILb1ES3_PS9_SC_S9_NS6_11hip_rocprim9__find_if7functorIS9_EEEE10hipError_tPvRmT1_T2_T3_mT4_P12ihipStream_tbEUlT_E1_NS1_11comp_targetILNS1_3genE5ELNS1_11target_archE942ELNS1_3gpuE9ELNS1_3repE0EEENS1_30default_config_static_selectorELNS0_4arch9wavefront6targetE1EEEvSK_
; %bb.0:
	.section	.rodata,"a",@progbits
	.p2align	6, 0x0
	.amdhsa_kernel _ZN7rocprim17ROCPRIM_400000_NS6detail17trampoline_kernelINS0_14default_configENS1_22reduce_config_selectorIN6thrust23THRUST_200600_302600_NS5tupleIblNS6_9null_typeES8_S8_S8_S8_S8_S8_S8_EEEEZNS1_11reduce_implILb1ES3_PS9_SC_S9_NS6_11hip_rocprim9__find_if7functorIS9_EEEE10hipError_tPvRmT1_T2_T3_mT4_P12ihipStream_tbEUlT_E1_NS1_11comp_targetILNS1_3genE5ELNS1_11target_archE942ELNS1_3gpuE9ELNS1_3repE0EEENS1_30default_config_static_selectorELNS0_4arch9wavefront6targetE1EEEvSK_
		.amdhsa_group_segment_fixed_size 0
		.amdhsa_private_segment_fixed_size 0
		.amdhsa_kernarg_size 56
		.amdhsa_user_sgpr_count 6
		.amdhsa_user_sgpr_private_segment_buffer 1
		.amdhsa_user_sgpr_dispatch_ptr 0
		.amdhsa_user_sgpr_queue_ptr 0
		.amdhsa_user_sgpr_kernarg_segment_ptr 1
		.amdhsa_user_sgpr_dispatch_id 0
		.amdhsa_user_sgpr_flat_scratch_init 0
		.amdhsa_user_sgpr_kernarg_preload_length 0
		.amdhsa_user_sgpr_kernarg_preload_offset 0
		.amdhsa_user_sgpr_private_segment_size 0
		.amdhsa_uses_dynamic_stack 0
		.amdhsa_system_sgpr_private_segment_wavefront_offset 0
		.amdhsa_system_sgpr_workgroup_id_x 1
		.amdhsa_system_sgpr_workgroup_id_y 0
		.amdhsa_system_sgpr_workgroup_id_z 0
		.amdhsa_system_sgpr_workgroup_info 0
		.amdhsa_system_vgpr_workitem_id 0
		.amdhsa_next_free_vgpr 1
		.amdhsa_next_free_sgpr 0
		.amdhsa_accum_offset 4
		.amdhsa_reserve_vcc 0
		.amdhsa_reserve_flat_scratch 0
		.amdhsa_float_round_mode_32 0
		.amdhsa_float_round_mode_16_64 0
		.amdhsa_float_denorm_mode_32 3
		.amdhsa_float_denorm_mode_16_64 3
		.amdhsa_dx10_clamp 1
		.amdhsa_ieee_mode 1
		.amdhsa_fp16_overflow 0
		.amdhsa_tg_split 0
		.amdhsa_exception_fp_ieee_invalid_op 0
		.amdhsa_exception_fp_denorm_src 0
		.amdhsa_exception_fp_ieee_div_zero 0
		.amdhsa_exception_fp_ieee_overflow 0
		.amdhsa_exception_fp_ieee_underflow 0
		.amdhsa_exception_fp_ieee_inexact 0
		.amdhsa_exception_int_div_zero 0
	.end_amdhsa_kernel
	.section	.text._ZN7rocprim17ROCPRIM_400000_NS6detail17trampoline_kernelINS0_14default_configENS1_22reduce_config_selectorIN6thrust23THRUST_200600_302600_NS5tupleIblNS6_9null_typeES8_S8_S8_S8_S8_S8_S8_EEEEZNS1_11reduce_implILb1ES3_PS9_SC_S9_NS6_11hip_rocprim9__find_if7functorIS9_EEEE10hipError_tPvRmT1_T2_T3_mT4_P12ihipStream_tbEUlT_E1_NS1_11comp_targetILNS1_3genE5ELNS1_11target_archE942ELNS1_3gpuE9ELNS1_3repE0EEENS1_30default_config_static_selectorELNS0_4arch9wavefront6targetE1EEEvSK_,"axG",@progbits,_ZN7rocprim17ROCPRIM_400000_NS6detail17trampoline_kernelINS0_14default_configENS1_22reduce_config_selectorIN6thrust23THRUST_200600_302600_NS5tupleIblNS6_9null_typeES8_S8_S8_S8_S8_S8_S8_EEEEZNS1_11reduce_implILb1ES3_PS9_SC_S9_NS6_11hip_rocprim9__find_if7functorIS9_EEEE10hipError_tPvRmT1_T2_T3_mT4_P12ihipStream_tbEUlT_E1_NS1_11comp_targetILNS1_3genE5ELNS1_11target_archE942ELNS1_3gpuE9ELNS1_3repE0EEENS1_30default_config_static_selectorELNS0_4arch9wavefront6targetE1EEEvSK_,comdat
.Lfunc_end46:
	.size	_ZN7rocprim17ROCPRIM_400000_NS6detail17trampoline_kernelINS0_14default_configENS1_22reduce_config_selectorIN6thrust23THRUST_200600_302600_NS5tupleIblNS6_9null_typeES8_S8_S8_S8_S8_S8_S8_EEEEZNS1_11reduce_implILb1ES3_PS9_SC_S9_NS6_11hip_rocprim9__find_if7functorIS9_EEEE10hipError_tPvRmT1_T2_T3_mT4_P12ihipStream_tbEUlT_E1_NS1_11comp_targetILNS1_3genE5ELNS1_11target_archE942ELNS1_3gpuE9ELNS1_3repE0EEENS1_30default_config_static_selectorELNS0_4arch9wavefront6targetE1EEEvSK_, .Lfunc_end46-_ZN7rocprim17ROCPRIM_400000_NS6detail17trampoline_kernelINS0_14default_configENS1_22reduce_config_selectorIN6thrust23THRUST_200600_302600_NS5tupleIblNS6_9null_typeES8_S8_S8_S8_S8_S8_S8_EEEEZNS1_11reduce_implILb1ES3_PS9_SC_S9_NS6_11hip_rocprim9__find_if7functorIS9_EEEE10hipError_tPvRmT1_T2_T3_mT4_P12ihipStream_tbEUlT_E1_NS1_11comp_targetILNS1_3genE5ELNS1_11target_archE942ELNS1_3gpuE9ELNS1_3repE0EEENS1_30default_config_static_selectorELNS0_4arch9wavefront6targetE1EEEvSK_
                                        ; -- End function
	.section	.AMDGPU.csdata,"",@progbits
; Kernel info:
; codeLenInByte = 0
; NumSgprs: 4
; NumVgprs: 0
; NumAgprs: 0
; TotalNumVgprs: 0
; ScratchSize: 0
; MemoryBound: 0
; FloatMode: 240
; IeeeMode: 1
; LDSByteSize: 0 bytes/workgroup (compile time only)
; SGPRBlocks: 0
; VGPRBlocks: 0
; NumSGPRsForWavesPerEU: 4
; NumVGPRsForWavesPerEU: 1
; AccumOffset: 4
; Occupancy: 8
; WaveLimiterHint : 0
; COMPUTE_PGM_RSRC2:SCRATCH_EN: 0
; COMPUTE_PGM_RSRC2:USER_SGPR: 6
; COMPUTE_PGM_RSRC2:TRAP_HANDLER: 0
; COMPUTE_PGM_RSRC2:TGID_X_EN: 1
; COMPUTE_PGM_RSRC2:TGID_Y_EN: 0
; COMPUTE_PGM_RSRC2:TGID_Z_EN: 0
; COMPUTE_PGM_RSRC2:TIDIG_COMP_CNT: 0
; COMPUTE_PGM_RSRC3_GFX90A:ACCUM_OFFSET: 0
; COMPUTE_PGM_RSRC3_GFX90A:TG_SPLIT: 0
	.section	.text._ZN7rocprim17ROCPRIM_400000_NS6detail17trampoline_kernelINS0_14default_configENS1_22reduce_config_selectorIN6thrust23THRUST_200600_302600_NS5tupleIblNS6_9null_typeES8_S8_S8_S8_S8_S8_S8_EEEEZNS1_11reduce_implILb1ES3_PS9_SC_S9_NS6_11hip_rocprim9__find_if7functorIS9_EEEE10hipError_tPvRmT1_T2_T3_mT4_P12ihipStream_tbEUlT_E1_NS1_11comp_targetILNS1_3genE4ELNS1_11target_archE910ELNS1_3gpuE8ELNS1_3repE0EEENS1_30default_config_static_selectorELNS0_4arch9wavefront6targetE1EEEvSK_,"axG",@progbits,_ZN7rocprim17ROCPRIM_400000_NS6detail17trampoline_kernelINS0_14default_configENS1_22reduce_config_selectorIN6thrust23THRUST_200600_302600_NS5tupleIblNS6_9null_typeES8_S8_S8_S8_S8_S8_S8_EEEEZNS1_11reduce_implILb1ES3_PS9_SC_S9_NS6_11hip_rocprim9__find_if7functorIS9_EEEE10hipError_tPvRmT1_T2_T3_mT4_P12ihipStream_tbEUlT_E1_NS1_11comp_targetILNS1_3genE4ELNS1_11target_archE910ELNS1_3gpuE8ELNS1_3repE0EEENS1_30default_config_static_selectorELNS0_4arch9wavefront6targetE1EEEvSK_,comdat
	.protected	_ZN7rocprim17ROCPRIM_400000_NS6detail17trampoline_kernelINS0_14default_configENS1_22reduce_config_selectorIN6thrust23THRUST_200600_302600_NS5tupleIblNS6_9null_typeES8_S8_S8_S8_S8_S8_S8_EEEEZNS1_11reduce_implILb1ES3_PS9_SC_S9_NS6_11hip_rocprim9__find_if7functorIS9_EEEE10hipError_tPvRmT1_T2_T3_mT4_P12ihipStream_tbEUlT_E1_NS1_11comp_targetILNS1_3genE4ELNS1_11target_archE910ELNS1_3gpuE8ELNS1_3repE0EEENS1_30default_config_static_selectorELNS0_4arch9wavefront6targetE1EEEvSK_ ; -- Begin function _ZN7rocprim17ROCPRIM_400000_NS6detail17trampoline_kernelINS0_14default_configENS1_22reduce_config_selectorIN6thrust23THRUST_200600_302600_NS5tupleIblNS6_9null_typeES8_S8_S8_S8_S8_S8_S8_EEEEZNS1_11reduce_implILb1ES3_PS9_SC_S9_NS6_11hip_rocprim9__find_if7functorIS9_EEEE10hipError_tPvRmT1_T2_T3_mT4_P12ihipStream_tbEUlT_E1_NS1_11comp_targetILNS1_3genE4ELNS1_11target_archE910ELNS1_3gpuE8ELNS1_3repE0EEENS1_30default_config_static_selectorELNS0_4arch9wavefront6targetE1EEEvSK_
	.globl	_ZN7rocprim17ROCPRIM_400000_NS6detail17trampoline_kernelINS0_14default_configENS1_22reduce_config_selectorIN6thrust23THRUST_200600_302600_NS5tupleIblNS6_9null_typeES8_S8_S8_S8_S8_S8_S8_EEEEZNS1_11reduce_implILb1ES3_PS9_SC_S9_NS6_11hip_rocprim9__find_if7functorIS9_EEEE10hipError_tPvRmT1_T2_T3_mT4_P12ihipStream_tbEUlT_E1_NS1_11comp_targetILNS1_3genE4ELNS1_11target_archE910ELNS1_3gpuE8ELNS1_3repE0EEENS1_30default_config_static_selectorELNS0_4arch9wavefront6targetE1EEEvSK_
	.p2align	8
	.type	_ZN7rocprim17ROCPRIM_400000_NS6detail17trampoline_kernelINS0_14default_configENS1_22reduce_config_selectorIN6thrust23THRUST_200600_302600_NS5tupleIblNS6_9null_typeES8_S8_S8_S8_S8_S8_S8_EEEEZNS1_11reduce_implILb1ES3_PS9_SC_S9_NS6_11hip_rocprim9__find_if7functorIS9_EEEE10hipError_tPvRmT1_T2_T3_mT4_P12ihipStream_tbEUlT_E1_NS1_11comp_targetILNS1_3genE4ELNS1_11target_archE910ELNS1_3gpuE8ELNS1_3repE0EEENS1_30default_config_static_selectorELNS0_4arch9wavefront6targetE1EEEvSK_,@function
_ZN7rocprim17ROCPRIM_400000_NS6detail17trampoline_kernelINS0_14default_configENS1_22reduce_config_selectorIN6thrust23THRUST_200600_302600_NS5tupleIblNS6_9null_typeES8_S8_S8_S8_S8_S8_S8_EEEEZNS1_11reduce_implILb1ES3_PS9_SC_S9_NS6_11hip_rocprim9__find_if7functorIS9_EEEE10hipError_tPvRmT1_T2_T3_mT4_P12ihipStream_tbEUlT_E1_NS1_11comp_targetILNS1_3genE4ELNS1_11target_archE910ELNS1_3gpuE8ELNS1_3repE0EEENS1_30default_config_static_selectorELNS0_4arch9wavefront6targetE1EEEvSK_: ; @_ZN7rocprim17ROCPRIM_400000_NS6detail17trampoline_kernelINS0_14default_configENS1_22reduce_config_selectorIN6thrust23THRUST_200600_302600_NS5tupleIblNS6_9null_typeES8_S8_S8_S8_S8_S8_S8_EEEEZNS1_11reduce_implILb1ES3_PS9_SC_S9_NS6_11hip_rocprim9__find_if7functorIS9_EEEE10hipError_tPvRmT1_T2_T3_mT4_P12ihipStream_tbEUlT_E1_NS1_11comp_targetILNS1_3genE4ELNS1_11target_archE910ELNS1_3gpuE8ELNS1_3repE0EEENS1_30default_config_static_selectorELNS0_4arch9wavefront6targetE1EEEvSK_
; %bb.0:
	s_load_dword s29, s[4:5], 0x4
	s_load_dwordx4 s[20:23], s[4:5], 0x8
	s_load_dword s28, s[4:5], 0x20
	s_load_dwordx2 s[18:19], s[4:5], 0x28
	s_waitcnt lgkmcnt(0)
	s_cmp_lt_i32 s29, 4
	s_cbranch_scc1 .LBB47_23
; %bb.1:
	s_cmp_gt_i32 s29, 7
	s_cbranch_scc0 .LBB47_24
; %bb.2:
	s_cmp_eq_u32 s29, 8
	s_mov_b64 s[24:25], 0
	s_cbranch_scc0 .LBB47_25
; %bb.3:
	s_mov_b32 s7, 0
	s_lshl_b32 s2, s6, 11
	s_mov_b32 s3, s7
	s_lshr_b64 s[0:1], s[22:23], 11
	s_lshl_b64 s[8:9], s[2:3], 4
	s_add_u32 s16, s20, s8
	s_addc_u32 s17, s21, s9
	s_cmp_lg_u64 s[0:1], s[6:7]
	s_cbranch_scc0 .LBB47_48
; %bb.4:
	v_lshlrev_b32_e32 v1, 4, v0
	v_mov_b32_e32 v2, s17
	v_add_co_u32_e32 v14, vcc, s16, v1
	v_addc_co_u32_e32 v15, vcc, 0, v2, vcc
	v_add_co_u32_e32 v2, vcc, 0x1000, v14
	v_addc_co_u32_e32 v3, vcc, 0, v15, vcc
	;; [unrolled: 2-line block ×3, first 2 shown]
	global_load_ubyte v24, v1, s[16:17]
	global_load_ubyte v23, v[2:3], off
	global_load_dwordx2 v[12:13], v[2:3], off offset:8
	global_load_ubyte v22, v[4:5], off
	v_add_co_u32_e32 v2, vcc, 0x3000, v14
	v_addc_co_u32_e32 v3, vcc, 0, v15, vcc
	v_add_co_u32_e32 v26, vcc, 0x4000, v14
	v_addc_co_u32_e32 v27, vcc, 0, v15, vcc
	global_load_dwordx2 v[16:17], v[4:5], off offset:8
	global_load_ubyte v21, v[2:3], off
	global_load_dwordx2 v[8:9], v[2:3], off offset:8
	global_load_ubyte v20, v[26:27], off
	v_add_co_u32_e32 v2, vcc, 0x5000, v14
	v_addc_co_u32_e32 v3, vcc, 0, v15, vcc
	v_add_co_u32_e32 v28, vcc, 0x6000, v14
	v_addc_co_u32_e32 v29, vcc, 0, v15, vcc
	global_load_dwordx2 v[10:11], v[26:27], off offset:8
	global_load_ubyte v19, v[2:3], off
	global_load_dwordx2 v[6:7], v[2:3], off offset:8
	global_load_ubyte v18, v[28:29], off
	v_add_co_u32_e32 v26, vcc, 0x7000, v14
	v_addc_co_u32_e32 v27, vcc, 0, v15, vcc
	global_load_dwordx2 v[4:5], v[28:29], off offset:8
	global_load_ubyte v1, v[26:27], off
	global_load_dwordx2 v[2:3], v[26:27], off offset:8
	s_waitcnt vmcnt(14)
	v_and_b32_e32 v25, 1, v24
	v_cmp_eq_u32_e32 vcc, 1, v25
	s_and_saveexec_b64 s[8:9], vcc
	s_cbranch_execz .LBB47_6
; %bb.5:
	global_load_dwordx2 v[14:15], v[14:15], off offset:8
	s_waitcnt vmcnt(14)
	v_and_b32_e32 v23, 1, v23
	v_cmp_eq_u32_e32 vcc, 1, v23
	v_cndmask_b32_e64 v23, v24, 1, vcc
	s_waitcnt vmcnt(0)
	v_cmp_lt_i64_e64 s[0:1], v[12:13], v[14:15]
	v_cndmask_b32_e64 v13, v15, v13, s[0:1]
	v_cndmask_b32_e32 v13, v15, v13, vcc
	s_and_b64 vcc, vcc, s[0:1]
	v_cndmask_b32_e32 v12, v14, v12, vcc
.LBB47_6:
	s_or_b64 exec, exec, s[8:9]
	s_waitcnt vmcnt(11)
	v_and_b32_e32 v15, 1, v22
	s_waitcnt vmcnt(10)
	v_cmp_lt_i64_e32 vcc, v[16:17], v[12:13]
	v_cmp_eq_u32_e64 s[0:1], 1, v15
	v_and_b32_e32 v14, 1, v23
	s_and_b64 vcc, s[0:1], vcc
	v_cndmask_b32_e32 v12, v12, v16, vcc
	v_cndmask_b32_e32 v13, v13, v17, vcc
	v_cmp_eq_u32_e32 vcc, 1, v14
	v_cndmask_b32_e64 v15, v23, 1, s[0:1]
	v_cndmask_b32_e32 v13, v17, v13, vcc
	v_cndmask_b32_e32 v12, v16, v12, vcc
	s_waitcnt vmcnt(9)
	v_and_b32_e32 v16, 1, v21
	v_cndmask_b32_e32 v14, v22, v15, vcc
	s_waitcnt vmcnt(8)
	v_cmp_lt_i64_e32 vcc, v[8:9], v[12:13]
	v_cmp_eq_u32_e64 s[0:1], 1, v16
	v_and_b32_e32 v15, 1, v14
	s_and_b64 vcc, s[0:1], vcc
	v_cndmask_b32_e32 v12, v12, v8, vcc
	v_cndmask_b32_e32 v13, v13, v9, vcc
	v_cmp_eq_u32_e32 vcc, 1, v15
	v_cndmask_b32_e64 v14, v14, 1, s[0:1]
	v_cndmask_b32_e32 v9, v9, v13, vcc
	v_cndmask_b32_e32 v8, v8, v12, vcc
	s_waitcnt vmcnt(7)
	v_and_b32_e32 v13, 1, v20
	v_cndmask_b32_e32 v14, v21, v14, vcc
	;; [unrolled: 14-line block ×5, first 2 shown]
	s_waitcnt vmcnt(0)
	v_cmp_lt_i64_e32 vcc, v[2:3], v[4:5]
	v_cmp_eq_u32_e64 s[0:1], 1, v7
	v_and_b32_e32 v6, 1, v8
	s_and_b64 vcc, s[0:1], vcc
	v_cndmask_b32_e64 v7, v8, 1, s[0:1]
	v_cndmask_b32_e32 v4, v4, v2, vcc
	v_cndmask_b32_e32 v5, v5, v3, vcc
	v_cmp_eq_u32_e32 vcc, 1, v6
	v_cndmask_b32_e32 v7, v1, v7, vcc
	v_and_b32_e32 v1, 0xff, v7
	v_cndmask_b32_e32 v3, v3, v5, vcc
	v_cndmask_b32_e32 v2, v2, v4, vcc
	v_mov_b32_dpp v6, v1 quad_perm:[1,0,3,2] row_mask:0xf bank_mask:0xf bound_ctrl:1
	v_and_b32_e32 v8, 1, v6
	v_and_b32_e32 v7, 1, v7
	v_mov_b32_dpp v4, v2 quad_perm:[1,0,3,2] row_mask:0xf bank_mask:0xf bound_ctrl:1
	v_mov_b32_dpp v5, v3 quad_perm:[1,0,3,2] row_mask:0xf bank_mask:0xf bound_ctrl:1
	v_cmp_eq_u32_e32 vcc, 1, v8
	v_cmp_eq_u32_e64 s[0:1], 1, v7
	s_and_saveexec_b64 s[8:9], vcc
	s_xor_b64 s[8:9], exec, s[8:9]
; %bb.7:
	v_cmp_lt_i64_e32 vcc, v[2:3], v[4:5]
	v_cndmask_b32_e64 v6, v6, 1, s[0:1]
	s_and_b64 vcc, s[0:1], vcc
	v_cndmask_b32_e32 v2, v4, v2, vcc
	v_and_b32_e32 v4, 1, v6
	v_cndmask_b32_e32 v3, v5, v3, vcc
	v_cmp_eq_u32_e32 vcc, 1, v4
	s_andn2_b64 s[0:1], s[0:1], exec
	s_and_b64 s[10:11], vcc, exec
	v_and_b32_e32 v1, 0xff, v6
	s_or_b64 s[0:1], s[0:1], s[10:11]
; %bb.8:
	s_or_b64 exec, exec, s[8:9]
	v_mov_b32_dpp v6, v1 quad_perm:[2,3,0,1] row_mask:0xf bank_mask:0xf bound_ctrl:1
	v_and_b32_e32 v7, 1, v6
	v_mov_b32_dpp v4, v2 quad_perm:[2,3,0,1] row_mask:0xf bank_mask:0xf bound_ctrl:1
	v_mov_b32_dpp v5, v3 quad_perm:[2,3,0,1] row_mask:0xf bank_mask:0xf bound_ctrl:1
	v_cmp_eq_u32_e32 vcc, 1, v7
	s_and_saveexec_b64 s[8:9], vcc
; %bb.9:
	v_cmp_lt_i64_e32 vcc, v[2:3], v[4:5]
	v_cndmask_b32_e64 v6, v6, 1, s[0:1]
	s_and_b64 vcc, s[0:1], vcc
	v_cndmask_b32_e32 v2, v4, v2, vcc
	v_and_b32_e32 v4, 1, v6
	v_cndmask_b32_e32 v3, v5, v3, vcc
	v_cmp_eq_u32_e32 vcc, 1, v4
	s_andn2_b64 s[0:1], s[0:1], exec
	s_and_b64 s[10:11], vcc, exec
	v_and_b32_e32 v1, 0xff, v6
	s_or_b64 s[0:1], s[0:1], s[10:11]
; %bb.10:
	s_or_b64 exec, exec, s[8:9]
	v_mov_b32_dpp v6, v1 row_ror:4 row_mask:0xf bank_mask:0xf bound_ctrl:1
	v_and_b32_e32 v7, 1, v6
	v_mov_b32_dpp v4, v2 row_ror:4 row_mask:0xf bank_mask:0xf bound_ctrl:1
	v_mov_b32_dpp v5, v3 row_ror:4 row_mask:0xf bank_mask:0xf bound_ctrl:1
	v_cmp_eq_u32_e32 vcc, 1, v7
	s_and_saveexec_b64 s[8:9], vcc
; %bb.11:
	v_cmp_lt_i64_e32 vcc, v[2:3], v[4:5]
	v_cndmask_b32_e64 v6, v6, 1, s[0:1]
	s_and_b64 vcc, s[0:1], vcc
	v_cndmask_b32_e32 v2, v4, v2, vcc
	v_and_b32_e32 v4, 1, v6
	v_cndmask_b32_e32 v3, v5, v3, vcc
	v_cmp_eq_u32_e32 vcc, 1, v4
	s_andn2_b64 s[0:1], s[0:1], exec
	s_and_b64 s[10:11], vcc, exec
	v_and_b32_e32 v1, 0xff, v6
	s_or_b64 s[0:1], s[0:1], s[10:11]
; %bb.12:
	s_or_b64 exec, exec, s[8:9]
	v_mov_b32_dpp v6, v1 row_ror:8 row_mask:0xf bank_mask:0xf bound_ctrl:1
	v_and_b32_e32 v7, 1, v6
	v_mov_b32_dpp v4, v2 row_ror:8 row_mask:0xf bank_mask:0xf bound_ctrl:1
	v_mov_b32_dpp v5, v3 row_ror:8 row_mask:0xf bank_mask:0xf bound_ctrl:1
	v_cmp_eq_u32_e32 vcc, 1, v7
	s_and_saveexec_b64 s[8:9], vcc
; %bb.13:
	v_cmp_lt_i64_e32 vcc, v[2:3], v[4:5]
	v_cndmask_b32_e64 v6, v6, 1, s[0:1]
	s_and_b64 vcc, s[0:1], vcc
	v_cndmask_b32_e32 v2, v4, v2, vcc
	v_and_b32_e32 v4, 1, v6
	v_cndmask_b32_e32 v3, v5, v3, vcc
	v_cmp_eq_u32_e32 vcc, 1, v4
	s_andn2_b64 s[0:1], s[0:1], exec
	s_and_b64 s[10:11], vcc, exec
	v_and_b32_e32 v1, 0xff, v6
	s_or_b64 s[0:1], s[0:1], s[10:11]
; %bb.14:
	s_or_b64 exec, exec, s[8:9]
	v_mov_b32_dpp v6, v1 row_bcast:15 row_mask:0xf bank_mask:0xf bound_ctrl:1
	v_and_b32_e32 v7, 1, v6
	v_mov_b32_dpp v4, v2 row_bcast:15 row_mask:0xf bank_mask:0xf bound_ctrl:1
	v_mov_b32_dpp v5, v3 row_bcast:15 row_mask:0xf bank_mask:0xf bound_ctrl:1
	v_cmp_eq_u32_e32 vcc, 1, v7
	s_and_saveexec_b64 s[8:9], vcc
; %bb.15:
	v_cmp_lt_i64_e32 vcc, v[2:3], v[4:5]
	v_cndmask_b32_e64 v6, v6, 1, s[0:1]
	s_and_b64 vcc, s[0:1], vcc
	v_cndmask_b32_e32 v2, v4, v2, vcc
	v_and_b32_e32 v4, 1, v6
	v_cndmask_b32_e32 v3, v5, v3, vcc
	v_cmp_eq_u32_e32 vcc, 1, v4
	s_andn2_b64 s[0:1], s[0:1], exec
	s_and_b64 s[10:11], vcc, exec
	v_and_b32_e32 v1, 0xff, v6
	s_or_b64 s[0:1], s[0:1], s[10:11]
; %bb.16:
	s_or_b64 exec, exec, s[8:9]
	v_mov_b32_dpp v6, v1 row_bcast:31 row_mask:0xf bank_mask:0xf bound_ctrl:1
	v_and_b32_e32 v7, 1, v6
	v_mov_b32_dpp v4, v2 row_bcast:31 row_mask:0xf bank_mask:0xf bound_ctrl:1
	v_mov_b32_dpp v5, v3 row_bcast:31 row_mask:0xf bank_mask:0xf bound_ctrl:1
	v_cmp_eq_u32_e32 vcc, 1, v7
	s_and_saveexec_b64 s[8:9], vcc
; %bb.17:
	v_cmp_lt_i64_e32 vcc, v[2:3], v[4:5]
	v_and_b32_e32 v1, 0xff, v6
	s_and_b64 vcc, s[0:1], vcc
	v_cndmask_b32_e32 v2, v4, v2, vcc
	v_cndmask_b32_e32 v3, v5, v3, vcc
	v_cndmask_b32_e64 v1, v1, 1, s[0:1]
; %bb.18:
	s_or_b64 exec, exec, s[8:9]
	v_mbcnt_lo_u32_b32 v4, -1, 0
	v_mbcnt_hi_u32_b32 v4, -1, v4
	v_bfrev_b32_e32 v5, 0.5
	v_lshl_or_b32 v5, v4, 2, v5
	ds_bpermute_b32 v6, v5, v1
	ds_bpermute_b32 v2, v5, v2
	;; [unrolled: 1-line block ×3, first 2 shown]
	v_cmp_eq_u32_e32 vcc, 0, v4
	s_and_saveexec_b64 s[0:1], vcc
	s_cbranch_execz .LBB47_20
; %bb.19:
	v_lshrrev_b32_e32 v1, 2, v0
	v_and_b32_e32 v1, 48, v1
	s_waitcnt lgkmcnt(2)
	ds_write_b8 v1, v6 offset:192
	s_waitcnt lgkmcnt(1)
	ds_write_b64 v1, v[2:3] offset:200
.LBB47_20:
	s_or_b64 exec, exec, s[0:1]
	v_cmp_gt_u32_e32 vcc, 64, v0
	s_waitcnt lgkmcnt(0)
	s_barrier
	s_and_saveexec_b64 s[8:9], vcc
	s_cbranch_execz .LBB47_22
; %bb.21:
	v_and_b32_e32 v1, 3, v4
	v_lshlrev_b32_e32 v2, 4, v1
	ds_read_u8 v5, v2 offset:192
	ds_read_b64 v[2:3], v2 offset:200
	v_cmp_ne_u32_e32 vcc, 3, v1
	v_addc_co_u32_e32 v6, vcc, 0, v4, vcc
	s_waitcnt lgkmcnt(1)
	v_and_b32_e32 v7, 0xff, v5
	v_lshlrev_b32_e32 v8, 2, v6
	ds_bpermute_b32 v9, v8, v7
	s_waitcnt lgkmcnt(1)
	ds_bpermute_b32 v6, v8, v2
	ds_bpermute_b32 v7, v8, v3
	v_and_b32_e32 v8, 1, v5
	s_waitcnt lgkmcnt(2)
	v_and_b32_e32 v10, 1, v9
	v_cmp_eq_u32_e64 s[0:1], 1, v10
	s_waitcnt lgkmcnt(0)
	v_cmp_lt_i64_e32 vcc, v[6:7], v[2:3]
	s_and_b64 vcc, s[0:1], vcc
	v_cndmask_b32_e64 v5, v5, 1, s[0:1]
	v_cndmask_b32_e32 v2, v2, v6, vcc
	v_cndmask_b32_e32 v3, v3, v7, vcc
	v_cmp_eq_u32_e32 vcc, 1, v8
	v_cndmask_b32_e32 v8, v9, v5, vcc
	v_cndmask_b32_e32 v3, v7, v3, vcc
	;; [unrolled: 1-line block ×3, first 2 shown]
	v_cmp_gt_u32_e32 vcc, 2, v1
	v_cndmask_b32_e64 v1, 0, 1, vcc
	v_lshlrev_b32_e32 v1, 1, v1
	v_and_b32_e32 v5, 0xff, v8
	v_add_lshl_u32 v1, v1, v4, 2
	ds_bpermute_b32 v6, v1, v5
	ds_bpermute_b32 v4, v1, v2
	;; [unrolled: 1-line block ×3, first 2 shown]
	v_and_b32_e32 v1, 1, v8
	s_waitcnt lgkmcnt(2)
	v_and_b32_e32 v7, 1, v6
	v_cmp_eq_u32_e64 s[0:1], 1, v7
	s_waitcnt lgkmcnt(0)
	v_cmp_lt_i64_e32 vcc, v[4:5], v[2:3]
	s_and_b64 vcc, s[0:1], vcc
	v_cndmask_b32_e64 v7, v8, 1, s[0:1]
	v_cndmask_b32_e32 v2, v2, v4, vcc
	v_cndmask_b32_e32 v3, v3, v5, vcc
	v_cmp_eq_u32_e32 vcc, 1, v1
	v_cndmask_b32_e32 v1, v6, v7, vcc
	v_cndmask_b32_e32 v3, v5, v3, vcc
	;; [unrolled: 1-line block ×3, first 2 shown]
	v_and_b32_e32 v6, 0xff, v1
.LBB47_22:
	s_or_b64 exec, exec, s[8:9]
	s_branch .LBB47_93
.LBB47_23:
	s_mov_b64 s[10:11], 0
                                        ; implicit-def: $vgpr4_vgpr5
                                        ; implicit-def: $vgpr1
	s_cbranch_execnz .LBB47_137
	s_branch .LBB47_214
.LBB47_24:
	s_mov_b64 s[24:25], -1
.LBB47_25:
	s_mov_b64 s[10:11], 0
                                        ; implicit-def: $vgpr4_vgpr5
                                        ; implicit-def: $vgpr1
	s_and_b64 vcc, exec, s[24:25]
	s_cbranch_vccz .LBB47_98
.LBB47_26:
	s_cmp_eq_u32 s29, 4
	s_cbranch_scc0 .LBB47_47
; %bb.27:
	s_mov_b32 s7, 0
	s_lshl_b32 s2, s6, 10
	s_mov_b32 s3, s7
	s_lshr_b64 s[0:1], s[22:23], 10
	s_lshl_b64 s[8:9], s[2:3], 4
	s_add_u32 s8, s20, s8
	s_addc_u32 s9, s21, s9
	s_cmp_lg_u64 s[0:1], s[6:7]
	s_cbranch_scc0 .LBB47_99
; %bb.28:
	s_waitcnt lgkmcnt(2)
	v_lshlrev_b32_e32 v1, 4, v0
	v_mov_b32_e32 v2, s9
	v_add_co_u32_e32 v8, vcc, s8, v1
	v_addc_co_u32_e32 v9, vcc, 0, v2, vcc
	v_add_co_u32_e32 v2, vcc, 0x1000, v8
	v_addc_co_u32_e32 v3, vcc, 0, v9, vcc
	;; [unrolled: 2-line block ×3, first 2 shown]
	v_add_co_u32_e32 v16, vcc, 0x3000, v8
	global_load_ubyte v12, v1, s[8:9]
	global_load_ubyte v11, v[2:3], off
	s_waitcnt lgkmcnt(0)
	global_load_dwordx2 v[4:5], v[2:3], off offset:8
	global_load_ubyte v10, v[14:15], off
	v_addc_co_u32_e32 v17, vcc, 0, v9, vcc
	global_load_dwordx2 v[6:7], v[14:15], off offset:8
	global_load_ubyte v1, v[16:17], off
	global_load_dwordx2 v[2:3], v[16:17], off offset:8
	s_waitcnt vmcnt(6)
	v_and_b32_e32 v13, 1, v12
	v_cmp_eq_u32_e32 vcc, 1, v13
	s_and_saveexec_b64 s[12:13], vcc
	s_cbranch_execz .LBB47_30
; %bb.29:
	global_load_dwordx2 v[8:9], v[8:9], off offset:8
	s_waitcnt vmcnt(6)
	v_and_b32_e32 v11, 1, v11
	v_cmp_eq_u32_e32 vcc, 1, v11
	v_cndmask_b32_e64 v11, v12, 1, vcc
	s_waitcnt vmcnt(0)
	v_cmp_lt_i64_e64 s[0:1], v[4:5], v[8:9]
	v_cndmask_b32_e64 v5, v9, v5, s[0:1]
	v_cndmask_b32_e32 v5, v9, v5, vcc
	s_and_b64 vcc, vcc, s[0:1]
	v_cndmask_b32_e32 v4, v8, v4, vcc
.LBB47_30:
	s_or_b64 exec, exec, s[12:13]
	s_waitcnt vmcnt(3)
	v_and_b32_e32 v9, 1, v10
	s_waitcnt vmcnt(2)
	v_cmp_lt_i64_e32 vcc, v[6:7], v[4:5]
	v_cmp_eq_u32_e64 s[0:1], 1, v9
	v_and_b32_e32 v8, 1, v11
	s_and_b64 vcc, s[0:1], vcc
	v_cndmask_b32_e32 v4, v4, v6, vcc
	v_cndmask_b32_e32 v5, v5, v7, vcc
	v_cmp_eq_u32_e32 vcc, 1, v8
	v_cndmask_b32_e64 v9, v11, 1, s[0:1]
	v_cndmask_b32_e32 v5, v7, v5, vcc
	v_cndmask_b32_e32 v4, v6, v4, vcc
	s_waitcnt vmcnt(1)
	v_and_b32_e32 v7, 1, v1
	v_cndmask_b32_e32 v8, v10, v9, vcc
	s_waitcnt vmcnt(0)
	v_cmp_lt_i64_e32 vcc, v[2:3], v[4:5]
	v_cmp_eq_u32_e64 s[0:1], 1, v7
	v_and_b32_e32 v6, 1, v8
	s_and_b64 vcc, s[0:1], vcc
	v_cndmask_b32_e64 v7, v8, 1, s[0:1]
	v_cndmask_b32_e32 v4, v4, v2, vcc
	v_cndmask_b32_e32 v5, v5, v3, vcc
	v_cmp_eq_u32_e32 vcc, 1, v6
	v_cndmask_b32_e32 v7, v1, v7, vcc
	v_and_b32_e32 v1, 0xff, v7
	v_cndmask_b32_e32 v3, v3, v5, vcc
	v_cndmask_b32_e32 v2, v2, v4, vcc
	v_mov_b32_dpp v6, v1 quad_perm:[1,0,3,2] row_mask:0xf bank_mask:0xf bound_ctrl:1
	v_and_b32_e32 v8, 1, v6
	v_and_b32_e32 v7, 1, v7
	v_mov_b32_dpp v4, v2 quad_perm:[1,0,3,2] row_mask:0xf bank_mask:0xf bound_ctrl:1
	v_mov_b32_dpp v5, v3 quad_perm:[1,0,3,2] row_mask:0xf bank_mask:0xf bound_ctrl:1
	v_cmp_eq_u32_e32 vcc, 1, v8
	v_cmp_eq_u32_e64 s[0:1], 1, v7
	s_and_saveexec_b64 s[12:13], vcc
	s_xor_b64 s[12:13], exec, s[12:13]
; %bb.31:
	v_cmp_lt_i64_e32 vcc, v[2:3], v[4:5]
	v_cndmask_b32_e64 v6, v6, 1, s[0:1]
	s_and_b64 vcc, s[0:1], vcc
	v_cndmask_b32_e32 v2, v4, v2, vcc
	v_and_b32_e32 v4, 1, v6
	v_cndmask_b32_e32 v3, v5, v3, vcc
	v_cmp_eq_u32_e32 vcc, 1, v4
	s_andn2_b64 s[0:1], s[0:1], exec
	s_and_b64 s[14:15], vcc, exec
	v_and_b32_e32 v1, 0xff, v6
	s_or_b64 s[0:1], s[0:1], s[14:15]
; %bb.32:
	s_or_b64 exec, exec, s[12:13]
	v_mov_b32_dpp v6, v1 quad_perm:[2,3,0,1] row_mask:0xf bank_mask:0xf bound_ctrl:1
	v_and_b32_e32 v7, 1, v6
	v_mov_b32_dpp v4, v2 quad_perm:[2,3,0,1] row_mask:0xf bank_mask:0xf bound_ctrl:1
	v_mov_b32_dpp v5, v3 quad_perm:[2,3,0,1] row_mask:0xf bank_mask:0xf bound_ctrl:1
	v_cmp_eq_u32_e32 vcc, 1, v7
	s_and_saveexec_b64 s[12:13], vcc
; %bb.33:
	v_cmp_lt_i64_e32 vcc, v[2:3], v[4:5]
	v_cndmask_b32_e64 v6, v6, 1, s[0:1]
	s_and_b64 vcc, s[0:1], vcc
	v_cndmask_b32_e32 v2, v4, v2, vcc
	v_and_b32_e32 v4, 1, v6
	v_cndmask_b32_e32 v3, v5, v3, vcc
	v_cmp_eq_u32_e32 vcc, 1, v4
	s_andn2_b64 s[0:1], s[0:1], exec
	s_and_b64 s[14:15], vcc, exec
	v_and_b32_e32 v1, 0xff, v6
	s_or_b64 s[0:1], s[0:1], s[14:15]
; %bb.34:
	s_or_b64 exec, exec, s[12:13]
	v_mov_b32_dpp v6, v1 row_ror:4 row_mask:0xf bank_mask:0xf bound_ctrl:1
	v_and_b32_e32 v7, 1, v6
	v_mov_b32_dpp v4, v2 row_ror:4 row_mask:0xf bank_mask:0xf bound_ctrl:1
	v_mov_b32_dpp v5, v3 row_ror:4 row_mask:0xf bank_mask:0xf bound_ctrl:1
	v_cmp_eq_u32_e32 vcc, 1, v7
	s_and_saveexec_b64 s[12:13], vcc
; %bb.35:
	v_cmp_lt_i64_e32 vcc, v[2:3], v[4:5]
	v_cndmask_b32_e64 v6, v6, 1, s[0:1]
	s_and_b64 vcc, s[0:1], vcc
	v_cndmask_b32_e32 v2, v4, v2, vcc
	v_and_b32_e32 v4, 1, v6
	v_cndmask_b32_e32 v3, v5, v3, vcc
	v_cmp_eq_u32_e32 vcc, 1, v4
	s_andn2_b64 s[0:1], s[0:1], exec
	s_and_b64 s[14:15], vcc, exec
	v_and_b32_e32 v1, 0xff, v6
	s_or_b64 s[0:1], s[0:1], s[14:15]
; %bb.36:
	s_or_b64 exec, exec, s[12:13]
	v_mov_b32_dpp v6, v1 row_ror:8 row_mask:0xf bank_mask:0xf bound_ctrl:1
	v_and_b32_e32 v7, 1, v6
	v_mov_b32_dpp v4, v2 row_ror:8 row_mask:0xf bank_mask:0xf bound_ctrl:1
	v_mov_b32_dpp v5, v3 row_ror:8 row_mask:0xf bank_mask:0xf bound_ctrl:1
	v_cmp_eq_u32_e32 vcc, 1, v7
	s_and_saveexec_b64 s[12:13], vcc
; %bb.37:
	v_cmp_lt_i64_e32 vcc, v[2:3], v[4:5]
	v_cndmask_b32_e64 v6, v6, 1, s[0:1]
	s_and_b64 vcc, s[0:1], vcc
	v_cndmask_b32_e32 v2, v4, v2, vcc
	v_and_b32_e32 v4, 1, v6
	v_cndmask_b32_e32 v3, v5, v3, vcc
	v_cmp_eq_u32_e32 vcc, 1, v4
	s_andn2_b64 s[0:1], s[0:1], exec
	s_and_b64 s[14:15], vcc, exec
	v_and_b32_e32 v1, 0xff, v6
	s_or_b64 s[0:1], s[0:1], s[14:15]
; %bb.38:
	s_or_b64 exec, exec, s[12:13]
	v_mov_b32_dpp v6, v1 row_bcast:15 row_mask:0xf bank_mask:0xf bound_ctrl:1
	v_and_b32_e32 v7, 1, v6
	v_mov_b32_dpp v4, v2 row_bcast:15 row_mask:0xf bank_mask:0xf bound_ctrl:1
	v_mov_b32_dpp v5, v3 row_bcast:15 row_mask:0xf bank_mask:0xf bound_ctrl:1
	v_cmp_eq_u32_e32 vcc, 1, v7
	s_and_saveexec_b64 s[12:13], vcc
; %bb.39:
	v_cmp_lt_i64_e32 vcc, v[2:3], v[4:5]
	v_cndmask_b32_e64 v6, v6, 1, s[0:1]
	s_and_b64 vcc, s[0:1], vcc
	v_cndmask_b32_e32 v2, v4, v2, vcc
	v_and_b32_e32 v4, 1, v6
	v_cndmask_b32_e32 v3, v5, v3, vcc
	v_cmp_eq_u32_e32 vcc, 1, v4
	s_andn2_b64 s[0:1], s[0:1], exec
	s_and_b64 s[14:15], vcc, exec
	v_and_b32_e32 v1, 0xff, v6
	s_or_b64 s[0:1], s[0:1], s[14:15]
; %bb.40:
	s_or_b64 exec, exec, s[12:13]
	v_mov_b32_dpp v6, v1 row_bcast:31 row_mask:0xf bank_mask:0xf bound_ctrl:1
	v_and_b32_e32 v7, 1, v6
	v_mov_b32_dpp v4, v2 row_bcast:31 row_mask:0xf bank_mask:0xf bound_ctrl:1
	v_mov_b32_dpp v5, v3 row_bcast:31 row_mask:0xf bank_mask:0xf bound_ctrl:1
	v_cmp_eq_u32_e32 vcc, 1, v7
	s_and_saveexec_b64 s[12:13], vcc
; %bb.41:
	v_cmp_lt_i64_e32 vcc, v[2:3], v[4:5]
	v_and_b32_e32 v1, 0xff, v6
	s_and_b64 vcc, s[0:1], vcc
	v_cndmask_b32_e32 v2, v4, v2, vcc
	v_cndmask_b32_e32 v3, v5, v3, vcc
	v_cndmask_b32_e64 v1, v1, 1, s[0:1]
; %bb.42:
	s_or_b64 exec, exec, s[12:13]
	v_mbcnt_lo_u32_b32 v4, -1, 0
	v_mbcnt_hi_u32_b32 v4, -1, v4
	v_bfrev_b32_e32 v5, 0.5
	v_lshl_or_b32 v5, v4, 2, v5
	ds_bpermute_b32 v6, v5, v1
	ds_bpermute_b32 v2, v5, v2
	;; [unrolled: 1-line block ×3, first 2 shown]
	v_cmp_eq_u32_e32 vcc, 0, v4
	s_and_saveexec_b64 s[0:1], vcc
	s_cbranch_execz .LBB47_44
; %bb.43:
	v_lshrrev_b32_e32 v1, 2, v0
	v_and_b32_e32 v1, 48, v1
	s_waitcnt lgkmcnt(2)
	ds_write_b8 v1, v6 offset:128
	s_waitcnt lgkmcnt(1)
	ds_write_b64 v1, v[2:3] offset:136
.LBB47_44:
	s_or_b64 exec, exec, s[0:1]
	v_cmp_gt_u32_e32 vcc, 64, v0
	s_waitcnt lgkmcnt(0)
	s_barrier
	s_and_saveexec_b64 s[12:13], vcc
	s_cbranch_execz .LBB47_46
; %bb.45:
	v_and_b32_e32 v1, 3, v4
	v_lshlrev_b32_e32 v2, 4, v1
	ds_read_u8 v5, v2 offset:128
	ds_read_b64 v[2:3], v2 offset:136
	v_cmp_ne_u32_e32 vcc, 3, v1
	v_addc_co_u32_e32 v6, vcc, 0, v4, vcc
	s_waitcnt lgkmcnt(1)
	v_and_b32_e32 v7, 0xff, v5
	v_lshlrev_b32_e32 v8, 2, v6
	ds_bpermute_b32 v9, v8, v7
	s_waitcnt lgkmcnt(1)
	ds_bpermute_b32 v6, v8, v2
	ds_bpermute_b32 v7, v8, v3
	v_and_b32_e32 v8, 1, v5
	s_waitcnt lgkmcnt(2)
	v_and_b32_e32 v10, 1, v9
	v_cmp_eq_u32_e64 s[0:1], 1, v10
	s_waitcnt lgkmcnt(0)
	v_cmp_lt_i64_e32 vcc, v[6:7], v[2:3]
	s_and_b64 vcc, s[0:1], vcc
	v_cndmask_b32_e64 v5, v5, 1, s[0:1]
	v_cndmask_b32_e32 v2, v2, v6, vcc
	v_cndmask_b32_e32 v3, v3, v7, vcc
	v_cmp_eq_u32_e32 vcc, 1, v8
	v_cndmask_b32_e32 v8, v9, v5, vcc
	v_cndmask_b32_e32 v3, v7, v3, vcc
	;; [unrolled: 1-line block ×3, first 2 shown]
	v_cmp_gt_u32_e32 vcc, 2, v1
	v_cndmask_b32_e64 v1, 0, 1, vcc
	v_lshlrev_b32_e32 v1, 1, v1
	v_and_b32_e32 v5, 0xff, v8
	v_add_lshl_u32 v1, v1, v4, 2
	ds_bpermute_b32 v6, v1, v5
	ds_bpermute_b32 v4, v1, v2
	;; [unrolled: 1-line block ×3, first 2 shown]
	v_and_b32_e32 v1, 1, v8
	s_waitcnt lgkmcnt(2)
	v_and_b32_e32 v7, 1, v6
	v_cmp_eq_u32_e64 s[0:1], 1, v7
	s_waitcnt lgkmcnt(0)
	v_cmp_lt_i64_e32 vcc, v[4:5], v[2:3]
	s_and_b64 vcc, s[0:1], vcc
	v_cndmask_b32_e64 v7, v8, 1, s[0:1]
	v_cndmask_b32_e32 v2, v2, v4, vcc
	v_cndmask_b32_e32 v3, v3, v5, vcc
	v_cmp_eq_u32_e32 vcc, 1, v1
	v_cndmask_b32_e32 v1, v6, v7, vcc
	v_cndmask_b32_e32 v3, v5, v3, vcc
	;; [unrolled: 1-line block ×3, first 2 shown]
	v_and_b32_e32 v6, 0xff, v1
.LBB47_46:
	s_or_b64 exec, exec, s[12:13]
	s_branch .LBB47_132
.LBB47_47:
                                        ; implicit-def: $vgpr4_vgpr5
                                        ; implicit-def: $vgpr1
	s_branch .LBB47_214
.LBB47_48:
                                        ; implicit-def: $vgpr2_vgpr3
                                        ; implicit-def: $vgpr6
	s_cbranch_execz .LBB47_93
; %bb.49:
	s_sub_i32 s30, s22, s2
	v_pk_mov_b32 v[14:15], 0, 0
	v_cmp_gt_u32_e32 vcc, s30, v0
	v_mov_b32_e32 v23, 0
	v_pk_mov_b32 v[2:3], v[14:15], v[14:15] op_sel:[0,1]
	v_mov_b32_e32 v18, 0
	s_and_saveexec_b64 s[0:1], vcc
	s_cbranch_execz .LBB47_51
; %bb.50:
	v_lshlrev_b32_e32 v1, 4, v0
	global_load_ubyte v18, v1, s[16:17]
	global_load_dwordx2 v[2:3], v1, s[16:17] offset:8
.LBB47_51:
	s_or_b64 exec, exec, s[0:1]
	v_or_b32_e32 v1, 0x100, v0
	v_cmp_gt_u32_e64 s[14:15], s30, v1
	s_and_saveexec_b64 s[0:1], s[14:15]
	s_cbranch_execz .LBB47_53
; %bb.52:
	v_lshlrev_b32_e32 v1, 4, v1
	global_load_ubyte v23, v1, s[16:17]
	global_load_dwordx2 v[14:15], v1, s[16:17] offset:8
.LBB47_53:
	s_or_b64 exec, exec, s[0:1]
	v_or_b32_e32 v1, 0x200, v0
	v_pk_mov_b32 v[10:11], 0, 0
	v_cmp_gt_u32_e64 s[12:13], s30, v1
	v_mov_b32_e32 v21, 0
	v_pk_mov_b32 v[16:17], v[10:11], v[10:11] op_sel:[0,1]
	v_mov_b32_e32 v24, 0
	s_and_saveexec_b64 s[0:1], s[12:13]
	s_cbranch_execz .LBB47_55
; %bb.54:
	v_lshlrev_b32_e32 v1, 4, v1
	global_load_ubyte v24, v1, s[16:17]
	global_load_dwordx2 v[16:17], v1, s[16:17] offset:8
.LBB47_55:
	s_or_b64 exec, exec, s[0:1]
	v_or_b32_e32 v1, 0x300, v0
	v_cmp_gt_u32_e64 s[10:11], s30, v1
	s_and_saveexec_b64 s[0:1], s[10:11]
	s_cbranch_execz .LBB47_57
; %bb.56:
	v_lshlrev_b32_e32 v1, 4, v1
	global_load_ubyte v21, v1, s[16:17]
	global_load_dwordx2 v[10:11], v1, s[16:17] offset:8
.LBB47_57:
	s_or_b64 exec, exec, s[0:1]
	v_or_b32_e32 v1, 0x400, v0
	v_pk_mov_b32 v[6:7], 0, 0
	v_cmp_gt_u32_e64 s[8:9], s30, v1
	v_mov_b32_e32 v19, 0
	v_pk_mov_b32 v[12:13], v[6:7], v[6:7] op_sel:[0,1]
	v_mov_b32_e32 v22, 0
	s_and_saveexec_b64 s[0:1], s[8:9]
	s_cbranch_execz .LBB47_59
; %bb.58:
	v_lshlrev_b32_e32 v1, 4, v1
	global_load_ubyte v22, v1, s[16:17]
	global_load_dwordx2 v[12:13], v1, s[16:17] offset:8
.LBB47_59:
	s_or_b64 exec, exec, s[0:1]
	v_or_b32_e32 v1, 0x500, v0
	v_cmp_gt_u32_e64 s[2:3], s30, v1
	s_and_saveexec_b64 s[0:1], s[2:3]
	s_cbranch_execz .LBB47_61
; %bb.60:
	v_lshlrev_b32_e32 v1, 4, v1
	global_load_ubyte v19, v1, s[16:17]
	global_load_dwordx2 v[6:7], v1, s[16:17] offset:8
.LBB47_61:
	s_or_b64 exec, exec, s[0:1]
	v_or_b32_e32 v25, 0x600, v0
	v_pk_mov_b32 v[4:5], 0, 0
	v_cmp_gt_u32_e64 s[0:1], s30, v25
	v_mov_b32_e32 v1, 0
	v_mov_b32_e32 v20, 0
	v_pk_mov_b32 v[8:9], v[4:5], v[4:5] op_sel:[0,1]
	s_and_saveexec_b64 s[26:27], s[0:1]
	s_cbranch_execz .LBB47_63
; %bb.62:
	v_lshlrev_b32_e32 v25, 4, v25
	global_load_ubyte v20, v25, s[16:17]
	global_load_dwordx2 v[8:9], v25, s[16:17] offset:8
.LBB47_63:
	s_or_b64 exec, exec, s[26:27]
	v_or_b32_e32 v25, 0x700, v0
	v_cmp_gt_u32_e32 vcc, s30, v25
	s_and_saveexec_b64 s[26:27], vcc
	s_cbranch_execnz .LBB47_246
; %bb.64:
	s_or_b64 exec, exec, s[26:27]
	s_and_saveexec_b64 s[26:27], s[14:15]
	s_cbranch_execnz .LBB47_247
.LBB47_65:
	s_or_b64 exec, exec, s[26:27]
	s_and_saveexec_b64 s[16:17], s[12:13]
	s_cbranch_execnz .LBB47_248
.LBB47_66:
	s_or_b64 exec, exec, s[16:17]
	s_and_saveexec_b64 s[14:15], s[10:11]
	s_cbranch_execnz .LBB47_249
.LBB47_67:
	s_or_b64 exec, exec, s[14:15]
	s_and_saveexec_b64 s[12:13], s[8:9]
	s_cbranch_execnz .LBB47_250
.LBB47_68:
	s_or_b64 exec, exec, s[12:13]
	s_and_saveexec_b64 s[10:11], s[2:3]
	s_cbranch_execnz .LBB47_251
.LBB47_69:
	s_or_b64 exec, exec, s[10:11]
	s_and_saveexec_b64 s[8:9], s[0:1]
	s_cbranch_execnz .LBB47_252
.LBB47_70:
	s_or_b64 exec, exec, s[8:9]
	s_and_saveexec_b64 s[2:3], vcc
	s_cbranch_execz .LBB47_72
.LBB47_71:
	s_waitcnt vmcnt(0)
	v_and_b32_e32 v7, 1, v1
	v_cmp_lt_i64_e32 vcc, v[4:5], v[2:3]
	v_cmp_eq_u32_e64 s[0:1], 1, v7
	v_and_b32_e32 v6, 1, v18
	s_and_b64 vcc, s[0:1], vcc
	v_cndmask_b32_e64 v7, v18, 1, s[0:1]
	v_cndmask_b32_e32 v2, v2, v4, vcc
	v_cndmask_b32_e32 v3, v3, v5, vcc
	v_cmp_eq_u32_e32 vcc, 1, v6
	v_cndmask_b32_e32 v18, v1, v7, vcc
	v_cndmask_b32_e32 v3, v5, v3, vcc
	;; [unrolled: 1-line block ×3, first 2 shown]
.LBB47_72:
	s_or_b64 exec, exec, s[2:3]
	s_waitcnt vmcnt(1)
	v_mbcnt_lo_u32_b32 v1, -1, 0
	v_mbcnt_hi_u32_b32 v1, -1, v1
	s_waitcnt vmcnt(0)
	v_and_b32_e32 v7, 63, v1
	v_cmp_ne_u32_e32 vcc, 63, v7
	v_addc_co_u32_e32 v4, vcc, 0, v1, vcc
	v_and_b32_e32 v6, 0xff, v18
	v_lshlrev_b32_e32 v5, 2, v4
	ds_bpermute_b32 v10, v5, v6
	ds_bpermute_b32 v4, v5, v2
	;; [unrolled: 1-line block ×3, first 2 shown]
	s_min_u32 s8, s30, 0x100
	v_and_b32_e32 v8, 0xc0, v0
	v_sub_u32_e64 v9, s8, v8 clamp
	v_add_u32_e32 v8, 1, v7
	v_cmp_lt_u32_e32 vcc, v8, v9
	v_mov_b32_e32 v8, v6
	s_and_saveexec_b64 s[0:1], vcc
	s_xor_b64 s[2:3], exec, s[0:1]
	s_cbranch_execz .LBB47_74
; %bb.73:
	s_waitcnt lgkmcnt(2)
	v_and_b32_e32 v11, 1, v10
	s_waitcnt lgkmcnt(0)
	v_cmp_lt_i64_e32 vcc, v[4:5], v[2:3]
	v_cmp_eq_u32_e64 s[0:1], 1, v11
	v_and_b32_e32 v8, 1, v18
	s_and_b64 vcc, s[0:1], vcc
	v_cndmask_b32_e64 v6, v6, 1, s[0:1]
	v_cndmask_b32_e32 v2, v2, v4, vcc
	v_cndmask_b32_e32 v3, v3, v5, vcc
	v_cmp_eq_u32_e32 vcc, 1, v8
	v_cndmask_b32_e32 v8, v10, v6, vcc
	v_cndmask_b32_e32 v3, v5, v3, vcc
	v_cndmask_b32_e32 v2, v4, v2, vcc
	v_and_b32_e32 v6, 0xff, v8
.LBB47_74:
	s_or_b64 exec, exec, s[2:3]
	v_cmp_gt_u32_e32 vcc, 62, v7
	s_waitcnt lgkmcnt(1)
	v_cndmask_b32_e64 v4, 0, 1, vcc
	v_lshlrev_b32_e32 v4, 1, v4
	s_waitcnt lgkmcnt(0)
	v_add_lshl_u32 v5, v4, v1, 2
	ds_bpermute_b32 v10, v5, v6
	ds_bpermute_b32 v4, v5, v2
	ds_bpermute_b32 v5, v5, v3
	v_add_u32_e32 v11, 2, v7
	v_cmp_lt_u32_e32 vcc, v11, v9
	s_and_saveexec_b64 s[2:3], vcc
	s_cbranch_execz .LBB47_76
; %bb.75:
	s_waitcnt lgkmcnt(2)
	v_and_b32_e32 v11, 1, v10
	s_waitcnt lgkmcnt(0)
	v_cmp_lt_i64_e32 vcc, v[4:5], v[2:3]
	v_cmp_eq_u32_e64 s[0:1], 1, v11
	v_and_b32_e32 v6, 1, v8
	s_and_b64 vcc, s[0:1], vcc
	v_cndmask_b32_e64 v8, v8, 1, s[0:1]
	v_cndmask_b32_e32 v2, v2, v4, vcc
	v_cndmask_b32_e32 v3, v3, v5, vcc
	v_cmp_eq_u32_e32 vcc, 1, v6
	v_cndmask_b32_e32 v8, v10, v8, vcc
	v_cndmask_b32_e32 v3, v5, v3, vcc
	v_cndmask_b32_e32 v2, v4, v2, vcc
	v_and_b32_e32 v6, 0xff, v8
.LBB47_76:
	s_or_b64 exec, exec, s[2:3]
	v_cmp_gt_u32_e32 vcc, 60, v7
	s_waitcnt lgkmcnt(1)
	v_cndmask_b32_e64 v4, 0, 1, vcc
	v_lshlrev_b32_e32 v4, 2, v4
	s_waitcnt lgkmcnt(0)
	v_add_lshl_u32 v5, v4, v1, 2
	ds_bpermute_b32 v10, v5, v6
	ds_bpermute_b32 v4, v5, v2
	ds_bpermute_b32 v5, v5, v3
	v_add_u32_e32 v11, 4, v7
	v_cmp_lt_u32_e32 vcc, v11, v9
	s_and_saveexec_b64 s[2:3], vcc
	;; [unrolled: 31-line block ×5, first 2 shown]
	s_cbranch_execz .LBB47_84
; %bb.83:
	s_waitcnt lgkmcnt(2)
	v_and_b32_e32 v7, 1, v10
	s_waitcnt lgkmcnt(0)
	v_cmp_lt_i64_e32 vcc, v[4:5], v[2:3]
	v_cmp_eq_u32_e64 s[0:1], 1, v7
	v_and_b32_e32 v6, 1, v8
	s_and_b64 vcc, s[0:1], vcc
	v_cndmask_b32_e64 v7, v8, 1, s[0:1]
	v_cndmask_b32_e32 v2, v2, v4, vcc
	v_cndmask_b32_e32 v3, v3, v5, vcc
	v_cmp_eq_u32_e32 vcc, 1, v6
	v_cndmask_b32_e32 v8, v10, v7, vcc
	v_cndmask_b32_e32 v3, v5, v3, vcc
	;; [unrolled: 1-line block ×3, first 2 shown]
	v_and_b32_e32 v6, 0xff, v8
.LBB47_84:
	s_or_b64 exec, exec, s[2:3]
	v_cmp_eq_u32_e32 vcc, 0, v1
	s_and_saveexec_b64 s[0:1], vcc
	s_cbranch_execz .LBB47_86
; %bb.85:
	s_waitcnt lgkmcnt(1)
	v_lshrrev_b32_e32 v4, 2, v0
	v_and_b32_e32 v4, 48, v4
	ds_write_b8 v4, v8 offset:256
	ds_write_b64 v4, v[2:3] offset:264
.LBB47_86:
	s_or_b64 exec, exec, s[0:1]
	v_cmp_gt_u32_e32 vcc, 4, v0
	s_waitcnt lgkmcnt(0)
	s_barrier
	s_and_saveexec_b64 s[2:3], vcc
	s_cbranch_execz .LBB47_92
; %bb.87:
	v_lshlrev_b32_e32 v2, 4, v1
	ds_read_u8 v7, v2 offset:256
	ds_read_b64 v[2:3], v2 offset:264
	v_and_b32_e32 v8, 3, v1
	v_cmp_ne_u32_e32 vcc, 3, v8
	v_addc_co_u32_e32 v4, vcc, 0, v1, vcc
	s_waitcnt lgkmcnt(1)
	v_and_b32_e32 v6, 0xff, v7
	v_lshlrev_b32_e32 v5, 2, v4
	ds_bpermute_b32 v9, v5, v6
	s_waitcnt lgkmcnt(1)
	ds_bpermute_b32 v4, v5, v2
	ds_bpermute_b32 v5, v5, v3
	s_add_i32 s8, s8, 63
	s_lshr_b32 s10, s8, 6
	v_add_u32_e32 v10, 1, v8
	v_cmp_gt_u32_e32 vcc, s10, v10
	s_and_saveexec_b64 s[8:9], vcc
	s_cbranch_execz .LBB47_89
; %bb.88:
	s_waitcnt lgkmcnt(2)
	v_and_b32_e32 v10, 1, v9
	s_waitcnt lgkmcnt(0)
	v_cmp_lt_i64_e32 vcc, v[4:5], v[2:3]
	v_cmp_eq_u32_e64 s[0:1], 1, v10
	v_and_b32_e32 v6, 1, v7
	s_and_b64 vcc, s[0:1], vcc
	v_cndmask_b32_e64 v7, v7, 1, s[0:1]
	v_cndmask_b32_e32 v2, v2, v4, vcc
	v_cndmask_b32_e32 v3, v3, v5, vcc
	v_cmp_eq_u32_e32 vcc, 1, v6
	v_cndmask_b32_e32 v7, v9, v7, vcc
	v_cndmask_b32_e32 v3, v5, v3, vcc
	v_cndmask_b32_e32 v2, v4, v2, vcc
	v_and_b32_e32 v6, 0xff, v7
.LBB47_89:
	s_or_b64 exec, exec, s[8:9]
	v_cmp_gt_u32_e32 vcc, 2, v8
	s_waitcnt lgkmcnt(1)
	v_cndmask_b32_e64 v4, 0, 1, vcc
	v_lshlrev_b32_e32 v4, 1, v4
	s_waitcnt lgkmcnt(0)
	v_add_lshl_u32 v5, v4, v1, 2
	ds_bpermute_b32 v1, v5, v6
	ds_bpermute_b32 v4, v5, v2
	;; [unrolled: 1-line block ×3, first 2 shown]
	v_add_u32_e32 v8, 2, v8
	v_cmp_gt_u32_e32 vcc, s10, v8
	s_and_saveexec_b64 s[8:9], vcc
	s_cbranch_execz .LBB47_91
; %bb.90:
	s_waitcnt lgkmcnt(2)
	v_and_b32_e32 v8, 1, v1
	s_waitcnt lgkmcnt(0)
	v_cmp_lt_i64_e32 vcc, v[4:5], v[2:3]
	v_cmp_eq_u32_e64 s[0:1], 1, v8
	v_and_b32_e32 v6, 1, v7
	s_and_b64 vcc, s[0:1], vcc
	v_cndmask_b32_e64 v7, v7, 1, s[0:1]
	v_cndmask_b32_e32 v2, v2, v4, vcc
	v_cndmask_b32_e32 v3, v3, v5, vcc
	v_cmp_eq_u32_e32 vcc, 1, v6
	v_cndmask_b32_e32 v1, v1, v7, vcc
	v_cndmask_b32_e32 v3, v5, v3, vcc
	v_cndmask_b32_e32 v2, v4, v2, vcc
	v_and_b32_e32 v6, 0xff, v1
.LBB47_91:
	s_or_b64 exec, exec, s[8:9]
.LBB47_92:
	s_or_b64 exec, exec, s[2:3]
.LBB47_93:
	v_cmp_eq_u32_e32 vcc, 0, v0
	s_mov_b64 s[10:11], 0
                                        ; implicit-def: $vgpr4_vgpr5
                                        ; implicit-def: $vgpr1
	s_and_saveexec_b64 s[0:1], vcc
	s_xor_b64 s[8:9], exec, s[0:1]
	s_cbranch_execz .LBB47_97
; %bb.94:
	s_cmp_eq_u64 s[22:23], 0
	s_waitcnt lgkmcnt(0)
	v_pk_mov_b32 v[4:5], s[18:19], s[18:19] op_sel:[0,1]
	v_mov_b32_e32 v1, s28
	s_cbranch_scc1 .LBB47_96
; %bb.95:
	v_and_b32_e32 v1, 1, v6
	s_bitcmp1_b32 s28, 0
	v_mov_b32_e32 v4, s28
	v_cmp_eq_u32_e32 vcc, 1, v1
	v_cmp_gt_i64_e64 s[2:3], s[18:19], v[2:3]
	v_cndmask_b32_e64 v1, v4, 1, vcc
	s_cselect_b64 s[0:1], -1, 0
	v_mov_b32_e32 v4, s18
	s_and_b64 vcc, vcc, s[2:3]
	v_mov_b32_e32 v5, s19
	v_cndmask_b32_e32 v4, v4, v2, vcc
	v_cndmask_b32_e32 v5, v5, v3, vcc
	v_cndmask_b32_e64 v1, v6, v1, s[0:1]
	v_cndmask_b32_e64 v5, v3, v5, s[0:1]
	;; [unrolled: 1-line block ×3, first 2 shown]
.LBB47_96:
	s_mov_b64 s[10:11], exec
.LBB47_97:
	s_or_b64 exec, exec, s[8:9]
	s_and_b64 vcc, exec, s[24:25]
	s_cbranch_vccnz .LBB47_26
.LBB47_98:
	s_branch .LBB47_214
.LBB47_99:
                                        ; implicit-def: $vgpr2_vgpr3
                                        ; implicit-def: $vgpr6
	s_cbranch_execz .LBB47_132
; %bb.100:
	s_sub_i32 s14, s22, s2
	v_pk_mov_b32 v[6:7], 0, 0
	v_cmp_gt_u32_e32 vcc, s14, v0
	v_mov_b32_e32 v11, 0
	v_pk_mov_b32 v[2:3], v[6:7], v[6:7] op_sel:[0,1]
	v_mov_b32_e32 v10, 0
	s_and_saveexec_b64 s[0:1], vcc
	s_cbranch_execz .LBB47_102
; %bb.101:
	s_waitcnt lgkmcnt(2)
	v_lshlrev_b32_e32 v1, 4, v0
	global_load_ubyte v10, v1, s[8:9]
	global_load_dwordx2 v[2:3], v1, s[8:9] offset:8
.LBB47_102:
	s_or_b64 exec, exec, s[0:1]
	s_waitcnt lgkmcnt(2)
	v_or_b32_e32 v1, 0x100, v0
	v_cmp_gt_u32_e64 s[2:3], s14, v1
	s_and_saveexec_b64 s[0:1], s[2:3]
	s_cbranch_execz .LBB47_104
; %bb.103:
	v_lshlrev_b32_e32 v1, 4, v1
	global_load_ubyte v11, v1, s[8:9]
	global_load_dwordx2 v[6:7], v1, s[8:9] offset:8
.LBB47_104:
	s_or_b64 exec, exec, s[0:1]
	v_or_b32_e32 v13, 0x200, v0
	s_waitcnt lgkmcnt(0)
	v_pk_mov_b32 v[4:5], 0, 0
	v_cmp_gt_u32_e64 s[0:1], s14, v13
	v_mov_b32_e32 v1, 0
	v_pk_mov_b32 v[8:9], v[4:5], v[4:5] op_sel:[0,1]
	v_mov_b32_e32 v12, 0
	s_and_saveexec_b64 s[12:13], s[0:1]
	s_cbranch_execz .LBB47_106
; %bb.105:
	v_lshlrev_b32_e32 v13, 4, v13
	global_load_ubyte v12, v13, s[8:9]
	global_load_dwordx2 v[8:9], v13, s[8:9] offset:8
.LBB47_106:
	s_or_b64 exec, exec, s[12:13]
	v_or_b32_e32 v13, 0x300, v0
	v_cmp_gt_u32_e32 vcc, s14, v13
	s_and_saveexec_b64 s[12:13], vcc
	s_cbranch_execnz .LBB47_253
; %bb.107:
	s_or_b64 exec, exec, s[12:13]
	s_and_saveexec_b64 s[12:13], s[2:3]
	s_cbranch_execnz .LBB47_254
.LBB47_108:
	s_or_b64 exec, exec, s[12:13]
	s_and_saveexec_b64 s[8:9], s[0:1]
	s_cbranch_execnz .LBB47_255
.LBB47_109:
	s_or_b64 exec, exec, s[8:9]
	s_and_saveexec_b64 s[2:3], vcc
	s_cbranch_execz .LBB47_111
.LBB47_110:
	s_waitcnt vmcnt(0)
	v_and_b32_e32 v7, 1, v1
	v_cmp_lt_i64_e32 vcc, v[4:5], v[2:3]
	v_cmp_eq_u32_e64 s[0:1], 1, v7
	v_and_b32_e32 v6, 1, v10
	s_and_b64 vcc, s[0:1], vcc
	v_cndmask_b32_e64 v7, v10, 1, s[0:1]
	v_cndmask_b32_e32 v2, v2, v4, vcc
	v_cndmask_b32_e32 v3, v3, v5, vcc
	v_cmp_eq_u32_e32 vcc, 1, v6
	v_cndmask_b32_e32 v10, v1, v7, vcc
	v_cndmask_b32_e32 v3, v5, v3, vcc
	;; [unrolled: 1-line block ×3, first 2 shown]
.LBB47_111:
	s_or_b64 exec, exec, s[2:3]
	s_waitcnt vmcnt(1)
	v_mbcnt_lo_u32_b32 v1, -1, 0
	v_mbcnt_hi_u32_b32 v1, -1, v1
	s_waitcnt vmcnt(0)
	v_and_b32_e32 v7, 63, v1
	v_cmp_ne_u32_e32 vcc, 63, v7
	v_addc_co_u32_e32 v4, vcc, 0, v1, vcc
	v_and_b32_e32 v6, 0xff, v10
	v_lshlrev_b32_e32 v5, 2, v4
	ds_bpermute_b32 v11, v5, v6
	ds_bpermute_b32 v4, v5, v2
	;; [unrolled: 1-line block ×3, first 2 shown]
	s_min_u32 s8, s14, 0x100
	v_and_b32_e32 v8, 0xc0, v0
	v_sub_u32_e64 v9, s8, v8 clamp
	v_add_u32_e32 v8, 1, v7
	v_cmp_lt_u32_e32 vcc, v8, v9
	v_mov_b32_e32 v8, v6
	s_and_saveexec_b64 s[0:1], vcc
	s_xor_b64 s[2:3], exec, s[0:1]
	s_cbranch_execz .LBB47_113
; %bb.112:
	v_and_b32_e32 v8, 1, v10
	s_waitcnt lgkmcnt(2)
	v_and_b32_e32 v10, 1, v11
	s_waitcnt lgkmcnt(0)
	v_cmp_lt_i64_e32 vcc, v[4:5], v[2:3]
	v_cmp_eq_u32_e64 s[0:1], 1, v10
	s_and_b64 vcc, s[0:1], vcc
	v_cndmask_b32_e64 v6, v6, 1, s[0:1]
	v_cndmask_b32_e32 v2, v2, v4, vcc
	v_cndmask_b32_e32 v3, v3, v5, vcc
	v_cmp_eq_u32_e32 vcc, 1, v8
	v_cndmask_b32_e32 v8, v11, v6, vcc
	v_cndmask_b32_e32 v3, v5, v3, vcc
	v_cndmask_b32_e32 v2, v4, v2, vcc
	v_and_b32_e32 v6, 0xff, v8
.LBB47_113:
	s_or_b64 exec, exec, s[2:3]
	v_cmp_gt_u32_e32 vcc, 62, v7
	s_waitcnt lgkmcnt(1)
	v_cndmask_b32_e64 v4, 0, 1, vcc
	v_lshlrev_b32_e32 v4, 1, v4
	s_waitcnt lgkmcnt(0)
	v_add_lshl_u32 v5, v4, v1, 2
	ds_bpermute_b32 v10, v5, v6
	ds_bpermute_b32 v4, v5, v2
	ds_bpermute_b32 v5, v5, v3
	v_add_u32_e32 v11, 2, v7
	v_cmp_lt_u32_e32 vcc, v11, v9
	s_and_saveexec_b64 s[2:3], vcc
	s_cbranch_execz .LBB47_115
; %bb.114:
	s_waitcnt lgkmcnt(2)
	v_and_b32_e32 v11, 1, v10
	s_waitcnt lgkmcnt(0)
	v_cmp_lt_i64_e32 vcc, v[4:5], v[2:3]
	v_cmp_eq_u32_e64 s[0:1], 1, v11
	v_and_b32_e32 v6, 1, v8
	s_and_b64 vcc, s[0:1], vcc
	v_cndmask_b32_e64 v8, v8, 1, s[0:1]
	v_cndmask_b32_e32 v2, v2, v4, vcc
	v_cndmask_b32_e32 v3, v3, v5, vcc
	v_cmp_eq_u32_e32 vcc, 1, v6
	v_cndmask_b32_e32 v8, v10, v8, vcc
	v_cndmask_b32_e32 v3, v5, v3, vcc
	v_cndmask_b32_e32 v2, v4, v2, vcc
	v_and_b32_e32 v6, 0xff, v8
.LBB47_115:
	s_or_b64 exec, exec, s[2:3]
	v_cmp_gt_u32_e32 vcc, 60, v7
	s_waitcnt lgkmcnt(1)
	v_cndmask_b32_e64 v4, 0, 1, vcc
	v_lshlrev_b32_e32 v4, 2, v4
	s_waitcnt lgkmcnt(0)
	v_add_lshl_u32 v5, v4, v1, 2
	ds_bpermute_b32 v10, v5, v6
	ds_bpermute_b32 v4, v5, v2
	ds_bpermute_b32 v5, v5, v3
	v_add_u32_e32 v11, 4, v7
	v_cmp_lt_u32_e32 vcc, v11, v9
	s_and_saveexec_b64 s[2:3], vcc
	s_cbranch_execz .LBB47_117
; %bb.116:
	s_waitcnt lgkmcnt(2)
	v_and_b32_e32 v11, 1, v10
	s_waitcnt lgkmcnt(0)
	v_cmp_lt_i64_e32 vcc, v[4:5], v[2:3]
	v_cmp_eq_u32_e64 s[0:1], 1, v11
	v_and_b32_e32 v6, 1, v8
	s_and_b64 vcc, s[0:1], vcc
	v_cndmask_b32_e64 v8, v8, 1, s[0:1]
	v_cndmask_b32_e32 v2, v2, v4, vcc
	v_cndmask_b32_e32 v3, v3, v5, vcc
	v_cmp_eq_u32_e32 vcc, 1, v6
	v_cndmask_b32_e32 v8, v10, v8, vcc
	v_cndmask_b32_e32 v3, v5, v3, vcc
	v_cndmask_b32_e32 v2, v4, v2, vcc
	v_and_b32_e32 v6, 0xff, v8
.LBB47_117:
	;; [unrolled: 31-line block ×5, first 2 shown]
	s_or_b64 exec, exec, s[2:3]
	v_cmp_eq_u32_e32 vcc, 0, v1
	s_and_saveexec_b64 s[0:1], vcc
	s_cbranch_execz .LBB47_125
; %bb.124:
	s_waitcnt lgkmcnt(1)
	v_lshrrev_b32_e32 v4, 2, v0
	v_and_b32_e32 v4, 48, v4
	ds_write_b8 v4, v8 offset:256
	ds_write_b64 v4, v[2:3] offset:264
.LBB47_125:
	s_or_b64 exec, exec, s[0:1]
	v_cmp_gt_u32_e32 vcc, 4, v0
	s_waitcnt lgkmcnt(0)
	s_barrier
	s_and_saveexec_b64 s[2:3], vcc
	s_cbranch_execz .LBB47_131
; %bb.126:
	v_lshlrev_b32_e32 v2, 4, v1
	ds_read_u8 v7, v2 offset:256
	ds_read_b64 v[2:3], v2 offset:264
	v_and_b32_e32 v8, 3, v1
	v_cmp_ne_u32_e32 vcc, 3, v8
	v_addc_co_u32_e32 v4, vcc, 0, v1, vcc
	s_waitcnt lgkmcnt(1)
	v_and_b32_e32 v6, 0xff, v7
	v_lshlrev_b32_e32 v5, 2, v4
	ds_bpermute_b32 v9, v5, v6
	s_waitcnt lgkmcnt(1)
	ds_bpermute_b32 v4, v5, v2
	ds_bpermute_b32 v5, v5, v3
	s_add_i32 s8, s8, 63
	s_lshr_b32 s12, s8, 6
	v_add_u32_e32 v10, 1, v8
	v_cmp_gt_u32_e32 vcc, s12, v10
	s_and_saveexec_b64 s[8:9], vcc
	s_cbranch_execz .LBB47_128
; %bb.127:
	s_waitcnt lgkmcnt(2)
	v_and_b32_e32 v10, 1, v9
	s_waitcnt lgkmcnt(0)
	v_cmp_lt_i64_e32 vcc, v[4:5], v[2:3]
	v_cmp_eq_u32_e64 s[0:1], 1, v10
	v_and_b32_e32 v6, 1, v7
	s_and_b64 vcc, s[0:1], vcc
	v_cndmask_b32_e64 v7, v7, 1, s[0:1]
	v_cndmask_b32_e32 v2, v2, v4, vcc
	v_cndmask_b32_e32 v3, v3, v5, vcc
	v_cmp_eq_u32_e32 vcc, 1, v6
	v_cndmask_b32_e32 v7, v9, v7, vcc
	v_cndmask_b32_e32 v3, v5, v3, vcc
	v_cndmask_b32_e32 v2, v4, v2, vcc
	v_and_b32_e32 v6, 0xff, v7
.LBB47_128:
	s_or_b64 exec, exec, s[8:9]
	v_cmp_gt_u32_e32 vcc, 2, v8
	s_waitcnt lgkmcnt(1)
	v_cndmask_b32_e64 v4, 0, 1, vcc
	v_lshlrev_b32_e32 v4, 1, v4
	s_waitcnt lgkmcnt(0)
	v_add_lshl_u32 v5, v4, v1, 2
	ds_bpermute_b32 v1, v5, v6
	ds_bpermute_b32 v4, v5, v2
	;; [unrolled: 1-line block ×3, first 2 shown]
	v_add_u32_e32 v8, 2, v8
	v_cmp_gt_u32_e32 vcc, s12, v8
	s_and_saveexec_b64 s[8:9], vcc
	s_cbranch_execz .LBB47_130
; %bb.129:
	s_waitcnt lgkmcnt(2)
	v_and_b32_e32 v8, 1, v1
	s_waitcnt lgkmcnt(0)
	v_cmp_lt_i64_e32 vcc, v[4:5], v[2:3]
	v_cmp_eq_u32_e64 s[0:1], 1, v8
	v_and_b32_e32 v6, 1, v7
	s_and_b64 vcc, s[0:1], vcc
	v_cndmask_b32_e64 v7, v7, 1, s[0:1]
	v_cndmask_b32_e32 v2, v2, v4, vcc
	v_cndmask_b32_e32 v3, v3, v5, vcc
	v_cmp_eq_u32_e32 vcc, 1, v6
	v_cndmask_b32_e32 v1, v1, v7, vcc
	v_cndmask_b32_e32 v3, v5, v3, vcc
	;; [unrolled: 1-line block ×3, first 2 shown]
	v_and_b32_e32 v6, 0xff, v1
.LBB47_130:
	s_or_b64 exec, exec, s[8:9]
.LBB47_131:
	s_or_b64 exec, exec, s[2:3]
.LBB47_132:
	v_cmp_eq_u32_e32 vcc, 0, v0
                                        ; implicit-def: $vgpr4_vgpr5
                                        ; implicit-def: $vgpr1
	s_and_saveexec_b64 s[0:1], vcc
	s_xor_b64 s[8:9], exec, s[0:1]
	s_cbranch_execz .LBB47_136
; %bb.133:
	s_cmp_eq_u64 s[22:23], 0
	s_waitcnt lgkmcnt(0)
	v_pk_mov_b32 v[4:5], s[18:19], s[18:19] op_sel:[0,1]
	v_mov_b32_e32 v1, s28
	s_cbranch_scc1 .LBB47_135
; %bb.134:
	v_and_b32_e32 v1, 1, v6
	s_bitcmp1_b32 s28, 0
	v_mov_b32_e32 v4, s28
	v_cmp_eq_u32_e32 vcc, 1, v1
	v_cmp_gt_i64_e64 s[2:3], s[18:19], v[2:3]
	v_cndmask_b32_e64 v1, v4, 1, vcc
	s_cselect_b64 s[0:1], -1, 0
	v_mov_b32_e32 v4, s18
	s_and_b64 vcc, vcc, s[2:3]
	v_mov_b32_e32 v5, s19
	v_cndmask_b32_e32 v4, v4, v2, vcc
	v_cndmask_b32_e32 v5, v5, v3, vcc
	v_cndmask_b32_e64 v1, v6, v1, s[0:1]
	v_cndmask_b32_e64 v5, v3, v5, s[0:1]
	;; [unrolled: 1-line block ×3, first 2 shown]
.LBB47_135:
	s_or_b64 s[10:11], s[10:11], exec
.LBB47_136:
	s_or_b64 exec, exec, s[8:9]
	s_branch .LBB47_214
.LBB47_137:
	s_cmp_gt_i32 s29, 1
	s_cbranch_scc0 .LBB47_159
; %bb.138:
	s_cmp_eq_u32 s29, 2
	s_cbranch_scc0 .LBB47_160
; %bb.139:
	s_mov_b32 s7, 0
	s_lshl_b32 s8, s6, 9
	s_mov_b32 s9, s7
	s_lshr_b64 s[0:1], s[22:23], 9
	s_lshl_b64 s[2:3], s[8:9], 4
	s_add_u32 s2, s20, s2
	s_addc_u32 s3, s21, s3
	s_cmp_lg_u64 s[0:1], s[6:7]
	s_cbranch_scc0 .LBB47_161
; %bb.140:
	v_lshlrev_b32_e32 v7, 4, v0
	s_waitcnt lgkmcnt(2)
	v_mov_b32_e32 v1, s3
	s_waitcnt lgkmcnt(1)
	v_add_co_u32_e32 v4, vcc, s2, v7
	s_waitcnt lgkmcnt(0)
	v_addc_co_u32_e32 v5, vcc, 0, v1, vcc
	v_add_co_u32_e32 v8, vcc, 0x1000, v4
	v_addc_co_u32_e32 v9, vcc, 0, v5, vcc
	global_load_ubyte v1, v7, s[2:3]
	global_load_ubyte v6, v[8:9], off
	global_load_dwordx2 v[2:3], v[8:9], off offset:8
	s_waitcnt vmcnt(2)
	v_and_b32_e32 v7, 1, v1
	v_cmp_eq_u32_e32 vcc, 1, v7
	s_and_saveexec_b64 s[12:13], vcc
	s_cbranch_execz .LBB47_142
; %bb.141:
	global_load_dwordx2 v[4:5], v[4:5], off offset:8
	s_waitcnt vmcnt(2)
	v_and_b32_e32 v6, 1, v6
	v_cmp_eq_u32_e32 vcc, 1, v6
	v_cndmask_b32_e64 v6, v1, 1, vcc
	s_waitcnt vmcnt(0)
	v_cmp_lt_i64_e64 s[0:1], v[2:3], v[4:5]
	v_cndmask_b32_e64 v1, v5, v3, s[0:1]
	v_cndmask_b32_e32 v3, v5, v1, vcc
	s_and_b64 vcc, vcc, s[0:1]
	v_cndmask_b32_e32 v2, v4, v2, vcc
.LBB47_142:
	s_or_b64 exec, exec, s[12:13]
	s_waitcnt vmcnt(1)
	v_and_b32_e32 v1, 0xff, v6
	v_and_b32_e32 v6, 1, v6
	s_waitcnt vmcnt(0)
	v_mov_b32_dpp v4, v2 quad_perm:[1,0,3,2] row_mask:0xf bank_mask:0xf bound_ctrl:1
	v_mov_b32_dpp v7, v1 quad_perm:[1,0,3,2] row_mask:0xf bank_mask:0xf bound_ctrl:1
	v_and_b32_e32 v8, 1, v7
	v_mov_b32_dpp v5, v3 quad_perm:[1,0,3,2] row_mask:0xf bank_mask:0xf bound_ctrl:1
	v_cmp_eq_u32_e32 vcc, 1, v8
	v_cmp_eq_u32_e64 s[0:1], 1, v6
	s_and_saveexec_b64 s[12:13], vcc
; %bb.143:
	v_cmp_lt_i64_e32 vcc, v[2:3], v[4:5]
	v_cndmask_b32_e64 v6, v7, 1, s[0:1]
	s_and_b64 vcc, s[0:1], vcc
	v_cndmask_b32_e32 v2, v4, v2, vcc
	v_and_b32_e32 v4, 1, v6
	v_cndmask_b32_e32 v3, v5, v3, vcc
	v_cmp_eq_u32_e32 vcc, 1, v4
	s_andn2_b64 s[0:1], s[0:1], exec
	s_and_b64 s[14:15], vcc, exec
	v_and_b32_e32 v1, 0xff, v6
	s_or_b64 s[0:1], s[0:1], s[14:15]
; %bb.144:
	s_or_b64 exec, exec, s[12:13]
	v_mov_b32_dpp v6, v1 quad_perm:[2,3,0,1] row_mask:0xf bank_mask:0xf bound_ctrl:1
	v_and_b32_e32 v7, 1, v6
	v_mov_b32_dpp v4, v2 quad_perm:[2,3,0,1] row_mask:0xf bank_mask:0xf bound_ctrl:1
	v_mov_b32_dpp v5, v3 quad_perm:[2,3,0,1] row_mask:0xf bank_mask:0xf bound_ctrl:1
	v_cmp_eq_u32_e32 vcc, 1, v7
	s_and_saveexec_b64 s[12:13], vcc
; %bb.145:
	v_cmp_lt_i64_e32 vcc, v[2:3], v[4:5]
	v_cndmask_b32_e64 v6, v6, 1, s[0:1]
	s_and_b64 vcc, s[0:1], vcc
	v_cndmask_b32_e32 v2, v4, v2, vcc
	v_and_b32_e32 v4, 1, v6
	v_cndmask_b32_e32 v3, v5, v3, vcc
	v_cmp_eq_u32_e32 vcc, 1, v4
	s_andn2_b64 s[0:1], s[0:1], exec
	s_and_b64 s[14:15], vcc, exec
	v_and_b32_e32 v1, 0xff, v6
	s_or_b64 s[0:1], s[0:1], s[14:15]
; %bb.146:
	s_or_b64 exec, exec, s[12:13]
	v_mov_b32_dpp v6, v1 row_ror:4 row_mask:0xf bank_mask:0xf bound_ctrl:1
	v_and_b32_e32 v7, 1, v6
	v_mov_b32_dpp v4, v2 row_ror:4 row_mask:0xf bank_mask:0xf bound_ctrl:1
	v_mov_b32_dpp v5, v3 row_ror:4 row_mask:0xf bank_mask:0xf bound_ctrl:1
	v_cmp_eq_u32_e32 vcc, 1, v7
	s_and_saveexec_b64 s[12:13], vcc
; %bb.147:
	v_cmp_lt_i64_e32 vcc, v[2:3], v[4:5]
	v_cndmask_b32_e64 v6, v6, 1, s[0:1]
	s_and_b64 vcc, s[0:1], vcc
	v_cndmask_b32_e32 v2, v4, v2, vcc
	v_and_b32_e32 v4, 1, v6
	v_cndmask_b32_e32 v3, v5, v3, vcc
	v_cmp_eq_u32_e32 vcc, 1, v4
	s_andn2_b64 s[0:1], s[0:1], exec
	s_and_b64 s[14:15], vcc, exec
	v_and_b32_e32 v1, 0xff, v6
	s_or_b64 s[0:1], s[0:1], s[14:15]
; %bb.148:
	s_or_b64 exec, exec, s[12:13]
	v_mov_b32_dpp v6, v1 row_ror:8 row_mask:0xf bank_mask:0xf bound_ctrl:1
	v_and_b32_e32 v7, 1, v6
	v_mov_b32_dpp v4, v2 row_ror:8 row_mask:0xf bank_mask:0xf bound_ctrl:1
	v_mov_b32_dpp v5, v3 row_ror:8 row_mask:0xf bank_mask:0xf bound_ctrl:1
	v_cmp_eq_u32_e32 vcc, 1, v7
	s_and_saveexec_b64 s[12:13], vcc
; %bb.149:
	v_cmp_lt_i64_e32 vcc, v[2:3], v[4:5]
	v_cndmask_b32_e64 v6, v6, 1, s[0:1]
	s_and_b64 vcc, s[0:1], vcc
	v_cndmask_b32_e32 v2, v4, v2, vcc
	v_and_b32_e32 v4, 1, v6
	v_cndmask_b32_e32 v3, v5, v3, vcc
	v_cmp_eq_u32_e32 vcc, 1, v4
	s_andn2_b64 s[0:1], s[0:1], exec
	s_and_b64 s[14:15], vcc, exec
	v_and_b32_e32 v1, 0xff, v6
	s_or_b64 s[0:1], s[0:1], s[14:15]
; %bb.150:
	s_or_b64 exec, exec, s[12:13]
	v_mov_b32_dpp v6, v1 row_bcast:15 row_mask:0xf bank_mask:0xf bound_ctrl:1
	v_and_b32_e32 v7, 1, v6
	v_mov_b32_dpp v4, v2 row_bcast:15 row_mask:0xf bank_mask:0xf bound_ctrl:1
	v_mov_b32_dpp v5, v3 row_bcast:15 row_mask:0xf bank_mask:0xf bound_ctrl:1
	v_cmp_eq_u32_e32 vcc, 1, v7
	s_and_saveexec_b64 s[12:13], vcc
; %bb.151:
	v_cmp_lt_i64_e32 vcc, v[2:3], v[4:5]
	v_cndmask_b32_e64 v6, v6, 1, s[0:1]
	s_and_b64 vcc, s[0:1], vcc
	v_cndmask_b32_e32 v2, v4, v2, vcc
	v_and_b32_e32 v4, 1, v6
	v_cndmask_b32_e32 v3, v5, v3, vcc
	v_cmp_eq_u32_e32 vcc, 1, v4
	s_andn2_b64 s[0:1], s[0:1], exec
	s_and_b64 s[14:15], vcc, exec
	v_and_b32_e32 v1, 0xff, v6
	s_or_b64 s[0:1], s[0:1], s[14:15]
; %bb.152:
	s_or_b64 exec, exec, s[12:13]
	v_mov_b32_dpp v6, v1 row_bcast:31 row_mask:0xf bank_mask:0xf bound_ctrl:1
	v_and_b32_e32 v7, 1, v6
	v_mov_b32_dpp v4, v2 row_bcast:31 row_mask:0xf bank_mask:0xf bound_ctrl:1
	v_mov_b32_dpp v5, v3 row_bcast:31 row_mask:0xf bank_mask:0xf bound_ctrl:1
	v_cmp_eq_u32_e32 vcc, 1, v7
	s_and_saveexec_b64 s[12:13], vcc
; %bb.153:
	v_cmp_lt_i64_e32 vcc, v[2:3], v[4:5]
	v_and_b32_e32 v1, 0xff, v6
	s_and_b64 vcc, s[0:1], vcc
	v_cndmask_b32_e32 v2, v4, v2, vcc
	v_cndmask_b32_e32 v3, v5, v3, vcc
	v_cndmask_b32_e64 v1, v1, 1, s[0:1]
; %bb.154:
	s_or_b64 exec, exec, s[12:13]
	v_mbcnt_lo_u32_b32 v4, -1, 0
	v_mbcnt_hi_u32_b32 v4, -1, v4
	v_bfrev_b32_e32 v5, 0.5
	v_lshl_or_b32 v5, v4, 2, v5
	ds_bpermute_b32 v6, v5, v1
	ds_bpermute_b32 v2, v5, v2
	;; [unrolled: 1-line block ×3, first 2 shown]
	v_cmp_eq_u32_e32 vcc, 0, v4
	s_and_saveexec_b64 s[0:1], vcc
	s_cbranch_execz .LBB47_156
; %bb.155:
	v_lshrrev_b32_e32 v1, 2, v0
	v_and_b32_e32 v1, 48, v1
	s_waitcnt lgkmcnt(2)
	ds_write_b8 v1, v6 offset:64
	s_waitcnt lgkmcnt(1)
	ds_write_b64 v1, v[2:3] offset:72
.LBB47_156:
	s_or_b64 exec, exec, s[0:1]
	v_cmp_gt_u32_e32 vcc, 64, v0
	s_waitcnt lgkmcnt(0)
	s_barrier
	s_and_saveexec_b64 s[12:13], vcc
	s_cbranch_execz .LBB47_158
; %bb.157:
	v_and_b32_e32 v1, 3, v4
	v_lshlrev_b32_e32 v2, 4, v1
	ds_read_u8 v5, v2 offset:64
	ds_read_b64 v[2:3], v2 offset:72
	v_cmp_ne_u32_e32 vcc, 3, v1
	v_addc_co_u32_e32 v6, vcc, 0, v4, vcc
	s_waitcnt lgkmcnt(1)
	v_and_b32_e32 v7, 0xff, v5
	v_lshlrev_b32_e32 v8, 2, v6
	ds_bpermute_b32 v9, v8, v7
	s_waitcnt lgkmcnt(1)
	ds_bpermute_b32 v6, v8, v2
	ds_bpermute_b32 v7, v8, v3
	v_and_b32_e32 v8, 1, v5
	s_waitcnt lgkmcnt(2)
	v_and_b32_e32 v10, 1, v9
	v_cmp_eq_u32_e64 s[0:1], 1, v10
	s_waitcnt lgkmcnt(0)
	v_cmp_lt_i64_e32 vcc, v[6:7], v[2:3]
	s_and_b64 vcc, s[0:1], vcc
	v_cndmask_b32_e64 v5, v5, 1, s[0:1]
	v_cndmask_b32_e32 v2, v2, v6, vcc
	v_cndmask_b32_e32 v3, v3, v7, vcc
	v_cmp_eq_u32_e32 vcc, 1, v8
	v_cndmask_b32_e32 v8, v9, v5, vcc
	v_cndmask_b32_e32 v3, v7, v3, vcc
	;; [unrolled: 1-line block ×3, first 2 shown]
	v_cmp_gt_u32_e32 vcc, 2, v1
	v_cndmask_b32_e64 v1, 0, 1, vcc
	v_lshlrev_b32_e32 v1, 1, v1
	v_and_b32_e32 v5, 0xff, v8
	v_add_lshl_u32 v1, v1, v4, 2
	ds_bpermute_b32 v6, v1, v5
	ds_bpermute_b32 v4, v1, v2
	;; [unrolled: 1-line block ×3, first 2 shown]
	v_and_b32_e32 v1, 1, v8
	s_waitcnt lgkmcnt(2)
	v_and_b32_e32 v7, 1, v6
	v_cmp_eq_u32_e64 s[0:1], 1, v7
	s_waitcnt lgkmcnt(0)
	v_cmp_lt_i64_e32 vcc, v[4:5], v[2:3]
	s_and_b64 vcc, s[0:1], vcc
	v_cndmask_b32_e64 v7, v8, 1, s[0:1]
	v_cndmask_b32_e32 v2, v2, v4, vcc
	v_cndmask_b32_e32 v3, v3, v5, vcc
	v_cmp_eq_u32_e32 vcc, 1, v1
	v_cndmask_b32_e32 v1, v6, v7, vcc
	v_cndmask_b32_e32 v3, v5, v3, vcc
	;; [unrolled: 1-line block ×3, first 2 shown]
	v_and_b32_e32 v6, 0xff, v1
.LBB47_158:
	s_or_b64 exec, exec, s[12:13]
	s_branch .LBB47_189
.LBB47_159:
                                        ; implicit-def: $vgpr4_vgpr5
                                        ; implicit-def: $vgpr1
	s_cbranch_execnz .LBB47_194
	s_branch .LBB47_214
.LBB47_160:
                                        ; implicit-def: $vgpr4_vgpr5
                                        ; implicit-def: $vgpr1
	s_branch .LBB47_214
.LBB47_161:
                                        ; implicit-def: $vgpr2_vgpr3
                                        ; implicit-def: $vgpr6
	s_cbranch_execz .LBB47_189
; %bb.162:
	s_sub_i32 s8, s22, s8
	s_waitcnt lgkmcnt(0)
	v_pk_mov_b32 v[4:5], 0, 0
	v_cmp_gt_u32_e32 vcc, s8, v0
	v_mov_b32_e32 v1, 0
	v_pk_mov_b32 v[2:3], v[4:5], v[4:5] op_sel:[0,1]
	v_mov_b32_e32 v7, 0
	s_and_saveexec_b64 s[0:1], vcc
	s_cbranch_execz .LBB47_164
; %bb.163:
	v_lshlrev_b32_e32 v6, 4, v0
	global_load_ubyte v7, v6, s[2:3]
	global_load_dwordx2 v[2:3], v6, s[2:3] offset:8
.LBB47_164:
	s_or_b64 exec, exec, s[0:1]
	v_or_b32_e32 v6, 0x100, v0
	v_cmp_gt_u32_e32 vcc, s8, v6
	s_and_saveexec_b64 s[0:1], vcc
	s_cbranch_execz .LBB47_166
; %bb.165:
	v_lshlrev_b32_e32 v6, 4, v6
	global_load_ubyte v1, v6, s[2:3]
	global_load_dwordx2 v[4:5], v6, s[2:3] offset:8
.LBB47_166:
	s_or_b64 exec, exec, s[0:1]
	s_and_saveexec_b64 s[2:3], vcc
	s_cbranch_execz .LBB47_168
; %bb.167:
	s_waitcnt vmcnt(1)
	v_and_b32_e32 v8, 1, v1
	s_waitcnt vmcnt(0)
	v_cmp_lt_i64_e32 vcc, v[4:5], v[2:3]
	v_cmp_eq_u32_e64 s[0:1], 1, v8
	v_and_b32_e32 v6, 1, v7
	s_and_b64 vcc, s[0:1], vcc
	v_cndmask_b32_e64 v7, v7, 1, s[0:1]
	v_cndmask_b32_e32 v2, v2, v4, vcc
	v_cndmask_b32_e32 v3, v3, v5, vcc
	v_cmp_eq_u32_e32 vcc, 1, v6
	v_cndmask_b32_e32 v7, v1, v7, vcc
	v_cndmask_b32_e32 v3, v5, v3, vcc
	;; [unrolled: 1-line block ×3, first 2 shown]
.LBB47_168:
	s_or_b64 exec, exec, s[2:3]
	s_waitcnt vmcnt(1)
	v_mbcnt_lo_u32_b32 v1, -1, 0
	v_mbcnt_hi_u32_b32 v1, -1, v1
	v_and_b32_e32 v8, 63, v1
	v_cmp_ne_u32_e32 vcc, 63, v8
	s_waitcnt vmcnt(0)
	v_addc_co_u32_e32 v4, vcc, 0, v1, vcc
	v_and_b32_e32 v6, 0xff, v7
	v_lshlrev_b32_e32 v5, 2, v4
	ds_bpermute_b32 v10, v5, v6
	ds_bpermute_b32 v4, v5, v2
	;; [unrolled: 1-line block ×3, first 2 shown]
	s_min_u32 s8, s8, 0x100
	v_and_b32_e32 v9, 0xc0, v0
	v_sub_u32_e64 v9, s8, v9 clamp
	v_add_u32_e32 v11, 1, v8
	v_cmp_lt_u32_e32 vcc, v11, v9
	s_and_saveexec_b64 s[2:3], vcc
	s_cbranch_execz .LBB47_170
; %bb.169:
	s_waitcnt lgkmcnt(2)
	v_and_b32_e32 v11, 1, v10
	s_waitcnt lgkmcnt(0)
	v_cmp_lt_i64_e32 vcc, v[4:5], v[2:3]
	v_cmp_eq_u32_e64 s[0:1], 1, v11
	v_and_b32_e32 v6, 1, v7
	s_and_b64 vcc, s[0:1], vcc
	v_cndmask_b32_e64 v7, v7, 1, s[0:1]
	v_cndmask_b32_e32 v2, v2, v4, vcc
	v_cndmask_b32_e32 v3, v3, v5, vcc
	v_cmp_eq_u32_e32 vcc, 1, v6
	v_cndmask_b32_e32 v7, v10, v7, vcc
	v_cndmask_b32_e32 v3, v5, v3, vcc
	v_cndmask_b32_e32 v2, v4, v2, vcc
	v_and_b32_e32 v6, 0xff, v7
.LBB47_170:
	s_or_b64 exec, exec, s[2:3]
	v_cmp_gt_u32_e32 vcc, 62, v8
	s_waitcnt lgkmcnt(1)
	v_cndmask_b32_e64 v4, 0, 1, vcc
	v_lshlrev_b32_e32 v4, 1, v4
	s_waitcnt lgkmcnt(0)
	v_add_lshl_u32 v5, v4, v1, 2
	ds_bpermute_b32 v10, v5, v6
	ds_bpermute_b32 v4, v5, v2
	ds_bpermute_b32 v5, v5, v3
	v_add_u32_e32 v11, 2, v8
	v_cmp_lt_u32_e32 vcc, v11, v9
	s_and_saveexec_b64 s[2:3], vcc
	s_cbranch_execz .LBB47_172
; %bb.171:
	s_waitcnt lgkmcnt(2)
	v_and_b32_e32 v11, 1, v10
	s_waitcnt lgkmcnt(0)
	v_cmp_lt_i64_e32 vcc, v[4:5], v[2:3]
	v_cmp_eq_u32_e64 s[0:1], 1, v11
	v_and_b32_e32 v6, 1, v7
	s_and_b64 vcc, s[0:1], vcc
	v_cndmask_b32_e64 v7, v7, 1, s[0:1]
	v_cndmask_b32_e32 v2, v2, v4, vcc
	v_cndmask_b32_e32 v3, v3, v5, vcc
	v_cmp_eq_u32_e32 vcc, 1, v6
	v_cndmask_b32_e32 v7, v10, v7, vcc
	v_cndmask_b32_e32 v3, v5, v3, vcc
	v_cndmask_b32_e32 v2, v4, v2, vcc
	v_and_b32_e32 v6, 0xff, v7
.LBB47_172:
	s_or_b64 exec, exec, s[2:3]
	v_cmp_gt_u32_e32 vcc, 60, v8
	s_waitcnt lgkmcnt(1)
	v_cndmask_b32_e64 v4, 0, 1, vcc
	v_lshlrev_b32_e32 v4, 2, v4
	s_waitcnt lgkmcnt(0)
	v_add_lshl_u32 v5, v4, v1, 2
	ds_bpermute_b32 v10, v5, v6
	ds_bpermute_b32 v4, v5, v2
	ds_bpermute_b32 v5, v5, v3
	;; [unrolled: 31-line block ×5, first 2 shown]
	v_add_u32_e32 v8, 32, v8
	v_cmp_lt_u32_e32 vcc, v8, v9
	s_and_saveexec_b64 s[2:3], vcc
	s_cbranch_execz .LBB47_180
; %bb.179:
	s_waitcnt lgkmcnt(2)
	v_and_b32_e32 v8, 1, v10
	s_waitcnt lgkmcnt(0)
	v_cmp_lt_i64_e32 vcc, v[4:5], v[2:3]
	v_cmp_eq_u32_e64 s[0:1], 1, v8
	v_and_b32_e32 v6, 1, v7
	s_and_b64 vcc, s[0:1], vcc
	v_cndmask_b32_e64 v7, v7, 1, s[0:1]
	v_cndmask_b32_e32 v2, v2, v4, vcc
	v_cndmask_b32_e32 v3, v3, v5, vcc
	v_cmp_eq_u32_e32 vcc, 1, v6
	v_cndmask_b32_e32 v7, v10, v7, vcc
	v_cndmask_b32_e32 v3, v5, v3, vcc
	;; [unrolled: 1-line block ×3, first 2 shown]
	v_and_b32_e32 v6, 0xff, v7
.LBB47_180:
	s_or_b64 exec, exec, s[2:3]
	v_cmp_eq_u32_e32 vcc, 0, v1
	s_and_saveexec_b64 s[0:1], vcc
	s_cbranch_execz .LBB47_182
; %bb.181:
	s_waitcnt lgkmcnt(1)
	v_lshrrev_b32_e32 v4, 2, v0
	v_and_b32_e32 v4, 48, v4
	ds_write_b8 v4, v7 offset:256
	ds_write_b64 v4, v[2:3] offset:264
.LBB47_182:
	s_or_b64 exec, exec, s[0:1]
	v_cmp_gt_u32_e32 vcc, 4, v0
	s_waitcnt lgkmcnt(0)
	s_barrier
	s_and_saveexec_b64 s[2:3], vcc
	s_cbranch_execz .LBB47_188
; %bb.183:
	v_lshlrev_b32_e32 v2, 4, v1
	ds_read_u8 v7, v2 offset:256
	ds_read_b64 v[2:3], v2 offset:264
	v_and_b32_e32 v8, 3, v1
	v_cmp_ne_u32_e32 vcc, 3, v8
	v_addc_co_u32_e32 v4, vcc, 0, v1, vcc
	s_waitcnt lgkmcnt(1)
	v_and_b32_e32 v6, 0xff, v7
	v_lshlrev_b32_e32 v5, 2, v4
	ds_bpermute_b32 v9, v5, v6
	s_waitcnt lgkmcnt(1)
	ds_bpermute_b32 v4, v5, v2
	ds_bpermute_b32 v5, v5, v3
	s_add_i32 s8, s8, 63
	s_lshr_b32 s12, s8, 6
	v_add_u32_e32 v10, 1, v8
	v_cmp_gt_u32_e32 vcc, s12, v10
	s_and_saveexec_b64 s[8:9], vcc
	s_cbranch_execz .LBB47_185
; %bb.184:
	s_waitcnt lgkmcnt(2)
	v_and_b32_e32 v10, 1, v9
	s_waitcnt lgkmcnt(0)
	v_cmp_lt_i64_e32 vcc, v[4:5], v[2:3]
	v_cmp_eq_u32_e64 s[0:1], 1, v10
	v_and_b32_e32 v6, 1, v7
	s_and_b64 vcc, s[0:1], vcc
	v_cndmask_b32_e64 v7, v7, 1, s[0:1]
	v_cndmask_b32_e32 v2, v2, v4, vcc
	v_cndmask_b32_e32 v3, v3, v5, vcc
	v_cmp_eq_u32_e32 vcc, 1, v6
	v_cndmask_b32_e32 v7, v9, v7, vcc
	v_cndmask_b32_e32 v3, v5, v3, vcc
	v_cndmask_b32_e32 v2, v4, v2, vcc
	v_and_b32_e32 v6, 0xff, v7
.LBB47_185:
	s_or_b64 exec, exec, s[8:9]
	v_cmp_gt_u32_e32 vcc, 2, v8
	s_waitcnt lgkmcnt(1)
	v_cndmask_b32_e64 v4, 0, 1, vcc
	v_lshlrev_b32_e32 v4, 1, v4
	s_waitcnt lgkmcnt(0)
	v_add_lshl_u32 v5, v4, v1, 2
	ds_bpermute_b32 v1, v5, v6
	ds_bpermute_b32 v4, v5, v2
	;; [unrolled: 1-line block ×3, first 2 shown]
	v_add_u32_e32 v8, 2, v8
	v_cmp_gt_u32_e32 vcc, s12, v8
	s_and_saveexec_b64 s[8:9], vcc
	s_cbranch_execz .LBB47_187
; %bb.186:
	s_waitcnt lgkmcnt(2)
	v_and_b32_e32 v8, 1, v1
	s_waitcnt lgkmcnt(0)
	v_cmp_lt_i64_e32 vcc, v[4:5], v[2:3]
	v_cmp_eq_u32_e64 s[0:1], 1, v8
	v_and_b32_e32 v6, 1, v7
	s_and_b64 vcc, s[0:1], vcc
	v_cndmask_b32_e64 v7, v7, 1, s[0:1]
	v_cndmask_b32_e32 v2, v2, v4, vcc
	v_cndmask_b32_e32 v3, v3, v5, vcc
	v_cmp_eq_u32_e32 vcc, 1, v6
	v_cndmask_b32_e32 v1, v1, v7, vcc
	v_cndmask_b32_e32 v3, v5, v3, vcc
	;; [unrolled: 1-line block ×3, first 2 shown]
	v_and_b32_e32 v6, 0xff, v1
.LBB47_187:
	s_or_b64 exec, exec, s[8:9]
.LBB47_188:
	s_or_b64 exec, exec, s[2:3]
.LBB47_189:
	v_cmp_eq_u32_e32 vcc, 0, v0
                                        ; implicit-def: $vgpr4_vgpr5
                                        ; implicit-def: $vgpr1
	s_and_saveexec_b64 s[0:1], vcc
	s_xor_b64 s[8:9], exec, s[0:1]
	s_cbranch_execz .LBB47_193
; %bb.190:
	s_cmp_eq_u64 s[22:23], 0
	s_waitcnt lgkmcnt(0)
	v_pk_mov_b32 v[4:5], s[18:19], s[18:19] op_sel:[0,1]
	v_mov_b32_e32 v1, s28
	s_cbranch_scc1 .LBB47_192
; %bb.191:
	v_and_b32_e32 v1, 1, v6
	s_bitcmp1_b32 s28, 0
	v_mov_b32_e32 v4, s28
	v_cmp_eq_u32_e32 vcc, 1, v1
	v_cmp_gt_i64_e64 s[2:3], s[18:19], v[2:3]
	v_cndmask_b32_e64 v1, v4, 1, vcc
	s_cselect_b64 s[0:1], -1, 0
	v_mov_b32_e32 v4, s18
	s_and_b64 vcc, vcc, s[2:3]
	v_mov_b32_e32 v5, s19
	v_cndmask_b32_e32 v4, v4, v2, vcc
	v_cndmask_b32_e32 v5, v5, v3, vcc
	v_cndmask_b32_e64 v1, v6, v1, s[0:1]
	v_cndmask_b32_e64 v5, v3, v5, s[0:1]
	;; [unrolled: 1-line block ×3, first 2 shown]
.LBB47_192:
	s_or_b64 s[10:11], s[10:11], exec
.LBB47_193:
	s_or_b64 exec, exec, s[8:9]
	s_branch .LBB47_214
.LBB47_194:
	s_cmp_eq_u32 s29, 1
	s_cbranch_scc0 .LBB47_213
; %bb.195:
	s_mov_b32 s3, 0
	s_lshl_b32 s2, s6, 8
	s_mov_b32 s7, s3
	s_lshr_b64 s[0:1], s[22:23], 8
	s_cmp_lg_u64 s[0:1], s[6:7]
	s_cbranch_scc0 .LBB47_217
; %bb.196:
	s_lshl_b64 s[0:1], s[2:3], 4
	s_add_u32 s0, s20, s0
	s_addc_u32 s1, s21, s1
	s_waitcnt lgkmcnt(2)
	v_lshlrev_b32_e32 v1, 4, v0
	s_waitcnt lgkmcnt(1)
	global_load_ubyte v4, v1, s[0:1]
	global_load_dwordx2 v[2:3], v1, s[0:1] offset:8
	s_waitcnt vmcnt(1)
	v_and_b32_e32 v1, 1, v4
	s_nop 1
	v_mov_b32_dpp v6, v1 quad_perm:[1,0,3,2] row_mask:0xf bank_mask:0xf bound_ctrl:1
	v_and_b32_e32 v7, 1, v6
	s_waitcnt vmcnt(0)
	v_mov_b32_dpp v4, v2 quad_perm:[1,0,3,2] row_mask:0xf bank_mask:0xf bound_ctrl:1
	s_waitcnt lgkmcnt(0)
	v_mov_b32_dpp v5, v3 quad_perm:[1,0,3,2] row_mask:0xf bank_mask:0xf bound_ctrl:1
	v_cmp_eq_u32_e32 vcc, 1, v7
	v_cmp_eq_u32_e64 s[0:1], 1, v1
	s_and_saveexec_b64 s[8:9], vcc
; %bb.197:
	v_cmp_lt_i64_e32 vcc, v[2:3], v[4:5]
	v_cndmask_b32_e64 v6, v6, 1, s[0:1]
	s_and_b64 vcc, s[0:1], vcc
	v_cndmask_b32_e32 v2, v4, v2, vcc
	v_and_b32_e32 v4, 1, v6
	v_cndmask_b32_e32 v3, v5, v3, vcc
	v_cmp_eq_u32_e32 vcc, 1, v4
	s_andn2_b64 s[0:1], s[0:1], exec
	s_and_b64 s[12:13], vcc, exec
	v_and_b32_e32 v1, 0xff, v6
	s_or_b64 s[0:1], s[0:1], s[12:13]
; %bb.198:
	s_or_b64 exec, exec, s[8:9]
	v_mov_b32_dpp v6, v1 quad_perm:[2,3,0,1] row_mask:0xf bank_mask:0xf bound_ctrl:1
	v_and_b32_e32 v7, 1, v6
	v_mov_b32_dpp v4, v2 quad_perm:[2,3,0,1] row_mask:0xf bank_mask:0xf bound_ctrl:1
	v_mov_b32_dpp v5, v3 quad_perm:[2,3,0,1] row_mask:0xf bank_mask:0xf bound_ctrl:1
	v_cmp_eq_u32_e32 vcc, 1, v7
	s_and_saveexec_b64 s[8:9], vcc
; %bb.199:
	v_cmp_lt_i64_e32 vcc, v[2:3], v[4:5]
	v_cndmask_b32_e64 v6, v6, 1, s[0:1]
	s_and_b64 vcc, s[0:1], vcc
	v_cndmask_b32_e32 v2, v4, v2, vcc
	v_and_b32_e32 v4, 1, v6
	v_cndmask_b32_e32 v3, v5, v3, vcc
	v_cmp_eq_u32_e32 vcc, 1, v4
	s_andn2_b64 s[0:1], s[0:1], exec
	s_and_b64 s[12:13], vcc, exec
	v_and_b32_e32 v1, 0xff, v6
	s_or_b64 s[0:1], s[0:1], s[12:13]
; %bb.200:
	s_or_b64 exec, exec, s[8:9]
	v_mov_b32_dpp v6, v1 row_ror:4 row_mask:0xf bank_mask:0xf bound_ctrl:1
	v_and_b32_e32 v7, 1, v6
	v_mov_b32_dpp v4, v2 row_ror:4 row_mask:0xf bank_mask:0xf bound_ctrl:1
	v_mov_b32_dpp v5, v3 row_ror:4 row_mask:0xf bank_mask:0xf bound_ctrl:1
	v_cmp_eq_u32_e32 vcc, 1, v7
	s_and_saveexec_b64 s[8:9], vcc
; %bb.201:
	v_cmp_lt_i64_e32 vcc, v[2:3], v[4:5]
	v_cndmask_b32_e64 v6, v6, 1, s[0:1]
	s_and_b64 vcc, s[0:1], vcc
	v_cndmask_b32_e32 v2, v4, v2, vcc
	v_and_b32_e32 v4, 1, v6
	v_cndmask_b32_e32 v3, v5, v3, vcc
	v_cmp_eq_u32_e32 vcc, 1, v4
	s_andn2_b64 s[0:1], s[0:1], exec
	s_and_b64 s[12:13], vcc, exec
	v_and_b32_e32 v1, 0xff, v6
	s_or_b64 s[0:1], s[0:1], s[12:13]
; %bb.202:
	s_or_b64 exec, exec, s[8:9]
	v_mov_b32_dpp v6, v1 row_ror:8 row_mask:0xf bank_mask:0xf bound_ctrl:1
	v_and_b32_e32 v7, 1, v6
	v_mov_b32_dpp v4, v2 row_ror:8 row_mask:0xf bank_mask:0xf bound_ctrl:1
	v_mov_b32_dpp v5, v3 row_ror:8 row_mask:0xf bank_mask:0xf bound_ctrl:1
	v_cmp_eq_u32_e32 vcc, 1, v7
	s_and_saveexec_b64 s[8:9], vcc
; %bb.203:
	v_cmp_lt_i64_e32 vcc, v[2:3], v[4:5]
	v_cndmask_b32_e64 v6, v6, 1, s[0:1]
	s_and_b64 vcc, s[0:1], vcc
	v_cndmask_b32_e32 v2, v4, v2, vcc
	v_and_b32_e32 v4, 1, v6
	v_cndmask_b32_e32 v3, v5, v3, vcc
	v_cmp_eq_u32_e32 vcc, 1, v4
	s_andn2_b64 s[0:1], s[0:1], exec
	s_and_b64 s[12:13], vcc, exec
	v_and_b32_e32 v1, 0xff, v6
	s_or_b64 s[0:1], s[0:1], s[12:13]
; %bb.204:
	s_or_b64 exec, exec, s[8:9]
	v_mov_b32_dpp v6, v1 row_bcast:15 row_mask:0xf bank_mask:0xf bound_ctrl:1
	v_and_b32_e32 v7, 1, v6
	v_mov_b32_dpp v4, v2 row_bcast:15 row_mask:0xf bank_mask:0xf bound_ctrl:1
	v_mov_b32_dpp v5, v3 row_bcast:15 row_mask:0xf bank_mask:0xf bound_ctrl:1
	v_cmp_eq_u32_e32 vcc, 1, v7
	s_and_saveexec_b64 s[8:9], vcc
; %bb.205:
	v_cmp_lt_i64_e32 vcc, v[2:3], v[4:5]
	v_cndmask_b32_e64 v6, v6, 1, s[0:1]
	s_and_b64 vcc, s[0:1], vcc
	v_cndmask_b32_e32 v2, v4, v2, vcc
	v_and_b32_e32 v4, 1, v6
	v_cndmask_b32_e32 v3, v5, v3, vcc
	v_cmp_eq_u32_e32 vcc, 1, v4
	s_andn2_b64 s[0:1], s[0:1], exec
	s_and_b64 s[12:13], vcc, exec
	v_and_b32_e32 v1, 0xff, v6
	s_or_b64 s[0:1], s[0:1], s[12:13]
; %bb.206:
	s_or_b64 exec, exec, s[8:9]
	v_mov_b32_dpp v6, v1 row_bcast:31 row_mask:0xf bank_mask:0xf bound_ctrl:1
	v_and_b32_e32 v7, 1, v6
	v_mov_b32_dpp v4, v2 row_bcast:31 row_mask:0xf bank_mask:0xf bound_ctrl:1
	v_mov_b32_dpp v5, v3 row_bcast:31 row_mask:0xf bank_mask:0xf bound_ctrl:1
	v_cmp_eq_u32_e32 vcc, 1, v7
	s_and_saveexec_b64 s[8:9], vcc
; %bb.207:
	v_cmp_lt_i64_e32 vcc, v[2:3], v[4:5]
	v_and_b32_e32 v1, 0xff, v6
	s_and_b64 vcc, s[0:1], vcc
	v_cndmask_b32_e32 v2, v4, v2, vcc
	v_cndmask_b32_e32 v3, v5, v3, vcc
	v_cndmask_b32_e64 v1, v1, 1, s[0:1]
; %bb.208:
	s_or_b64 exec, exec, s[8:9]
	v_mbcnt_lo_u32_b32 v4, -1, 0
	v_mbcnt_hi_u32_b32 v4, -1, v4
	v_bfrev_b32_e32 v5, 0.5
	v_lshl_or_b32 v5, v4, 2, v5
	ds_bpermute_b32 v6, v5, v1
	ds_bpermute_b32 v2, v5, v2
	ds_bpermute_b32 v3, v5, v3
	v_cmp_eq_u32_e32 vcc, 0, v4
	s_and_saveexec_b64 s[0:1], vcc
	s_cbranch_execz .LBB47_210
; %bb.209:
	v_lshrrev_b32_e32 v1, 2, v0
	v_and_b32_e32 v1, 48, v1
	s_waitcnt lgkmcnt(2)
	ds_write_b8 v1, v6
	s_waitcnt lgkmcnt(1)
	ds_write_b64 v1, v[2:3] offset:8
.LBB47_210:
	s_or_b64 exec, exec, s[0:1]
	v_cmp_gt_u32_e32 vcc, 64, v0
	s_waitcnt lgkmcnt(0)
	s_barrier
	s_and_saveexec_b64 s[8:9], vcc
	s_cbranch_execz .LBB47_212
; %bb.211:
	v_and_b32_e32 v1, 3, v4
	v_lshlrev_b32_e32 v2, 4, v1
	ds_read_u8 v5, v2
	ds_read_b64 v[2:3], v2 offset:8
	v_cmp_ne_u32_e32 vcc, 3, v1
	v_addc_co_u32_e32 v6, vcc, 0, v4, vcc
	s_waitcnt lgkmcnt(1)
	v_and_b32_e32 v7, 0xff, v5
	v_lshlrev_b32_e32 v8, 2, v6
	ds_bpermute_b32 v9, v8, v7
	s_waitcnt lgkmcnt(1)
	ds_bpermute_b32 v6, v8, v2
	ds_bpermute_b32 v7, v8, v3
	v_and_b32_e32 v8, 1, v5
	s_waitcnt lgkmcnt(2)
	v_and_b32_e32 v10, 1, v9
	v_cmp_eq_u32_e64 s[0:1], 1, v10
	s_waitcnt lgkmcnt(0)
	v_cmp_lt_i64_e32 vcc, v[6:7], v[2:3]
	s_and_b64 vcc, s[0:1], vcc
	v_cndmask_b32_e64 v5, v5, 1, s[0:1]
	v_cndmask_b32_e32 v2, v2, v6, vcc
	v_cndmask_b32_e32 v3, v3, v7, vcc
	v_cmp_eq_u32_e32 vcc, 1, v8
	v_cndmask_b32_e32 v8, v9, v5, vcc
	v_cndmask_b32_e32 v3, v7, v3, vcc
	;; [unrolled: 1-line block ×3, first 2 shown]
	v_cmp_gt_u32_e32 vcc, 2, v1
	v_cndmask_b32_e64 v1, 0, 1, vcc
	v_lshlrev_b32_e32 v1, 1, v1
	v_and_b32_e32 v5, 0xff, v8
	v_add_lshl_u32 v1, v1, v4, 2
	ds_bpermute_b32 v6, v1, v5
	ds_bpermute_b32 v4, v1, v2
	;; [unrolled: 1-line block ×3, first 2 shown]
	v_and_b32_e32 v1, 1, v8
	s_waitcnt lgkmcnt(2)
	v_and_b32_e32 v7, 1, v6
	v_cmp_eq_u32_e64 s[0:1], 1, v7
	s_waitcnt lgkmcnt(0)
	v_cmp_lt_i64_e32 vcc, v[4:5], v[2:3]
	s_and_b64 vcc, s[0:1], vcc
	v_cndmask_b32_e64 v7, v8, 1, s[0:1]
	v_cndmask_b32_e32 v2, v2, v4, vcc
	v_cndmask_b32_e32 v3, v3, v5, vcc
	v_cmp_eq_u32_e32 vcc, 1, v1
	v_cndmask_b32_e32 v1, v6, v7, vcc
	v_cndmask_b32_e32 v3, v5, v3, vcc
	;; [unrolled: 1-line block ×3, first 2 shown]
	v_and_b32_e32 v6, 0xff, v1
.LBB47_212:
	s_or_b64 exec, exec, s[8:9]
	s_branch .LBB47_241
.LBB47_213:
                                        ; implicit-def: $vgpr4_vgpr5
                                        ; implicit-def: $vgpr1
                                        ; implicit-def: $sgpr6_sgpr7
.LBB47_214:
	s_and_saveexec_b64 s[0:1], s[10:11]
	s_cbranch_execz .LBB47_216
.LBB47_215:
	s_load_dwordx2 s[0:1], s[4:5], 0x18
	s_lshl_b64 s[2:3], s[6:7], 4
	v_mov_b32_e32 v0, 0
	s_waitcnt lgkmcnt(0)
	s_add_u32 s0, s0, s2
	s_addc_u32 s1, s1, s3
	global_store_byte v0, v1, s[0:1]
	global_store_dwordx2 v0, v[4:5], s[0:1] offset:8
.LBB47_216:
	s_endpgm
.LBB47_217:
                                        ; implicit-def: $vgpr2_vgpr3
                                        ; implicit-def: $vgpr6
	s_cbranch_execz .LBB47_241
; %bb.218:
	s_sub_i32 s8, s22, s2
	v_cmp_gt_u32_e32 vcc, s8, v0
	v_pk_mov_b32 v[2:3], 0, 0
	v_mov_b32_e32 v7, 0
	s_and_saveexec_b64 s[0:1], vcc
	s_cbranch_execz .LBB47_220
; %bb.219:
	s_lshl_b64 s[2:3], s[2:3], 4
	s_add_u32 s2, s20, s2
	s_addc_u32 s3, s21, s3
	s_waitcnt lgkmcnt(2)
	v_lshlrev_b32_e32 v1, 4, v0
	global_load_ubyte v7, v1, s[2:3]
	global_load_dwordx2 v[2:3], v1, s[2:3] offset:8
.LBB47_220:
	s_or_b64 exec, exec, s[0:1]
	s_waitcnt lgkmcnt(2)
	v_mbcnt_lo_u32_b32 v1, -1, 0
	v_mbcnt_hi_u32_b32 v1, -1, v1
	v_and_b32_e32 v8, 63, v1
	v_cmp_ne_u32_e32 vcc, 63, v8
	s_waitcnt lgkmcnt(1)
	v_addc_co_u32_e32 v4, vcc, 0, v1, vcc
	s_waitcnt vmcnt(1)
	v_and_b32_e32 v6, 0xff, v7
	s_waitcnt lgkmcnt(0)
	v_lshlrev_b32_e32 v5, 2, v4
	ds_bpermute_b32 v10, v5, v6
	s_waitcnt vmcnt(0)
	ds_bpermute_b32 v4, v5, v2
	ds_bpermute_b32 v5, v5, v3
	s_min_u32 s8, s8, 0x100
	v_and_b32_e32 v9, 0xc0, v0
	v_sub_u32_e64 v9, s8, v9 clamp
	v_add_u32_e32 v11, 1, v8
	v_cmp_lt_u32_e32 vcc, v11, v9
	s_and_saveexec_b64 s[2:3], vcc
	s_cbranch_execz .LBB47_222
; %bb.221:
	s_waitcnt lgkmcnt(2)
	v_and_b32_e32 v11, 1, v10
	s_waitcnt lgkmcnt(0)
	v_cmp_lt_i64_e32 vcc, v[4:5], v[2:3]
	v_cmp_eq_u32_e64 s[0:1], 1, v11
	v_and_b32_e32 v6, 1, v7
	s_and_b64 vcc, s[0:1], vcc
	v_cndmask_b32_e64 v7, v7, 1, s[0:1]
	v_cndmask_b32_e32 v2, v2, v4, vcc
	v_cndmask_b32_e32 v3, v3, v5, vcc
	v_cmp_eq_u32_e32 vcc, 1, v6
	v_cndmask_b32_e32 v7, v10, v7, vcc
	v_cndmask_b32_e32 v3, v5, v3, vcc
	v_cndmask_b32_e32 v2, v4, v2, vcc
	v_and_b32_e32 v6, 0xff, v7
.LBB47_222:
	s_or_b64 exec, exec, s[2:3]
	v_cmp_gt_u32_e32 vcc, 62, v8
	s_waitcnt lgkmcnt(1)
	v_cndmask_b32_e64 v4, 0, 1, vcc
	v_lshlrev_b32_e32 v4, 1, v4
	s_waitcnt lgkmcnt(0)
	v_add_lshl_u32 v5, v4, v1, 2
	ds_bpermute_b32 v10, v5, v6
	ds_bpermute_b32 v4, v5, v2
	ds_bpermute_b32 v5, v5, v3
	v_add_u32_e32 v11, 2, v8
	v_cmp_lt_u32_e32 vcc, v11, v9
	s_and_saveexec_b64 s[2:3], vcc
	s_cbranch_execz .LBB47_224
; %bb.223:
	s_waitcnt lgkmcnt(2)
	v_and_b32_e32 v11, 1, v10
	s_waitcnt lgkmcnt(0)
	v_cmp_lt_i64_e32 vcc, v[4:5], v[2:3]
	v_cmp_eq_u32_e64 s[0:1], 1, v11
	v_and_b32_e32 v6, 1, v7
	s_and_b64 vcc, s[0:1], vcc
	v_cndmask_b32_e64 v7, v7, 1, s[0:1]
	v_cndmask_b32_e32 v2, v2, v4, vcc
	v_cndmask_b32_e32 v3, v3, v5, vcc
	v_cmp_eq_u32_e32 vcc, 1, v6
	v_cndmask_b32_e32 v7, v10, v7, vcc
	v_cndmask_b32_e32 v3, v5, v3, vcc
	v_cndmask_b32_e32 v2, v4, v2, vcc
	v_and_b32_e32 v6, 0xff, v7
.LBB47_224:
	s_or_b64 exec, exec, s[2:3]
	v_cmp_gt_u32_e32 vcc, 60, v8
	s_waitcnt lgkmcnt(1)
	v_cndmask_b32_e64 v4, 0, 1, vcc
	v_lshlrev_b32_e32 v4, 2, v4
	s_waitcnt lgkmcnt(0)
	v_add_lshl_u32 v5, v4, v1, 2
	ds_bpermute_b32 v10, v5, v6
	ds_bpermute_b32 v4, v5, v2
	ds_bpermute_b32 v5, v5, v3
	;; [unrolled: 31-line block ×5, first 2 shown]
	v_add_u32_e32 v8, 32, v8
	v_cmp_lt_u32_e32 vcc, v8, v9
	s_and_saveexec_b64 s[2:3], vcc
	s_cbranch_execz .LBB47_232
; %bb.231:
	s_waitcnt lgkmcnt(2)
	v_and_b32_e32 v8, 1, v10
	s_waitcnt lgkmcnt(0)
	v_cmp_lt_i64_e32 vcc, v[4:5], v[2:3]
	v_cmp_eq_u32_e64 s[0:1], 1, v8
	v_and_b32_e32 v6, 1, v7
	s_and_b64 vcc, s[0:1], vcc
	v_cndmask_b32_e64 v7, v7, 1, s[0:1]
	v_cndmask_b32_e32 v2, v2, v4, vcc
	v_cndmask_b32_e32 v3, v3, v5, vcc
	v_cmp_eq_u32_e32 vcc, 1, v6
	v_cndmask_b32_e32 v7, v10, v7, vcc
	v_cndmask_b32_e32 v3, v5, v3, vcc
	;; [unrolled: 1-line block ×3, first 2 shown]
	v_and_b32_e32 v6, 0xff, v7
.LBB47_232:
	s_or_b64 exec, exec, s[2:3]
	v_cmp_eq_u32_e32 vcc, 0, v1
	s_and_saveexec_b64 s[0:1], vcc
	s_cbranch_execz .LBB47_234
; %bb.233:
	s_waitcnt lgkmcnt(1)
	v_lshrrev_b32_e32 v4, 2, v0
	v_and_b32_e32 v4, 48, v4
	ds_write_b8 v4, v7 offset:256
	ds_write_b64 v4, v[2:3] offset:264
.LBB47_234:
	s_or_b64 exec, exec, s[0:1]
	v_cmp_gt_u32_e32 vcc, 4, v0
	s_waitcnt lgkmcnt(0)
	s_barrier
	s_and_saveexec_b64 s[2:3], vcc
	s_cbranch_execz .LBB47_240
; %bb.235:
	v_lshlrev_b32_e32 v2, 4, v1
	ds_read_u8 v7, v2 offset:256
	ds_read_b64 v[2:3], v2 offset:264
	v_and_b32_e32 v8, 3, v1
	v_cmp_ne_u32_e32 vcc, 3, v8
	v_addc_co_u32_e32 v4, vcc, 0, v1, vcc
	s_waitcnt lgkmcnt(1)
	v_and_b32_e32 v6, 0xff, v7
	v_lshlrev_b32_e32 v5, 2, v4
	ds_bpermute_b32 v9, v5, v6
	s_waitcnt lgkmcnt(1)
	ds_bpermute_b32 v4, v5, v2
	ds_bpermute_b32 v5, v5, v3
	s_add_i32 s8, s8, 63
	s_lshr_b32 s12, s8, 6
	v_add_u32_e32 v10, 1, v8
	v_cmp_gt_u32_e32 vcc, s12, v10
	s_and_saveexec_b64 s[8:9], vcc
	s_cbranch_execz .LBB47_237
; %bb.236:
	s_waitcnt lgkmcnt(2)
	v_and_b32_e32 v10, 1, v9
	s_waitcnt lgkmcnt(0)
	v_cmp_lt_i64_e32 vcc, v[4:5], v[2:3]
	v_cmp_eq_u32_e64 s[0:1], 1, v10
	v_and_b32_e32 v6, 1, v7
	s_and_b64 vcc, s[0:1], vcc
	v_cndmask_b32_e64 v7, v7, 1, s[0:1]
	v_cndmask_b32_e32 v2, v2, v4, vcc
	v_cndmask_b32_e32 v3, v3, v5, vcc
	v_cmp_eq_u32_e32 vcc, 1, v6
	v_cndmask_b32_e32 v7, v9, v7, vcc
	v_cndmask_b32_e32 v3, v5, v3, vcc
	;; [unrolled: 1-line block ×3, first 2 shown]
	v_and_b32_e32 v6, 0xff, v7
.LBB47_237:
	s_or_b64 exec, exec, s[8:9]
	v_cmp_gt_u32_e32 vcc, 2, v8
	s_waitcnt lgkmcnt(1)
	v_cndmask_b32_e64 v4, 0, 1, vcc
	v_lshlrev_b32_e32 v4, 1, v4
	s_waitcnt lgkmcnt(0)
	v_add_lshl_u32 v5, v4, v1, 2
	ds_bpermute_b32 v1, v5, v6
	ds_bpermute_b32 v4, v5, v2
	;; [unrolled: 1-line block ×3, first 2 shown]
	v_add_u32_e32 v8, 2, v8
	v_cmp_gt_u32_e32 vcc, s12, v8
	s_and_saveexec_b64 s[8:9], vcc
	s_cbranch_execz .LBB47_239
; %bb.238:
	s_waitcnt lgkmcnt(2)
	v_and_b32_e32 v8, 1, v1
	s_waitcnt lgkmcnt(0)
	v_cmp_lt_i64_e32 vcc, v[4:5], v[2:3]
	v_cmp_eq_u32_e64 s[0:1], 1, v8
	v_and_b32_e32 v6, 1, v7
	s_and_b64 vcc, s[0:1], vcc
	v_cndmask_b32_e64 v7, v7, 1, s[0:1]
	v_cndmask_b32_e32 v2, v2, v4, vcc
	v_cndmask_b32_e32 v3, v3, v5, vcc
	v_cmp_eq_u32_e32 vcc, 1, v6
	v_cndmask_b32_e32 v1, v1, v7, vcc
	v_cndmask_b32_e32 v3, v5, v3, vcc
	;; [unrolled: 1-line block ×3, first 2 shown]
	v_and_b32_e32 v6, 0xff, v1
.LBB47_239:
	s_or_b64 exec, exec, s[8:9]
.LBB47_240:
	s_or_b64 exec, exec, s[2:3]
.LBB47_241:
	v_cmp_eq_u32_e32 vcc, 0, v0
                                        ; implicit-def: $vgpr4_vgpr5
                                        ; implicit-def: $vgpr1
	s_and_saveexec_b64 s[8:9], vcc
	s_cbranch_execz .LBB47_245
; %bb.242:
	s_cmp_eq_u64 s[22:23], 0
	s_waitcnt lgkmcnt(0)
	v_pk_mov_b32 v[4:5], s[18:19], s[18:19] op_sel:[0,1]
	v_mov_b32_e32 v1, s28
	s_cbranch_scc1 .LBB47_244
; %bb.243:
	v_and_b32_e32 v0, 1, v6
	s_bitcmp1_b32 s28, 0
	v_mov_b32_e32 v1, s28
	v_cmp_eq_u32_e32 vcc, 1, v0
	v_cmp_gt_i64_e64 s[2:3], s[18:19], v[2:3]
	v_cndmask_b32_e64 v0, v1, 1, vcc
	s_cselect_b64 s[0:1], -1, 0
	v_mov_b32_e32 v1, s18
	s_and_b64 vcc, vcc, s[2:3]
	v_cndmask_b32_e32 v4, v1, v2, vcc
	v_mov_b32_e32 v1, s19
	v_cndmask_b32_e32 v5, v1, v3, vcc
	v_cndmask_b32_e64 v1, v6, v0, s[0:1]
	v_cndmask_b32_e64 v5, v3, v5, s[0:1]
	;; [unrolled: 1-line block ×3, first 2 shown]
.LBB47_244:
	s_or_b64 s[10:11], s[10:11], exec
.LBB47_245:
	s_or_b64 exec, exec, s[8:9]
	s_and_saveexec_b64 s[0:1], s[10:11]
	s_cbranch_execnz .LBB47_215
	s_branch .LBB47_216
.LBB47_246:
	v_lshlrev_b32_e32 v25, 4, v25
	global_load_ubyte v1, v25, s[16:17]
	global_load_dwordx2 v[4:5], v25, s[16:17] offset:8
	s_or_b64 exec, exec, s[26:27]
	s_and_saveexec_b64 s[26:27], s[14:15]
	s_cbranch_execz .LBB47_65
.LBB47_247:
	s_waitcnt vmcnt(1)
	v_and_b32_e32 v26, 1, v23
	s_waitcnt vmcnt(0)
	v_cmp_lt_i64_e64 s[14:15], v[14:15], v[2:3]
	v_cmp_eq_u32_e64 s[16:17], 1, v26
	v_and_b32_e32 v25, 1, v18
	s_and_b64 s[14:15], s[16:17], s[14:15]
	v_cndmask_b32_e64 v18, v18, 1, s[16:17]
	v_cndmask_b32_e64 v2, v2, v14, s[14:15]
	;; [unrolled: 1-line block ×3, first 2 shown]
	v_cmp_eq_u32_e64 s[14:15], 1, v25
	v_cndmask_b32_e64 v18, v23, v18, s[14:15]
	v_cndmask_b32_e64 v3, v15, v3, s[14:15]
	;; [unrolled: 1-line block ×3, first 2 shown]
	s_or_b64 exec, exec, s[26:27]
	s_and_saveexec_b64 s[16:17], s[12:13]
	s_cbranch_execz .LBB47_66
.LBB47_248:
	s_waitcnt vmcnt(0)
	v_and_b32_e32 v15, 1, v24
	v_cmp_lt_i64_e64 s[12:13], v[16:17], v[2:3]
	v_cmp_eq_u32_e64 s[14:15], 1, v15
	v_and_b32_e32 v14, 1, v18
	s_and_b64 s[12:13], s[14:15], s[12:13]
	v_cndmask_b32_e64 v15, v18, 1, s[14:15]
	v_cndmask_b32_e64 v2, v2, v16, s[12:13]
	;; [unrolled: 1-line block ×3, first 2 shown]
	v_cmp_eq_u32_e64 s[12:13], 1, v14
	v_cndmask_b32_e64 v18, v24, v15, s[12:13]
	v_cndmask_b32_e64 v3, v17, v3, s[12:13]
	v_cndmask_b32_e64 v2, v16, v2, s[12:13]
	s_or_b64 exec, exec, s[16:17]
	s_and_saveexec_b64 s[14:15], s[10:11]
	s_cbranch_execz .LBB47_67
.LBB47_249:
	s_waitcnt vmcnt(0)
	v_and_b32_e32 v15, 1, v21
	v_cmp_lt_i64_e64 s[10:11], v[10:11], v[2:3]
	v_cmp_eq_u32_e64 s[12:13], 1, v15
	v_and_b32_e32 v14, 1, v18
	s_and_b64 s[10:11], s[12:13], s[10:11]
	v_cndmask_b32_e64 v15, v18, 1, s[12:13]
	v_cndmask_b32_e64 v2, v2, v10, s[10:11]
	v_cndmask_b32_e64 v3, v3, v11, s[10:11]
	v_cmp_eq_u32_e64 s[10:11], 1, v14
	v_cndmask_b32_e64 v18, v21, v15, s[10:11]
	v_cndmask_b32_e64 v3, v11, v3, s[10:11]
	;; [unrolled: 1-line block ×3, first 2 shown]
	s_or_b64 exec, exec, s[14:15]
	s_and_saveexec_b64 s[12:13], s[8:9]
	s_cbranch_execz .LBB47_68
.LBB47_250:
	s_waitcnt vmcnt(0)
	v_and_b32_e32 v11, 1, v22
	v_cmp_lt_i64_e64 s[8:9], v[12:13], v[2:3]
	v_cmp_eq_u32_e64 s[10:11], 1, v11
	v_and_b32_e32 v10, 1, v18
	s_and_b64 s[8:9], s[10:11], s[8:9]
	v_cndmask_b32_e64 v11, v18, 1, s[10:11]
	v_cndmask_b32_e64 v2, v2, v12, s[8:9]
	;; [unrolled: 1-line block ×3, first 2 shown]
	v_cmp_eq_u32_e64 s[8:9], 1, v10
	v_cndmask_b32_e64 v18, v22, v11, s[8:9]
	v_cndmask_b32_e64 v3, v13, v3, s[8:9]
	v_cndmask_b32_e64 v2, v12, v2, s[8:9]
	s_or_b64 exec, exec, s[12:13]
	s_and_saveexec_b64 s[10:11], s[2:3]
	s_cbranch_execz .LBB47_69
.LBB47_251:
	s_waitcnt vmcnt(0)
	v_and_b32_e32 v11, 1, v19
	v_cmp_lt_i64_e64 s[2:3], v[6:7], v[2:3]
	v_cmp_eq_u32_e64 s[8:9], 1, v11
	v_and_b32_e32 v10, 1, v18
	s_and_b64 s[2:3], s[8:9], s[2:3]
	v_cndmask_b32_e64 v11, v18, 1, s[8:9]
	v_cndmask_b32_e64 v2, v2, v6, s[2:3]
	;; [unrolled: 1-line block ×3, first 2 shown]
	v_cmp_eq_u32_e64 s[2:3], 1, v10
	v_cndmask_b32_e64 v18, v19, v11, s[2:3]
	v_cndmask_b32_e64 v3, v7, v3, s[2:3]
	;; [unrolled: 1-line block ×3, first 2 shown]
	s_or_b64 exec, exec, s[10:11]
	s_and_saveexec_b64 s[8:9], s[0:1]
	s_cbranch_execz .LBB47_70
.LBB47_252:
	s_waitcnt vmcnt(0)
	v_and_b32_e32 v7, 1, v20
	v_cmp_lt_i64_e64 s[0:1], v[8:9], v[2:3]
	v_cmp_eq_u32_e64 s[2:3], 1, v7
	v_and_b32_e32 v6, 1, v18
	s_and_b64 s[0:1], s[2:3], s[0:1]
	v_cndmask_b32_e64 v7, v18, 1, s[2:3]
	v_cndmask_b32_e64 v2, v2, v8, s[0:1]
	;; [unrolled: 1-line block ×3, first 2 shown]
	v_cmp_eq_u32_e64 s[0:1], 1, v6
	v_cndmask_b32_e64 v18, v20, v7, s[0:1]
	v_cndmask_b32_e64 v3, v9, v3, s[0:1]
	;; [unrolled: 1-line block ×3, first 2 shown]
	s_or_b64 exec, exec, s[8:9]
	s_and_saveexec_b64 s[2:3], vcc
	s_cbranch_execnz .LBB47_71
	s_branch .LBB47_72
.LBB47_253:
	v_lshlrev_b32_e32 v13, 4, v13
	global_load_ubyte v1, v13, s[8:9]
	global_load_dwordx2 v[4:5], v13, s[8:9] offset:8
	s_or_b64 exec, exec, s[12:13]
	s_and_saveexec_b64 s[12:13], s[2:3]
	s_cbranch_execz .LBB47_108
.LBB47_254:
	s_waitcnt vmcnt(1)
	v_and_b32_e32 v14, 1, v11
	s_waitcnt vmcnt(0)
	v_cmp_lt_i64_e64 s[2:3], v[6:7], v[2:3]
	v_cmp_eq_u32_e64 s[8:9], 1, v14
	v_and_b32_e32 v13, 1, v10
	s_and_b64 s[2:3], s[8:9], s[2:3]
	v_cndmask_b32_e64 v10, v10, 1, s[8:9]
	v_cndmask_b32_e64 v2, v2, v6, s[2:3]
	;; [unrolled: 1-line block ×3, first 2 shown]
	v_cmp_eq_u32_e64 s[2:3], 1, v13
	v_cndmask_b32_e64 v10, v11, v10, s[2:3]
	v_cndmask_b32_e64 v3, v7, v3, s[2:3]
	;; [unrolled: 1-line block ×3, first 2 shown]
	s_or_b64 exec, exec, s[12:13]
	s_and_saveexec_b64 s[8:9], s[0:1]
	s_cbranch_execz .LBB47_109
.LBB47_255:
	s_waitcnt vmcnt(0)
	v_and_b32_e32 v7, 1, v12
	v_cmp_lt_i64_e64 s[0:1], v[8:9], v[2:3]
	v_cmp_eq_u32_e64 s[2:3], 1, v7
	v_and_b32_e32 v6, 1, v10
	s_and_b64 s[0:1], s[2:3], s[0:1]
	v_cndmask_b32_e64 v7, v10, 1, s[2:3]
	v_cndmask_b32_e64 v2, v2, v8, s[0:1]
	;; [unrolled: 1-line block ×3, first 2 shown]
	v_cmp_eq_u32_e64 s[0:1], 1, v6
	v_cndmask_b32_e64 v10, v12, v7, s[0:1]
	v_cndmask_b32_e64 v3, v9, v3, s[0:1]
	;; [unrolled: 1-line block ×3, first 2 shown]
	s_or_b64 exec, exec, s[8:9]
	s_and_saveexec_b64 s[2:3], vcc
	s_cbranch_execnz .LBB47_110
	s_branch .LBB47_111
	.section	.rodata,"a",@progbits
	.p2align	6, 0x0
	.amdhsa_kernel _ZN7rocprim17ROCPRIM_400000_NS6detail17trampoline_kernelINS0_14default_configENS1_22reduce_config_selectorIN6thrust23THRUST_200600_302600_NS5tupleIblNS6_9null_typeES8_S8_S8_S8_S8_S8_S8_EEEEZNS1_11reduce_implILb1ES3_PS9_SC_S9_NS6_11hip_rocprim9__find_if7functorIS9_EEEE10hipError_tPvRmT1_T2_T3_mT4_P12ihipStream_tbEUlT_E1_NS1_11comp_targetILNS1_3genE4ELNS1_11target_archE910ELNS1_3gpuE8ELNS1_3repE0EEENS1_30default_config_static_selectorELNS0_4arch9wavefront6targetE1EEEvSK_
		.amdhsa_group_segment_fixed_size 320
		.amdhsa_private_segment_fixed_size 0
		.amdhsa_kernarg_size 56
		.amdhsa_user_sgpr_count 6
		.amdhsa_user_sgpr_private_segment_buffer 1
		.amdhsa_user_sgpr_dispatch_ptr 0
		.amdhsa_user_sgpr_queue_ptr 0
		.amdhsa_user_sgpr_kernarg_segment_ptr 1
		.amdhsa_user_sgpr_dispatch_id 0
		.amdhsa_user_sgpr_flat_scratch_init 0
		.amdhsa_user_sgpr_kernarg_preload_length 0
		.amdhsa_user_sgpr_kernarg_preload_offset 0
		.amdhsa_user_sgpr_private_segment_size 0
		.amdhsa_uses_dynamic_stack 0
		.amdhsa_system_sgpr_private_segment_wavefront_offset 0
		.amdhsa_system_sgpr_workgroup_id_x 1
		.amdhsa_system_sgpr_workgroup_id_y 0
		.amdhsa_system_sgpr_workgroup_id_z 0
		.amdhsa_system_sgpr_workgroup_info 0
		.amdhsa_system_vgpr_workitem_id 0
		.amdhsa_next_free_vgpr 30
		.amdhsa_next_free_sgpr 31
		.amdhsa_accum_offset 32
		.amdhsa_reserve_vcc 1
		.amdhsa_reserve_flat_scratch 0
		.amdhsa_float_round_mode_32 0
		.amdhsa_float_round_mode_16_64 0
		.amdhsa_float_denorm_mode_32 3
		.amdhsa_float_denorm_mode_16_64 3
		.amdhsa_dx10_clamp 1
		.amdhsa_ieee_mode 1
		.amdhsa_fp16_overflow 0
		.amdhsa_tg_split 0
		.amdhsa_exception_fp_ieee_invalid_op 0
		.amdhsa_exception_fp_denorm_src 0
		.amdhsa_exception_fp_ieee_div_zero 0
		.amdhsa_exception_fp_ieee_overflow 0
		.amdhsa_exception_fp_ieee_underflow 0
		.amdhsa_exception_fp_ieee_inexact 0
		.amdhsa_exception_int_div_zero 0
	.end_amdhsa_kernel
	.section	.text._ZN7rocprim17ROCPRIM_400000_NS6detail17trampoline_kernelINS0_14default_configENS1_22reduce_config_selectorIN6thrust23THRUST_200600_302600_NS5tupleIblNS6_9null_typeES8_S8_S8_S8_S8_S8_S8_EEEEZNS1_11reduce_implILb1ES3_PS9_SC_S9_NS6_11hip_rocprim9__find_if7functorIS9_EEEE10hipError_tPvRmT1_T2_T3_mT4_P12ihipStream_tbEUlT_E1_NS1_11comp_targetILNS1_3genE4ELNS1_11target_archE910ELNS1_3gpuE8ELNS1_3repE0EEENS1_30default_config_static_selectorELNS0_4arch9wavefront6targetE1EEEvSK_,"axG",@progbits,_ZN7rocprim17ROCPRIM_400000_NS6detail17trampoline_kernelINS0_14default_configENS1_22reduce_config_selectorIN6thrust23THRUST_200600_302600_NS5tupleIblNS6_9null_typeES8_S8_S8_S8_S8_S8_S8_EEEEZNS1_11reduce_implILb1ES3_PS9_SC_S9_NS6_11hip_rocprim9__find_if7functorIS9_EEEE10hipError_tPvRmT1_T2_T3_mT4_P12ihipStream_tbEUlT_E1_NS1_11comp_targetILNS1_3genE4ELNS1_11target_archE910ELNS1_3gpuE8ELNS1_3repE0EEENS1_30default_config_static_selectorELNS0_4arch9wavefront6targetE1EEEvSK_,comdat
.Lfunc_end47:
	.size	_ZN7rocprim17ROCPRIM_400000_NS6detail17trampoline_kernelINS0_14default_configENS1_22reduce_config_selectorIN6thrust23THRUST_200600_302600_NS5tupleIblNS6_9null_typeES8_S8_S8_S8_S8_S8_S8_EEEEZNS1_11reduce_implILb1ES3_PS9_SC_S9_NS6_11hip_rocprim9__find_if7functorIS9_EEEE10hipError_tPvRmT1_T2_T3_mT4_P12ihipStream_tbEUlT_E1_NS1_11comp_targetILNS1_3genE4ELNS1_11target_archE910ELNS1_3gpuE8ELNS1_3repE0EEENS1_30default_config_static_selectorELNS0_4arch9wavefront6targetE1EEEvSK_, .Lfunc_end47-_ZN7rocprim17ROCPRIM_400000_NS6detail17trampoline_kernelINS0_14default_configENS1_22reduce_config_selectorIN6thrust23THRUST_200600_302600_NS5tupleIblNS6_9null_typeES8_S8_S8_S8_S8_S8_S8_EEEEZNS1_11reduce_implILb1ES3_PS9_SC_S9_NS6_11hip_rocprim9__find_if7functorIS9_EEEE10hipError_tPvRmT1_T2_T3_mT4_P12ihipStream_tbEUlT_E1_NS1_11comp_targetILNS1_3genE4ELNS1_11target_archE910ELNS1_3gpuE8ELNS1_3repE0EEENS1_30default_config_static_selectorELNS0_4arch9wavefront6targetE1EEEvSK_
                                        ; -- End function
	.section	.AMDGPU.csdata,"",@progbits
; Kernel info:
; codeLenInByte = 13260
; NumSgprs: 35
; NumVgprs: 30
; NumAgprs: 0
; TotalNumVgprs: 30
; ScratchSize: 0
; MemoryBound: 0
; FloatMode: 240
; IeeeMode: 1
; LDSByteSize: 320 bytes/workgroup (compile time only)
; SGPRBlocks: 4
; VGPRBlocks: 3
; NumSGPRsForWavesPerEU: 35
; NumVGPRsForWavesPerEU: 30
; AccumOffset: 32
; Occupancy: 8
; WaveLimiterHint : 1
; COMPUTE_PGM_RSRC2:SCRATCH_EN: 0
; COMPUTE_PGM_RSRC2:USER_SGPR: 6
; COMPUTE_PGM_RSRC2:TRAP_HANDLER: 0
; COMPUTE_PGM_RSRC2:TGID_X_EN: 1
; COMPUTE_PGM_RSRC2:TGID_Y_EN: 0
; COMPUTE_PGM_RSRC2:TGID_Z_EN: 0
; COMPUTE_PGM_RSRC2:TIDIG_COMP_CNT: 0
; COMPUTE_PGM_RSRC3_GFX90A:ACCUM_OFFSET: 7
; COMPUTE_PGM_RSRC3_GFX90A:TG_SPLIT: 0
	.section	.text._ZN7rocprim17ROCPRIM_400000_NS6detail17trampoline_kernelINS0_14default_configENS1_22reduce_config_selectorIN6thrust23THRUST_200600_302600_NS5tupleIblNS6_9null_typeES8_S8_S8_S8_S8_S8_S8_EEEEZNS1_11reduce_implILb1ES3_PS9_SC_S9_NS6_11hip_rocprim9__find_if7functorIS9_EEEE10hipError_tPvRmT1_T2_T3_mT4_P12ihipStream_tbEUlT_E1_NS1_11comp_targetILNS1_3genE3ELNS1_11target_archE908ELNS1_3gpuE7ELNS1_3repE0EEENS1_30default_config_static_selectorELNS0_4arch9wavefront6targetE1EEEvSK_,"axG",@progbits,_ZN7rocprim17ROCPRIM_400000_NS6detail17trampoline_kernelINS0_14default_configENS1_22reduce_config_selectorIN6thrust23THRUST_200600_302600_NS5tupleIblNS6_9null_typeES8_S8_S8_S8_S8_S8_S8_EEEEZNS1_11reduce_implILb1ES3_PS9_SC_S9_NS6_11hip_rocprim9__find_if7functorIS9_EEEE10hipError_tPvRmT1_T2_T3_mT4_P12ihipStream_tbEUlT_E1_NS1_11comp_targetILNS1_3genE3ELNS1_11target_archE908ELNS1_3gpuE7ELNS1_3repE0EEENS1_30default_config_static_selectorELNS0_4arch9wavefront6targetE1EEEvSK_,comdat
	.protected	_ZN7rocprim17ROCPRIM_400000_NS6detail17trampoline_kernelINS0_14default_configENS1_22reduce_config_selectorIN6thrust23THRUST_200600_302600_NS5tupleIblNS6_9null_typeES8_S8_S8_S8_S8_S8_S8_EEEEZNS1_11reduce_implILb1ES3_PS9_SC_S9_NS6_11hip_rocprim9__find_if7functorIS9_EEEE10hipError_tPvRmT1_T2_T3_mT4_P12ihipStream_tbEUlT_E1_NS1_11comp_targetILNS1_3genE3ELNS1_11target_archE908ELNS1_3gpuE7ELNS1_3repE0EEENS1_30default_config_static_selectorELNS0_4arch9wavefront6targetE1EEEvSK_ ; -- Begin function _ZN7rocprim17ROCPRIM_400000_NS6detail17trampoline_kernelINS0_14default_configENS1_22reduce_config_selectorIN6thrust23THRUST_200600_302600_NS5tupleIblNS6_9null_typeES8_S8_S8_S8_S8_S8_S8_EEEEZNS1_11reduce_implILb1ES3_PS9_SC_S9_NS6_11hip_rocprim9__find_if7functorIS9_EEEE10hipError_tPvRmT1_T2_T3_mT4_P12ihipStream_tbEUlT_E1_NS1_11comp_targetILNS1_3genE3ELNS1_11target_archE908ELNS1_3gpuE7ELNS1_3repE0EEENS1_30default_config_static_selectorELNS0_4arch9wavefront6targetE1EEEvSK_
	.globl	_ZN7rocprim17ROCPRIM_400000_NS6detail17trampoline_kernelINS0_14default_configENS1_22reduce_config_selectorIN6thrust23THRUST_200600_302600_NS5tupleIblNS6_9null_typeES8_S8_S8_S8_S8_S8_S8_EEEEZNS1_11reduce_implILb1ES3_PS9_SC_S9_NS6_11hip_rocprim9__find_if7functorIS9_EEEE10hipError_tPvRmT1_T2_T3_mT4_P12ihipStream_tbEUlT_E1_NS1_11comp_targetILNS1_3genE3ELNS1_11target_archE908ELNS1_3gpuE7ELNS1_3repE0EEENS1_30default_config_static_selectorELNS0_4arch9wavefront6targetE1EEEvSK_
	.p2align	8
	.type	_ZN7rocprim17ROCPRIM_400000_NS6detail17trampoline_kernelINS0_14default_configENS1_22reduce_config_selectorIN6thrust23THRUST_200600_302600_NS5tupleIblNS6_9null_typeES8_S8_S8_S8_S8_S8_S8_EEEEZNS1_11reduce_implILb1ES3_PS9_SC_S9_NS6_11hip_rocprim9__find_if7functorIS9_EEEE10hipError_tPvRmT1_T2_T3_mT4_P12ihipStream_tbEUlT_E1_NS1_11comp_targetILNS1_3genE3ELNS1_11target_archE908ELNS1_3gpuE7ELNS1_3repE0EEENS1_30default_config_static_selectorELNS0_4arch9wavefront6targetE1EEEvSK_,@function
_ZN7rocprim17ROCPRIM_400000_NS6detail17trampoline_kernelINS0_14default_configENS1_22reduce_config_selectorIN6thrust23THRUST_200600_302600_NS5tupleIblNS6_9null_typeES8_S8_S8_S8_S8_S8_S8_EEEEZNS1_11reduce_implILb1ES3_PS9_SC_S9_NS6_11hip_rocprim9__find_if7functorIS9_EEEE10hipError_tPvRmT1_T2_T3_mT4_P12ihipStream_tbEUlT_E1_NS1_11comp_targetILNS1_3genE3ELNS1_11target_archE908ELNS1_3gpuE7ELNS1_3repE0EEENS1_30default_config_static_selectorELNS0_4arch9wavefront6targetE1EEEvSK_: ; @_ZN7rocprim17ROCPRIM_400000_NS6detail17trampoline_kernelINS0_14default_configENS1_22reduce_config_selectorIN6thrust23THRUST_200600_302600_NS5tupleIblNS6_9null_typeES8_S8_S8_S8_S8_S8_S8_EEEEZNS1_11reduce_implILb1ES3_PS9_SC_S9_NS6_11hip_rocprim9__find_if7functorIS9_EEEE10hipError_tPvRmT1_T2_T3_mT4_P12ihipStream_tbEUlT_E1_NS1_11comp_targetILNS1_3genE3ELNS1_11target_archE908ELNS1_3gpuE7ELNS1_3repE0EEENS1_30default_config_static_selectorELNS0_4arch9wavefront6targetE1EEEvSK_
; %bb.0:
	.section	.rodata,"a",@progbits
	.p2align	6, 0x0
	.amdhsa_kernel _ZN7rocprim17ROCPRIM_400000_NS6detail17trampoline_kernelINS0_14default_configENS1_22reduce_config_selectorIN6thrust23THRUST_200600_302600_NS5tupleIblNS6_9null_typeES8_S8_S8_S8_S8_S8_S8_EEEEZNS1_11reduce_implILb1ES3_PS9_SC_S9_NS6_11hip_rocprim9__find_if7functorIS9_EEEE10hipError_tPvRmT1_T2_T3_mT4_P12ihipStream_tbEUlT_E1_NS1_11comp_targetILNS1_3genE3ELNS1_11target_archE908ELNS1_3gpuE7ELNS1_3repE0EEENS1_30default_config_static_selectorELNS0_4arch9wavefront6targetE1EEEvSK_
		.amdhsa_group_segment_fixed_size 0
		.amdhsa_private_segment_fixed_size 0
		.amdhsa_kernarg_size 56
		.amdhsa_user_sgpr_count 6
		.amdhsa_user_sgpr_private_segment_buffer 1
		.amdhsa_user_sgpr_dispatch_ptr 0
		.amdhsa_user_sgpr_queue_ptr 0
		.amdhsa_user_sgpr_kernarg_segment_ptr 1
		.amdhsa_user_sgpr_dispatch_id 0
		.amdhsa_user_sgpr_flat_scratch_init 0
		.amdhsa_user_sgpr_kernarg_preload_length 0
		.amdhsa_user_sgpr_kernarg_preload_offset 0
		.amdhsa_user_sgpr_private_segment_size 0
		.amdhsa_uses_dynamic_stack 0
		.amdhsa_system_sgpr_private_segment_wavefront_offset 0
		.amdhsa_system_sgpr_workgroup_id_x 1
		.amdhsa_system_sgpr_workgroup_id_y 0
		.amdhsa_system_sgpr_workgroup_id_z 0
		.amdhsa_system_sgpr_workgroup_info 0
		.amdhsa_system_vgpr_workitem_id 0
		.amdhsa_next_free_vgpr 1
		.amdhsa_next_free_sgpr 0
		.amdhsa_accum_offset 4
		.amdhsa_reserve_vcc 0
		.amdhsa_reserve_flat_scratch 0
		.amdhsa_float_round_mode_32 0
		.amdhsa_float_round_mode_16_64 0
		.amdhsa_float_denorm_mode_32 3
		.amdhsa_float_denorm_mode_16_64 3
		.amdhsa_dx10_clamp 1
		.amdhsa_ieee_mode 1
		.amdhsa_fp16_overflow 0
		.amdhsa_tg_split 0
		.amdhsa_exception_fp_ieee_invalid_op 0
		.amdhsa_exception_fp_denorm_src 0
		.amdhsa_exception_fp_ieee_div_zero 0
		.amdhsa_exception_fp_ieee_overflow 0
		.amdhsa_exception_fp_ieee_underflow 0
		.amdhsa_exception_fp_ieee_inexact 0
		.amdhsa_exception_int_div_zero 0
	.end_amdhsa_kernel
	.section	.text._ZN7rocprim17ROCPRIM_400000_NS6detail17trampoline_kernelINS0_14default_configENS1_22reduce_config_selectorIN6thrust23THRUST_200600_302600_NS5tupleIblNS6_9null_typeES8_S8_S8_S8_S8_S8_S8_EEEEZNS1_11reduce_implILb1ES3_PS9_SC_S9_NS6_11hip_rocprim9__find_if7functorIS9_EEEE10hipError_tPvRmT1_T2_T3_mT4_P12ihipStream_tbEUlT_E1_NS1_11comp_targetILNS1_3genE3ELNS1_11target_archE908ELNS1_3gpuE7ELNS1_3repE0EEENS1_30default_config_static_selectorELNS0_4arch9wavefront6targetE1EEEvSK_,"axG",@progbits,_ZN7rocprim17ROCPRIM_400000_NS6detail17trampoline_kernelINS0_14default_configENS1_22reduce_config_selectorIN6thrust23THRUST_200600_302600_NS5tupleIblNS6_9null_typeES8_S8_S8_S8_S8_S8_S8_EEEEZNS1_11reduce_implILb1ES3_PS9_SC_S9_NS6_11hip_rocprim9__find_if7functorIS9_EEEE10hipError_tPvRmT1_T2_T3_mT4_P12ihipStream_tbEUlT_E1_NS1_11comp_targetILNS1_3genE3ELNS1_11target_archE908ELNS1_3gpuE7ELNS1_3repE0EEENS1_30default_config_static_selectorELNS0_4arch9wavefront6targetE1EEEvSK_,comdat
.Lfunc_end48:
	.size	_ZN7rocprim17ROCPRIM_400000_NS6detail17trampoline_kernelINS0_14default_configENS1_22reduce_config_selectorIN6thrust23THRUST_200600_302600_NS5tupleIblNS6_9null_typeES8_S8_S8_S8_S8_S8_S8_EEEEZNS1_11reduce_implILb1ES3_PS9_SC_S9_NS6_11hip_rocprim9__find_if7functorIS9_EEEE10hipError_tPvRmT1_T2_T3_mT4_P12ihipStream_tbEUlT_E1_NS1_11comp_targetILNS1_3genE3ELNS1_11target_archE908ELNS1_3gpuE7ELNS1_3repE0EEENS1_30default_config_static_selectorELNS0_4arch9wavefront6targetE1EEEvSK_, .Lfunc_end48-_ZN7rocprim17ROCPRIM_400000_NS6detail17trampoline_kernelINS0_14default_configENS1_22reduce_config_selectorIN6thrust23THRUST_200600_302600_NS5tupleIblNS6_9null_typeES8_S8_S8_S8_S8_S8_S8_EEEEZNS1_11reduce_implILb1ES3_PS9_SC_S9_NS6_11hip_rocprim9__find_if7functorIS9_EEEE10hipError_tPvRmT1_T2_T3_mT4_P12ihipStream_tbEUlT_E1_NS1_11comp_targetILNS1_3genE3ELNS1_11target_archE908ELNS1_3gpuE7ELNS1_3repE0EEENS1_30default_config_static_selectorELNS0_4arch9wavefront6targetE1EEEvSK_
                                        ; -- End function
	.section	.AMDGPU.csdata,"",@progbits
; Kernel info:
; codeLenInByte = 0
; NumSgprs: 4
; NumVgprs: 0
; NumAgprs: 0
; TotalNumVgprs: 0
; ScratchSize: 0
; MemoryBound: 0
; FloatMode: 240
; IeeeMode: 1
; LDSByteSize: 0 bytes/workgroup (compile time only)
; SGPRBlocks: 0
; VGPRBlocks: 0
; NumSGPRsForWavesPerEU: 4
; NumVGPRsForWavesPerEU: 1
; AccumOffset: 4
; Occupancy: 8
; WaveLimiterHint : 0
; COMPUTE_PGM_RSRC2:SCRATCH_EN: 0
; COMPUTE_PGM_RSRC2:USER_SGPR: 6
; COMPUTE_PGM_RSRC2:TRAP_HANDLER: 0
; COMPUTE_PGM_RSRC2:TGID_X_EN: 1
; COMPUTE_PGM_RSRC2:TGID_Y_EN: 0
; COMPUTE_PGM_RSRC2:TGID_Z_EN: 0
; COMPUTE_PGM_RSRC2:TIDIG_COMP_CNT: 0
; COMPUTE_PGM_RSRC3_GFX90A:ACCUM_OFFSET: 0
; COMPUTE_PGM_RSRC3_GFX90A:TG_SPLIT: 0
	.section	.text._ZN7rocprim17ROCPRIM_400000_NS6detail17trampoline_kernelINS0_14default_configENS1_22reduce_config_selectorIN6thrust23THRUST_200600_302600_NS5tupleIblNS6_9null_typeES8_S8_S8_S8_S8_S8_S8_EEEEZNS1_11reduce_implILb1ES3_PS9_SC_S9_NS6_11hip_rocprim9__find_if7functorIS9_EEEE10hipError_tPvRmT1_T2_T3_mT4_P12ihipStream_tbEUlT_E1_NS1_11comp_targetILNS1_3genE2ELNS1_11target_archE906ELNS1_3gpuE6ELNS1_3repE0EEENS1_30default_config_static_selectorELNS0_4arch9wavefront6targetE1EEEvSK_,"axG",@progbits,_ZN7rocprim17ROCPRIM_400000_NS6detail17trampoline_kernelINS0_14default_configENS1_22reduce_config_selectorIN6thrust23THRUST_200600_302600_NS5tupleIblNS6_9null_typeES8_S8_S8_S8_S8_S8_S8_EEEEZNS1_11reduce_implILb1ES3_PS9_SC_S9_NS6_11hip_rocprim9__find_if7functorIS9_EEEE10hipError_tPvRmT1_T2_T3_mT4_P12ihipStream_tbEUlT_E1_NS1_11comp_targetILNS1_3genE2ELNS1_11target_archE906ELNS1_3gpuE6ELNS1_3repE0EEENS1_30default_config_static_selectorELNS0_4arch9wavefront6targetE1EEEvSK_,comdat
	.protected	_ZN7rocprim17ROCPRIM_400000_NS6detail17trampoline_kernelINS0_14default_configENS1_22reduce_config_selectorIN6thrust23THRUST_200600_302600_NS5tupleIblNS6_9null_typeES8_S8_S8_S8_S8_S8_S8_EEEEZNS1_11reduce_implILb1ES3_PS9_SC_S9_NS6_11hip_rocprim9__find_if7functorIS9_EEEE10hipError_tPvRmT1_T2_T3_mT4_P12ihipStream_tbEUlT_E1_NS1_11comp_targetILNS1_3genE2ELNS1_11target_archE906ELNS1_3gpuE6ELNS1_3repE0EEENS1_30default_config_static_selectorELNS0_4arch9wavefront6targetE1EEEvSK_ ; -- Begin function _ZN7rocprim17ROCPRIM_400000_NS6detail17trampoline_kernelINS0_14default_configENS1_22reduce_config_selectorIN6thrust23THRUST_200600_302600_NS5tupleIblNS6_9null_typeES8_S8_S8_S8_S8_S8_S8_EEEEZNS1_11reduce_implILb1ES3_PS9_SC_S9_NS6_11hip_rocprim9__find_if7functorIS9_EEEE10hipError_tPvRmT1_T2_T3_mT4_P12ihipStream_tbEUlT_E1_NS1_11comp_targetILNS1_3genE2ELNS1_11target_archE906ELNS1_3gpuE6ELNS1_3repE0EEENS1_30default_config_static_selectorELNS0_4arch9wavefront6targetE1EEEvSK_
	.globl	_ZN7rocprim17ROCPRIM_400000_NS6detail17trampoline_kernelINS0_14default_configENS1_22reduce_config_selectorIN6thrust23THRUST_200600_302600_NS5tupleIblNS6_9null_typeES8_S8_S8_S8_S8_S8_S8_EEEEZNS1_11reduce_implILb1ES3_PS9_SC_S9_NS6_11hip_rocprim9__find_if7functorIS9_EEEE10hipError_tPvRmT1_T2_T3_mT4_P12ihipStream_tbEUlT_E1_NS1_11comp_targetILNS1_3genE2ELNS1_11target_archE906ELNS1_3gpuE6ELNS1_3repE0EEENS1_30default_config_static_selectorELNS0_4arch9wavefront6targetE1EEEvSK_
	.p2align	8
	.type	_ZN7rocprim17ROCPRIM_400000_NS6detail17trampoline_kernelINS0_14default_configENS1_22reduce_config_selectorIN6thrust23THRUST_200600_302600_NS5tupleIblNS6_9null_typeES8_S8_S8_S8_S8_S8_S8_EEEEZNS1_11reduce_implILb1ES3_PS9_SC_S9_NS6_11hip_rocprim9__find_if7functorIS9_EEEE10hipError_tPvRmT1_T2_T3_mT4_P12ihipStream_tbEUlT_E1_NS1_11comp_targetILNS1_3genE2ELNS1_11target_archE906ELNS1_3gpuE6ELNS1_3repE0EEENS1_30default_config_static_selectorELNS0_4arch9wavefront6targetE1EEEvSK_,@function
_ZN7rocprim17ROCPRIM_400000_NS6detail17trampoline_kernelINS0_14default_configENS1_22reduce_config_selectorIN6thrust23THRUST_200600_302600_NS5tupleIblNS6_9null_typeES8_S8_S8_S8_S8_S8_S8_EEEEZNS1_11reduce_implILb1ES3_PS9_SC_S9_NS6_11hip_rocprim9__find_if7functorIS9_EEEE10hipError_tPvRmT1_T2_T3_mT4_P12ihipStream_tbEUlT_E1_NS1_11comp_targetILNS1_3genE2ELNS1_11target_archE906ELNS1_3gpuE6ELNS1_3repE0EEENS1_30default_config_static_selectorELNS0_4arch9wavefront6targetE1EEEvSK_: ; @_ZN7rocprim17ROCPRIM_400000_NS6detail17trampoline_kernelINS0_14default_configENS1_22reduce_config_selectorIN6thrust23THRUST_200600_302600_NS5tupleIblNS6_9null_typeES8_S8_S8_S8_S8_S8_S8_EEEEZNS1_11reduce_implILb1ES3_PS9_SC_S9_NS6_11hip_rocprim9__find_if7functorIS9_EEEE10hipError_tPvRmT1_T2_T3_mT4_P12ihipStream_tbEUlT_E1_NS1_11comp_targetILNS1_3genE2ELNS1_11target_archE906ELNS1_3gpuE6ELNS1_3repE0EEENS1_30default_config_static_selectorELNS0_4arch9wavefront6targetE1EEEvSK_
; %bb.0:
	.section	.rodata,"a",@progbits
	.p2align	6, 0x0
	.amdhsa_kernel _ZN7rocprim17ROCPRIM_400000_NS6detail17trampoline_kernelINS0_14default_configENS1_22reduce_config_selectorIN6thrust23THRUST_200600_302600_NS5tupleIblNS6_9null_typeES8_S8_S8_S8_S8_S8_S8_EEEEZNS1_11reduce_implILb1ES3_PS9_SC_S9_NS6_11hip_rocprim9__find_if7functorIS9_EEEE10hipError_tPvRmT1_T2_T3_mT4_P12ihipStream_tbEUlT_E1_NS1_11comp_targetILNS1_3genE2ELNS1_11target_archE906ELNS1_3gpuE6ELNS1_3repE0EEENS1_30default_config_static_selectorELNS0_4arch9wavefront6targetE1EEEvSK_
		.amdhsa_group_segment_fixed_size 0
		.amdhsa_private_segment_fixed_size 0
		.amdhsa_kernarg_size 56
		.amdhsa_user_sgpr_count 6
		.amdhsa_user_sgpr_private_segment_buffer 1
		.amdhsa_user_sgpr_dispatch_ptr 0
		.amdhsa_user_sgpr_queue_ptr 0
		.amdhsa_user_sgpr_kernarg_segment_ptr 1
		.amdhsa_user_sgpr_dispatch_id 0
		.amdhsa_user_sgpr_flat_scratch_init 0
		.amdhsa_user_sgpr_kernarg_preload_length 0
		.amdhsa_user_sgpr_kernarg_preload_offset 0
		.amdhsa_user_sgpr_private_segment_size 0
		.amdhsa_uses_dynamic_stack 0
		.amdhsa_system_sgpr_private_segment_wavefront_offset 0
		.amdhsa_system_sgpr_workgroup_id_x 1
		.amdhsa_system_sgpr_workgroup_id_y 0
		.amdhsa_system_sgpr_workgroup_id_z 0
		.amdhsa_system_sgpr_workgroup_info 0
		.amdhsa_system_vgpr_workitem_id 0
		.amdhsa_next_free_vgpr 1
		.amdhsa_next_free_sgpr 0
		.amdhsa_accum_offset 4
		.amdhsa_reserve_vcc 0
		.amdhsa_reserve_flat_scratch 0
		.amdhsa_float_round_mode_32 0
		.amdhsa_float_round_mode_16_64 0
		.amdhsa_float_denorm_mode_32 3
		.amdhsa_float_denorm_mode_16_64 3
		.amdhsa_dx10_clamp 1
		.amdhsa_ieee_mode 1
		.amdhsa_fp16_overflow 0
		.amdhsa_tg_split 0
		.amdhsa_exception_fp_ieee_invalid_op 0
		.amdhsa_exception_fp_denorm_src 0
		.amdhsa_exception_fp_ieee_div_zero 0
		.amdhsa_exception_fp_ieee_overflow 0
		.amdhsa_exception_fp_ieee_underflow 0
		.amdhsa_exception_fp_ieee_inexact 0
		.amdhsa_exception_int_div_zero 0
	.end_amdhsa_kernel
	.section	.text._ZN7rocprim17ROCPRIM_400000_NS6detail17trampoline_kernelINS0_14default_configENS1_22reduce_config_selectorIN6thrust23THRUST_200600_302600_NS5tupleIblNS6_9null_typeES8_S8_S8_S8_S8_S8_S8_EEEEZNS1_11reduce_implILb1ES3_PS9_SC_S9_NS6_11hip_rocprim9__find_if7functorIS9_EEEE10hipError_tPvRmT1_T2_T3_mT4_P12ihipStream_tbEUlT_E1_NS1_11comp_targetILNS1_3genE2ELNS1_11target_archE906ELNS1_3gpuE6ELNS1_3repE0EEENS1_30default_config_static_selectorELNS0_4arch9wavefront6targetE1EEEvSK_,"axG",@progbits,_ZN7rocprim17ROCPRIM_400000_NS6detail17trampoline_kernelINS0_14default_configENS1_22reduce_config_selectorIN6thrust23THRUST_200600_302600_NS5tupleIblNS6_9null_typeES8_S8_S8_S8_S8_S8_S8_EEEEZNS1_11reduce_implILb1ES3_PS9_SC_S9_NS6_11hip_rocprim9__find_if7functorIS9_EEEE10hipError_tPvRmT1_T2_T3_mT4_P12ihipStream_tbEUlT_E1_NS1_11comp_targetILNS1_3genE2ELNS1_11target_archE906ELNS1_3gpuE6ELNS1_3repE0EEENS1_30default_config_static_selectorELNS0_4arch9wavefront6targetE1EEEvSK_,comdat
.Lfunc_end49:
	.size	_ZN7rocprim17ROCPRIM_400000_NS6detail17trampoline_kernelINS0_14default_configENS1_22reduce_config_selectorIN6thrust23THRUST_200600_302600_NS5tupleIblNS6_9null_typeES8_S8_S8_S8_S8_S8_S8_EEEEZNS1_11reduce_implILb1ES3_PS9_SC_S9_NS6_11hip_rocprim9__find_if7functorIS9_EEEE10hipError_tPvRmT1_T2_T3_mT4_P12ihipStream_tbEUlT_E1_NS1_11comp_targetILNS1_3genE2ELNS1_11target_archE906ELNS1_3gpuE6ELNS1_3repE0EEENS1_30default_config_static_selectorELNS0_4arch9wavefront6targetE1EEEvSK_, .Lfunc_end49-_ZN7rocprim17ROCPRIM_400000_NS6detail17trampoline_kernelINS0_14default_configENS1_22reduce_config_selectorIN6thrust23THRUST_200600_302600_NS5tupleIblNS6_9null_typeES8_S8_S8_S8_S8_S8_S8_EEEEZNS1_11reduce_implILb1ES3_PS9_SC_S9_NS6_11hip_rocprim9__find_if7functorIS9_EEEE10hipError_tPvRmT1_T2_T3_mT4_P12ihipStream_tbEUlT_E1_NS1_11comp_targetILNS1_3genE2ELNS1_11target_archE906ELNS1_3gpuE6ELNS1_3repE0EEENS1_30default_config_static_selectorELNS0_4arch9wavefront6targetE1EEEvSK_
                                        ; -- End function
	.section	.AMDGPU.csdata,"",@progbits
; Kernel info:
; codeLenInByte = 0
; NumSgprs: 4
; NumVgprs: 0
; NumAgprs: 0
; TotalNumVgprs: 0
; ScratchSize: 0
; MemoryBound: 0
; FloatMode: 240
; IeeeMode: 1
; LDSByteSize: 0 bytes/workgroup (compile time only)
; SGPRBlocks: 0
; VGPRBlocks: 0
; NumSGPRsForWavesPerEU: 4
; NumVGPRsForWavesPerEU: 1
; AccumOffset: 4
; Occupancy: 8
; WaveLimiterHint : 0
; COMPUTE_PGM_RSRC2:SCRATCH_EN: 0
; COMPUTE_PGM_RSRC2:USER_SGPR: 6
; COMPUTE_PGM_RSRC2:TRAP_HANDLER: 0
; COMPUTE_PGM_RSRC2:TGID_X_EN: 1
; COMPUTE_PGM_RSRC2:TGID_Y_EN: 0
; COMPUTE_PGM_RSRC2:TGID_Z_EN: 0
; COMPUTE_PGM_RSRC2:TIDIG_COMP_CNT: 0
; COMPUTE_PGM_RSRC3_GFX90A:ACCUM_OFFSET: 0
; COMPUTE_PGM_RSRC3_GFX90A:TG_SPLIT: 0
	.section	.text._ZN7rocprim17ROCPRIM_400000_NS6detail17trampoline_kernelINS0_14default_configENS1_22reduce_config_selectorIN6thrust23THRUST_200600_302600_NS5tupleIblNS6_9null_typeES8_S8_S8_S8_S8_S8_S8_EEEEZNS1_11reduce_implILb1ES3_PS9_SC_S9_NS6_11hip_rocprim9__find_if7functorIS9_EEEE10hipError_tPvRmT1_T2_T3_mT4_P12ihipStream_tbEUlT_E1_NS1_11comp_targetILNS1_3genE10ELNS1_11target_archE1201ELNS1_3gpuE5ELNS1_3repE0EEENS1_30default_config_static_selectorELNS0_4arch9wavefront6targetE1EEEvSK_,"axG",@progbits,_ZN7rocprim17ROCPRIM_400000_NS6detail17trampoline_kernelINS0_14default_configENS1_22reduce_config_selectorIN6thrust23THRUST_200600_302600_NS5tupleIblNS6_9null_typeES8_S8_S8_S8_S8_S8_S8_EEEEZNS1_11reduce_implILb1ES3_PS9_SC_S9_NS6_11hip_rocprim9__find_if7functorIS9_EEEE10hipError_tPvRmT1_T2_T3_mT4_P12ihipStream_tbEUlT_E1_NS1_11comp_targetILNS1_3genE10ELNS1_11target_archE1201ELNS1_3gpuE5ELNS1_3repE0EEENS1_30default_config_static_selectorELNS0_4arch9wavefront6targetE1EEEvSK_,comdat
	.protected	_ZN7rocprim17ROCPRIM_400000_NS6detail17trampoline_kernelINS0_14default_configENS1_22reduce_config_selectorIN6thrust23THRUST_200600_302600_NS5tupleIblNS6_9null_typeES8_S8_S8_S8_S8_S8_S8_EEEEZNS1_11reduce_implILb1ES3_PS9_SC_S9_NS6_11hip_rocprim9__find_if7functorIS9_EEEE10hipError_tPvRmT1_T2_T3_mT4_P12ihipStream_tbEUlT_E1_NS1_11comp_targetILNS1_3genE10ELNS1_11target_archE1201ELNS1_3gpuE5ELNS1_3repE0EEENS1_30default_config_static_selectorELNS0_4arch9wavefront6targetE1EEEvSK_ ; -- Begin function _ZN7rocprim17ROCPRIM_400000_NS6detail17trampoline_kernelINS0_14default_configENS1_22reduce_config_selectorIN6thrust23THRUST_200600_302600_NS5tupleIblNS6_9null_typeES8_S8_S8_S8_S8_S8_S8_EEEEZNS1_11reduce_implILb1ES3_PS9_SC_S9_NS6_11hip_rocprim9__find_if7functorIS9_EEEE10hipError_tPvRmT1_T2_T3_mT4_P12ihipStream_tbEUlT_E1_NS1_11comp_targetILNS1_3genE10ELNS1_11target_archE1201ELNS1_3gpuE5ELNS1_3repE0EEENS1_30default_config_static_selectorELNS0_4arch9wavefront6targetE1EEEvSK_
	.globl	_ZN7rocprim17ROCPRIM_400000_NS6detail17trampoline_kernelINS0_14default_configENS1_22reduce_config_selectorIN6thrust23THRUST_200600_302600_NS5tupleIblNS6_9null_typeES8_S8_S8_S8_S8_S8_S8_EEEEZNS1_11reduce_implILb1ES3_PS9_SC_S9_NS6_11hip_rocprim9__find_if7functorIS9_EEEE10hipError_tPvRmT1_T2_T3_mT4_P12ihipStream_tbEUlT_E1_NS1_11comp_targetILNS1_3genE10ELNS1_11target_archE1201ELNS1_3gpuE5ELNS1_3repE0EEENS1_30default_config_static_selectorELNS0_4arch9wavefront6targetE1EEEvSK_
	.p2align	8
	.type	_ZN7rocprim17ROCPRIM_400000_NS6detail17trampoline_kernelINS0_14default_configENS1_22reduce_config_selectorIN6thrust23THRUST_200600_302600_NS5tupleIblNS6_9null_typeES8_S8_S8_S8_S8_S8_S8_EEEEZNS1_11reduce_implILb1ES3_PS9_SC_S9_NS6_11hip_rocprim9__find_if7functorIS9_EEEE10hipError_tPvRmT1_T2_T3_mT4_P12ihipStream_tbEUlT_E1_NS1_11comp_targetILNS1_3genE10ELNS1_11target_archE1201ELNS1_3gpuE5ELNS1_3repE0EEENS1_30default_config_static_selectorELNS0_4arch9wavefront6targetE1EEEvSK_,@function
_ZN7rocprim17ROCPRIM_400000_NS6detail17trampoline_kernelINS0_14default_configENS1_22reduce_config_selectorIN6thrust23THRUST_200600_302600_NS5tupleIblNS6_9null_typeES8_S8_S8_S8_S8_S8_S8_EEEEZNS1_11reduce_implILb1ES3_PS9_SC_S9_NS6_11hip_rocprim9__find_if7functorIS9_EEEE10hipError_tPvRmT1_T2_T3_mT4_P12ihipStream_tbEUlT_E1_NS1_11comp_targetILNS1_3genE10ELNS1_11target_archE1201ELNS1_3gpuE5ELNS1_3repE0EEENS1_30default_config_static_selectorELNS0_4arch9wavefront6targetE1EEEvSK_: ; @_ZN7rocprim17ROCPRIM_400000_NS6detail17trampoline_kernelINS0_14default_configENS1_22reduce_config_selectorIN6thrust23THRUST_200600_302600_NS5tupleIblNS6_9null_typeES8_S8_S8_S8_S8_S8_S8_EEEEZNS1_11reduce_implILb1ES3_PS9_SC_S9_NS6_11hip_rocprim9__find_if7functorIS9_EEEE10hipError_tPvRmT1_T2_T3_mT4_P12ihipStream_tbEUlT_E1_NS1_11comp_targetILNS1_3genE10ELNS1_11target_archE1201ELNS1_3gpuE5ELNS1_3repE0EEENS1_30default_config_static_selectorELNS0_4arch9wavefront6targetE1EEEvSK_
; %bb.0:
	.section	.rodata,"a",@progbits
	.p2align	6, 0x0
	.amdhsa_kernel _ZN7rocprim17ROCPRIM_400000_NS6detail17trampoline_kernelINS0_14default_configENS1_22reduce_config_selectorIN6thrust23THRUST_200600_302600_NS5tupleIblNS6_9null_typeES8_S8_S8_S8_S8_S8_S8_EEEEZNS1_11reduce_implILb1ES3_PS9_SC_S9_NS6_11hip_rocprim9__find_if7functorIS9_EEEE10hipError_tPvRmT1_T2_T3_mT4_P12ihipStream_tbEUlT_E1_NS1_11comp_targetILNS1_3genE10ELNS1_11target_archE1201ELNS1_3gpuE5ELNS1_3repE0EEENS1_30default_config_static_selectorELNS0_4arch9wavefront6targetE1EEEvSK_
		.amdhsa_group_segment_fixed_size 0
		.amdhsa_private_segment_fixed_size 0
		.amdhsa_kernarg_size 56
		.amdhsa_user_sgpr_count 6
		.amdhsa_user_sgpr_private_segment_buffer 1
		.amdhsa_user_sgpr_dispatch_ptr 0
		.amdhsa_user_sgpr_queue_ptr 0
		.amdhsa_user_sgpr_kernarg_segment_ptr 1
		.amdhsa_user_sgpr_dispatch_id 0
		.amdhsa_user_sgpr_flat_scratch_init 0
		.amdhsa_user_sgpr_kernarg_preload_length 0
		.amdhsa_user_sgpr_kernarg_preload_offset 0
		.amdhsa_user_sgpr_private_segment_size 0
		.amdhsa_uses_dynamic_stack 0
		.amdhsa_system_sgpr_private_segment_wavefront_offset 0
		.amdhsa_system_sgpr_workgroup_id_x 1
		.amdhsa_system_sgpr_workgroup_id_y 0
		.amdhsa_system_sgpr_workgroup_id_z 0
		.amdhsa_system_sgpr_workgroup_info 0
		.amdhsa_system_vgpr_workitem_id 0
		.amdhsa_next_free_vgpr 1
		.amdhsa_next_free_sgpr 0
		.amdhsa_accum_offset 4
		.amdhsa_reserve_vcc 0
		.amdhsa_reserve_flat_scratch 0
		.amdhsa_float_round_mode_32 0
		.amdhsa_float_round_mode_16_64 0
		.amdhsa_float_denorm_mode_32 3
		.amdhsa_float_denorm_mode_16_64 3
		.amdhsa_dx10_clamp 1
		.amdhsa_ieee_mode 1
		.amdhsa_fp16_overflow 0
		.amdhsa_tg_split 0
		.amdhsa_exception_fp_ieee_invalid_op 0
		.amdhsa_exception_fp_denorm_src 0
		.amdhsa_exception_fp_ieee_div_zero 0
		.amdhsa_exception_fp_ieee_overflow 0
		.amdhsa_exception_fp_ieee_underflow 0
		.amdhsa_exception_fp_ieee_inexact 0
		.amdhsa_exception_int_div_zero 0
	.end_amdhsa_kernel
	.section	.text._ZN7rocprim17ROCPRIM_400000_NS6detail17trampoline_kernelINS0_14default_configENS1_22reduce_config_selectorIN6thrust23THRUST_200600_302600_NS5tupleIblNS6_9null_typeES8_S8_S8_S8_S8_S8_S8_EEEEZNS1_11reduce_implILb1ES3_PS9_SC_S9_NS6_11hip_rocprim9__find_if7functorIS9_EEEE10hipError_tPvRmT1_T2_T3_mT4_P12ihipStream_tbEUlT_E1_NS1_11comp_targetILNS1_3genE10ELNS1_11target_archE1201ELNS1_3gpuE5ELNS1_3repE0EEENS1_30default_config_static_selectorELNS0_4arch9wavefront6targetE1EEEvSK_,"axG",@progbits,_ZN7rocprim17ROCPRIM_400000_NS6detail17trampoline_kernelINS0_14default_configENS1_22reduce_config_selectorIN6thrust23THRUST_200600_302600_NS5tupleIblNS6_9null_typeES8_S8_S8_S8_S8_S8_S8_EEEEZNS1_11reduce_implILb1ES3_PS9_SC_S9_NS6_11hip_rocprim9__find_if7functorIS9_EEEE10hipError_tPvRmT1_T2_T3_mT4_P12ihipStream_tbEUlT_E1_NS1_11comp_targetILNS1_3genE10ELNS1_11target_archE1201ELNS1_3gpuE5ELNS1_3repE0EEENS1_30default_config_static_selectorELNS0_4arch9wavefront6targetE1EEEvSK_,comdat
.Lfunc_end50:
	.size	_ZN7rocprim17ROCPRIM_400000_NS6detail17trampoline_kernelINS0_14default_configENS1_22reduce_config_selectorIN6thrust23THRUST_200600_302600_NS5tupleIblNS6_9null_typeES8_S8_S8_S8_S8_S8_S8_EEEEZNS1_11reduce_implILb1ES3_PS9_SC_S9_NS6_11hip_rocprim9__find_if7functorIS9_EEEE10hipError_tPvRmT1_T2_T3_mT4_P12ihipStream_tbEUlT_E1_NS1_11comp_targetILNS1_3genE10ELNS1_11target_archE1201ELNS1_3gpuE5ELNS1_3repE0EEENS1_30default_config_static_selectorELNS0_4arch9wavefront6targetE1EEEvSK_, .Lfunc_end50-_ZN7rocprim17ROCPRIM_400000_NS6detail17trampoline_kernelINS0_14default_configENS1_22reduce_config_selectorIN6thrust23THRUST_200600_302600_NS5tupleIblNS6_9null_typeES8_S8_S8_S8_S8_S8_S8_EEEEZNS1_11reduce_implILb1ES3_PS9_SC_S9_NS6_11hip_rocprim9__find_if7functorIS9_EEEE10hipError_tPvRmT1_T2_T3_mT4_P12ihipStream_tbEUlT_E1_NS1_11comp_targetILNS1_3genE10ELNS1_11target_archE1201ELNS1_3gpuE5ELNS1_3repE0EEENS1_30default_config_static_selectorELNS0_4arch9wavefront6targetE1EEEvSK_
                                        ; -- End function
	.section	.AMDGPU.csdata,"",@progbits
; Kernel info:
; codeLenInByte = 0
; NumSgprs: 4
; NumVgprs: 0
; NumAgprs: 0
; TotalNumVgprs: 0
; ScratchSize: 0
; MemoryBound: 0
; FloatMode: 240
; IeeeMode: 1
; LDSByteSize: 0 bytes/workgroup (compile time only)
; SGPRBlocks: 0
; VGPRBlocks: 0
; NumSGPRsForWavesPerEU: 4
; NumVGPRsForWavesPerEU: 1
; AccumOffset: 4
; Occupancy: 8
; WaveLimiterHint : 0
; COMPUTE_PGM_RSRC2:SCRATCH_EN: 0
; COMPUTE_PGM_RSRC2:USER_SGPR: 6
; COMPUTE_PGM_RSRC2:TRAP_HANDLER: 0
; COMPUTE_PGM_RSRC2:TGID_X_EN: 1
; COMPUTE_PGM_RSRC2:TGID_Y_EN: 0
; COMPUTE_PGM_RSRC2:TGID_Z_EN: 0
; COMPUTE_PGM_RSRC2:TIDIG_COMP_CNT: 0
; COMPUTE_PGM_RSRC3_GFX90A:ACCUM_OFFSET: 0
; COMPUTE_PGM_RSRC3_GFX90A:TG_SPLIT: 0
	.section	.text._ZN7rocprim17ROCPRIM_400000_NS6detail17trampoline_kernelINS0_14default_configENS1_22reduce_config_selectorIN6thrust23THRUST_200600_302600_NS5tupleIblNS6_9null_typeES8_S8_S8_S8_S8_S8_S8_EEEEZNS1_11reduce_implILb1ES3_PS9_SC_S9_NS6_11hip_rocprim9__find_if7functorIS9_EEEE10hipError_tPvRmT1_T2_T3_mT4_P12ihipStream_tbEUlT_E1_NS1_11comp_targetILNS1_3genE10ELNS1_11target_archE1200ELNS1_3gpuE4ELNS1_3repE0EEENS1_30default_config_static_selectorELNS0_4arch9wavefront6targetE1EEEvSK_,"axG",@progbits,_ZN7rocprim17ROCPRIM_400000_NS6detail17trampoline_kernelINS0_14default_configENS1_22reduce_config_selectorIN6thrust23THRUST_200600_302600_NS5tupleIblNS6_9null_typeES8_S8_S8_S8_S8_S8_S8_EEEEZNS1_11reduce_implILb1ES3_PS9_SC_S9_NS6_11hip_rocprim9__find_if7functorIS9_EEEE10hipError_tPvRmT1_T2_T3_mT4_P12ihipStream_tbEUlT_E1_NS1_11comp_targetILNS1_3genE10ELNS1_11target_archE1200ELNS1_3gpuE4ELNS1_3repE0EEENS1_30default_config_static_selectorELNS0_4arch9wavefront6targetE1EEEvSK_,comdat
	.protected	_ZN7rocprim17ROCPRIM_400000_NS6detail17trampoline_kernelINS0_14default_configENS1_22reduce_config_selectorIN6thrust23THRUST_200600_302600_NS5tupleIblNS6_9null_typeES8_S8_S8_S8_S8_S8_S8_EEEEZNS1_11reduce_implILb1ES3_PS9_SC_S9_NS6_11hip_rocprim9__find_if7functorIS9_EEEE10hipError_tPvRmT1_T2_T3_mT4_P12ihipStream_tbEUlT_E1_NS1_11comp_targetILNS1_3genE10ELNS1_11target_archE1200ELNS1_3gpuE4ELNS1_3repE0EEENS1_30default_config_static_selectorELNS0_4arch9wavefront6targetE1EEEvSK_ ; -- Begin function _ZN7rocprim17ROCPRIM_400000_NS6detail17trampoline_kernelINS0_14default_configENS1_22reduce_config_selectorIN6thrust23THRUST_200600_302600_NS5tupleIblNS6_9null_typeES8_S8_S8_S8_S8_S8_S8_EEEEZNS1_11reduce_implILb1ES3_PS9_SC_S9_NS6_11hip_rocprim9__find_if7functorIS9_EEEE10hipError_tPvRmT1_T2_T3_mT4_P12ihipStream_tbEUlT_E1_NS1_11comp_targetILNS1_3genE10ELNS1_11target_archE1200ELNS1_3gpuE4ELNS1_3repE0EEENS1_30default_config_static_selectorELNS0_4arch9wavefront6targetE1EEEvSK_
	.globl	_ZN7rocprim17ROCPRIM_400000_NS6detail17trampoline_kernelINS0_14default_configENS1_22reduce_config_selectorIN6thrust23THRUST_200600_302600_NS5tupleIblNS6_9null_typeES8_S8_S8_S8_S8_S8_S8_EEEEZNS1_11reduce_implILb1ES3_PS9_SC_S9_NS6_11hip_rocprim9__find_if7functorIS9_EEEE10hipError_tPvRmT1_T2_T3_mT4_P12ihipStream_tbEUlT_E1_NS1_11comp_targetILNS1_3genE10ELNS1_11target_archE1200ELNS1_3gpuE4ELNS1_3repE0EEENS1_30default_config_static_selectorELNS0_4arch9wavefront6targetE1EEEvSK_
	.p2align	8
	.type	_ZN7rocprim17ROCPRIM_400000_NS6detail17trampoline_kernelINS0_14default_configENS1_22reduce_config_selectorIN6thrust23THRUST_200600_302600_NS5tupleIblNS6_9null_typeES8_S8_S8_S8_S8_S8_S8_EEEEZNS1_11reduce_implILb1ES3_PS9_SC_S9_NS6_11hip_rocprim9__find_if7functorIS9_EEEE10hipError_tPvRmT1_T2_T3_mT4_P12ihipStream_tbEUlT_E1_NS1_11comp_targetILNS1_3genE10ELNS1_11target_archE1200ELNS1_3gpuE4ELNS1_3repE0EEENS1_30default_config_static_selectorELNS0_4arch9wavefront6targetE1EEEvSK_,@function
_ZN7rocprim17ROCPRIM_400000_NS6detail17trampoline_kernelINS0_14default_configENS1_22reduce_config_selectorIN6thrust23THRUST_200600_302600_NS5tupleIblNS6_9null_typeES8_S8_S8_S8_S8_S8_S8_EEEEZNS1_11reduce_implILb1ES3_PS9_SC_S9_NS6_11hip_rocprim9__find_if7functorIS9_EEEE10hipError_tPvRmT1_T2_T3_mT4_P12ihipStream_tbEUlT_E1_NS1_11comp_targetILNS1_3genE10ELNS1_11target_archE1200ELNS1_3gpuE4ELNS1_3repE0EEENS1_30default_config_static_selectorELNS0_4arch9wavefront6targetE1EEEvSK_: ; @_ZN7rocprim17ROCPRIM_400000_NS6detail17trampoline_kernelINS0_14default_configENS1_22reduce_config_selectorIN6thrust23THRUST_200600_302600_NS5tupleIblNS6_9null_typeES8_S8_S8_S8_S8_S8_S8_EEEEZNS1_11reduce_implILb1ES3_PS9_SC_S9_NS6_11hip_rocprim9__find_if7functorIS9_EEEE10hipError_tPvRmT1_T2_T3_mT4_P12ihipStream_tbEUlT_E1_NS1_11comp_targetILNS1_3genE10ELNS1_11target_archE1200ELNS1_3gpuE4ELNS1_3repE0EEENS1_30default_config_static_selectorELNS0_4arch9wavefront6targetE1EEEvSK_
; %bb.0:
	.section	.rodata,"a",@progbits
	.p2align	6, 0x0
	.amdhsa_kernel _ZN7rocprim17ROCPRIM_400000_NS6detail17trampoline_kernelINS0_14default_configENS1_22reduce_config_selectorIN6thrust23THRUST_200600_302600_NS5tupleIblNS6_9null_typeES8_S8_S8_S8_S8_S8_S8_EEEEZNS1_11reduce_implILb1ES3_PS9_SC_S9_NS6_11hip_rocprim9__find_if7functorIS9_EEEE10hipError_tPvRmT1_T2_T3_mT4_P12ihipStream_tbEUlT_E1_NS1_11comp_targetILNS1_3genE10ELNS1_11target_archE1200ELNS1_3gpuE4ELNS1_3repE0EEENS1_30default_config_static_selectorELNS0_4arch9wavefront6targetE1EEEvSK_
		.amdhsa_group_segment_fixed_size 0
		.amdhsa_private_segment_fixed_size 0
		.amdhsa_kernarg_size 56
		.amdhsa_user_sgpr_count 6
		.amdhsa_user_sgpr_private_segment_buffer 1
		.amdhsa_user_sgpr_dispatch_ptr 0
		.amdhsa_user_sgpr_queue_ptr 0
		.amdhsa_user_sgpr_kernarg_segment_ptr 1
		.amdhsa_user_sgpr_dispatch_id 0
		.amdhsa_user_sgpr_flat_scratch_init 0
		.amdhsa_user_sgpr_kernarg_preload_length 0
		.amdhsa_user_sgpr_kernarg_preload_offset 0
		.amdhsa_user_sgpr_private_segment_size 0
		.amdhsa_uses_dynamic_stack 0
		.amdhsa_system_sgpr_private_segment_wavefront_offset 0
		.amdhsa_system_sgpr_workgroup_id_x 1
		.amdhsa_system_sgpr_workgroup_id_y 0
		.amdhsa_system_sgpr_workgroup_id_z 0
		.amdhsa_system_sgpr_workgroup_info 0
		.amdhsa_system_vgpr_workitem_id 0
		.amdhsa_next_free_vgpr 1
		.amdhsa_next_free_sgpr 0
		.amdhsa_accum_offset 4
		.amdhsa_reserve_vcc 0
		.amdhsa_reserve_flat_scratch 0
		.amdhsa_float_round_mode_32 0
		.amdhsa_float_round_mode_16_64 0
		.amdhsa_float_denorm_mode_32 3
		.amdhsa_float_denorm_mode_16_64 3
		.amdhsa_dx10_clamp 1
		.amdhsa_ieee_mode 1
		.amdhsa_fp16_overflow 0
		.amdhsa_tg_split 0
		.amdhsa_exception_fp_ieee_invalid_op 0
		.amdhsa_exception_fp_denorm_src 0
		.amdhsa_exception_fp_ieee_div_zero 0
		.amdhsa_exception_fp_ieee_overflow 0
		.amdhsa_exception_fp_ieee_underflow 0
		.amdhsa_exception_fp_ieee_inexact 0
		.amdhsa_exception_int_div_zero 0
	.end_amdhsa_kernel
	.section	.text._ZN7rocprim17ROCPRIM_400000_NS6detail17trampoline_kernelINS0_14default_configENS1_22reduce_config_selectorIN6thrust23THRUST_200600_302600_NS5tupleIblNS6_9null_typeES8_S8_S8_S8_S8_S8_S8_EEEEZNS1_11reduce_implILb1ES3_PS9_SC_S9_NS6_11hip_rocprim9__find_if7functorIS9_EEEE10hipError_tPvRmT1_T2_T3_mT4_P12ihipStream_tbEUlT_E1_NS1_11comp_targetILNS1_3genE10ELNS1_11target_archE1200ELNS1_3gpuE4ELNS1_3repE0EEENS1_30default_config_static_selectorELNS0_4arch9wavefront6targetE1EEEvSK_,"axG",@progbits,_ZN7rocprim17ROCPRIM_400000_NS6detail17trampoline_kernelINS0_14default_configENS1_22reduce_config_selectorIN6thrust23THRUST_200600_302600_NS5tupleIblNS6_9null_typeES8_S8_S8_S8_S8_S8_S8_EEEEZNS1_11reduce_implILb1ES3_PS9_SC_S9_NS6_11hip_rocprim9__find_if7functorIS9_EEEE10hipError_tPvRmT1_T2_T3_mT4_P12ihipStream_tbEUlT_E1_NS1_11comp_targetILNS1_3genE10ELNS1_11target_archE1200ELNS1_3gpuE4ELNS1_3repE0EEENS1_30default_config_static_selectorELNS0_4arch9wavefront6targetE1EEEvSK_,comdat
.Lfunc_end51:
	.size	_ZN7rocprim17ROCPRIM_400000_NS6detail17trampoline_kernelINS0_14default_configENS1_22reduce_config_selectorIN6thrust23THRUST_200600_302600_NS5tupleIblNS6_9null_typeES8_S8_S8_S8_S8_S8_S8_EEEEZNS1_11reduce_implILb1ES3_PS9_SC_S9_NS6_11hip_rocprim9__find_if7functorIS9_EEEE10hipError_tPvRmT1_T2_T3_mT4_P12ihipStream_tbEUlT_E1_NS1_11comp_targetILNS1_3genE10ELNS1_11target_archE1200ELNS1_3gpuE4ELNS1_3repE0EEENS1_30default_config_static_selectorELNS0_4arch9wavefront6targetE1EEEvSK_, .Lfunc_end51-_ZN7rocprim17ROCPRIM_400000_NS6detail17trampoline_kernelINS0_14default_configENS1_22reduce_config_selectorIN6thrust23THRUST_200600_302600_NS5tupleIblNS6_9null_typeES8_S8_S8_S8_S8_S8_S8_EEEEZNS1_11reduce_implILb1ES3_PS9_SC_S9_NS6_11hip_rocprim9__find_if7functorIS9_EEEE10hipError_tPvRmT1_T2_T3_mT4_P12ihipStream_tbEUlT_E1_NS1_11comp_targetILNS1_3genE10ELNS1_11target_archE1200ELNS1_3gpuE4ELNS1_3repE0EEENS1_30default_config_static_selectorELNS0_4arch9wavefront6targetE1EEEvSK_
                                        ; -- End function
	.section	.AMDGPU.csdata,"",@progbits
; Kernel info:
; codeLenInByte = 0
; NumSgprs: 4
; NumVgprs: 0
; NumAgprs: 0
; TotalNumVgprs: 0
; ScratchSize: 0
; MemoryBound: 0
; FloatMode: 240
; IeeeMode: 1
; LDSByteSize: 0 bytes/workgroup (compile time only)
; SGPRBlocks: 0
; VGPRBlocks: 0
; NumSGPRsForWavesPerEU: 4
; NumVGPRsForWavesPerEU: 1
; AccumOffset: 4
; Occupancy: 8
; WaveLimiterHint : 0
; COMPUTE_PGM_RSRC2:SCRATCH_EN: 0
; COMPUTE_PGM_RSRC2:USER_SGPR: 6
; COMPUTE_PGM_RSRC2:TRAP_HANDLER: 0
; COMPUTE_PGM_RSRC2:TGID_X_EN: 1
; COMPUTE_PGM_RSRC2:TGID_Y_EN: 0
; COMPUTE_PGM_RSRC2:TGID_Z_EN: 0
; COMPUTE_PGM_RSRC2:TIDIG_COMP_CNT: 0
; COMPUTE_PGM_RSRC3_GFX90A:ACCUM_OFFSET: 0
; COMPUTE_PGM_RSRC3_GFX90A:TG_SPLIT: 0
	.section	.text._ZN7rocprim17ROCPRIM_400000_NS6detail17trampoline_kernelINS0_14default_configENS1_22reduce_config_selectorIN6thrust23THRUST_200600_302600_NS5tupleIblNS6_9null_typeES8_S8_S8_S8_S8_S8_S8_EEEEZNS1_11reduce_implILb1ES3_PS9_SC_S9_NS6_11hip_rocprim9__find_if7functorIS9_EEEE10hipError_tPvRmT1_T2_T3_mT4_P12ihipStream_tbEUlT_E1_NS1_11comp_targetILNS1_3genE9ELNS1_11target_archE1100ELNS1_3gpuE3ELNS1_3repE0EEENS1_30default_config_static_selectorELNS0_4arch9wavefront6targetE1EEEvSK_,"axG",@progbits,_ZN7rocprim17ROCPRIM_400000_NS6detail17trampoline_kernelINS0_14default_configENS1_22reduce_config_selectorIN6thrust23THRUST_200600_302600_NS5tupleIblNS6_9null_typeES8_S8_S8_S8_S8_S8_S8_EEEEZNS1_11reduce_implILb1ES3_PS9_SC_S9_NS6_11hip_rocprim9__find_if7functorIS9_EEEE10hipError_tPvRmT1_T2_T3_mT4_P12ihipStream_tbEUlT_E1_NS1_11comp_targetILNS1_3genE9ELNS1_11target_archE1100ELNS1_3gpuE3ELNS1_3repE0EEENS1_30default_config_static_selectorELNS0_4arch9wavefront6targetE1EEEvSK_,comdat
	.protected	_ZN7rocprim17ROCPRIM_400000_NS6detail17trampoline_kernelINS0_14default_configENS1_22reduce_config_selectorIN6thrust23THRUST_200600_302600_NS5tupleIblNS6_9null_typeES8_S8_S8_S8_S8_S8_S8_EEEEZNS1_11reduce_implILb1ES3_PS9_SC_S9_NS6_11hip_rocprim9__find_if7functorIS9_EEEE10hipError_tPvRmT1_T2_T3_mT4_P12ihipStream_tbEUlT_E1_NS1_11comp_targetILNS1_3genE9ELNS1_11target_archE1100ELNS1_3gpuE3ELNS1_3repE0EEENS1_30default_config_static_selectorELNS0_4arch9wavefront6targetE1EEEvSK_ ; -- Begin function _ZN7rocprim17ROCPRIM_400000_NS6detail17trampoline_kernelINS0_14default_configENS1_22reduce_config_selectorIN6thrust23THRUST_200600_302600_NS5tupleIblNS6_9null_typeES8_S8_S8_S8_S8_S8_S8_EEEEZNS1_11reduce_implILb1ES3_PS9_SC_S9_NS6_11hip_rocprim9__find_if7functorIS9_EEEE10hipError_tPvRmT1_T2_T3_mT4_P12ihipStream_tbEUlT_E1_NS1_11comp_targetILNS1_3genE9ELNS1_11target_archE1100ELNS1_3gpuE3ELNS1_3repE0EEENS1_30default_config_static_selectorELNS0_4arch9wavefront6targetE1EEEvSK_
	.globl	_ZN7rocprim17ROCPRIM_400000_NS6detail17trampoline_kernelINS0_14default_configENS1_22reduce_config_selectorIN6thrust23THRUST_200600_302600_NS5tupleIblNS6_9null_typeES8_S8_S8_S8_S8_S8_S8_EEEEZNS1_11reduce_implILb1ES3_PS9_SC_S9_NS6_11hip_rocprim9__find_if7functorIS9_EEEE10hipError_tPvRmT1_T2_T3_mT4_P12ihipStream_tbEUlT_E1_NS1_11comp_targetILNS1_3genE9ELNS1_11target_archE1100ELNS1_3gpuE3ELNS1_3repE0EEENS1_30default_config_static_selectorELNS0_4arch9wavefront6targetE1EEEvSK_
	.p2align	8
	.type	_ZN7rocprim17ROCPRIM_400000_NS6detail17trampoline_kernelINS0_14default_configENS1_22reduce_config_selectorIN6thrust23THRUST_200600_302600_NS5tupleIblNS6_9null_typeES8_S8_S8_S8_S8_S8_S8_EEEEZNS1_11reduce_implILb1ES3_PS9_SC_S9_NS6_11hip_rocprim9__find_if7functorIS9_EEEE10hipError_tPvRmT1_T2_T3_mT4_P12ihipStream_tbEUlT_E1_NS1_11comp_targetILNS1_3genE9ELNS1_11target_archE1100ELNS1_3gpuE3ELNS1_3repE0EEENS1_30default_config_static_selectorELNS0_4arch9wavefront6targetE1EEEvSK_,@function
_ZN7rocprim17ROCPRIM_400000_NS6detail17trampoline_kernelINS0_14default_configENS1_22reduce_config_selectorIN6thrust23THRUST_200600_302600_NS5tupleIblNS6_9null_typeES8_S8_S8_S8_S8_S8_S8_EEEEZNS1_11reduce_implILb1ES3_PS9_SC_S9_NS6_11hip_rocprim9__find_if7functorIS9_EEEE10hipError_tPvRmT1_T2_T3_mT4_P12ihipStream_tbEUlT_E1_NS1_11comp_targetILNS1_3genE9ELNS1_11target_archE1100ELNS1_3gpuE3ELNS1_3repE0EEENS1_30default_config_static_selectorELNS0_4arch9wavefront6targetE1EEEvSK_: ; @_ZN7rocprim17ROCPRIM_400000_NS6detail17trampoline_kernelINS0_14default_configENS1_22reduce_config_selectorIN6thrust23THRUST_200600_302600_NS5tupleIblNS6_9null_typeES8_S8_S8_S8_S8_S8_S8_EEEEZNS1_11reduce_implILb1ES3_PS9_SC_S9_NS6_11hip_rocprim9__find_if7functorIS9_EEEE10hipError_tPvRmT1_T2_T3_mT4_P12ihipStream_tbEUlT_E1_NS1_11comp_targetILNS1_3genE9ELNS1_11target_archE1100ELNS1_3gpuE3ELNS1_3repE0EEENS1_30default_config_static_selectorELNS0_4arch9wavefront6targetE1EEEvSK_
; %bb.0:
	.section	.rodata,"a",@progbits
	.p2align	6, 0x0
	.amdhsa_kernel _ZN7rocprim17ROCPRIM_400000_NS6detail17trampoline_kernelINS0_14default_configENS1_22reduce_config_selectorIN6thrust23THRUST_200600_302600_NS5tupleIblNS6_9null_typeES8_S8_S8_S8_S8_S8_S8_EEEEZNS1_11reduce_implILb1ES3_PS9_SC_S9_NS6_11hip_rocprim9__find_if7functorIS9_EEEE10hipError_tPvRmT1_T2_T3_mT4_P12ihipStream_tbEUlT_E1_NS1_11comp_targetILNS1_3genE9ELNS1_11target_archE1100ELNS1_3gpuE3ELNS1_3repE0EEENS1_30default_config_static_selectorELNS0_4arch9wavefront6targetE1EEEvSK_
		.amdhsa_group_segment_fixed_size 0
		.amdhsa_private_segment_fixed_size 0
		.amdhsa_kernarg_size 56
		.amdhsa_user_sgpr_count 6
		.amdhsa_user_sgpr_private_segment_buffer 1
		.amdhsa_user_sgpr_dispatch_ptr 0
		.amdhsa_user_sgpr_queue_ptr 0
		.amdhsa_user_sgpr_kernarg_segment_ptr 1
		.amdhsa_user_sgpr_dispatch_id 0
		.amdhsa_user_sgpr_flat_scratch_init 0
		.amdhsa_user_sgpr_kernarg_preload_length 0
		.amdhsa_user_sgpr_kernarg_preload_offset 0
		.amdhsa_user_sgpr_private_segment_size 0
		.amdhsa_uses_dynamic_stack 0
		.amdhsa_system_sgpr_private_segment_wavefront_offset 0
		.amdhsa_system_sgpr_workgroup_id_x 1
		.amdhsa_system_sgpr_workgroup_id_y 0
		.amdhsa_system_sgpr_workgroup_id_z 0
		.amdhsa_system_sgpr_workgroup_info 0
		.amdhsa_system_vgpr_workitem_id 0
		.amdhsa_next_free_vgpr 1
		.amdhsa_next_free_sgpr 0
		.amdhsa_accum_offset 4
		.amdhsa_reserve_vcc 0
		.amdhsa_reserve_flat_scratch 0
		.amdhsa_float_round_mode_32 0
		.amdhsa_float_round_mode_16_64 0
		.amdhsa_float_denorm_mode_32 3
		.amdhsa_float_denorm_mode_16_64 3
		.amdhsa_dx10_clamp 1
		.amdhsa_ieee_mode 1
		.amdhsa_fp16_overflow 0
		.amdhsa_tg_split 0
		.amdhsa_exception_fp_ieee_invalid_op 0
		.amdhsa_exception_fp_denorm_src 0
		.amdhsa_exception_fp_ieee_div_zero 0
		.amdhsa_exception_fp_ieee_overflow 0
		.amdhsa_exception_fp_ieee_underflow 0
		.amdhsa_exception_fp_ieee_inexact 0
		.amdhsa_exception_int_div_zero 0
	.end_amdhsa_kernel
	.section	.text._ZN7rocprim17ROCPRIM_400000_NS6detail17trampoline_kernelINS0_14default_configENS1_22reduce_config_selectorIN6thrust23THRUST_200600_302600_NS5tupleIblNS6_9null_typeES8_S8_S8_S8_S8_S8_S8_EEEEZNS1_11reduce_implILb1ES3_PS9_SC_S9_NS6_11hip_rocprim9__find_if7functorIS9_EEEE10hipError_tPvRmT1_T2_T3_mT4_P12ihipStream_tbEUlT_E1_NS1_11comp_targetILNS1_3genE9ELNS1_11target_archE1100ELNS1_3gpuE3ELNS1_3repE0EEENS1_30default_config_static_selectorELNS0_4arch9wavefront6targetE1EEEvSK_,"axG",@progbits,_ZN7rocprim17ROCPRIM_400000_NS6detail17trampoline_kernelINS0_14default_configENS1_22reduce_config_selectorIN6thrust23THRUST_200600_302600_NS5tupleIblNS6_9null_typeES8_S8_S8_S8_S8_S8_S8_EEEEZNS1_11reduce_implILb1ES3_PS9_SC_S9_NS6_11hip_rocprim9__find_if7functorIS9_EEEE10hipError_tPvRmT1_T2_T3_mT4_P12ihipStream_tbEUlT_E1_NS1_11comp_targetILNS1_3genE9ELNS1_11target_archE1100ELNS1_3gpuE3ELNS1_3repE0EEENS1_30default_config_static_selectorELNS0_4arch9wavefront6targetE1EEEvSK_,comdat
.Lfunc_end52:
	.size	_ZN7rocprim17ROCPRIM_400000_NS6detail17trampoline_kernelINS0_14default_configENS1_22reduce_config_selectorIN6thrust23THRUST_200600_302600_NS5tupleIblNS6_9null_typeES8_S8_S8_S8_S8_S8_S8_EEEEZNS1_11reduce_implILb1ES3_PS9_SC_S9_NS6_11hip_rocprim9__find_if7functorIS9_EEEE10hipError_tPvRmT1_T2_T3_mT4_P12ihipStream_tbEUlT_E1_NS1_11comp_targetILNS1_3genE9ELNS1_11target_archE1100ELNS1_3gpuE3ELNS1_3repE0EEENS1_30default_config_static_selectorELNS0_4arch9wavefront6targetE1EEEvSK_, .Lfunc_end52-_ZN7rocprim17ROCPRIM_400000_NS6detail17trampoline_kernelINS0_14default_configENS1_22reduce_config_selectorIN6thrust23THRUST_200600_302600_NS5tupleIblNS6_9null_typeES8_S8_S8_S8_S8_S8_S8_EEEEZNS1_11reduce_implILb1ES3_PS9_SC_S9_NS6_11hip_rocprim9__find_if7functorIS9_EEEE10hipError_tPvRmT1_T2_T3_mT4_P12ihipStream_tbEUlT_E1_NS1_11comp_targetILNS1_3genE9ELNS1_11target_archE1100ELNS1_3gpuE3ELNS1_3repE0EEENS1_30default_config_static_selectorELNS0_4arch9wavefront6targetE1EEEvSK_
                                        ; -- End function
	.section	.AMDGPU.csdata,"",@progbits
; Kernel info:
; codeLenInByte = 0
; NumSgprs: 4
; NumVgprs: 0
; NumAgprs: 0
; TotalNumVgprs: 0
; ScratchSize: 0
; MemoryBound: 0
; FloatMode: 240
; IeeeMode: 1
; LDSByteSize: 0 bytes/workgroup (compile time only)
; SGPRBlocks: 0
; VGPRBlocks: 0
; NumSGPRsForWavesPerEU: 4
; NumVGPRsForWavesPerEU: 1
; AccumOffset: 4
; Occupancy: 8
; WaveLimiterHint : 0
; COMPUTE_PGM_RSRC2:SCRATCH_EN: 0
; COMPUTE_PGM_RSRC2:USER_SGPR: 6
; COMPUTE_PGM_RSRC2:TRAP_HANDLER: 0
; COMPUTE_PGM_RSRC2:TGID_X_EN: 1
; COMPUTE_PGM_RSRC2:TGID_Y_EN: 0
; COMPUTE_PGM_RSRC2:TGID_Z_EN: 0
; COMPUTE_PGM_RSRC2:TIDIG_COMP_CNT: 0
; COMPUTE_PGM_RSRC3_GFX90A:ACCUM_OFFSET: 0
; COMPUTE_PGM_RSRC3_GFX90A:TG_SPLIT: 0
	.section	.text._ZN7rocprim17ROCPRIM_400000_NS6detail17trampoline_kernelINS0_14default_configENS1_22reduce_config_selectorIN6thrust23THRUST_200600_302600_NS5tupleIblNS6_9null_typeES8_S8_S8_S8_S8_S8_S8_EEEEZNS1_11reduce_implILb1ES3_PS9_SC_S9_NS6_11hip_rocprim9__find_if7functorIS9_EEEE10hipError_tPvRmT1_T2_T3_mT4_P12ihipStream_tbEUlT_E1_NS1_11comp_targetILNS1_3genE8ELNS1_11target_archE1030ELNS1_3gpuE2ELNS1_3repE0EEENS1_30default_config_static_selectorELNS0_4arch9wavefront6targetE1EEEvSK_,"axG",@progbits,_ZN7rocprim17ROCPRIM_400000_NS6detail17trampoline_kernelINS0_14default_configENS1_22reduce_config_selectorIN6thrust23THRUST_200600_302600_NS5tupleIblNS6_9null_typeES8_S8_S8_S8_S8_S8_S8_EEEEZNS1_11reduce_implILb1ES3_PS9_SC_S9_NS6_11hip_rocprim9__find_if7functorIS9_EEEE10hipError_tPvRmT1_T2_T3_mT4_P12ihipStream_tbEUlT_E1_NS1_11comp_targetILNS1_3genE8ELNS1_11target_archE1030ELNS1_3gpuE2ELNS1_3repE0EEENS1_30default_config_static_selectorELNS0_4arch9wavefront6targetE1EEEvSK_,comdat
	.protected	_ZN7rocprim17ROCPRIM_400000_NS6detail17trampoline_kernelINS0_14default_configENS1_22reduce_config_selectorIN6thrust23THRUST_200600_302600_NS5tupleIblNS6_9null_typeES8_S8_S8_S8_S8_S8_S8_EEEEZNS1_11reduce_implILb1ES3_PS9_SC_S9_NS6_11hip_rocprim9__find_if7functorIS9_EEEE10hipError_tPvRmT1_T2_T3_mT4_P12ihipStream_tbEUlT_E1_NS1_11comp_targetILNS1_3genE8ELNS1_11target_archE1030ELNS1_3gpuE2ELNS1_3repE0EEENS1_30default_config_static_selectorELNS0_4arch9wavefront6targetE1EEEvSK_ ; -- Begin function _ZN7rocprim17ROCPRIM_400000_NS6detail17trampoline_kernelINS0_14default_configENS1_22reduce_config_selectorIN6thrust23THRUST_200600_302600_NS5tupleIblNS6_9null_typeES8_S8_S8_S8_S8_S8_S8_EEEEZNS1_11reduce_implILb1ES3_PS9_SC_S9_NS6_11hip_rocprim9__find_if7functorIS9_EEEE10hipError_tPvRmT1_T2_T3_mT4_P12ihipStream_tbEUlT_E1_NS1_11comp_targetILNS1_3genE8ELNS1_11target_archE1030ELNS1_3gpuE2ELNS1_3repE0EEENS1_30default_config_static_selectorELNS0_4arch9wavefront6targetE1EEEvSK_
	.globl	_ZN7rocprim17ROCPRIM_400000_NS6detail17trampoline_kernelINS0_14default_configENS1_22reduce_config_selectorIN6thrust23THRUST_200600_302600_NS5tupleIblNS6_9null_typeES8_S8_S8_S8_S8_S8_S8_EEEEZNS1_11reduce_implILb1ES3_PS9_SC_S9_NS6_11hip_rocprim9__find_if7functorIS9_EEEE10hipError_tPvRmT1_T2_T3_mT4_P12ihipStream_tbEUlT_E1_NS1_11comp_targetILNS1_3genE8ELNS1_11target_archE1030ELNS1_3gpuE2ELNS1_3repE0EEENS1_30default_config_static_selectorELNS0_4arch9wavefront6targetE1EEEvSK_
	.p2align	8
	.type	_ZN7rocprim17ROCPRIM_400000_NS6detail17trampoline_kernelINS0_14default_configENS1_22reduce_config_selectorIN6thrust23THRUST_200600_302600_NS5tupleIblNS6_9null_typeES8_S8_S8_S8_S8_S8_S8_EEEEZNS1_11reduce_implILb1ES3_PS9_SC_S9_NS6_11hip_rocprim9__find_if7functorIS9_EEEE10hipError_tPvRmT1_T2_T3_mT4_P12ihipStream_tbEUlT_E1_NS1_11comp_targetILNS1_3genE8ELNS1_11target_archE1030ELNS1_3gpuE2ELNS1_3repE0EEENS1_30default_config_static_selectorELNS0_4arch9wavefront6targetE1EEEvSK_,@function
_ZN7rocprim17ROCPRIM_400000_NS6detail17trampoline_kernelINS0_14default_configENS1_22reduce_config_selectorIN6thrust23THRUST_200600_302600_NS5tupleIblNS6_9null_typeES8_S8_S8_S8_S8_S8_S8_EEEEZNS1_11reduce_implILb1ES3_PS9_SC_S9_NS6_11hip_rocprim9__find_if7functorIS9_EEEE10hipError_tPvRmT1_T2_T3_mT4_P12ihipStream_tbEUlT_E1_NS1_11comp_targetILNS1_3genE8ELNS1_11target_archE1030ELNS1_3gpuE2ELNS1_3repE0EEENS1_30default_config_static_selectorELNS0_4arch9wavefront6targetE1EEEvSK_: ; @_ZN7rocprim17ROCPRIM_400000_NS6detail17trampoline_kernelINS0_14default_configENS1_22reduce_config_selectorIN6thrust23THRUST_200600_302600_NS5tupleIblNS6_9null_typeES8_S8_S8_S8_S8_S8_S8_EEEEZNS1_11reduce_implILb1ES3_PS9_SC_S9_NS6_11hip_rocprim9__find_if7functorIS9_EEEE10hipError_tPvRmT1_T2_T3_mT4_P12ihipStream_tbEUlT_E1_NS1_11comp_targetILNS1_3genE8ELNS1_11target_archE1030ELNS1_3gpuE2ELNS1_3repE0EEENS1_30default_config_static_selectorELNS0_4arch9wavefront6targetE1EEEvSK_
; %bb.0:
	.section	.rodata,"a",@progbits
	.p2align	6, 0x0
	.amdhsa_kernel _ZN7rocprim17ROCPRIM_400000_NS6detail17trampoline_kernelINS0_14default_configENS1_22reduce_config_selectorIN6thrust23THRUST_200600_302600_NS5tupleIblNS6_9null_typeES8_S8_S8_S8_S8_S8_S8_EEEEZNS1_11reduce_implILb1ES3_PS9_SC_S9_NS6_11hip_rocprim9__find_if7functorIS9_EEEE10hipError_tPvRmT1_T2_T3_mT4_P12ihipStream_tbEUlT_E1_NS1_11comp_targetILNS1_3genE8ELNS1_11target_archE1030ELNS1_3gpuE2ELNS1_3repE0EEENS1_30default_config_static_selectorELNS0_4arch9wavefront6targetE1EEEvSK_
		.amdhsa_group_segment_fixed_size 0
		.amdhsa_private_segment_fixed_size 0
		.amdhsa_kernarg_size 56
		.amdhsa_user_sgpr_count 6
		.amdhsa_user_sgpr_private_segment_buffer 1
		.amdhsa_user_sgpr_dispatch_ptr 0
		.amdhsa_user_sgpr_queue_ptr 0
		.amdhsa_user_sgpr_kernarg_segment_ptr 1
		.amdhsa_user_sgpr_dispatch_id 0
		.amdhsa_user_sgpr_flat_scratch_init 0
		.amdhsa_user_sgpr_kernarg_preload_length 0
		.amdhsa_user_sgpr_kernarg_preload_offset 0
		.amdhsa_user_sgpr_private_segment_size 0
		.amdhsa_uses_dynamic_stack 0
		.amdhsa_system_sgpr_private_segment_wavefront_offset 0
		.amdhsa_system_sgpr_workgroup_id_x 1
		.amdhsa_system_sgpr_workgroup_id_y 0
		.amdhsa_system_sgpr_workgroup_id_z 0
		.amdhsa_system_sgpr_workgroup_info 0
		.amdhsa_system_vgpr_workitem_id 0
		.amdhsa_next_free_vgpr 1
		.amdhsa_next_free_sgpr 0
		.amdhsa_accum_offset 4
		.amdhsa_reserve_vcc 0
		.amdhsa_reserve_flat_scratch 0
		.amdhsa_float_round_mode_32 0
		.amdhsa_float_round_mode_16_64 0
		.amdhsa_float_denorm_mode_32 3
		.amdhsa_float_denorm_mode_16_64 3
		.amdhsa_dx10_clamp 1
		.amdhsa_ieee_mode 1
		.amdhsa_fp16_overflow 0
		.amdhsa_tg_split 0
		.amdhsa_exception_fp_ieee_invalid_op 0
		.amdhsa_exception_fp_denorm_src 0
		.amdhsa_exception_fp_ieee_div_zero 0
		.amdhsa_exception_fp_ieee_overflow 0
		.amdhsa_exception_fp_ieee_underflow 0
		.amdhsa_exception_fp_ieee_inexact 0
		.amdhsa_exception_int_div_zero 0
	.end_amdhsa_kernel
	.section	.text._ZN7rocprim17ROCPRIM_400000_NS6detail17trampoline_kernelINS0_14default_configENS1_22reduce_config_selectorIN6thrust23THRUST_200600_302600_NS5tupleIblNS6_9null_typeES8_S8_S8_S8_S8_S8_S8_EEEEZNS1_11reduce_implILb1ES3_PS9_SC_S9_NS6_11hip_rocprim9__find_if7functorIS9_EEEE10hipError_tPvRmT1_T2_T3_mT4_P12ihipStream_tbEUlT_E1_NS1_11comp_targetILNS1_3genE8ELNS1_11target_archE1030ELNS1_3gpuE2ELNS1_3repE0EEENS1_30default_config_static_selectorELNS0_4arch9wavefront6targetE1EEEvSK_,"axG",@progbits,_ZN7rocprim17ROCPRIM_400000_NS6detail17trampoline_kernelINS0_14default_configENS1_22reduce_config_selectorIN6thrust23THRUST_200600_302600_NS5tupleIblNS6_9null_typeES8_S8_S8_S8_S8_S8_S8_EEEEZNS1_11reduce_implILb1ES3_PS9_SC_S9_NS6_11hip_rocprim9__find_if7functorIS9_EEEE10hipError_tPvRmT1_T2_T3_mT4_P12ihipStream_tbEUlT_E1_NS1_11comp_targetILNS1_3genE8ELNS1_11target_archE1030ELNS1_3gpuE2ELNS1_3repE0EEENS1_30default_config_static_selectorELNS0_4arch9wavefront6targetE1EEEvSK_,comdat
.Lfunc_end53:
	.size	_ZN7rocprim17ROCPRIM_400000_NS6detail17trampoline_kernelINS0_14default_configENS1_22reduce_config_selectorIN6thrust23THRUST_200600_302600_NS5tupleIblNS6_9null_typeES8_S8_S8_S8_S8_S8_S8_EEEEZNS1_11reduce_implILb1ES3_PS9_SC_S9_NS6_11hip_rocprim9__find_if7functorIS9_EEEE10hipError_tPvRmT1_T2_T3_mT4_P12ihipStream_tbEUlT_E1_NS1_11comp_targetILNS1_3genE8ELNS1_11target_archE1030ELNS1_3gpuE2ELNS1_3repE0EEENS1_30default_config_static_selectorELNS0_4arch9wavefront6targetE1EEEvSK_, .Lfunc_end53-_ZN7rocprim17ROCPRIM_400000_NS6detail17trampoline_kernelINS0_14default_configENS1_22reduce_config_selectorIN6thrust23THRUST_200600_302600_NS5tupleIblNS6_9null_typeES8_S8_S8_S8_S8_S8_S8_EEEEZNS1_11reduce_implILb1ES3_PS9_SC_S9_NS6_11hip_rocprim9__find_if7functorIS9_EEEE10hipError_tPvRmT1_T2_T3_mT4_P12ihipStream_tbEUlT_E1_NS1_11comp_targetILNS1_3genE8ELNS1_11target_archE1030ELNS1_3gpuE2ELNS1_3repE0EEENS1_30default_config_static_selectorELNS0_4arch9wavefront6targetE1EEEvSK_
                                        ; -- End function
	.section	.AMDGPU.csdata,"",@progbits
; Kernel info:
; codeLenInByte = 0
; NumSgprs: 4
; NumVgprs: 0
; NumAgprs: 0
; TotalNumVgprs: 0
; ScratchSize: 0
; MemoryBound: 0
; FloatMode: 240
; IeeeMode: 1
; LDSByteSize: 0 bytes/workgroup (compile time only)
; SGPRBlocks: 0
; VGPRBlocks: 0
; NumSGPRsForWavesPerEU: 4
; NumVGPRsForWavesPerEU: 1
; AccumOffset: 4
; Occupancy: 8
; WaveLimiterHint : 0
; COMPUTE_PGM_RSRC2:SCRATCH_EN: 0
; COMPUTE_PGM_RSRC2:USER_SGPR: 6
; COMPUTE_PGM_RSRC2:TRAP_HANDLER: 0
; COMPUTE_PGM_RSRC2:TGID_X_EN: 1
; COMPUTE_PGM_RSRC2:TGID_Y_EN: 0
; COMPUTE_PGM_RSRC2:TGID_Z_EN: 0
; COMPUTE_PGM_RSRC2:TIDIG_COMP_CNT: 0
; COMPUTE_PGM_RSRC3_GFX90A:ACCUM_OFFSET: 0
; COMPUTE_PGM_RSRC3_GFX90A:TG_SPLIT: 0
	.section	.text._ZN7rocprim17ROCPRIM_400000_NS6detail17trampoline_kernelINS0_14default_configENS1_22reduce_config_selectorIN6thrust23THRUST_200600_302600_NS5tupleIblNS6_9null_typeES8_S8_S8_S8_S8_S8_S8_EEEEZNS1_11reduce_implILb1ES3_NS6_12zip_iteratorINS7_INS6_11hip_rocprim26transform_input_iterator_tIbPKhN2at6native10EqualsModeEEENSD_19counting_iterator_tIlEES8_S8_S8_S8_S8_S8_S8_S8_EEEEPS9_S9_NSD_9__find_if7functorIS9_EEEE10hipError_tPvRmT1_T2_T3_mT4_P12ihipStream_tbEUlT_E0_NS1_11comp_targetILNS1_3genE0ELNS1_11target_archE4294967295ELNS1_3gpuE0ELNS1_3repE0EEENS1_30default_config_static_selectorELNS0_4arch9wavefront6targetE1EEEvSW_,"axG",@progbits,_ZN7rocprim17ROCPRIM_400000_NS6detail17trampoline_kernelINS0_14default_configENS1_22reduce_config_selectorIN6thrust23THRUST_200600_302600_NS5tupleIblNS6_9null_typeES8_S8_S8_S8_S8_S8_S8_EEEEZNS1_11reduce_implILb1ES3_NS6_12zip_iteratorINS7_INS6_11hip_rocprim26transform_input_iterator_tIbPKhN2at6native10EqualsModeEEENSD_19counting_iterator_tIlEES8_S8_S8_S8_S8_S8_S8_S8_EEEEPS9_S9_NSD_9__find_if7functorIS9_EEEE10hipError_tPvRmT1_T2_T3_mT4_P12ihipStream_tbEUlT_E0_NS1_11comp_targetILNS1_3genE0ELNS1_11target_archE4294967295ELNS1_3gpuE0ELNS1_3repE0EEENS1_30default_config_static_selectorELNS0_4arch9wavefront6targetE1EEEvSW_,comdat
	.protected	_ZN7rocprim17ROCPRIM_400000_NS6detail17trampoline_kernelINS0_14default_configENS1_22reduce_config_selectorIN6thrust23THRUST_200600_302600_NS5tupleIblNS6_9null_typeES8_S8_S8_S8_S8_S8_S8_EEEEZNS1_11reduce_implILb1ES3_NS6_12zip_iteratorINS7_INS6_11hip_rocprim26transform_input_iterator_tIbPKhN2at6native10EqualsModeEEENSD_19counting_iterator_tIlEES8_S8_S8_S8_S8_S8_S8_S8_EEEEPS9_S9_NSD_9__find_if7functorIS9_EEEE10hipError_tPvRmT1_T2_T3_mT4_P12ihipStream_tbEUlT_E0_NS1_11comp_targetILNS1_3genE0ELNS1_11target_archE4294967295ELNS1_3gpuE0ELNS1_3repE0EEENS1_30default_config_static_selectorELNS0_4arch9wavefront6targetE1EEEvSW_ ; -- Begin function _ZN7rocprim17ROCPRIM_400000_NS6detail17trampoline_kernelINS0_14default_configENS1_22reduce_config_selectorIN6thrust23THRUST_200600_302600_NS5tupleIblNS6_9null_typeES8_S8_S8_S8_S8_S8_S8_EEEEZNS1_11reduce_implILb1ES3_NS6_12zip_iteratorINS7_INS6_11hip_rocprim26transform_input_iterator_tIbPKhN2at6native10EqualsModeEEENSD_19counting_iterator_tIlEES8_S8_S8_S8_S8_S8_S8_S8_EEEEPS9_S9_NSD_9__find_if7functorIS9_EEEE10hipError_tPvRmT1_T2_T3_mT4_P12ihipStream_tbEUlT_E0_NS1_11comp_targetILNS1_3genE0ELNS1_11target_archE4294967295ELNS1_3gpuE0ELNS1_3repE0EEENS1_30default_config_static_selectorELNS0_4arch9wavefront6targetE1EEEvSW_
	.globl	_ZN7rocprim17ROCPRIM_400000_NS6detail17trampoline_kernelINS0_14default_configENS1_22reduce_config_selectorIN6thrust23THRUST_200600_302600_NS5tupleIblNS6_9null_typeES8_S8_S8_S8_S8_S8_S8_EEEEZNS1_11reduce_implILb1ES3_NS6_12zip_iteratorINS7_INS6_11hip_rocprim26transform_input_iterator_tIbPKhN2at6native10EqualsModeEEENSD_19counting_iterator_tIlEES8_S8_S8_S8_S8_S8_S8_S8_EEEEPS9_S9_NSD_9__find_if7functorIS9_EEEE10hipError_tPvRmT1_T2_T3_mT4_P12ihipStream_tbEUlT_E0_NS1_11comp_targetILNS1_3genE0ELNS1_11target_archE4294967295ELNS1_3gpuE0ELNS1_3repE0EEENS1_30default_config_static_selectorELNS0_4arch9wavefront6targetE1EEEvSW_
	.p2align	8
	.type	_ZN7rocprim17ROCPRIM_400000_NS6detail17trampoline_kernelINS0_14default_configENS1_22reduce_config_selectorIN6thrust23THRUST_200600_302600_NS5tupleIblNS6_9null_typeES8_S8_S8_S8_S8_S8_S8_EEEEZNS1_11reduce_implILb1ES3_NS6_12zip_iteratorINS7_INS6_11hip_rocprim26transform_input_iterator_tIbPKhN2at6native10EqualsModeEEENSD_19counting_iterator_tIlEES8_S8_S8_S8_S8_S8_S8_S8_EEEEPS9_S9_NSD_9__find_if7functorIS9_EEEE10hipError_tPvRmT1_T2_T3_mT4_P12ihipStream_tbEUlT_E0_NS1_11comp_targetILNS1_3genE0ELNS1_11target_archE4294967295ELNS1_3gpuE0ELNS1_3repE0EEENS1_30default_config_static_selectorELNS0_4arch9wavefront6targetE1EEEvSW_,@function
_ZN7rocprim17ROCPRIM_400000_NS6detail17trampoline_kernelINS0_14default_configENS1_22reduce_config_selectorIN6thrust23THRUST_200600_302600_NS5tupleIblNS6_9null_typeES8_S8_S8_S8_S8_S8_S8_EEEEZNS1_11reduce_implILb1ES3_NS6_12zip_iteratorINS7_INS6_11hip_rocprim26transform_input_iterator_tIbPKhN2at6native10EqualsModeEEENSD_19counting_iterator_tIlEES8_S8_S8_S8_S8_S8_S8_S8_EEEEPS9_S9_NSD_9__find_if7functorIS9_EEEE10hipError_tPvRmT1_T2_T3_mT4_P12ihipStream_tbEUlT_E0_NS1_11comp_targetILNS1_3genE0ELNS1_11target_archE4294967295ELNS1_3gpuE0ELNS1_3repE0EEENS1_30default_config_static_selectorELNS0_4arch9wavefront6targetE1EEEvSW_: ; @_ZN7rocprim17ROCPRIM_400000_NS6detail17trampoline_kernelINS0_14default_configENS1_22reduce_config_selectorIN6thrust23THRUST_200600_302600_NS5tupleIblNS6_9null_typeES8_S8_S8_S8_S8_S8_S8_EEEEZNS1_11reduce_implILb1ES3_NS6_12zip_iteratorINS7_INS6_11hip_rocprim26transform_input_iterator_tIbPKhN2at6native10EqualsModeEEENSD_19counting_iterator_tIlEES8_S8_S8_S8_S8_S8_S8_S8_EEEEPS9_S9_NSD_9__find_if7functorIS9_EEEE10hipError_tPvRmT1_T2_T3_mT4_P12ihipStream_tbEUlT_E0_NS1_11comp_targetILNS1_3genE0ELNS1_11target_archE4294967295ELNS1_3gpuE0ELNS1_3repE0EEENS1_30default_config_static_selectorELNS0_4arch9wavefront6targetE1EEEvSW_
; %bb.0:
	.section	.rodata,"a",@progbits
	.p2align	6, 0x0
	.amdhsa_kernel _ZN7rocprim17ROCPRIM_400000_NS6detail17trampoline_kernelINS0_14default_configENS1_22reduce_config_selectorIN6thrust23THRUST_200600_302600_NS5tupleIblNS6_9null_typeES8_S8_S8_S8_S8_S8_S8_EEEEZNS1_11reduce_implILb1ES3_NS6_12zip_iteratorINS7_INS6_11hip_rocprim26transform_input_iterator_tIbPKhN2at6native10EqualsModeEEENSD_19counting_iterator_tIlEES8_S8_S8_S8_S8_S8_S8_S8_EEEEPS9_S9_NSD_9__find_if7functorIS9_EEEE10hipError_tPvRmT1_T2_T3_mT4_P12ihipStream_tbEUlT_E0_NS1_11comp_targetILNS1_3genE0ELNS1_11target_archE4294967295ELNS1_3gpuE0ELNS1_3repE0EEENS1_30default_config_static_selectorELNS0_4arch9wavefront6targetE1EEEvSW_
		.amdhsa_group_segment_fixed_size 0
		.amdhsa_private_segment_fixed_size 0
		.amdhsa_kernarg_size 88
		.amdhsa_user_sgpr_count 6
		.amdhsa_user_sgpr_private_segment_buffer 1
		.amdhsa_user_sgpr_dispatch_ptr 0
		.amdhsa_user_sgpr_queue_ptr 0
		.amdhsa_user_sgpr_kernarg_segment_ptr 1
		.amdhsa_user_sgpr_dispatch_id 0
		.amdhsa_user_sgpr_flat_scratch_init 0
		.amdhsa_user_sgpr_kernarg_preload_length 0
		.amdhsa_user_sgpr_kernarg_preload_offset 0
		.amdhsa_user_sgpr_private_segment_size 0
		.amdhsa_uses_dynamic_stack 0
		.amdhsa_system_sgpr_private_segment_wavefront_offset 0
		.amdhsa_system_sgpr_workgroup_id_x 1
		.amdhsa_system_sgpr_workgroup_id_y 0
		.amdhsa_system_sgpr_workgroup_id_z 0
		.amdhsa_system_sgpr_workgroup_info 0
		.amdhsa_system_vgpr_workitem_id 0
		.amdhsa_next_free_vgpr 1
		.amdhsa_next_free_sgpr 0
		.amdhsa_accum_offset 4
		.amdhsa_reserve_vcc 0
		.amdhsa_reserve_flat_scratch 0
		.amdhsa_float_round_mode_32 0
		.amdhsa_float_round_mode_16_64 0
		.amdhsa_float_denorm_mode_32 3
		.amdhsa_float_denorm_mode_16_64 3
		.amdhsa_dx10_clamp 1
		.amdhsa_ieee_mode 1
		.amdhsa_fp16_overflow 0
		.amdhsa_tg_split 0
		.amdhsa_exception_fp_ieee_invalid_op 0
		.amdhsa_exception_fp_denorm_src 0
		.amdhsa_exception_fp_ieee_div_zero 0
		.amdhsa_exception_fp_ieee_overflow 0
		.amdhsa_exception_fp_ieee_underflow 0
		.amdhsa_exception_fp_ieee_inexact 0
		.amdhsa_exception_int_div_zero 0
	.end_amdhsa_kernel
	.section	.text._ZN7rocprim17ROCPRIM_400000_NS6detail17trampoline_kernelINS0_14default_configENS1_22reduce_config_selectorIN6thrust23THRUST_200600_302600_NS5tupleIblNS6_9null_typeES8_S8_S8_S8_S8_S8_S8_EEEEZNS1_11reduce_implILb1ES3_NS6_12zip_iteratorINS7_INS6_11hip_rocprim26transform_input_iterator_tIbPKhN2at6native10EqualsModeEEENSD_19counting_iterator_tIlEES8_S8_S8_S8_S8_S8_S8_S8_EEEEPS9_S9_NSD_9__find_if7functorIS9_EEEE10hipError_tPvRmT1_T2_T3_mT4_P12ihipStream_tbEUlT_E0_NS1_11comp_targetILNS1_3genE0ELNS1_11target_archE4294967295ELNS1_3gpuE0ELNS1_3repE0EEENS1_30default_config_static_selectorELNS0_4arch9wavefront6targetE1EEEvSW_,"axG",@progbits,_ZN7rocprim17ROCPRIM_400000_NS6detail17trampoline_kernelINS0_14default_configENS1_22reduce_config_selectorIN6thrust23THRUST_200600_302600_NS5tupleIblNS6_9null_typeES8_S8_S8_S8_S8_S8_S8_EEEEZNS1_11reduce_implILb1ES3_NS6_12zip_iteratorINS7_INS6_11hip_rocprim26transform_input_iterator_tIbPKhN2at6native10EqualsModeEEENSD_19counting_iterator_tIlEES8_S8_S8_S8_S8_S8_S8_S8_EEEEPS9_S9_NSD_9__find_if7functorIS9_EEEE10hipError_tPvRmT1_T2_T3_mT4_P12ihipStream_tbEUlT_E0_NS1_11comp_targetILNS1_3genE0ELNS1_11target_archE4294967295ELNS1_3gpuE0ELNS1_3repE0EEENS1_30default_config_static_selectorELNS0_4arch9wavefront6targetE1EEEvSW_,comdat
.Lfunc_end54:
	.size	_ZN7rocprim17ROCPRIM_400000_NS6detail17trampoline_kernelINS0_14default_configENS1_22reduce_config_selectorIN6thrust23THRUST_200600_302600_NS5tupleIblNS6_9null_typeES8_S8_S8_S8_S8_S8_S8_EEEEZNS1_11reduce_implILb1ES3_NS6_12zip_iteratorINS7_INS6_11hip_rocprim26transform_input_iterator_tIbPKhN2at6native10EqualsModeEEENSD_19counting_iterator_tIlEES8_S8_S8_S8_S8_S8_S8_S8_EEEEPS9_S9_NSD_9__find_if7functorIS9_EEEE10hipError_tPvRmT1_T2_T3_mT4_P12ihipStream_tbEUlT_E0_NS1_11comp_targetILNS1_3genE0ELNS1_11target_archE4294967295ELNS1_3gpuE0ELNS1_3repE0EEENS1_30default_config_static_selectorELNS0_4arch9wavefront6targetE1EEEvSW_, .Lfunc_end54-_ZN7rocprim17ROCPRIM_400000_NS6detail17trampoline_kernelINS0_14default_configENS1_22reduce_config_selectorIN6thrust23THRUST_200600_302600_NS5tupleIblNS6_9null_typeES8_S8_S8_S8_S8_S8_S8_EEEEZNS1_11reduce_implILb1ES3_NS6_12zip_iteratorINS7_INS6_11hip_rocprim26transform_input_iterator_tIbPKhN2at6native10EqualsModeEEENSD_19counting_iterator_tIlEES8_S8_S8_S8_S8_S8_S8_S8_EEEEPS9_S9_NSD_9__find_if7functorIS9_EEEE10hipError_tPvRmT1_T2_T3_mT4_P12ihipStream_tbEUlT_E0_NS1_11comp_targetILNS1_3genE0ELNS1_11target_archE4294967295ELNS1_3gpuE0ELNS1_3repE0EEENS1_30default_config_static_selectorELNS0_4arch9wavefront6targetE1EEEvSW_
                                        ; -- End function
	.section	.AMDGPU.csdata,"",@progbits
; Kernel info:
; codeLenInByte = 0
; NumSgprs: 4
; NumVgprs: 0
; NumAgprs: 0
; TotalNumVgprs: 0
; ScratchSize: 0
; MemoryBound: 0
; FloatMode: 240
; IeeeMode: 1
; LDSByteSize: 0 bytes/workgroup (compile time only)
; SGPRBlocks: 0
; VGPRBlocks: 0
; NumSGPRsForWavesPerEU: 4
; NumVGPRsForWavesPerEU: 1
; AccumOffset: 4
; Occupancy: 8
; WaveLimiterHint : 0
; COMPUTE_PGM_RSRC2:SCRATCH_EN: 0
; COMPUTE_PGM_RSRC2:USER_SGPR: 6
; COMPUTE_PGM_RSRC2:TRAP_HANDLER: 0
; COMPUTE_PGM_RSRC2:TGID_X_EN: 1
; COMPUTE_PGM_RSRC2:TGID_Y_EN: 0
; COMPUTE_PGM_RSRC2:TGID_Z_EN: 0
; COMPUTE_PGM_RSRC2:TIDIG_COMP_CNT: 0
; COMPUTE_PGM_RSRC3_GFX90A:ACCUM_OFFSET: 0
; COMPUTE_PGM_RSRC3_GFX90A:TG_SPLIT: 0
	.section	.text._ZN7rocprim17ROCPRIM_400000_NS6detail17trampoline_kernelINS0_14default_configENS1_22reduce_config_selectorIN6thrust23THRUST_200600_302600_NS5tupleIblNS6_9null_typeES8_S8_S8_S8_S8_S8_S8_EEEEZNS1_11reduce_implILb1ES3_NS6_12zip_iteratorINS7_INS6_11hip_rocprim26transform_input_iterator_tIbPKhN2at6native10EqualsModeEEENSD_19counting_iterator_tIlEES8_S8_S8_S8_S8_S8_S8_S8_EEEEPS9_S9_NSD_9__find_if7functorIS9_EEEE10hipError_tPvRmT1_T2_T3_mT4_P12ihipStream_tbEUlT_E0_NS1_11comp_targetILNS1_3genE5ELNS1_11target_archE942ELNS1_3gpuE9ELNS1_3repE0EEENS1_30default_config_static_selectorELNS0_4arch9wavefront6targetE1EEEvSW_,"axG",@progbits,_ZN7rocprim17ROCPRIM_400000_NS6detail17trampoline_kernelINS0_14default_configENS1_22reduce_config_selectorIN6thrust23THRUST_200600_302600_NS5tupleIblNS6_9null_typeES8_S8_S8_S8_S8_S8_S8_EEEEZNS1_11reduce_implILb1ES3_NS6_12zip_iteratorINS7_INS6_11hip_rocprim26transform_input_iterator_tIbPKhN2at6native10EqualsModeEEENSD_19counting_iterator_tIlEES8_S8_S8_S8_S8_S8_S8_S8_EEEEPS9_S9_NSD_9__find_if7functorIS9_EEEE10hipError_tPvRmT1_T2_T3_mT4_P12ihipStream_tbEUlT_E0_NS1_11comp_targetILNS1_3genE5ELNS1_11target_archE942ELNS1_3gpuE9ELNS1_3repE0EEENS1_30default_config_static_selectorELNS0_4arch9wavefront6targetE1EEEvSW_,comdat
	.protected	_ZN7rocprim17ROCPRIM_400000_NS6detail17trampoline_kernelINS0_14default_configENS1_22reduce_config_selectorIN6thrust23THRUST_200600_302600_NS5tupleIblNS6_9null_typeES8_S8_S8_S8_S8_S8_S8_EEEEZNS1_11reduce_implILb1ES3_NS6_12zip_iteratorINS7_INS6_11hip_rocprim26transform_input_iterator_tIbPKhN2at6native10EqualsModeEEENSD_19counting_iterator_tIlEES8_S8_S8_S8_S8_S8_S8_S8_EEEEPS9_S9_NSD_9__find_if7functorIS9_EEEE10hipError_tPvRmT1_T2_T3_mT4_P12ihipStream_tbEUlT_E0_NS1_11comp_targetILNS1_3genE5ELNS1_11target_archE942ELNS1_3gpuE9ELNS1_3repE0EEENS1_30default_config_static_selectorELNS0_4arch9wavefront6targetE1EEEvSW_ ; -- Begin function _ZN7rocprim17ROCPRIM_400000_NS6detail17trampoline_kernelINS0_14default_configENS1_22reduce_config_selectorIN6thrust23THRUST_200600_302600_NS5tupleIblNS6_9null_typeES8_S8_S8_S8_S8_S8_S8_EEEEZNS1_11reduce_implILb1ES3_NS6_12zip_iteratorINS7_INS6_11hip_rocprim26transform_input_iterator_tIbPKhN2at6native10EqualsModeEEENSD_19counting_iterator_tIlEES8_S8_S8_S8_S8_S8_S8_S8_EEEEPS9_S9_NSD_9__find_if7functorIS9_EEEE10hipError_tPvRmT1_T2_T3_mT4_P12ihipStream_tbEUlT_E0_NS1_11comp_targetILNS1_3genE5ELNS1_11target_archE942ELNS1_3gpuE9ELNS1_3repE0EEENS1_30default_config_static_selectorELNS0_4arch9wavefront6targetE1EEEvSW_
	.globl	_ZN7rocprim17ROCPRIM_400000_NS6detail17trampoline_kernelINS0_14default_configENS1_22reduce_config_selectorIN6thrust23THRUST_200600_302600_NS5tupleIblNS6_9null_typeES8_S8_S8_S8_S8_S8_S8_EEEEZNS1_11reduce_implILb1ES3_NS6_12zip_iteratorINS7_INS6_11hip_rocprim26transform_input_iterator_tIbPKhN2at6native10EqualsModeEEENSD_19counting_iterator_tIlEES8_S8_S8_S8_S8_S8_S8_S8_EEEEPS9_S9_NSD_9__find_if7functorIS9_EEEE10hipError_tPvRmT1_T2_T3_mT4_P12ihipStream_tbEUlT_E0_NS1_11comp_targetILNS1_3genE5ELNS1_11target_archE942ELNS1_3gpuE9ELNS1_3repE0EEENS1_30default_config_static_selectorELNS0_4arch9wavefront6targetE1EEEvSW_
	.p2align	8
	.type	_ZN7rocprim17ROCPRIM_400000_NS6detail17trampoline_kernelINS0_14default_configENS1_22reduce_config_selectorIN6thrust23THRUST_200600_302600_NS5tupleIblNS6_9null_typeES8_S8_S8_S8_S8_S8_S8_EEEEZNS1_11reduce_implILb1ES3_NS6_12zip_iteratorINS7_INS6_11hip_rocprim26transform_input_iterator_tIbPKhN2at6native10EqualsModeEEENSD_19counting_iterator_tIlEES8_S8_S8_S8_S8_S8_S8_S8_EEEEPS9_S9_NSD_9__find_if7functorIS9_EEEE10hipError_tPvRmT1_T2_T3_mT4_P12ihipStream_tbEUlT_E0_NS1_11comp_targetILNS1_3genE5ELNS1_11target_archE942ELNS1_3gpuE9ELNS1_3repE0EEENS1_30default_config_static_selectorELNS0_4arch9wavefront6targetE1EEEvSW_,@function
_ZN7rocprim17ROCPRIM_400000_NS6detail17trampoline_kernelINS0_14default_configENS1_22reduce_config_selectorIN6thrust23THRUST_200600_302600_NS5tupleIblNS6_9null_typeES8_S8_S8_S8_S8_S8_S8_EEEEZNS1_11reduce_implILb1ES3_NS6_12zip_iteratorINS7_INS6_11hip_rocprim26transform_input_iterator_tIbPKhN2at6native10EqualsModeEEENSD_19counting_iterator_tIlEES8_S8_S8_S8_S8_S8_S8_S8_EEEEPS9_S9_NSD_9__find_if7functorIS9_EEEE10hipError_tPvRmT1_T2_T3_mT4_P12ihipStream_tbEUlT_E0_NS1_11comp_targetILNS1_3genE5ELNS1_11target_archE942ELNS1_3gpuE9ELNS1_3repE0EEENS1_30default_config_static_selectorELNS0_4arch9wavefront6targetE1EEEvSW_: ; @_ZN7rocprim17ROCPRIM_400000_NS6detail17trampoline_kernelINS0_14default_configENS1_22reduce_config_selectorIN6thrust23THRUST_200600_302600_NS5tupleIblNS6_9null_typeES8_S8_S8_S8_S8_S8_S8_EEEEZNS1_11reduce_implILb1ES3_NS6_12zip_iteratorINS7_INS6_11hip_rocprim26transform_input_iterator_tIbPKhN2at6native10EqualsModeEEENSD_19counting_iterator_tIlEES8_S8_S8_S8_S8_S8_S8_S8_EEEEPS9_S9_NSD_9__find_if7functorIS9_EEEE10hipError_tPvRmT1_T2_T3_mT4_P12ihipStream_tbEUlT_E0_NS1_11comp_targetILNS1_3genE5ELNS1_11target_archE942ELNS1_3gpuE9ELNS1_3repE0EEENS1_30default_config_static_selectorELNS0_4arch9wavefront6targetE1EEEvSW_
; %bb.0:
	.section	.rodata,"a",@progbits
	.p2align	6, 0x0
	.amdhsa_kernel _ZN7rocprim17ROCPRIM_400000_NS6detail17trampoline_kernelINS0_14default_configENS1_22reduce_config_selectorIN6thrust23THRUST_200600_302600_NS5tupleIblNS6_9null_typeES8_S8_S8_S8_S8_S8_S8_EEEEZNS1_11reduce_implILb1ES3_NS6_12zip_iteratorINS7_INS6_11hip_rocprim26transform_input_iterator_tIbPKhN2at6native10EqualsModeEEENSD_19counting_iterator_tIlEES8_S8_S8_S8_S8_S8_S8_S8_EEEEPS9_S9_NSD_9__find_if7functorIS9_EEEE10hipError_tPvRmT1_T2_T3_mT4_P12ihipStream_tbEUlT_E0_NS1_11comp_targetILNS1_3genE5ELNS1_11target_archE942ELNS1_3gpuE9ELNS1_3repE0EEENS1_30default_config_static_selectorELNS0_4arch9wavefront6targetE1EEEvSW_
		.amdhsa_group_segment_fixed_size 0
		.amdhsa_private_segment_fixed_size 0
		.amdhsa_kernarg_size 88
		.amdhsa_user_sgpr_count 6
		.amdhsa_user_sgpr_private_segment_buffer 1
		.amdhsa_user_sgpr_dispatch_ptr 0
		.amdhsa_user_sgpr_queue_ptr 0
		.amdhsa_user_sgpr_kernarg_segment_ptr 1
		.amdhsa_user_sgpr_dispatch_id 0
		.amdhsa_user_sgpr_flat_scratch_init 0
		.amdhsa_user_sgpr_kernarg_preload_length 0
		.amdhsa_user_sgpr_kernarg_preload_offset 0
		.amdhsa_user_sgpr_private_segment_size 0
		.amdhsa_uses_dynamic_stack 0
		.amdhsa_system_sgpr_private_segment_wavefront_offset 0
		.amdhsa_system_sgpr_workgroup_id_x 1
		.amdhsa_system_sgpr_workgroup_id_y 0
		.amdhsa_system_sgpr_workgroup_id_z 0
		.amdhsa_system_sgpr_workgroup_info 0
		.amdhsa_system_vgpr_workitem_id 0
		.amdhsa_next_free_vgpr 1
		.amdhsa_next_free_sgpr 0
		.amdhsa_accum_offset 4
		.amdhsa_reserve_vcc 0
		.amdhsa_reserve_flat_scratch 0
		.amdhsa_float_round_mode_32 0
		.amdhsa_float_round_mode_16_64 0
		.amdhsa_float_denorm_mode_32 3
		.amdhsa_float_denorm_mode_16_64 3
		.amdhsa_dx10_clamp 1
		.amdhsa_ieee_mode 1
		.amdhsa_fp16_overflow 0
		.amdhsa_tg_split 0
		.amdhsa_exception_fp_ieee_invalid_op 0
		.amdhsa_exception_fp_denorm_src 0
		.amdhsa_exception_fp_ieee_div_zero 0
		.amdhsa_exception_fp_ieee_overflow 0
		.amdhsa_exception_fp_ieee_underflow 0
		.amdhsa_exception_fp_ieee_inexact 0
		.amdhsa_exception_int_div_zero 0
	.end_amdhsa_kernel
	.section	.text._ZN7rocprim17ROCPRIM_400000_NS6detail17trampoline_kernelINS0_14default_configENS1_22reduce_config_selectorIN6thrust23THRUST_200600_302600_NS5tupleIblNS6_9null_typeES8_S8_S8_S8_S8_S8_S8_EEEEZNS1_11reduce_implILb1ES3_NS6_12zip_iteratorINS7_INS6_11hip_rocprim26transform_input_iterator_tIbPKhN2at6native10EqualsModeEEENSD_19counting_iterator_tIlEES8_S8_S8_S8_S8_S8_S8_S8_EEEEPS9_S9_NSD_9__find_if7functorIS9_EEEE10hipError_tPvRmT1_T2_T3_mT4_P12ihipStream_tbEUlT_E0_NS1_11comp_targetILNS1_3genE5ELNS1_11target_archE942ELNS1_3gpuE9ELNS1_3repE0EEENS1_30default_config_static_selectorELNS0_4arch9wavefront6targetE1EEEvSW_,"axG",@progbits,_ZN7rocprim17ROCPRIM_400000_NS6detail17trampoline_kernelINS0_14default_configENS1_22reduce_config_selectorIN6thrust23THRUST_200600_302600_NS5tupleIblNS6_9null_typeES8_S8_S8_S8_S8_S8_S8_EEEEZNS1_11reduce_implILb1ES3_NS6_12zip_iteratorINS7_INS6_11hip_rocprim26transform_input_iterator_tIbPKhN2at6native10EqualsModeEEENSD_19counting_iterator_tIlEES8_S8_S8_S8_S8_S8_S8_S8_EEEEPS9_S9_NSD_9__find_if7functorIS9_EEEE10hipError_tPvRmT1_T2_T3_mT4_P12ihipStream_tbEUlT_E0_NS1_11comp_targetILNS1_3genE5ELNS1_11target_archE942ELNS1_3gpuE9ELNS1_3repE0EEENS1_30default_config_static_selectorELNS0_4arch9wavefront6targetE1EEEvSW_,comdat
.Lfunc_end55:
	.size	_ZN7rocprim17ROCPRIM_400000_NS6detail17trampoline_kernelINS0_14default_configENS1_22reduce_config_selectorIN6thrust23THRUST_200600_302600_NS5tupleIblNS6_9null_typeES8_S8_S8_S8_S8_S8_S8_EEEEZNS1_11reduce_implILb1ES3_NS6_12zip_iteratorINS7_INS6_11hip_rocprim26transform_input_iterator_tIbPKhN2at6native10EqualsModeEEENSD_19counting_iterator_tIlEES8_S8_S8_S8_S8_S8_S8_S8_EEEEPS9_S9_NSD_9__find_if7functorIS9_EEEE10hipError_tPvRmT1_T2_T3_mT4_P12ihipStream_tbEUlT_E0_NS1_11comp_targetILNS1_3genE5ELNS1_11target_archE942ELNS1_3gpuE9ELNS1_3repE0EEENS1_30default_config_static_selectorELNS0_4arch9wavefront6targetE1EEEvSW_, .Lfunc_end55-_ZN7rocprim17ROCPRIM_400000_NS6detail17trampoline_kernelINS0_14default_configENS1_22reduce_config_selectorIN6thrust23THRUST_200600_302600_NS5tupleIblNS6_9null_typeES8_S8_S8_S8_S8_S8_S8_EEEEZNS1_11reduce_implILb1ES3_NS6_12zip_iteratorINS7_INS6_11hip_rocprim26transform_input_iterator_tIbPKhN2at6native10EqualsModeEEENSD_19counting_iterator_tIlEES8_S8_S8_S8_S8_S8_S8_S8_EEEEPS9_S9_NSD_9__find_if7functorIS9_EEEE10hipError_tPvRmT1_T2_T3_mT4_P12ihipStream_tbEUlT_E0_NS1_11comp_targetILNS1_3genE5ELNS1_11target_archE942ELNS1_3gpuE9ELNS1_3repE0EEENS1_30default_config_static_selectorELNS0_4arch9wavefront6targetE1EEEvSW_
                                        ; -- End function
	.section	.AMDGPU.csdata,"",@progbits
; Kernel info:
; codeLenInByte = 0
; NumSgprs: 4
; NumVgprs: 0
; NumAgprs: 0
; TotalNumVgprs: 0
; ScratchSize: 0
; MemoryBound: 0
; FloatMode: 240
; IeeeMode: 1
; LDSByteSize: 0 bytes/workgroup (compile time only)
; SGPRBlocks: 0
; VGPRBlocks: 0
; NumSGPRsForWavesPerEU: 4
; NumVGPRsForWavesPerEU: 1
; AccumOffset: 4
; Occupancy: 8
; WaveLimiterHint : 0
; COMPUTE_PGM_RSRC2:SCRATCH_EN: 0
; COMPUTE_PGM_RSRC2:USER_SGPR: 6
; COMPUTE_PGM_RSRC2:TRAP_HANDLER: 0
; COMPUTE_PGM_RSRC2:TGID_X_EN: 1
; COMPUTE_PGM_RSRC2:TGID_Y_EN: 0
; COMPUTE_PGM_RSRC2:TGID_Z_EN: 0
; COMPUTE_PGM_RSRC2:TIDIG_COMP_CNT: 0
; COMPUTE_PGM_RSRC3_GFX90A:ACCUM_OFFSET: 0
; COMPUTE_PGM_RSRC3_GFX90A:TG_SPLIT: 0
	.section	.text._ZN7rocprim17ROCPRIM_400000_NS6detail17trampoline_kernelINS0_14default_configENS1_22reduce_config_selectorIN6thrust23THRUST_200600_302600_NS5tupleIblNS6_9null_typeES8_S8_S8_S8_S8_S8_S8_EEEEZNS1_11reduce_implILb1ES3_NS6_12zip_iteratorINS7_INS6_11hip_rocprim26transform_input_iterator_tIbPKhN2at6native10EqualsModeEEENSD_19counting_iterator_tIlEES8_S8_S8_S8_S8_S8_S8_S8_EEEEPS9_S9_NSD_9__find_if7functorIS9_EEEE10hipError_tPvRmT1_T2_T3_mT4_P12ihipStream_tbEUlT_E0_NS1_11comp_targetILNS1_3genE4ELNS1_11target_archE910ELNS1_3gpuE8ELNS1_3repE0EEENS1_30default_config_static_selectorELNS0_4arch9wavefront6targetE1EEEvSW_,"axG",@progbits,_ZN7rocprim17ROCPRIM_400000_NS6detail17trampoline_kernelINS0_14default_configENS1_22reduce_config_selectorIN6thrust23THRUST_200600_302600_NS5tupleIblNS6_9null_typeES8_S8_S8_S8_S8_S8_S8_EEEEZNS1_11reduce_implILb1ES3_NS6_12zip_iteratorINS7_INS6_11hip_rocprim26transform_input_iterator_tIbPKhN2at6native10EqualsModeEEENSD_19counting_iterator_tIlEES8_S8_S8_S8_S8_S8_S8_S8_EEEEPS9_S9_NSD_9__find_if7functorIS9_EEEE10hipError_tPvRmT1_T2_T3_mT4_P12ihipStream_tbEUlT_E0_NS1_11comp_targetILNS1_3genE4ELNS1_11target_archE910ELNS1_3gpuE8ELNS1_3repE0EEENS1_30default_config_static_selectorELNS0_4arch9wavefront6targetE1EEEvSW_,comdat
	.protected	_ZN7rocprim17ROCPRIM_400000_NS6detail17trampoline_kernelINS0_14default_configENS1_22reduce_config_selectorIN6thrust23THRUST_200600_302600_NS5tupleIblNS6_9null_typeES8_S8_S8_S8_S8_S8_S8_EEEEZNS1_11reduce_implILb1ES3_NS6_12zip_iteratorINS7_INS6_11hip_rocprim26transform_input_iterator_tIbPKhN2at6native10EqualsModeEEENSD_19counting_iterator_tIlEES8_S8_S8_S8_S8_S8_S8_S8_EEEEPS9_S9_NSD_9__find_if7functorIS9_EEEE10hipError_tPvRmT1_T2_T3_mT4_P12ihipStream_tbEUlT_E0_NS1_11comp_targetILNS1_3genE4ELNS1_11target_archE910ELNS1_3gpuE8ELNS1_3repE0EEENS1_30default_config_static_selectorELNS0_4arch9wavefront6targetE1EEEvSW_ ; -- Begin function _ZN7rocprim17ROCPRIM_400000_NS6detail17trampoline_kernelINS0_14default_configENS1_22reduce_config_selectorIN6thrust23THRUST_200600_302600_NS5tupleIblNS6_9null_typeES8_S8_S8_S8_S8_S8_S8_EEEEZNS1_11reduce_implILb1ES3_NS6_12zip_iteratorINS7_INS6_11hip_rocprim26transform_input_iterator_tIbPKhN2at6native10EqualsModeEEENSD_19counting_iterator_tIlEES8_S8_S8_S8_S8_S8_S8_S8_EEEEPS9_S9_NSD_9__find_if7functorIS9_EEEE10hipError_tPvRmT1_T2_T3_mT4_P12ihipStream_tbEUlT_E0_NS1_11comp_targetILNS1_3genE4ELNS1_11target_archE910ELNS1_3gpuE8ELNS1_3repE0EEENS1_30default_config_static_selectorELNS0_4arch9wavefront6targetE1EEEvSW_
	.globl	_ZN7rocprim17ROCPRIM_400000_NS6detail17trampoline_kernelINS0_14default_configENS1_22reduce_config_selectorIN6thrust23THRUST_200600_302600_NS5tupleIblNS6_9null_typeES8_S8_S8_S8_S8_S8_S8_EEEEZNS1_11reduce_implILb1ES3_NS6_12zip_iteratorINS7_INS6_11hip_rocprim26transform_input_iterator_tIbPKhN2at6native10EqualsModeEEENSD_19counting_iterator_tIlEES8_S8_S8_S8_S8_S8_S8_S8_EEEEPS9_S9_NSD_9__find_if7functorIS9_EEEE10hipError_tPvRmT1_T2_T3_mT4_P12ihipStream_tbEUlT_E0_NS1_11comp_targetILNS1_3genE4ELNS1_11target_archE910ELNS1_3gpuE8ELNS1_3repE0EEENS1_30default_config_static_selectorELNS0_4arch9wavefront6targetE1EEEvSW_
	.p2align	8
	.type	_ZN7rocprim17ROCPRIM_400000_NS6detail17trampoline_kernelINS0_14default_configENS1_22reduce_config_selectorIN6thrust23THRUST_200600_302600_NS5tupleIblNS6_9null_typeES8_S8_S8_S8_S8_S8_S8_EEEEZNS1_11reduce_implILb1ES3_NS6_12zip_iteratorINS7_INS6_11hip_rocprim26transform_input_iterator_tIbPKhN2at6native10EqualsModeEEENSD_19counting_iterator_tIlEES8_S8_S8_S8_S8_S8_S8_S8_EEEEPS9_S9_NSD_9__find_if7functorIS9_EEEE10hipError_tPvRmT1_T2_T3_mT4_P12ihipStream_tbEUlT_E0_NS1_11comp_targetILNS1_3genE4ELNS1_11target_archE910ELNS1_3gpuE8ELNS1_3repE0EEENS1_30default_config_static_selectorELNS0_4arch9wavefront6targetE1EEEvSW_,@function
_ZN7rocprim17ROCPRIM_400000_NS6detail17trampoline_kernelINS0_14default_configENS1_22reduce_config_selectorIN6thrust23THRUST_200600_302600_NS5tupleIblNS6_9null_typeES8_S8_S8_S8_S8_S8_S8_EEEEZNS1_11reduce_implILb1ES3_NS6_12zip_iteratorINS7_INS6_11hip_rocprim26transform_input_iterator_tIbPKhN2at6native10EqualsModeEEENSD_19counting_iterator_tIlEES8_S8_S8_S8_S8_S8_S8_S8_EEEEPS9_S9_NSD_9__find_if7functorIS9_EEEE10hipError_tPvRmT1_T2_T3_mT4_P12ihipStream_tbEUlT_E0_NS1_11comp_targetILNS1_3genE4ELNS1_11target_archE910ELNS1_3gpuE8ELNS1_3repE0EEENS1_30default_config_static_selectorELNS0_4arch9wavefront6targetE1EEEvSW_: ; @_ZN7rocprim17ROCPRIM_400000_NS6detail17trampoline_kernelINS0_14default_configENS1_22reduce_config_selectorIN6thrust23THRUST_200600_302600_NS5tupleIblNS6_9null_typeES8_S8_S8_S8_S8_S8_S8_EEEEZNS1_11reduce_implILb1ES3_NS6_12zip_iteratorINS7_INS6_11hip_rocprim26transform_input_iterator_tIbPKhN2at6native10EqualsModeEEENSD_19counting_iterator_tIlEES8_S8_S8_S8_S8_S8_S8_S8_EEEEPS9_S9_NSD_9__find_if7functorIS9_EEEE10hipError_tPvRmT1_T2_T3_mT4_P12ihipStream_tbEUlT_E0_NS1_11comp_targetILNS1_3genE4ELNS1_11target_archE910ELNS1_3gpuE8ELNS1_3repE0EEENS1_30default_config_static_selectorELNS0_4arch9wavefront6targetE1EEEvSW_
; %bb.0:
	s_load_dwordx8 s[8:15], s[4:5], 0x10
	s_load_dwordx2 s[0:1], s[4:5], 0x0
	s_load_dword s22, s[4:5], 0x8
	s_load_dwordx4 s[16:19], s[4:5], 0x30
	s_mov_b32 s7, 0
	s_waitcnt lgkmcnt(0)
	s_add_u32 s2, s0, s10
	s_addc_u32 s3, s1, s11
	s_lshl_b32 s23, s6, 9
	s_lshr_b64 s[0:1], s[12:13], 9
	s_add_u32 s20, s2, s23
	s_addc_u32 s21, s3, 0
	s_add_u32 s2, s8, s23
	s_addc_u32 s3, s9, 0
	s_add_u32 s8, s2, s10
	s_addc_u32 s9, s3, s11
	s_cmp_lg_u64 s[0:1], s[6:7]
	s_cbranch_scc0 .LBB56_18
; %bb.1:
	global_load_ubyte v1, v0, s[20:21]
	global_load_ubyte v2, v0, s[20:21] offset:256
	v_mov_b32_e32 v3, s9
	v_add_co_u32_e32 v5, vcc, s8, v0
	v_addc_co_u32_e32 v3, vcc, 0, v3, vcc
	v_add_co_u32_e32 v6, vcc, 0x100, v5
	v_mov_b32_e32 v4, 0
	v_addc_co_u32_e32 v7, vcc, 0, v3, vcc
	s_waitcnt vmcnt(1)
	v_cmp_ne_u16_e32 vcc, 0, v1
	s_waitcnt vmcnt(0)
	v_cmp_ne_u16_sdwa s[0:1], v2, v4 src0_sel:BYTE_0 src1_sel:DWORD
	v_cndmask_b32_e64 v1, 0, 1, vcc
	v_cndmask_b32_e64 v2, 0, 1, s[0:1]
	v_cmp_eq_u16_sdwa s[0:1], s22, v2 src0_sel:BYTE_0 src1_sel:DWORD
	v_cmp_eq_u16_sdwa vcc, s22, v1 src0_sel:BYTE_0 src1_sel:DWORD
	s_or_b64 s[0:1], vcc, s[0:1]
	v_cndmask_b32_e64 v1, 0, 1, s[0:1]
	v_cndmask_b32_e32 v2, v6, v5, vcc
	v_cndmask_b32_e32 v3, v7, v3, vcc
	v_mov_b32_dpp v6, v1 quad_perm:[1,0,3,2] row_mask:0xf bank_mask:0xf bound_ctrl:1
	v_and_b32_e32 v7, 1, v6
	v_mov_b32_dpp v4, v2 quad_perm:[1,0,3,2] row_mask:0xf bank_mask:0xf bound_ctrl:1
	v_mov_b32_dpp v5, v3 quad_perm:[1,0,3,2] row_mask:0xf bank_mask:0xf bound_ctrl:1
	v_cmp_eq_u32_e32 vcc, 1, v7
	s_and_saveexec_b64 s[2:3], vcc
; %bb.2:
	v_cmp_lt_i64_e32 vcc, v[2:3], v[4:5]
	v_cndmask_b32_e64 v6, v6, 1, s[0:1]
	s_and_b64 vcc, s[0:1], vcc
	v_cndmask_b32_e32 v2, v4, v2, vcc
	v_and_b32_e32 v4, 1, v6
	v_cndmask_b32_e32 v3, v5, v3, vcc
	v_cmp_eq_u32_e32 vcc, 1, v4
	s_andn2_b64 s[0:1], s[0:1], exec
	s_and_b64 s[10:11], vcc, exec
	v_and_b32_e32 v1, 0xff, v6
	s_or_b64 s[0:1], s[0:1], s[10:11]
; %bb.3:
	s_or_b64 exec, exec, s[2:3]
	v_mov_b32_dpp v6, v1 quad_perm:[2,3,0,1] row_mask:0xf bank_mask:0xf bound_ctrl:1
	v_and_b32_e32 v7, 1, v6
	v_mov_b32_dpp v4, v2 quad_perm:[2,3,0,1] row_mask:0xf bank_mask:0xf bound_ctrl:1
	v_mov_b32_dpp v5, v3 quad_perm:[2,3,0,1] row_mask:0xf bank_mask:0xf bound_ctrl:1
	v_cmp_eq_u32_e32 vcc, 1, v7
	s_and_saveexec_b64 s[2:3], vcc
; %bb.4:
	v_cmp_lt_i64_e32 vcc, v[2:3], v[4:5]
	v_cndmask_b32_e64 v6, v6, 1, s[0:1]
	s_and_b64 vcc, s[0:1], vcc
	v_cndmask_b32_e32 v2, v4, v2, vcc
	v_and_b32_e32 v4, 1, v6
	v_cndmask_b32_e32 v3, v5, v3, vcc
	v_cmp_eq_u32_e32 vcc, 1, v4
	s_andn2_b64 s[0:1], s[0:1], exec
	s_and_b64 s[10:11], vcc, exec
	v_and_b32_e32 v1, 0xff, v6
	s_or_b64 s[0:1], s[0:1], s[10:11]
; %bb.5:
	s_or_b64 exec, exec, s[2:3]
	v_mov_b32_dpp v6, v1 row_ror:4 row_mask:0xf bank_mask:0xf bound_ctrl:1
	v_and_b32_e32 v7, 1, v6
	v_mov_b32_dpp v4, v2 row_ror:4 row_mask:0xf bank_mask:0xf bound_ctrl:1
	v_mov_b32_dpp v5, v3 row_ror:4 row_mask:0xf bank_mask:0xf bound_ctrl:1
	v_cmp_eq_u32_e32 vcc, 1, v7
	s_and_saveexec_b64 s[2:3], vcc
; %bb.6:
	v_cmp_lt_i64_e32 vcc, v[2:3], v[4:5]
	v_cndmask_b32_e64 v6, v6, 1, s[0:1]
	s_and_b64 vcc, s[0:1], vcc
	v_cndmask_b32_e32 v2, v4, v2, vcc
	v_and_b32_e32 v4, 1, v6
	v_cndmask_b32_e32 v3, v5, v3, vcc
	v_cmp_eq_u32_e32 vcc, 1, v4
	s_andn2_b64 s[0:1], s[0:1], exec
	s_and_b64 s[10:11], vcc, exec
	v_and_b32_e32 v1, 0xff, v6
	s_or_b64 s[0:1], s[0:1], s[10:11]
; %bb.7:
	s_or_b64 exec, exec, s[2:3]
	v_mov_b32_dpp v6, v1 row_ror:8 row_mask:0xf bank_mask:0xf bound_ctrl:1
	v_and_b32_e32 v7, 1, v6
	v_mov_b32_dpp v4, v2 row_ror:8 row_mask:0xf bank_mask:0xf bound_ctrl:1
	v_mov_b32_dpp v5, v3 row_ror:8 row_mask:0xf bank_mask:0xf bound_ctrl:1
	v_cmp_eq_u32_e32 vcc, 1, v7
	s_and_saveexec_b64 s[2:3], vcc
; %bb.8:
	v_cmp_lt_i64_e32 vcc, v[2:3], v[4:5]
	v_cndmask_b32_e64 v6, v6, 1, s[0:1]
	s_and_b64 vcc, s[0:1], vcc
	v_cndmask_b32_e32 v2, v4, v2, vcc
	v_and_b32_e32 v4, 1, v6
	v_cndmask_b32_e32 v3, v5, v3, vcc
	v_cmp_eq_u32_e32 vcc, 1, v4
	s_andn2_b64 s[0:1], s[0:1], exec
	s_and_b64 s[10:11], vcc, exec
	v_and_b32_e32 v1, 0xff, v6
	s_or_b64 s[0:1], s[0:1], s[10:11]
; %bb.9:
	s_or_b64 exec, exec, s[2:3]
	v_mov_b32_dpp v6, v1 row_bcast:15 row_mask:0xf bank_mask:0xf bound_ctrl:1
	v_and_b32_e32 v7, 1, v6
	v_mov_b32_dpp v4, v2 row_bcast:15 row_mask:0xf bank_mask:0xf bound_ctrl:1
	v_mov_b32_dpp v5, v3 row_bcast:15 row_mask:0xf bank_mask:0xf bound_ctrl:1
	v_cmp_eq_u32_e32 vcc, 1, v7
	s_and_saveexec_b64 s[2:3], vcc
; %bb.10:
	v_cmp_lt_i64_e32 vcc, v[2:3], v[4:5]
	v_cndmask_b32_e64 v6, v6, 1, s[0:1]
	s_and_b64 vcc, s[0:1], vcc
	v_cndmask_b32_e32 v2, v4, v2, vcc
	v_and_b32_e32 v4, 1, v6
	v_cndmask_b32_e32 v3, v5, v3, vcc
	v_cmp_eq_u32_e32 vcc, 1, v4
	s_andn2_b64 s[0:1], s[0:1], exec
	s_and_b64 s[10:11], vcc, exec
	v_and_b32_e32 v1, 0xff, v6
	s_or_b64 s[0:1], s[0:1], s[10:11]
; %bb.11:
	s_or_b64 exec, exec, s[2:3]
	v_mov_b32_dpp v6, v1 row_bcast:31 row_mask:0xf bank_mask:0xf bound_ctrl:1
	v_and_b32_e32 v7, 1, v6
	v_mov_b32_dpp v4, v2 row_bcast:31 row_mask:0xf bank_mask:0xf bound_ctrl:1
	v_mov_b32_dpp v5, v3 row_bcast:31 row_mask:0xf bank_mask:0xf bound_ctrl:1
	v_cmp_eq_u32_e32 vcc, 1, v7
	s_and_saveexec_b64 s[2:3], vcc
; %bb.12:
	v_cmp_lt_i64_e32 vcc, v[2:3], v[4:5]
	v_and_b32_e32 v1, 0xff, v6
	s_and_b64 vcc, s[0:1], vcc
	v_cndmask_b32_e32 v2, v4, v2, vcc
	v_cndmask_b32_e32 v3, v5, v3, vcc
	v_cndmask_b32_e64 v1, v1, 1, s[0:1]
; %bb.13:
	s_or_b64 exec, exec, s[2:3]
	v_mbcnt_lo_u32_b32 v4, -1, 0
	v_mbcnt_hi_u32_b32 v4, -1, v4
	v_bfrev_b32_e32 v5, 0.5
	v_lshl_or_b32 v5, v4, 2, v5
	ds_bpermute_b32 v6, v5, v1
	ds_bpermute_b32 v2, v5, v2
	;; [unrolled: 1-line block ×3, first 2 shown]
	v_cmp_eq_u32_e32 vcc, 0, v4
	s_and_saveexec_b64 s[0:1], vcc
	s_cbranch_execz .LBB56_15
; %bb.14:
	v_lshrrev_b32_e32 v1, 2, v0
	v_and_b32_e32 v1, 48, v1
	s_waitcnt lgkmcnt(2)
	ds_write_b8 v1, v6
	s_waitcnt lgkmcnt(1)
	ds_write_b64 v1, v[2:3] offset:8
.LBB56_15:
	s_or_b64 exec, exec, s[0:1]
	v_cmp_gt_u32_e32 vcc, 64, v0
	s_waitcnt lgkmcnt(0)
	s_barrier
	s_and_saveexec_b64 s[2:3], vcc
	s_cbranch_execz .LBB56_17
; %bb.16:
	v_and_b32_e32 v1, 3, v4
	v_lshlrev_b32_e32 v2, 4, v1
	ds_read_u8 v5, v2
	ds_read_b64 v[2:3], v2 offset:8
	v_cmp_ne_u32_e32 vcc, 3, v1
	v_addc_co_u32_e32 v6, vcc, 0, v4, vcc
	s_waitcnt lgkmcnt(1)
	v_and_b32_e32 v7, 0xff, v5
	v_lshlrev_b32_e32 v8, 2, v6
	ds_bpermute_b32 v9, v8, v7
	s_waitcnt lgkmcnt(1)
	ds_bpermute_b32 v6, v8, v2
	ds_bpermute_b32 v7, v8, v3
	v_and_b32_e32 v8, 1, v5
	s_waitcnt lgkmcnt(2)
	v_and_b32_e32 v10, 1, v9
	v_cmp_eq_u32_e64 s[0:1], 1, v10
	s_waitcnt lgkmcnt(0)
	v_cmp_lt_i64_e32 vcc, v[6:7], v[2:3]
	s_and_b64 vcc, s[0:1], vcc
	v_cndmask_b32_e64 v5, v5, 1, s[0:1]
	v_cndmask_b32_e32 v2, v2, v6, vcc
	v_cndmask_b32_e32 v3, v3, v7, vcc
	v_cmp_eq_u32_e32 vcc, 1, v8
	v_cndmask_b32_e32 v8, v9, v5, vcc
	v_cndmask_b32_e32 v3, v7, v3, vcc
	v_cndmask_b32_e32 v2, v6, v2, vcc
	v_cmp_gt_u32_e32 vcc, 2, v1
	v_cndmask_b32_e64 v1, 0, 1, vcc
	v_lshlrev_b32_e32 v1, 1, v1
	v_and_b32_e32 v5, 0xff, v8
	v_add_lshl_u32 v1, v1, v4, 2
	ds_bpermute_b32 v6, v1, v5
	ds_bpermute_b32 v4, v1, v2
	;; [unrolled: 1-line block ×3, first 2 shown]
	v_and_b32_e32 v1, 1, v8
	s_waitcnt lgkmcnt(2)
	v_and_b32_e32 v7, 1, v6
	v_cmp_eq_u32_e64 s[0:1], 1, v7
	s_waitcnt lgkmcnt(0)
	v_cmp_lt_i64_e32 vcc, v[4:5], v[2:3]
	s_and_b64 vcc, s[0:1], vcc
	v_cndmask_b32_e64 v7, v8, 1, s[0:1]
	v_cndmask_b32_e32 v2, v2, v4, vcc
	v_cndmask_b32_e32 v3, v3, v5, vcc
	v_cmp_eq_u32_e32 vcc, 1, v1
	v_cndmask_b32_e32 v1, v6, v7, vcc
	v_cndmask_b32_e32 v3, v5, v3, vcc
	;; [unrolled: 1-line block ×3, first 2 shown]
	v_and_b32_e32 v6, 0xff, v1
.LBB56_17:
	s_or_b64 exec, exec, s[2:3]
	s_load_dword s10, s[4:5], 0x40
	s_load_dwordx2 s[2:3], s[4:5], 0x48
	s_branch .LBB56_46
.LBB56_18:
                                        ; implicit-def: $vgpr2_vgpr3
                                        ; implicit-def: $vgpr6
	s_load_dword s10, s[4:5], 0x40
	s_load_dwordx2 s[2:3], s[4:5], 0x48
	s_cbranch_execz .LBB56_46
; %bb.19:
	s_sub_i32 s11, s12, s23
	v_pk_mov_b32 v[4:5], 0, 0
	v_cmp_gt_u32_e32 vcc, s11, v0
	v_mov_b32_e32 v1, 0
	v_pk_mov_b32 v[2:3], v[4:5], v[4:5] op_sel:[0,1]
	v_mov_b32_e32 v7, 0
	s_and_saveexec_b64 s[0:1], vcc
	s_cbranch_execz .LBB56_21
; %bb.20:
	global_load_ubyte v6, v0, s[20:21]
	v_mov_b32_e32 v3, s9
	v_add_co_u32_e32 v2, vcc, s8, v0
	v_addc_co_u32_e32 v3, vcc, 0, v3, vcc
	s_waitcnt vmcnt(0)
	v_cmp_ne_u16_e32 vcc, 0, v6
	v_cndmask_b32_e64 v6, 0, 1, vcc
	v_cmp_eq_u16_sdwa s[4:5], s22, v6 src0_sel:BYTE_0 src1_sel:DWORD
	v_cndmask_b32_e64 v7, 0, 1, s[4:5]
.LBB56_21:
	s_or_b64 exec, exec, s[0:1]
	v_or_b32_e32 v6, 0x100, v0
	v_cmp_gt_u32_e32 vcc, s11, v6
	s_and_saveexec_b64 s[4:5], vcc
	s_cbranch_execz .LBB56_23
; %bb.22:
	global_load_ubyte v1, v0, s[20:21] offset:256
	v_mov_b32_e32 v5, s9
	v_add_co_u32_e64 v4, s[0:1], s8, v6
	v_addc_co_u32_e64 v5, s[0:1], 0, v5, s[0:1]
	s_waitcnt vmcnt(0)
	v_cmp_ne_u16_e64 s[0:1], 0, v1
	v_cndmask_b32_e64 v1, 0, 1, s[0:1]
	v_cmp_eq_u16_sdwa s[0:1], s22, v1 src0_sel:BYTE_0 src1_sel:DWORD
	v_cndmask_b32_e64 v1, 0, 1, s[0:1]
.LBB56_23:
	s_or_b64 exec, exec, s[4:5]
	s_and_saveexec_b64 s[4:5], vcc
	s_cbranch_execz .LBB56_25
; %bb.24:
	v_and_b32_e32 v8, 1, v1
	v_cmp_lt_i64_e32 vcc, v[4:5], v[2:3]
	v_cmp_eq_u32_e64 s[0:1], 1, v8
	v_and_b32_e32 v6, 1, v7
	s_and_b64 vcc, s[0:1], vcc
	v_cndmask_b32_e64 v7, v7, 1, s[0:1]
	v_cndmask_b32_e32 v2, v2, v4, vcc
	v_cndmask_b32_e32 v3, v3, v5, vcc
	v_cmp_eq_u32_e32 vcc, 1, v6
	v_cndmask_b32_e32 v7, v1, v7, vcc
	v_cndmask_b32_e32 v3, v5, v3, vcc
	;; [unrolled: 1-line block ×3, first 2 shown]
.LBB56_25:
	s_or_b64 exec, exec, s[4:5]
	v_mbcnt_lo_u32_b32 v1, -1, 0
	v_mbcnt_hi_u32_b32 v1, -1, v1
	v_and_b32_e32 v8, 63, v1
	v_cmp_ne_u32_e32 vcc, 63, v8
	v_addc_co_u32_e32 v4, vcc, 0, v1, vcc
	v_and_b32_e32 v6, 0xffff, v7
	v_lshlrev_b32_e32 v5, 2, v4
	ds_bpermute_b32 v10, v5, v6
	ds_bpermute_b32 v4, v5, v2
	;; [unrolled: 1-line block ×3, first 2 shown]
	s_min_u32 s8, s11, 0x100
	v_and_b32_e32 v9, 0xc0, v0
	v_sub_u32_e64 v9, s8, v9 clamp
	v_add_u32_e32 v11, 1, v8
	v_cmp_lt_u32_e32 vcc, v11, v9
	s_and_saveexec_b64 s[4:5], vcc
	s_cbranch_execz .LBB56_27
; %bb.26:
	s_waitcnt lgkmcnt(0)
	v_and_b32_e32 v11, 1, v10
	v_cmp_lt_i64_e32 vcc, v[4:5], v[2:3]
	v_cmp_eq_u32_e64 s[0:1], 1, v11
	v_and_b32_e32 v6, 1, v7
	s_and_b64 vcc, s[0:1], vcc
	v_cndmask_b32_e64 v7, v7, 1, s[0:1]
	v_cndmask_b32_e32 v2, v2, v4, vcc
	v_cndmask_b32_e32 v3, v3, v5, vcc
	v_cmp_eq_u32_e32 vcc, 1, v6
	v_cndmask_b32_e32 v7, v10, v7, vcc
	v_cndmask_b32_e32 v3, v5, v3, vcc
	;; [unrolled: 1-line block ×3, first 2 shown]
	v_and_b32_e32 v6, 0xff, v7
.LBB56_27:
	s_or_b64 exec, exec, s[4:5]
	v_cmp_gt_u32_e32 vcc, 62, v8
	s_waitcnt lgkmcnt(0)
	v_cndmask_b32_e64 v4, 0, 1, vcc
	v_lshlrev_b32_e32 v4, 1, v4
	v_add_lshl_u32 v5, v4, v1, 2
	ds_bpermute_b32 v10, v5, v6
	ds_bpermute_b32 v4, v5, v2
	ds_bpermute_b32 v5, v5, v3
	v_add_u32_e32 v11, 2, v8
	v_cmp_lt_u32_e32 vcc, v11, v9
	s_and_saveexec_b64 s[4:5], vcc
	s_cbranch_execz .LBB56_29
; %bb.28:
	s_waitcnt lgkmcnt(2)
	v_and_b32_e32 v11, 1, v10
	s_waitcnt lgkmcnt(0)
	v_cmp_lt_i64_e32 vcc, v[4:5], v[2:3]
	v_cmp_eq_u32_e64 s[0:1], 1, v11
	v_and_b32_e32 v6, 1, v7
	s_and_b64 vcc, s[0:1], vcc
	v_cndmask_b32_e64 v7, v7, 1, s[0:1]
	v_cndmask_b32_e32 v2, v2, v4, vcc
	v_cndmask_b32_e32 v3, v3, v5, vcc
	v_cmp_eq_u32_e32 vcc, 1, v6
	v_cndmask_b32_e32 v7, v10, v7, vcc
	v_cndmask_b32_e32 v3, v5, v3, vcc
	v_cndmask_b32_e32 v2, v4, v2, vcc
	v_and_b32_e32 v6, 0xff, v7
.LBB56_29:
	s_or_b64 exec, exec, s[4:5]
	v_cmp_gt_u32_e32 vcc, 60, v8
	s_waitcnt lgkmcnt(1)
	v_cndmask_b32_e64 v4, 0, 1, vcc
	v_lshlrev_b32_e32 v4, 2, v4
	s_waitcnt lgkmcnt(0)
	v_add_lshl_u32 v5, v4, v1, 2
	ds_bpermute_b32 v10, v5, v6
	ds_bpermute_b32 v4, v5, v2
	ds_bpermute_b32 v5, v5, v3
	v_add_u32_e32 v11, 4, v8
	v_cmp_lt_u32_e32 vcc, v11, v9
	s_and_saveexec_b64 s[4:5], vcc
	s_cbranch_execz .LBB56_31
; %bb.30:
	s_waitcnt lgkmcnt(2)
	v_and_b32_e32 v11, 1, v10
	s_waitcnt lgkmcnt(0)
	v_cmp_lt_i64_e32 vcc, v[4:5], v[2:3]
	v_cmp_eq_u32_e64 s[0:1], 1, v11
	v_and_b32_e32 v6, 1, v7
	s_and_b64 vcc, s[0:1], vcc
	v_cndmask_b32_e64 v7, v7, 1, s[0:1]
	v_cndmask_b32_e32 v2, v2, v4, vcc
	v_cndmask_b32_e32 v3, v3, v5, vcc
	v_cmp_eq_u32_e32 vcc, 1, v6
	v_cndmask_b32_e32 v7, v10, v7, vcc
	v_cndmask_b32_e32 v3, v5, v3, vcc
	v_cndmask_b32_e32 v2, v4, v2, vcc
	v_and_b32_e32 v6, 0xff, v7
.LBB56_31:
	s_or_b64 exec, exec, s[4:5]
	v_cmp_gt_u32_e32 vcc, 56, v8
	s_waitcnt lgkmcnt(1)
	v_cndmask_b32_e64 v4, 0, 1, vcc
	v_lshlrev_b32_e32 v4, 3, v4
	s_waitcnt lgkmcnt(0)
	;; [unrolled: 31-line block ×4, first 2 shown]
	v_add_lshl_u32 v5, v4, v1, 2
	ds_bpermute_b32 v10, v5, v6
	ds_bpermute_b32 v4, v5, v2
	;; [unrolled: 1-line block ×3, first 2 shown]
	v_add_u32_e32 v8, 32, v8
	v_cmp_lt_u32_e32 vcc, v8, v9
	s_and_saveexec_b64 s[4:5], vcc
	s_cbranch_execz .LBB56_37
; %bb.36:
	s_waitcnt lgkmcnt(2)
	v_and_b32_e32 v8, 1, v10
	s_waitcnt lgkmcnt(0)
	v_cmp_lt_i64_e32 vcc, v[4:5], v[2:3]
	v_cmp_eq_u32_e64 s[0:1], 1, v8
	v_and_b32_e32 v6, 1, v7
	s_and_b64 vcc, s[0:1], vcc
	v_cndmask_b32_e64 v7, v7, 1, s[0:1]
	v_cndmask_b32_e32 v2, v2, v4, vcc
	v_cndmask_b32_e32 v3, v3, v5, vcc
	v_cmp_eq_u32_e32 vcc, 1, v6
	v_cndmask_b32_e32 v7, v10, v7, vcc
	v_cndmask_b32_e32 v3, v5, v3, vcc
	;; [unrolled: 1-line block ×3, first 2 shown]
	v_and_b32_e32 v6, 0xff, v7
.LBB56_37:
	s_or_b64 exec, exec, s[4:5]
	v_cmp_eq_u32_e32 vcc, 0, v1
	s_and_saveexec_b64 s[0:1], vcc
	s_cbranch_execz .LBB56_39
; %bb.38:
	s_waitcnt lgkmcnt(1)
	v_lshrrev_b32_e32 v4, 2, v0
	v_and_b32_e32 v4, 48, v4
	ds_write_b8 v4, v7 offset:64
	ds_write_b64 v4, v[2:3] offset:72
.LBB56_39:
	s_or_b64 exec, exec, s[0:1]
	v_cmp_gt_u32_e32 vcc, 4, v0
	s_waitcnt lgkmcnt(0)
	s_barrier
	s_and_saveexec_b64 s[4:5], vcc
	s_cbranch_execz .LBB56_45
; %bb.40:
	v_lshlrev_b32_e32 v2, 4, v1
	ds_read_u8 v7, v2 offset:64
	ds_read_b64 v[2:3], v2 offset:72
	v_and_b32_e32 v8, 3, v1
	v_cmp_ne_u32_e32 vcc, 3, v8
	v_addc_co_u32_e32 v4, vcc, 0, v1, vcc
	s_waitcnt lgkmcnt(1)
	v_and_b32_e32 v6, 0xff, v7
	v_lshlrev_b32_e32 v5, 2, v4
	ds_bpermute_b32 v9, v5, v6
	s_waitcnt lgkmcnt(1)
	ds_bpermute_b32 v4, v5, v2
	ds_bpermute_b32 v5, v5, v3
	s_add_i32 s8, s8, 63
	s_lshr_b32 s11, s8, 6
	v_add_u32_e32 v10, 1, v8
	v_cmp_gt_u32_e32 vcc, s11, v10
	s_and_saveexec_b64 s[8:9], vcc
	s_cbranch_execz .LBB56_42
; %bb.41:
	s_waitcnt lgkmcnt(2)
	v_and_b32_e32 v10, 1, v9
	s_waitcnt lgkmcnt(0)
	v_cmp_lt_i64_e32 vcc, v[4:5], v[2:3]
	v_cmp_eq_u32_e64 s[0:1], 1, v10
	v_and_b32_e32 v6, 1, v7
	s_and_b64 vcc, s[0:1], vcc
	v_cndmask_b32_e64 v7, v7, 1, s[0:1]
	v_cndmask_b32_e32 v2, v2, v4, vcc
	v_cndmask_b32_e32 v3, v3, v5, vcc
	v_cmp_eq_u32_e32 vcc, 1, v6
	v_cndmask_b32_e32 v7, v9, v7, vcc
	v_cndmask_b32_e32 v3, v5, v3, vcc
	;; [unrolled: 1-line block ×3, first 2 shown]
	v_and_b32_e32 v6, 0xff, v7
.LBB56_42:
	s_or_b64 exec, exec, s[8:9]
	v_cmp_gt_u32_e32 vcc, 2, v8
	s_waitcnt lgkmcnt(1)
	v_cndmask_b32_e64 v4, 0, 1, vcc
	v_lshlrev_b32_e32 v4, 1, v4
	s_waitcnt lgkmcnt(0)
	v_add_lshl_u32 v5, v4, v1, 2
	ds_bpermute_b32 v1, v5, v6
	ds_bpermute_b32 v4, v5, v2
	;; [unrolled: 1-line block ×3, first 2 shown]
	v_add_u32_e32 v8, 2, v8
	v_cmp_gt_u32_e32 vcc, s11, v8
	s_and_saveexec_b64 s[8:9], vcc
	s_cbranch_execz .LBB56_44
; %bb.43:
	s_waitcnt lgkmcnt(2)
	v_and_b32_e32 v8, 1, v1
	s_waitcnt lgkmcnt(0)
	v_cmp_lt_i64_e32 vcc, v[4:5], v[2:3]
	v_cmp_eq_u32_e64 s[0:1], 1, v8
	v_and_b32_e32 v6, 1, v7
	s_and_b64 vcc, s[0:1], vcc
	v_cndmask_b32_e64 v7, v7, 1, s[0:1]
	v_cndmask_b32_e32 v2, v2, v4, vcc
	v_cndmask_b32_e32 v3, v3, v5, vcc
	v_cmp_eq_u32_e32 vcc, 1, v6
	v_cndmask_b32_e32 v1, v1, v7, vcc
	v_cndmask_b32_e32 v3, v5, v3, vcc
	;; [unrolled: 1-line block ×3, first 2 shown]
	v_and_b32_e32 v6, 0xff, v1
.LBB56_44:
	s_or_b64 exec, exec, s[8:9]
.LBB56_45:
	s_or_b64 exec, exec, s[4:5]
.LBB56_46:
	v_cmp_eq_u32_e32 vcc, 0, v0
	s_and_saveexec_b64 s[0:1], vcc
	s_cbranch_execnz .LBB56_48
; %bb.47:
	s_endpgm
.LBB56_48:
	s_mul_i32 s0, s18, s17
	s_mul_hi_u32 s1, s18, s16
	s_add_i32 s0, s1, s0
	s_mul_i32 s1, s19, s16
	s_add_i32 s1, s0, s1
	s_mul_i32 s0, s18, s16
	s_lshl_b64 s[0:1], s[0:1], 4
	s_add_u32 s4, s14, s0
	s_addc_u32 s5, s15, s1
	s_cmp_eq_u64 s[12:13], 0
	s_waitcnt lgkmcnt(0)
	v_mov_b32_e32 v0, s3
	s_cselect_b64 vcc, -1, 0
	v_cndmask_b32_e32 v1, v3, v0, vcc
	v_mov_b32_e32 v0, s2
	s_lshl_b64 s[0:1], s[6:7], 4
	v_cndmask_b32_e32 v0, v2, v0, vcc
	v_mov_b32_e32 v2, s10
	s_add_u32 s0, s4, s0
	v_cndmask_b32_e32 v2, v6, v2, vcc
	s_addc_u32 s1, s5, s1
	v_mov_b32_e32 v3, 0
	global_store_byte v3, v2, s[0:1]
	global_store_dwordx2 v3, v[0:1], s[0:1] offset:8
	s_endpgm
	.section	.rodata,"a",@progbits
	.p2align	6, 0x0
	.amdhsa_kernel _ZN7rocprim17ROCPRIM_400000_NS6detail17trampoline_kernelINS0_14default_configENS1_22reduce_config_selectorIN6thrust23THRUST_200600_302600_NS5tupleIblNS6_9null_typeES8_S8_S8_S8_S8_S8_S8_EEEEZNS1_11reduce_implILb1ES3_NS6_12zip_iteratorINS7_INS6_11hip_rocprim26transform_input_iterator_tIbPKhN2at6native10EqualsModeEEENSD_19counting_iterator_tIlEES8_S8_S8_S8_S8_S8_S8_S8_EEEEPS9_S9_NSD_9__find_if7functorIS9_EEEE10hipError_tPvRmT1_T2_T3_mT4_P12ihipStream_tbEUlT_E0_NS1_11comp_targetILNS1_3genE4ELNS1_11target_archE910ELNS1_3gpuE8ELNS1_3repE0EEENS1_30default_config_static_selectorELNS0_4arch9wavefront6targetE1EEEvSW_
		.amdhsa_group_segment_fixed_size 128
		.amdhsa_private_segment_fixed_size 0
		.amdhsa_kernarg_size 88
		.amdhsa_user_sgpr_count 6
		.amdhsa_user_sgpr_private_segment_buffer 1
		.amdhsa_user_sgpr_dispatch_ptr 0
		.amdhsa_user_sgpr_queue_ptr 0
		.amdhsa_user_sgpr_kernarg_segment_ptr 1
		.amdhsa_user_sgpr_dispatch_id 0
		.amdhsa_user_sgpr_flat_scratch_init 0
		.amdhsa_user_sgpr_kernarg_preload_length 0
		.amdhsa_user_sgpr_kernarg_preload_offset 0
		.amdhsa_user_sgpr_private_segment_size 0
		.amdhsa_uses_dynamic_stack 0
		.amdhsa_system_sgpr_private_segment_wavefront_offset 0
		.amdhsa_system_sgpr_workgroup_id_x 1
		.amdhsa_system_sgpr_workgroup_id_y 0
		.amdhsa_system_sgpr_workgroup_id_z 0
		.amdhsa_system_sgpr_workgroup_info 0
		.amdhsa_system_vgpr_workitem_id 0
		.amdhsa_next_free_vgpr 12
		.amdhsa_next_free_sgpr 24
		.amdhsa_accum_offset 12
		.amdhsa_reserve_vcc 1
		.amdhsa_reserve_flat_scratch 0
		.amdhsa_float_round_mode_32 0
		.amdhsa_float_round_mode_16_64 0
		.amdhsa_float_denorm_mode_32 3
		.amdhsa_float_denorm_mode_16_64 3
		.amdhsa_dx10_clamp 1
		.amdhsa_ieee_mode 1
		.amdhsa_fp16_overflow 0
		.amdhsa_tg_split 0
		.amdhsa_exception_fp_ieee_invalid_op 0
		.amdhsa_exception_fp_denorm_src 0
		.amdhsa_exception_fp_ieee_div_zero 0
		.amdhsa_exception_fp_ieee_overflow 0
		.amdhsa_exception_fp_ieee_underflow 0
		.amdhsa_exception_fp_ieee_inexact 0
		.amdhsa_exception_int_div_zero 0
	.end_amdhsa_kernel
	.section	.text._ZN7rocprim17ROCPRIM_400000_NS6detail17trampoline_kernelINS0_14default_configENS1_22reduce_config_selectorIN6thrust23THRUST_200600_302600_NS5tupleIblNS6_9null_typeES8_S8_S8_S8_S8_S8_S8_EEEEZNS1_11reduce_implILb1ES3_NS6_12zip_iteratorINS7_INS6_11hip_rocprim26transform_input_iterator_tIbPKhN2at6native10EqualsModeEEENSD_19counting_iterator_tIlEES8_S8_S8_S8_S8_S8_S8_S8_EEEEPS9_S9_NSD_9__find_if7functorIS9_EEEE10hipError_tPvRmT1_T2_T3_mT4_P12ihipStream_tbEUlT_E0_NS1_11comp_targetILNS1_3genE4ELNS1_11target_archE910ELNS1_3gpuE8ELNS1_3repE0EEENS1_30default_config_static_selectorELNS0_4arch9wavefront6targetE1EEEvSW_,"axG",@progbits,_ZN7rocprim17ROCPRIM_400000_NS6detail17trampoline_kernelINS0_14default_configENS1_22reduce_config_selectorIN6thrust23THRUST_200600_302600_NS5tupleIblNS6_9null_typeES8_S8_S8_S8_S8_S8_S8_EEEEZNS1_11reduce_implILb1ES3_NS6_12zip_iteratorINS7_INS6_11hip_rocprim26transform_input_iterator_tIbPKhN2at6native10EqualsModeEEENSD_19counting_iterator_tIlEES8_S8_S8_S8_S8_S8_S8_S8_EEEEPS9_S9_NSD_9__find_if7functorIS9_EEEE10hipError_tPvRmT1_T2_T3_mT4_P12ihipStream_tbEUlT_E0_NS1_11comp_targetILNS1_3genE4ELNS1_11target_archE910ELNS1_3gpuE8ELNS1_3repE0EEENS1_30default_config_static_selectorELNS0_4arch9wavefront6targetE1EEEvSW_,comdat
.Lfunc_end56:
	.size	_ZN7rocprim17ROCPRIM_400000_NS6detail17trampoline_kernelINS0_14default_configENS1_22reduce_config_selectorIN6thrust23THRUST_200600_302600_NS5tupleIblNS6_9null_typeES8_S8_S8_S8_S8_S8_S8_EEEEZNS1_11reduce_implILb1ES3_NS6_12zip_iteratorINS7_INS6_11hip_rocprim26transform_input_iterator_tIbPKhN2at6native10EqualsModeEEENSD_19counting_iterator_tIlEES8_S8_S8_S8_S8_S8_S8_S8_EEEEPS9_S9_NSD_9__find_if7functorIS9_EEEE10hipError_tPvRmT1_T2_T3_mT4_P12ihipStream_tbEUlT_E0_NS1_11comp_targetILNS1_3genE4ELNS1_11target_archE910ELNS1_3gpuE8ELNS1_3repE0EEENS1_30default_config_static_selectorELNS0_4arch9wavefront6targetE1EEEvSW_, .Lfunc_end56-_ZN7rocprim17ROCPRIM_400000_NS6detail17trampoline_kernelINS0_14default_configENS1_22reduce_config_selectorIN6thrust23THRUST_200600_302600_NS5tupleIblNS6_9null_typeES8_S8_S8_S8_S8_S8_S8_EEEEZNS1_11reduce_implILb1ES3_NS6_12zip_iteratorINS7_INS6_11hip_rocprim26transform_input_iterator_tIbPKhN2at6native10EqualsModeEEENSD_19counting_iterator_tIlEES8_S8_S8_S8_S8_S8_S8_S8_EEEEPS9_S9_NSD_9__find_if7functorIS9_EEEE10hipError_tPvRmT1_T2_T3_mT4_P12ihipStream_tbEUlT_E0_NS1_11comp_targetILNS1_3genE4ELNS1_11target_archE910ELNS1_3gpuE8ELNS1_3repE0EEENS1_30default_config_static_selectorELNS0_4arch9wavefront6targetE1EEEvSW_
                                        ; -- End function
	.section	.AMDGPU.csdata,"",@progbits
; Kernel info:
; codeLenInByte = 2848
; NumSgprs: 28
; NumVgprs: 12
; NumAgprs: 0
; TotalNumVgprs: 12
; ScratchSize: 0
; MemoryBound: 0
; FloatMode: 240
; IeeeMode: 1
; LDSByteSize: 128 bytes/workgroup (compile time only)
; SGPRBlocks: 3
; VGPRBlocks: 1
; NumSGPRsForWavesPerEU: 28
; NumVGPRsForWavesPerEU: 12
; AccumOffset: 12
; Occupancy: 8
; WaveLimiterHint : 1
; COMPUTE_PGM_RSRC2:SCRATCH_EN: 0
; COMPUTE_PGM_RSRC2:USER_SGPR: 6
; COMPUTE_PGM_RSRC2:TRAP_HANDLER: 0
; COMPUTE_PGM_RSRC2:TGID_X_EN: 1
; COMPUTE_PGM_RSRC2:TGID_Y_EN: 0
; COMPUTE_PGM_RSRC2:TGID_Z_EN: 0
; COMPUTE_PGM_RSRC2:TIDIG_COMP_CNT: 0
; COMPUTE_PGM_RSRC3_GFX90A:ACCUM_OFFSET: 2
; COMPUTE_PGM_RSRC3_GFX90A:TG_SPLIT: 0
	.section	.text._ZN7rocprim17ROCPRIM_400000_NS6detail17trampoline_kernelINS0_14default_configENS1_22reduce_config_selectorIN6thrust23THRUST_200600_302600_NS5tupleIblNS6_9null_typeES8_S8_S8_S8_S8_S8_S8_EEEEZNS1_11reduce_implILb1ES3_NS6_12zip_iteratorINS7_INS6_11hip_rocprim26transform_input_iterator_tIbPKhN2at6native10EqualsModeEEENSD_19counting_iterator_tIlEES8_S8_S8_S8_S8_S8_S8_S8_EEEEPS9_S9_NSD_9__find_if7functorIS9_EEEE10hipError_tPvRmT1_T2_T3_mT4_P12ihipStream_tbEUlT_E0_NS1_11comp_targetILNS1_3genE3ELNS1_11target_archE908ELNS1_3gpuE7ELNS1_3repE0EEENS1_30default_config_static_selectorELNS0_4arch9wavefront6targetE1EEEvSW_,"axG",@progbits,_ZN7rocprim17ROCPRIM_400000_NS6detail17trampoline_kernelINS0_14default_configENS1_22reduce_config_selectorIN6thrust23THRUST_200600_302600_NS5tupleIblNS6_9null_typeES8_S8_S8_S8_S8_S8_S8_EEEEZNS1_11reduce_implILb1ES3_NS6_12zip_iteratorINS7_INS6_11hip_rocprim26transform_input_iterator_tIbPKhN2at6native10EqualsModeEEENSD_19counting_iterator_tIlEES8_S8_S8_S8_S8_S8_S8_S8_EEEEPS9_S9_NSD_9__find_if7functorIS9_EEEE10hipError_tPvRmT1_T2_T3_mT4_P12ihipStream_tbEUlT_E0_NS1_11comp_targetILNS1_3genE3ELNS1_11target_archE908ELNS1_3gpuE7ELNS1_3repE0EEENS1_30default_config_static_selectorELNS0_4arch9wavefront6targetE1EEEvSW_,comdat
	.protected	_ZN7rocprim17ROCPRIM_400000_NS6detail17trampoline_kernelINS0_14default_configENS1_22reduce_config_selectorIN6thrust23THRUST_200600_302600_NS5tupleIblNS6_9null_typeES8_S8_S8_S8_S8_S8_S8_EEEEZNS1_11reduce_implILb1ES3_NS6_12zip_iteratorINS7_INS6_11hip_rocprim26transform_input_iterator_tIbPKhN2at6native10EqualsModeEEENSD_19counting_iterator_tIlEES8_S8_S8_S8_S8_S8_S8_S8_EEEEPS9_S9_NSD_9__find_if7functorIS9_EEEE10hipError_tPvRmT1_T2_T3_mT4_P12ihipStream_tbEUlT_E0_NS1_11comp_targetILNS1_3genE3ELNS1_11target_archE908ELNS1_3gpuE7ELNS1_3repE0EEENS1_30default_config_static_selectorELNS0_4arch9wavefront6targetE1EEEvSW_ ; -- Begin function _ZN7rocprim17ROCPRIM_400000_NS6detail17trampoline_kernelINS0_14default_configENS1_22reduce_config_selectorIN6thrust23THRUST_200600_302600_NS5tupleIblNS6_9null_typeES8_S8_S8_S8_S8_S8_S8_EEEEZNS1_11reduce_implILb1ES3_NS6_12zip_iteratorINS7_INS6_11hip_rocprim26transform_input_iterator_tIbPKhN2at6native10EqualsModeEEENSD_19counting_iterator_tIlEES8_S8_S8_S8_S8_S8_S8_S8_EEEEPS9_S9_NSD_9__find_if7functorIS9_EEEE10hipError_tPvRmT1_T2_T3_mT4_P12ihipStream_tbEUlT_E0_NS1_11comp_targetILNS1_3genE3ELNS1_11target_archE908ELNS1_3gpuE7ELNS1_3repE0EEENS1_30default_config_static_selectorELNS0_4arch9wavefront6targetE1EEEvSW_
	.globl	_ZN7rocprim17ROCPRIM_400000_NS6detail17trampoline_kernelINS0_14default_configENS1_22reduce_config_selectorIN6thrust23THRUST_200600_302600_NS5tupleIblNS6_9null_typeES8_S8_S8_S8_S8_S8_S8_EEEEZNS1_11reduce_implILb1ES3_NS6_12zip_iteratorINS7_INS6_11hip_rocprim26transform_input_iterator_tIbPKhN2at6native10EqualsModeEEENSD_19counting_iterator_tIlEES8_S8_S8_S8_S8_S8_S8_S8_EEEEPS9_S9_NSD_9__find_if7functorIS9_EEEE10hipError_tPvRmT1_T2_T3_mT4_P12ihipStream_tbEUlT_E0_NS1_11comp_targetILNS1_3genE3ELNS1_11target_archE908ELNS1_3gpuE7ELNS1_3repE0EEENS1_30default_config_static_selectorELNS0_4arch9wavefront6targetE1EEEvSW_
	.p2align	8
	.type	_ZN7rocprim17ROCPRIM_400000_NS6detail17trampoline_kernelINS0_14default_configENS1_22reduce_config_selectorIN6thrust23THRUST_200600_302600_NS5tupleIblNS6_9null_typeES8_S8_S8_S8_S8_S8_S8_EEEEZNS1_11reduce_implILb1ES3_NS6_12zip_iteratorINS7_INS6_11hip_rocprim26transform_input_iterator_tIbPKhN2at6native10EqualsModeEEENSD_19counting_iterator_tIlEES8_S8_S8_S8_S8_S8_S8_S8_EEEEPS9_S9_NSD_9__find_if7functorIS9_EEEE10hipError_tPvRmT1_T2_T3_mT4_P12ihipStream_tbEUlT_E0_NS1_11comp_targetILNS1_3genE3ELNS1_11target_archE908ELNS1_3gpuE7ELNS1_3repE0EEENS1_30default_config_static_selectorELNS0_4arch9wavefront6targetE1EEEvSW_,@function
_ZN7rocprim17ROCPRIM_400000_NS6detail17trampoline_kernelINS0_14default_configENS1_22reduce_config_selectorIN6thrust23THRUST_200600_302600_NS5tupleIblNS6_9null_typeES8_S8_S8_S8_S8_S8_S8_EEEEZNS1_11reduce_implILb1ES3_NS6_12zip_iteratorINS7_INS6_11hip_rocprim26transform_input_iterator_tIbPKhN2at6native10EqualsModeEEENSD_19counting_iterator_tIlEES8_S8_S8_S8_S8_S8_S8_S8_EEEEPS9_S9_NSD_9__find_if7functorIS9_EEEE10hipError_tPvRmT1_T2_T3_mT4_P12ihipStream_tbEUlT_E0_NS1_11comp_targetILNS1_3genE3ELNS1_11target_archE908ELNS1_3gpuE7ELNS1_3repE0EEENS1_30default_config_static_selectorELNS0_4arch9wavefront6targetE1EEEvSW_: ; @_ZN7rocprim17ROCPRIM_400000_NS6detail17trampoline_kernelINS0_14default_configENS1_22reduce_config_selectorIN6thrust23THRUST_200600_302600_NS5tupleIblNS6_9null_typeES8_S8_S8_S8_S8_S8_S8_EEEEZNS1_11reduce_implILb1ES3_NS6_12zip_iteratorINS7_INS6_11hip_rocprim26transform_input_iterator_tIbPKhN2at6native10EqualsModeEEENSD_19counting_iterator_tIlEES8_S8_S8_S8_S8_S8_S8_S8_EEEEPS9_S9_NSD_9__find_if7functorIS9_EEEE10hipError_tPvRmT1_T2_T3_mT4_P12ihipStream_tbEUlT_E0_NS1_11comp_targetILNS1_3genE3ELNS1_11target_archE908ELNS1_3gpuE7ELNS1_3repE0EEENS1_30default_config_static_selectorELNS0_4arch9wavefront6targetE1EEEvSW_
; %bb.0:
	.section	.rodata,"a",@progbits
	.p2align	6, 0x0
	.amdhsa_kernel _ZN7rocprim17ROCPRIM_400000_NS6detail17trampoline_kernelINS0_14default_configENS1_22reduce_config_selectorIN6thrust23THRUST_200600_302600_NS5tupleIblNS6_9null_typeES8_S8_S8_S8_S8_S8_S8_EEEEZNS1_11reduce_implILb1ES3_NS6_12zip_iteratorINS7_INS6_11hip_rocprim26transform_input_iterator_tIbPKhN2at6native10EqualsModeEEENSD_19counting_iterator_tIlEES8_S8_S8_S8_S8_S8_S8_S8_EEEEPS9_S9_NSD_9__find_if7functorIS9_EEEE10hipError_tPvRmT1_T2_T3_mT4_P12ihipStream_tbEUlT_E0_NS1_11comp_targetILNS1_3genE3ELNS1_11target_archE908ELNS1_3gpuE7ELNS1_3repE0EEENS1_30default_config_static_selectorELNS0_4arch9wavefront6targetE1EEEvSW_
		.amdhsa_group_segment_fixed_size 0
		.amdhsa_private_segment_fixed_size 0
		.amdhsa_kernarg_size 88
		.amdhsa_user_sgpr_count 6
		.amdhsa_user_sgpr_private_segment_buffer 1
		.amdhsa_user_sgpr_dispatch_ptr 0
		.amdhsa_user_sgpr_queue_ptr 0
		.amdhsa_user_sgpr_kernarg_segment_ptr 1
		.amdhsa_user_sgpr_dispatch_id 0
		.amdhsa_user_sgpr_flat_scratch_init 0
		.amdhsa_user_sgpr_kernarg_preload_length 0
		.amdhsa_user_sgpr_kernarg_preload_offset 0
		.amdhsa_user_sgpr_private_segment_size 0
		.amdhsa_uses_dynamic_stack 0
		.amdhsa_system_sgpr_private_segment_wavefront_offset 0
		.amdhsa_system_sgpr_workgroup_id_x 1
		.amdhsa_system_sgpr_workgroup_id_y 0
		.amdhsa_system_sgpr_workgroup_id_z 0
		.amdhsa_system_sgpr_workgroup_info 0
		.amdhsa_system_vgpr_workitem_id 0
		.amdhsa_next_free_vgpr 1
		.amdhsa_next_free_sgpr 0
		.amdhsa_accum_offset 4
		.amdhsa_reserve_vcc 0
		.amdhsa_reserve_flat_scratch 0
		.amdhsa_float_round_mode_32 0
		.amdhsa_float_round_mode_16_64 0
		.amdhsa_float_denorm_mode_32 3
		.amdhsa_float_denorm_mode_16_64 3
		.amdhsa_dx10_clamp 1
		.amdhsa_ieee_mode 1
		.amdhsa_fp16_overflow 0
		.amdhsa_tg_split 0
		.amdhsa_exception_fp_ieee_invalid_op 0
		.amdhsa_exception_fp_denorm_src 0
		.amdhsa_exception_fp_ieee_div_zero 0
		.amdhsa_exception_fp_ieee_overflow 0
		.amdhsa_exception_fp_ieee_underflow 0
		.amdhsa_exception_fp_ieee_inexact 0
		.amdhsa_exception_int_div_zero 0
	.end_amdhsa_kernel
	.section	.text._ZN7rocprim17ROCPRIM_400000_NS6detail17trampoline_kernelINS0_14default_configENS1_22reduce_config_selectorIN6thrust23THRUST_200600_302600_NS5tupleIblNS6_9null_typeES8_S8_S8_S8_S8_S8_S8_EEEEZNS1_11reduce_implILb1ES3_NS6_12zip_iteratorINS7_INS6_11hip_rocprim26transform_input_iterator_tIbPKhN2at6native10EqualsModeEEENSD_19counting_iterator_tIlEES8_S8_S8_S8_S8_S8_S8_S8_EEEEPS9_S9_NSD_9__find_if7functorIS9_EEEE10hipError_tPvRmT1_T2_T3_mT4_P12ihipStream_tbEUlT_E0_NS1_11comp_targetILNS1_3genE3ELNS1_11target_archE908ELNS1_3gpuE7ELNS1_3repE0EEENS1_30default_config_static_selectorELNS0_4arch9wavefront6targetE1EEEvSW_,"axG",@progbits,_ZN7rocprim17ROCPRIM_400000_NS6detail17trampoline_kernelINS0_14default_configENS1_22reduce_config_selectorIN6thrust23THRUST_200600_302600_NS5tupleIblNS6_9null_typeES8_S8_S8_S8_S8_S8_S8_EEEEZNS1_11reduce_implILb1ES3_NS6_12zip_iteratorINS7_INS6_11hip_rocprim26transform_input_iterator_tIbPKhN2at6native10EqualsModeEEENSD_19counting_iterator_tIlEES8_S8_S8_S8_S8_S8_S8_S8_EEEEPS9_S9_NSD_9__find_if7functorIS9_EEEE10hipError_tPvRmT1_T2_T3_mT4_P12ihipStream_tbEUlT_E0_NS1_11comp_targetILNS1_3genE3ELNS1_11target_archE908ELNS1_3gpuE7ELNS1_3repE0EEENS1_30default_config_static_selectorELNS0_4arch9wavefront6targetE1EEEvSW_,comdat
.Lfunc_end57:
	.size	_ZN7rocprim17ROCPRIM_400000_NS6detail17trampoline_kernelINS0_14default_configENS1_22reduce_config_selectorIN6thrust23THRUST_200600_302600_NS5tupleIblNS6_9null_typeES8_S8_S8_S8_S8_S8_S8_EEEEZNS1_11reduce_implILb1ES3_NS6_12zip_iteratorINS7_INS6_11hip_rocprim26transform_input_iterator_tIbPKhN2at6native10EqualsModeEEENSD_19counting_iterator_tIlEES8_S8_S8_S8_S8_S8_S8_S8_EEEEPS9_S9_NSD_9__find_if7functorIS9_EEEE10hipError_tPvRmT1_T2_T3_mT4_P12ihipStream_tbEUlT_E0_NS1_11comp_targetILNS1_3genE3ELNS1_11target_archE908ELNS1_3gpuE7ELNS1_3repE0EEENS1_30default_config_static_selectorELNS0_4arch9wavefront6targetE1EEEvSW_, .Lfunc_end57-_ZN7rocprim17ROCPRIM_400000_NS6detail17trampoline_kernelINS0_14default_configENS1_22reduce_config_selectorIN6thrust23THRUST_200600_302600_NS5tupleIblNS6_9null_typeES8_S8_S8_S8_S8_S8_S8_EEEEZNS1_11reduce_implILb1ES3_NS6_12zip_iteratorINS7_INS6_11hip_rocprim26transform_input_iterator_tIbPKhN2at6native10EqualsModeEEENSD_19counting_iterator_tIlEES8_S8_S8_S8_S8_S8_S8_S8_EEEEPS9_S9_NSD_9__find_if7functorIS9_EEEE10hipError_tPvRmT1_T2_T3_mT4_P12ihipStream_tbEUlT_E0_NS1_11comp_targetILNS1_3genE3ELNS1_11target_archE908ELNS1_3gpuE7ELNS1_3repE0EEENS1_30default_config_static_selectorELNS0_4arch9wavefront6targetE1EEEvSW_
                                        ; -- End function
	.section	.AMDGPU.csdata,"",@progbits
; Kernel info:
; codeLenInByte = 0
; NumSgprs: 4
; NumVgprs: 0
; NumAgprs: 0
; TotalNumVgprs: 0
; ScratchSize: 0
; MemoryBound: 0
; FloatMode: 240
; IeeeMode: 1
; LDSByteSize: 0 bytes/workgroup (compile time only)
; SGPRBlocks: 0
; VGPRBlocks: 0
; NumSGPRsForWavesPerEU: 4
; NumVGPRsForWavesPerEU: 1
; AccumOffset: 4
; Occupancy: 8
; WaveLimiterHint : 0
; COMPUTE_PGM_RSRC2:SCRATCH_EN: 0
; COMPUTE_PGM_RSRC2:USER_SGPR: 6
; COMPUTE_PGM_RSRC2:TRAP_HANDLER: 0
; COMPUTE_PGM_RSRC2:TGID_X_EN: 1
; COMPUTE_PGM_RSRC2:TGID_Y_EN: 0
; COMPUTE_PGM_RSRC2:TGID_Z_EN: 0
; COMPUTE_PGM_RSRC2:TIDIG_COMP_CNT: 0
; COMPUTE_PGM_RSRC3_GFX90A:ACCUM_OFFSET: 0
; COMPUTE_PGM_RSRC3_GFX90A:TG_SPLIT: 0
	.section	.text._ZN7rocprim17ROCPRIM_400000_NS6detail17trampoline_kernelINS0_14default_configENS1_22reduce_config_selectorIN6thrust23THRUST_200600_302600_NS5tupleIblNS6_9null_typeES8_S8_S8_S8_S8_S8_S8_EEEEZNS1_11reduce_implILb1ES3_NS6_12zip_iteratorINS7_INS6_11hip_rocprim26transform_input_iterator_tIbPKhN2at6native10EqualsModeEEENSD_19counting_iterator_tIlEES8_S8_S8_S8_S8_S8_S8_S8_EEEEPS9_S9_NSD_9__find_if7functorIS9_EEEE10hipError_tPvRmT1_T2_T3_mT4_P12ihipStream_tbEUlT_E0_NS1_11comp_targetILNS1_3genE2ELNS1_11target_archE906ELNS1_3gpuE6ELNS1_3repE0EEENS1_30default_config_static_selectorELNS0_4arch9wavefront6targetE1EEEvSW_,"axG",@progbits,_ZN7rocprim17ROCPRIM_400000_NS6detail17trampoline_kernelINS0_14default_configENS1_22reduce_config_selectorIN6thrust23THRUST_200600_302600_NS5tupleIblNS6_9null_typeES8_S8_S8_S8_S8_S8_S8_EEEEZNS1_11reduce_implILb1ES3_NS6_12zip_iteratorINS7_INS6_11hip_rocprim26transform_input_iterator_tIbPKhN2at6native10EqualsModeEEENSD_19counting_iterator_tIlEES8_S8_S8_S8_S8_S8_S8_S8_EEEEPS9_S9_NSD_9__find_if7functorIS9_EEEE10hipError_tPvRmT1_T2_T3_mT4_P12ihipStream_tbEUlT_E0_NS1_11comp_targetILNS1_3genE2ELNS1_11target_archE906ELNS1_3gpuE6ELNS1_3repE0EEENS1_30default_config_static_selectorELNS0_4arch9wavefront6targetE1EEEvSW_,comdat
	.protected	_ZN7rocprim17ROCPRIM_400000_NS6detail17trampoline_kernelINS0_14default_configENS1_22reduce_config_selectorIN6thrust23THRUST_200600_302600_NS5tupleIblNS6_9null_typeES8_S8_S8_S8_S8_S8_S8_EEEEZNS1_11reduce_implILb1ES3_NS6_12zip_iteratorINS7_INS6_11hip_rocprim26transform_input_iterator_tIbPKhN2at6native10EqualsModeEEENSD_19counting_iterator_tIlEES8_S8_S8_S8_S8_S8_S8_S8_EEEEPS9_S9_NSD_9__find_if7functorIS9_EEEE10hipError_tPvRmT1_T2_T3_mT4_P12ihipStream_tbEUlT_E0_NS1_11comp_targetILNS1_3genE2ELNS1_11target_archE906ELNS1_3gpuE6ELNS1_3repE0EEENS1_30default_config_static_selectorELNS0_4arch9wavefront6targetE1EEEvSW_ ; -- Begin function _ZN7rocprim17ROCPRIM_400000_NS6detail17trampoline_kernelINS0_14default_configENS1_22reduce_config_selectorIN6thrust23THRUST_200600_302600_NS5tupleIblNS6_9null_typeES8_S8_S8_S8_S8_S8_S8_EEEEZNS1_11reduce_implILb1ES3_NS6_12zip_iteratorINS7_INS6_11hip_rocprim26transform_input_iterator_tIbPKhN2at6native10EqualsModeEEENSD_19counting_iterator_tIlEES8_S8_S8_S8_S8_S8_S8_S8_EEEEPS9_S9_NSD_9__find_if7functorIS9_EEEE10hipError_tPvRmT1_T2_T3_mT4_P12ihipStream_tbEUlT_E0_NS1_11comp_targetILNS1_3genE2ELNS1_11target_archE906ELNS1_3gpuE6ELNS1_3repE0EEENS1_30default_config_static_selectorELNS0_4arch9wavefront6targetE1EEEvSW_
	.globl	_ZN7rocprim17ROCPRIM_400000_NS6detail17trampoline_kernelINS0_14default_configENS1_22reduce_config_selectorIN6thrust23THRUST_200600_302600_NS5tupleIblNS6_9null_typeES8_S8_S8_S8_S8_S8_S8_EEEEZNS1_11reduce_implILb1ES3_NS6_12zip_iteratorINS7_INS6_11hip_rocprim26transform_input_iterator_tIbPKhN2at6native10EqualsModeEEENSD_19counting_iterator_tIlEES8_S8_S8_S8_S8_S8_S8_S8_EEEEPS9_S9_NSD_9__find_if7functorIS9_EEEE10hipError_tPvRmT1_T2_T3_mT4_P12ihipStream_tbEUlT_E0_NS1_11comp_targetILNS1_3genE2ELNS1_11target_archE906ELNS1_3gpuE6ELNS1_3repE0EEENS1_30default_config_static_selectorELNS0_4arch9wavefront6targetE1EEEvSW_
	.p2align	8
	.type	_ZN7rocprim17ROCPRIM_400000_NS6detail17trampoline_kernelINS0_14default_configENS1_22reduce_config_selectorIN6thrust23THRUST_200600_302600_NS5tupleIblNS6_9null_typeES8_S8_S8_S8_S8_S8_S8_EEEEZNS1_11reduce_implILb1ES3_NS6_12zip_iteratorINS7_INS6_11hip_rocprim26transform_input_iterator_tIbPKhN2at6native10EqualsModeEEENSD_19counting_iterator_tIlEES8_S8_S8_S8_S8_S8_S8_S8_EEEEPS9_S9_NSD_9__find_if7functorIS9_EEEE10hipError_tPvRmT1_T2_T3_mT4_P12ihipStream_tbEUlT_E0_NS1_11comp_targetILNS1_3genE2ELNS1_11target_archE906ELNS1_3gpuE6ELNS1_3repE0EEENS1_30default_config_static_selectorELNS0_4arch9wavefront6targetE1EEEvSW_,@function
_ZN7rocprim17ROCPRIM_400000_NS6detail17trampoline_kernelINS0_14default_configENS1_22reduce_config_selectorIN6thrust23THRUST_200600_302600_NS5tupleIblNS6_9null_typeES8_S8_S8_S8_S8_S8_S8_EEEEZNS1_11reduce_implILb1ES3_NS6_12zip_iteratorINS7_INS6_11hip_rocprim26transform_input_iterator_tIbPKhN2at6native10EqualsModeEEENSD_19counting_iterator_tIlEES8_S8_S8_S8_S8_S8_S8_S8_EEEEPS9_S9_NSD_9__find_if7functorIS9_EEEE10hipError_tPvRmT1_T2_T3_mT4_P12ihipStream_tbEUlT_E0_NS1_11comp_targetILNS1_3genE2ELNS1_11target_archE906ELNS1_3gpuE6ELNS1_3repE0EEENS1_30default_config_static_selectorELNS0_4arch9wavefront6targetE1EEEvSW_: ; @_ZN7rocprim17ROCPRIM_400000_NS6detail17trampoline_kernelINS0_14default_configENS1_22reduce_config_selectorIN6thrust23THRUST_200600_302600_NS5tupleIblNS6_9null_typeES8_S8_S8_S8_S8_S8_S8_EEEEZNS1_11reduce_implILb1ES3_NS6_12zip_iteratorINS7_INS6_11hip_rocprim26transform_input_iterator_tIbPKhN2at6native10EqualsModeEEENSD_19counting_iterator_tIlEES8_S8_S8_S8_S8_S8_S8_S8_EEEEPS9_S9_NSD_9__find_if7functorIS9_EEEE10hipError_tPvRmT1_T2_T3_mT4_P12ihipStream_tbEUlT_E0_NS1_11comp_targetILNS1_3genE2ELNS1_11target_archE906ELNS1_3gpuE6ELNS1_3repE0EEENS1_30default_config_static_selectorELNS0_4arch9wavefront6targetE1EEEvSW_
; %bb.0:
	.section	.rodata,"a",@progbits
	.p2align	6, 0x0
	.amdhsa_kernel _ZN7rocprim17ROCPRIM_400000_NS6detail17trampoline_kernelINS0_14default_configENS1_22reduce_config_selectorIN6thrust23THRUST_200600_302600_NS5tupleIblNS6_9null_typeES8_S8_S8_S8_S8_S8_S8_EEEEZNS1_11reduce_implILb1ES3_NS6_12zip_iteratorINS7_INS6_11hip_rocprim26transform_input_iterator_tIbPKhN2at6native10EqualsModeEEENSD_19counting_iterator_tIlEES8_S8_S8_S8_S8_S8_S8_S8_EEEEPS9_S9_NSD_9__find_if7functorIS9_EEEE10hipError_tPvRmT1_T2_T3_mT4_P12ihipStream_tbEUlT_E0_NS1_11comp_targetILNS1_3genE2ELNS1_11target_archE906ELNS1_3gpuE6ELNS1_3repE0EEENS1_30default_config_static_selectorELNS0_4arch9wavefront6targetE1EEEvSW_
		.amdhsa_group_segment_fixed_size 0
		.amdhsa_private_segment_fixed_size 0
		.amdhsa_kernarg_size 88
		.amdhsa_user_sgpr_count 6
		.amdhsa_user_sgpr_private_segment_buffer 1
		.amdhsa_user_sgpr_dispatch_ptr 0
		.amdhsa_user_sgpr_queue_ptr 0
		.amdhsa_user_sgpr_kernarg_segment_ptr 1
		.amdhsa_user_sgpr_dispatch_id 0
		.amdhsa_user_sgpr_flat_scratch_init 0
		.amdhsa_user_sgpr_kernarg_preload_length 0
		.amdhsa_user_sgpr_kernarg_preload_offset 0
		.amdhsa_user_sgpr_private_segment_size 0
		.amdhsa_uses_dynamic_stack 0
		.amdhsa_system_sgpr_private_segment_wavefront_offset 0
		.amdhsa_system_sgpr_workgroup_id_x 1
		.amdhsa_system_sgpr_workgroup_id_y 0
		.amdhsa_system_sgpr_workgroup_id_z 0
		.amdhsa_system_sgpr_workgroup_info 0
		.amdhsa_system_vgpr_workitem_id 0
		.amdhsa_next_free_vgpr 1
		.amdhsa_next_free_sgpr 0
		.amdhsa_accum_offset 4
		.amdhsa_reserve_vcc 0
		.amdhsa_reserve_flat_scratch 0
		.amdhsa_float_round_mode_32 0
		.amdhsa_float_round_mode_16_64 0
		.amdhsa_float_denorm_mode_32 3
		.amdhsa_float_denorm_mode_16_64 3
		.amdhsa_dx10_clamp 1
		.amdhsa_ieee_mode 1
		.amdhsa_fp16_overflow 0
		.amdhsa_tg_split 0
		.amdhsa_exception_fp_ieee_invalid_op 0
		.amdhsa_exception_fp_denorm_src 0
		.amdhsa_exception_fp_ieee_div_zero 0
		.amdhsa_exception_fp_ieee_overflow 0
		.amdhsa_exception_fp_ieee_underflow 0
		.amdhsa_exception_fp_ieee_inexact 0
		.amdhsa_exception_int_div_zero 0
	.end_amdhsa_kernel
	.section	.text._ZN7rocprim17ROCPRIM_400000_NS6detail17trampoline_kernelINS0_14default_configENS1_22reduce_config_selectorIN6thrust23THRUST_200600_302600_NS5tupleIblNS6_9null_typeES8_S8_S8_S8_S8_S8_S8_EEEEZNS1_11reduce_implILb1ES3_NS6_12zip_iteratorINS7_INS6_11hip_rocprim26transform_input_iterator_tIbPKhN2at6native10EqualsModeEEENSD_19counting_iterator_tIlEES8_S8_S8_S8_S8_S8_S8_S8_EEEEPS9_S9_NSD_9__find_if7functorIS9_EEEE10hipError_tPvRmT1_T2_T3_mT4_P12ihipStream_tbEUlT_E0_NS1_11comp_targetILNS1_3genE2ELNS1_11target_archE906ELNS1_3gpuE6ELNS1_3repE0EEENS1_30default_config_static_selectorELNS0_4arch9wavefront6targetE1EEEvSW_,"axG",@progbits,_ZN7rocprim17ROCPRIM_400000_NS6detail17trampoline_kernelINS0_14default_configENS1_22reduce_config_selectorIN6thrust23THRUST_200600_302600_NS5tupleIblNS6_9null_typeES8_S8_S8_S8_S8_S8_S8_EEEEZNS1_11reduce_implILb1ES3_NS6_12zip_iteratorINS7_INS6_11hip_rocprim26transform_input_iterator_tIbPKhN2at6native10EqualsModeEEENSD_19counting_iterator_tIlEES8_S8_S8_S8_S8_S8_S8_S8_EEEEPS9_S9_NSD_9__find_if7functorIS9_EEEE10hipError_tPvRmT1_T2_T3_mT4_P12ihipStream_tbEUlT_E0_NS1_11comp_targetILNS1_3genE2ELNS1_11target_archE906ELNS1_3gpuE6ELNS1_3repE0EEENS1_30default_config_static_selectorELNS0_4arch9wavefront6targetE1EEEvSW_,comdat
.Lfunc_end58:
	.size	_ZN7rocprim17ROCPRIM_400000_NS6detail17trampoline_kernelINS0_14default_configENS1_22reduce_config_selectorIN6thrust23THRUST_200600_302600_NS5tupleIblNS6_9null_typeES8_S8_S8_S8_S8_S8_S8_EEEEZNS1_11reduce_implILb1ES3_NS6_12zip_iteratorINS7_INS6_11hip_rocprim26transform_input_iterator_tIbPKhN2at6native10EqualsModeEEENSD_19counting_iterator_tIlEES8_S8_S8_S8_S8_S8_S8_S8_EEEEPS9_S9_NSD_9__find_if7functorIS9_EEEE10hipError_tPvRmT1_T2_T3_mT4_P12ihipStream_tbEUlT_E0_NS1_11comp_targetILNS1_3genE2ELNS1_11target_archE906ELNS1_3gpuE6ELNS1_3repE0EEENS1_30default_config_static_selectorELNS0_4arch9wavefront6targetE1EEEvSW_, .Lfunc_end58-_ZN7rocprim17ROCPRIM_400000_NS6detail17trampoline_kernelINS0_14default_configENS1_22reduce_config_selectorIN6thrust23THRUST_200600_302600_NS5tupleIblNS6_9null_typeES8_S8_S8_S8_S8_S8_S8_EEEEZNS1_11reduce_implILb1ES3_NS6_12zip_iteratorINS7_INS6_11hip_rocprim26transform_input_iterator_tIbPKhN2at6native10EqualsModeEEENSD_19counting_iterator_tIlEES8_S8_S8_S8_S8_S8_S8_S8_EEEEPS9_S9_NSD_9__find_if7functorIS9_EEEE10hipError_tPvRmT1_T2_T3_mT4_P12ihipStream_tbEUlT_E0_NS1_11comp_targetILNS1_3genE2ELNS1_11target_archE906ELNS1_3gpuE6ELNS1_3repE0EEENS1_30default_config_static_selectorELNS0_4arch9wavefront6targetE1EEEvSW_
                                        ; -- End function
	.section	.AMDGPU.csdata,"",@progbits
; Kernel info:
; codeLenInByte = 0
; NumSgprs: 4
; NumVgprs: 0
; NumAgprs: 0
; TotalNumVgprs: 0
; ScratchSize: 0
; MemoryBound: 0
; FloatMode: 240
; IeeeMode: 1
; LDSByteSize: 0 bytes/workgroup (compile time only)
; SGPRBlocks: 0
; VGPRBlocks: 0
; NumSGPRsForWavesPerEU: 4
; NumVGPRsForWavesPerEU: 1
; AccumOffset: 4
; Occupancy: 8
; WaveLimiterHint : 0
; COMPUTE_PGM_RSRC2:SCRATCH_EN: 0
; COMPUTE_PGM_RSRC2:USER_SGPR: 6
; COMPUTE_PGM_RSRC2:TRAP_HANDLER: 0
; COMPUTE_PGM_RSRC2:TGID_X_EN: 1
; COMPUTE_PGM_RSRC2:TGID_Y_EN: 0
; COMPUTE_PGM_RSRC2:TGID_Z_EN: 0
; COMPUTE_PGM_RSRC2:TIDIG_COMP_CNT: 0
; COMPUTE_PGM_RSRC3_GFX90A:ACCUM_OFFSET: 0
; COMPUTE_PGM_RSRC3_GFX90A:TG_SPLIT: 0
	.section	.text._ZN7rocprim17ROCPRIM_400000_NS6detail17trampoline_kernelINS0_14default_configENS1_22reduce_config_selectorIN6thrust23THRUST_200600_302600_NS5tupleIblNS6_9null_typeES8_S8_S8_S8_S8_S8_S8_EEEEZNS1_11reduce_implILb1ES3_NS6_12zip_iteratorINS7_INS6_11hip_rocprim26transform_input_iterator_tIbPKhN2at6native10EqualsModeEEENSD_19counting_iterator_tIlEES8_S8_S8_S8_S8_S8_S8_S8_EEEEPS9_S9_NSD_9__find_if7functorIS9_EEEE10hipError_tPvRmT1_T2_T3_mT4_P12ihipStream_tbEUlT_E0_NS1_11comp_targetILNS1_3genE10ELNS1_11target_archE1201ELNS1_3gpuE5ELNS1_3repE0EEENS1_30default_config_static_selectorELNS0_4arch9wavefront6targetE1EEEvSW_,"axG",@progbits,_ZN7rocprim17ROCPRIM_400000_NS6detail17trampoline_kernelINS0_14default_configENS1_22reduce_config_selectorIN6thrust23THRUST_200600_302600_NS5tupleIblNS6_9null_typeES8_S8_S8_S8_S8_S8_S8_EEEEZNS1_11reduce_implILb1ES3_NS6_12zip_iteratorINS7_INS6_11hip_rocprim26transform_input_iterator_tIbPKhN2at6native10EqualsModeEEENSD_19counting_iterator_tIlEES8_S8_S8_S8_S8_S8_S8_S8_EEEEPS9_S9_NSD_9__find_if7functorIS9_EEEE10hipError_tPvRmT1_T2_T3_mT4_P12ihipStream_tbEUlT_E0_NS1_11comp_targetILNS1_3genE10ELNS1_11target_archE1201ELNS1_3gpuE5ELNS1_3repE0EEENS1_30default_config_static_selectorELNS0_4arch9wavefront6targetE1EEEvSW_,comdat
	.protected	_ZN7rocprim17ROCPRIM_400000_NS6detail17trampoline_kernelINS0_14default_configENS1_22reduce_config_selectorIN6thrust23THRUST_200600_302600_NS5tupleIblNS6_9null_typeES8_S8_S8_S8_S8_S8_S8_EEEEZNS1_11reduce_implILb1ES3_NS6_12zip_iteratorINS7_INS6_11hip_rocprim26transform_input_iterator_tIbPKhN2at6native10EqualsModeEEENSD_19counting_iterator_tIlEES8_S8_S8_S8_S8_S8_S8_S8_EEEEPS9_S9_NSD_9__find_if7functorIS9_EEEE10hipError_tPvRmT1_T2_T3_mT4_P12ihipStream_tbEUlT_E0_NS1_11comp_targetILNS1_3genE10ELNS1_11target_archE1201ELNS1_3gpuE5ELNS1_3repE0EEENS1_30default_config_static_selectorELNS0_4arch9wavefront6targetE1EEEvSW_ ; -- Begin function _ZN7rocprim17ROCPRIM_400000_NS6detail17trampoline_kernelINS0_14default_configENS1_22reduce_config_selectorIN6thrust23THRUST_200600_302600_NS5tupleIblNS6_9null_typeES8_S8_S8_S8_S8_S8_S8_EEEEZNS1_11reduce_implILb1ES3_NS6_12zip_iteratorINS7_INS6_11hip_rocprim26transform_input_iterator_tIbPKhN2at6native10EqualsModeEEENSD_19counting_iterator_tIlEES8_S8_S8_S8_S8_S8_S8_S8_EEEEPS9_S9_NSD_9__find_if7functorIS9_EEEE10hipError_tPvRmT1_T2_T3_mT4_P12ihipStream_tbEUlT_E0_NS1_11comp_targetILNS1_3genE10ELNS1_11target_archE1201ELNS1_3gpuE5ELNS1_3repE0EEENS1_30default_config_static_selectorELNS0_4arch9wavefront6targetE1EEEvSW_
	.globl	_ZN7rocprim17ROCPRIM_400000_NS6detail17trampoline_kernelINS0_14default_configENS1_22reduce_config_selectorIN6thrust23THRUST_200600_302600_NS5tupleIblNS6_9null_typeES8_S8_S8_S8_S8_S8_S8_EEEEZNS1_11reduce_implILb1ES3_NS6_12zip_iteratorINS7_INS6_11hip_rocprim26transform_input_iterator_tIbPKhN2at6native10EqualsModeEEENSD_19counting_iterator_tIlEES8_S8_S8_S8_S8_S8_S8_S8_EEEEPS9_S9_NSD_9__find_if7functorIS9_EEEE10hipError_tPvRmT1_T2_T3_mT4_P12ihipStream_tbEUlT_E0_NS1_11comp_targetILNS1_3genE10ELNS1_11target_archE1201ELNS1_3gpuE5ELNS1_3repE0EEENS1_30default_config_static_selectorELNS0_4arch9wavefront6targetE1EEEvSW_
	.p2align	8
	.type	_ZN7rocprim17ROCPRIM_400000_NS6detail17trampoline_kernelINS0_14default_configENS1_22reduce_config_selectorIN6thrust23THRUST_200600_302600_NS5tupleIblNS6_9null_typeES8_S8_S8_S8_S8_S8_S8_EEEEZNS1_11reduce_implILb1ES3_NS6_12zip_iteratorINS7_INS6_11hip_rocprim26transform_input_iterator_tIbPKhN2at6native10EqualsModeEEENSD_19counting_iterator_tIlEES8_S8_S8_S8_S8_S8_S8_S8_EEEEPS9_S9_NSD_9__find_if7functorIS9_EEEE10hipError_tPvRmT1_T2_T3_mT4_P12ihipStream_tbEUlT_E0_NS1_11comp_targetILNS1_3genE10ELNS1_11target_archE1201ELNS1_3gpuE5ELNS1_3repE0EEENS1_30default_config_static_selectorELNS0_4arch9wavefront6targetE1EEEvSW_,@function
_ZN7rocprim17ROCPRIM_400000_NS6detail17trampoline_kernelINS0_14default_configENS1_22reduce_config_selectorIN6thrust23THRUST_200600_302600_NS5tupleIblNS6_9null_typeES8_S8_S8_S8_S8_S8_S8_EEEEZNS1_11reduce_implILb1ES3_NS6_12zip_iteratorINS7_INS6_11hip_rocprim26transform_input_iterator_tIbPKhN2at6native10EqualsModeEEENSD_19counting_iterator_tIlEES8_S8_S8_S8_S8_S8_S8_S8_EEEEPS9_S9_NSD_9__find_if7functorIS9_EEEE10hipError_tPvRmT1_T2_T3_mT4_P12ihipStream_tbEUlT_E0_NS1_11comp_targetILNS1_3genE10ELNS1_11target_archE1201ELNS1_3gpuE5ELNS1_3repE0EEENS1_30default_config_static_selectorELNS0_4arch9wavefront6targetE1EEEvSW_: ; @_ZN7rocprim17ROCPRIM_400000_NS6detail17trampoline_kernelINS0_14default_configENS1_22reduce_config_selectorIN6thrust23THRUST_200600_302600_NS5tupleIblNS6_9null_typeES8_S8_S8_S8_S8_S8_S8_EEEEZNS1_11reduce_implILb1ES3_NS6_12zip_iteratorINS7_INS6_11hip_rocprim26transform_input_iterator_tIbPKhN2at6native10EqualsModeEEENSD_19counting_iterator_tIlEES8_S8_S8_S8_S8_S8_S8_S8_EEEEPS9_S9_NSD_9__find_if7functorIS9_EEEE10hipError_tPvRmT1_T2_T3_mT4_P12ihipStream_tbEUlT_E0_NS1_11comp_targetILNS1_3genE10ELNS1_11target_archE1201ELNS1_3gpuE5ELNS1_3repE0EEENS1_30default_config_static_selectorELNS0_4arch9wavefront6targetE1EEEvSW_
; %bb.0:
	.section	.rodata,"a",@progbits
	.p2align	6, 0x0
	.amdhsa_kernel _ZN7rocprim17ROCPRIM_400000_NS6detail17trampoline_kernelINS0_14default_configENS1_22reduce_config_selectorIN6thrust23THRUST_200600_302600_NS5tupleIblNS6_9null_typeES8_S8_S8_S8_S8_S8_S8_EEEEZNS1_11reduce_implILb1ES3_NS6_12zip_iteratorINS7_INS6_11hip_rocprim26transform_input_iterator_tIbPKhN2at6native10EqualsModeEEENSD_19counting_iterator_tIlEES8_S8_S8_S8_S8_S8_S8_S8_EEEEPS9_S9_NSD_9__find_if7functorIS9_EEEE10hipError_tPvRmT1_T2_T3_mT4_P12ihipStream_tbEUlT_E0_NS1_11comp_targetILNS1_3genE10ELNS1_11target_archE1201ELNS1_3gpuE5ELNS1_3repE0EEENS1_30default_config_static_selectorELNS0_4arch9wavefront6targetE1EEEvSW_
		.amdhsa_group_segment_fixed_size 0
		.amdhsa_private_segment_fixed_size 0
		.amdhsa_kernarg_size 88
		.amdhsa_user_sgpr_count 6
		.amdhsa_user_sgpr_private_segment_buffer 1
		.amdhsa_user_sgpr_dispatch_ptr 0
		.amdhsa_user_sgpr_queue_ptr 0
		.amdhsa_user_sgpr_kernarg_segment_ptr 1
		.amdhsa_user_sgpr_dispatch_id 0
		.amdhsa_user_sgpr_flat_scratch_init 0
		.amdhsa_user_sgpr_kernarg_preload_length 0
		.amdhsa_user_sgpr_kernarg_preload_offset 0
		.amdhsa_user_sgpr_private_segment_size 0
		.amdhsa_uses_dynamic_stack 0
		.amdhsa_system_sgpr_private_segment_wavefront_offset 0
		.amdhsa_system_sgpr_workgroup_id_x 1
		.amdhsa_system_sgpr_workgroup_id_y 0
		.amdhsa_system_sgpr_workgroup_id_z 0
		.amdhsa_system_sgpr_workgroup_info 0
		.amdhsa_system_vgpr_workitem_id 0
		.amdhsa_next_free_vgpr 1
		.amdhsa_next_free_sgpr 0
		.amdhsa_accum_offset 4
		.amdhsa_reserve_vcc 0
		.amdhsa_reserve_flat_scratch 0
		.amdhsa_float_round_mode_32 0
		.amdhsa_float_round_mode_16_64 0
		.amdhsa_float_denorm_mode_32 3
		.amdhsa_float_denorm_mode_16_64 3
		.amdhsa_dx10_clamp 1
		.amdhsa_ieee_mode 1
		.amdhsa_fp16_overflow 0
		.amdhsa_tg_split 0
		.amdhsa_exception_fp_ieee_invalid_op 0
		.amdhsa_exception_fp_denorm_src 0
		.amdhsa_exception_fp_ieee_div_zero 0
		.amdhsa_exception_fp_ieee_overflow 0
		.amdhsa_exception_fp_ieee_underflow 0
		.amdhsa_exception_fp_ieee_inexact 0
		.amdhsa_exception_int_div_zero 0
	.end_amdhsa_kernel
	.section	.text._ZN7rocprim17ROCPRIM_400000_NS6detail17trampoline_kernelINS0_14default_configENS1_22reduce_config_selectorIN6thrust23THRUST_200600_302600_NS5tupleIblNS6_9null_typeES8_S8_S8_S8_S8_S8_S8_EEEEZNS1_11reduce_implILb1ES3_NS6_12zip_iteratorINS7_INS6_11hip_rocprim26transform_input_iterator_tIbPKhN2at6native10EqualsModeEEENSD_19counting_iterator_tIlEES8_S8_S8_S8_S8_S8_S8_S8_EEEEPS9_S9_NSD_9__find_if7functorIS9_EEEE10hipError_tPvRmT1_T2_T3_mT4_P12ihipStream_tbEUlT_E0_NS1_11comp_targetILNS1_3genE10ELNS1_11target_archE1201ELNS1_3gpuE5ELNS1_3repE0EEENS1_30default_config_static_selectorELNS0_4arch9wavefront6targetE1EEEvSW_,"axG",@progbits,_ZN7rocprim17ROCPRIM_400000_NS6detail17trampoline_kernelINS0_14default_configENS1_22reduce_config_selectorIN6thrust23THRUST_200600_302600_NS5tupleIblNS6_9null_typeES8_S8_S8_S8_S8_S8_S8_EEEEZNS1_11reduce_implILb1ES3_NS6_12zip_iteratorINS7_INS6_11hip_rocprim26transform_input_iterator_tIbPKhN2at6native10EqualsModeEEENSD_19counting_iterator_tIlEES8_S8_S8_S8_S8_S8_S8_S8_EEEEPS9_S9_NSD_9__find_if7functorIS9_EEEE10hipError_tPvRmT1_T2_T3_mT4_P12ihipStream_tbEUlT_E0_NS1_11comp_targetILNS1_3genE10ELNS1_11target_archE1201ELNS1_3gpuE5ELNS1_3repE0EEENS1_30default_config_static_selectorELNS0_4arch9wavefront6targetE1EEEvSW_,comdat
.Lfunc_end59:
	.size	_ZN7rocprim17ROCPRIM_400000_NS6detail17trampoline_kernelINS0_14default_configENS1_22reduce_config_selectorIN6thrust23THRUST_200600_302600_NS5tupleIblNS6_9null_typeES8_S8_S8_S8_S8_S8_S8_EEEEZNS1_11reduce_implILb1ES3_NS6_12zip_iteratorINS7_INS6_11hip_rocprim26transform_input_iterator_tIbPKhN2at6native10EqualsModeEEENSD_19counting_iterator_tIlEES8_S8_S8_S8_S8_S8_S8_S8_EEEEPS9_S9_NSD_9__find_if7functorIS9_EEEE10hipError_tPvRmT1_T2_T3_mT4_P12ihipStream_tbEUlT_E0_NS1_11comp_targetILNS1_3genE10ELNS1_11target_archE1201ELNS1_3gpuE5ELNS1_3repE0EEENS1_30default_config_static_selectorELNS0_4arch9wavefront6targetE1EEEvSW_, .Lfunc_end59-_ZN7rocprim17ROCPRIM_400000_NS6detail17trampoline_kernelINS0_14default_configENS1_22reduce_config_selectorIN6thrust23THRUST_200600_302600_NS5tupleIblNS6_9null_typeES8_S8_S8_S8_S8_S8_S8_EEEEZNS1_11reduce_implILb1ES3_NS6_12zip_iteratorINS7_INS6_11hip_rocprim26transform_input_iterator_tIbPKhN2at6native10EqualsModeEEENSD_19counting_iterator_tIlEES8_S8_S8_S8_S8_S8_S8_S8_EEEEPS9_S9_NSD_9__find_if7functorIS9_EEEE10hipError_tPvRmT1_T2_T3_mT4_P12ihipStream_tbEUlT_E0_NS1_11comp_targetILNS1_3genE10ELNS1_11target_archE1201ELNS1_3gpuE5ELNS1_3repE0EEENS1_30default_config_static_selectorELNS0_4arch9wavefront6targetE1EEEvSW_
                                        ; -- End function
	.section	.AMDGPU.csdata,"",@progbits
; Kernel info:
; codeLenInByte = 0
; NumSgprs: 4
; NumVgprs: 0
; NumAgprs: 0
; TotalNumVgprs: 0
; ScratchSize: 0
; MemoryBound: 0
; FloatMode: 240
; IeeeMode: 1
; LDSByteSize: 0 bytes/workgroup (compile time only)
; SGPRBlocks: 0
; VGPRBlocks: 0
; NumSGPRsForWavesPerEU: 4
; NumVGPRsForWavesPerEU: 1
; AccumOffset: 4
; Occupancy: 8
; WaveLimiterHint : 0
; COMPUTE_PGM_RSRC2:SCRATCH_EN: 0
; COMPUTE_PGM_RSRC2:USER_SGPR: 6
; COMPUTE_PGM_RSRC2:TRAP_HANDLER: 0
; COMPUTE_PGM_RSRC2:TGID_X_EN: 1
; COMPUTE_PGM_RSRC2:TGID_Y_EN: 0
; COMPUTE_PGM_RSRC2:TGID_Z_EN: 0
; COMPUTE_PGM_RSRC2:TIDIG_COMP_CNT: 0
; COMPUTE_PGM_RSRC3_GFX90A:ACCUM_OFFSET: 0
; COMPUTE_PGM_RSRC3_GFX90A:TG_SPLIT: 0
	.section	.text._ZN7rocprim17ROCPRIM_400000_NS6detail17trampoline_kernelINS0_14default_configENS1_22reduce_config_selectorIN6thrust23THRUST_200600_302600_NS5tupleIblNS6_9null_typeES8_S8_S8_S8_S8_S8_S8_EEEEZNS1_11reduce_implILb1ES3_NS6_12zip_iteratorINS7_INS6_11hip_rocprim26transform_input_iterator_tIbPKhN2at6native10EqualsModeEEENSD_19counting_iterator_tIlEES8_S8_S8_S8_S8_S8_S8_S8_EEEEPS9_S9_NSD_9__find_if7functorIS9_EEEE10hipError_tPvRmT1_T2_T3_mT4_P12ihipStream_tbEUlT_E0_NS1_11comp_targetILNS1_3genE10ELNS1_11target_archE1200ELNS1_3gpuE4ELNS1_3repE0EEENS1_30default_config_static_selectorELNS0_4arch9wavefront6targetE1EEEvSW_,"axG",@progbits,_ZN7rocprim17ROCPRIM_400000_NS6detail17trampoline_kernelINS0_14default_configENS1_22reduce_config_selectorIN6thrust23THRUST_200600_302600_NS5tupleIblNS6_9null_typeES8_S8_S8_S8_S8_S8_S8_EEEEZNS1_11reduce_implILb1ES3_NS6_12zip_iteratorINS7_INS6_11hip_rocprim26transform_input_iterator_tIbPKhN2at6native10EqualsModeEEENSD_19counting_iterator_tIlEES8_S8_S8_S8_S8_S8_S8_S8_EEEEPS9_S9_NSD_9__find_if7functorIS9_EEEE10hipError_tPvRmT1_T2_T3_mT4_P12ihipStream_tbEUlT_E0_NS1_11comp_targetILNS1_3genE10ELNS1_11target_archE1200ELNS1_3gpuE4ELNS1_3repE0EEENS1_30default_config_static_selectorELNS0_4arch9wavefront6targetE1EEEvSW_,comdat
	.protected	_ZN7rocprim17ROCPRIM_400000_NS6detail17trampoline_kernelINS0_14default_configENS1_22reduce_config_selectorIN6thrust23THRUST_200600_302600_NS5tupleIblNS6_9null_typeES8_S8_S8_S8_S8_S8_S8_EEEEZNS1_11reduce_implILb1ES3_NS6_12zip_iteratorINS7_INS6_11hip_rocprim26transform_input_iterator_tIbPKhN2at6native10EqualsModeEEENSD_19counting_iterator_tIlEES8_S8_S8_S8_S8_S8_S8_S8_EEEEPS9_S9_NSD_9__find_if7functorIS9_EEEE10hipError_tPvRmT1_T2_T3_mT4_P12ihipStream_tbEUlT_E0_NS1_11comp_targetILNS1_3genE10ELNS1_11target_archE1200ELNS1_3gpuE4ELNS1_3repE0EEENS1_30default_config_static_selectorELNS0_4arch9wavefront6targetE1EEEvSW_ ; -- Begin function _ZN7rocprim17ROCPRIM_400000_NS6detail17trampoline_kernelINS0_14default_configENS1_22reduce_config_selectorIN6thrust23THRUST_200600_302600_NS5tupleIblNS6_9null_typeES8_S8_S8_S8_S8_S8_S8_EEEEZNS1_11reduce_implILb1ES3_NS6_12zip_iteratorINS7_INS6_11hip_rocprim26transform_input_iterator_tIbPKhN2at6native10EqualsModeEEENSD_19counting_iterator_tIlEES8_S8_S8_S8_S8_S8_S8_S8_EEEEPS9_S9_NSD_9__find_if7functorIS9_EEEE10hipError_tPvRmT1_T2_T3_mT4_P12ihipStream_tbEUlT_E0_NS1_11comp_targetILNS1_3genE10ELNS1_11target_archE1200ELNS1_3gpuE4ELNS1_3repE0EEENS1_30default_config_static_selectorELNS0_4arch9wavefront6targetE1EEEvSW_
	.globl	_ZN7rocprim17ROCPRIM_400000_NS6detail17trampoline_kernelINS0_14default_configENS1_22reduce_config_selectorIN6thrust23THRUST_200600_302600_NS5tupleIblNS6_9null_typeES8_S8_S8_S8_S8_S8_S8_EEEEZNS1_11reduce_implILb1ES3_NS6_12zip_iteratorINS7_INS6_11hip_rocprim26transform_input_iterator_tIbPKhN2at6native10EqualsModeEEENSD_19counting_iterator_tIlEES8_S8_S8_S8_S8_S8_S8_S8_EEEEPS9_S9_NSD_9__find_if7functorIS9_EEEE10hipError_tPvRmT1_T2_T3_mT4_P12ihipStream_tbEUlT_E0_NS1_11comp_targetILNS1_3genE10ELNS1_11target_archE1200ELNS1_3gpuE4ELNS1_3repE0EEENS1_30default_config_static_selectorELNS0_4arch9wavefront6targetE1EEEvSW_
	.p2align	8
	.type	_ZN7rocprim17ROCPRIM_400000_NS6detail17trampoline_kernelINS0_14default_configENS1_22reduce_config_selectorIN6thrust23THRUST_200600_302600_NS5tupleIblNS6_9null_typeES8_S8_S8_S8_S8_S8_S8_EEEEZNS1_11reduce_implILb1ES3_NS6_12zip_iteratorINS7_INS6_11hip_rocprim26transform_input_iterator_tIbPKhN2at6native10EqualsModeEEENSD_19counting_iterator_tIlEES8_S8_S8_S8_S8_S8_S8_S8_EEEEPS9_S9_NSD_9__find_if7functorIS9_EEEE10hipError_tPvRmT1_T2_T3_mT4_P12ihipStream_tbEUlT_E0_NS1_11comp_targetILNS1_3genE10ELNS1_11target_archE1200ELNS1_3gpuE4ELNS1_3repE0EEENS1_30default_config_static_selectorELNS0_4arch9wavefront6targetE1EEEvSW_,@function
_ZN7rocprim17ROCPRIM_400000_NS6detail17trampoline_kernelINS0_14default_configENS1_22reduce_config_selectorIN6thrust23THRUST_200600_302600_NS5tupleIblNS6_9null_typeES8_S8_S8_S8_S8_S8_S8_EEEEZNS1_11reduce_implILb1ES3_NS6_12zip_iteratorINS7_INS6_11hip_rocprim26transform_input_iterator_tIbPKhN2at6native10EqualsModeEEENSD_19counting_iterator_tIlEES8_S8_S8_S8_S8_S8_S8_S8_EEEEPS9_S9_NSD_9__find_if7functorIS9_EEEE10hipError_tPvRmT1_T2_T3_mT4_P12ihipStream_tbEUlT_E0_NS1_11comp_targetILNS1_3genE10ELNS1_11target_archE1200ELNS1_3gpuE4ELNS1_3repE0EEENS1_30default_config_static_selectorELNS0_4arch9wavefront6targetE1EEEvSW_: ; @_ZN7rocprim17ROCPRIM_400000_NS6detail17trampoline_kernelINS0_14default_configENS1_22reduce_config_selectorIN6thrust23THRUST_200600_302600_NS5tupleIblNS6_9null_typeES8_S8_S8_S8_S8_S8_S8_EEEEZNS1_11reduce_implILb1ES3_NS6_12zip_iteratorINS7_INS6_11hip_rocprim26transform_input_iterator_tIbPKhN2at6native10EqualsModeEEENSD_19counting_iterator_tIlEES8_S8_S8_S8_S8_S8_S8_S8_EEEEPS9_S9_NSD_9__find_if7functorIS9_EEEE10hipError_tPvRmT1_T2_T3_mT4_P12ihipStream_tbEUlT_E0_NS1_11comp_targetILNS1_3genE10ELNS1_11target_archE1200ELNS1_3gpuE4ELNS1_3repE0EEENS1_30default_config_static_selectorELNS0_4arch9wavefront6targetE1EEEvSW_
; %bb.0:
	.section	.rodata,"a",@progbits
	.p2align	6, 0x0
	.amdhsa_kernel _ZN7rocprim17ROCPRIM_400000_NS6detail17trampoline_kernelINS0_14default_configENS1_22reduce_config_selectorIN6thrust23THRUST_200600_302600_NS5tupleIblNS6_9null_typeES8_S8_S8_S8_S8_S8_S8_EEEEZNS1_11reduce_implILb1ES3_NS6_12zip_iteratorINS7_INS6_11hip_rocprim26transform_input_iterator_tIbPKhN2at6native10EqualsModeEEENSD_19counting_iterator_tIlEES8_S8_S8_S8_S8_S8_S8_S8_EEEEPS9_S9_NSD_9__find_if7functorIS9_EEEE10hipError_tPvRmT1_T2_T3_mT4_P12ihipStream_tbEUlT_E0_NS1_11comp_targetILNS1_3genE10ELNS1_11target_archE1200ELNS1_3gpuE4ELNS1_3repE0EEENS1_30default_config_static_selectorELNS0_4arch9wavefront6targetE1EEEvSW_
		.amdhsa_group_segment_fixed_size 0
		.amdhsa_private_segment_fixed_size 0
		.amdhsa_kernarg_size 88
		.amdhsa_user_sgpr_count 6
		.amdhsa_user_sgpr_private_segment_buffer 1
		.amdhsa_user_sgpr_dispatch_ptr 0
		.amdhsa_user_sgpr_queue_ptr 0
		.amdhsa_user_sgpr_kernarg_segment_ptr 1
		.amdhsa_user_sgpr_dispatch_id 0
		.amdhsa_user_sgpr_flat_scratch_init 0
		.amdhsa_user_sgpr_kernarg_preload_length 0
		.amdhsa_user_sgpr_kernarg_preload_offset 0
		.amdhsa_user_sgpr_private_segment_size 0
		.amdhsa_uses_dynamic_stack 0
		.amdhsa_system_sgpr_private_segment_wavefront_offset 0
		.amdhsa_system_sgpr_workgroup_id_x 1
		.amdhsa_system_sgpr_workgroup_id_y 0
		.amdhsa_system_sgpr_workgroup_id_z 0
		.amdhsa_system_sgpr_workgroup_info 0
		.amdhsa_system_vgpr_workitem_id 0
		.amdhsa_next_free_vgpr 1
		.amdhsa_next_free_sgpr 0
		.amdhsa_accum_offset 4
		.amdhsa_reserve_vcc 0
		.amdhsa_reserve_flat_scratch 0
		.amdhsa_float_round_mode_32 0
		.amdhsa_float_round_mode_16_64 0
		.amdhsa_float_denorm_mode_32 3
		.amdhsa_float_denorm_mode_16_64 3
		.amdhsa_dx10_clamp 1
		.amdhsa_ieee_mode 1
		.amdhsa_fp16_overflow 0
		.amdhsa_tg_split 0
		.amdhsa_exception_fp_ieee_invalid_op 0
		.amdhsa_exception_fp_denorm_src 0
		.amdhsa_exception_fp_ieee_div_zero 0
		.amdhsa_exception_fp_ieee_overflow 0
		.amdhsa_exception_fp_ieee_underflow 0
		.amdhsa_exception_fp_ieee_inexact 0
		.amdhsa_exception_int_div_zero 0
	.end_amdhsa_kernel
	.section	.text._ZN7rocprim17ROCPRIM_400000_NS6detail17trampoline_kernelINS0_14default_configENS1_22reduce_config_selectorIN6thrust23THRUST_200600_302600_NS5tupleIblNS6_9null_typeES8_S8_S8_S8_S8_S8_S8_EEEEZNS1_11reduce_implILb1ES3_NS6_12zip_iteratorINS7_INS6_11hip_rocprim26transform_input_iterator_tIbPKhN2at6native10EqualsModeEEENSD_19counting_iterator_tIlEES8_S8_S8_S8_S8_S8_S8_S8_EEEEPS9_S9_NSD_9__find_if7functorIS9_EEEE10hipError_tPvRmT1_T2_T3_mT4_P12ihipStream_tbEUlT_E0_NS1_11comp_targetILNS1_3genE10ELNS1_11target_archE1200ELNS1_3gpuE4ELNS1_3repE0EEENS1_30default_config_static_selectorELNS0_4arch9wavefront6targetE1EEEvSW_,"axG",@progbits,_ZN7rocprim17ROCPRIM_400000_NS6detail17trampoline_kernelINS0_14default_configENS1_22reduce_config_selectorIN6thrust23THRUST_200600_302600_NS5tupleIblNS6_9null_typeES8_S8_S8_S8_S8_S8_S8_EEEEZNS1_11reduce_implILb1ES3_NS6_12zip_iteratorINS7_INS6_11hip_rocprim26transform_input_iterator_tIbPKhN2at6native10EqualsModeEEENSD_19counting_iterator_tIlEES8_S8_S8_S8_S8_S8_S8_S8_EEEEPS9_S9_NSD_9__find_if7functorIS9_EEEE10hipError_tPvRmT1_T2_T3_mT4_P12ihipStream_tbEUlT_E0_NS1_11comp_targetILNS1_3genE10ELNS1_11target_archE1200ELNS1_3gpuE4ELNS1_3repE0EEENS1_30default_config_static_selectorELNS0_4arch9wavefront6targetE1EEEvSW_,comdat
.Lfunc_end60:
	.size	_ZN7rocprim17ROCPRIM_400000_NS6detail17trampoline_kernelINS0_14default_configENS1_22reduce_config_selectorIN6thrust23THRUST_200600_302600_NS5tupleIblNS6_9null_typeES8_S8_S8_S8_S8_S8_S8_EEEEZNS1_11reduce_implILb1ES3_NS6_12zip_iteratorINS7_INS6_11hip_rocprim26transform_input_iterator_tIbPKhN2at6native10EqualsModeEEENSD_19counting_iterator_tIlEES8_S8_S8_S8_S8_S8_S8_S8_EEEEPS9_S9_NSD_9__find_if7functorIS9_EEEE10hipError_tPvRmT1_T2_T3_mT4_P12ihipStream_tbEUlT_E0_NS1_11comp_targetILNS1_3genE10ELNS1_11target_archE1200ELNS1_3gpuE4ELNS1_3repE0EEENS1_30default_config_static_selectorELNS0_4arch9wavefront6targetE1EEEvSW_, .Lfunc_end60-_ZN7rocprim17ROCPRIM_400000_NS6detail17trampoline_kernelINS0_14default_configENS1_22reduce_config_selectorIN6thrust23THRUST_200600_302600_NS5tupleIblNS6_9null_typeES8_S8_S8_S8_S8_S8_S8_EEEEZNS1_11reduce_implILb1ES3_NS6_12zip_iteratorINS7_INS6_11hip_rocprim26transform_input_iterator_tIbPKhN2at6native10EqualsModeEEENSD_19counting_iterator_tIlEES8_S8_S8_S8_S8_S8_S8_S8_EEEEPS9_S9_NSD_9__find_if7functorIS9_EEEE10hipError_tPvRmT1_T2_T3_mT4_P12ihipStream_tbEUlT_E0_NS1_11comp_targetILNS1_3genE10ELNS1_11target_archE1200ELNS1_3gpuE4ELNS1_3repE0EEENS1_30default_config_static_selectorELNS0_4arch9wavefront6targetE1EEEvSW_
                                        ; -- End function
	.section	.AMDGPU.csdata,"",@progbits
; Kernel info:
; codeLenInByte = 0
; NumSgprs: 4
; NumVgprs: 0
; NumAgprs: 0
; TotalNumVgprs: 0
; ScratchSize: 0
; MemoryBound: 0
; FloatMode: 240
; IeeeMode: 1
; LDSByteSize: 0 bytes/workgroup (compile time only)
; SGPRBlocks: 0
; VGPRBlocks: 0
; NumSGPRsForWavesPerEU: 4
; NumVGPRsForWavesPerEU: 1
; AccumOffset: 4
; Occupancy: 8
; WaveLimiterHint : 0
; COMPUTE_PGM_RSRC2:SCRATCH_EN: 0
; COMPUTE_PGM_RSRC2:USER_SGPR: 6
; COMPUTE_PGM_RSRC2:TRAP_HANDLER: 0
; COMPUTE_PGM_RSRC2:TGID_X_EN: 1
; COMPUTE_PGM_RSRC2:TGID_Y_EN: 0
; COMPUTE_PGM_RSRC2:TGID_Z_EN: 0
; COMPUTE_PGM_RSRC2:TIDIG_COMP_CNT: 0
; COMPUTE_PGM_RSRC3_GFX90A:ACCUM_OFFSET: 0
; COMPUTE_PGM_RSRC3_GFX90A:TG_SPLIT: 0
	.section	.text._ZN7rocprim17ROCPRIM_400000_NS6detail17trampoline_kernelINS0_14default_configENS1_22reduce_config_selectorIN6thrust23THRUST_200600_302600_NS5tupleIblNS6_9null_typeES8_S8_S8_S8_S8_S8_S8_EEEEZNS1_11reduce_implILb1ES3_NS6_12zip_iteratorINS7_INS6_11hip_rocprim26transform_input_iterator_tIbPKhN2at6native10EqualsModeEEENSD_19counting_iterator_tIlEES8_S8_S8_S8_S8_S8_S8_S8_EEEEPS9_S9_NSD_9__find_if7functorIS9_EEEE10hipError_tPvRmT1_T2_T3_mT4_P12ihipStream_tbEUlT_E0_NS1_11comp_targetILNS1_3genE9ELNS1_11target_archE1100ELNS1_3gpuE3ELNS1_3repE0EEENS1_30default_config_static_selectorELNS0_4arch9wavefront6targetE1EEEvSW_,"axG",@progbits,_ZN7rocprim17ROCPRIM_400000_NS6detail17trampoline_kernelINS0_14default_configENS1_22reduce_config_selectorIN6thrust23THRUST_200600_302600_NS5tupleIblNS6_9null_typeES8_S8_S8_S8_S8_S8_S8_EEEEZNS1_11reduce_implILb1ES3_NS6_12zip_iteratorINS7_INS6_11hip_rocprim26transform_input_iterator_tIbPKhN2at6native10EqualsModeEEENSD_19counting_iterator_tIlEES8_S8_S8_S8_S8_S8_S8_S8_EEEEPS9_S9_NSD_9__find_if7functorIS9_EEEE10hipError_tPvRmT1_T2_T3_mT4_P12ihipStream_tbEUlT_E0_NS1_11comp_targetILNS1_3genE9ELNS1_11target_archE1100ELNS1_3gpuE3ELNS1_3repE0EEENS1_30default_config_static_selectorELNS0_4arch9wavefront6targetE1EEEvSW_,comdat
	.protected	_ZN7rocprim17ROCPRIM_400000_NS6detail17trampoline_kernelINS0_14default_configENS1_22reduce_config_selectorIN6thrust23THRUST_200600_302600_NS5tupleIblNS6_9null_typeES8_S8_S8_S8_S8_S8_S8_EEEEZNS1_11reduce_implILb1ES3_NS6_12zip_iteratorINS7_INS6_11hip_rocprim26transform_input_iterator_tIbPKhN2at6native10EqualsModeEEENSD_19counting_iterator_tIlEES8_S8_S8_S8_S8_S8_S8_S8_EEEEPS9_S9_NSD_9__find_if7functorIS9_EEEE10hipError_tPvRmT1_T2_T3_mT4_P12ihipStream_tbEUlT_E0_NS1_11comp_targetILNS1_3genE9ELNS1_11target_archE1100ELNS1_3gpuE3ELNS1_3repE0EEENS1_30default_config_static_selectorELNS0_4arch9wavefront6targetE1EEEvSW_ ; -- Begin function _ZN7rocprim17ROCPRIM_400000_NS6detail17trampoline_kernelINS0_14default_configENS1_22reduce_config_selectorIN6thrust23THRUST_200600_302600_NS5tupleIblNS6_9null_typeES8_S8_S8_S8_S8_S8_S8_EEEEZNS1_11reduce_implILb1ES3_NS6_12zip_iteratorINS7_INS6_11hip_rocprim26transform_input_iterator_tIbPKhN2at6native10EqualsModeEEENSD_19counting_iterator_tIlEES8_S8_S8_S8_S8_S8_S8_S8_EEEEPS9_S9_NSD_9__find_if7functorIS9_EEEE10hipError_tPvRmT1_T2_T3_mT4_P12ihipStream_tbEUlT_E0_NS1_11comp_targetILNS1_3genE9ELNS1_11target_archE1100ELNS1_3gpuE3ELNS1_3repE0EEENS1_30default_config_static_selectorELNS0_4arch9wavefront6targetE1EEEvSW_
	.globl	_ZN7rocprim17ROCPRIM_400000_NS6detail17trampoline_kernelINS0_14default_configENS1_22reduce_config_selectorIN6thrust23THRUST_200600_302600_NS5tupleIblNS6_9null_typeES8_S8_S8_S8_S8_S8_S8_EEEEZNS1_11reduce_implILb1ES3_NS6_12zip_iteratorINS7_INS6_11hip_rocprim26transform_input_iterator_tIbPKhN2at6native10EqualsModeEEENSD_19counting_iterator_tIlEES8_S8_S8_S8_S8_S8_S8_S8_EEEEPS9_S9_NSD_9__find_if7functorIS9_EEEE10hipError_tPvRmT1_T2_T3_mT4_P12ihipStream_tbEUlT_E0_NS1_11comp_targetILNS1_3genE9ELNS1_11target_archE1100ELNS1_3gpuE3ELNS1_3repE0EEENS1_30default_config_static_selectorELNS0_4arch9wavefront6targetE1EEEvSW_
	.p2align	8
	.type	_ZN7rocprim17ROCPRIM_400000_NS6detail17trampoline_kernelINS0_14default_configENS1_22reduce_config_selectorIN6thrust23THRUST_200600_302600_NS5tupleIblNS6_9null_typeES8_S8_S8_S8_S8_S8_S8_EEEEZNS1_11reduce_implILb1ES3_NS6_12zip_iteratorINS7_INS6_11hip_rocprim26transform_input_iterator_tIbPKhN2at6native10EqualsModeEEENSD_19counting_iterator_tIlEES8_S8_S8_S8_S8_S8_S8_S8_EEEEPS9_S9_NSD_9__find_if7functorIS9_EEEE10hipError_tPvRmT1_T2_T3_mT4_P12ihipStream_tbEUlT_E0_NS1_11comp_targetILNS1_3genE9ELNS1_11target_archE1100ELNS1_3gpuE3ELNS1_3repE0EEENS1_30default_config_static_selectorELNS0_4arch9wavefront6targetE1EEEvSW_,@function
_ZN7rocprim17ROCPRIM_400000_NS6detail17trampoline_kernelINS0_14default_configENS1_22reduce_config_selectorIN6thrust23THRUST_200600_302600_NS5tupleIblNS6_9null_typeES8_S8_S8_S8_S8_S8_S8_EEEEZNS1_11reduce_implILb1ES3_NS6_12zip_iteratorINS7_INS6_11hip_rocprim26transform_input_iterator_tIbPKhN2at6native10EqualsModeEEENSD_19counting_iterator_tIlEES8_S8_S8_S8_S8_S8_S8_S8_EEEEPS9_S9_NSD_9__find_if7functorIS9_EEEE10hipError_tPvRmT1_T2_T3_mT4_P12ihipStream_tbEUlT_E0_NS1_11comp_targetILNS1_3genE9ELNS1_11target_archE1100ELNS1_3gpuE3ELNS1_3repE0EEENS1_30default_config_static_selectorELNS0_4arch9wavefront6targetE1EEEvSW_: ; @_ZN7rocprim17ROCPRIM_400000_NS6detail17trampoline_kernelINS0_14default_configENS1_22reduce_config_selectorIN6thrust23THRUST_200600_302600_NS5tupleIblNS6_9null_typeES8_S8_S8_S8_S8_S8_S8_EEEEZNS1_11reduce_implILb1ES3_NS6_12zip_iteratorINS7_INS6_11hip_rocprim26transform_input_iterator_tIbPKhN2at6native10EqualsModeEEENSD_19counting_iterator_tIlEES8_S8_S8_S8_S8_S8_S8_S8_EEEEPS9_S9_NSD_9__find_if7functorIS9_EEEE10hipError_tPvRmT1_T2_T3_mT4_P12ihipStream_tbEUlT_E0_NS1_11comp_targetILNS1_3genE9ELNS1_11target_archE1100ELNS1_3gpuE3ELNS1_3repE0EEENS1_30default_config_static_selectorELNS0_4arch9wavefront6targetE1EEEvSW_
; %bb.0:
	.section	.rodata,"a",@progbits
	.p2align	6, 0x0
	.amdhsa_kernel _ZN7rocprim17ROCPRIM_400000_NS6detail17trampoline_kernelINS0_14default_configENS1_22reduce_config_selectorIN6thrust23THRUST_200600_302600_NS5tupleIblNS6_9null_typeES8_S8_S8_S8_S8_S8_S8_EEEEZNS1_11reduce_implILb1ES3_NS6_12zip_iteratorINS7_INS6_11hip_rocprim26transform_input_iterator_tIbPKhN2at6native10EqualsModeEEENSD_19counting_iterator_tIlEES8_S8_S8_S8_S8_S8_S8_S8_EEEEPS9_S9_NSD_9__find_if7functorIS9_EEEE10hipError_tPvRmT1_T2_T3_mT4_P12ihipStream_tbEUlT_E0_NS1_11comp_targetILNS1_3genE9ELNS1_11target_archE1100ELNS1_3gpuE3ELNS1_3repE0EEENS1_30default_config_static_selectorELNS0_4arch9wavefront6targetE1EEEvSW_
		.amdhsa_group_segment_fixed_size 0
		.amdhsa_private_segment_fixed_size 0
		.amdhsa_kernarg_size 88
		.amdhsa_user_sgpr_count 6
		.amdhsa_user_sgpr_private_segment_buffer 1
		.amdhsa_user_sgpr_dispatch_ptr 0
		.amdhsa_user_sgpr_queue_ptr 0
		.amdhsa_user_sgpr_kernarg_segment_ptr 1
		.amdhsa_user_sgpr_dispatch_id 0
		.amdhsa_user_sgpr_flat_scratch_init 0
		.amdhsa_user_sgpr_kernarg_preload_length 0
		.amdhsa_user_sgpr_kernarg_preload_offset 0
		.amdhsa_user_sgpr_private_segment_size 0
		.amdhsa_uses_dynamic_stack 0
		.amdhsa_system_sgpr_private_segment_wavefront_offset 0
		.amdhsa_system_sgpr_workgroup_id_x 1
		.amdhsa_system_sgpr_workgroup_id_y 0
		.amdhsa_system_sgpr_workgroup_id_z 0
		.amdhsa_system_sgpr_workgroup_info 0
		.amdhsa_system_vgpr_workitem_id 0
		.amdhsa_next_free_vgpr 1
		.amdhsa_next_free_sgpr 0
		.amdhsa_accum_offset 4
		.amdhsa_reserve_vcc 0
		.amdhsa_reserve_flat_scratch 0
		.amdhsa_float_round_mode_32 0
		.amdhsa_float_round_mode_16_64 0
		.amdhsa_float_denorm_mode_32 3
		.amdhsa_float_denorm_mode_16_64 3
		.amdhsa_dx10_clamp 1
		.amdhsa_ieee_mode 1
		.amdhsa_fp16_overflow 0
		.amdhsa_tg_split 0
		.amdhsa_exception_fp_ieee_invalid_op 0
		.amdhsa_exception_fp_denorm_src 0
		.amdhsa_exception_fp_ieee_div_zero 0
		.amdhsa_exception_fp_ieee_overflow 0
		.amdhsa_exception_fp_ieee_underflow 0
		.amdhsa_exception_fp_ieee_inexact 0
		.amdhsa_exception_int_div_zero 0
	.end_amdhsa_kernel
	.section	.text._ZN7rocprim17ROCPRIM_400000_NS6detail17trampoline_kernelINS0_14default_configENS1_22reduce_config_selectorIN6thrust23THRUST_200600_302600_NS5tupleIblNS6_9null_typeES8_S8_S8_S8_S8_S8_S8_EEEEZNS1_11reduce_implILb1ES3_NS6_12zip_iteratorINS7_INS6_11hip_rocprim26transform_input_iterator_tIbPKhN2at6native10EqualsModeEEENSD_19counting_iterator_tIlEES8_S8_S8_S8_S8_S8_S8_S8_EEEEPS9_S9_NSD_9__find_if7functorIS9_EEEE10hipError_tPvRmT1_T2_T3_mT4_P12ihipStream_tbEUlT_E0_NS1_11comp_targetILNS1_3genE9ELNS1_11target_archE1100ELNS1_3gpuE3ELNS1_3repE0EEENS1_30default_config_static_selectorELNS0_4arch9wavefront6targetE1EEEvSW_,"axG",@progbits,_ZN7rocprim17ROCPRIM_400000_NS6detail17trampoline_kernelINS0_14default_configENS1_22reduce_config_selectorIN6thrust23THRUST_200600_302600_NS5tupleIblNS6_9null_typeES8_S8_S8_S8_S8_S8_S8_EEEEZNS1_11reduce_implILb1ES3_NS6_12zip_iteratorINS7_INS6_11hip_rocprim26transform_input_iterator_tIbPKhN2at6native10EqualsModeEEENSD_19counting_iterator_tIlEES8_S8_S8_S8_S8_S8_S8_S8_EEEEPS9_S9_NSD_9__find_if7functorIS9_EEEE10hipError_tPvRmT1_T2_T3_mT4_P12ihipStream_tbEUlT_E0_NS1_11comp_targetILNS1_3genE9ELNS1_11target_archE1100ELNS1_3gpuE3ELNS1_3repE0EEENS1_30default_config_static_selectorELNS0_4arch9wavefront6targetE1EEEvSW_,comdat
.Lfunc_end61:
	.size	_ZN7rocprim17ROCPRIM_400000_NS6detail17trampoline_kernelINS0_14default_configENS1_22reduce_config_selectorIN6thrust23THRUST_200600_302600_NS5tupleIblNS6_9null_typeES8_S8_S8_S8_S8_S8_S8_EEEEZNS1_11reduce_implILb1ES3_NS6_12zip_iteratorINS7_INS6_11hip_rocprim26transform_input_iterator_tIbPKhN2at6native10EqualsModeEEENSD_19counting_iterator_tIlEES8_S8_S8_S8_S8_S8_S8_S8_EEEEPS9_S9_NSD_9__find_if7functorIS9_EEEE10hipError_tPvRmT1_T2_T3_mT4_P12ihipStream_tbEUlT_E0_NS1_11comp_targetILNS1_3genE9ELNS1_11target_archE1100ELNS1_3gpuE3ELNS1_3repE0EEENS1_30default_config_static_selectorELNS0_4arch9wavefront6targetE1EEEvSW_, .Lfunc_end61-_ZN7rocprim17ROCPRIM_400000_NS6detail17trampoline_kernelINS0_14default_configENS1_22reduce_config_selectorIN6thrust23THRUST_200600_302600_NS5tupleIblNS6_9null_typeES8_S8_S8_S8_S8_S8_S8_EEEEZNS1_11reduce_implILb1ES3_NS6_12zip_iteratorINS7_INS6_11hip_rocprim26transform_input_iterator_tIbPKhN2at6native10EqualsModeEEENSD_19counting_iterator_tIlEES8_S8_S8_S8_S8_S8_S8_S8_EEEEPS9_S9_NSD_9__find_if7functorIS9_EEEE10hipError_tPvRmT1_T2_T3_mT4_P12ihipStream_tbEUlT_E0_NS1_11comp_targetILNS1_3genE9ELNS1_11target_archE1100ELNS1_3gpuE3ELNS1_3repE0EEENS1_30default_config_static_selectorELNS0_4arch9wavefront6targetE1EEEvSW_
                                        ; -- End function
	.section	.AMDGPU.csdata,"",@progbits
; Kernel info:
; codeLenInByte = 0
; NumSgprs: 4
; NumVgprs: 0
; NumAgprs: 0
; TotalNumVgprs: 0
; ScratchSize: 0
; MemoryBound: 0
; FloatMode: 240
; IeeeMode: 1
; LDSByteSize: 0 bytes/workgroup (compile time only)
; SGPRBlocks: 0
; VGPRBlocks: 0
; NumSGPRsForWavesPerEU: 4
; NumVGPRsForWavesPerEU: 1
; AccumOffset: 4
; Occupancy: 8
; WaveLimiterHint : 0
; COMPUTE_PGM_RSRC2:SCRATCH_EN: 0
; COMPUTE_PGM_RSRC2:USER_SGPR: 6
; COMPUTE_PGM_RSRC2:TRAP_HANDLER: 0
; COMPUTE_PGM_RSRC2:TGID_X_EN: 1
; COMPUTE_PGM_RSRC2:TGID_Y_EN: 0
; COMPUTE_PGM_RSRC2:TGID_Z_EN: 0
; COMPUTE_PGM_RSRC2:TIDIG_COMP_CNT: 0
; COMPUTE_PGM_RSRC3_GFX90A:ACCUM_OFFSET: 0
; COMPUTE_PGM_RSRC3_GFX90A:TG_SPLIT: 0
	.section	.text._ZN7rocprim17ROCPRIM_400000_NS6detail17trampoline_kernelINS0_14default_configENS1_22reduce_config_selectorIN6thrust23THRUST_200600_302600_NS5tupleIblNS6_9null_typeES8_S8_S8_S8_S8_S8_S8_EEEEZNS1_11reduce_implILb1ES3_NS6_12zip_iteratorINS7_INS6_11hip_rocprim26transform_input_iterator_tIbPKhN2at6native10EqualsModeEEENSD_19counting_iterator_tIlEES8_S8_S8_S8_S8_S8_S8_S8_EEEEPS9_S9_NSD_9__find_if7functorIS9_EEEE10hipError_tPvRmT1_T2_T3_mT4_P12ihipStream_tbEUlT_E0_NS1_11comp_targetILNS1_3genE8ELNS1_11target_archE1030ELNS1_3gpuE2ELNS1_3repE0EEENS1_30default_config_static_selectorELNS0_4arch9wavefront6targetE1EEEvSW_,"axG",@progbits,_ZN7rocprim17ROCPRIM_400000_NS6detail17trampoline_kernelINS0_14default_configENS1_22reduce_config_selectorIN6thrust23THRUST_200600_302600_NS5tupleIblNS6_9null_typeES8_S8_S8_S8_S8_S8_S8_EEEEZNS1_11reduce_implILb1ES3_NS6_12zip_iteratorINS7_INS6_11hip_rocprim26transform_input_iterator_tIbPKhN2at6native10EqualsModeEEENSD_19counting_iterator_tIlEES8_S8_S8_S8_S8_S8_S8_S8_EEEEPS9_S9_NSD_9__find_if7functorIS9_EEEE10hipError_tPvRmT1_T2_T3_mT4_P12ihipStream_tbEUlT_E0_NS1_11comp_targetILNS1_3genE8ELNS1_11target_archE1030ELNS1_3gpuE2ELNS1_3repE0EEENS1_30default_config_static_selectorELNS0_4arch9wavefront6targetE1EEEvSW_,comdat
	.protected	_ZN7rocprim17ROCPRIM_400000_NS6detail17trampoline_kernelINS0_14default_configENS1_22reduce_config_selectorIN6thrust23THRUST_200600_302600_NS5tupleIblNS6_9null_typeES8_S8_S8_S8_S8_S8_S8_EEEEZNS1_11reduce_implILb1ES3_NS6_12zip_iteratorINS7_INS6_11hip_rocprim26transform_input_iterator_tIbPKhN2at6native10EqualsModeEEENSD_19counting_iterator_tIlEES8_S8_S8_S8_S8_S8_S8_S8_EEEEPS9_S9_NSD_9__find_if7functorIS9_EEEE10hipError_tPvRmT1_T2_T3_mT4_P12ihipStream_tbEUlT_E0_NS1_11comp_targetILNS1_3genE8ELNS1_11target_archE1030ELNS1_3gpuE2ELNS1_3repE0EEENS1_30default_config_static_selectorELNS0_4arch9wavefront6targetE1EEEvSW_ ; -- Begin function _ZN7rocprim17ROCPRIM_400000_NS6detail17trampoline_kernelINS0_14default_configENS1_22reduce_config_selectorIN6thrust23THRUST_200600_302600_NS5tupleIblNS6_9null_typeES8_S8_S8_S8_S8_S8_S8_EEEEZNS1_11reduce_implILb1ES3_NS6_12zip_iteratorINS7_INS6_11hip_rocprim26transform_input_iterator_tIbPKhN2at6native10EqualsModeEEENSD_19counting_iterator_tIlEES8_S8_S8_S8_S8_S8_S8_S8_EEEEPS9_S9_NSD_9__find_if7functorIS9_EEEE10hipError_tPvRmT1_T2_T3_mT4_P12ihipStream_tbEUlT_E0_NS1_11comp_targetILNS1_3genE8ELNS1_11target_archE1030ELNS1_3gpuE2ELNS1_3repE0EEENS1_30default_config_static_selectorELNS0_4arch9wavefront6targetE1EEEvSW_
	.globl	_ZN7rocprim17ROCPRIM_400000_NS6detail17trampoline_kernelINS0_14default_configENS1_22reduce_config_selectorIN6thrust23THRUST_200600_302600_NS5tupleIblNS6_9null_typeES8_S8_S8_S8_S8_S8_S8_EEEEZNS1_11reduce_implILb1ES3_NS6_12zip_iteratorINS7_INS6_11hip_rocprim26transform_input_iterator_tIbPKhN2at6native10EqualsModeEEENSD_19counting_iterator_tIlEES8_S8_S8_S8_S8_S8_S8_S8_EEEEPS9_S9_NSD_9__find_if7functorIS9_EEEE10hipError_tPvRmT1_T2_T3_mT4_P12ihipStream_tbEUlT_E0_NS1_11comp_targetILNS1_3genE8ELNS1_11target_archE1030ELNS1_3gpuE2ELNS1_3repE0EEENS1_30default_config_static_selectorELNS0_4arch9wavefront6targetE1EEEvSW_
	.p2align	8
	.type	_ZN7rocprim17ROCPRIM_400000_NS6detail17trampoline_kernelINS0_14default_configENS1_22reduce_config_selectorIN6thrust23THRUST_200600_302600_NS5tupleIblNS6_9null_typeES8_S8_S8_S8_S8_S8_S8_EEEEZNS1_11reduce_implILb1ES3_NS6_12zip_iteratorINS7_INS6_11hip_rocprim26transform_input_iterator_tIbPKhN2at6native10EqualsModeEEENSD_19counting_iterator_tIlEES8_S8_S8_S8_S8_S8_S8_S8_EEEEPS9_S9_NSD_9__find_if7functorIS9_EEEE10hipError_tPvRmT1_T2_T3_mT4_P12ihipStream_tbEUlT_E0_NS1_11comp_targetILNS1_3genE8ELNS1_11target_archE1030ELNS1_3gpuE2ELNS1_3repE0EEENS1_30default_config_static_selectorELNS0_4arch9wavefront6targetE1EEEvSW_,@function
_ZN7rocprim17ROCPRIM_400000_NS6detail17trampoline_kernelINS0_14default_configENS1_22reduce_config_selectorIN6thrust23THRUST_200600_302600_NS5tupleIblNS6_9null_typeES8_S8_S8_S8_S8_S8_S8_EEEEZNS1_11reduce_implILb1ES3_NS6_12zip_iteratorINS7_INS6_11hip_rocprim26transform_input_iterator_tIbPKhN2at6native10EqualsModeEEENSD_19counting_iterator_tIlEES8_S8_S8_S8_S8_S8_S8_S8_EEEEPS9_S9_NSD_9__find_if7functorIS9_EEEE10hipError_tPvRmT1_T2_T3_mT4_P12ihipStream_tbEUlT_E0_NS1_11comp_targetILNS1_3genE8ELNS1_11target_archE1030ELNS1_3gpuE2ELNS1_3repE0EEENS1_30default_config_static_selectorELNS0_4arch9wavefront6targetE1EEEvSW_: ; @_ZN7rocprim17ROCPRIM_400000_NS6detail17trampoline_kernelINS0_14default_configENS1_22reduce_config_selectorIN6thrust23THRUST_200600_302600_NS5tupleIblNS6_9null_typeES8_S8_S8_S8_S8_S8_S8_EEEEZNS1_11reduce_implILb1ES3_NS6_12zip_iteratorINS7_INS6_11hip_rocprim26transform_input_iterator_tIbPKhN2at6native10EqualsModeEEENSD_19counting_iterator_tIlEES8_S8_S8_S8_S8_S8_S8_S8_EEEEPS9_S9_NSD_9__find_if7functorIS9_EEEE10hipError_tPvRmT1_T2_T3_mT4_P12ihipStream_tbEUlT_E0_NS1_11comp_targetILNS1_3genE8ELNS1_11target_archE1030ELNS1_3gpuE2ELNS1_3repE0EEENS1_30default_config_static_selectorELNS0_4arch9wavefront6targetE1EEEvSW_
; %bb.0:
	.section	.rodata,"a",@progbits
	.p2align	6, 0x0
	.amdhsa_kernel _ZN7rocprim17ROCPRIM_400000_NS6detail17trampoline_kernelINS0_14default_configENS1_22reduce_config_selectorIN6thrust23THRUST_200600_302600_NS5tupleIblNS6_9null_typeES8_S8_S8_S8_S8_S8_S8_EEEEZNS1_11reduce_implILb1ES3_NS6_12zip_iteratorINS7_INS6_11hip_rocprim26transform_input_iterator_tIbPKhN2at6native10EqualsModeEEENSD_19counting_iterator_tIlEES8_S8_S8_S8_S8_S8_S8_S8_EEEEPS9_S9_NSD_9__find_if7functorIS9_EEEE10hipError_tPvRmT1_T2_T3_mT4_P12ihipStream_tbEUlT_E0_NS1_11comp_targetILNS1_3genE8ELNS1_11target_archE1030ELNS1_3gpuE2ELNS1_3repE0EEENS1_30default_config_static_selectorELNS0_4arch9wavefront6targetE1EEEvSW_
		.amdhsa_group_segment_fixed_size 0
		.amdhsa_private_segment_fixed_size 0
		.amdhsa_kernarg_size 88
		.amdhsa_user_sgpr_count 6
		.amdhsa_user_sgpr_private_segment_buffer 1
		.amdhsa_user_sgpr_dispatch_ptr 0
		.amdhsa_user_sgpr_queue_ptr 0
		.amdhsa_user_sgpr_kernarg_segment_ptr 1
		.amdhsa_user_sgpr_dispatch_id 0
		.amdhsa_user_sgpr_flat_scratch_init 0
		.amdhsa_user_sgpr_kernarg_preload_length 0
		.amdhsa_user_sgpr_kernarg_preload_offset 0
		.amdhsa_user_sgpr_private_segment_size 0
		.amdhsa_uses_dynamic_stack 0
		.amdhsa_system_sgpr_private_segment_wavefront_offset 0
		.amdhsa_system_sgpr_workgroup_id_x 1
		.amdhsa_system_sgpr_workgroup_id_y 0
		.amdhsa_system_sgpr_workgroup_id_z 0
		.amdhsa_system_sgpr_workgroup_info 0
		.amdhsa_system_vgpr_workitem_id 0
		.amdhsa_next_free_vgpr 1
		.amdhsa_next_free_sgpr 0
		.amdhsa_accum_offset 4
		.amdhsa_reserve_vcc 0
		.amdhsa_reserve_flat_scratch 0
		.amdhsa_float_round_mode_32 0
		.amdhsa_float_round_mode_16_64 0
		.amdhsa_float_denorm_mode_32 3
		.amdhsa_float_denorm_mode_16_64 3
		.amdhsa_dx10_clamp 1
		.amdhsa_ieee_mode 1
		.amdhsa_fp16_overflow 0
		.amdhsa_tg_split 0
		.amdhsa_exception_fp_ieee_invalid_op 0
		.amdhsa_exception_fp_denorm_src 0
		.amdhsa_exception_fp_ieee_div_zero 0
		.amdhsa_exception_fp_ieee_overflow 0
		.amdhsa_exception_fp_ieee_underflow 0
		.amdhsa_exception_fp_ieee_inexact 0
		.amdhsa_exception_int_div_zero 0
	.end_amdhsa_kernel
	.section	.text._ZN7rocprim17ROCPRIM_400000_NS6detail17trampoline_kernelINS0_14default_configENS1_22reduce_config_selectorIN6thrust23THRUST_200600_302600_NS5tupleIblNS6_9null_typeES8_S8_S8_S8_S8_S8_S8_EEEEZNS1_11reduce_implILb1ES3_NS6_12zip_iteratorINS7_INS6_11hip_rocprim26transform_input_iterator_tIbPKhN2at6native10EqualsModeEEENSD_19counting_iterator_tIlEES8_S8_S8_S8_S8_S8_S8_S8_EEEEPS9_S9_NSD_9__find_if7functorIS9_EEEE10hipError_tPvRmT1_T2_T3_mT4_P12ihipStream_tbEUlT_E0_NS1_11comp_targetILNS1_3genE8ELNS1_11target_archE1030ELNS1_3gpuE2ELNS1_3repE0EEENS1_30default_config_static_selectorELNS0_4arch9wavefront6targetE1EEEvSW_,"axG",@progbits,_ZN7rocprim17ROCPRIM_400000_NS6detail17trampoline_kernelINS0_14default_configENS1_22reduce_config_selectorIN6thrust23THRUST_200600_302600_NS5tupleIblNS6_9null_typeES8_S8_S8_S8_S8_S8_S8_EEEEZNS1_11reduce_implILb1ES3_NS6_12zip_iteratorINS7_INS6_11hip_rocprim26transform_input_iterator_tIbPKhN2at6native10EqualsModeEEENSD_19counting_iterator_tIlEES8_S8_S8_S8_S8_S8_S8_S8_EEEEPS9_S9_NSD_9__find_if7functorIS9_EEEE10hipError_tPvRmT1_T2_T3_mT4_P12ihipStream_tbEUlT_E0_NS1_11comp_targetILNS1_3genE8ELNS1_11target_archE1030ELNS1_3gpuE2ELNS1_3repE0EEENS1_30default_config_static_selectorELNS0_4arch9wavefront6targetE1EEEvSW_,comdat
.Lfunc_end62:
	.size	_ZN7rocprim17ROCPRIM_400000_NS6detail17trampoline_kernelINS0_14default_configENS1_22reduce_config_selectorIN6thrust23THRUST_200600_302600_NS5tupleIblNS6_9null_typeES8_S8_S8_S8_S8_S8_S8_EEEEZNS1_11reduce_implILb1ES3_NS6_12zip_iteratorINS7_INS6_11hip_rocprim26transform_input_iterator_tIbPKhN2at6native10EqualsModeEEENSD_19counting_iterator_tIlEES8_S8_S8_S8_S8_S8_S8_S8_EEEEPS9_S9_NSD_9__find_if7functorIS9_EEEE10hipError_tPvRmT1_T2_T3_mT4_P12ihipStream_tbEUlT_E0_NS1_11comp_targetILNS1_3genE8ELNS1_11target_archE1030ELNS1_3gpuE2ELNS1_3repE0EEENS1_30default_config_static_selectorELNS0_4arch9wavefront6targetE1EEEvSW_, .Lfunc_end62-_ZN7rocprim17ROCPRIM_400000_NS6detail17trampoline_kernelINS0_14default_configENS1_22reduce_config_selectorIN6thrust23THRUST_200600_302600_NS5tupleIblNS6_9null_typeES8_S8_S8_S8_S8_S8_S8_EEEEZNS1_11reduce_implILb1ES3_NS6_12zip_iteratorINS7_INS6_11hip_rocprim26transform_input_iterator_tIbPKhN2at6native10EqualsModeEEENSD_19counting_iterator_tIlEES8_S8_S8_S8_S8_S8_S8_S8_EEEEPS9_S9_NSD_9__find_if7functorIS9_EEEE10hipError_tPvRmT1_T2_T3_mT4_P12ihipStream_tbEUlT_E0_NS1_11comp_targetILNS1_3genE8ELNS1_11target_archE1030ELNS1_3gpuE2ELNS1_3repE0EEENS1_30default_config_static_selectorELNS0_4arch9wavefront6targetE1EEEvSW_
                                        ; -- End function
	.section	.AMDGPU.csdata,"",@progbits
; Kernel info:
; codeLenInByte = 0
; NumSgprs: 4
; NumVgprs: 0
; NumAgprs: 0
; TotalNumVgprs: 0
; ScratchSize: 0
; MemoryBound: 0
; FloatMode: 240
; IeeeMode: 1
; LDSByteSize: 0 bytes/workgroup (compile time only)
; SGPRBlocks: 0
; VGPRBlocks: 0
; NumSGPRsForWavesPerEU: 4
; NumVGPRsForWavesPerEU: 1
; AccumOffset: 4
; Occupancy: 8
; WaveLimiterHint : 0
; COMPUTE_PGM_RSRC2:SCRATCH_EN: 0
; COMPUTE_PGM_RSRC2:USER_SGPR: 6
; COMPUTE_PGM_RSRC2:TRAP_HANDLER: 0
; COMPUTE_PGM_RSRC2:TGID_X_EN: 1
; COMPUTE_PGM_RSRC2:TGID_Y_EN: 0
; COMPUTE_PGM_RSRC2:TGID_Z_EN: 0
; COMPUTE_PGM_RSRC2:TIDIG_COMP_CNT: 0
; COMPUTE_PGM_RSRC3_GFX90A:ACCUM_OFFSET: 0
; COMPUTE_PGM_RSRC3_GFX90A:TG_SPLIT: 0
	.section	.text._ZN7rocprim17ROCPRIM_400000_NS6detail17trampoline_kernelINS0_14default_configENS1_22reduce_config_selectorIN6thrust23THRUST_200600_302600_NS5tupleIblNS6_9null_typeES8_S8_S8_S8_S8_S8_S8_EEEEZNS1_11reduce_implILb1ES3_NS6_12zip_iteratorINS7_INS6_11hip_rocprim26transform_input_iterator_tIbPKhN2at6native10EqualsModeEEENSD_19counting_iterator_tIlEES8_S8_S8_S8_S8_S8_S8_S8_EEEEPS9_S9_NSD_9__find_if7functorIS9_EEEE10hipError_tPvRmT1_T2_T3_mT4_P12ihipStream_tbEUlT_E1_NS1_11comp_targetILNS1_3genE0ELNS1_11target_archE4294967295ELNS1_3gpuE0ELNS1_3repE0EEENS1_30default_config_static_selectorELNS0_4arch9wavefront6targetE1EEEvSW_,"axG",@progbits,_ZN7rocprim17ROCPRIM_400000_NS6detail17trampoline_kernelINS0_14default_configENS1_22reduce_config_selectorIN6thrust23THRUST_200600_302600_NS5tupleIblNS6_9null_typeES8_S8_S8_S8_S8_S8_S8_EEEEZNS1_11reduce_implILb1ES3_NS6_12zip_iteratorINS7_INS6_11hip_rocprim26transform_input_iterator_tIbPKhN2at6native10EqualsModeEEENSD_19counting_iterator_tIlEES8_S8_S8_S8_S8_S8_S8_S8_EEEEPS9_S9_NSD_9__find_if7functorIS9_EEEE10hipError_tPvRmT1_T2_T3_mT4_P12ihipStream_tbEUlT_E1_NS1_11comp_targetILNS1_3genE0ELNS1_11target_archE4294967295ELNS1_3gpuE0ELNS1_3repE0EEENS1_30default_config_static_selectorELNS0_4arch9wavefront6targetE1EEEvSW_,comdat
	.protected	_ZN7rocprim17ROCPRIM_400000_NS6detail17trampoline_kernelINS0_14default_configENS1_22reduce_config_selectorIN6thrust23THRUST_200600_302600_NS5tupleIblNS6_9null_typeES8_S8_S8_S8_S8_S8_S8_EEEEZNS1_11reduce_implILb1ES3_NS6_12zip_iteratorINS7_INS6_11hip_rocprim26transform_input_iterator_tIbPKhN2at6native10EqualsModeEEENSD_19counting_iterator_tIlEES8_S8_S8_S8_S8_S8_S8_S8_EEEEPS9_S9_NSD_9__find_if7functorIS9_EEEE10hipError_tPvRmT1_T2_T3_mT4_P12ihipStream_tbEUlT_E1_NS1_11comp_targetILNS1_3genE0ELNS1_11target_archE4294967295ELNS1_3gpuE0ELNS1_3repE0EEENS1_30default_config_static_selectorELNS0_4arch9wavefront6targetE1EEEvSW_ ; -- Begin function _ZN7rocprim17ROCPRIM_400000_NS6detail17trampoline_kernelINS0_14default_configENS1_22reduce_config_selectorIN6thrust23THRUST_200600_302600_NS5tupleIblNS6_9null_typeES8_S8_S8_S8_S8_S8_S8_EEEEZNS1_11reduce_implILb1ES3_NS6_12zip_iteratorINS7_INS6_11hip_rocprim26transform_input_iterator_tIbPKhN2at6native10EqualsModeEEENSD_19counting_iterator_tIlEES8_S8_S8_S8_S8_S8_S8_S8_EEEEPS9_S9_NSD_9__find_if7functorIS9_EEEE10hipError_tPvRmT1_T2_T3_mT4_P12ihipStream_tbEUlT_E1_NS1_11comp_targetILNS1_3genE0ELNS1_11target_archE4294967295ELNS1_3gpuE0ELNS1_3repE0EEENS1_30default_config_static_selectorELNS0_4arch9wavefront6targetE1EEEvSW_
	.globl	_ZN7rocprim17ROCPRIM_400000_NS6detail17trampoline_kernelINS0_14default_configENS1_22reduce_config_selectorIN6thrust23THRUST_200600_302600_NS5tupleIblNS6_9null_typeES8_S8_S8_S8_S8_S8_S8_EEEEZNS1_11reduce_implILb1ES3_NS6_12zip_iteratorINS7_INS6_11hip_rocprim26transform_input_iterator_tIbPKhN2at6native10EqualsModeEEENSD_19counting_iterator_tIlEES8_S8_S8_S8_S8_S8_S8_S8_EEEEPS9_S9_NSD_9__find_if7functorIS9_EEEE10hipError_tPvRmT1_T2_T3_mT4_P12ihipStream_tbEUlT_E1_NS1_11comp_targetILNS1_3genE0ELNS1_11target_archE4294967295ELNS1_3gpuE0ELNS1_3repE0EEENS1_30default_config_static_selectorELNS0_4arch9wavefront6targetE1EEEvSW_
	.p2align	8
	.type	_ZN7rocprim17ROCPRIM_400000_NS6detail17trampoline_kernelINS0_14default_configENS1_22reduce_config_selectorIN6thrust23THRUST_200600_302600_NS5tupleIblNS6_9null_typeES8_S8_S8_S8_S8_S8_S8_EEEEZNS1_11reduce_implILb1ES3_NS6_12zip_iteratorINS7_INS6_11hip_rocprim26transform_input_iterator_tIbPKhN2at6native10EqualsModeEEENSD_19counting_iterator_tIlEES8_S8_S8_S8_S8_S8_S8_S8_EEEEPS9_S9_NSD_9__find_if7functorIS9_EEEE10hipError_tPvRmT1_T2_T3_mT4_P12ihipStream_tbEUlT_E1_NS1_11comp_targetILNS1_3genE0ELNS1_11target_archE4294967295ELNS1_3gpuE0ELNS1_3repE0EEENS1_30default_config_static_selectorELNS0_4arch9wavefront6targetE1EEEvSW_,@function
_ZN7rocprim17ROCPRIM_400000_NS6detail17trampoline_kernelINS0_14default_configENS1_22reduce_config_selectorIN6thrust23THRUST_200600_302600_NS5tupleIblNS6_9null_typeES8_S8_S8_S8_S8_S8_S8_EEEEZNS1_11reduce_implILb1ES3_NS6_12zip_iteratorINS7_INS6_11hip_rocprim26transform_input_iterator_tIbPKhN2at6native10EqualsModeEEENSD_19counting_iterator_tIlEES8_S8_S8_S8_S8_S8_S8_S8_EEEEPS9_S9_NSD_9__find_if7functorIS9_EEEE10hipError_tPvRmT1_T2_T3_mT4_P12ihipStream_tbEUlT_E1_NS1_11comp_targetILNS1_3genE0ELNS1_11target_archE4294967295ELNS1_3gpuE0ELNS1_3repE0EEENS1_30default_config_static_selectorELNS0_4arch9wavefront6targetE1EEEvSW_: ; @_ZN7rocprim17ROCPRIM_400000_NS6detail17trampoline_kernelINS0_14default_configENS1_22reduce_config_selectorIN6thrust23THRUST_200600_302600_NS5tupleIblNS6_9null_typeES8_S8_S8_S8_S8_S8_S8_EEEEZNS1_11reduce_implILb1ES3_NS6_12zip_iteratorINS7_INS6_11hip_rocprim26transform_input_iterator_tIbPKhN2at6native10EqualsModeEEENSD_19counting_iterator_tIlEES8_S8_S8_S8_S8_S8_S8_S8_EEEEPS9_S9_NSD_9__find_if7functorIS9_EEEE10hipError_tPvRmT1_T2_T3_mT4_P12ihipStream_tbEUlT_E1_NS1_11comp_targetILNS1_3genE0ELNS1_11target_archE4294967295ELNS1_3gpuE0ELNS1_3repE0EEENS1_30default_config_static_selectorELNS0_4arch9wavefront6targetE1EEEvSW_
; %bb.0:
	.section	.rodata,"a",@progbits
	.p2align	6, 0x0
	.amdhsa_kernel _ZN7rocprim17ROCPRIM_400000_NS6detail17trampoline_kernelINS0_14default_configENS1_22reduce_config_selectorIN6thrust23THRUST_200600_302600_NS5tupleIblNS6_9null_typeES8_S8_S8_S8_S8_S8_S8_EEEEZNS1_11reduce_implILb1ES3_NS6_12zip_iteratorINS7_INS6_11hip_rocprim26transform_input_iterator_tIbPKhN2at6native10EqualsModeEEENSD_19counting_iterator_tIlEES8_S8_S8_S8_S8_S8_S8_S8_EEEEPS9_S9_NSD_9__find_if7functorIS9_EEEE10hipError_tPvRmT1_T2_T3_mT4_P12ihipStream_tbEUlT_E1_NS1_11comp_targetILNS1_3genE0ELNS1_11target_archE4294967295ELNS1_3gpuE0ELNS1_3repE0EEENS1_30default_config_static_selectorELNS0_4arch9wavefront6targetE1EEEvSW_
		.amdhsa_group_segment_fixed_size 0
		.amdhsa_private_segment_fixed_size 0
		.amdhsa_kernarg_size 72
		.amdhsa_user_sgpr_count 6
		.amdhsa_user_sgpr_private_segment_buffer 1
		.amdhsa_user_sgpr_dispatch_ptr 0
		.amdhsa_user_sgpr_queue_ptr 0
		.amdhsa_user_sgpr_kernarg_segment_ptr 1
		.amdhsa_user_sgpr_dispatch_id 0
		.amdhsa_user_sgpr_flat_scratch_init 0
		.amdhsa_user_sgpr_kernarg_preload_length 0
		.amdhsa_user_sgpr_kernarg_preload_offset 0
		.amdhsa_user_sgpr_private_segment_size 0
		.amdhsa_uses_dynamic_stack 0
		.amdhsa_system_sgpr_private_segment_wavefront_offset 0
		.amdhsa_system_sgpr_workgroup_id_x 1
		.amdhsa_system_sgpr_workgroup_id_y 0
		.amdhsa_system_sgpr_workgroup_id_z 0
		.amdhsa_system_sgpr_workgroup_info 0
		.amdhsa_system_vgpr_workitem_id 0
		.amdhsa_next_free_vgpr 1
		.amdhsa_next_free_sgpr 0
		.amdhsa_accum_offset 4
		.amdhsa_reserve_vcc 0
		.amdhsa_reserve_flat_scratch 0
		.amdhsa_float_round_mode_32 0
		.amdhsa_float_round_mode_16_64 0
		.amdhsa_float_denorm_mode_32 3
		.amdhsa_float_denorm_mode_16_64 3
		.amdhsa_dx10_clamp 1
		.amdhsa_ieee_mode 1
		.amdhsa_fp16_overflow 0
		.amdhsa_tg_split 0
		.amdhsa_exception_fp_ieee_invalid_op 0
		.amdhsa_exception_fp_denorm_src 0
		.amdhsa_exception_fp_ieee_div_zero 0
		.amdhsa_exception_fp_ieee_overflow 0
		.amdhsa_exception_fp_ieee_underflow 0
		.amdhsa_exception_fp_ieee_inexact 0
		.amdhsa_exception_int_div_zero 0
	.end_amdhsa_kernel
	.section	.text._ZN7rocprim17ROCPRIM_400000_NS6detail17trampoline_kernelINS0_14default_configENS1_22reduce_config_selectorIN6thrust23THRUST_200600_302600_NS5tupleIblNS6_9null_typeES8_S8_S8_S8_S8_S8_S8_EEEEZNS1_11reduce_implILb1ES3_NS6_12zip_iteratorINS7_INS6_11hip_rocprim26transform_input_iterator_tIbPKhN2at6native10EqualsModeEEENSD_19counting_iterator_tIlEES8_S8_S8_S8_S8_S8_S8_S8_EEEEPS9_S9_NSD_9__find_if7functorIS9_EEEE10hipError_tPvRmT1_T2_T3_mT4_P12ihipStream_tbEUlT_E1_NS1_11comp_targetILNS1_3genE0ELNS1_11target_archE4294967295ELNS1_3gpuE0ELNS1_3repE0EEENS1_30default_config_static_selectorELNS0_4arch9wavefront6targetE1EEEvSW_,"axG",@progbits,_ZN7rocprim17ROCPRIM_400000_NS6detail17trampoline_kernelINS0_14default_configENS1_22reduce_config_selectorIN6thrust23THRUST_200600_302600_NS5tupleIblNS6_9null_typeES8_S8_S8_S8_S8_S8_S8_EEEEZNS1_11reduce_implILb1ES3_NS6_12zip_iteratorINS7_INS6_11hip_rocprim26transform_input_iterator_tIbPKhN2at6native10EqualsModeEEENSD_19counting_iterator_tIlEES8_S8_S8_S8_S8_S8_S8_S8_EEEEPS9_S9_NSD_9__find_if7functorIS9_EEEE10hipError_tPvRmT1_T2_T3_mT4_P12ihipStream_tbEUlT_E1_NS1_11comp_targetILNS1_3genE0ELNS1_11target_archE4294967295ELNS1_3gpuE0ELNS1_3repE0EEENS1_30default_config_static_selectorELNS0_4arch9wavefront6targetE1EEEvSW_,comdat
.Lfunc_end63:
	.size	_ZN7rocprim17ROCPRIM_400000_NS6detail17trampoline_kernelINS0_14default_configENS1_22reduce_config_selectorIN6thrust23THRUST_200600_302600_NS5tupleIblNS6_9null_typeES8_S8_S8_S8_S8_S8_S8_EEEEZNS1_11reduce_implILb1ES3_NS6_12zip_iteratorINS7_INS6_11hip_rocprim26transform_input_iterator_tIbPKhN2at6native10EqualsModeEEENSD_19counting_iterator_tIlEES8_S8_S8_S8_S8_S8_S8_S8_EEEEPS9_S9_NSD_9__find_if7functorIS9_EEEE10hipError_tPvRmT1_T2_T3_mT4_P12ihipStream_tbEUlT_E1_NS1_11comp_targetILNS1_3genE0ELNS1_11target_archE4294967295ELNS1_3gpuE0ELNS1_3repE0EEENS1_30default_config_static_selectorELNS0_4arch9wavefront6targetE1EEEvSW_, .Lfunc_end63-_ZN7rocprim17ROCPRIM_400000_NS6detail17trampoline_kernelINS0_14default_configENS1_22reduce_config_selectorIN6thrust23THRUST_200600_302600_NS5tupleIblNS6_9null_typeES8_S8_S8_S8_S8_S8_S8_EEEEZNS1_11reduce_implILb1ES3_NS6_12zip_iteratorINS7_INS6_11hip_rocprim26transform_input_iterator_tIbPKhN2at6native10EqualsModeEEENSD_19counting_iterator_tIlEES8_S8_S8_S8_S8_S8_S8_S8_EEEEPS9_S9_NSD_9__find_if7functorIS9_EEEE10hipError_tPvRmT1_T2_T3_mT4_P12ihipStream_tbEUlT_E1_NS1_11comp_targetILNS1_3genE0ELNS1_11target_archE4294967295ELNS1_3gpuE0ELNS1_3repE0EEENS1_30default_config_static_selectorELNS0_4arch9wavefront6targetE1EEEvSW_
                                        ; -- End function
	.section	.AMDGPU.csdata,"",@progbits
; Kernel info:
; codeLenInByte = 0
; NumSgprs: 4
; NumVgprs: 0
; NumAgprs: 0
; TotalNumVgprs: 0
; ScratchSize: 0
; MemoryBound: 0
; FloatMode: 240
; IeeeMode: 1
; LDSByteSize: 0 bytes/workgroup (compile time only)
; SGPRBlocks: 0
; VGPRBlocks: 0
; NumSGPRsForWavesPerEU: 4
; NumVGPRsForWavesPerEU: 1
; AccumOffset: 4
; Occupancy: 8
; WaveLimiterHint : 0
; COMPUTE_PGM_RSRC2:SCRATCH_EN: 0
; COMPUTE_PGM_RSRC2:USER_SGPR: 6
; COMPUTE_PGM_RSRC2:TRAP_HANDLER: 0
; COMPUTE_PGM_RSRC2:TGID_X_EN: 1
; COMPUTE_PGM_RSRC2:TGID_Y_EN: 0
; COMPUTE_PGM_RSRC2:TGID_Z_EN: 0
; COMPUTE_PGM_RSRC2:TIDIG_COMP_CNT: 0
; COMPUTE_PGM_RSRC3_GFX90A:ACCUM_OFFSET: 0
; COMPUTE_PGM_RSRC3_GFX90A:TG_SPLIT: 0
	.section	.text._ZN7rocprim17ROCPRIM_400000_NS6detail17trampoline_kernelINS0_14default_configENS1_22reduce_config_selectorIN6thrust23THRUST_200600_302600_NS5tupleIblNS6_9null_typeES8_S8_S8_S8_S8_S8_S8_EEEEZNS1_11reduce_implILb1ES3_NS6_12zip_iteratorINS7_INS6_11hip_rocprim26transform_input_iterator_tIbPKhN2at6native10EqualsModeEEENSD_19counting_iterator_tIlEES8_S8_S8_S8_S8_S8_S8_S8_EEEEPS9_S9_NSD_9__find_if7functorIS9_EEEE10hipError_tPvRmT1_T2_T3_mT4_P12ihipStream_tbEUlT_E1_NS1_11comp_targetILNS1_3genE5ELNS1_11target_archE942ELNS1_3gpuE9ELNS1_3repE0EEENS1_30default_config_static_selectorELNS0_4arch9wavefront6targetE1EEEvSW_,"axG",@progbits,_ZN7rocprim17ROCPRIM_400000_NS6detail17trampoline_kernelINS0_14default_configENS1_22reduce_config_selectorIN6thrust23THRUST_200600_302600_NS5tupleIblNS6_9null_typeES8_S8_S8_S8_S8_S8_S8_EEEEZNS1_11reduce_implILb1ES3_NS6_12zip_iteratorINS7_INS6_11hip_rocprim26transform_input_iterator_tIbPKhN2at6native10EqualsModeEEENSD_19counting_iterator_tIlEES8_S8_S8_S8_S8_S8_S8_S8_EEEEPS9_S9_NSD_9__find_if7functorIS9_EEEE10hipError_tPvRmT1_T2_T3_mT4_P12ihipStream_tbEUlT_E1_NS1_11comp_targetILNS1_3genE5ELNS1_11target_archE942ELNS1_3gpuE9ELNS1_3repE0EEENS1_30default_config_static_selectorELNS0_4arch9wavefront6targetE1EEEvSW_,comdat
	.protected	_ZN7rocprim17ROCPRIM_400000_NS6detail17trampoline_kernelINS0_14default_configENS1_22reduce_config_selectorIN6thrust23THRUST_200600_302600_NS5tupleIblNS6_9null_typeES8_S8_S8_S8_S8_S8_S8_EEEEZNS1_11reduce_implILb1ES3_NS6_12zip_iteratorINS7_INS6_11hip_rocprim26transform_input_iterator_tIbPKhN2at6native10EqualsModeEEENSD_19counting_iterator_tIlEES8_S8_S8_S8_S8_S8_S8_S8_EEEEPS9_S9_NSD_9__find_if7functorIS9_EEEE10hipError_tPvRmT1_T2_T3_mT4_P12ihipStream_tbEUlT_E1_NS1_11comp_targetILNS1_3genE5ELNS1_11target_archE942ELNS1_3gpuE9ELNS1_3repE0EEENS1_30default_config_static_selectorELNS0_4arch9wavefront6targetE1EEEvSW_ ; -- Begin function _ZN7rocprim17ROCPRIM_400000_NS6detail17trampoline_kernelINS0_14default_configENS1_22reduce_config_selectorIN6thrust23THRUST_200600_302600_NS5tupleIblNS6_9null_typeES8_S8_S8_S8_S8_S8_S8_EEEEZNS1_11reduce_implILb1ES3_NS6_12zip_iteratorINS7_INS6_11hip_rocprim26transform_input_iterator_tIbPKhN2at6native10EqualsModeEEENSD_19counting_iterator_tIlEES8_S8_S8_S8_S8_S8_S8_S8_EEEEPS9_S9_NSD_9__find_if7functorIS9_EEEE10hipError_tPvRmT1_T2_T3_mT4_P12ihipStream_tbEUlT_E1_NS1_11comp_targetILNS1_3genE5ELNS1_11target_archE942ELNS1_3gpuE9ELNS1_3repE0EEENS1_30default_config_static_selectorELNS0_4arch9wavefront6targetE1EEEvSW_
	.globl	_ZN7rocprim17ROCPRIM_400000_NS6detail17trampoline_kernelINS0_14default_configENS1_22reduce_config_selectorIN6thrust23THRUST_200600_302600_NS5tupleIblNS6_9null_typeES8_S8_S8_S8_S8_S8_S8_EEEEZNS1_11reduce_implILb1ES3_NS6_12zip_iteratorINS7_INS6_11hip_rocprim26transform_input_iterator_tIbPKhN2at6native10EqualsModeEEENSD_19counting_iterator_tIlEES8_S8_S8_S8_S8_S8_S8_S8_EEEEPS9_S9_NSD_9__find_if7functorIS9_EEEE10hipError_tPvRmT1_T2_T3_mT4_P12ihipStream_tbEUlT_E1_NS1_11comp_targetILNS1_3genE5ELNS1_11target_archE942ELNS1_3gpuE9ELNS1_3repE0EEENS1_30default_config_static_selectorELNS0_4arch9wavefront6targetE1EEEvSW_
	.p2align	8
	.type	_ZN7rocprim17ROCPRIM_400000_NS6detail17trampoline_kernelINS0_14default_configENS1_22reduce_config_selectorIN6thrust23THRUST_200600_302600_NS5tupleIblNS6_9null_typeES8_S8_S8_S8_S8_S8_S8_EEEEZNS1_11reduce_implILb1ES3_NS6_12zip_iteratorINS7_INS6_11hip_rocprim26transform_input_iterator_tIbPKhN2at6native10EqualsModeEEENSD_19counting_iterator_tIlEES8_S8_S8_S8_S8_S8_S8_S8_EEEEPS9_S9_NSD_9__find_if7functorIS9_EEEE10hipError_tPvRmT1_T2_T3_mT4_P12ihipStream_tbEUlT_E1_NS1_11comp_targetILNS1_3genE5ELNS1_11target_archE942ELNS1_3gpuE9ELNS1_3repE0EEENS1_30default_config_static_selectorELNS0_4arch9wavefront6targetE1EEEvSW_,@function
_ZN7rocprim17ROCPRIM_400000_NS6detail17trampoline_kernelINS0_14default_configENS1_22reduce_config_selectorIN6thrust23THRUST_200600_302600_NS5tupleIblNS6_9null_typeES8_S8_S8_S8_S8_S8_S8_EEEEZNS1_11reduce_implILb1ES3_NS6_12zip_iteratorINS7_INS6_11hip_rocprim26transform_input_iterator_tIbPKhN2at6native10EqualsModeEEENSD_19counting_iterator_tIlEES8_S8_S8_S8_S8_S8_S8_S8_EEEEPS9_S9_NSD_9__find_if7functorIS9_EEEE10hipError_tPvRmT1_T2_T3_mT4_P12ihipStream_tbEUlT_E1_NS1_11comp_targetILNS1_3genE5ELNS1_11target_archE942ELNS1_3gpuE9ELNS1_3repE0EEENS1_30default_config_static_selectorELNS0_4arch9wavefront6targetE1EEEvSW_: ; @_ZN7rocprim17ROCPRIM_400000_NS6detail17trampoline_kernelINS0_14default_configENS1_22reduce_config_selectorIN6thrust23THRUST_200600_302600_NS5tupleIblNS6_9null_typeES8_S8_S8_S8_S8_S8_S8_EEEEZNS1_11reduce_implILb1ES3_NS6_12zip_iteratorINS7_INS6_11hip_rocprim26transform_input_iterator_tIbPKhN2at6native10EqualsModeEEENSD_19counting_iterator_tIlEES8_S8_S8_S8_S8_S8_S8_S8_EEEEPS9_S9_NSD_9__find_if7functorIS9_EEEE10hipError_tPvRmT1_T2_T3_mT4_P12ihipStream_tbEUlT_E1_NS1_11comp_targetILNS1_3genE5ELNS1_11target_archE942ELNS1_3gpuE9ELNS1_3repE0EEENS1_30default_config_static_selectorELNS0_4arch9wavefront6targetE1EEEvSW_
; %bb.0:
	.section	.rodata,"a",@progbits
	.p2align	6, 0x0
	.amdhsa_kernel _ZN7rocprim17ROCPRIM_400000_NS6detail17trampoline_kernelINS0_14default_configENS1_22reduce_config_selectorIN6thrust23THRUST_200600_302600_NS5tupleIblNS6_9null_typeES8_S8_S8_S8_S8_S8_S8_EEEEZNS1_11reduce_implILb1ES3_NS6_12zip_iteratorINS7_INS6_11hip_rocprim26transform_input_iterator_tIbPKhN2at6native10EqualsModeEEENSD_19counting_iterator_tIlEES8_S8_S8_S8_S8_S8_S8_S8_EEEEPS9_S9_NSD_9__find_if7functorIS9_EEEE10hipError_tPvRmT1_T2_T3_mT4_P12ihipStream_tbEUlT_E1_NS1_11comp_targetILNS1_3genE5ELNS1_11target_archE942ELNS1_3gpuE9ELNS1_3repE0EEENS1_30default_config_static_selectorELNS0_4arch9wavefront6targetE1EEEvSW_
		.amdhsa_group_segment_fixed_size 0
		.amdhsa_private_segment_fixed_size 0
		.amdhsa_kernarg_size 72
		.amdhsa_user_sgpr_count 6
		.amdhsa_user_sgpr_private_segment_buffer 1
		.amdhsa_user_sgpr_dispatch_ptr 0
		.amdhsa_user_sgpr_queue_ptr 0
		.amdhsa_user_sgpr_kernarg_segment_ptr 1
		.amdhsa_user_sgpr_dispatch_id 0
		.amdhsa_user_sgpr_flat_scratch_init 0
		.amdhsa_user_sgpr_kernarg_preload_length 0
		.amdhsa_user_sgpr_kernarg_preload_offset 0
		.amdhsa_user_sgpr_private_segment_size 0
		.amdhsa_uses_dynamic_stack 0
		.amdhsa_system_sgpr_private_segment_wavefront_offset 0
		.amdhsa_system_sgpr_workgroup_id_x 1
		.amdhsa_system_sgpr_workgroup_id_y 0
		.amdhsa_system_sgpr_workgroup_id_z 0
		.amdhsa_system_sgpr_workgroup_info 0
		.amdhsa_system_vgpr_workitem_id 0
		.amdhsa_next_free_vgpr 1
		.amdhsa_next_free_sgpr 0
		.amdhsa_accum_offset 4
		.amdhsa_reserve_vcc 0
		.amdhsa_reserve_flat_scratch 0
		.amdhsa_float_round_mode_32 0
		.amdhsa_float_round_mode_16_64 0
		.amdhsa_float_denorm_mode_32 3
		.amdhsa_float_denorm_mode_16_64 3
		.amdhsa_dx10_clamp 1
		.amdhsa_ieee_mode 1
		.amdhsa_fp16_overflow 0
		.amdhsa_tg_split 0
		.amdhsa_exception_fp_ieee_invalid_op 0
		.amdhsa_exception_fp_denorm_src 0
		.amdhsa_exception_fp_ieee_div_zero 0
		.amdhsa_exception_fp_ieee_overflow 0
		.amdhsa_exception_fp_ieee_underflow 0
		.amdhsa_exception_fp_ieee_inexact 0
		.amdhsa_exception_int_div_zero 0
	.end_amdhsa_kernel
	.section	.text._ZN7rocprim17ROCPRIM_400000_NS6detail17trampoline_kernelINS0_14default_configENS1_22reduce_config_selectorIN6thrust23THRUST_200600_302600_NS5tupleIblNS6_9null_typeES8_S8_S8_S8_S8_S8_S8_EEEEZNS1_11reduce_implILb1ES3_NS6_12zip_iteratorINS7_INS6_11hip_rocprim26transform_input_iterator_tIbPKhN2at6native10EqualsModeEEENSD_19counting_iterator_tIlEES8_S8_S8_S8_S8_S8_S8_S8_EEEEPS9_S9_NSD_9__find_if7functorIS9_EEEE10hipError_tPvRmT1_T2_T3_mT4_P12ihipStream_tbEUlT_E1_NS1_11comp_targetILNS1_3genE5ELNS1_11target_archE942ELNS1_3gpuE9ELNS1_3repE0EEENS1_30default_config_static_selectorELNS0_4arch9wavefront6targetE1EEEvSW_,"axG",@progbits,_ZN7rocprim17ROCPRIM_400000_NS6detail17trampoline_kernelINS0_14default_configENS1_22reduce_config_selectorIN6thrust23THRUST_200600_302600_NS5tupleIblNS6_9null_typeES8_S8_S8_S8_S8_S8_S8_EEEEZNS1_11reduce_implILb1ES3_NS6_12zip_iteratorINS7_INS6_11hip_rocprim26transform_input_iterator_tIbPKhN2at6native10EqualsModeEEENSD_19counting_iterator_tIlEES8_S8_S8_S8_S8_S8_S8_S8_EEEEPS9_S9_NSD_9__find_if7functorIS9_EEEE10hipError_tPvRmT1_T2_T3_mT4_P12ihipStream_tbEUlT_E1_NS1_11comp_targetILNS1_3genE5ELNS1_11target_archE942ELNS1_3gpuE9ELNS1_3repE0EEENS1_30default_config_static_selectorELNS0_4arch9wavefront6targetE1EEEvSW_,comdat
.Lfunc_end64:
	.size	_ZN7rocprim17ROCPRIM_400000_NS6detail17trampoline_kernelINS0_14default_configENS1_22reduce_config_selectorIN6thrust23THRUST_200600_302600_NS5tupleIblNS6_9null_typeES8_S8_S8_S8_S8_S8_S8_EEEEZNS1_11reduce_implILb1ES3_NS6_12zip_iteratorINS7_INS6_11hip_rocprim26transform_input_iterator_tIbPKhN2at6native10EqualsModeEEENSD_19counting_iterator_tIlEES8_S8_S8_S8_S8_S8_S8_S8_EEEEPS9_S9_NSD_9__find_if7functorIS9_EEEE10hipError_tPvRmT1_T2_T3_mT4_P12ihipStream_tbEUlT_E1_NS1_11comp_targetILNS1_3genE5ELNS1_11target_archE942ELNS1_3gpuE9ELNS1_3repE0EEENS1_30default_config_static_selectorELNS0_4arch9wavefront6targetE1EEEvSW_, .Lfunc_end64-_ZN7rocprim17ROCPRIM_400000_NS6detail17trampoline_kernelINS0_14default_configENS1_22reduce_config_selectorIN6thrust23THRUST_200600_302600_NS5tupleIblNS6_9null_typeES8_S8_S8_S8_S8_S8_S8_EEEEZNS1_11reduce_implILb1ES3_NS6_12zip_iteratorINS7_INS6_11hip_rocprim26transform_input_iterator_tIbPKhN2at6native10EqualsModeEEENSD_19counting_iterator_tIlEES8_S8_S8_S8_S8_S8_S8_S8_EEEEPS9_S9_NSD_9__find_if7functorIS9_EEEE10hipError_tPvRmT1_T2_T3_mT4_P12ihipStream_tbEUlT_E1_NS1_11comp_targetILNS1_3genE5ELNS1_11target_archE942ELNS1_3gpuE9ELNS1_3repE0EEENS1_30default_config_static_selectorELNS0_4arch9wavefront6targetE1EEEvSW_
                                        ; -- End function
	.section	.AMDGPU.csdata,"",@progbits
; Kernel info:
; codeLenInByte = 0
; NumSgprs: 4
; NumVgprs: 0
; NumAgprs: 0
; TotalNumVgprs: 0
; ScratchSize: 0
; MemoryBound: 0
; FloatMode: 240
; IeeeMode: 1
; LDSByteSize: 0 bytes/workgroup (compile time only)
; SGPRBlocks: 0
; VGPRBlocks: 0
; NumSGPRsForWavesPerEU: 4
; NumVGPRsForWavesPerEU: 1
; AccumOffset: 4
; Occupancy: 8
; WaveLimiterHint : 0
; COMPUTE_PGM_RSRC2:SCRATCH_EN: 0
; COMPUTE_PGM_RSRC2:USER_SGPR: 6
; COMPUTE_PGM_RSRC2:TRAP_HANDLER: 0
; COMPUTE_PGM_RSRC2:TGID_X_EN: 1
; COMPUTE_PGM_RSRC2:TGID_Y_EN: 0
; COMPUTE_PGM_RSRC2:TGID_Z_EN: 0
; COMPUTE_PGM_RSRC2:TIDIG_COMP_CNT: 0
; COMPUTE_PGM_RSRC3_GFX90A:ACCUM_OFFSET: 0
; COMPUTE_PGM_RSRC3_GFX90A:TG_SPLIT: 0
	.section	.text._ZN7rocprim17ROCPRIM_400000_NS6detail17trampoline_kernelINS0_14default_configENS1_22reduce_config_selectorIN6thrust23THRUST_200600_302600_NS5tupleIblNS6_9null_typeES8_S8_S8_S8_S8_S8_S8_EEEEZNS1_11reduce_implILb1ES3_NS6_12zip_iteratorINS7_INS6_11hip_rocprim26transform_input_iterator_tIbPKhN2at6native10EqualsModeEEENSD_19counting_iterator_tIlEES8_S8_S8_S8_S8_S8_S8_S8_EEEEPS9_S9_NSD_9__find_if7functorIS9_EEEE10hipError_tPvRmT1_T2_T3_mT4_P12ihipStream_tbEUlT_E1_NS1_11comp_targetILNS1_3genE4ELNS1_11target_archE910ELNS1_3gpuE8ELNS1_3repE0EEENS1_30default_config_static_selectorELNS0_4arch9wavefront6targetE1EEEvSW_,"axG",@progbits,_ZN7rocprim17ROCPRIM_400000_NS6detail17trampoline_kernelINS0_14default_configENS1_22reduce_config_selectorIN6thrust23THRUST_200600_302600_NS5tupleIblNS6_9null_typeES8_S8_S8_S8_S8_S8_S8_EEEEZNS1_11reduce_implILb1ES3_NS6_12zip_iteratorINS7_INS6_11hip_rocprim26transform_input_iterator_tIbPKhN2at6native10EqualsModeEEENSD_19counting_iterator_tIlEES8_S8_S8_S8_S8_S8_S8_S8_EEEEPS9_S9_NSD_9__find_if7functorIS9_EEEE10hipError_tPvRmT1_T2_T3_mT4_P12ihipStream_tbEUlT_E1_NS1_11comp_targetILNS1_3genE4ELNS1_11target_archE910ELNS1_3gpuE8ELNS1_3repE0EEENS1_30default_config_static_selectorELNS0_4arch9wavefront6targetE1EEEvSW_,comdat
	.protected	_ZN7rocprim17ROCPRIM_400000_NS6detail17trampoline_kernelINS0_14default_configENS1_22reduce_config_selectorIN6thrust23THRUST_200600_302600_NS5tupleIblNS6_9null_typeES8_S8_S8_S8_S8_S8_S8_EEEEZNS1_11reduce_implILb1ES3_NS6_12zip_iteratorINS7_INS6_11hip_rocprim26transform_input_iterator_tIbPKhN2at6native10EqualsModeEEENSD_19counting_iterator_tIlEES8_S8_S8_S8_S8_S8_S8_S8_EEEEPS9_S9_NSD_9__find_if7functorIS9_EEEE10hipError_tPvRmT1_T2_T3_mT4_P12ihipStream_tbEUlT_E1_NS1_11comp_targetILNS1_3genE4ELNS1_11target_archE910ELNS1_3gpuE8ELNS1_3repE0EEENS1_30default_config_static_selectorELNS0_4arch9wavefront6targetE1EEEvSW_ ; -- Begin function _ZN7rocprim17ROCPRIM_400000_NS6detail17trampoline_kernelINS0_14default_configENS1_22reduce_config_selectorIN6thrust23THRUST_200600_302600_NS5tupleIblNS6_9null_typeES8_S8_S8_S8_S8_S8_S8_EEEEZNS1_11reduce_implILb1ES3_NS6_12zip_iteratorINS7_INS6_11hip_rocprim26transform_input_iterator_tIbPKhN2at6native10EqualsModeEEENSD_19counting_iterator_tIlEES8_S8_S8_S8_S8_S8_S8_S8_EEEEPS9_S9_NSD_9__find_if7functorIS9_EEEE10hipError_tPvRmT1_T2_T3_mT4_P12ihipStream_tbEUlT_E1_NS1_11comp_targetILNS1_3genE4ELNS1_11target_archE910ELNS1_3gpuE8ELNS1_3repE0EEENS1_30default_config_static_selectorELNS0_4arch9wavefront6targetE1EEEvSW_
	.globl	_ZN7rocprim17ROCPRIM_400000_NS6detail17trampoline_kernelINS0_14default_configENS1_22reduce_config_selectorIN6thrust23THRUST_200600_302600_NS5tupleIblNS6_9null_typeES8_S8_S8_S8_S8_S8_S8_EEEEZNS1_11reduce_implILb1ES3_NS6_12zip_iteratorINS7_INS6_11hip_rocprim26transform_input_iterator_tIbPKhN2at6native10EqualsModeEEENSD_19counting_iterator_tIlEES8_S8_S8_S8_S8_S8_S8_S8_EEEEPS9_S9_NSD_9__find_if7functorIS9_EEEE10hipError_tPvRmT1_T2_T3_mT4_P12ihipStream_tbEUlT_E1_NS1_11comp_targetILNS1_3genE4ELNS1_11target_archE910ELNS1_3gpuE8ELNS1_3repE0EEENS1_30default_config_static_selectorELNS0_4arch9wavefront6targetE1EEEvSW_
	.p2align	8
	.type	_ZN7rocprim17ROCPRIM_400000_NS6detail17trampoline_kernelINS0_14default_configENS1_22reduce_config_selectorIN6thrust23THRUST_200600_302600_NS5tupleIblNS6_9null_typeES8_S8_S8_S8_S8_S8_S8_EEEEZNS1_11reduce_implILb1ES3_NS6_12zip_iteratorINS7_INS6_11hip_rocprim26transform_input_iterator_tIbPKhN2at6native10EqualsModeEEENSD_19counting_iterator_tIlEES8_S8_S8_S8_S8_S8_S8_S8_EEEEPS9_S9_NSD_9__find_if7functorIS9_EEEE10hipError_tPvRmT1_T2_T3_mT4_P12ihipStream_tbEUlT_E1_NS1_11comp_targetILNS1_3genE4ELNS1_11target_archE910ELNS1_3gpuE8ELNS1_3repE0EEENS1_30default_config_static_selectorELNS0_4arch9wavefront6targetE1EEEvSW_,@function
_ZN7rocprim17ROCPRIM_400000_NS6detail17trampoline_kernelINS0_14default_configENS1_22reduce_config_selectorIN6thrust23THRUST_200600_302600_NS5tupleIblNS6_9null_typeES8_S8_S8_S8_S8_S8_S8_EEEEZNS1_11reduce_implILb1ES3_NS6_12zip_iteratorINS7_INS6_11hip_rocprim26transform_input_iterator_tIbPKhN2at6native10EqualsModeEEENSD_19counting_iterator_tIlEES8_S8_S8_S8_S8_S8_S8_S8_EEEEPS9_S9_NSD_9__find_if7functorIS9_EEEE10hipError_tPvRmT1_T2_T3_mT4_P12ihipStream_tbEUlT_E1_NS1_11comp_targetILNS1_3genE4ELNS1_11target_archE910ELNS1_3gpuE8ELNS1_3repE0EEENS1_30default_config_static_selectorELNS0_4arch9wavefront6targetE1EEEvSW_: ; @_ZN7rocprim17ROCPRIM_400000_NS6detail17trampoline_kernelINS0_14default_configENS1_22reduce_config_selectorIN6thrust23THRUST_200600_302600_NS5tupleIblNS6_9null_typeES8_S8_S8_S8_S8_S8_S8_EEEEZNS1_11reduce_implILb1ES3_NS6_12zip_iteratorINS7_INS6_11hip_rocprim26transform_input_iterator_tIbPKhN2at6native10EqualsModeEEENSD_19counting_iterator_tIlEES8_S8_S8_S8_S8_S8_S8_S8_EEEEPS9_S9_NSD_9__find_if7functorIS9_EEEE10hipError_tPvRmT1_T2_T3_mT4_P12ihipStream_tbEUlT_E1_NS1_11comp_targetILNS1_3genE4ELNS1_11target_archE910ELNS1_3gpuE8ELNS1_3repE0EEENS1_30default_config_static_selectorELNS0_4arch9wavefront6targetE1EEEvSW_
; %bb.0:
	s_load_dword s33, s[4:5], 0x4
	s_load_dwordx2 s[24:25], s[4:5], 0x8
	s_load_dword s31, s[4:5], 0x10
	s_load_dwordx4 s[20:23], s[4:5], 0x18
	s_load_dword s30, s[4:5], 0x30
	s_load_dwordx2 s[18:19], s[4:5], 0x38
	s_waitcnt lgkmcnt(0)
	s_cmp_lt_i32 s33, 4
	s_cbranch_scc1 .LBB65_21
; %bb.1:
	s_cmp_gt_i32 s33, 7
	s_cbranch_scc0 .LBB65_22
; %bb.2:
	s_cmp_eq_u32 s33, 8
	s_mov_b64 s[26:27], 0
	s_cbranch_scc0 .LBB65_23
; %bb.3:
	s_lshl_b32 s8, s6, 11
	s_lshr_b64 s[0:1], s[22:23], 11
	s_add_u32 s16, s24, s8
	s_addc_u32 s17, s25, 0
	s_add_u32 s34, s20, s8
	s_mov_b32 s7, 0
	s_addc_u32 s35, s21, 0
	s_cmp_lg_u64 s[0:1], s[6:7]
	s_cbranch_scc0 .LBB65_44
; %bb.4:
	global_load_ubyte v1, v0, s[16:17]
	global_load_ubyte v2, v0, s[16:17] offset:256
	global_load_ubyte v3, v0, s[16:17] offset:512
	;; [unrolled: 1-line block ×7, first 2 shown]
	v_mov_b32_e32 v9, s35
	v_add_co_u32_e32 v18, vcc, s34, v0
	v_addc_co_u32_e32 v9, vcc, 0, v9, vcc
	v_mov_b32_e32 v10, 0
	v_mov_b32_e32 v11, 0x200
	;; [unrolled: 1-line block ×8, first 2 shown]
	s_waitcnt vmcnt(7)
	v_cmp_ne_u16_e32 vcc, 0, v1
	v_cndmask_b32_e64 v1, 0, 1, vcc
	s_waitcnt vmcnt(6)
	v_cmp_ne_u16_e32 vcc, 0, v2
	v_cndmask_b32_e64 v2, 0, 1, vcc
	s_waitcnt vmcnt(4)
	v_cmp_ne_u16_e32 vcc, 0, v4
	v_cmp_ne_u16_sdwa s[0:1], v3, v10 src0_sel:BYTE_0 src1_sel:DWORD
	v_cndmask_b32_e64 v4, 0, 1, vcc
	s_waitcnt vmcnt(2)
	v_cmp_ne_u16_e32 vcc, 0, v6
	v_cndmask_b32_e64 v3, 0, 1, s[0:1]
	v_cmp_ne_u16_sdwa s[0:1], v5, v10 src0_sel:BYTE_0 src1_sel:DWORD
	v_cndmask_b32_e64 v6, 0, 1, vcc
	v_cmp_eq_u16_sdwa vcc, s31, v2 src0_sel:BYTE_0 src1_sel:DWORD
	v_cndmask_b32_e64 v5, 0, 1, s[0:1]
	s_waitcnt vmcnt(1)
	v_cmp_ne_u16_sdwa s[0:1], v7, v10 src0_sel:BYTE_0 src1_sel:DWORD
	v_cndmask_b32_e32 v2, v11, v12, vcc
	v_cmp_eq_u16_sdwa s[36:37], s31, v1 src0_sel:BYTE_0 src1_sel:DWORD
	v_cndmask_b32_e64 v7, 0, 1, s[0:1]
	s_waitcnt vmcnt(0)
	v_cmp_ne_u16_sdwa s[0:1], v8, v10 src0_sel:BYTE_0 src1_sel:DWORD
	v_cmp_eq_u16_sdwa s[10:11], s31, v3 src0_sel:BYTE_0 src1_sel:DWORD
	v_cndmask_b32_e64 v1, v2, 0, s[36:37]
	s_or_b64 s[36:37], s[36:37], vcc
	v_cndmask_b32_e64 v8, 0, 1, s[0:1]
	v_cmp_eq_u16_sdwa s[0:1], s31, v4 src0_sel:BYTE_0 src1_sel:DWORD
	s_or_b64 vcc, s[36:37], s[10:11]
	v_cmp_eq_u16_sdwa s[12:13], s31, v5 src0_sel:BYTE_0 src1_sel:DWORD
	v_cndmask_b32_e64 v3, v13, v14, s[0:1]
	s_or_b64 s[0:1], vcc, s[0:1]
	v_cmp_eq_u16_sdwa s[2:3], s31, v6 src0_sel:BYTE_0 src1_sel:DWORD
	v_cndmask_b32_e32 v1, v3, v1, vcc
	s_or_b64 vcc, s[0:1], s[12:13]
	v_cmp_eq_u16_sdwa s[14:15], s31, v7 src0_sel:BYTE_0 src1_sel:DWORD
	v_cndmask_b32_e64 v4, v15, v16, s[2:3]
	s_or_b64 s[0:1], vcc, s[2:3]
	v_cndmask_b32_e32 v1, v4, v1, vcc
	s_or_b64 vcc, s[0:1], s[14:15]
	v_cndmask_b32_e32 v1, v17, v1, vcc
	v_add_co_u32_e64 v2, s[0:1], v18, v1
	v_cmp_eq_u16_sdwa s[28:29], s31, v8 src0_sel:BYTE_0 src1_sel:DWORD
	v_addc_co_u32_e64 v3, s[0:1], 0, v9, s[0:1]
	s_or_b64 s[0:1], vcc, s[28:29]
	v_cndmask_b32_e64 v1, 0, 1, s[0:1]
	v_mov_b32_dpp v4, v2 quad_perm:[1,0,3,2] row_mask:0xf bank_mask:0xf bound_ctrl:1
	v_mov_b32_dpp v5, v3 quad_perm:[1,0,3,2] row_mask:0xf bank_mask:0xf bound_ctrl:1
	;; [unrolled: 1-line block ×3, first 2 shown]
	v_and_b32_e32 v7, 1, v6
	v_cmp_eq_u32_e32 vcc, 1, v7
	s_and_saveexec_b64 s[2:3], vcc
; %bb.5:
	v_cmp_lt_i64_e32 vcc, v[2:3], v[4:5]
	v_cndmask_b32_e64 v6, v6, 1, s[0:1]
	s_and_b64 vcc, s[0:1], vcc
	v_cndmask_b32_e32 v2, v4, v2, vcc
	v_and_b32_e32 v4, 1, v6
	v_cndmask_b32_e32 v3, v5, v3, vcc
	v_cmp_eq_u32_e32 vcc, 1, v4
	s_andn2_b64 s[0:1], s[0:1], exec
	s_and_b64 s[10:11], vcc, exec
	v_and_b32_e32 v1, 0xff, v6
	s_or_b64 s[0:1], s[0:1], s[10:11]
; %bb.6:
	s_or_b64 exec, exec, s[2:3]
	v_mov_b32_dpp v6, v1 quad_perm:[2,3,0,1] row_mask:0xf bank_mask:0xf bound_ctrl:1
	v_and_b32_e32 v7, 1, v6
	v_mov_b32_dpp v4, v2 quad_perm:[2,3,0,1] row_mask:0xf bank_mask:0xf bound_ctrl:1
	v_mov_b32_dpp v5, v3 quad_perm:[2,3,0,1] row_mask:0xf bank_mask:0xf bound_ctrl:1
	v_cmp_eq_u32_e32 vcc, 1, v7
	s_and_saveexec_b64 s[2:3], vcc
; %bb.7:
	v_cmp_lt_i64_e32 vcc, v[2:3], v[4:5]
	v_cndmask_b32_e64 v6, v6, 1, s[0:1]
	s_and_b64 vcc, s[0:1], vcc
	v_cndmask_b32_e32 v2, v4, v2, vcc
	v_and_b32_e32 v4, 1, v6
	v_cndmask_b32_e32 v3, v5, v3, vcc
	v_cmp_eq_u32_e32 vcc, 1, v4
	s_andn2_b64 s[0:1], s[0:1], exec
	s_and_b64 s[10:11], vcc, exec
	v_and_b32_e32 v1, 0xff, v6
	s_or_b64 s[0:1], s[0:1], s[10:11]
; %bb.8:
	s_or_b64 exec, exec, s[2:3]
	v_mov_b32_dpp v6, v1 row_ror:4 row_mask:0xf bank_mask:0xf bound_ctrl:1
	v_and_b32_e32 v7, 1, v6
	v_mov_b32_dpp v4, v2 row_ror:4 row_mask:0xf bank_mask:0xf bound_ctrl:1
	v_mov_b32_dpp v5, v3 row_ror:4 row_mask:0xf bank_mask:0xf bound_ctrl:1
	v_cmp_eq_u32_e32 vcc, 1, v7
	s_and_saveexec_b64 s[2:3], vcc
; %bb.9:
	v_cmp_lt_i64_e32 vcc, v[2:3], v[4:5]
	v_cndmask_b32_e64 v6, v6, 1, s[0:1]
	s_and_b64 vcc, s[0:1], vcc
	v_cndmask_b32_e32 v2, v4, v2, vcc
	v_and_b32_e32 v4, 1, v6
	v_cndmask_b32_e32 v3, v5, v3, vcc
	v_cmp_eq_u32_e32 vcc, 1, v4
	s_andn2_b64 s[0:1], s[0:1], exec
	s_and_b64 s[10:11], vcc, exec
	v_and_b32_e32 v1, 0xff, v6
	s_or_b64 s[0:1], s[0:1], s[10:11]
; %bb.10:
	s_or_b64 exec, exec, s[2:3]
	v_mov_b32_dpp v6, v1 row_ror:8 row_mask:0xf bank_mask:0xf bound_ctrl:1
	v_and_b32_e32 v7, 1, v6
	v_mov_b32_dpp v4, v2 row_ror:8 row_mask:0xf bank_mask:0xf bound_ctrl:1
	v_mov_b32_dpp v5, v3 row_ror:8 row_mask:0xf bank_mask:0xf bound_ctrl:1
	v_cmp_eq_u32_e32 vcc, 1, v7
	s_and_saveexec_b64 s[2:3], vcc
; %bb.11:
	v_cmp_lt_i64_e32 vcc, v[2:3], v[4:5]
	v_cndmask_b32_e64 v6, v6, 1, s[0:1]
	s_and_b64 vcc, s[0:1], vcc
	v_cndmask_b32_e32 v2, v4, v2, vcc
	v_and_b32_e32 v4, 1, v6
	v_cndmask_b32_e32 v3, v5, v3, vcc
	v_cmp_eq_u32_e32 vcc, 1, v4
	s_andn2_b64 s[0:1], s[0:1], exec
	s_and_b64 s[10:11], vcc, exec
	v_and_b32_e32 v1, 0xff, v6
	s_or_b64 s[0:1], s[0:1], s[10:11]
; %bb.12:
	s_or_b64 exec, exec, s[2:3]
	v_mov_b32_dpp v6, v1 row_bcast:15 row_mask:0xf bank_mask:0xf bound_ctrl:1
	v_and_b32_e32 v7, 1, v6
	v_mov_b32_dpp v4, v2 row_bcast:15 row_mask:0xf bank_mask:0xf bound_ctrl:1
	v_mov_b32_dpp v5, v3 row_bcast:15 row_mask:0xf bank_mask:0xf bound_ctrl:1
	v_cmp_eq_u32_e32 vcc, 1, v7
	s_and_saveexec_b64 s[2:3], vcc
; %bb.13:
	v_cmp_lt_i64_e32 vcc, v[2:3], v[4:5]
	v_cndmask_b32_e64 v6, v6, 1, s[0:1]
	s_and_b64 vcc, s[0:1], vcc
	v_cndmask_b32_e32 v2, v4, v2, vcc
	v_and_b32_e32 v4, 1, v6
	v_cndmask_b32_e32 v3, v5, v3, vcc
	v_cmp_eq_u32_e32 vcc, 1, v4
	s_andn2_b64 s[0:1], s[0:1], exec
	s_and_b64 s[10:11], vcc, exec
	v_and_b32_e32 v1, 0xff, v6
	s_or_b64 s[0:1], s[0:1], s[10:11]
; %bb.14:
	s_or_b64 exec, exec, s[2:3]
	v_mov_b32_dpp v6, v1 row_bcast:31 row_mask:0xf bank_mask:0xf bound_ctrl:1
	v_and_b32_e32 v7, 1, v6
	v_mov_b32_dpp v4, v2 row_bcast:31 row_mask:0xf bank_mask:0xf bound_ctrl:1
	v_mov_b32_dpp v5, v3 row_bcast:31 row_mask:0xf bank_mask:0xf bound_ctrl:1
	v_cmp_eq_u32_e32 vcc, 1, v7
	s_and_saveexec_b64 s[2:3], vcc
; %bb.15:
	v_cmp_lt_i64_e32 vcc, v[2:3], v[4:5]
	v_and_b32_e32 v1, 0xff, v6
	s_and_b64 vcc, s[0:1], vcc
	v_cndmask_b32_e32 v2, v4, v2, vcc
	v_cndmask_b32_e32 v3, v5, v3, vcc
	v_cndmask_b32_e64 v1, v1, 1, s[0:1]
; %bb.16:
	s_or_b64 exec, exec, s[2:3]
	v_mbcnt_lo_u32_b32 v4, -1, 0
	v_mbcnt_hi_u32_b32 v4, -1, v4
	v_bfrev_b32_e32 v5, 0.5
	v_lshl_or_b32 v5, v4, 2, v5
	ds_bpermute_b32 v7, v5, v1
	ds_bpermute_b32 v2, v5, v2
	;; [unrolled: 1-line block ×3, first 2 shown]
	v_cmp_eq_u32_e32 vcc, 0, v4
	s_and_saveexec_b64 s[0:1], vcc
	s_cbranch_execz .LBB65_18
; %bb.17:
	v_lshrrev_b32_e32 v1, 2, v0
	v_and_b32_e32 v1, 48, v1
	s_waitcnt lgkmcnt(2)
	ds_write_b8 v1, v7 offset:192
	s_waitcnt lgkmcnt(1)
	ds_write_b64 v1, v[2:3] offset:200
.LBB65_18:
	s_or_b64 exec, exec, s[0:1]
	v_cmp_gt_u32_e32 vcc, 64, v0
	s_waitcnt lgkmcnt(0)
	s_barrier
	s_and_saveexec_b64 s[2:3], vcc
	s_cbranch_execz .LBB65_20
; %bb.19:
	v_and_b32_e32 v1, 3, v4
	v_lshlrev_b32_e32 v2, 4, v1
	ds_read_u8 v5, v2 offset:192
	ds_read_b64 v[2:3], v2 offset:200
	v_cmp_ne_u32_e32 vcc, 3, v1
	v_addc_co_u32_e32 v6, vcc, 0, v4, vcc
	s_waitcnt lgkmcnt(1)
	v_and_b32_e32 v7, 0xff, v5
	v_lshlrev_b32_e32 v8, 2, v6
	ds_bpermute_b32 v9, v8, v7
	s_waitcnt lgkmcnt(1)
	ds_bpermute_b32 v6, v8, v2
	ds_bpermute_b32 v7, v8, v3
	v_and_b32_e32 v8, 1, v5
	s_waitcnt lgkmcnt(2)
	v_and_b32_e32 v10, 1, v9
	v_cmp_eq_u32_e64 s[0:1], 1, v10
	s_waitcnt lgkmcnt(0)
	v_cmp_lt_i64_e32 vcc, v[6:7], v[2:3]
	s_and_b64 vcc, s[0:1], vcc
	v_cndmask_b32_e64 v5, v5, 1, s[0:1]
	v_cndmask_b32_e32 v2, v2, v6, vcc
	v_cndmask_b32_e32 v3, v3, v7, vcc
	v_cmp_eq_u32_e32 vcc, 1, v8
	v_cndmask_b32_e32 v8, v9, v5, vcc
	v_cndmask_b32_e32 v3, v7, v3, vcc
	;; [unrolled: 1-line block ×3, first 2 shown]
	v_cmp_gt_u32_e32 vcc, 2, v1
	v_cndmask_b32_e64 v1, 0, 1, vcc
	v_lshlrev_b32_e32 v1, 1, v1
	v_and_b32_e32 v5, 0xff, v8
	v_add_lshl_u32 v1, v1, v4, 2
	ds_bpermute_b32 v6, v1, v5
	ds_bpermute_b32 v4, v1, v2
	;; [unrolled: 1-line block ×3, first 2 shown]
	v_and_b32_e32 v1, 1, v8
	s_waitcnt lgkmcnt(2)
	v_and_b32_e32 v7, 1, v6
	v_cmp_eq_u32_e64 s[0:1], 1, v7
	s_waitcnt lgkmcnt(0)
	v_cmp_lt_i64_e32 vcc, v[4:5], v[2:3]
	s_and_b64 vcc, s[0:1], vcc
	v_cndmask_b32_e64 v7, v8, 1, s[0:1]
	v_cndmask_b32_e32 v2, v2, v4, vcc
	v_cndmask_b32_e32 v3, v3, v5, vcc
	v_cmp_eq_u32_e32 vcc, 1, v1
	v_cndmask_b32_e32 v1, v6, v7, vcc
	v_cndmask_b32_e32 v3, v5, v3, vcc
	;; [unrolled: 1-line block ×3, first 2 shown]
	v_and_b32_e32 v7, 0xff, v1
.LBB65_20:
	s_or_b64 exec, exec, s[2:3]
	s_branch .LBB65_89
.LBB65_21:
	s_mov_b64 s[10:11], 0
                                        ; implicit-def: $vgpr4_vgpr5
                                        ; implicit-def: $vgpr1
	s_cbranch_execnz .LBB65_133
	s_branch .LBB65_208
.LBB65_22:
	s_mov_b64 s[26:27], -1
.LBB65_23:
	s_mov_b64 s[10:11], 0
                                        ; implicit-def: $vgpr4_vgpr5
                                        ; implicit-def: $vgpr1
	s_and_b64 vcc, exec, s[26:27]
	s_cbranch_vccz .LBB65_94
.LBB65_24:
	s_cmp_eq_u32 s33, 4
	s_cbranch_scc0 .LBB65_43
; %bb.25:
	s_lshl_b32 s12, s6, 10
	s_lshr_b64 s[0:1], s[22:23], 10
	s_add_u32 s8, s24, s12
	s_addc_u32 s9, s25, 0
	s_add_u32 s14, s20, s12
	s_mov_b32 s7, 0
	s_addc_u32 s15, s21, 0
	s_cmp_lg_u64 s[0:1], s[6:7]
	s_cbranch_scc0 .LBB65_95
; %bb.26:
	global_load_ubyte v1, v0, s[8:9]
	global_load_ubyte v2, v0, s[8:9] offset:256
	global_load_ubyte v3, v0, s[8:9] offset:512
	s_waitcnt lgkmcnt(1)
	global_load_ubyte v4, v0, s[8:9] offset:768
	s_waitcnt lgkmcnt(0)
	v_mov_b32_e32 v5, s15
	v_add_co_u32_e32 v10, vcc, s14, v0
	v_addc_co_u32_e32 v5, vcc, 0, v5, vcc
	v_mov_b32_e32 v6, 0
	v_mov_b32_e32 v7, 0x200
	;; [unrolled: 1-line block ×4, first 2 shown]
	s_waitcnt vmcnt(3)
	v_cmp_ne_u16_e32 vcc, 0, v1
	v_cndmask_b32_e64 v1, 0, 1, vcc
	s_waitcnt vmcnt(2)
	v_cmp_ne_u16_e32 vcc, 0, v2
	v_cndmask_b32_e64 v2, 0, 1, vcc
	s_waitcnt vmcnt(1)
	v_cmp_ne_u16_sdwa s[0:1], v3, v6 src0_sel:BYTE_0 src1_sel:DWORD
	v_cmp_eq_u16_sdwa vcc, s31, v2 src0_sel:BYTE_0 src1_sel:DWORD
	v_cndmask_b32_e64 v3, 0, 1, s[0:1]
	s_waitcnt vmcnt(0)
	v_cmp_ne_u16_sdwa s[0:1], v4, v6 src0_sel:BYTE_0 src1_sel:DWORD
	v_cndmask_b32_e32 v2, v7, v8, vcc
	v_cmp_eq_u16_sdwa s[16:17], s31, v1 src0_sel:BYTE_0 src1_sel:DWORD
	v_cndmask_b32_e64 v4, 0, 1, s[0:1]
	v_cmp_eq_u16_sdwa s[0:1], s31, v3 src0_sel:BYTE_0 src1_sel:DWORD
	v_cndmask_b32_e64 v1, v2, 0, s[16:17]
	s_or_b64 s[16:17], s[16:17], vcc
	s_or_b64 vcc, s[16:17], s[0:1]
	v_cndmask_b32_e32 v1, v9, v1, vcc
	v_add_co_u32_e64 v2, s[0:1], v10, v1
	v_cmp_eq_u16_sdwa s[2:3], s31, v4 src0_sel:BYTE_0 src1_sel:DWORD
	v_addc_co_u32_e64 v3, s[0:1], 0, v5, s[0:1]
	s_or_b64 s[0:1], vcc, s[2:3]
	v_cndmask_b32_e64 v1, 0, 1, s[0:1]
	v_mov_b32_dpp v4, v2 quad_perm:[1,0,3,2] row_mask:0xf bank_mask:0xf bound_ctrl:1
	v_mov_b32_dpp v5, v3 quad_perm:[1,0,3,2] row_mask:0xf bank_mask:0xf bound_ctrl:1
	v_mov_b32_dpp v6, v1 quad_perm:[1,0,3,2] row_mask:0xf bank_mask:0xf bound_ctrl:1
	v_and_b32_e32 v7, 1, v6
	v_cmp_eq_u32_e32 vcc, 1, v7
	s_and_saveexec_b64 s[2:3], vcc
; %bb.27:
	v_cmp_lt_i64_e32 vcc, v[2:3], v[4:5]
	v_cndmask_b32_e64 v6, v6, 1, s[0:1]
	s_and_b64 vcc, s[0:1], vcc
	v_cndmask_b32_e32 v2, v4, v2, vcc
	v_and_b32_e32 v4, 1, v6
	v_cndmask_b32_e32 v3, v5, v3, vcc
	v_cmp_eq_u32_e32 vcc, 1, v4
	s_andn2_b64 s[0:1], s[0:1], exec
	s_and_b64 s[16:17], vcc, exec
	v_and_b32_e32 v1, 0xff, v6
	s_or_b64 s[0:1], s[0:1], s[16:17]
; %bb.28:
	s_or_b64 exec, exec, s[2:3]
	v_mov_b32_dpp v6, v1 quad_perm:[2,3,0,1] row_mask:0xf bank_mask:0xf bound_ctrl:1
	v_and_b32_e32 v7, 1, v6
	v_mov_b32_dpp v4, v2 quad_perm:[2,3,0,1] row_mask:0xf bank_mask:0xf bound_ctrl:1
	v_mov_b32_dpp v5, v3 quad_perm:[2,3,0,1] row_mask:0xf bank_mask:0xf bound_ctrl:1
	v_cmp_eq_u32_e32 vcc, 1, v7
	s_and_saveexec_b64 s[2:3], vcc
; %bb.29:
	v_cmp_lt_i64_e32 vcc, v[2:3], v[4:5]
	v_cndmask_b32_e64 v6, v6, 1, s[0:1]
	s_and_b64 vcc, s[0:1], vcc
	v_cndmask_b32_e32 v2, v4, v2, vcc
	v_and_b32_e32 v4, 1, v6
	v_cndmask_b32_e32 v3, v5, v3, vcc
	v_cmp_eq_u32_e32 vcc, 1, v4
	s_andn2_b64 s[0:1], s[0:1], exec
	s_and_b64 s[16:17], vcc, exec
	v_and_b32_e32 v1, 0xff, v6
	s_or_b64 s[0:1], s[0:1], s[16:17]
; %bb.30:
	s_or_b64 exec, exec, s[2:3]
	v_mov_b32_dpp v6, v1 row_ror:4 row_mask:0xf bank_mask:0xf bound_ctrl:1
	v_and_b32_e32 v7, 1, v6
	v_mov_b32_dpp v4, v2 row_ror:4 row_mask:0xf bank_mask:0xf bound_ctrl:1
	v_mov_b32_dpp v5, v3 row_ror:4 row_mask:0xf bank_mask:0xf bound_ctrl:1
	v_cmp_eq_u32_e32 vcc, 1, v7
	s_and_saveexec_b64 s[2:3], vcc
; %bb.31:
	v_cmp_lt_i64_e32 vcc, v[2:3], v[4:5]
	v_cndmask_b32_e64 v6, v6, 1, s[0:1]
	s_and_b64 vcc, s[0:1], vcc
	v_cndmask_b32_e32 v2, v4, v2, vcc
	v_and_b32_e32 v4, 1, v6
	v_cndmask_b32_e32 v3, v5, v3, vcc
	v_cmp_eq_u32_e32 vcc, 1, v4
	s_andn2_b64 s[0:1], s[0:1], exec
	s_and_b64 s[16:17], vcc, exec
	v_and_b32_e32 v1, 0xff, v6
	s_or_b64 s[0:1], s[0:1], s[16:17]
; %bb.32:
	s_or_b64 exec, exec, s[2:3]
	v_mov_b32_dpp v6, v1 row_ror:8 row_mask:0xf bank_mask:0xf bound_ctrl:1
	v_and_b32_e32 v7, 1, v6
	v_mov_b32_dpp v4, v2 row_ror:8 row_mask:0xf bank_mask:0xf bound_ctrl:1
	v_mov_b32_dpp v5, v3 row_ror:8 row_mask:0xf bank_mask:0xf bound_ctrl:1
	v_cmp_eq_u32_e32 vcc, 1, v7
	s_and_saveexec_b64 s[2:3], vcc
; %bb.33:
	v_cmp_lt_i64_e32 vcc, v[2:3], v[4:5]
	v_cndmask_b32_e64 v6, v6, 1, s[0:1]
	s_and_b64 vcc, s[0:1], vcc
	v_cndmask_b32_e32 v2, v4, v2, vcc
	v_and_b32_e32 v4, 1, v6
	v_cndmask_b32_e32 v3, v5, v3, vcc
	v_cmp_eq_u32_e32 vcc, 1, v4
	s_andn2_b64 s[0:1], s[0:1], exec
	s_and_b64 s[16:17], vcc, exec
	v_and_b32_e32 v1, 0xff, v6
	s_or_b64 s[0:1], s[0:1], s[16:17]
; %bb.34:
	s_or_b64 exec, exec, s[2:3]
	v_mov_b32_dpp v6, v1 row_bcast:15 row_mask:0xf bank_mask:0xf bound_ctrl:1
	v_and_b32_e32 v7, 1, v6
	v_mov_b32_dpp v4, v2 row_bcast:15 row_mask:0xf bank_mask:0xf bound_ctrl:1
	v_mov_b32_dpp v5, v3 row_bcast:15 row_mask:0xf bank_mask:0xf bound_ctrl:1
	v_cmp_eq_u32_e32 vcc, 1, v7
	s_and_saveexec_b64 s[2:3], vcc
; %bb.35:
	v_cmp_lt_i64_e32 vcc, v[2:3], v[4:5]
	v_cndmask_b32_e64 v6, v6, 1, s[0:1]
	s_and_b64 vcc, s[0:1], vcc
	v_cndmask_b32_e32 v2, v4, v2, vcc
	v_and_b32_e32 v4, 1, v6
	v_cndmask_b32_e32 v3, v5, v3, vcc
	v_cmp_eq_u32_e32 vcc, 1, v4
	s_andn2_b64 s[0:1], s[0:1], exec
	s_and_b64 s[16:17], vcc, exec
	v_and_b32_e32 v1, 0xff, v6
	s_or_b64 s[0:1], s[0:1], s[16:17]
; %bb.36:
	s_or_b64 exec, exec, s[2:3]
	v_mov_b32_dpp v6, v1 row_bcast:31 row_mask:0xf bank_mask:0xf bound_ctrl:1
	v_and_b32_e32 v7, 1, v6
	v_mov_b32_dpp v4, v2 row_bcast:31 row_mask:0xf bank_mask:0xf bound_ctrl:1
	v_mov_b32_dpp v5, v3 row_bcast:31 row_mask:0xf bank_mask:0xf bound_ctrl:1
	v_cmp_eq_u32_e32 vcc, 1, v7
	s_and_saveexec_b64 s[2:3], vcc
; %bb.37:
	v_cmp_lt_i64_e32 vcc, v[2:3], v[4:5]
	v_and_b32_e32 v1, 0xff, v6
	s_and_b64 vcc, s[0:1], vcc
	v_cndmask_b32_e32 v2, v4, v2, vcc
	v_cndmask_b32_e32 v3, v5, v3, vcc
	v_cndmask_b32_e64 v1, v1, 1, s[0:1]
; %bb.38:
	s_or_b64 exec, exec, s[2:3]
	v_mbcnt_lo_u32_b32 v4, -1, 0
	v_mbcnt_hi_u32_b32 v4, -1, v4
	v_bfrev_b32_e32 v5, 0.5
	v_lshl_or_b32 v5, v4, 2, v5
	ds_bpermute_b32 v6, v5, v1
	ds_bpermute_b32 v2, v5, v2
	;; [unrolled: 1-line block ×3, first 2 shown]
	v_cmp_eq_u32_e32 vcc, 0, v4
	s_and_saveexec_b64 s[0:1], vcc
	s_cbranch_execz .LBB65_40
; %bb.39:
	v_lshrrev_b32_e32 v1, 2, v0
	v_and_b32_e32 v1, 48, v1
	s_waitcnt lgkmcnt(2)
	ds_write_b8 v1, v6 offset:128
	s_waitcnt lgkmcnt(1)
	ds_write_b64 v1, v[2:3] offset:136
.LBB65_40:
	s_or_b64 exec, exec, s[0:1]
	v_cmp_gt_u32_e32 vcc, 64, v0
	s_waitcnt lgkmcnt(0)
	s_barrier
	s_and_saveexec_b64 s[2:3], vcc
	s_cbranch_execz .LBB65_42
; %bb.41:
	v_and_b32_e32 v1, 3, v4
	v_lshlrev_b32_e32 v2, 4, v1
	ds_read_u8 v5, v2 offset:128
	ds_read_b64 v[2:3], v2 offset:136
	v_cmp_ne_u32_e32 vcc, 3, v1
	v_addc_co_u32_e32 v6, vcc, 0, v4, vcc
	s_waitcnt lgkmcnt(1)
	v_and_b32_e32 v7, 0xff, v5
	v_lshlrev_b32_e32 v8, 2, v6
	ds_bpermute_b32 v9, v8, v7
	s_waitcnt lgkmcnt(1)
	ds_bpermute_b32 v6, v8, v2
	ds_bpermute_b32 v7, v8, v3
	v_and_b32_e32 v8, 1, v5
	s_waitcnt lgkmcnt(2)
	v_and_b32_e32 v10, 1, v9
	v_cmp_eq_u32_e64 s[0:1], 1, v10
	s_waitcnt lgkmcnt(0)
	v_cmp_lt_i64_e32 vcc, v[6:7], v[2:3]
	s_and_b64 vcc, s[0:1], vcc
	v_cndmask_b32_e64 v5, v5, 1, s[0:1]
	v_cndmask_b32_e32 v2, v2, v6, vcc
	v_cndmask_b32_e32 v3, v3, v7, vcc
	v_cmp_eq_u32_e32 vcc, 1, v8
	v_cndmask_b32_e32 v8, v9, v5, vcc
	v_cndmask_b32_e32 v3, v7, v3, vcc
	;; [unrolled: 1-line block ×3, first 2 shown]
	v_cmp_gt_u32_e32 vcc, 2, v1
	v_cndmask_b32_e64 v1, 0, 1, vcc
	v_lshlrev_b32_e32 v1, 1, v1
	v_and_b32_e32 v5, 0xff, v8
	v_add_lshl_u32 v1, v1, v4, 2
	ds_bpermute_b32 v6, v1, v5
	ds_bpermute_b32 v4, v1, v2
	ds_bpermute_b32 v5, v1, v3
	v_and_b32_e32 v1, 1, v8
	s_waitcnt lgkmcnt(2)
	v_and_b32_e32 v7, 1, v6
	v_cmp_eq_u32_e64 s[0:1], 1, v7
	s_waitcnt lgkmcnt(0)
	v_cmp_lt_i64_e32 vcc, v[4:5], v[2:3]
	s_and_b64 vcc, s[0:1], vcc
	v_cndmask_b32_e64 v7, v8, 1, s[0:1]
	v_cndmask_b32_e32 v2, v2, v4, vcc
	v_cndmask_b32_e32 v3, v3, v5, vcc
	v_cmp_eq_u32_e32 vcc, 1, v1
	v_cndmask_b32_e32 v1, v6, v7, vcc
	v_cndmask_b32_e32 v3, v5, v3, vcc
	;; [unrolled: 1-line block ×3, first 2 shown]
	v_and_b32_e32 v6, 0xff, v1
.LBB65_42:
	s_or_b64 exec, exec, s[2:3]
	s_branch .LBB65_128
.LBB65_43:
                                        ; implicit-def: $vgpr4_vgpr5
                                        ; implicit-def: $vgpr1
	s_branch .LBB65_208
.LBB65_44:
                                        ; implicit-def: $vgpr2_vgpr3
                                        ; implicit-def: $vgpr7
	s_cbranch_execz .LBB65_89
; %bb.45:
	s_sub_i32 s36, s22, s8
	v_pk_mov_b32 v[10:11], 0, 0
	v_cmp_gt_u32_e32 vcc, s36, v0
	v_mov_b32_e32 v21, 0
	v_pk_mov_b32 v[2:3], v[10:11], v[10:11] op_sel:[0,1]
	v_mov_b32_e32 v1, 0
	s_and_saveexec_b64 s[0:1], vcc
	s_cbranch_execz .LBB65_47
; %bb.46:
	global_load_ubyte v1, v0, s[16:17]
	v_mov_b32_e32 v3, s35
	v_add_co_u32_e32 v2, vcc, s34, v0
	v_addc_co_u32_e32 v3, vcc, 0, v3, vcc
	s_waitcnt vmcnt(0)
	v_cmp_ne_u16_e32 vcc, 0, v1
	v_cndmask_b32_e64 v1, 0, 1, vcc
	v_cmp_eq_u16_sdwa s[2:3], s31, v1 src0_sel:BYTE_0 src1_sel:DWORD
	v_cndmask_b32_e64 v1, 0, 1, s[2:3]
.LBB65_47:
	s_or_b64 exec, exec, s[0:1]
	v_or_b32_e32 v4, 0x100, v0
	v_cmp_gt_u32_e64 s[14:15], s36, v4
	s_and_saveexec_b64 s[0:1], s[14:15]
	s_cbranch_execz .LBB65_49
; %bb.48:
	global_load_ubyte v5, v0, s[16:17] offset:256
	v_mov_b32_e32 v6, s35
	v_add_co_u32_e32 v10, vcc, s34, v4
	v_addc_co_u32_e32 v11, vcc, 0, v6, vcc
	s_waitcnt vmcnt(0)
	v_cmp_ne_u16_e32 vcc, 0, v5
	v_cndmask_b32_e64 v4, 0, 1, vcc
	v_cmp_eq_u16_sdwa s[2:3], s31, v4 src0_sel:BYTE_0 src1_sel:DWORD
	v_cndmask_b32_e64 v21, 0, 1, s[2:3]
.LBB65_49:
	s_or_b64 exec, exec, s[0:1]
	v_or_b32_e32 v4, 0x200, v0
	v_pk_mov_b32 v[8:9], 0, 0
	v_cmp_gt_u32_e64 s[10:11], s36, v4
	v_mov_b32_e32 v20, 0
	v_pk_mov_b32 v[16:17], v[8:9], v[8:9] op_sel:[0,1]
	v_mov_b32_e32 v24, 0
	s_and_saveexec_b64 s[0:1], s[10:11]
	s_cbranch_execz .LBB65_51
; %bb.50:
	global_load_ubyte v5, v0, s[16:17] offset:512
	v_mov_b32_e32 v6, s35
	v_add_co_u32_e32 v16, vcc, s34, v4
	v_addc_co_u32_e32 v17, vcc, 0, v6, vcc
	s_waitcnt vmcnt(0)
	v_cmp_ne_u16_e32 vcc, 0, v5
	v_cndmask_b32_e64 v4, 0, 1, vcc
	v_cmp_eq_u16_sdwa s[2:3], s31, v4 src0_sel:BYTE_0 src1_sel:DWORD
	v_cndmask_b32_e64 v24, 0, 1, s[2:3]
.LBB65_51:
	s_or_b64 exec, exec, s[0:1]
	v_or_b32_e32 v4, 0x300, v0
	v_cmp_gt_u32_e64 s[12:13], s36, v4
	s_and_saveexec_b64 s[0:1], s[12:13]
	s_cbranch_execz .LBB65_53
; %bb.52:
	global_load_ubyte v5, v0, s[16:17] offset:768
	v_mov_b32_e32 v6, s35
	v_add_co_u32_e32 v8, vcc, s34, v4
	v_addc_co_u32_e32 v9, vcc, 0, v6, vcc
	s_waitcnt vmcnt(0)
	v_cmp_ne_u16_e32 vcc, 0, v5
	v_cndmask_b32_e64 v4, 0, 1, vcc
	v_cmp_eq_u16_sdwa s[2:3], s31, v4 src0_sel:BYTE_0 src1_sel:DWORD
	v_cndmask_b32_e64 v20, 0, 1, s[2:3]
.LBB65_53:
	s_or_b64 exec, exec, s[0:1]
	v_or_b32_e32 v4, 0x400, v0
	v_pk_mov_b32 v[6:7], 0, 0
	v_cmp_gt_u32_e64 s[2:3], s36, v4
	v_mov_b32_e32 v19, 0
	v_pk_mov_b32 v[14:15], v[6:7], v[6:7] op_sel:[0,1]
	v_mov_b32_e32 v23, 0
	s_and_saveexec_b64 s[0:1], s[2:3]
	s_cbranch_execz .LBB65_55
; %bb.54:
	global_load_ubyte v5, v0, s[16:17] offset:1024
	v_mov_b32_e32 v12, s35
	v_add_co_u32_e32 v14, vcc, s34, v4
	v_addc_co_u32_e32 v15, vcc, 0, v12, vcc
	s_waitcnt vmcnt(0)
	v_cmp_ne_u16_e32 vcc, 0, v5
	v_cndmask_b32_e64 v4, 0, 1, vcc
	v_cmp_eq_u16_sdwa s[8:9], s31, v4 src0_sel:BYTE_0 src1_sel:DWORD
	v_cndmask_b32_e64 v23, 0, 1, s[8:9]
.LBB65_55:
	s_or_b64 exec, exec, s[0:1]
	v_or_b32_e32 v4, 0x500, v0
	v_cmp_gt_u32_e64 s[8:9], s36, v4
	s_and_saveexec_b64 s[0:1], s[8:9]
	s_cbranch_execz .LBB65_57
; %bb.56:
	global_load_ubyte v5, v0, s[16:17] offset:1280
	v_mov_b32_e32 v7, s35
	v_add_co_u32_e32 v6, vcc, s34, v4
	v_addc_co_u32_e32 v7, vcc, 0, v7, vcc
	s_waitcnt vmcnt(0)
	v_cmp_ne_u16_e32 vcc, 0, v5
	v_cndmask_b32_e64 v4, 0, 1, vcc
	v_cmp_eq_u16_sdwa s[28:29], s31, v4 src0_sel:BYTE_0 src1_sel:DWORD
	v_cndmask_b32_e64 v19, 0, 1, s[28:29]
.LBB65_57:
	s_or_b64 exec, exec, s[0:1]
	v_or_b32_e32 v25, 0x600, v0
	v_pk_mov_b32 v[4:5], 0, 0
	v_cmp_gt_u32_e32 vcc, s36, v25
	v_mov_b32_e32 v18, 0
	v_mov_b32_e32 v22, 0
	v_pk_mov_b32 v[12:13], v[4:5], v[4:5] op_sel:[0,1]
	s_and_saveexec_b64 s[28:29], vcc
	s_cbranch_execz .LBB65_59
; %bb.58:
	global_load_ubyte v22, v0, s[16:17] offset:1536
	v_mov_b32_e32 v13, s35
	v_add_co_u32_e64 v12, s[0:1], s34, v25
	v_addc_co_u32_e64 v13, s[0:1], 0, v13, s[0:1]
	s_waitcnt vmcnt(0)
	v_cmp_ne_u16_e64 s[0:1], 0, v22
	v_cndmask_b32_e64 v22, 0, 1, s[0:1]
	v_cmp_eq_u16_sdwa s[0:1], s31, v22 src0_sel:BYTE_0 src1_sel:DWORD
	v_cndmask_b32_e64 v22, 0, 1, s[0:1]
.LBB65_59:
	s_or_b64 exec, exec, s[28:29]
	v_or_b32_e32 v25, 0x700, v0
	v_cmp_gt_u32_e64 s[0:1], s36, v25
	s_and_saveexec_b64 s[28:29], s[0:1]
	s_cbranch_execnz .LBB65_240
; %bb.60:
	s_or_b64 exec, exec, s[28:29]
	s_and_saveexec_b64 s[28:29], s[14:15]
	s_cbranch_execnz .LBB65_241
.LBB65_61:
	s_or_b64 exec, exec, s[28:29]
	s_and_saveexec_b64 s[16:17], s[10:11]
	s_cbranch_execnz .LBB65_242
.LBB65_62:
	s_or_b64 exec, exec, s[16:17]
	s_and_saveexec_b64 s[14:15], s[12:13]
	s_cbranch_execnz .LBB65_243
.LBB65_63:
	s_or_b64 exec, exec, s[14:15]
	s_and_saveexec_b64 s[12:13], s[2:3]
	s_cbranch_execnz .LBB65_244
.LBB65_64:
	s_or_b64 exec, exec, s[12:13]
	s_and_saveexec_b64 s[10:11], s[8:9]
	s_cbranch_execnz .LBB65_245
.LBB65_65:
	s_or_b64 exec, exec, s[10:11]
	s_and_saveexec_b64 s[8:9], vcc
	s_cbranch_execnz .LBB65_246
.LBB65_66:
	s_or_b64 exec, exec, s[8:9]
	s_and_saveexec_b64 s[2:3], s[0:1]
	s_cbranch_execz .LBB65_68
.LBB65_67:
	v_and_b32_e32 v7, 1, v18
	v_cmp_lt_i64_e32 vcc, v[4:5], v[2:3]
	v_cmp_eq_u32_e64 s[0:1], 1, v7
	v_and_b32_e32 v6, 1, v1
	s_and_b64 vcc, s[0:1], vcc
	v_cndmask_b32_e64 v1, v1, 1, s[0:1]
	v_cndmask_b32_e32 v2, v2, v4, vcc
	v_cndmask_b32_e32 v3, v3, v5, vcc
	v_cmp_eq_u32_e32 vcc, 1, v6
	v_cndmask_b32_e32 v1, v18, v1, vcc
	v_cndmask_b32_e32 v3, v5, v3, vcc
	v_cndmask_b32_e32 v2, v4, v2, vcc
.LBB65_68:
	s_or_b64 exec, exec, s[2:3]
	v_mbcnt_lo_u32_b32 v4, -1, 0
	v_mbcnt_hi_u32_b32 v6, -1, v4
	v_and_b32_e32 v8, 63, v6
	v_cmp_ne_u32_e32 vcc, 63, v8
	v_addc_co_u32_e32 v4, vcc, 0, v6, vcc
	v_and_b32_e32 v7, 0xffff, v1
	v_lshlrev_b32_e32 v5, 2, v4
	ds_bpermute_b32 v11, v5, v7
	ds_bpermute_b32 v4, v5, v2
	ds_bpermute_b32 v5, v5, v3
	s_min_u32 s8, s36, 0x100
	v_and_b32_e32 v9, 0xc0, v0
	v_sub_u32_e64 v10, s8, v9 clamp
	v_add_u32_e32 v9, 1, v8
	v_cmp_lt_u32_e32 vcc, v9, v10
	v_mov_b32_e32 v9, v7
	s_and_saveexec_b64 s[0:1], vcc
	s_xor_b64 s[2:3], exec, s[0:1]
	s_cbranch_execz .LBB65_70
; %bb.69:
	s_waitcnt lgkmcnt(2)
	v_and_b32_e32 v9, 1, v11
	s_waitcnt lgkmcnt(0)
	v_cmp_lt_i64_e32 vcc, v[4:5], v[2:3]
	v_cmp_eq_u32_e64 s[0:1], 1, v9
	v_and_b32_e32 v1, 1, v1
	s_and_b64 vcc, s[0:1], vcc
	v_cndmask_b32_e64 v7, v7, 1, s[0:1]
	v_cndmask_b32_e32 v2, v2, v4, vcc
	v_cndmask_b32_e32 v3, v3, v5, vcc
	v_cmp_eq_u32_e32 vcc, 1, v1
	v_cndmask_b32_e32 v9, v11, v7, vcc
	v_cndmask_b32_e32 v3, v5, v3, vcc
	;; [unrolled: 1-line block ×3, first 2 shown]
	v_and_b32_e32 v7, 0xff, v9
.LBB65_70:
	s_or_b64 exec, exec, s[2:3]
	v_cmp_gt_u32_e32 vcc, 62, v8
	v_cndmask_b32_e64 v1, 0, 1, vcc
	v_lshlrev_b32_e32 v1, 1, v1
	s_waitcnt lgkmcnt(0)
	v_add_lshl_u32 v5, v1, v6, 2
	ds_bpermute_b32 v1, v5, v7
	ds_bpermute_b32 v4, v5, v2
	ds_bpermute_b32 v5, v5, v3
	v_add_u32_e32 v11, 2, v8
	v_cmp_lt_u32_e32 vcc, v11, v10
	s_and_saveexec_b64 s[2:3], vcc
	s_cbranch_execz .LBB65_72
; %bb.71:
	s_waitcnt lgkmcnt(2)
	v_and_b32_e32 v11, 1, v1
	s_waitcnt lgkmcnt(0)
	v_cmp_lt_i64_e32 vcc, v[4:5], v[2:3]
	v_cmp_eq_u32_e64 s[0:1], 1, v11
	v_and_b32_e32 v7, 1, v9
	s_and_b64 vcc, s[0:1], vcc
	v_cndmask_b32_e64 v9, v9, 1, s[0:1]
	v_cndmask_b32_e32 v2, v2, v4, vcc
	v_cndmask_b32_e32 v3, v3, v5, vcc
	v_cmp_eq_u32_e32 vcc, 1, v7
	v_cndmask_b32_e32 v9, v1, v9, vcc
	v_cndmask_b32_e32 v3, v5, v3, vcc
	v_cndmask_b32_e32 v2, v4, v2, vcc
	v_and_b32_e32 v7, 0xff, v9
.LBB65_72:
	s_or_b64 exec, exec, s[2:3]
	v_cmp_gt_u32_e32 vcc, 60, v8
	s_waitcnt lgkmcnt(2)
	v_cndmask_b32_e64 v1, 0, 1, vcc
	v_lshlrev_b32_e32 v1, 2, v1
	s_waitcnt lgkmcnt(0)
	v_add_lshl_u32 v5, v1, v6, 2
	ds_bpermute_b32 v1, v5, v7
	ds_bpermute_b32 v4, v5, v2
	ds_bpermute_b32 v5, v5, v3
	v_add_u32_e32 v11, 4, v8
	v_cmp_lt_u32_e32 vcc, v11, v10
	s_and_saveexec_b64 s[2:3], vcc
	s_cbranch_execz .LBB65_74
; %bb.73:
	s_waitcnt lgkmcnt(2)
	v_and_b32_e32 v11, 1, v1
	s_waitcnt lgkmcnt(0)
	v_cmp_lt_i64_e32 vcc, v[4:5], v[2:3]
	v_cmp_eq_u32_e64 s[0:1], 1, v11
	v_and_b32_e32 v7, 1, v9
	s_and_b64 vcc, s[0:1], vcc
	v_cndmask_b32_e64 v9, v9, 1, s[0:1]
	v_cndmask_b32_e32 v2, v2, v4, vcc
	v_cndmask_b32_e32 v3, v3, v5, vcc
	v_cmp_eq_u32_e32 vcc, 1, v7
	v_cndmask_b32_e32 v9, v1, v9, vcc
	v_cndmask_b32_e32 v3, v5, v3, vcc
	v_cndmask_b32_e32 v2, v4, v2, vcc
	v_and_b32_e32 v7, 0xff, v9
.LBB65_74:
	s_or_b64 exec, exec, s[2:3]
	v_cmp_gt_u32_e32 vcc, 56, v8
	s_waitcnt lgkmcnt(2)
	v_cndmask_b32_e64 v1, 0, 1, vcc
	v_lshlrev_b32_e32 v1, 3, v1
	s_waitcnt lgkmcnt(0)
	v_add_lshl_u32 v5, v1, v6, 2
	ds_bpermute_b32 v1, v5, v7
	ds_bpermute_b32 v4, v5, v2
	ds_bpermute_b32 v5, v5, v3
	v_add_u32_e32 v11, 8, v8
	v_cmp_lt_u32_e32 vcc, v11, v10
	s_and_saveexec_b64 s[2:3], vcc
	s_cbranch_execz .LBB65_76
; %bb.75:
	s_waitcnt lgkmcnt(2)
	v_and_b32_e32 v11, 1, v1
	s_waitcnt lgkmcnt(0)
	v_cmp_lt_i64_e32 vcc, v[4:5], v[2:3]
	v_cmp_eq_u32_e64 s[0:1], 1, v11
	v_and_b32_e32 v7, 1, v9
	s_and_b64 vcc, s[0:1], vcc
	v_cndmask_b32_e64 v9, v9, 1, s[0:1]
	v_cndmask_b32_e32 v2, v2, v4, vcc
	v_cndmask_b32_e32 v3, v3, v5, vcc
	v_cmp_eq_u32_e32 vcc, 1, v7
	v_cndmask_b32_e32 v9, v1, v9, vcc
	v_cndmask_b32_e32 v3, v5, v3, vcc
	v_cndmask_b32_e32 v2, v4, v2, vcc
	v_and_b32_e32 v7, 0xff, v9
.LBB65_76:
	s_or_b64 exec, exec, s[2:3]
	v_cmp_gt_u32_e32 vcc, 48, v8
	s_waitcnt lgkmcnt(2)
	v_cndmask_b32_e64 v1, 0, 1, vcc
	v_lshlrev_b32_e32 v1, 4, v1
	s_waitcnt lgkmcnt(0)
	v_add_lshl_u32 v5, v1, v6, 2
	ds_bpermute_b32 v1, v5, v7
	ds_bpermute_b32 v4, v5, v2
	ds_bpermute_b32 v5, v5, v3
	v_add_u32_e32 v11, 16, v8
	v_cmp_lt_u32_e32 vcc, v11, v10
	s_and_saveexec_b64 s[2:3], vcc
	s_cbranch_execz .LBB65_78
; %bb.77:
	s_waitcnt lgkmcnt(2)
	v_and_b32_e32 v11, 1, v1
	s_waitcnt lgkmcnt(0)
	v_cmp_lt_i64_e32 vcc, v[4:5], v[2:3]
	v_cmp_eq_u32_e64 s[0:1], 1, v11
	v_and_b32_e32 v7, 1, v9
	s_and_b64 vcc, s[0:1], vcc
	v_cndmask_b32_e64 v9, v9, 1, s[0:1]
	v_cndmask_b32_e32 v2, v2, v4, vcc
	v_cndmask_b32_e32 v3, v3, v5, vcc
	v_cmp_eq_u32_e32 vcc, 1, v7
	v_cndmask_b32_e32 v9, v1, v9, vcc
	v_cndmask_b32_e32 v3, v5, v3, vcc
	v_cndmask_b32_e32 v2, v4, v2, vcc
	v_and_b32_e32 v7, 0xff, v9
.LBB65_78:
	s_or_b64 exec, exec, s[2:3]
	v_cmp_gt_u32_e32 vcc, 32, v8
	s_waitcnt lgkmcnt(2)
	v_cndmask_b32_e64 v1, 0, 1, vcc
	v_lshlrev_b32_e32 v1, 5, v1
	s_waitcnt lgkmcnt(0)
	v_add_lshl_u32 v5, v1, v6, 2
	ds_bpermute_b32 v1, v5, v7
	ds_bpermute_b32 v4, v5, v2
	;; [unrolled: 1-line block ×3, first 2 shown]
	v_add_u32_e32 v8, 32, v8
	v_cmp_lt_u32_e32 vcc, v8, v10
	s_and_saveexec_b64 s[2:3], vcc
	s_cbranch_execz .LBB65_80
; %bb.79:
	s_waitcnt lgkmcnt(2)
	v_and_b32_e32 v8, 1, v1
	s_waitcnt lgkmcnt(0)
	v_cmp_lt_i64_e32 vcc, v[4:5], v[2:3]
	v_cmp_eq_u32_e64 s[0:1], 1, v8
	v_and_b32_e32 v7, 1, v9
	s_and_b64 vcc, s[0:1], vcc
	v_cndmask_b32_e64 v8, v9, 1, s[0:1]
	v_cndmask_b32_e32 v2, v2, v4, vcc
	v_cndmask_b32_e32 v3, v3, v5, vcc
	v_cmp_eq_u32_e32 vcc, 1, v7
	v_cndmask_b32_e32 v9, v1, v8, vcc
	v_cndmask_b32_e32 v3, v5, v3, vcc
	;; [unrolled: 1-line block ×3, first 2 shown]
	v_and_b32_e32 v7, 0xff, v9
.LBB65_80:
	s_or_b64 exec, exec, s[2:3]
	v_cmp_eq_u32_e32 vcc, 0, v6
	s_and_saveexec_b64 s[0:1], vcc
	s_cbranch_execz .LBB65_82
; %bb.81:
	s_waitcnt lgkmcnt(2)
	v_lshrrev_b32_e32 v1, 2, v0
	v_and_b32_e32 v1, 48, v1
	ds_write_b8 v1, v9 offset:256
	ds_write_b64 v1, v[2:3] offset:264
.LBB65_82:
	s_or_b64 exec, exec, s[0:1]
	v_cmp_gt_u32_e32 vcc, 4, v0
	s_waitcnt lgkmcnt(0)
	s_barrier
	s_and_saveexec_b64 s[2:3], vcc
	s_cbranch_execz .LBB65_88
; %bb.83:
	v_lshlrev_b32_e32 v2, 4, v6
	ds_read_u8 v1, v2 offset:256
	ds_read_b64 v[2:3], v2 offset:264
	v_and_b32_e32 v8, 3, v6
	v_cmp_ne_u32_e32 vcc, 3, v8
	v_addc_co_u32_e32 v4, vcc, 0, v6, vcc
	s_waitcnt lgkmcnt(1)
	v_and_b32_e32 v7, 0xff, v1
	v_lshlrev_b32_e32 v5, 2, v4
	ds_bpermute_b32 v9, v5, v7
	s_waitcnt lgkmcnt(1)
	ds_bpermute_b32 v4, v5, v2
	ds_bpermute_b32 v5, v5, v3
	s_add_i32 s8, s8, 63
	s_lshr_b32 s10, s8, 6
	v_add_u32_e32 v10, 1, v8
	v_cmp_gt_u32_e32 vcc, s10, v10
	s_and_saveexec_b64 s[8:9], vcc
	s_cbranch_execz .LBB65_85
; %bb.84:
	s_waitcnt lgkmcnt(2)
	v_and_b32_e32 v10, 1, v9
	s_waitcnt lgkmcnt(0)
	v_cmp_lt_i64_e32 vcc, v[4:5], v[2:3]
	v_cmp_eq_u32_e64 s[0:1], 1, v10
	v_and_b32_e32 v7, 1, v1
	s_and_b64 vcc, s[0:1], vcc
	v_cndmask_b32_e64 v1, v1, 1, s[0:1]
	v_cndmask_b32_e32 v2, v2, v4, vcc
	v_cndmask_b32_e32 v3, v3, v5, vcc
	v_cmp_eq_u32_e32 vcc, 1, v7
	v_cndmask_b32_e32 v1, v9, v1, vcc
	v_cndmask_b32_e32 v3, v5, v3, vcc
	;; [unrolled: 1-line block ×3, first 2 shown]
	v_and_b32_e32 v7, 0xff, v1
.LBB65_85:
	s_or_b64 exec, exec, s[8:9]
	v_cmp_gt_u32_e32 vcc, 2, v8
	s_waitcnt lgkmcnt(1)
	v_cndmask_b32_e64 v4, 0, 1, vcc
	v_lshlrev_b32_e32 v4, 1, v4
	s_waitcnt lgkmcnt(0)
	v_add_lshl_u32 v5, v4, v6, 2
	ds_bpermute_b32 v6, v5, v7
	ds_bpermute_b32 v4, v5, v2
	;; [unrolled: 1-line block ×3, first 2 shown]
	v_add_u32_e32 v8, 2, v8
	v_cmp_gt_u32_e32 vcc, s10, v8
	s_and_saveexec_b64 s[8:9], vcc
	s_cbranch_execz .LBB65_87
; %bb.86:
	s_waitcnt lgkmcnt(2)
	v_and_b32_e32 v8, 1, v6
	s_waitcnt lgkmcnt(0)
	v_cmp_lt_i64_e32 vcc, v[4:5], v[2:3]
	v_cmp_eq_u32_e64 s[0:1], 1, v8
	v_and_b32_e32 v7, 1, v1
	s_and_b64 vcc, s[0:1], vcc
	v_cndmask_b32_e64 v1, v1, 1, s[0:1]
	v_cndmask_b32_e32 v2, v2, v4, vcc
	v_cndmask_b32_e32 v3, v3, v5, vcc
	v_cmp_eq_u32_e32 vcc, 1, v7
	v_cndmask_b32_e32 v1, v6, v1, vcc
	v_cndmask_b32_e32 v3, v5, v3, vcc
	;; [unrolled: 1-line block ×3, first 2 shown]
	v_and_b32_e32 v7, 0xff, v1
.LBB65_87:
	s_or_b64 exec, exec, s[8:9]
.LBB65_88:
	s_or_b64 exec, exec, s[2:3]
.LBB65_89:
	v_cmp_eq_u32_e32 vcc, 0, v0
	s_mov_b64 s[10:11], 0
                                        ; implicit-def: $vgpr4_vgpr5
                                        ; implicit-def: $vgpr1
	s_and_saveexec_b64 s[0:1], vcc
	s_xor_b64 s[8:9], exec, s[0:1]
	s_cbranch_execz .LBB65_93
; %bb.90:
	s_cmp_eq_u64 s[22:23], 0
	s_waitcnt lgkmcnt(0)
	v_pk_mov_b32 v[4:5], s[18:19], s[18:19] op_sel:[0,1]
	v_mov_b32_e32 v1, s30
	s_cbranch_scc1 .LBB65_92
; %bb.91:
	v_and_b32_e32 v1, 1, v7
	s_bitcmp1_b32 s30, 0
	v_mov_b32_e32 v4, s30
	v_cmp_eq_u32_e32 vcc, 1, v1
	v_cmp_gt_i64_e64 s[2:3], s[18:19], v[2:3]
	v_cndmask_b32_e64 v1, v4, 1, vcc
	s_cselect_b64 s[0:1], -1, 0
	v_mov_b32_e32 v4, s18
	s_and_b64 vcc, vcc, s[2:3]
	v_mov_b32_e32 v5, s19
	v_cndmask_b32_e32 v4, v4, v2, vcc
	v_cndmask_b32_e32 v5, v5, v3, vcc
	v_cndmask_b32_e64 v1, v7, v1, s[0:1]
	v_cndmask_b32_e64 v5, v3, v5, s[0:1]
	;; [unrolled: 1-line block ×3, first 2 shown]
.LBB65_92:
	s_mov_b64 s[10:11], exec
.LBB65_93:
	s_or_b64 exec, exec, s[8:9]
	s_and_b64 vcc, exec, s[26:27]
	s_cbranch_vccnz .LBB65_24
.LBB65_94:
	s_branch .LBB65_208
.LBB65_95:
                                        ; implicit-def: $vgpr2_vgpr3
                                        ; implicit-def: $vgpr6
	s_cbranch_execz .LBB65_128
; %bb.96:
	s_sub_i32 s16, s22, s12
	s_waitcnt lgkmcnt(2)
	v_pk_mov_b32 v[6:7], 0, 0
	v_cmp_gt_u32_e32 vcc, s16, v0
	v_mov_b32_e32 v11, 0
	v_pk_mov_b32 v[2:3], v[6:7], v[6:7] op_sel:[0,1]
	v_mov_b32_e32 v10, 0
	s_and_saveexec_b64 s[0:1], vcc
	s_cbranch_execz .LBB65_98
; %bb.97:
	global_load_ubyte v1, v0, s[8:9]
	v_mov_b32_e32 v3, s15
	v_add_co_u32_e32 v2, vcc, s14, v0
	v_addc_co_u32_e32 v3, vcc, 0, v3, vcc
	s_waitcnt vmcnt(0)
	v_cmp_ne_u16_e32 vcc, 0, v1
	v_cndmask_b32_e64 v1, 0, 1, vcc
	v_cmp_eq_u16_sdwa s[2:3], s31, v1 src0_sel:BYTE_0 src1_sel:DWORD
	v_cndmask_b32_e64 v10, 0, 1, s[2:3]
.LBB65_98:
	s_or_b64 exec, exec, s[0:1]
	v_or_b32_e32 v1, 0x100, v0
	v_cmp_gt_u32_e64 s[2:3], s16, v1
	s_and_saveexec_b64 s[0:1], s[2:3]
	s_cbranch_execz .LBB65_100
; %bb.99:
	s_waitcnt lgkmcnt(1)
	global_load_ubyte v4, v0, s[8:9] offset:256
	s_waitcnt lgkmcnt(0)
	v_mov_b32_e32 v5, s15
	v_add_co_u32_e32 v6, vcc, s14, v1
	v_addc_co_u32_e32 v7, vcc, 0, v5, vcc
	s_waitcnt vmcnt(0)
	v_cmp_ne_u16_e32 vcc, 0, v4
	v_cndmask_b32_e64 v1, 0, 1, vcc
	v_cmp_eq_u16_sdwa s[12:13], s31, v1 src0_sel:BYTE_0 src1_sel:DWORD
	v_cndmask_b32_e64 v11, 0, 1, s[12:13]
.LBB65_100:
	s_or_b64 exec, exec, s[0:1]
	v_or_b32_e32 v13, 0x200, v0
	s_waitcnt lgkmcnt(0)
	v_pk_mov_b32 v[4:5], 0, 0
	v_cmp_gt_u32_e32 vcc, s16, v13
	v_mov_b32_e32 v1, 0
	v_pk_mov_b32 v[8:9], v[4:5], v[4:5] op_sel:[0,1]
	v_mov_b32_e32 v12, 0
	s_and_saveexec_b64 s[12:13], vcc
	s_cbranch_execz .LBB65_102
; %bb.101:
	global_load_ubyte v12, v0, s[8:9] offset:512
	v_mov_b32_e32 v9, s15
	v_add_co_u32_e64 v8, s[0:1], s14, v13
	v_addc_co_u32_e64 v9, s[0:1], 0, v9, s[0:1]
	s_waitcnt vmcnt(0)
	v_cmp_ne_u16_e64 s[0:1], 0, v12
	v_cndmask_b32_e64 v12, 0, 1, s[0:1]
	v_cmp_eq_u16_sdwa s[0:1], s31, v12 src0_sel:BYTE_0 src1_sel:DWORD
	v_cndmask_b32_e64 v12, 0, 1, s[0:1]
.LBB65_102:
	s_or_b64 exec, exec, s[12:13]
	v_or_b32_e32 v13, 0x300, v0
	v_cmp_gt_u32_e64 s[0:1], s16, v13
	s_and_saveexec_b64 s[12:13], s[0:1]
	s_cbranch_execnz .LBB65_247
; %bb.103:
	s_or_b64 exec, exec, s[12:13]
	s_and_saveexec_b64 s[12:13], s[2:3]
	s_cbranch_execnz .LBB65_248
.LBB65_104:
	s_or_b64 exec, exec, s[12:13]
	s_and_saveexec_b64 s[8:9], vcc
	s_cbranch_execnz .LBB65_249
.LBB65_105:
	s_or_b64 exec, exec, s[8:9]
	s_and_saveexec_b64 s[2:3], s[0:1]
	s_cbranch_execz .LBB65_107
.LBB65_106:
	v_and_b32_e32 v7, 1, v1
	v_cmp_lt_i64_e32 vcc, v[4:5], v[2:3]
	v_cmp_eq_u32_e64 s[0:1], 1, v7
	v_and_b32_e32 v6, 1, v10
	s_and_b64 vcc, s[0:1], vcc
	v_cndmask_b32_e64 v7, v10, 1, s[0:1]
	v_cndmask_b32_e32 v2, v2, v4, vcc
	v_cndmask_b32_e32 v3, v3, v5, vcc
	v_cmp_eq_u32_e32 vcc, 1, v6
	v_cndmask_b32_e32 v10, v1, v7, vcc
	v_cndmask_b32_e32 v3, v5, v3, vcc
	;; [unrolled: 1-line block ×3, first 2 shown]
.LBB65_107:
	s_or_b64 exec, exec, s[2:3]
	v_mbcnt_lo_u32_b32 v1, -1, 0
	v_mbcnt_hi_u32_b32 v1, -1, v1
	v_and_b32_e32 v7, 63, v1
	v_cmp_ne_u32_e32 vcc, 63, v7
	v_addc_co_u32_e32 v4, vcc, 0, v1, vcc
	v_and_b32_e32 v6, 0xffff, v10
	v_lshlrev_b32_e32 v5, 2, v4
	ds_bpermute_b32 v11, v5, v6
	ds_bpermute_b32 v4, v5, v2
	;; [unrolled: 1-line block ×3, first 2 shown]
	s_min_u32 s8, s16, 0x100
	v_and_b32_e32 v8, 0xc0, v0
	v_sub_u32_e64 v9, s8, v8 clamp
	v_add_u32_e32 v8, 1, v7
	v_cmp_lt_u32_e32 vcc, v8, v9
	v_mov_b32_e32 v8, v6
	s_and_saveexec_b64 s[0:1], vcc
	s_xor_b64 s[2:3], exec, s[0:1]
	s_cbranch_execz .LBB65_109
; %bb.108:
	v_and_b32_e32 v8, 1, v10
	s_waitcnt lgkmcnt(2)
	v_and_b32_e32 v10, 1, v11
	s_waitcnt lgkmcnt(0)
	v_cmp_lt_i64_e32 vcc, v[4:5], v[2:3]
	v_cmp_eq_u32_e64 s[0:1], 1, v10
	s_and_b64 vcc, s[0:1], vcc
	v_cndmask_b32_e64 v6, v6, 1, s[0:1]
	v_cndmask_b32_e32 v2, v2, v4, vcc
	v_cndmask_b32_e32 v3, v3, v5, vcc
	v_cmp_eq_u32_e32 vcc, 1, v8
	v_cndmask_b32_e32 v8, v11, v6, vcc
	v_cndmask_b32_e32 v3, v5, v3, vcc
	;; [unrolled: 1-line block ×3, first 2 shown]
	v_and_b32_e32 v6, 0xff, v8
.LBB65_109:
	s_or_b64 exec, exec, s[2:3]
	v_cmp_gt_u32_e32 vcc, 62, v7
	s_waitcnt lgkmcnt(1)
	v_cndmask_b32_e64 v4, 0, 1, vcc
	v_lshlrev_b32_e32 v4, 1, v4
	s_waitcnt lgkmcnt(0)
	v_add_lshl_u32 v5, v4, v1, 2
	ds_bpermute_b32 v10, v5, v6
	ds_bpermute_b32 v4, v5, v2
	ds_bpermute_b32 v5, v5, v3
	v_add_u32_e32 v11, 2, v7
	v_cmp_lt_u32_e32 vcc, v11, v9
	s_and_saveexec_b64 s[2:3], vcc
	s_cbranch_execz .LBB65_111
; %bb.110:
	s_waitcnt lgkmcnt(2)
	v_and_b32_e32 v11, 1, v10
	s_waitcnt lgkmcnt(0)
	v_cmp_lt_i64_e32 vcc, v[4:5], v[2:3]
	v_cmp_eq_u32_e64 s[0:1], 1, v11
	v_and_b32_e32 v6, 1, v8
	s_and_b64 vcc, s[0:1], vcc
	v_cndmask_b32_e64 v8, v8, 1, s[0:1]
	v_cndmask_b32_e32 v2, v2, v4, vcc
	v_cndmask_b32_e32 v3, v3, v5, vcc
	v_cmp_eq_u32_e32 vcc, 1, v6
	v_cndmask_b32_e32 v8, v10, v8, vcc
	v_cndmask_b32_e32 v3, v5, v3, vcc
	v_cndmask_b32_e32 v2, v4, v2, vcc
	v_and_b32_e32 v6, 0xff, v8
.LBB65_111:
	s_or_b64 exec, exec, s[2:3]
	v_cmp_gt_u32_e32 vcc, 60, v7
	s_waitcnt lgkmcnt(1)
	v_cndmask_b32_e64 v4, 0, 1, vcc
	v_lshlrev_b32_e32 v4, 2, v4
	s_waitcnt lgkmcnt(0)
	v_add_lshl_u32 v5, v4, v1, 2
	ds_bpermute_b32 v10, v5, v6
	ds_bpermute_b32 v4, v5, v2
	ds_bpermute_b32 v5, v5, v3
	v_add_u32_e32 v11, 4, v7
	v_cmp_lt_u32_e32 vcc, v11, v9
	s_and_saveexec_b64 s[2:3], vcc
	s_cbranch_execz .LBB65_113
; %bb.112:
	s_waitcnt lgkmcnt(2)
	v_and_b32_e32 v11, 1, v10
	s_waitcnt lgkmcnt(0)
	v_cmp_lt_i64_e32 vcc, v[4:5], v[2:3]
	v_cmp_eq_u32_e64 s[0:1], 1, v11
	v_and_b32_e32 v6, 1, v8
	s_and_b64 vcc, s[0:1], vcc
	v_cndmask_b32_e64 v8, v8, 1, s[0:1]
	v_cndmask_b32_e32 v2, v2, v4, vcc
	v_cndmask_b32_e32 v3, v3, v5, vcc
	v_cmp_eq_u32_e32 vcc, 1, v6
	v_cndmask_b32_e32 v8, v10, v8, vcc
	v_cndmask_b32_e32 v3, v5, v3, vcc
	v_cndmask_b32_e32 v2, v4, v2, vcc
	v_and_b32_e32 v6, 0xff, v8
.LBB65_113:
	;; [unrolled: 31-line block ×5, first 2 shown]
	s_or_b64 exec, exec, s[2:3]
	v_cmp_eq_u32_e32 vcc, 0, v1
	s_and_saveexec_b64 s[0:1], vcc
	s_cbranch_execz .LBB65_121
; %bb.120:
	s_waitcnt lgkmcnt(1)
	v_lshrrev_b32_e32 v4, 2, v0
	v_and_b32_e32 v4, 48, v4
	ds_write_b8 v4, v8 offset:256
	ds_write_b64 v4, v[2:3] offset:264
.LBB65_121:
	s_or_b64 exec, exec, s[0:1]
	v_cmp_gt_u32_e32 vcc, 4, v0
	s_waitcnt lgkmcnt(0)
	s_barrier
	s_and_saveexec_b64 s[2:3], vcc
	s_cbranch_execz .LBB65_127
; %bb.122:
	v_lshlrev_b32_e32 v2, 4, v1
	ds_read_u8 v7, v2 offset:256
	ds_read_b64 v[2:3], v2 offset:264
	v_and_b32_e32 v8, 3, v1
	v_cmp_ne_u32_e32 vcc, 3, v8
	v_addc_co_u32_e32 v4, vcc, 0, v1, vcc
	s_waitcnt lgkmcnt(1)
	v_and_b32_e32 v6, 0xff, v7
	v_lshlrev_b32_e32 v5, 2, v4
	ds_bpermute_b32 v9, v5, v6
	s_waitcnt lgkmcnt(1)
	ds_bpermute_b32 v4, v5, v2
	ds_bpermute_b32 v5, v5, v3
	s_add_i32 s8, s8, 63
	s_lshr_b32 s12, s8, 6
	v_add_u32_e32 v10, 1, v8
	v_cmp_gt_u32_e32 vcc, s12, v10
	s_and_saveexec_b64 s[8:9], vcc
	s_cbranch_execz .LBB65_124
; %bb.123:
	s_waitcnt lgkmcnt(2)
	v_and_b32_e32 v10, 1, v9
	s_waitcnt lgkmcnt(0)
	v_cmp_lt_i64_e32 vcc, v[4:5], v[2:3]
	v_cmp_eq_u32_e64 s[0:1], 1, v10
	v_and_b32_e32 v6, 1, v7
	s_and_b64 vcc, s[0:1], vcc
	v_cndmask_b32_e64 v7, v7, 1, s[0:1]
	v_cndmask_b32_e32 v2, v2, v4, vcc
	v_cndmask_b32_e32 v3, v3, v5, vcc
	v_cmp_eq_u32_e32 vcc, 1, v6
	v_cndmask_b32_e32 v7, v9, v7, vcc
	v_cndmask_b32_e32 v3, v5, v3, vcc
	;; [unrolled: 1-line block ×3, first 2 shown]
	v_and_b32_e32 v6, 0xff, v7
.LBB65_124:
	s_or_b64 exec, exec, s[8:9]
	v_cmp_gt_u32_e32 vcc, 2, v8
	s_waitcnt lgkmcnt(1)
	v_cndmask_b32_e64 v4, 0, 1, vcc
	v_lshlrev_b32_e32 v4, 1, v4
	s_waitcnt lgkmcnt(0)
	v_add_lshl_u32 v5, v4, v1, 2
	ds_bpermute_b32 v1, v5, v6
	ds_bpermute_b32 v4, v5, v2
	ds_bpermute_b32 v5, v5, v3
	v_add_u32_e32 v8, 2, v8
	v_cmp_gt_u32_e32 vcc, s12, v8
	s_and_saveexec_b64 s[8:9], vcc
	s_cbranch_execz .LBB65_126
; %bb.125:
	s_waitcnt lgkmcnt(2)
	v_and_b32_e32 v8, 1, v1
	s_waitcnt lgkmcnt(0)
	v_cmp_lt_i64_e32 vcc, v[4:5], v[2:3]
	v_cmp_eq_u32_e64 s[0:1], 1, v8
	v_and_b32_e32 v6, 1, v7
	s_and_b64 vcc, s[0:1], vcc
	v_cndmask_b32_e64 v7, v7, 1, s[0:1]
	v_cndmask_b32_e32 v2, v2, v4, vcc
	v_cndmask_b32_e32 v3, v3, v5, vcc
	v_cmp_eq_u32_e32 vcc, 1, v6
	v_cndmask_b32_e32 v1, v1, v7, vcc
	v_cndmask_b32_e32 v3, v5, v3, vcc
	v_cndmask_b32_e32 v2, v4, v2, vcc
	v_and_b32_e32 v6, 0xff, v1
.LBB65_126:
	s_or_b64 exec, exec, s[8:9]
.LBB65_127:
	s_or_b64 exec, exec, s[2:3]
.LBB65_128:
	v_cmp_eq_u32_e32 vcc, 0, v0
                                        ; implicit-def: $vgpr4_vgpr5
                                        ; implicit-def: $vgpr1
	s_and_saveexec_b64 s[0:1], vcc
	s_xor_b64 s[8:9], exec, s[0:1]
	s_cbranch_execz .LBB65_132
; %bb.129:
	s_cmp_eq_u64 s[22:23], 0
	s_waitcnt lgkmcnt(0)
	v_pk_mov_b32 v[4:5], s[18:19], s[18:19] op_sel:[0,1]
	v_mov_b32_e32 v1, s30
	s_cbranch_scc1 .LBB65_131
; %bb.130:
	v_and_b32_e32 v1, 1, v6
	s_bitcmp1_b32 s30, 0
	v_mov_b32_e32 v4, s30
	v_cmp_eq_u32_e32 vcc, 1, v1
	v_cmp_gt_i64_e64 s[2:3], s[18:19], v[2:3]
	v_cndmask_b32_e64 v1, v4, 1, vcc
	s_cselect_b64 s[0:1], -1, 0
	v_mov_b32_e32 v4, s18
	s_and_b64 vcc, vcc, s[2:3]
	v_mov_b32_e32 v5, s19
	v_cndmask_b32_e32 v4, v4, v2, vcc
	v_cndmask_b32_e32 v5, v5, v3, vcc
	v_cndmask_b32_e64 v1, v6, v1, s[0:1]
	v_cndmask_b32_e64 v5, v3, v5, s[0:1]
	;; [unrolled: 1-line block ×3, first 2 shown]
.LBB65_131:
	s_or_b64 s[10:11], s[10:11], exec
.LBB65_132:
	s_or_b64 exec, exec, s[8:9]
	s_branch .LBB65_208
.LBB65_133:
	s_cmp_gt_i32 s33, 1
	s_cbranch_scc0 .LBB65_153
; %bb.134:
	s_cmp_eq_u32 s33, 2
	s_cbranch_scc0 .LBB65_154
; %bb.135:
	s_lshl_b32 s14, s6, 9
	s_lshr_b64 s[0:1], s[22:23], 9
	s_add_u32 s2, s24, s14
	s_addc_u32 s3, s25, 0
	s_add_u32 s12, s20, s14
	s_mov_b32 s7, 0
	s_addc_u32 s13, s21, 0
	s_cmp_lg_u64 s[0:1], s[6:7]
	s_cbranch_scc0 .LBB65_155
; %bb.136:
	s_waitcnt lgkmcnt(2)
	global_load_ubyte v1, v0, s[2:3]
	global_load_ubyte v2, v0, s[2:3] offset:256
	v_mov_b32_e32 v3, s13
	s_waitcnt lgkmcnt(0)
	v_add_co_u32_e32 v5, vcc, s12, v0
	v_addc_co_u32_e32 v3, vcc, 0, v3, vcc
	v_add_co_u32_e32 v6, vcc, 0x100, v5
	v_mov_b32_e32 v4, 0
	v_addc_co_u32_e32 v7, vcc, 0, v3, vcc
	s_waitcnt vmcnt(1)
	v_cmp_ne_u16_e32 vcc, 0, v1
	s_waitcnt vmcnt(0)
	v_cmp_ne_u16_sdwa s[0:1], v2, v4 src0_sel:BYTE_0 src1_sel:DWORD
	v_cndmask_b32_e64 v1, 0, 1, vcc
	v_cndmask_b32_e64 v2, 0, 1, s[0:1]
	v_cmp_eq_u16_sdwa s[0:1], s31, v2 src0_sel:BYTE_0 src1_sel:DWORD
	v_cmp_eq_u16_sdwa vcc, s31, v1 src0_sel:BYTE_0 src1_sel:DWORD
	s_or_b64 s[0:1], vcc, s[0:1]
	v_cndmask_b32_e64 v1, 0, 1, s[0:1]
	v_cndmask_b32_e32 v2, v6, v5, vcc
	v_cndmask_b32_e32 v3, v7, v3, vcc
	v_mov_b32_dpp v6, v1 quad_perm:[1,0,3,2] row_mask:0xf bank_mask:0xf bound_ctrl:1
	v_and_b32_e32 v7, 1, v6
	v_mov_b32_dpp v4, v2 quad_perm:[1,0,3,2] row_mask:0xf bank_mask:0xf bound_ctrl:1
	v_mov_b32_dpp v5, v3 quad_perm:[1,0,3,2] row_mask:0xf bank_mask:0xf bound_ctrl:1
	v_cmp_eq_u32_e32 vcc, 1, v7
	s_and_saveexec_b64 s[8:9], vcc
; %bb.137:
	v_cmp_lt_i64_e32 vcc, v[2:3], v[4:5]
	v_cndmask_b32_e64 v6, v6, 1, s[0:1]
	s_and_b64 vcc, s[0:1], vcc
	v_cndmask_b32_e32 v2, v4, v2, vcc
	v_and_b32_e32 v4, 1, v6
	v_cndmask_b32_e32 v3, v5, v3, vcc
	v_cmp_eq_u32_e32 vcc, 1, v4
	s_andn2_b64 s[0:1], s[0:1], exec
	s_and_b64 s[16:17], vcc, exec
	v_and_b32_e32 v1, 0xff, v6
	s_or_b64 s[0:1], s[0:1], s[16:17]
; %bb.138:
	s_or_b64 exec, exec, s[8:9]
	v_mov_b32_dpp v6, v1 quad_perm:[2,3,0,1] row_mask:0xf bank_mask:0xf bound_ctrl:1
	v_and_b32_e32 v7, 1, v6
	v_mov_b32_dpp v4, v2 quad_perm:[2,3,0,1] row_mask:0xf bank_mask:0xf bound_ctrl:1
	v_mov_b32_dpp v5, v3 quad_perm:[2,3,0,1] row_mask:0xf bank_mask:0xf bound_ctrl:1
	v_cmp_eq_u32_e32 vcc, 1, v7
	s_and_saveexec_b64 s[8:9], vcc
; %bb.139:
	v_cmp_lt_i64_e32 vcc, v[2:3], v[4:5]
	v_cndmask_b32_e64 v6, v6, 1, s[0:1]
	s_and_b64 vcc, s[0:1], vcc
	v_cndmask_b32_e32 v2, v4, v2, vcc
	v_and_b32_e32 v4, 1, v6
	v_cndmask_b32_e32 v3, v5, v3, vcc
	v_cmp_eq_u32_e32 vcc, 1, v4
	s_andn2_b64 s[0:1], s[0:1], exec
	s_and_b64 s[16:17], vcc, exec
	v_and_b32_e32 v1, 0xff, v6
	s_or_b64 s[0:1], s[0:1], s[16:17]
; %bb.140:
	s_or_b64 exec, exec, s[8:9]
	v_mov_b32_dpp v6, v1 row_ror:4 row_mask:0xf bank_mask:0xf bound_ctrl:1
	v_and_b32_e32 v7, 1, v6
	v_mov_b32_dpp v4, v2 row_ror:4 row_mask:0xf bank_mask:0xf bound_ctrl:1
	v_mov_b32_dpp v5, v3 row_ror:4 row_mask:0xf bank_mask:0xf bound_ctrl:1
	v_cmp_eq_u32_e32 vcc, 1, v7
	s_and_saveexec_b64 s[8:9], vcc
; %bb.141:
	v_cmp_lt_i64_e32 vcc, v[2:3], v[4:5]
	v_cndmask_b32_e64 v6, v6, 1, s[0:1]
	s_and_b64 vcc, s[0:1], vcc
	v_cndmask_b32_e32 v2, v4, v2, vcc
	v_and_b32_e32 v4, 1, v6
	v_cndmask_b32_e32 v3, v5, v3, vcc
	v_cmp_eq_u32_e32 vcc, 1, v4
	s_andn2_b64 s[0:1], s[0:1], exec
	s_and_b64 s[16:17], vcc, exec
	v_and_b32_e32 v1, 0xff, v6
	s_or_b64 s[0:1], s[0:1], s[16:17]
; %bb.142:
	s_or_b64 exec, exec, s[8:9]
	v_mov_b32_dpp v6, v1 row_ror:8 row_mask:0xf bank_mask:0xf bound_ctrl:1
	v_and_b32_e32 v7, 1, v6
	v_mov_b32_dpp v4, v2 row_ror:8 row_mask:0xf bank_mask:0xf bound_ctrl:1
	v_mov_b32_dpp v5, v3 row_ror:8 row_mask:0xf bank_mask:0xf bound_ctrl:1
	v_cmp_eq_u32_e32 vcc, 1, v7
	s_and_saveexec_b64 s[8:9], vcc
; %bb.143:
	v_cmp_lt_i64_e32 vcc, v[2:3], v[4:5]
	v_cndmask_b32_e64 v6, v6, 1, s[0:1]
	s_and_b64 vcc, s[0:1], vcc
	v_cndmask_b32_e32 v2, v4, v2, vcc
	v_and_b32_e32 v4, 1, v6
	v_cndmask_b32_e32 v3, v5, v3, vcc
	v_cmp_eq_u32_e32 vcc, 1, v4
	s_andn2_b64 s[0:1], s[0:1], exec
	s_and_b64 s[16:17], vcc, exec
	v_and_b32_e32 v1, 0xff, v6
	s_or_b64 s[0:1], s[0:1], s[16:17]
; %bb.144:
	s_or_b64 exec, exec, s[8:9]
	v_mov_b32_dpp v6, v1 row_bcast:15 row_mask:0xf bank_mask:0xf bound_ctrl:1
	v_and_b32_e32 v7, 1, v6
	v_mov_b32_dpp v4, v2 row_bcast:15 row_mask:0xf bank_mask:0xf bound_ctrl:1
	v_mov_b32_dpp v5, v3 row_bcast:15 row_mask:0xf bank_mask:0xf bound_ctrl:1
	v_cmp_eq_u32_e32 vcc, 1, v7
	s_and_saveexec_b64 s[8:9], vcc
; %bb.145:
	v_cmp_lt_i64_e32 vcc, v[2:3], v[4:5]
	v_cndmask_b32_e64 v6, v6, 1, s[0:1]
	s_and_b64 vcc, s[0:1], vcc
	v_cndmask_b32_e32 v2, v4, v2, vcc
	v_and_b32_e32 v4, 1, v6
	v_cndmask_b32_e32 v3, v5, v3, vcc
	v_cmp_eq_u32_e32 vcc, 1, v4
	s_andn2_b64 s[0:1], s[0:1], exec
	s_and_b64 s[16:17], vcc, exec
	v_and_b32_e32 v1, 0xff, v6
	s_or_b64 s[0:1], s[0:1], s[16:17]
; %bb.146:
	s_or_b64 exec, exec, s[8:9]
	v_mov_b32_dpp v6, v1 row_bcast:31 row_mask:0xf bank_mask:0xf bound_ctrl:1
	v_and_b32_e32 v7, 1, v6
	v_mov_b32_dpp v4, v2 row_bcast:31 row_mask:0xf bank_mask:0xf bound_ctrl:1
	v_mov_b32_dpp v5, v3 row_bcast:31 row_mask:0xf bank_mask:0xf bound_ctrl:1
	v_cmp_eq_u32_e32 vcc, 1, v7
	s_and_saveexec_b64 s[8:9], vcc
; %bb.147:
	v_cmp_lt_i64_e32 vcc, v[2:3], v[4:5]
	v_and_b32_e32 v1, 0xff, v6
	s_and_b64 vcc, s[0:1], vcc
	v_cndmask_b32_e32 v2, v4, v2, vcc
	v_cndmask_b32_e32 v3, v5, v3, vcc
	v_cndmask_b32_e64 v1, v1, 1, s[0:1]
; %bb.148:
	s_or_b64 exec, exec, s[8:9]
	v_mbcnt_lo_u32_b32 v4, -1, 0
	v_mbcnt_hi_u32_b32 v4, -1, v4
	v_bfrev_b32_e32 v5, 0.5
	v_lshl_or_b32 v5, v4, 2, v5
	ds_bpermute_b32 v6, v5, v1
	ds_bpermute_b32 v2, v5, v2
	;; [unrolled: 1-line block ×3, first 2 shown]
	v_cmp_eq_u32_e32 vcc, 0, v4
	s_and_saveexec_b64 s[0:1], vcc
	s_cbranch_execz .LBB65_150
; %bb.149:
	v_lshrrev_b32_e32 v1, 2, v0
	v_and_b32_e32 v1, 48, v1
	s_waitcnt lgkmcnt(2)
	ds_write_b8 v1, v6 offset:64
	s_waitcnt lgkmcnt(1)
	ds_write_b64 v1, v[2:3] offset:72
.LBB65_150:
	s_or_b64 exec, exec, s[0:1]
	v_cmp_gt_u32_e32 vcc, 64, v0
	s_waitcnt lgkmcnt(0)
	s_barrier
	s_and_saveexec_b64 s[8:9], vcc
	s_cbranch_execz .LBB65_152
; %bb.151:
	v_and_b32_e32 v1, 3, v4
	v_lshlrev_b32_e32 v2, 4, v1
	ds_read_u8 v5, v2 offset:64
	ds_read_b64 v[2:3], v2 offset:72
	v_cmp_ne_u32_e32 vcc, 3, v1
	v_addc_co_u32_e32 v6, vcc, 0, v4, vcc
	s_waitcnt lgkmcnt(1)
	v_and_b32_e32 v7, 0xff, v5
	v_lshlrev_b32_e32 v8, 2, v6
	ds_bpermute_b32 v9, v8, v7
	s_waitcnt lgkmcnt(1)
	ds_bpermute_b32 v6, v8, v2
	ds_bpermute_b32 v7, v8, v3
	v_and_b32_e32 v8, 1, v5
	s_waitcnt lgkmcnt(2)
	v_and_b32_e32 v10, 1, v9
	v_cmp_eq_u32_e64 s[0:1], 1, v10
	s_waitcnt lgkmcnt(0)
	v_cmp_lt_i64_e32 vcc, v[6:7], v[2:3]
	s_and_b64 vcc, s[0:1], vcc
	v_cndmask_b32_e64 v5, v5, 1, s[0:1]
	v_cndmask_b32_e32 v2, v2, v6, vcc
	v_cndmask_b32_e32 v3, v3, v7, vcc
	v_cmp_eq_u32_e32 vcc, 1, v8
	v_cndmask_b32_e32 v8, v9, v5, vcc
	v_cndmask_b32_e32 v3, v7, v3, vcc
	;; [unrolled: 1-line block ×3, first 2 shown]
	v_cmp_gt_u32_e32 vcc, 2, v1
	v_cndmask_b32_e64 v1, 0, 1, vcc
	v_lshlrev_b32_e32 v1, 1, v1
	v_and_b32_e32 v5, 0xff, v8
	v_add_lshl_u32 v1, v1, v4, 2
	ds_bpermute_b32 v6, v1, v5
	ds_bpermute_b32 v4, v1, v2
	;; [unrolled: 1-line block ×3, first 2 shown]
	v_and_b32_e32 v1, 1, v8
	s_waitcnt lgkmcnt(2)
	v_and_b32_e32 v7, 1, v6
	v_cmp_eq_u32_e64 s[0:1], 1, v7
	s_waitcnt lgkmcnt(0)
	v_cmp_lt_i64_e32 vcc, v[4:5], v[2:3]
	s_and_b64 vcc, s[0:1], vcc
	v_cndmask_b32_e64 v7, v8, 1, s[0:1]
	v_cndmask_b32_e32 v2, v2, v4, vcc
	v_cndmask_b32_e32 v3, v3, v5, vcc
	v_cmp_eq_u32_e32 vcc, 1, v1
	v_cndmask_b32_e32 v1, v6, v7, vcc
	v_cndmask_b32_e32 v3, v5, v3, vcc
	;; [unrolled: 1-line block ×3, first 2 shown]
	v_and_b32_e32 v6, 0xff, v1
.LBB65_152:
	s_or_b64 exec, exec, s[8:9]
	s_branch .LBB65_183
.LBB65_153:
                                        ; implicit-def: $vgpr4_vgpr5
                                        ; implicit-def: $vgpr1
	s_cbranch_execnz .LBB65_188
	s_branch .LBB65_208
.LBB65_154:
                                        ; implicit-def: $vgpr4_vgpr5
                                        ; implicit-def: $vgpr1
	s_branch .LBB65_208
.LBB65_155:
                                        ; implicit-def: $vgpr2_vgpr3
                                        ; implicit-def: $vgpr6
	s_cbranch_execz .LBB65_183
; %bb.156:
	s_sub_i32 s14, s22, s14
	s_waitcnt lgkmcnt(0)
	v_pk_mov_b32 v[4:5], 0, 0
	v_cmp_gt_u32_e32 vcc, s14, v0
	v_mov_b32_e32 v1, 0
	v_pk_mov_b32 v[2:3], v[4:5], v[4:5] op_sel:[0,1]
	v_mov_b32_e32 v7, 0
	s_and_saveexec_b64 s[0:1], vcc
	s_cbranch_execz .LBB65_158
; %bb.157:
	global_load_ubyte v6, v0, s[2:3]
	v_mov_b32_e32 v3, s13
	v_add_co_u32_e32 v2, vcc, s12, v0
	v_addc_co_u32_e32 v3, vcc, 0, v3, vcc
	s_waitcnt vmcnt(0)
	v_cmp_ne_u16_e32 vcc, 0, v6
	v_cndmask_b32_e64 v6, 0, 1, vcc
	v_cmp_eq_u16_sdwa s[8:9], s31, v6 src0_sel:BYTE_0 src1_sel:DWORD
	v_cndmask_b32_e64 v7, 0, 1, s[8:9]
.LBB65_158:
	s_or_b64 exec, exec, s[0:1]
	v_or_b32_e32 v6, 0x100, v0
	v_cmp_gt_u32_e32 vcc, s14, v6
	s_and_saveexec_b64 s[8:9], vcc
	s_cbranch_execz .LBB65_160
; %bb.159:
	global_load_ubyte v1, v0, s[2:3] offset:256
	v_mov_b32_e32 v5, s13
	v_add_co_u32_e64 v4, s[0:1], s12, v6
	v_addc_co_u32_e64 v5, s[0:1], 0, v5, s[0:1]
	s_waitcnt vmcnt(0)
	v_cmp_ne_u16_e64 s[0:1], 0, v1
	v_cndmask_b32_e64 v1, 0, 1, s[0:1]
	v_cmp_eq_u16_sdwa s[0:1], s31, v1 src0_sel:BYTE_0 src1_sel:DWORD
	v_cndmask_b32_e64 v1, 0, 1, s[0:1]
.LBB65_160:
	s_or_b64 exec, exec, s[8:9]
	s_and_saveexec_b64 s[2:3], vcc
	s_cbranch_execz .LBB65_162
; %bb.161:
	v_and_b32_e32 v8, 1, v1
	v_cmp_lt_i64_e32 vcc, v[4:5], v[2:3]
	v_cmp_eq_u32_e64 s[0:1], 1, v8
	v_and_b32_e32 v6, 1, v7
	s_and_b64 vcc, s[0:1], vcc
	v_cndmask_b32_e64 v7, v7, 1, s[0:1]
	v_cndmask_b32_e32 v2, v2, v4, vcc
	v_cndmask_b32_e32 v3, v3, v5, vcc
	v_cmp_eq_u32_e32 vcc, 1, v6
	v_cndmask_b32_e32 v7, v1, v7, vcc
	v_cndmask_b32_e32 v3, v5, v3, vcc
	;; [unrolled: 1-line block ×3, first 2 shown]
.LBB65_162:
	s_or_b64 exec, exec, s[2:3]
	v_mbcnt_lo_u32_b32 v1, -1, 0
	v_mbcnt_hi_u32_b32 v1, -1, v1
	v_and_b32_e32 v8, 63, v1
	v_cmp_ne_u32_e32 vcc, 63, v8
	v_addc_co_u32_e32 v4, vcc, 0, v1, vcc
	v_and_b32_e32 v6, 0xffff, v7
	v_lshlrev_b32_e32 v5, 2, v4
	ds_bpermute_b32 v10, v5, v6
	ds_bpermute_b32 v4, v5, v2
	;; [unrolled: 1-line block ×3, first 2 shown]
	s_min_u32 s8, s14, 0x100
	v_and_b32_e32 v9, 0xc0, v0
	v_sub_u32_e64 v9, s8, v9 clamp
	v_add_u32_e32 v11, 1, v8
	v_cmp_lt_u32_e32 vcc, v11, v9
	s_and_saveexec_b64 s[2:3], vcc
	s_cbranch_execz .LBB65_164
; %bb.163:
	s_waitcnt lgkmcnt(2)
	v_and_b32_e32 v11, 1, v10
	s_waitcnt lgkmcnt(0)
	v_cmp_lt_i64_e32 vcc, v[4:5], v[2:3]
	v_cmp_eq_u32_e64 s[0:1], 1, v11
	v_and_b32_e32 v6, 1, v7
	s_and_b64 vcc, s[0:1], vcc
	v_cndmask_b32_e64 v7, v7, 1, s[0:1]
	v_cndmask_b32_e32 v2, v2, v4, vcc
	v_cndmask_b32_e32 v3, v3, v5, vcc
	v_cmp_eq_u32_e32 vcc, 1, v6
	v_cndmask_b32_e32 v7, v10, v7, vcc
	v_cndmask_b32_e32 v3, v5, v3, vcc
	v_cndmask_b32_e32 v2, v4, v2, vcc
	v_and_b32_e32 v6, 0xff, v7
.LBB65_164:
	s_or_b64 exec, exec, s[2:3]
	v_cmp_gt_u32_e32 vcc, 62, v8
	s_waitcnt lgkmcnt(1)
	v_cndmask_b32_e64 v4, 0, 1, vcc
	v_lshlrev_b32_e32 v4, 1, v4
	s_waitcnt lgkmcnt(0)
	v_add_lshl_u32 v5, v4, v1, 2
	ds_bpermute_b32 v10, v5, v6
	ds_bpermute_b32 v4, v5, v2
	ds_bpermute_b32 v5, v5, v3
	v_add_u32_e32 v11, 2, v8
	v_cmp_lt_u32_e32 vcc, v11, v9
	s_and_saveexec_b64 s[2:3], vcc
	s_cbranch_execz .LBB65_166
; %bb.165:
	s_waitcnt lgkmcnt(2)
	v_and_b32_e32 v11, 1, v10
	s_waitcnt lgkmcnt(0)
	v_cmp_lt_i64_e32 vcc, v[4:5], v[2:3]
	v_cmp_eq_u32_e64 s[0:1], 1, v11
	v_and_b32_e32 v6, 1, v7
	s_and_b64 vcc, s[0:1], vcc
	v_cndmask_b32_e64 v7, v7, 1, s[0:1]
	v_cndmask_b32_e32 v2, v2, v4, vcc
	v_cndmask_b32_e32 v3, v3, v5, vcc
	v_cmp_eq_u32_e32 vcc, 1, v6
	v_cndmask_b32_e32 v7, v10, v7, vcc
	v_cndmask_b32_e32 v3, v5, v3, vcc
	v_cndmask_b32_e32 v2, v4, v2, vcc
	v_and_b32_e32 v6, 0xff, v7
.LBB65_166:
	s_or_b64 exec, exec, s[2:3]
	v_cmp_gt_u32_e32 vcc, 60, v8
	s_waitcnt lgkmcnt(1)
	v_cndmask_b32_e64 v4, 0, 1, vcc
	v_lshlrev_b32_e32 v4, 2, v4
	s_waitcnt lgkmcnt(0)
	v_add_lshl_u32 v5, v4, v1, 2
	ds_bpermute_b32 v10, v5, v6
	ds_bpermute_b32 v4, v5, v2
	ds_bpermute_b32 v5, v5, v3
	;; [unrolled: 31-line block ×5, first 2 shown]
	v_add_u32_e32 v8, 32, v8
	v_cmp_lt_u32_e32 vcc, v8, v9
	s_and_saveexec_b64 s[2:3], vcc
	s_cbranch_execz .LBB65_174
; %bb.173:
	s_waitcnt lgkmcnt(2)
	v_and_b32_e32 v8, 1, v10
	s_waitcnt lgkmcnt(0)
	v_cmp_lt_i64_e32 vcc, v[4:5], v[2:3]
	v_cmp_eq_u32_e64 s[0:1], 1, v8
	v_and_b32_e32 v6, 1, v7
	s_and_b64 vcc, s[0:1], vcc
	v_cndmask_b32_e64 v7, v7, 1, s[0:1]
	v_cndmask_b32_e32 v2, v2, v4, vcc
	v_cndmask_b32_e32 v3, v3, v5, vcc
	v_cmp_eq_u32_e32 vcc, 1, v6
	v_cndmask_b32_e32 v7, v10, v7, vcc
	v_cndmask_b32_e32 v3, v5, v3, vcc
	;; [unrolled: 1-line block ×3, first 2 shown]
	v_and_b32_e32 v6, 0xff, v7
.LBB65_174:
	s_or_b64 exec, exec, s[2:3]
	v_cmp_eq_u32_e32 vcc, 0, v1
	s_and_saveexec_b64 s[0:1], vcc
	s_cbranch_execz .LBB65_176
; %bb.175:
	s_waitcnt lgkmcnt(1)
	v_lshrrev_b32_e32 v4, 2, v0
	v_and_b32_e32 v4, 48, v4
	ds_write_b8 v4, v7 offset:256
	ds_write_b64 v4, v[2:3] offset:264
.LBB65_176:
	s_or_b64 exec, exec, s[0:1]
	v_cmp_gt_u32_e32 vcc, 4, v0
	s_waitcnt lgkmcnt(0)
	s_barrier
	s_and_saveexec_b64 s[2:3], vcc
	s_cbranch_execz .LBB65_182
; %bb.177:
	v_lshlrev_b32_e32 v2, 4, v1
	ds_read_u8 v7, v2 offset:256
	ds_read_b64 v[2:3], v2 offset:264
	v_and_b32_e32 v8, 3, v1
	v_cmp_ne_u32_e32 vcc, 3, v8
	v_addc_co_u32_e32 v4, vcc, 0, v1, vcc
	s_waitcnt lgkmcnt(1)
	v_and_b32_e32 v6, 0xff, v7
	v_lshlrev_b32_e32 v5, 2, v4
	ds_bpermute_b32 v9, v5, v6
	s_waitcnt lgkmcnt(1)
	ds_bpermute_b32 v4, v5, v2
	ds_bpermute_b32 v5, v5, v3
	s_add_i32 s8, s8, 63
	s_lshr_b32 s12, s8, 6
	v_add_u32_e32 v10, 1, v8
	v_cmp_gt_u32_e32 vcc, s12, v10
	s_and_saveexec_b64 s[8:9], vcc
	s_cbranch_execz .LBB65_179
; %bb.178:
	s_waitcnt lgkmcnt(2)
	v_and_b32_e32 v10, 1, v9
	s_waitcnt lgkmcnt(0)
	v_cmp_lt_i64_e32 vcc, v[4:5], v[2:3]
	v_cmp_eq_u32_e64 s[0:1], 1, v10
	v_and_b32_e32 v6, 1, v7
	s_and_b64 vcc, s[0:1], vcc
	v_cndmask_b32_e64 v7, v7, 1, s[0:1]
	v_cndmask_b32_e32 v2, v2, v4, vcc
	v_cndmask_b32_e32 v3, v3, v5, vcc
	v_cmp_eq_u32_e32 vcc, 1, v6
	v_cndmask_b32_e32 v7, v9, v7, vcc
	v_cndmask_b32_e32 v3, v5, v3, vcc
	;; [unrolled: 1-line block ×3, first 2 shown]
	v_and_b32_e32 v6, 0xff, v7
.LBB65_179:
	s_or_b64 exec, exec, s[8:9]
	v_cmp_gt_u32_e32 vcc, 2, v8
	s_waitcnt lgkmcnt(1)
	v_cndmask_b32_e64 v4, 0, 1, vcc
	v_lshlrev_b32_e32 v4, 1, v4
	s_waitcnt lgkmcnt(0)
	v_add_lshl_u32 v5, v4, v1, 2
	ds_bpermute_b32 v1, v5, v6
	ds_bpermute_b32 v4, v5, v2
	;; [unrolled: 1-line block ×3, first 2 shown]
	v_add_u32_e32 v8, 2, v8
	v_cmp_gt_u32_e32 vcc, s12, v8
	s_and_saveexec_b64 s[8:9], vcc
	s_cbranch_execz .LBB65_181
; %bb.180:
	s_waitcnt lgkmcnt(2)
	v_and_b32_e32 v8, 1, v1
	s_waitcnt lgkmcnt(0)
	v_cmp_lt_i64_e32 vcc, v[4:5], v[2:3]
	v_cmp_eq_u32_e64 s[0:1], 1, v8
	v_and_b32_e32 v6, 1, v7
	s_and_b64 vcc, s[0:1], vcc
	v_cndmask_b32_e64 v7, v7, 1, s[0:1]
	v_cndmask_b32_e32 v2, v2, v4, vcc
	v_cndmask_b32_e32 v3, v3, v5, vcc
	v_cmp_eq_u32_e32 vcc, 1, v6
	v_cndmask_b32_e32 v1, v1, v7, vcc
	v_cndmask_b32_e32 v3, v5, v3, vcc
	v_cndmask_b32_e32 v2, v4, v2, vcc
	v_and_b32_e32 v6, 0xff, v1
.LBB65_181:
	s_or_b64 exec, exec, s[8:9]
.LBB65_182:
	s_or_b64 exec, exec, s[2:3]
.LBB65_183:
	v_cmp_eq_u32_e32 vcc, 0, v0
                                        ; implicit-def: $vgpr4_vgpr5
                                        ; implicit-def: $vgpr1
	s_and_saveexec_b64 s[0:1], vcc
	s_xor_b64 s[8:9], exec, s[0:1]
	s_cbranch_execz .LBB65_187
; %bb.184:
	s_cmp_eq_u64 s[22:23], 0
	s_waitcnt lgkmcnt(0)
	v_pk_mov_b32 v[4:5], s[18:19], s[18:19] op_sel:[0,1]
	v_mov_b32_e32 v1, s30
	s_cbranch_scc1 .LBB65_186
; %bb.185:
	v_and_b32_e32 v1, 1, v6
	s_bitcmp1_b32 s30, 0
	v_mov_b32_e32 v4, s30
	v_cmp_eq_u32_e32 vcc, 1, v1
	v_cmp_gt_i64_e64 s[2:3], s[18:19], v[2:3]
	v_cndmask_b32_e64 v1, v4, 1, vcc
	s_cselect_b64 s[0:1], -1, 0
	v_mov_b32_e32 v4, s18
	s_and_b64 vcc, vcc, s[2:3]
	v_mov_b32_e32 v5, s19
	v_cndmask_b32_e32 v4, v4, v2, vcc
	v_cndmask_b32_e32 v5, v5, v3, vcc
	v_cndmask_b32_e64 v1, v6, v1, s[0:1]
	v_cndmask_b32_e64 v5, v3, v5, s[0:1]
	;; [unrolled: 1-line block ×3, first 2 shown]
.LBB65_186:
	s_or_b64 s[10:11], s[10:11], exec
.LBB65_187:
	s_or_b64 exec, exec, s[8:9]
	s_branch .LBB65_208
.LBB65_188:
	s_cmp_eq_u32 s33, 1
	s_cbranch_scc0 .LBB65_207
; %bb.189:
	s_lshl_b32 s8, s6, 8
	s_mov_b32 s7, 0
	s_lshr_b64 s[0:1], s[22:23], 8
	s_cmp_lg_u64 s[0:1], s[6:7]
	s_cbranch_scc0 .LBB65_211
; %bb.190:
	s_add_u32 s0, s24, s8
	s_addc_u32 s1, s25, 0
	s_waitcnt lgkmcnt(2)
	global_load_ubyte v1, v0, s[0:1]
	s_add_u32 s0, s20, s8
	s_addc_u32 s1, s21, 0
	v_mov_b32_e32 v3, s1
	v_add_co_u32_e32 v2, vcc, s0, v0
	v_addc_co_u32_e32 v3, vcc, 0, v3, vcc
	s_waitcnt lgkmcnt(1)
	v_mov_b32_dpp v4, v2 quad_perm:[1,0,3,2] row_mask:0xf bank_mask:0xf bound_ctrl:1
	s_waitcnt lgkmcnt(0)
	v_mov_b32_dpp v5, v3 quad_perm:[1,0,3,2] row_mask:0xf bank_mask:0xf bound_ctrl:1
	s_waitcnt vmcnt(0)
	v_cmp_ne_u16_e32 vcc, 0, v1
	v_cndmask_b32_e64 v1, 0, 1, vcc
	v_cmp_eq_u16_sdwa s[2:3], s31, v1 src0_sel:BYTE_0 src1_sel:DWORD
	v_cndmask_b32_e64 v1, 0, 1, s[2:3]
	v_cndmask_b32_e64 v6, 0, 1, s[2:3]
	s_nop 0
	v_mov_b32_dpp v1, v1 quad_perm:[1,0,3,2] row_mask:0xf bank_mask:0xf bound_ctrl:1
	v_and_b32_e32 v7, 1, v1
	v_cmp_eq_u32_e32 vcc, 1, v7
	s_and_saveexec_b64 s[0:1], vcc
; %bb.191:
	v_cmp_lt_i64_e32 vcc, v[2:3], v[4:5]
	s_and_b64 vcc, s[2:3], vcc
	v_cndmask_b32_e64 v6, v1, 1, s[2:3]
	v_cndmask_b32_e32 v3, v5, v3, vcc
	v_cndmask_b32_e32 v2, v4, v2, vcc
; %bb.192:
	s_or_b64 exec, exec, s[0:1]
	v_and_b32_e32 v1, 0xff, v6
	v_and_b32_e32 v6, 1, v6
	v_mov_b32_dpp v4, v2 quad_perm:[2,3,0,1] row_mask:0xf bank_mask:0xf bound_ctrl:1
	v_mov_b32_dpp v7, v1 quad_perm:[2,3,0,1] row_mask:0xf bank_mask:0xf bound_ctrl:1
	v_and_b32_e32 v8, 1, v7
	v_mov_b32_dpp v5, v3 quad_perm:[2,3,0,1] row_mask:0xf bank_mask:0xf bound_ctrl:1
	v_cmp_eq_u32_e32 vcc, 1, v8
	v_cmp_eq_u32_e64 s[0:1], 1, v6
	s_and_saveexec_b64 s[2:3], vcc
; %bb.193:
	v_cmp_lt_i64_e32 vcc, v[2:3], v[4:5]
	v_cndmask_b32_e64 v6, v7, 1, s[0:1]
	s_and_b64 vcc, s[0:1], vcc
	v_cndmask_b32_e32 v2, v4, v2, vcc
	v_and_b32_e32 v4, 1, v6
	v_cndmask_b32_e32 v3, v5, v3, vcc
	v_cmp_eq_u32_e32 vcc, 1, v4
	s_andn2_b64 s[0:1], s[0:1], exec
	s_and_b64 s[12:13], vcc, exec
	v_and_b32_e32 v1, 0xff, v6
	s_or_b64 s[0:1], s[0:1], s[12:13]
; %bb.194:
	s_or_b64 exec, exec, s[2:3]
	v_mov_b32_dpp v6, v1 row_ror:4 row_mask:0xf bank_mask:0xf bound_ctrl:1
	v_and_b32_e32 v7, 1, v6
	v_mov_b32_dpp v4, v2 row_ror:4 row_mask:0xf bank_mask:0xf bound_ctrl:1
	v_mov_b32_dpp v5, v3 row_ror:4 row_mask:0xf bank_mask:0xf bound_ctrl:1
	v_cmp_eq_u32_e32 vcc, 1, v7
	s_and_saveexec_b64 s[2:3], vcc
; %bb.195:
	v_cmp_lt_i64_e32 vcc, v[2:3], v[4:5]
	v_cndmask_b32_e64 v6, v6, 1, s[0:1]
	s_and_b64 vcc, s[0:1], vcc
	v_cndmask_b32_e32 v2, v4, v2, vcc
	v_and_b32_e32 v4, 1, v6
	v_cndmask_b32_e32 v3, v5, v3, vcc
	v_cmp_eq_u32_e32 vcc, 1, v4
	s_andn2_b64 s[0:1], s[0:1], exec
	s_and_b64 s[12:13], vcc, exec
	v_and_b32_e32 v1, 0xff, v6
	s_or_b64 s[0:1], s[0:1], s[12:13]
; %bb.196:
	s_or_b64 exec, exec, s[2:3]
	v_mov_b32_dpp v6, v1 row_ror:8 row_mask:0xf bank_mask:0xf bound_ctrl:1
	v_and_b32_e32 v7, 1, v6
	v_mov_b32_dpp v4, v2 row_ror:8 row_mask:0xf bank_mask:0xf bound_ctrl:1
	v_mov_b32_dpp v5, v3 row_ror:8 row_mask:0xf bank_mask:0xf bound_ctrl:1
	v_cmp_eq_u32_e32 vcc, 1, v7
	s_and_saveexec_b64 s[2:3], vcc
; %bb.197:
	v_cmp_lt_i64_e32 vcc, v[2:3], v[4:5]
	v_cndmask_b32_e64 v6, v6, 1, s[0:1]
	s_and_b64 vcc, s[0:1], vcc
	v_cndmask_b32_e32 v2, v4, v2, vcc
	v_and_b32_e32 v4, 1, v6
	v_cndmask_b32_e32 v3, v5, v3, vcc
	v_cmp_eq_u32_e32 vcc, 1, v4
	s_andn2_b64 s[0:1], s[0:1], exec
	s_and_b64 s[12:13], vcc, exec
	v_and_b32_e32 v1, 0xff, v6
	s_or_b64 s[0:1], s[0:1], s[12:13]
; %bb.198:
	s_or_b64 exec, exec, s[2:3]
	v_mov_b32_dpp v6, v1 row_bcast:15 row_mask:0xf bank_mask:0xf bound_ctrl:1
	v_and_b32_e32 v7, 1, v6
	v_mov_b32_dpp v4, v2 row_bcast:15 row_mask:0xf bank_mask:0xf bound_ctrl:1
	v_mov_b32_dpp v5, v3 row_bcast:15 row_mask:0xf bank_mask:0xf bound_ctrl:1
	v_cmp_eq_u32_e32 vcc, 1, v7
	s_and_saveexec_b64 s[2:3], vcc
; %bb.199:
	v_cmp_lt_i64_e32 vcc, v[2:3], v[4:5]
	v_cndmask_b32_e64 v6, v6, 1, s[0:1]
	s_and_b64 vcc, s[0:1], vcc
	v_cndmask_b32_e32 v2, v4, v2, vcc
	v_and_b32_e32 v4, 1, v6
	v_cndmask_b32_e32 v3, v5, v3, vcc
	v_cmp_eq_u32_e32 vcc, 1, v4
	s_andn2_b64 s[0:1], s[0:1], exec
	s_and_b64 s[12:13], vcc, exec
	v_and_b32_e32 v1, 0xff, v6
	s_or_b64 s[0:1], s[0:1], s[12:13]
; %bb.200:
	s_or_b64 exec, exec, s[2:3]
	v_mov_b32_dpp v6, v1 row_bcast:31 row_mask:0xf bank_mask:0xf bound_ctrl:1
	v_and_b32_e32 v7, 1, v6
	v_mov_b32_dpp v4, v2 row_bcast:31 row_mask:0xf bank_mask:0xf bound_ctrl:1
	v_mov_b32_dpp v5, v3 row_bcast:31 row_mask:0xf bank_mask:0xf bound_ctrl:1
	v_cmp_eq_u32_e32 vcc, 1, v7
	s_and_saveexec_b64 s[2:3], vcc
; %bb.201:
	v_cmp_lt_i64_e32 vcc, v[2:3], v[4:5]
	v_and_b32_e32 v1, 0xff, v6
	s_and_b64 vcc, s[0:1], vcc
	v_cndmask_b32_e32 v2, v4, v2, vcc
	v_cndmask_b32_e32 v3, v5, v3, vcc
	v_cndmask_b32_e64 v1, v1, 1, s[0:1]
; %bb.202:
	s_or_b64 exec, exec, s[2:3]
	v_mbcnt_lo_u32_b32 v4, -1, 0
	v_mbcnt_hi_u32_b32 v4, -1, v4
	v_bfrev_b32_e32 v5, 0.5
	v_lshl_or_b32 v5, v4, 2, v5
	ds_bpermute_b32 v6, v5, v1
	ds_bpermute_b32 v2, v5, v2
	;; [unrolled: 1-line block ×3, first 2 shown]
	v_cmp_eq_u32_e32 vcc, 0, v4
	s_and_saveexec_b64 s[0:1], vcc
	s_cbranch_execz .LBB65_204
; %bb.203:
	v_lshrrev_b32_e32 v1, 2, v0
	v_and_b32_e32 v1, 48, v1
	s_waitcnt lgkmcnt(2)
	ds_write_b8 v1, v6
	s_waitcnt lgkmcnt(1)
	ds_write_b64 v1, v[2:3] offset:8
.LBB65_204:
	s_or_b64 exec, exec, s[0:1]
	v_cmp_gt_u32_e32 vcc, 64, v0
	s_waitcnt lgkmcnt(0)
	s_barrier
	s_and_saveexec_b64 s[2:3], vcc
	s_cbranch_execz .LBB65_206
; %bb.205:
	v_and_b32_e32 v1, 3, v4
	v_lshlrev_b32_e32 v2, 4, v1
	ds_read_u8 v5, v2
	ds_read_b64 v[2:3], v2 offset:8
	v_cmp_ne_u32_e32 vcc, 3, v1
	v_addc_co_u32_e32 v6, vcc, 0, v4, vcc
	s_waitcnt lgkmcnt(1)
	v_and_b32_e32 v7, 0xff, v5
	v_lshlrev_b32_e32 v8, 2, v6
	ds_bpermute_b32 v9, v8, v7
	s_waitcnt lgkmcnt(1)
	ds_bpermute_b32 v6, v8, v2
	ds_bpermute_b32 v7, v8, v3
	v_and_b32_e32 v8, 1, v5
	s_waitcnt lgkmcnt(2)
	v_and_b32_e32 v10, 1, v9
	v_cmp_eq_u32_e64 s[0:1], 1, v10
	s_waitcnt lgkmcnt(0)
	v_cmp_lt_i64_e32 vcc, v[6:7], v[2:3]
	s_and_b64 vcc, s[0:1], vcc
	v_cndmask_b32_e64 v5, v5, 1, s[0:1]
	v_cndmask_b32_e32 v2, v2, v6, vcc
	v_cndmask_b32_e32 v3, v3, v7, vcc
	v_cmp_eq_u32_e32 vcc, 1, v8
	v_cndmask_b32_e32 v8, v9, v5, vcc
	v_cndmask_b32_e32 v3, v7, v3, vcc
	;; [unrolled: 1-line block ×3, first 2 shown]
	v_cmp_gt_u32_e32 vcc, 2, v1
	v_cndmask_b32_e64 v1, 0, 1, vcc
	v_lshlrev_b32_e32 v1, 1, v1
	v_and_b32_e32 v5, 0xff, v8
	v_add_lshl_u32 v1, v1, v4, 2
	ds_bpermute_b32 v6, v1, v5
	ds_bpermute_b32 v4, v1, v2
	;; [unrolled: 1-line block ×3, first 2 shown]
	v_and_b32_e32 v1, 1, v8
	s_waitcnt lgkmcnt(2)
	v_and_b32_e32 v7, 1, v6
	v_cmp_eq_u32_e64 s[0:1], 1, v7
	s_waitcnt lgkmcnt(0)
	v_cmp_lt_i64_e32 vcc, v[4:5], v[2:3]
	s_and_b64 vcc, s[0:1], vcc
	v_cndmask_b32_e64 v7, v8, 1, s[0:1]
	v_cndmask_b32_e32 v2, v2, v4, vcc
	v_cndmask_b32_e32 v3, v3, v5, vcc
	v_cmp_eq_u32_e32 vcc, 1, v1
	v_cndmask_b32_e32 v1, v6, v7, vcc
	v_cndmask_b32_e32 v3, v5, v3, vcc
	;; [unrolled: 1-line block ×3, first 2 shown]
	v_and_b32_e32 v6, 0xff, v1
.LBB65_206:
	s_or_b64 exec, exec, s[2:3]
	s_branch .LBB65_235
.LBB65_207:
                                        ; implicit-def: $vgpr4_vgpr5
                                        ; implicit-def: $vgpr1
                                        ; implicit-def: $sgpr6_sgpr7
.LBB65_208:
	s_and_saveexec_b64 s[0:1], s[10:11]
	s_cbranch_execz .LBB65_210
.LBB65_209:
	s_load_dwordx2 s[0:1], s[4:5], 0x28
	s_lshl_b64 s[2:3], s[6:7], 4
	v_mov_b32_e32 v0, 0
	s_waitcnt lgkmcnt(0)
	s_add_u32 s0, s0, s2
	s_addc_u32 s1, s1, s3
	global_store_byte v0, v1, s[0:1]
	global_store_dwordx2 v0, v[4:5], s[0:1] offset:8
.LBB65_210:
	s_endpgm
.LBB65_211:
                                        ; implicit-def: $vgpr2_vgpr3
                                        ; implicit-def: $vgpr6
	s_cbranch_execz .LBB65_235
; %bb.212:
	s_sub_i32 s2, s22, s8
	v_cmp_gt_u32_e32 vcc, s2, v0
	v_pk_mov_b32 v[2:3], 0, 0
	v_mov_b32_e32 v7, 0
	s_and_saveexec_b64 s[0:1], vcc
	s_cbranch_execz .LBB65_214
; %bb.213:
	s_add_u32 s12, s24, s8
	s_addc_u32 s13, s25, 0
	s_waitcnt lgkmcnt(2)
	global_load_ubyte v1, v0, s[12:13]
	s_add_u32 s3, s20, s8
	s_addc_u32 s8, s21, 0
	v_mov_b32_e32 v3, s8
	v_add_co_u32_e32 v2, vcc, s3, v0
	v_addc_co_u32_e32 v3, vcc, 0, v3, vcc
	s_waitcnt vmcnt(0)
	v_cmp_ne_u16_e32 vcc, 0, v1
	v_cndmask_b32_e64 v1, 0, 1, vcc
	v_cmp_eq_u16_sdwa s[8:9], s31, v1 src0_sel:BYTE_0 src1_sel:DWORD
	v_cndmask_b32_e64 v7, 0, 1, s[8:9]
.LBB65_214:
	s_or_b64 exec, exec, s[0:1]
	s_waitcnt lgkmcnt(2)
	v_mbcnt_lo_u32_b32 v1, -1, 0
	v_mbcnt_hi_u32_b32 v1, -1, v1
	v_and_b32_e32 v8, 63, v1
	v_cmp_ne_u32_e32 vcc, 63, v8
	s_waitcnt lgkmcnt(1)
	v_addc_co_u32_e32 v4, vcc, 0, v1, vcc
	v_and_b32_e32 v6, 0xffff, v7
	s_waitcnt lgkmcnt(0)
	v_lshlrev_b32_e32 v5, 2, v4
	ds_bpermute_b32 v10, v5, v6
	ds_bpermute_b32 v4, v5, v2
	;; [unrolled: 1-line block ×3, first 2 shown]
	s_min_u32 s8, s2, 0x100
	v_and_b32_e32 v9, 0xc0, v0
	v_sub_u32_e64 v9, s8, v9 clamp
	v_add_u32_e32 v11, 1, v8
	v_cmp_lt_u32_e32 vcc, v11, v9
	s_and_saveexec_b64 s[2:3], vcc
	s_cbranch_execz .LBB65_216
; %bb.215:
	s_waitcnt lgkmcnt(2)
	v_and_b32_e32 v11, 1, v10
	s_waitcnt lgkmcnt(0)
	v_cmp_lt_i64_e32 vcc, v[4:5], v[2:3]
	v_cmp_eq_u32_e64 s[0:1], 1, v11
	v_and_b32_e32 v6, 1, v7
	s_and_b64 vcc, s[0:1], vcc
	v_cndmask_b32_e64 v7, v7, 1, s[0:1]
	v_cndmask_b32_e32 v2, v2, v4, vcc
	v_cndmask_b32_e32 v3, v3, v5, vcc
	v_cmp_eq_u32_e32 vcc, 1, v6
	v_cndmask_b32_e32 v7, v10, v7, vcc
	v_cndmask_b32_e32 v3, v5, v3, vcc
	v_cndmask_b32_e32 v2, v4, v2, vcc
	v_and_b32_e32 v6, 0xff, v7
.LBB65_216:
	s_or_b64 exec, exec, s[2:3]
	v_cmp_gt_u32_e32 vcc, 62, v8
	s_waitcnt lgkmcnt(1)
	v_cndmask_b32_e64 v4, 0, 1, vcc
	v_lshlrev_b32_e32 v4, 1, v4
	s_waitcnt lgkmcnt(0)
	v_add_lshl_u32 v5, v4, v1, 2
	ds_bpermute_b32 v10, v5, v6
	ds_bpermute_b32 v4, v5, v2
	ds_bpermute_b32 v5, v5, v3
	v_add_u32_e32 v11, 2, v8
	v_cmp_lt_u32_e32 vcc, v11, v9
	s_and_saveexec_b64 s[2:3], vcc
	s_cbranch_execz .LBB65_218
; %bb.217:
	s_waitcnt lgkmcnt(2)
	v_and_b32_e32 v11, 1, v10
	s_waitcnt lgkmcnt(0)
	v_cmp_lt_i64_e32 vcc, v[4:5], v[2:3]
	v_cmp_eq_u32_e64 s[0:1], 1, v11
	v_and_b32_e32 v6, 1, v7
	s_and_b64 vcc, s[0:1], vcc
	v_cndmask_b32_e64 v7, v7, 1, s[0:1]
	v_cndmask_b32_e32 v2, v2, v4, vcc
	v_cndmask_b32_e32 v3, v3, v5, vcc
	v_cmp_eq_u32_e32 vcc, 1, v6
	v_cndmask_b32_e32 v7, v10, v7, vcc
	v_cndmask_b32_e32 v3, v5, v3, vcc
	v_cndmask_b32_e32 v2, v4, v2, vcc
	v_and_b32_e32 v6, 0xff, v7
.LBB65_218:
	s_or_b64 exec, exec, s[2:3]
	v_cmp_gt_u32_e32 vcc, 60, v8
	s_waitcnt lgkmcnt(1)
	v_cndmask_b32_e64 v4, 0, 1, vcc
	v_lshlrev_b32_e32 v4, 2, v4
	s_waitcnt lgkmcnt(0)
	v_add_lshl_u32 v5, v4, v1, 2
	ds_bpermute_b32 v10, v5, v6
	ds_bpermute_b32 v4, v5, v2
	ds_bpermute_b32 v5, v5, v3
	;; [unrolled: 31-line block ×5, first 2 shown]
	v_add_u32_e32 v8, 32, v8
	v_cmp_lt_u32_e32 vcc, v8, v9
	s_and_saveexec_b64 s[2:3], vcc
	s_cbranch_execz .LBB65_226
; %bb.225:
	s_waitcnt lgkmcnt(2)
	v_and_b32_e32 v8, 1, v10
	s_waitcnt lgkmcnt(0)
	v_cmp_lt_i64_e32 vcc, v[4:5], v[2:3]
	v_cmp_eq_u32_e64 s[0:1], 1, v8
	v_and_b32_e32 v6, 1, v7
	s_and_b64 vcc, s[0:1], vcc
	v_cndmask_b32_e64 v7, v7, 1, s[0:1]
	v_cndmask_b32_e32 v2, v2, v4, vcc
	v_cndmask_b32_e32 v3, v3, v5, vcc
	v_cmp_eq_u32_e32 vcc, 1, v6
	v_cndmask_b32_e32 v7, v10, v7, vcc
	v_cndmask_b32_e32 v3, v5, v3, vcc
	;; [unrolled: 1-line block ×3, first 2 shown]
	v_and_b32_e32 v6, 0xff, v7
.LBB65_226:
	s_or_b64 exec, exec, s[2:3]
	v_cmp_eq_u32_e32 vcc, 0, v1
	s_and_saveexec_b64 s[0:1], vcc
	s_cbranch_execz .LBB65_228
; %bb.227:
	s_waitcnt lgkmcnt(1)
	v_lshrrev_b32_e32 v4, 2, v0
	v_and_b32_e32 v4, 48, v4
	ds_write_b8 v4, v7 offset:256
	ds_write_b64 v4, v[2:3] offset:264
.LBB65_228:
	s_or_b64 exec, exec, s[0:1]
	v_cmp_gt_u32_e32 vcc, 4, v0
	s_waitcnt lgkmcnt(0)
	s_barrier
	s_and_saveexec_b64 s[2:3], vcc
	s_cbranch_execz .LBB65_234
; %bb.229:
	v_lshlrev_b32_e32 v2, 4, v1
	ds_read_u8 v7, v2 offset:256
	ds_read_b64 v[2:3], v2 offset:264
	v_and_b32_e32 v8, 3, v1
	v_cmp_ne_u32_e32 vcc, 3, v8
	v_addc_co_u32_e32 v4, vcc, 0, v1, vcc
	s_waitcnt lgkmcnt(1)
	v_and_b32_e32 v6, 0xff, v7
	v_lshlrev_b32_e32 v5, 2, v4
	ds_bpermute_b32 v9, v5, v6
	s_waitcnt lgkmcnt(1)
	ds_bpermute_b32 v4, v5, v2
	ds_bpermute_b32 v5, v5, v3
	s_add_i32 s8, s8, 63
	s_lshr_b32 s12, s8, 6
	v_add_u32_e32 v10, 1, v8
	v_cmp_gt_u32_e32 vcc, s12, v10
	s_and_saveexec_b64 s[8:9], vcc
	s_cbranch_execz .LBB65_231
; %bb.230:
	s_waitcnt lgkmcnt(2)
	v_and_b32_e32 v10, 1, v9
	s_waitcnt lgkmcnt(0)
	v_cmp_lt_i64_e32 vcc, v[4:5], v[2:3]
	v_cmp_eq_u32_e64 s[0:1], 1, v10
	v_and_b32_e32 v6, 1, v7
	s_and_b64 vcc, s[0:1], vcc
	v_cndmask_b32_e64 v7, v7, 1, s[0:1]
	v_cndmask_b32_e32 v2, v2, v4, vcc
	v_cndmask_b32_e32 v3, v3, v5, vcc
	v_cmp_eq_u32_e32 vcc, 1, v6
	v_cndmask_b32_e32 v7, v9, v7, vcc
	v_cndmask_b32_e32 v3, v5, v3, vcc
	v_cndmask_b32_e32 v2, v4, v2, vcc
	v_and_b32_e32 v6, 0xff, v7
.LBB65_231:
	s_or_b64 exec, exec, s[8:9]
	v_cmp_gt_u32_e32 vcc, 2, v8
	s_waitcnt lgkmcnt(1)
	v_cndmask_b32_e64 v4, 0, 1, vcc
	v_lshlrev_b32_e32 v4, 1, v4
	s_waitcnt lgkmcnt(0)
	v_add_lshl_u32 v5, v4, v1, 2
	ds_bpermute_b32 v1, v5, v6
	ds_bpermute_b32 v4, v5, v2
	;; [unrolled: 1-line block ×3, first 2 shown]
	v_add_u32_e32 v8, 2, v8
	v_cmp_gt_u32_e32 vcc, s12, v8
	s_and_saveexec_b64 s[8:9], vcc
	s_cbranch_execz .LBB65_233
; %bb.232:
	s_waitcnt lgkmcnt(2)
	v_and_b32_e32 v8, 1, v1
	s_waitcnt lgkmcnt(0)
	v_cmp_lt_i64_e32 vcc, v[4:5], v[2:3]
	v_cmp_eq_u32_e64 s[0:1], 1, v8
	v_and_b32_e32 v6, 1, v7
	s_and_b64 vcc, s[0:1], vcc
	v_cndmask_b32_e64 v7, v7, 1, s[0:1]
	v_cndmask_b32_e32 v2, v2, v4, vcc
	v_cndmask_b32_e32 v3, v3, v5, vcc
	v_cmp_eq_u32_e32 vcc, 1, v6
	v_cndmask_b32_e32 v1, v1, v7, vcc
	v_cndmask_b32_e32 v3, v5, v3, vcc
	;; [unrolled: 1-line block ×3, first 2 shown]
	v_and_b32_e32 v6, 0xff, v1
.LBB65_233:
	s_or_b64 exec, exec, s[8:9]
.LBB65_234:
	s_or_b64 exec, exec, s[2:3]
.LBB65_235:
	v_cmp_eq_u32_e32 vcc, 0, v0
                                        ; implicit-def: $vgpr4_vgpr5
                                        ; implicit-def: $vgpr1
	s_and_saveexec_b64 s[8:9], vcc
	s_cbranch_execz .LBB65_239
; %bb.236:
	s_cmp_eq_u64 s[22:23], 0
	s_waitcnt lgkmcnt(0)
	v_pk_mov_b32 v[4:5], s[18:19], s[18:19] op_sel:[0,1]
	v_mov_b32_e32 v1, s30
	s_cbranch_scc1 .LBB65_238
; %bb.237:
	v_and_b32_e32 v0, 1, v6
	s_bitcmp1_b32 s30, 0
	v_mov_b32_e32 v1, s30
	v_cmp_eq_u32_e32 vcc, 1, v0
	v_cmp_gt_i64_e64 s[2:3], s[18:19], v[2:3]
	v_cndmask_b32_e64 v0, v1, 1, vcc
	s_cselect_b64 s[0:1], -1, 0
	v_mov_b32_e32 v1, s18
	s_and_b64 vcc, vcc, s[2:3]
	v_cndmask_b32_e32 v4, v1, v2, vcc
	v_mov_b32_e32 v1, s19
	v_cndmask_b32_e32 v5, v1, v3, vcc
	v_cndmask_b32_e64 v1, v6, v0, s[0:1]
	v_cndmask_b32_e64 v5, v3, v5, s[0:1]
	;; [unrolled: 1-line block ×3, first 2 shown]
.LBB65_238:
	s_or_b64 s[10:11], s[10:11], exec
.LBB65_239:
	s_or_b64 exec, exec, s[8:9]
	s_and_saveexec_b64 s[0:1], s[10:11]
	s_cbranch_execnz .LBB65_209
	s_branch .LBB65_210
.LBB65_240:
	global_load_ubyte v18, v0, s[16:17] offset:1792
	v_mov_b32_e32 v5, s35
	v_add_co_u32_e64 v4, s[16:17], s34, v25
	v_addc_co_u32_e64 v5, s[16:17], 0, v5, s[16:17]
	s_waitcnt vmcnt(0)
	v_cmp_ne_u16_e64 s[16:17], 0, v18
	v_cndmask_b32_e64 v18, 0, 1, s[16:17]
	v_cmp_eq_u16_sdwa s[16:17], s31, v18 src0_sel:BYTE_0 src1_sel:DWORD
	v_cndmask_b32_e64 v18, 0, 1, s[16:17]
	s_or_b64 exec, exec, s[28:29]
	s_and_saveexec_b64 s[28:29], s[14:15]
	s_cbranch_execz .LBB65_61
.LBB65_241:
	v_and_b32_e32 v26, 1, v21
	v_cmp_lt_i64_e64 s[14:15], v[10:11], v[2:3]
	v_cmp_eq_u32_e64 s[16:17], 1, v26
	v_and_b32_e32 v25, 1, v1
	s_and_b64 s[14:15], s[16:17], s[14:15]
	v_cndmask_b32_e64 v1, v1, 1, s[16:17]
	v_cndmask_b32_e64 v2, v2, v10, s[14:15]
	v_cndmask_b32_e64 v3, v3, v11, s[14:15]
	v_cmp_eq_u32_e64 s[14:15], 1, v25
	v_cndmask_b32_e64 v1, v21, v1, s[14:15]
	v_cndmask_b32_e64 v3, v11, v3, s[14:15]
	;; [unrolled: 1-line block ×3, first 2 shown]
	s_or_b64 exec, exec, s[28:29]
	s_and_saveexec_b64 s[16:17], s[10:11]
	s_cbranch_execz .LBB65_62
.LBB65_242:
	v_and_b32_e32 v11, 1, v24
	v_cmp_lt_i64_e64 s[10:11], v[16:17], v[2:3]
	v_cmp_eq_u32_e64 s[14:15], 1, v11
	v_and_b32_e32 v10, 1, v1
	s_and_b64 s[10:11], s[14:15], s[10:11]
	v_cndmask_b32_e64 v1, v1, 1, s[14:15]
	v_cndmask_b32_e64 v2, v2, v16, s[10:11]
	;; [unrolled: 1-line block ×3, first 2 shown]
	v_cmp_eq_u32_e64 s[10:11], 1, v10
	v_cndmask_b32_e64 v1, v24, v1, s[10:11]
	v_cndmask_b32_e64 v3, v17, v3, s[10:11]
	;; [unrolled: 1-line block ×3, first 2 shown]
	s_or_b64 exec, exec, s[16:17]
	s_and_saveexec_b64 s[14:15], s[12:13]
	s_cbranch_execz .LBB65_63
.LBB65_243:
	v_and_b32_e32 v11, 1, v20
	v_cmp_lt_i64_e64 s[10:11], v[8:9], v[2:3]
	v_cmp_eq_u32_e64 s[12:13], 1, v11
	v_and_b32_e32 v10, 1, v1
	s_and_b64 s[10:11], s[12:13], s[10:11]
	v_cndmask_b32_e64 v1, v1, 1, s[12:13]
	v_cndmask_b32_e64 v2, v2, v8, s[10:11]
	;; [unrolled: 1-line block ×3, first 2 shown]
	v_cmp_eq_u32_e64 s[10:11], 1, v10
	v_cndmask_b32_e64 v1, v20, v1, s[10:11]
	v_cndmask_b32_e64 v3, v9, v3, s[10:11]
	;; [unrolled: 1-line block ×3, first 2 shown]
	s_or_b64 exec, exec, s[14:15]
	s_and_saveexec_b64 s[12:13], s[2:3]
	s_cbranch_execz .LBB65_64
.LBB65_244:
	v_and_b32_e32 v9, 1, v23
	v_cmp_lt_i64_e64 s[2:3], v[14:15], v[2:3]
	v_cmp_eq_u32_e64 s[10:11], 1, v9
	v_and_b32_e32 v8, 1, v1
	s_and_b64 s[2:3], s[10:11], s[2:3]
	v_cndmask_b32_e64 v1, v1, 1, s[10:11]
	v_cndmask_b32_e64 v2, v2, v14, s[2:3]
	;; [unrolled: 1-line block ×3, first 2 shown]
	v_cmp_eq_u32_e64 s[2:3], 1, v8
	v_cndmask_b32_e64 v1, v23, v1, s[2:3]
	v_cndmask_b32_e64 v3, v15, v3, s[2:3]
	;; [unrolled: 1-line block ×3, first 2 shown]
	s_or_b64 exec, exec, s[12:13]
	s_and_saveexec_b64 s[10:11], s[8:9]
	s_cbranch_execz .LBB65_65
.LBB65_245:
	v_and_b32_e32 v9, 1, v19
	v_cmp_lt_i64_e64 s[2:3], v[6:7], v[2:3]
	v_cmp_eq_u32_e64 s[8:9], 1, v9
	v_and_b32_e32 v8, 1, v1
	s_and_b64 s[2:3], s[8:9], s[2:3]
	v_cndmask_b32_e64 v1, v1, 1, s[8:9]
	v_cndmask_b32_e64 v2, v2, v6, s[2:3]
	;; [unrolled: 1-line block ×3, first 2 shown]
	v_cmp_eq_u32_e64 s[2:3], 1, v8
	v_cndmask_b32_e64 v1, v19, v1, s[2:3]
	v_cndmask_b32_e64 v3, v7, v3, s[2:3]
	v_cndmask_b32_e64 v2, v6, v2, s[2:3]
	s_or_b64 exec, exec, s[10:11]
	s_and_saveexec_b64 s[8:9], vcc
	s_cbranch_execz .LBB65_66
.LBB65_246:
	v_and_b32_e32 v7, 1, v22
	v_cmp_lt_i64_e32 vcc, v[12:13], v[2:3]
	v_cmp_eq_u32_e64 s[2:3], 1, v7
	v_and_b32_e32 v6, 1, v1
	s_and_b64 vcc, s[2:3], vcc
	v_cndmask_b32_e64 v1, v1, 1, s[2:3]
	v_cndmask_b32_e32 v2, v2, v12, vcc
	v_cndmask_b32_e32 v3, v3, v13, vcc
	v_cmp_eq_u32_e32 vcc, 1, v6
	v_cndmask_b32_e32 v1, v22, v1, vcc
	v_cndmask_b32_e32 v3, v13, v3, vcc
	;; [unrolled: 1-line block ×3, first 2 shown]
	s_or_b64 exec, exec, s[8:9]
	s_and_saveexec_b64 s[2:3], s[0:1]
	s_cbranch_execnz .LBB65_67
	s_branch .LBB65_68
.LBB65_247:
	global_load_ubyte v1, v0, s[8:9] offset:768
	v_mov_b32_e32 v5, s15
	v_add_co_u32_e64 v4, s[8:9], s14, v13
	v_addc_co_u32_e64 v5, s[8:9], 0, v5, s[8:9]
	s_waitcnt vmcnt(0)
	v_cmp_ne_u16_e64 s[8:9], 0, v1
	v_cndmask_b32_e64 v1, 0, 1, s[8:9]
	v_cmp_eq_u16_sdwa s[8:9], s31, v1 src0_sel:BYTE_0 src1_sel:DWORD
	v_cndmask_b32_e64 v1, 0, 1, s[8:9]
	s_or_b64 exec, exec, s[12:13]
	s_and_saveexec_b64 s[12:13], s[2:3]
	s_cbranch_execz .LBB65_104
.LBB65_248:
	v_and_b32_e32 v14, 1, v11
	v_cmp_lt_i64_e64 s[2:3], v[6:7], v[2:3]
	v_cmp_eq_u32_e64 s[8:9], 1, v14
	v_and_b32_e32 v13, 1, v10
	s_and_b64 s[2:3], s[8:9], s[2:3]
	v_cndmask_b32_e64 v10, v10, 1, s[8:9]
	v_cndmask_b32_e64 v2, v2, v6, s[2:3]
	;; [unrolled: 1-line block ×3, first 2 shown]
	v_cmp_eq_u32_e64 s[2:3], 1, v13
	v_cndmask_b32_e64 v10, v11, v10, s[2:3]
	v_cndmask_b32_e64 v3, v7, v3, s[2:3]
	;; [unrolled: 1-line block ×3, first 2 shown]
	s_or_b64 exec, exec, s[12:13]
	s_and_saveexec_b64 s[8:9], vcc
	s_cbranch_execz .LBB65_105
.LBB65_249:
	v_and_b32_e32 v7, 1, v12
	v_cmp_lt_i64_e32 vcc, v[8:9], v[2:3]
	v_cmp_eq_u32_e64 s[2:3], 1, v7
	v_and_b32_e32 v6, 1, v10
	s_and_b64 vcc, s[2:3], vcc
	v_cndmask_b32_e64 v7, v10, 1, s[2:3]
	v_cndmask_b32_e32 v2, v2, v8, vcc
	v_cndmask_b32_e32 v3, v3, v9, vcc
	v_cmp_eq_u32_e32 vcc, 1, v6
	v_cndmask_b32_e32 v10, v12, v7, vcc
	v_cndmask_b32_e32 v3, v9, v3, vcc
	;; [unrolled: 1-line block ×3, first 2 shown]
	s_or_b64 exec, exec, s[8:9]
	s_and_saveexec_b64 s[2:3], s[0:1]
	s_cbranch_execnz .LBB65_106
	s_branch .LBB65_107
	.section	.rodata,"a",@progbits
	.p2align	6, 0x0
	.amdhsa_kernel _ZN7rocprim17ROCPRIM_400000_NS6detail17trampoline_kernelINS0_14default_configENS1_22reduce_config_selectorIN6thrust23THRUST_200600_302600_NS5tupleIblNS6_9null_typeES8_S8_S8_S8_S8_S8_S8_EEEEZNS1_11reduce_implILb1ES3_NS6_12zip_iteratorINS7_INS6_11hip_rocprim26transform_input_iterator_tIbPKhN2at6native10EqualsModeEEENSD_19counting_iterator_tIlEES8_S8_S8_S8_S8_S8_S8_S8_EEEEPS9_S9_NSD_9__find_if7functorIS9_EEEE10hipError_tPvRmT1_T2_T3_mT4_P12ihipStream_tbEUlT_E1_NS1_11comp_targetILNS1_3genE4ELNS1_11target_archE910ELNS1_3gpuE8ELNS1_3repE0EEENS1_30default_config_static_selectorELNS0_4arch9wavefront6targetE1EEEvSW_
		.amdhsa_group_segment_fixed_size 320
		.amdhsa_private_segment_fixed_size 0
		.amdhsa_kernarg_size 72
		.amdhsa_user_sgpr_count 6
		.amdhsa_user_sgpr_private_segment_buffer 1
		.amdhsa_user_sgpr_dispatch_ptr 0
		.amdhsa_user_sgpr_queue_ptr 0
		.amdhsa_user_sgpr_kernarg_segment_ptr 1
		.amdhsa_user_sgpr_dispatch_id 0
		.amdhsa_user_sgpr_flat_scratch_init 0
		.amdhsa_user_sgpr_kernarg_preload_length 0
		.amdhsa_user_sgpr_kernarg_preload_offset 0
		.amdhsa_user_sgpr_private_segment_size 0
		.amdhsa_uses_dynamic_stack 0
		.amdhsa_system_sgpr_private_segment_wavefront_offset 0
		.amdhsa_system_sgpr_workgroup_id_x 1
		.amdhsa_system_sgpr_workgroup_id_y 0
		.amdhsa_system_sgpr_workgroup_id_z 0
		.amdhsa_system_sgpr_workgroup_info 0
		.amdhsa_system_vgpr_workitem_id 0
		.amdhsa_next_free_vgpr 27
		.amdhsa_next_free_sgpr 38
		.amdhsa_accum_offset 28
		.amdhsa_reserve_vcc 1
		.amdhsa_reserve_flat_scratch 0
		.amdhsa_float_round_mode_32 0
		.amdhsa_float_round_mode_16_64 0
		.amdhsa_float_denorm_mode_32 3
		.amdhsa_float_denorm_mode_16_64 3
		.amdhsa_dx10_clamp 1
		.amdhsa_ieee_mode 1
		.amdhsa_fp16_overflow 0
		.amdhsa_tg_split 0
		.amdhsa_exception_fp_ieee_invalid_op 0
		.amdhsa_exception_fp_denorm_src 0
		.amdhsa_exception_fp_ieee_div_zero 0
		.amdhsa_exception_fp_ieee_overflow 0
		.amdhsa_exception_fp_ieee_underflow 0
		.amdhsa_exception_fp_ieee_inexact 0
		.amdhsa_exception_int_div_zero 0
	.end_amdhsa_kernel
	.section	.text._ZN7rocprim17ROCPRIM_400000_NS6detail17trampoline_kernelINS0_14default_configENS1_22reduce_config_selectorIN6thrust23THRUST_200600_302600_NS5tupleIblNS6_9null_typeES8_S8_S8_S8_S8_S8_S8_EEEEZNS1_11reduce_implILb1ES3_NS6_12zip_iteratorINS7_INS6_11hip_rocprim26transform_input_iterator_tIbPKhN2at6native10EqualsModeEEENSD_19counting_iterator_tIlEES8_S8_S8_S8_S8_S8_S8_S8_EEEEPS9_S9_NSD_9__find_if7functorIS9_EEEE10hipError_tPvRmT1_T2_T3_mT4_P12ihipStream_tbEUlT_E1_NS1_11comp_targetILNS1_3genE4ELNS1_11target_archE910ELNS1_3gpuE8ELNS1_3repE0EEENS1_30default_config_static_selectorELNS0_4arch9wavefront6targetE1EEEvSW_,"axG",@progbits,_ZN7rocprim17ROCPRIM_400000_NS6detail17trampoline_kernelINS0_14default_configENS1_22reduce_config_selectorIN6thrust23THRUST_200600_302600_NS5tupleIblNS6_9null_typeES8_S8_S8_S8_S8_S8_S8_EEEEZNS1_11reduce_implILb1ES3_NS6_12zip_iteratorINS7_INS6_11hip_rocprim26transform_input_iterator_tIbPKhN2at6native10EqualsModeEEENSD_19counting_iterator_tIlEES8_S8_S8_S8_S8_S8_S8_S8_EEEEPS9_S9_NSD_9__find_if7functorIS9_EEEE10hipError_tPvRmT1_T2_T3_mT4_P12ihipStream_tbEUlT_E1_NS1_11comp_targetILNS1_3genE4ELNS1_11target_archE910ELNS1_3gpuE8ELNS1_3repE0EEENS1_30default_config_static_selectorELNS0_4arch9wavefront6targetE1EEEvSW_,comdat
.Lfunc_end65:
	.size	_ZN7rocprim17ROCPRIM_400000_NS6detail17trampoline_kernelINS0_14default_configENS1_22reduce_config_selectorIN6thrust23THRUST_200600_302600_NS5tupleIblNS6_9null_typeES8_S8_S8_S8_S8_S8_S8_EEEEZNS1_11reduce_implILb1ES3_NS6_12zip_iteratorINS7_INS6_11hip_rocprim26transform_input_iterator_tIbPKhN2at6native10EqualsModeEEENSD_19counting_iterator_tIlEES8_S8_S8_S8_S8_S8_S8_S8_EEEEPS9_S9_NSD_9__find_if7functorIS9_EEEE10hipError_tPvRmT1_T2_T3_mT4_P12ihipStream_tbEUlT_E1_NS1_11comp_targetILNS1_3genE4ELNS1_11target_archE910ELNS1_3gpuE8ELNS1_3repE0EEENS1_30default_config_static_selectorELNS0_4arch9wavefront6targetE1EEEvSW_, .Lfunc_end65-_ZN7rocprim17ROCPRIM_400000_NS6detail17trampoline_kernelINS0_14default_configENS1_22reduce_config_selectorIN6thrust23THRUST_200600_302600_NS5tupleIblNS6_9null_typeES8_S8_S8_S8_S8_S8_S8_EEEEZNS1_11reduce_implILb1ES3_NS6_12zip_iteratorINS7_INS6_11hip_rocprim26transform_input_iterator_tIbPKhN2at6native10EqualsModeEEENSD_19counting_iterator_tIlEES8_S8_S8_S8_S8_S8_S8_S8_EEEEPS9_S9_NSD_9__find_if7functorIS9_EEEE10hipError_tPvRmT1_T2_T3_mT4_P12ihipStream_tbEUlT_E1_NS1_11comp_targetILNS1_3genE4ELNS1_11target_archE910ELNS1_3gpuE8ELNS1_3repE0EEENS1_30default_config_static_selectorELNS0_4arch9wavefront6targetE1EEEvSW_
                                        ; -- End function
	.section	.AMDGPU.csdata,"",@progbits
; Kernel info:
; codeLenInByte = 13236
; NumSgprs: 42
; NumVgprs: 27
; NumAgprs: 0
; TotalNumVgprs: 27
; ScratchSize: 0
; MemoryBound: 0
; FloatMode: 240
; IeeeMode: 1
; LDSByteSize: 320 bytes/workgroup (compile time only)
; SGPRBlocks: 5
; VGPRBlocks: 3
; NumSGPRsForWavesPerEU: 42
; NumVGPRsForWavesPerEU: 27
; AccumOffset: 28
; Occupancy: 8
; WaveLimiterHint : 1
; COMPUTE_PGM_RSRC2:SCRATCH_EN: 0
; COMPUTE_PGM_RSRC2:USER_SGPR: 6
; COMPUTE_PGM_RSRC2:TRAP_HANDLER: 0
; COMPUTE_PGM_RSRC2:TGID_X_EN: 1
; COMPUTE_PGM_RSRC2:TGID_Y_EN: 0
; COMPUTE_PGM_RSRC2:TGID_Z_EN: 0
; COMPUTE_PGM_RSRC2:TIDIG_COMP_CNT: 0
; COMPUTE_PGM_RSRC3_GFX90A:ACCUM_OFFSET: 6
; COMPUTE_PGM_RSRC3_GFX90A:TG_SPLIT: 0
	.section	.text._ZN7rocprim17ROCPRIM_400000_NS6detail17trampoline_kernelINS0_14default_configENS1_22reduce_config_selectorIN6thrust23THRUST_200600_302600_NS5tupleIblNS6_9null_typeES8_S8_S8_S8_S8_S8_S8_EEEEZNS1_11reduce_implILb1ES3_NS6_12zip_iteratorINS7_INS6_11hip_rocprim26transform_input_iterator_tIbPKhN2at6native10EqualsModeEEENSD_19counting_iterator_tIlEES8_S8_S8_S8_S8_S8_S8_S8_EEEEPS9_S9_NSD_9__find_if7functorIS9_EEEE10hipError_tPvRmT1_T2_T3_mT4_P12ihipStream_tbEUlT_E1_NS1_11comp_targetILNS1_3genE3ELNS1_11target_archE908ELNS1_3gpuE7ELNS1_3repE0EEENS1_30default_config_static_selectorELNS0_4arch9wavefront6targetE1EEEvSW_,"axG",@progbits,_ZN7rocprim17ROCPRIM_400000_NS6detail17trampoline_kernelINS0_14default_configENS1_22reduce_config_selectorIN6thrust23THRUST_200600_302600_NS5tupleIblNS6_9null_typeES8_S8_S8_S8_S8_S8_S8_EEEEZNS1_11reduce_implILb1ES3_NS6_12zip_iteratorINS7_INS6_11hip_rocprim26transform_input_iterator_tIbPKhN2at6native10EqualsModeEEENSD_19counting_iterator_tIlEES8_S8_S8_S8_S8_S8_S8_S8_EEEEPS9_S9_NSD_9__find_if7functorIS9_EEEE10hipError_tPvRmT1_T2_T3_mT4_P12ihipStream_tbEUlT_E1_NS1_11comp_targetILNS1_3genE3ELNS1_11target_archE908ELNS1_3gpuE7ELNS1_3repE0EEENS1_30default_config_static_selectorELNS0_4arch9wavefront6targetE1EEEvSW_,comdat
	.protected	_ZN7rocprim17ROCPRIM_400000_NS6detail17trampoline_kernelINS0_14default_configENS1_22reduce_config_selectorIN6thrust23THRUST_200600_302600_NS5tupleIblNS6_9null_typeES8_S8_S8_S8_S8_S8_S8_EEEEZNS1_11reduce_implILb1ES3_NS6_12zip_iteratorINS7_INS6_11hip_rocprim26transform_input_iterator_tIbPKhN2at6native10EqualsModeEEENSD_19counting_iterator_tIlEES8_S8_S8_S8_S8_S8_S8_S8_EEEEPS9_S9_NSD_9__find_if7functorIS9_EEEE10hipError_tPvRmT1_T2_T3_mT4_P12ihipStream_tbEUlT_E1_NS1_11comp_targetILNS1_3genE3ELNS1_11target_archE908ELNS1_3gpuE7ELNS1_3repE0EEENS1_30default_config_static_selectorELNS0_4arch9wavefront6targetE1EEEvSW_ ; -- Begin function _ZN7rocprim17ROCPRIM_400000_NS6detail17trampoline_kernelINS0_14default_configENS1_22reduce_config_selectorIN6thrust23THRUST_200600_302600_NS5tupleIblNS6_9null_typeES8_S8_S8_S8_S8_S8_S8_EEEEZNS1_11reduce_implILb1ES3_NS6_12zip_iteratorINS7_INS6_11hip_rocprim26transform_input_iterator_tIbPKhN2at6native10EqualsModeEEENSD_19counting_iterator_tIlEES8_S8_S8_S8_S8_S8_S8_S8_EEEEPS9_S9_NSD_9__find_if7functorIS9_EEEE10hipError_tPvRmT1_T2_T3_mT4_P12ihipStream_tbEUlT_E1_NS1_11comp_targetILNS1_3genE3ELNS1_11target_archE908ELNS1_3gpuE7ELNS1_3repE0EEENS1_30default_config_static_selectorELNS0_4arch9wavefront6targetE1EEEvSW_
	.globl	_ZN7rocprim17ROCPRIM_400000_NS6detail17trampoline_kernelINS0_14default_configENS1_22reduce_config_selectorIN6thrust23THRUST_200600_302600_NS5tupleIblNS6_9null_typeES8_S8_S8_S8_S8_S8_S8_EEEEZNS1_11reduce_implILb1ES3_NS6_12zip_iteratorINS7_INS6_11hip_rocprim26transform_input_iterator_tIbPKhN2at6native10EqualsModeEEENSD_19counting_iterator_tIlEES8_S8_S8_S8_S8_S8_S8_S8_EEEEPS9_S9_NSD_9__find_if7functorIS9_EEEE10hipError_tPvRmT1_T2_T3_mT4_P12ihipStream_tbEUlT_E1_NS1_11comp_targetILNS1_3genE3ELNS1_11target_archE908ELNS1_3gpuE7ELNS1_3repE0EEENS1_30default_config_static_selectorELNS0_4arch9wavefront6targetE1EEEvSW_
	.p2align	8
	.type	_ZN7rocprim17ROCPRIM_400000_NS6detail17trampoline_kernelINS0_14default_configENS1_22reduce_config_selectorIN6thrust23THRUST_200600_302600_NS5tupleIblNS6_9null_typeES8_S8_S8_S8_S8_S8_S8_EEEEZNS1_11reduce_implILb1ES3_NS6_12zip_iteratorINS7_INS6_11hip_rocprim26transform_input_iterator_tIbPKhN2at6native10EqualsModeEEENSD_19counting_iterator_tIlEES8_S8_S8_S8_S8_S8_S8_S8_EEEEPS9_S9_NSD_9__find_if7functorIS9_EEEE10hipError_tPvRmT1_T2_T3_mT4_P12ihipStream_tbEUlT_E1_NS1_11comp_targetILNS1_3genE3ELNS1_11target_archE908ELNS1_3gpuE7ELNS1_3repE0EEENS1_30default_config_static_selectorELNS0_4arch9wavefront6targetE1EEEvSW_,@function
_ZN7rocprim17ROCPRIM_400000_NS6detail17trampoline_kernelINS0_14default_configENS1_22reduce_config_selectorIN6thrust23THRUST_200600_302600_NS5tupleIblNS6_9null_typeES8_S8_S8_S8_S8_S8_S8_EEEEZNS1_11reduce_implILb1ES3_NS6_12zip_iteratorINS7_INS6_11hip_rocprim26transform_input_iterator_tIbPKhN2at6native10EqualsModeEEENSD_19counting_iterator_tIlEES8_S8_S8_S8_S8_S8_S8_S8_EEEEPS9_S9_NSD_9__find_if7functorIS9_EEEE10hipError_tPvRmT1_T2_T3_mT4_P12ihipStream_tbEUlT_E1_NS1_11comp_targetILNS1_3genE3ELNS1_11target_archE908ELNS1_3gpuE7ELNS1_3repE0EEENS1_30default_config_static_selectorELNS0_4arch9wavefront6targetE1EEEvSW_: ; @_ZN7rocprim17ROCPRIM_400000_NS6detail17trampoline_kernelINS0_14default_configENS1_22reduce_config_selectorIN6thrust23THRUST_200600_302600_NS5tupleIblNS6_9null_typeES8_S8_S8_S8_S8_S8_S8_EEEEZNS1_11reduce_implILb1ES3_NS6_12zip_iteratorINS7_INS6_11hip_rocprim26transform_input_iterator_tIbPKhN2at6native10EqualsModeEEENSD_19counting_iterator_tIlEES8_S8_S8_S8_S8_S8_S8_S8_EEEEPS9_S9_NSD_9__find_if7functorIS9_EEEE10hipError_tPvRmT1_T2_T3_mT4_P12ihipStream_tbEUlT_E1_NS1_11comp_targetILNS1_3genE3ELNS1_11target_archE908ELNS1_3gpuE7ELNS1_3repE0EEENS1_30default_config_static_selectorELNS0_4arch9wavefront6targetE1EEEvSW_
; %bb.0:
	.section	.rodata,"a",@progbits
	.p2align	6, 0x0
	.amdhsa_kernel _ZN7rocprim17ROCPRIM_400000_NS6detail17trampoline_kernelINS0_14default_configENS1_22reduce_config_selectorIN6thrust23THRUST_200600_302600_NS5tupleIblNS6_9null_typeES8_S8_S8_S8_S8_S8_S8_EEEEZNS1_11reduce_implILb1ES3_NS6_12zip_iteratorINS7_INS6_11hip_rocprim26transform_input_iterator_tIbPKhN2at6native10EqualsModeEEENSD_19counting_iterator_tIlEES8_S8_S8_S8_S8_S8_S8_S8_EEEEPS9_S9_NSD_9__find_if7functorIS9_EEEE10hipError_tPvRmT1_T2_T3_mT4_P12ihipStream_tbEUlT_E1_NS1_11comp_targetILNS1_3genE3ELNS1_11target_archE908ELNS1_3gpuE7ELNS1_3repE0EEENS1_30default_config_static_selectorELNS0_4arch9wavefront6targetE1EEEvSW_
		.amdhsa_group_segment_fixed_size 0
		.amdhsa_private_segment_fixed_size 0
		.amdhsa_kernarg_size 72
		.amdhsa_user_sgpr_count 6
		.amdhsa_user_sgpr_private_segment_buffer 1
		.amdhsa_user_sgpr_dispatch_ptr 0
		.amdhsa_user_sgpr_queue_ptr 0
		.amdhsa_user_sgpr_kernarg_segment_ptr 1
		.amdhsa_user_sgpr_dispatch_id 0
		.amdhsa_user_sgpr_flat_scratch_init 0
		.amdhsa_user_sgpr_kernarg_preload_length 0
		.amdhsa_user_sgpr_kernarg_preload_offset 0
		.amdhsa_user_sgpr_private_segment_size 0
		.amdhsa_uses_dynamic_stack 0
		.amdhsa_system_sgpr_private_segment_wavefront_offset 0
		.amdhsa_system_sgpr_workgroup_id_x 1
		.amdhsa_system_sgpr_workgroup_id_y 0
		.amdhsa_system_sgpr_workgroup_id_z 0
		.amdhsa_system_sgpr_workgroup_info 0
		.amdhsa_system_vgpr_workitem_id 0
		.amdhsa_next_free_vgpr 1
		.amdhsa_next_free_sgpr 0
		.amdhsa_accum_offset 4
		.amdhsa_reserve_vcc 0
		.amdhsa_reserve_flat_scratch 0
		.amdhsa_float_round_mode_32 0
		.amdhsa_float_round_mode_16_64 0
		.amdhsa_float_denorm_mode_32 3
		.amdhsa_float_denorm_mode_16_64 3
		.amdhsa_dx10_clamp 1
		.amdhsa_ieee_mode 1
		.amdhsa_fp16_overflow 0
		.amdhsa_tg_split 0
		.amdhsa_exception_fp_ieee_invalid_op 0
		.amdhsa_exception_fp_denorm_src 0
		.amdhsa_exception_fp_ieee_div_zero 0
		.amdhsa_exception_fp_ieee_overflow 0
		.amdhsa_exception_fp_ieee_underflow 0
		.amdhsa_exception_fp_ieee_inexact 0
		.amdhsa_exception_int_div_zero 0
	.end_amdhsa_kernel
	.section	.text._ZN7rocprim17ROCPRIM_400000_NS6detail17trampoline_kernelINS0_14default_configENS1_22reduce_config_selectorIN6thrust23THRUST_200600_302600_NS5tupleIblNS6_9null_typeES8_S8_S8_S8_S8_S8_S8_EEEEZNS1_11reduce_implILb1ES3_NS6_12zip_iteratorINS7_INS6_11hip_rocprim26transform_input_iterator_tIbPKhN2at6native10EqualsModeEEENSD_19counting_iterator_tIlEES8_S8_S8_S8_S8_S8_S8_S8_EEEEPS9_S9_NSD_9__find_if7functorIS9_EEEE10hipError_tPvRmT1_T2_T3_mT4_P12ihipStream_tbEUlT_E1_NS1_11comp_targetILNS1_3genE3ELNS1_11target_archE908ELNS1_3gpuE7ELNS1_3repE0EEENS1_30default_config_static_selectorELNS0_4arch9wavefront6targetE1EEEvSW_,"axG",@progbits,_ZN7rocprim17ROCPRIM_400000_NS6detail17trampoline_kernelINS0_14default_configENS1_22reduce_config_selectorIN6thrust23THRUST_200600_302600_NS5tupleIblNS6_9null_typeES8_S8_S8_S8_S8_S8_S8_EEEEZNS1_11reduce_implILb1ES3_NS6_12zip_iteratorINS7_INS6_11hip_rocprim26transform_input_iterator_tIbPKhN2at6native10EqualsModeEEENSD_19counting_iterator_tIlEES8_S8_S8_S8_S8_S8_S8_S8_EEEEPS9_S9_NSD_9__find_if7functorIS9_EEEE10hipError_tPvRmT1_T2_T3_mT4_P12ihipStream_tbEUlT_E1_NS1_11comp_targetILNS1_3genE3ELNS1_11target_archE908ELNS1_3gpuE7ELNS1_3repE0EEENS1_30default_config_static_selectorELNS0_4arch9wavefront6targetE1EEEvSW_,comdat
.Lfunc_end66:
	.size	_ZN7rocprim17ROCPRIM_400000_NS6detail17trampoline_kernelINS0_14default_configENS1_22reduce_config_selectorIN6thrust23THRUST_200600_302600_NS5tupleIblNS6_9null_typeES8_S8_S8_S8_S8_S8_S8_EEEEZNS1_11reduce_implILb1ES3_NS6_12zip_iteratorINS7_INS6_11hip_rocprim26transform_input_iterator_tIbPKhN2at6native10EqualsModeEEENSD_19counting_iterator_tIlEES8_S8_S8_S8_S8_S8_S8_S8_EEEEPS9_S9_NSD_9__find_if7functorIS9_EEEE10hipError_tPvRmT1_T2_T3_mT4_P12ihipStream_tbEUlT_E1_NS1_11comp_targetILNS1_3genE3ELNS1_11target_archE908ELNS1_3gpuE7ELNS1_3repE0EEENS1_30default_config_static_selectorELNS0_4arch9wavefront6targetE1EEEvSW_, .Lfunc_end66-_ZN7rocprim17ROCPRIM_400000_NS6detail17trampoline_kernelINS0_14default_configENS1_22reduce_config_selectorIN6thrust23THRUST_200600_302600_NS5tupleIblNS6_9null_typeES8_S8_S8_S8_S8_S8_S8_EEEEZNS1_11reduce_implILb1ES3_NS6_12zip_iteratorINS7_INS6_11hip_rocprim26transform_input_iterator_tIbPKhN2at6native10EqualsModeEEENSD_19counting_iterator_tIlEES8_S8_S8_S8_S8_S8_S8_S8_EEEEPS9_S9_NSD_9__find_if7functorIS9_EEEE10hipError_tPvRmT1_T2_T3_mT4_P12ihipStream_tbEUlT_E1_NS1_11comp_targetILNS1_3genE3ELNS1_11target_archE908ELNS1_3gpuE7ELNS1_3repE0EEENS1_30default_config_static_selectorELNS0_4arch9wavefront6targetE1EEEvSW_
                                        ; -- End function
	.section	.AMDGPU.csdata,"",@progbits
; Kernel info:
; codeLenInByte = 0
; NumSgprs: 4
; NumVgprs: 0
; NumAgprs: 0
; TotalNumVgprs: 0
; ScratchSize: 0
; MemoryBound: 0
; FloatMode: 240
; IeeeMode: 1
; LDSByteSize: 0 bytes/workgroup (compile time only)
; SGPRBlocks: 0
; VGPRBlocks: 0
; NumSGPRsForWavesPerEU: 4
; NumVGPRsForWavesPerEU: 1
; AccumOffset: 4
; Occupancy: 8
; WaveLimiterHint : 0
; COMPUTE_PGM_RSRC2:SCRATCH_EN: 0
; COMPUTE_PGM_RSRC2:USER_SGPR: 6
; COMPUTE_PGM_RSRC2:TRAP_HANDLER: 0
; COMPUTE_PGM_RSRC2:TGID_X_EN: 1
; COMPUTE_PGM_RSRC2:TGID_Y_EN: 0
; COMPUTE_PGM_RSRC2:TGID_Z_EN: 0
; COMPUTE_PGM_RSRC2:TIDIG_COMP_CNT: 0
; COMPUTE_PGM_RSRC3_GFX90A:ACCUM_OFFSET: 0
; COMPUTE_PGM_RSRC3_GFX90A:TG_SPLIT: 0
	.section	.text._ZN7rocprim17ROCPRIM_400000_NS6detail17trampoline_kernelINS0_14default_configENS1_22reduce_config_selectorIN6thrust23THRUST_200600_302600_NS5tupleIblNS6_9null_typeES8_S8_S8_S8_S8_S8_S8_EEEEZNS1_11reduce_implILb1ES3_NS6_12zip_iteratorINS7_INS6_11hip_rocprim26transform_input_iterator_tIbPKhN2at6native10EqualsModeEEENSD_19counting_iterator_tIlEES8_S8_S8_S8_S8_S8_S8_S8_EEEEPS9_S9_NSD_9__find_if7functorIS9_EEEE10hipError_tPvRmT1_T2_T3_mT4_P12ihipStream_tbEUlT_E1_NS1_11comp_targetILNS1_3genE2ELNS1_11target_archE906ELNS1_3gpuE6ELNS1_3repE0EEENS1_30default_config_static_selectorELNS0_4arch9wavefront6targetE1EEEvSW_,"axG",@progbits,_ZN7rocprim17ROCPRIM_400000_NS6detail17trampoline_kernelINS0_14default_configENS1_22reduce_config_selectorIN6thrust23THRUST_200600_302600_NS5tupleIblNS6_9null_typeES8_S8_S8_S8_S8_S8_S8_EEEEZNS1_11reduce_implILb1ES3_NS6_12zip_iteratorINS7_INS6_11hip_rocprim26transform_input_iterator_tIbPKhN2at6native10EqualsModeEEENSD_19counting_iterator_tIlEES8_S8_S8_S8_S8_S8_S8_S8_EEEEPS9_S9_NSD_9__find_if7functorIS9_EEEE10hipError_tPvRmT1_T2_T3_mT4_P12ihipStream_tbEUlT_E1_NS1_11comp_targetILNS1_3genE2ELNS1_11target_archE906ELNS1_3gpuE6ELNS1_3repE0EEENS1_30default_config_static_selectorELNS0_4arch9wavefront6targetE1EEEvSW_,comdat
	.protected	_ZN7rocprim17ROCPRIM_400000_NS6detail17trampoline_kernelINS0_14default_configENS1_22reduce_config_selectorIN6thrust23THRUST_200600_302600_NS5tupleIblNS6_9null_typeES8_S8_S8_S8_S8_S8_S8_EEEEZNS1_11reduce_implILb1ES3_NS6_12zip_iteratorINS7_INS6_11hip_rocprim26transform_input_iterator_tIbPKhN2at6native10EqualsModeEEENSD_19counting_iterator_tIlEES8_S8_S8_S8_S8_S8_S8_S8_EEEEPS9_S9_NSD_9__find_if7functorIS9_EEEE10hipError_tPvRmT1_T2_T3_mT4_P12ihipStream_tbEUlT_E1_NS1_11comp_targetILNS1_3genE2ELNS1_11target_archE906ELNS1_3gpuE6ELNS1_3repE0EEENS1_30default_config_static_selectorELNS0_4arch9wavefront6targetE1EEEvSW_ ; -- Begin function _ZN7rocprim17ROCPRIM_400000_NS6detail17trampoline_kernelINS0_14default_configENS1_22reduce_config_selectorIN6thrust23THRUST_200600_302600_NS5tupleIblNS6_9null_typeES8_S8_S8_S8_S8_S8_S8_EEEEZNS1_11reduce_implILb1ES3_NS6_12zip_iteratorINS7_INS6_11hip_rocprim26transform_input_iterator_tIbPKhN2at6native10EqualsModeEEENSD_19counting_iterator_tIlEES8_S8_S8_S8_S8_S8_S8_S8_EEEEPS9_S9_NSD_9__find_if7functorIS9_EEEE10hipError_tPvRmT1_T2_T3_mT4_P12ihipStream_tbEUlT_E1_NS1_11comp_targetILNS1_3genE2ELNS1_11target_archE906ELNS1_3gpuE6ELNS1_3repE0EEENS1_30default_config_static_selectorELNS0_4arch9wavefront6targetE1EEEvSW_
	.globl	_ZN7rocprim17ROCPRIM_400000_NS6detail17trampoline_kernelINS0_14default_configENS1_22reduce_config_selectorIN6thrust23THRUST_200600_302600_NS5tupleIblNS6_9null_typeES8_S8_S8_S8_S8_S8_S8_EEEEZNS1_11reduce_implILb1ES3_NS6_12zip_iteratorINS7_INS6_11hip_rocprim26transform_input_iterator_tIbPKhN2at6native10EqualsModeEEENSD_19counting_iterator_tIlEES8_S8_S8_S8_S8_S8_S8_S8_EEEEPS9_S9_NSD_9__find_if7functorIS9_EEEE10hipError_tPvRmT1_T2_T3_mT4_P12ihipStream_tbEUlT_E1_NS1_11comp_targetILNS1_3genE2ELNS1_11target_archE906ELNS1_3gpuE6ELNS1_3repE0EEENS1_30default_config_static_selectorELNS0_4arch9wavefront6targetE1EEEvSW_
	.p2align	8
	.type	_ZN7rocprim17ROCPRIM_400000_NS6detail17trampoline_kernelINS0_14default_configENS1_22reduce_config_selectorIN6thrust23THRUST_200600_302600_NS5tupleIblNS6_9null_typeES8_S8_S8_S8_S8_S8_S8_EEEEZNS1_11reduce_implILb1ES3_NS6_12zip_iteratorINS7_INS6_11hip_rocprim26transform_input_iterator_tIbPKhN2at6native10EqualsModeEEENSD_19counting_iterator_tIlEES8_S8_S8_S8_S8_S8_S8_S8_EEEEPS9_S9_NSD_9__find_if7functorIS9_EEEE10hipError_tPvRmT1_T2_T3_mT4_P12ihipStream_tbEUlT_E1_NS1_11comp_targetILNS1_3genE2ELNS1_11target_archE906ELNS1_3gpuE6ELNS1_3repE0EEENS1_30default_config_static_selectorELNS0_4arch9wavefront6targetE1EEEvSW_,@function
_ZN7rocprim17ROCPRIM_400000_NS6detail17trampoline_kernelINS0_14default_configENS1_22reduce_config_selectorIN6thrust23THRUST_200600_302600_NS5tupleIblNS6_9null_typeES8_S8_S8_S8_S8_S8_S8_EEEEZNS1_11reduce_implILb1ES3_NS6_12zip_iteratorINS7_INS6_11hip_rocprim26transform_input_iterator_tIbPKhN2at6native10EqualsModeEEENSD_19counting_iterator_tIlEES8_S8_S8_S8_S8_S8_S8_S8_EEEEPS9_S9_NSD_9__find_if7functorIS9_EEEE10hipError_tPvRmT1_T2_T3_mT4_P12ihipStream_tbEUlT_E1_NS1_11comp_targetILNS1_3genE2ELNS1_11target_archE906ELNS1_3gpuE6ELNS1_3repE0EEENS1_30default_config_static_selectorELNS0_4arch9wavefront6targetE1EEEvSW_: ; @_ZN7rocprim17ROCPRIM_400000_NS6detail17trampoline_kernelINS0_14default_configENS1_22reduce_config_selectorIN6thrust23THRUST_200600_302600_NS5tupleIblNS6_9null_typeES8_S8_S8_S8_S8_S8_S8_EEEEZNS1_11reduce_implILb1ES3_NS6_12zip_iteratorINS7_INS6_11hip_rocprim26transform_input_iterator_tIbPKhN2at6native10EqualsModeEEENSD_19counting_iterator_tIlEES8_S8_S8_S8_S8_S8_S8_S8_EEEEPS9_S9_NSD_9__find_if7functorIS9_EEEE10hipError_tPvRmT1_T2_T3_mT4_P12ihipStream_tbEUlT_E1_NS1_11comp_targetILNS1_3genE2ELNS1_11target_archE906ELNS1_3gpuE6ELNS1_3repE0EEENS1_30default_config_static_selectorELNS0_4arch9wavefront6targetE1EEEvSW_
; %bb.0:
	.section	.rodata,"a",@progbits
	.p2align	6, 0x0
	.amdhsa_kernel _ZN7rocprim17ROCPRIM_400000_NS6detail17trampoline_kernelINS0_14default_configENS1_22reduce_config_selectorIN6thrust23THRUST_200600_302600_NS5tupleIblNS6_9null_typeES8_S8_S8_S8_S8_S8_S8_EEEEZNS1_11reduce_implILb1ES3_NS6_12zip_iteratorINS7_INS6_11hip_rocprim26transform_input_iterator_tIbPKhN2at6native10EqualsModeEEENSD_19counting_iterator_tIlEES8_S8_S8_S8_S8_S8_S8_S8_EEEEPS9_S9_NSD_9__find_if7functorIS9_EEEE10hipError_tPvRmT1_T2_T3_mT4_P12ihipStream_tbEUlT_E1_NS1_11comp_targetILNS1_3genE2ELNS1_11target_archE906ELNS1_3gpuE6ELNS1_3repE0EEENS1_30default_config_static_selectorELNS0_4arch9wavefront6targetE1EEEvSW_
		.amdhsa_group_segment_fixed_size 0
		.amdhsa_private_segment_fixed_size 0
		.amdhsa_kernarg_size 72
		.amdhsa_user_sgpr_count 6
		.amdhsa_user_sgpr_private_segment_buffer 1
		.amdhsa_user_sgpr_dispatch_ptr 0
		.amdhsa_user_sgpr_queue_ptr 0
		.amdhsa_user_sgpr_kernarg_segment_ptr 1
		.amdhsa_user_sgpr_dispatch_id 0
		.amdhsa_user_sgpr_flat_scratch_init 0
		.amdhsa_user_sgpr_kernarg_preload_length 0
		.amdhsa_user_sgpr_kernarg_preload_offset 0
		.amdhsa_user_sgpr_private_segment_size 0
		.amdhsa_uses_dynamic_stack 0
		.amdhsa_system_sgpr_private_segment_wavefront_offset 0
		.amdhsa_system_sgpr_workgroup_id_x 1
		.amdhsa_system_sgpr_workgroup_id_y 0
		.amdhsa_system_sgpr_workgroup_id_z 0
		.amdhsa_system_sgpr_workgroup_info 0
		.amdhsa_system_vgpr_workitem_id 0
		.amdhsa_next_free_vgpr 1
		.amdhsa_next_free_sgpr 0
		.amdhsa_accum_offset 4
		.amdhsa_reserve_vcc 0
		.amdhsa_reserve_flat_scratch 0
		.amdhsa_float_round_mode_32 0
		.amdhsa_float_round_mode_16_64 0
		.amdhsa_float_denorm_mode_32 3
		.amdhsa_float_denorm_mode_16_64 3
		.amdhsa_dx10_clamp 1
		.amdhsa_ieee_mode 1
		.amdhsa_fp16_overflow 0
		.amdhsa_tg_split 0
		.amdhsa_exception_fp_ieee_invalid_op 0
		.amdhsa_exception_fp_denorm_src 0
		.amdhsa_exception_fp_ieee_div_zero 0
		.amdhsa_exception_fp_ieee_overflow 0
		.amdhsa_exception_fp_ieee_underflow 0
		.amdhsa_exception_fp_ieee_inexact 0
		.amdhsa_exception_int_div_zero 0
	.end_amdhsa_kernel
	.section	.text._ZN7rocprim17ROCPRIM_400000_NS6detail17trampoline_kernelINS0_14default_configENS1_22reduce_config_selectorIN6thrust23THRUST_200600_302600_NS5tupleIblNS6_9null_typeES8_S8_S8_S8_S8_S8_S8_EEEEZNS1_11reduce_implILb1ES3_NS6_12zip_iteratorINS7_INS6_11hip_rocprim26transform_input_iterator_tIbPKhN2at6native10EqualsModeEEENSD_19counting_iterator_tIlEES8_S8_S8_S8_S8_S8_S8_S8_EEEEPS9_S9_NSD_9__find_if7functorIS9_EEEE10hipError_tPvRmT1_T2_T3_mT4_P12ihipStream_tbEUlT_E1_NS1_11comp_targetILNS1_3genE2ELNS1_11target_archE906ELNS1_3gpuE6ELNS1_3repE0EEENS1_30default_config_static_selectorELNS0_4arch9wavefront6targetE1EEEvSW_,"axG",@progbits,_ZN7rocprim17ROCPRIM_400000_NS6detail17trampoline_kernelINS0_14default_configENS1_22reduce_config_selectorIN6thrust23THRUST_200600_302600_NS5tupleIblNS6_9null_typeES8_S8_S8_S8_S8_S8_S8_EEEEZNS1_11reduce_implILb1ES3_NS6_12zip_iteratorINS7_INS6_11hip_rocprim26transform_input_iterator_tIbPKhN2at6native10EqualsModeEEENSD_19counting_iterator_tIlEES8_S8_S8_S8_S8_S8_S8_S8_EEEEPS9_S9_NSD_9__find_if7functorIS9_EEEE10hipError_tPvRmT1_T2_T3_mT4_P12ihipStream_tbEUlT_E1_NS1_11comp_targetILNS1_3genE2ELNS1_11target_archE906ELNS1_3gpuE6ELNS1_3repE0EEENS1_30default_config_static_selectorELNS0_4arch9wavefront6targetE1EEEvSW_,comdat
.Lfunc_end67:
	.size	_ZN7rocprim17ROCPRIM_400000_NS6detail17trampoline_kernelINS0_14default_configENS1_22reduce_config_selectorIN6thrust23THRUST_200600_302600_NS5tupleIblNS6_9null_typeES8_S8_S8_S8_S8_S8_S8_EEEEZNS1_11reduce_implILb1ES3_NS6_12zip_iteratorINS7_INS6_11hip_rocprim26transform_input_iterator_tIbPKhN2at6native10EqualsModeEEENSD_19counting_iterator_tIlEES8_S8_S8_S8_S8_S8_S8_S8_EEEEPS9_S9_NSD_9__find_if7functorIS9_EEEE10hipError_tPvRmT1_T2_T3_mT4_P12ihipStream_tbEUlT_E1_NS1_11comp_targetILNS1_3genE2ELNS1_11target_archE906ELNS1_3gpuE6ELNS1_3repE0EEENS1_30default_config_static_selectorELNS0_4arch9wavefront6targetE1EEEvSW_, .Lfunc_end67-_ZN7rocprim17ROCPRIM_400000_NS6detail17trampoline_kernelINS0_14default_configENS1_22reduce_config_selectorIN6thrust23THRUST_200600_302600_NS5tupleIblNS6_9null_typeES8_S8_S8_S8_S8_S8_S8_EEEEZNS1_11reduce_implILb1ES3_NS6_12zip_iteratorINS7_INS6_11hip_rocprim26transform_input_iterator_tIbPKhN2at6native10EqualsModeEEENSD_19counting_iterator_tIlEES8_S8_S8_S8_S8_S8_S8_S8_EEEEPS9_S9_NSD_9__find_if7functorIS9_EEEE10hipError_tPvRmT1_T2_T3_mT4_P12ihipStream_tbEUlT_E1_NS1_11comp_targetILNS1_3genE2ELNS1_11target_archE906ELNS1_3gpuE6ELNS1_3repE0EEENS1_30default_config_static_selectorELNS0_4arch9wavefront6targetE1EEEvSW_
                                        ; -- End function
	.section	.AMDGPU.csdata,"",@progbits
; Kernel info:
; codeLenInByte = 0
; NumSgprs: 4
; NumVgprs: 0
; NumAgprs: 0
; TotalNumVgprs: 0
; ScratchSize: 0
; MemoryBound: 0
; FloatMode: 240
; IeeeMode: 1
; LDSByteSize: 0 bytes/workgroup (compile time only)
; SGPRBlocks: 0
; VGPRBlocks: 0
; NumSGPRsForWavesPerEU: 4
; NumVGPRsForWavesPerEU: 1
; AccumOffset: 4
; Occupancy: 8
; WaveLimiterHint : 0
; COMPUTE_PGM_RSRC2:SCRATCH_EN: 0
; COMPUTE_PGM_RSRC2:USER_SGPR: 6
; COMPUTE_PGM_RSRC2:TRAP_HANDLER: 0
; COMPUTE_PGM_RSRC2:TGID_X_EN: 1
; COMPUTE_PGM_RSRC2:TGID_Y_EN: 0
; COMPUTE_PGM_RSRC2:TGID_Z_EN: 0
; COMPUTE_PGM_RSRC2:TIDIG_COMP_CNT: 0
; COMPUTE_PGM_RSRC3_GFX90A:ACCUM_OFFSET: 0
; COMPUTE_PGM_RSRC3_GFX90A:TG_SPLIT: 0
	.section	.text._ZN7rocprim17ROCPRIM_400000_NS6detail17trampoline_kernelINS0_14default_configENS1_22reduce_config_selectorIN6thrust23THRUST_200600_302600_NS5tupleIblNS6_9null_typeES8_S8_S8_S8_S8_S8_S8_EEEEZNS1_11reduce_implILb1ES3_NS6_12zip_iteratorINS7_INS6_11hip_rocprim26transform_input_iterator_tIbPKhN2at6native10EqualsModeEEENSD_19counting_iterator_tIlEES8_S8_S8_S8_S8_S8_S8_S8_EEEEPS9_S9_NSD_9__find_if7functorIS9_EEEE10hipError_tPvRmT1_T2_T3_mT4_P12ihipStream_tbEUlT_E1_NS1_11comp_targetILNS1_3genE10ELNS1_11target_archE1201ELNS1_3gpuE5ELNS1_3repE0EEENS1_30default_config_static_selectorELNS0_4arch9wavefront6targetE1EEEvSW_,"axG",@progbits,_ZN7rocprim17ROCPRIM_400000_NS6detail17trampoline_kernelINS0_14default_configENS1_22reduce_config_selectorIN6thrust23THRUST_200600_302600_NS5tupleIblNS6_9null_typeES8_S8_S8_S8_S8_S8_S8_EEEEZNS1_11reduce_implILb1ES3_NS6_12zip_iteratorINS7_INS6_11hip_rocprim26transform_input_iterator_tIbPKhN2at6native10EqualsModeEEENSD_19counting_iterator_tIlEES8_S8_S8_S8_S8_S8_S8_S8_EEEEPS9_S9_NSD_9__find_if7functorIS9_EEEE10hipError_tPvRmT1_T2_T3_mT4_P12ihipStream_tbEUlT_E1_NS1_11comp_targetILNS1_3genE10ELNS1_11target_archE1201ELNS1_3gpuE5ELNS1_3repE0EEENS1_30default_config_static_selectorELNS0_4arch9wavefront6targetE1EEEvSW_,comdat
	.protected	_ZN7rocprim17ROCPRIM_400000_NS6detail17trampoline_kernelINS0_14default_configENS1_22reduce_config_selectorIN6thrust23THRUST_200600_302600_NS5tupleIblNS6_9null_typeES8_S8_S8_S8_S8_S8_S8_EEEEZNS1_11reduce_implILb1ES3_NS6_12zip_iteratorINS7_INS6_11hip_rocprim26transform_input_iterator_tIbPKhN2at6native10EqualsModeEEENSD_19counting_iterator_tIlEES8_S8_S8_S8_S8_S8_S8_S8_EEEEPS9_S9_NSD_9__find_if7functorIS9_EEEE10hipError_tPvRmT1_T2_T3_mT4_P12ihipStream_tbEUlT_E1_NS1_11comp_targetILNS1_3genE10ELNS1_11target_archE1201ELNS1_3gpuE5ELNS1_3repE0EEENS1_30default_config_static_selectorELNS0_4arch9wavefront6targetE1EEEvSW_ ; -- Begin function _ZN7rocprim17ROCPRIM_400000_NS6detail17trampoline_kernelINS0_14default_configENS1_22reduce_config_selectorIN6thrust23THRUST_200600_302600_NS5tupleIblNS6_9null_typeES8_S8_S8_S8_S8_S8_S8_EEEEZNS1_11reduce_implILb1ES3_NS6_12zip_iteratorINS7_INS6_11hip_rocprim26transform_input_iterator_tIbPKhN2at6native10EqualsModeEEENSD_19counting_iterator_tIlEES8_S8_S8_S8_S8_S8_S8_S8_EEEEPS9_S9_NSD_9__find_if7functorIS9_EEEE10hipError_tPvRmT1_T2_T3_mT4_P12ihipStream_tbEUlT_E1_NS1_11comp_targetILNS1_3genE10ELNS1_11target_archE1201ELNS1_3gpuE5ELNS1_3repE0EEENS1_30default_config_static_selectorELNS0_4arch9wavefront6targetE1EEEvSW_
	.globl	_ZN7rocprim17ROCPRIM_400000_NS6detail17trampoline_kernelINS0_14default_configENS1_22reduce_config_selectorIN6thrust23THRUST_200600_302600_NS5tupleIblNS6_9null_typeES8_S8_S8_S8_S8_S8_S8_EEEEZNS1_11reduce_implILb1ES3_NS6_12zip_iteratorINS7_INS6_11hip_rocprim26transform_input_iterator_tIbPKhN2at6native10EqualsModeEEENSD_19counting_iterator_tIlEES8_S8_S8_S8_S8_S8_S8_S8_EEEEPS9_S9_NSD_9__find_if7functorIS9_EEEE10hipError_tPvRmT1_T2_T3_mT4_P12ihipStream_tbEUlT_E1_NS1_11comp_targetILNS1_3genE10ELNS1_11target_archE1201ELNS1_3gpuE5ELNS1_3repE0EEENS1_30default_config_static_selectorELNS0_4arch9wavefront6targetE1EEEvSW_
	.p2align	8
	.type	_ZN7rocprim17ROCPRIM_400000_NS6detail17trampoline_kernelINS0_14default_configENS1_22reduce_config_selectorIN6thrust23THRUST_200600_302600_NS5tupleIblNS6_9null_typeES8_S8_S8_S8_S8_S8_S8_EEEEZNS1_11reduce_implILb1ES3_NS6_12zip_iteratorINS7_INS6_11hip_rocprim26transform_input_iterator_tIbPKhN2at6native10EqualsModeEEENSD_19counting_iterator_tIlEES8_S8_S8_S8_S8_S8_S8_S8_EEEEPS9_S9_NSD_9__find_if7functorIS9_EEEE10hipError_tPvRmT1_T2_T3_mT4_P12ihipStream_tbEUlT_E1_NS1_11comp_targetILNS1_3genE10ELNS1_11target_archE1201ELNS1_3gpuE5ELNS1_3repE0EEENS1_30default_config_static_selectorELNS0_4arch9wavefront6targetE1EEEvSW_,@function
_ZN7rocprim17ROCPRIM_400000_NS6detail17trampoline_kernelINS0_14default_configENS1_22reduce_config_selectorIN6thrust23THRUST_200600_302600_NS5tupleIblNS6_9null_typeES8_S8_S8_S8_S8_S8_S8_EEEEZNS1_11reduce_implILb1ES3_NS6_12zip_iteratorINS7_INS6_11hip_rocprim26transform_input_iterator_tIbPKhN2at6native10EqualsModeEEENSD_19counting_iterator_tIlEES8_S8_S8_S8_S8_S8_S8_S8_EEEEPS9_S9_NSD_9__find_if7functorIS9_EEEE10hipError_tPvRmT1_T2_T3_mT4_P12ihipStream_tbEUlT_E1_NS1_11comp_targetILNS1_3genE10ELNS1_11target_archE1201ELNS1_3gpuE5ELNS1_3repE0EEENS1_30default_config_static_selectorELNS0_4arch9wavefront6targetE1EEEvSW_: ; @_ZN7rocprim17ROCPRIM_400000_NS6detail17trampoline_kernelINS0_14default_configENS1_22reduce_config_selectorIN6thrust23THRUST_200600_302600_NS5tupleIblNS6_9null_typeES8_S8_S8_S8_S8_S8_S8_EEEEZNS1_11reduce_implILb1ES3_NS6_12zip_iteratorINS7_INS6_11hip_rocprim26transform_input_iterator_tIbPKhN2at6native10EqualsModeEEENSD_19counting_iterator_tIlEES8_S8_S8_S8_S8_S8_S8_S8_EEEEPS9_S9_NSD_9__find_if7functorIS9_EEEE10hipError_tPvRmT1_T2_T3_mT4_P12ihipStream_tbEUlT_E1_NS1_11comp_targetILNS1_3genE10ELNS1_11target_archE1201ELNS1_3gpuE5ELNS1_3repE0EEENS1_30default_config_static_selectorELNS0_4arch9wavefront6targetE1EEEvSW_
; %bb.0:
	.section	.rodata,"a",@progbits
	.p2align	6, 0x0
	.amdhsa_kernel _ZN7rocprim17ROCPRIM_400000_NS6detail17trampoline_kernelINS0_14default_configENS1_22reduce_config_selectorIN6thrust23THRUST_200600_302600_NS5tupleIblNS6_9null_typeES8_S8_S8_S8_S8_S8_S8_EEEEZNS1_11reduce_implILb1ES3_NS6_12zip_iteratorINS7_INS6_11hip_rocprim26transform_input_iterator_tIbPKhN2at6native10EqualsModeEEENSD_19counting_iterator_tIlEES8_S8_S8_S8_S8_S8_S8_S8_EEEEPS9_S9_NSD_9__find_if7functorIS9_EEEE10hipError_tPvRmT1_T2_T3_mT4_P12ihipStream_tbEUlT_E1_NS1_11comp_targetILNS1_3genE10ELNS1_11target_archE1201ELNS1_3gpuE5ELNS1_3repE0EEENS1_30default_config_static_selectorELNS0_4arch9wavefront6targetE1EEEvSW_
		.amdhsa_group_segment_fixed_size 0
		.amdhsa_private_segment_fixed_size 0
		.amdhsa_kernarg_size 72
		.amdhsa_user_sgpr_count 6
		.amdhsa_user_sgpr_private_segment_buffer 1
		.amdhsa_user_sgpr_dispatch_ptr 0
		.amdhsa_user_sgpr_queue_ptr 0
		.amdhsa_user_sgpr_kernarg_segment_ptr 1
		.amdhsa_user_sgpr_dispatch_id 0
		.amdhsa_user_sgpr_flat_scratch_init 0
		.amdhsa_user_sgpr_kernarg_preload_length 0
		.amdhsa_user_sgpr_kernarg_preload_offset 0
		.amdhsa_user_sgpr_private_segment_size 0
		.amdhsa_uses_dynamic_stack 0
		.amdhsa_system_sgpr_private_segment_wavefront_offset 0
		.amdhsa_system_sgpr_workgroup_id_x 1
		.amdhsa_system_sgpr_workgroup_id_y 0
		.amdhsa_system_sgpr_workgroup_id_z 0
		.amdhsa_system_sgpr_workgroup_info 0
		.amdhsa_system_vgpr_workitem_id 0
		.amdhsa_next_free_vgpr 1
		.amdhsa_next_free_sgpr 0
		.amdhsa_accum_offset 4
		.amdhsa_reserve_vcc 0
		.amdhsa_reserve_flat_scratch 0
		.amdhsa_float_round_mode_32 0
		.amdhsa_float_round_mode_16_64 0
		.amdhsa_float_denorm_mode_32 3
		.amdhsa_float_denorm_mode_16_64 3
		.amdhsa_dx10_clamp 1
		.amdhsa_ieee_mode 1
		.amdhsa_fp16_overflow 0
		.amdhsa_tg_split 0
		.amdhsa_exception_fp_ieee_invalid_op 0
		.amdhsa_exception_fp_denorm_src 0
		.amdhsa_exception_fp_ieee_div_zero 0
		.amdhsa_exception_fp_ieee_overflow 0
		.amdhsa_exception_fp_ieee_underflow 0
		.amdhsa_exception_fp_ieee_inexact 0
		.amdhsa_exception_int_div_zero 0
	.end_amdhsa_kernel
	.section	.text._ZN7rocprim17ROCPRIM_400000_NS6detail17trampoline_kernelINS0_14default_configENS1_22reduce_config_selectorIN6thrust23THRUST_200600_302600_NS5tupleIblNS6_9null_typeES8_S8_S8_S8_S8_S8_S8_EEEEZNS1_11reduce_implILb1ES3_NS6_12zip_iteratorINS7_INS6_11hip_rocprim26transform_input_iterator_tIbPKhN2at6native10EqualsModeEEENSD_19counting_iterator_tIlEES8_S8_S8_S8_S8_S8_S8_S8_EEEEPS9_S9_NSD_9__find_if7functorIS9_EEEE10hipError_tPvRmT1_T2_T3_mT4_P12ihipStream_tbEUlT_E1_NS1_11comp_targetILNS1_3genE10ELNS1_11target_archE1201ELNS1_3gpuE5ELNS1_3repE0EEENS1_30default_config_static_selectorELNS0_4arch9wavefront6targetE1EEEvSW_,"axG",@progbits,_ZN7rocprim17ROCPRIM_400000_NS6detail17trampoline_kernelINS0_14default_configENS1_22reduce_config_selectorIN6thrust23THRUST_200600_302600_NS5tupleIblNS6_9null_typeES8_S8_S8_S8_S8_S8_S8_EEEEZNS1_11reduce_implILb1ES3_NS6_12zip_iteratorINS7_INS6_11hip_rocprim26transform_input_iterator_tIbPKhN2at6native10EqualsModeEEENSD_19counting_iterator_tIlEES8_S8_S8_S8_S8_S8_S8_S8_EEEEPS9_S9_NSD_9__find_if7functorIS9_EEEE10hipError_tPvRmT1_T2_T3_mT4_P12ihipStream_tbEUlT_E1_NS1_11comp_targetILNS1_3genE10ELNS1_11target_archE1201ELNS1_3gpuE5ELNS1_3repE0EEENS1_30default_config_static_selectorELNS0_4arch9wavefront6targetE1EEEvSW_,comdat
.Lfunc_end68:
	.size	_ZN7rocprim17ROCPRIM_400000_NS6detail17trampoline_kernelINS0_14default_configENS1_22reduce_config_selectorIN6thrust23THRUST_200600_302600_NS5tupleIblNS6_9null_typeES8_S8_S8_S8_S8_S8_S8_EEEEZNS1_11reduce_implILb1ES3_NS6_12zip_iteratorINS7_INS6_11hip_rocprim26transform_input_iterator_tIbPKhN2at6native10EqualsModeEEENSD_19counting_iterator_tIlEES8_S8_S8_S8_S8_S8_S8_S8_EEEEPS9_S9_NSD_9__find_if7functorIS9_EEEE10hipError_tPvRmT1_T2_T3_mT4_P12ihipStream_tbEUlT_E1_NS1_11comp_targetILNS1_3genE10ELNS1_11target_archE1201ELNS1_3gpuE5ELNS1_3repE0EEENS1_30default_config_static_selectorELNS0_4arch9wavefront6targetE1EEEvSW_, .Lfunc_end68-_ZN7rocprim17ROCPRIM_400000_NS6detail17trampoline_kernelINS0_14default_configENS1_22reduce_config_selectorIN6thrust23THRUST_200600_302600_NS5tupleIblNS6_9null_typeES8_S8_S8_S8_S8_S8_S8_EEEEZNS1_11reduce_implILb1ES3_NS6_12zip_iteratorINS7_INS6_11hip_rocprim26transform_input_iterator_tIbPKhN2at6native10EqualsModeEEENSD_19counting_iterator_tIlEES8_S8_S8_S8_S8_S8_S8_S8_EEEEPS9_S9_NSD_9__find_if7functorIS9_EEEE10hipError_tPvRmT1_T2_T3_mT4_P12ihipStream_tbEUlT_E1_NS1_11comp_targetILNS1_3genE10ELNS1_11target_archE1201ELNS1_3gpuE5ELNS1_3repE0EEENS1_30default_config_static_selectorELNS0_4arch9wavefront6targetE1EEEvSW_
                                        ; -- End function
	.section	.AMDGPU.csdata,"",@progbits
; Kernel info:
; codeLenInByte = 0
; NumSgprs: 4
; NumVgprs: 0
; NumAgprs: 0
; TotalNumVgprs: 0
; ScratchSize: 0
; MemoryBound: 0
; FloatMode: 240
; IeeeMode: 1
; LDSByteSize: 0 bytes/workgroup (compile time only)
; SGPRBlocks: 0
; VGPRBlocks: 0
; NumSGPRsForWavesPerEU: 4
; NumVGPRsForWavesPerEU: 1
; AccumOffset: 4
; Occupancy: 8
; WaveLimiterHint : 0
; COMPUTE_PGM_RSRC2:SCRATCH_EN: 0
; COMPUTE_PGM_RSRC2:USER_SGPR: 6
; COMPUTE_PGM_RSRC2:TRAP_HANDLER: 0
; COMPUTE_PGM_RSRC2:TGID_X_EN: 1
; COMPUTE_PGM_RSRC2:TGID_Y_EN: 0
; COMPUTE_PGM_RSRC2:TGID_Z_EN: 0
; COMPUTE_PGM_RSRC2:TIDIG_COMP_CNT: 0
; COMPUTE_PGM_RSRC3_GFX90A:ACCUM_OFFSET: 0
; COMPUTE_PGM_RSRC3_GFX90A:TG_SPLIT: 0
	.section	.text._ZN7rocprim17ROCPRIM_400000_NS6detail17trampoline_kernelINS0_14default_configENS1_22reduce_config_selectorIN6thrust23THRUST_200600_302600_NS5tupleIblNS6_9null_typeES8_S8_S8_S8_S8_S8_S8_EEEEZNS1_11reduce_implILb1ES3_NS6_12zip_iteratorINS7_INS6_11hip_rocprim26transform_input_iterator_tIbPKhN2at6native10EqualsModeEEENSD_19counting_iterator_tIlEES8_S8_S8_S8_S8_S8_S8_S8_EEEEPS9_S9_NSD_9__find_if7functorIS9_EEEE10hipError_tPvRmT1_T2_T3_mT4_P12ihipStream_tbEUlT_E1_NS1_11comp_targetILNS1_3genE10ELNS1_11target_archE1200ELNS1_3gpuE4ELNS1_3repE0EEENS1_30default_config_static_selectorELNS0_4arch9wavefront6targetE1EEEvSW_,"axG",@progbits,_ZN7rocprim17ROCPRIM_400000_NS6detail17trampoline_kernelINS0_14default_configENS1_22reduce_config_selectorIN6thrust23THRUST_200600_302600_NS5tupleIblNS6_9null_typeES8_S8_S8_S8_S8_S8_S8_EEEEZNS1_11reduce_implILb1ES3_NS6_12zip_iteratorINS7_INS6_11hip_rocprim26transform_input_iterator_tIbPKhN2at6native10EqualsModeEEENSD_19counting_iterator_tIlEES8_S8_S8_S8_S8_S8_S8_S8_EEEEPS9_S9_NSD_9__find_if7functorIS9_EEEE10hipError_tPvRmT1_T2_T3_mT4_P12ihipStream_tbEUlT_E1_NS1_11comp_targetILNS1_3genE10ELNS1_11target_archE1200ELNS1_3gpuE4ELNS1_3repE0EEENS1_30default_config_static_selectorELNS0_4arch9wavefront6targetE1EEEvSW_,comdat
	.protected	_ZN7rocprim17ROCPRIM_400000_NS6detail17trampoline_kernelINS0_14default_configENS1_22reduce_config_selectorIN6thrust23THRUST_200600_302600_NS5tupleIblNS6_9null_typeES8_S8_S8_S8_S8_S8_S8_EEEEZNS1_11reduce_implILb1ES3_NS6_12zip_iteratorINS7_INS6_11hip_rocprim26transform_input_iterator_tIbPKhN2at6native10EqualsModeEEENSD_19counting_iterator_tIlEES8_S8_S8_S8_S8_S8_S8_S8_EEEEPS9_S9_NSD_9__find_if7functorIS9_EEEE10hipError_tPvRmT1_T2_T3_mT4_P12ihipStream_tbEUlT_E1_NS1_11comp_targetILNS1_3genE10ELNS1_11target_archE1200ELNS1_3gpuE4ELNS1_3repE0EEENS1_30default_config_static_selectorELNS0_4arch9wavefront6targetE1EEEvSW_ ; -- Begin function _ZN7rocprim17ROCPRIM_400000_NS6detail17trampoline_kernelINS0_14default_configENS1_22reduce_config_selectorIN6thrust23THRUST_200600_302600_NS5tupleIblNS6_9null_typeES8_S8_S8_S8_S8_S8_S8_EEEEZNS1_11reduce_implILb1ES3_NS6_12zip_iteratorINS7_INS6_11hip_rocprim26transform_input_iterator_tIbPKhN2at6native10EqualsModeEEENSD_19counting_iterator_tIlEES8_S8_S8_S8_S8_S8_S8_S8_EEEEPS9_S9_NSD_9__find_if7functorIS9_EEEE10hipError_tPvRmT1_T2_T3_mT4_P12ihipStream_tbEUlT_E1_NS1_11comp_targetILNS1_3genE10ELNS1_11target_archE1200ELNS1_3gpuE4ELNS1_3repE0EEENS1_30default_config_static_selectorELNS0_4arch9wavefront6targetE1EEEvSW_
	.globl	_ZN7rocprim17ROCPRIM_400000_NS6detail17trampoline_kernelINS0_14default_configENS1_22reduce_config_selectorIN6thrust23THRUST_200600_302600_NS5tupleIblNS6_9null_typeES8_S8_S8_S8_S8_S8_S8_EEEEZNS1_11reduce_implILb1ES3_NS6_12zip_iteratorINS7_INS6_11hip_rocprim26transform_input_iterator_tIbPKhN2at6native10EqualsModeEEENSD_19counting_iterator_tIlEES8_S8_S8_S8_S8_S8_S8_S8_EEEEPS9_S9_NSD_9__find_if7functorIS9_EEEE10hipError_tPvRmT1_T2_T3_mT4_P12ihipStream_tbEUlT_E1_NS1_11comp_targetILNS1_3genE10ELNS1_11target_archE1200ELNS1_3gpuE4ELNS1_3repE0EEENS1_30default_config_static_selectorELNS0_4arch9wavefront6targetE1EEEvSW_
	.p2align	8
	.type	_ZN7rocprim17ROCPRIM_400000_NS6detail17trampoline_kernelINS0_14default_configENS1_22reduce_config_selectorIN6thrust23THRUST_200600_302600_NS5tupleIblNS6_9null_typeES8_S8_S8_S8_S8_S8_S8_EEEEZNS1_11reduce_implILb1ES3_NS6_12zip_iteratorINS7_INS6_11hip_rocprim26transform_input_iterator_tIbPKhN2at6native10EqualsModeEEENSD_19counting_iterator_tIlEES8_S8_S8_S8_S8_S8_S8_S8_EEEEPS9_S9_NSD_9__find_if7functorIS9_EEEE10hipError_tPvRmT1_T2_T3_mT4_P12ihipStream_tbEUlT_E1_NS1_11comp_targetILNS1_3genE10ELNS1_11target_archE1200ELNS1_3gpuE4ELNS1_3repE0EEENS1_30default_config_static_selectorELNS0_4arch9wavefront6targetE1EEEvSW_,@function
_ZN7rocprim17ROCPRIM_400000_NS6detail17trampoline_kernelINS0_14default_configENS1_22reduce_config_selectorIN6thrust23THRUST_200600_302600_NS5tupleIblNS6_9null_typeES8_S8_S8_S8_S8_S8_S8_EEEEZNS1_11reduce_implILb1ES3_NS6_12zip_iteratorINS7_INS6_11hip_rocprim26transform_input_iterator_tIbPKhN2at6native10EqualsModeEEENSD_19counting_iterator_tIlEES8_S8_S8_S8_S8_S8_S8_S8_EEEEPS9_S9_NSD_9__find_if7functorIS9_EEEE10hipError_tPvRmT1_T2_T3_mT4_P12ihipStream_tbEUlT_E1_NS1_11comp_targetILNS1_3genE10ELNS1_11target_archE1200ELNS1_3gpuE4ELNS1_3repE0EEENS1_30default_config_static_selectorELNS0_4arch9wavefront6targetE1EEEvSW_: ; @_ZN7rocprim17ROCPRIM_400000_NS6detail17trampoline_kernelINS0_14default_configENS1_22reduce_config_selectorIN6thrust23THRUST_200600_302600_NS5tupleIblNS6_9null_typeES8_S8_S8_S8_S8_S8_S8_EEEEZNS1_11reduce_implILb1ES3_NS6_12zip_iteratorINS7_INS6_11hip_rocprim26transform_input_iterator_tIbPKhN2at6native10EqualsModeEEENSD_19counting_iterator_tIlEES8_S8_S8_S8_S8_S8_S8_S8_EEEEPS9_S9_NSD_9__find_if7functorIS9_EEEE10hipError_tPvRmT1_T2_T3_mT4_P12ihipStream_tbEUlT_E1_NS1_11comp_targetILNS1_3genE10ELNS1_11target_archE1200ELNS1_3gpuE4ELNS1_3repE0EEENS1_30default_config_static_selectorELNS0_4arch9wavefront6targetE1EEEvSW_
; %bb.0:
	.section	.rodata,"a",@progbits
	.p2align	6, 0x0
	.amdhsa_kernel _ZN7rocprim17ROCPRIM_400000_NS6detail17trampoline_kernelINS0_14default_configENS1_22reduce_config_selectorIN6thrust23THRUST_200600_302600_NS5tupleIblNS6_9null_typeES8_S8_S8_S8_S8_S8_S8_EEEEZNS1_11reduce_implILb1ES3_NS6_12zip_iteratorINS7_INS6_11hip_rocprim26transform_input_iterator_tIbPKhN2at6native10EqualsModeEEENSD_19counting_iterator_tIlEES8_S8_S8_S8_S8_S8_S8_S8_EEEEPS9_S9_NSD_9__find_if7functorIS9_EEEE10hipError_tPvRmT1_T2_T3_mT4_P12ihipStream_tbEUlT_E1_NS1_11comp_targetILNS1_3genE10ELNS1_11target_archE1200ELNS1_3gpuE4ELNS1_3repE0EEENS1_30default_config_static_selectorELNS0_4arch9wavefront6targetE1EEEvSW_
		.amdhsa_group_segment_fixed_size 0
		.amdhsa_private_segment_fixed_size 0
		.amdhsa_kernarg_size 72
		.amdhsa_user_sgpr_count 6
		.amdhsa_user_sgpr_private_segment_buffer 1
		.amdhsa_user_sgpr_dispatch_ptr 0
		.amdhsa_user_sgpr_queue_ptr 0
		.amdhsa_user_sgpr_kernarg_segment_ptr 1
		.amdhsa_user_sgpr_dispatch_id 0
		.amdhsa_user_sgpr_flat_scratch_init 0
		.amdhsa_user_sgpr_kernarg_preload_length 0
		.amdhsa_user_sgpr_kernarg_preload_offset 0
		.amdhsa_user_sgpr_private_segment_size 0
		.amdhsa_uses_dynamic_stack 0
		.amdhsa_system_sgpr_private_segment_wavefront_offset 0
		.amdhsa_system_sgpr_workgroup_id_x 1
		.amdhsa_system_sgpr_workgroup_id_y 0
		.amdhsa_system_sgpr_workgroup_id_z 0
		.amdhsa_system_sgpr_workgroup_info 0
		.amdhsa_system_vgpr_workitem_id 0
		.amdhsa_next_free_vgpr 1
		.amdhsa_next_free_sgpr 0
		.amdhsa_accum_offset 4
		.amdhsa_reserve_vcc 0
		.amdhsa_reserve_flat_scratch 0
		.amdhsa_float_round_mode_32 0
		.amdhsa_float_round_mode_16_64 0
		.amdhsa_float_denorm_mode_32 3
		.amdhsa_float_denorm_mode_16_64 3
		.amdhsa_dx10_clamp 1
		.amdhsa_ieee_mode 1
		.amdhsa_fp16_overflow 0
		.amdhsa_tg_split 0
		.amdhsa_exception_fp_ieee_invalid_op 0
		.amdhsa_exception_fp_denorm_src 0
		.amdhsa_exception_fp_ieee_div_zero 0
		.amdhsa_exception_fp_ieee_overflow 0
		.amdhsa_exception_fp_ieee_underflow 0
		.amdhsa_exception_fp_ieee_inexact 0
		.amdhsa_exception_int_div_zero 0
	.end_amdhsa_kernel
	.section	.text._ZN7rocprim17ROCPRIM_400000_NS6detail17trampoline_kernelINS0_14default_configENS1_22reduce_config_selectorIN6thrust23THRUST_200600_302600_NS5tupleIblNS6_9null_typeES8_S8_S8_S8_S8_S8_S8_EEEEZNS1_11reduce_implILb1ES3_NS6_12zip_iteratorINS7_INS6_11hip_rocprim26transform_input_iterator_tIbPKhN2at6native10EqualsModeEEENSD_19counting_iterator_tIlEES8_S8_S8_S8_S8_S8_S8_S8_EEEEPS9_S9_NSD_9__find_if7functorIS9_EEEE10hipError_tPvRmT1_T2_T3_mT4_P12ihipStream_tbEUlT_E1_NS1_11comp_targetILNS1_3genE10ELNS1_11target_archE1200ELNS1_3gpuE4ELNS1_3repE0EEENS1_30default_config_static_selectorELNS0_4arch9wavefront6targetE1EEEvSW_,"axG",@progbits,_ZN7rocprim17ROCPRIM_400000_NS6detail17trampoline_kernelINS0_14default_configENS1_22reduce_config_selectorIN6thrust23THRUST_200600_302600_NS5tupleIblNS6_9null_typeES8_S8_S8_S8_S8_S8_S8_EEEEZNS1_11reduce_implILb1ES3_NS6_12zip_iteratorINS7_INS6_11hip_rocprim26transform_input_iterator_tIbPKhN2at6native10EqualsModeEEENSD_19counting_iterator_tIlEES8_S8_S8_S8_S8_S8_S8_S8_EEEEPS9_S9_NSD_9__find_if7functorIS9_EEEE10hipError_tPvRmT1_T2_T3_mT4_P12ihipStream_tbEUlT_E1_NS1_11comp_targetILNS1_3genE10ELNS1_11target_archE1200ELNS1_3gpuE4ELNS1_3repE0EEENS1_30default_config_static_selectorELNS0_4arch9wavefront6targetE1EEEvSW_,comdat
.Lfunc_end69:
	.size	_ZN7rocprim17ROCPRIM_400000_NS6detail17trampoline_kernelINS0_14default_configENS1_22reduce_config_selectorIN6thrust23THRUST_200600_302600_NS5tupleIblNS6_9null_typeES8_S8_S8_S8_S8_S8_S8_EEEEZNS1_11reduce_implILb1ES3_NS6_12zip_iteratorINS7_INS6_11hip_rocprim26transform_input_iterator_tIbPKhN2at6native10EqualsModeEEENSD_19counting_iterator_tIlEES8_S8_S8_S8_S8_S8_S8_S8_EEEEPS9_S9_NSD_9__find_if7functorIS9_EEEE10hipError_tPvRmT1_T2_T3_mT4_P12ihipStream_tbEUlT_E1_NS1_11comp_targetILNS1_3genE10ELNS1_11target_archE1200ELNS1_3gpuE4ELNS1_3repE0EEENS1_30default_config_static_selectorELNS0_4arch9wavefront6targetE1EEEvSW_, .Lfunc_end69-_ZN7rocprim17ROCPRIM_400000_NS6detail17trampoline_kernelINS0_14default_configENS1_22reduce_config_selectorIN6thrust23THRUST_200600_302600_NS5tupleIblNS6_9null_typeES8_S8_S8_S8_S8_S8_S8_EEEEZNS1_11reduce_implILb1ES3_NS6_12zip_iteratorINS7_INS6_11hip_rocprim26transform_input_iterator_tIbPKhN2at6native10EqualsModeEEENSD_19counting_iterator_tIlEES8_S8_S8_S8_S8_S8_S8_S8_EEEEPS9_S9_NSD_9__find_if7functorIS9_EEEE10hipError_tPvRmT1_T2_T3_mT4_P12ihipStream_tbEUlT_E1_NS1_11comp_targetILNS1_3genE10ELNS1_11target_archE1200ELNS1_3gpuE4ELNS1_3repE0EEENS1_30default_config_static_selectorELNS0_4arch9wavefront6targetE1EEEvSW_
                                        ; -- End function
	.section	.AMDGPU.csdata,"",@progbits
; Kernel info:
; codeLenInByte = 0
; NumSgprs: 4
; NumVgprs: 0
; NumAgprs: 0
; TotalNumVgprs: 0
; ScratchSize: 0
; MemoryBound: 0
; FloatMode: 240
; IeeeMode: 1
; LDSByteSize: 0 bytes/workgroup (compile time only)
; SGPRBlocks: 0
; VGPRBlocks: 0
; NumSGPRsForWavesPerEU: 4
; NumVGPRsForWavesPerEU: 1
; AccumOffset: 4
; Occupancy: 8
; WaveLimiterHint : 0
; COMPUTE_PGM_RSRC2:SCRATCH_EN: 0
; COMPUTE_PGM_RSRC2:USER_SGPR: 6
; COMPUTE_PGM_RSRC2:TRAP_HANDLER: 0
; COMPUTE_PGM_RSRC2:TGID_X_EN: 1
; COMPUTE_PGM_RSRC2:TGID_Y_EN: 0
; COMPUTE_PGM_RSRC2:TGID_Z_EN: 0
; COMPUTE_PGM_RSRC2:TIDIG_COMP_CNT: 0
; COMPUTE_PGM_RSRC3_GFX90A:ACCUM_OFFSET: 0
; COMPUTE_PGM_RSRC3_GFX90A:TG_SPLIT: 0
	.section	.text._ZN7rocprim17ROCPRIM_400000_NS6detail17trampoline_kernelINS0_14default_configENS1_22reduce_config_selectorIN6thrust23THRUST_200600_302600_NS5tupleIblNS6_9null_typeES8_S8_S8_S8_S8_S8_S8_EEEEZNS1_11reduce_implILb1ES3_NS6_12zip_iteratorINS7_INS6_11hip_rocprim26transform_input_iterator_tIbPKhN2at6native10EqualsModeEEENSD_19counting_iterator_tIlEES8_S8_S8_S8_S8_S8_S8_S8_EEEEPS9_S9_NSD_9__find_if7functorIS9_EEEE10hipError_tPvRmT1_T2_T3_mT4_P12ihipStream_tbEUlT_E1_NS1_11comp_targetILNS1_3genE9ELNS1_11target_archE1100ELNS1_3gpuE3ELNS1_3repE0EEENS1_30default_config_static_selectorELNS0_4arch9wavefront6targetE1EEEvSW_,"axG",@progbits,_ZN7rocprim17ROCPRIM_400000_NS6detail17trampoline_kernelINS0_14default_configENS1_22reduce_config_selectorIN6thrust23THRUST_200600_302600_NS5tupleIblNS6_9null_typeES8_S8_S8_S8_S8_S8_S8_EEEEZNS1_11reduce_implILb1ES3_NS6_12zip_iteratorINS7_INS6_11hip_rocprim26transform_input_iterator_tIbPKhN2at6native10EqualsModeEEENSD_19counting_iterator_tIlEES8_S8_S8_S8_S8_S8_S8_S8_EEEEPS9_S9_NSD_9__find_if7functorIS9_EEEE10hipError_tPvRmT1_T2_T3_mT4_P12ihipStream_tbEUlT_E1_NS1_11comp_targetILNS1_3genE9ELNS1_11target_archE1100ELNS1_3gpuE3ELNS1_3repE0EEENS1_30default_config_static_selectorELNS0_4arch9wavefront6targetE1EEEvSW_,comdat
	.protected	_ZN7rocprim17ROCPRIM_400000_NS6detail17trampoline_kernelINS0_14default_configENS1_22reduce_config_selectorIN6thrust23THRUST_200600_302600_NS5tupleIblNS6_9null_typeES8_S8_S8_S8_S8_S8_S8_EEEEZNS1_11reduce_implILb1ES3_NS6_12zip_iteratorINS7_INS6_11hip_rocprim26transform_input_iterator_tIbPKhN2at6native10EqualsModeEEENSD_19counting_iterator_tIlEES8_S8_S8_S8_S8_S8_S8_S8_EEEEPS9_S9_NSD_9__find_if7functorIS9_EEEE10hipError_tPvRmT1_T2_T3_mT4_P12ihipStream_tbEUlT_E1_NS1_11comp_targetILNS1_3genE9ELNS1_11target_archE1100ELNS1_3gpuE3ELNS1_3repE0EEENS1_30default_config_static_selectorELNS0_4arch9wavefront6targetE1EEEvSW_ ; -- Begin function _ZN7rocprim17ROCPRIM_400000_NS6detail17trampoline_kernelINS0_14default_configENS1_22reduce_config_selectorIN6thrust23THRUST_200600_302600_NS5tupleIblNS6_9null_typeES8_S8_S8_S8_S8_S8_S8_EEEEZNS1_11reduce_implILb1ES3_NS6_12zip_iteratorINS7_INS6_11hip_rocprim26transform_input_iterator_tIbPKhN2at6native10EqualsModeEEENSD_19counting_iterator_tIlEES8_S8_S8_S8_S8_S8_S8_S8_EEEEPS9_S9_NSD_9__find_if7functorIS9_EEEE10hipError_tPvRmT1_T2_T3_mT4_P12ihipStream_tbEUlT_E1_NS1_11comp_targetILNS1_3genE9ELNS1_11target_archE1100ELNS1_3gpuE3ELNS1_3repE0EEENS1_30default_config_static_selectorELNS0_4arch9wavefront6targetE1EEEvSW_
	.globl	_ZN7rocprim17ROCPRIM_400000_NS6detail17trampoline_kernelINS0_14default_configENS1_22reduce_config_selectorIN6thrust23THRUST_200600_302600_NS5tupleIblNS6_9null_typeES8_S8_S8_S8_S8_S8_S8_EEEEZNS1_11reduce_implILb1ES3_NS6_12zip_iteratorINS7_INS6_11hip_rocprim26transform_input_iterator_tIbPKhN2at6native10EqualsModeEEENSD_19counting_iterator_tIlEES8_S8_S8_S8_S8_S8_S8_S8_EEEEPS9_S9_NSD_9__find_if7functorIS9_EEEE10hipError_tPvRmT1_T2_T3_mT4_P12ihipStream_tbEUlT_E1_NS1_11comp_targetILNS1_3genE9ELNS1_11target_archE1100ELNS1_3gpuE3ELNS1_3repE0EEENS1_30default_config_static_selectorELNS0_4arch9wavefront6targetE1EEEvSW_
	.p2align	8
	.type	_ZN7rocprim17ROCPRIM_400000_NS6detail17trampoline_kernelINS0_14default_configENS1_22reduce_config_selectorIN6thrust23THRUST_200600_302600_NS5tupleIblNS6_9null_typeES8_S8_S8_S8_S8_S8_S8_EEEEZNS1_11reduce_implILb1ES3_NS6_12zip_iteratorINS7_INS6_11hip_rocprim26transform_input_iterator_tIbPKhN2at6native10EqualsModeEEENSD_19counting_iterator_tIlEES8_S8_S8_S8_S8_S8_S8_S8_EEEEPS9_S9_NSD_9__find_if7functorIS9_EEEE10hipError_tPvRmT1_T2_T3_mT4_P12ihipStream_tbEUlT_E1_NS1_11comp_targetILNS1_3genE9ELNS1_11target_archE1100ELNS1_3gpuE3ELNS1_3repE0EEENS1_30default_config_static_selectorELNS0_4arch9wavefront6targetE1EEEvSW_,@function
_ZN7rocprim17ROCPRIM_400000_NS6detail17trampoline_kernelINS0_14default_configENS1_22reduce_config_selectorIN6thrust23THRUST_200600_302600_NS5tupleIblNS6_9null_typeES8_S8_S8_S8_S8_S8_S8_EEEEZNS1_11reduce_implILb1ES3_NS6_12zip_iteratorINS7_INS6_11hip_rocprim26transform_input_iterator_tIbPKhN2at6native10EqualsModeEEENSD_19counting_iterator_tIlEES8_S8_S8_S8_S8_S8_S8_S8_EEEEPS9_S9_NSD_9__find_if7functorIS9_EEEE10hipError_tPvRmT1_T2_T3_mT4_P12ihipStream_tbEUlT_E1_NS1_11comp_targetILNS1_3genE9ELNS1_11target_archE1100ELNS1_3gpuE3ELNS1_3repE0EEENS1_30default_config_static_selectorELNS0_4arch9wavefront6targetE1EEEvSW_: ; @_ZN7rocprim17ROCPRIM_400000_NS6detail17trampoline_kernelINS0_14default_configENS1_22reduce_config_selectorIN6thrust23THRUST_200600_302600_NS5tupleIblNS6_9null_typeES8_S8_S8_S8_S8_S8_S8_EEEEZNS1_11reduce_implILb1ES3_NS6_12zip_iteratorINS7_INS6_11hip_rocprim26transform_input_iterator_tIbPKhN2at6native10EqualsModeEEENSD_19counting_iterator_tIlEES8_S8_S8_S8_S8_S8_S8_S8_EEEEPS9_S9_NSD_9__find_if7functorIS9_EEEE10hipError_tPvRmT1_T2_T3_mT4_P12ihipStream_tbEUlT_E1_NS1_11comp_targetILNS1_3genE9ELNS1_11target_archE1100ELNS1_3gpuE3ELNS1_3repE0EEENS1_30default_config_static_selectorELNS0_4arch9wavefront6targetE1EEEvSW_
; %bb.0:
	.section	.rodata,"a",@progbits
	.p2align	6, 0x0
	.amdhsa_kernel _ZN7rocprim17ROCPRIM_400000_NS6detail17trampoline_kernelINS0_14default_configENS1_22reduce_config_selectorIN6thrust23THRUST_200600_302600_NS5tupleIblNS6_9null_typeES8_S8_S8_S8_S8_S8_S8_EEEEZNS1_11reduce_implILb1ES3_NS6_12zip_iteratorINS7_INS6_11hip_rocprim26transform_input_iterator_tIbPKhN2at6native10EqualsModeEEENSD_19counting_iterator_tIlEES8_S8_S8_S8_S8_S8_S8_S8_EEEEPS9_S9_NSD_9__find_if7functorIS9_EEEE10hipError_tPvRmT1_T2_T3_mT4_P12ihipStream_tbEUlT_E1_NS1_11comp_targetILNS1_3genE9ELNS1_11target_archE1100ELNS1_3gpuE3ELNS1_3repE0EEENS1_30default_config_static_selectorELNS0_4arch9wavefront6targetE1EEEvSW_
		.amdhsa_group_segment_fixed_size 0
		.amdhsa_private_segment_fixed_size 0
		.amdhsa_kernarg_size 72
		.amdhsa_user_sgpr_count 6
		.amdhsa_user_sgpr_private_segment_buffer 1
		.amdhsa_user_sgpr_dispatch_ptr 0
		.amdhsa_user_sgpr_queue_ptr 0
		.amdhsa_user_sgpr_kernarg_segment_ptr 1
		.amdhsa_user_sgpr_dispatch_id 0
		.amdhsa_user_sgpr_flat_scratch_init 0
		.amdhsa_user_sgpr_kernarg_preload_length 0
		.amdhsa_user_sgpr_kernarg_preload_offset 0
		.amdhsa_user_sgpr_private_segment_size 0
		.amdhsa_uses_dynamic_stack 0
		.amdhsa_system_sgpr_private_segment_wavefront_offset 0
		.amdhsa_system_sgpr_workgroup_id_x 1
		.amdhsa_system_sgpr_workgroup_id_y 0
		.amdhsa_system_sgpr_workgroup_id_z 0
		.amdhsa_system_sgpr_workgroup_info 0
		.amdhsa_system_vgpr_workitem_id 0
		.amdhsa_next_free_vgpr 1
		.amdhsa_next_free_sgpr 0
		.amdhsa_accum_offset 4
		.amdhsa_reserve_vcc 0
		.amdhsa_reserve_flat_scratch 0
		.amdhsa_float_round_mode_32 0
		.amdhsa_float_round_mode_16_64 0
		.amdhsa_float_denorm_mode_32 3
		.amdhsa_float_denorm_mode_16_64 3
		.amdhsa_dx10_clamp 1
		.amdhsa_ieee_mode 1
		.amdhsa_fp16_overflow 0
		.amdhsa_tg_split 0
		.amdhsa_exception_fp_ieee_invalid_op 0
		.amdhsa_exception_fp_denorm_src 0
		.amdhsa_exception_fp_ieee_div_zero 0
		.amdhsa_exception_fp_ieee_overflow 0
		.amdhsa_exception_fp_ieee_underflow 0
		.amdhsa_exception_fp_ieee_inexact 0
		.amdhsa_exception_int_div_zero 0
	.end_amdhsa_kernel
	.section	.text._ZN7rocprim17ROCPRIM_400000_NS6detail17trampoline_kernelINS0_14default_configENS1_22reduce_config_selectorIN6thrust23THRUST_200600_302600_NS5tupleIblNS6_9null_typeES8_S8_S8_S8_S8_S8_S8_EEEEZNS1_11reduce_implILb1ES3_NS6_12zip_iteratorINS7_INS6_11hip_rocprim26transform_input_iterator_tIbPKhN2at6native10EqualsModeEEENSD_19counting_iterator_tIlEES8_S8_S8_S8_S8_S8_S8_S8_EEEEPS9_S9_NSD_9__find_if7functorIS9_EEEE10hipError_tPvRmT1_T2_T3_mT4_P12ihipStream_tbEUlT_E1_NS1_11comp_targetILNS1_3genE9ELNS1_11target_archE1100ELNS1_3gpuE3ELNS1_3repE0EEENS1_30default_config_static_selectorELNS0_4arch9wavefront6targetE1EEEvSW_,"axG",@progbits,_ZN7rocprim17ROCPRIM_400000_NS6detail17trampoline_kernelINS0_14default_configENS1_22reduce_config_selectorIN6thrust23THRUST_200600_302600_NS5tupleIblNS6_9null_typeES8_S8_S8_S8_S8_S8_S8_EEEEZNS1_11reduce_implILb1ES3_NS6_12zip_iteratorINS7_INS6_11hip_rocprim26transform_input_iterator_tIbPKhN2at6native10EqualsModeEEENSD_19counting_iterator_tIlEES8_S8_S8_S8_S8_S8_S8_S8_EEEEPS9_S9_NSD_9__find_if7functorIS9_EEEE10hipError_tPvRmT1_T2_T3_mT4_P12ihipStream_tbEUlT_E1_NS1_11comp_targetILNS1_3genE9ELNS1_11target_archE1100ELNS1_3gpuE3ELNS1_3repE0EEENS1_30default_config_static_selectorELNS0_4arch9wavefront6targetE1EEEvSW_,comdat
.Lfunc_end70:
	.size	_ZN7rocprim17ROCPRIM_400000_NS6detail17trampoline_kernelINS0_14default_configENS1_22reduce_config_selectorIN6thrust23THRUST_200600_302600_NS5tupleIblNS6_9null_typeES8_S8_S8_S8_S8_S8_S8_EEEEZNS1_11reduce_implILb1ES3_NS6_12zip_iteratorINS7_INS6_11hip_rocprim26transform_input_iterator_tIbPKhN2at6native10EqualsModeEEENSD_19counting_iterator_tIlEES8_S8_S8_S8_S8_S8_S8_S8_EEEEPS9_S9_NSD_9__find_if7functorIS9_EEEE10hipError_tPvRmT1_T2_T3_mT4_P12ihipStream_tbEUlT_E1_NS1_11comp_targetILNS1_3genE9ELNS1_11target_archE1100ELNS1_3gpuE3ELNS1_3repE0EEENS1_30default_config_static_selectorELNS0_4arch9wavefront6targetE1EEEvSW_, .Lfunc_end70-_ZN7rocprim17ROCPRIM_400000_NS6detail17trampoline_kernelINS0_14default_configENS1_22reduce_config_selectorIN6thrust23THRUST_200600_302600_NS5tupleIblNS6_9null_typeES8_S8_S8_S8_S8_S8_S8_EEEEZNS1_11reduce_implILb1ES3_NS6_12zip_iteratorINS7_INS6_11hip_rocprim26transform_input_iterator_tIbPKhN2at6native10EqualsModeEEENSD_19counting_iterator_tIlEES8_S8_S8_S8_S8_S8_S8_S8_EEEEPS9_S9_NSD_9__find_if7functorIS9_EEEE10hipError_tPvRmT1_T2_T3_mT4_P12ihipStream_tbEUlT_E1_NS1_11comp_targetILNS1_3genE9ELNS1_11target_archE1100ELNS1_3gpuE3ELNS1_3repE0EEENS1_30default_config_static_selectorELNS0_4arch9wavefront6targetE1EEEvSW_
                                        ; -- End function
	.section	.AMDGPU.csdata,"",@progbits
; Kernel info:
; codeLenInByte = 0
; NumSgprs: 4
; NumVgprs: 0
; NumAgprs: 0
; TotalNumVgprs: 0
; ScratchSize: 0
; MemoryBound: 0
; FloatMode: 240
; IeeeMode: 1
; LDSByteSize: 0 bytes/workgroup (compile time only)
; SGPRBlocks: 0
; VGPRBlocks: 0
; NumSGPRsForWavesPerEU: 4
; NumVGPRsForWavesPerEU: 1
; AccumOffset: 4
; Occupancy: 8
; WaveLimiterHint : 0
; COMPUTE_PGM_RSRC2:SCRATCH_EN: 0
; COMPUTE_PGM_RSRC2:USER_SGPR: 6
; COMPUTE_PGM_RSRC2:TRAP_HANDLER: 0
; COMPUTE_PGM_RSRC2:TGID_X_EN: 1
; COMPUTE_PGM_RSRC2:TGID_Y_EN: 0
; COMPUTE_PGM_RSRC2:TGID_Z_EN: 0
; COMPUTE_PGM_RSRC2:TIDIG_COMP_CNT: 0
; COMPUTE_PGM_RSRC3_GFX90A:ACCUM_OFFSET: 0
; COMPUTE_PGM_RSRC3_GFX90A:TG_SPLIT: 0
	.section	.text._ZN7rocprim17ROCPRIM_400000_NS6detail17trampoline_kernelINS0_14default_configENS1_22reduce_config_selectorIN6thrust23THRUST_200600_302600_NS5tupleIblNS6_9null_typeES8_S8_S8_S8_S8_S8_S8_EEEEZNS1_11reduce_implILb1ES3_NS6_12zip_iteratorINS7_INS6_11hip_rocprim26transform_input_iterator_tIbPKhN2at6native10EqualsModeEEENSD_19counting_iterator_tIlEES8_S8_S8_S8_S8_S8_S8_S8_EEEEPS9_S9_NSD_9__find_if7functorIS9_EEEE10hipError_tPvRmT1_T2_T3_mT4_P12ihipStream_tbEUlT_E1_NS1_11comp_targetILNS1_3genE8ELNS1_11target_archE1030ELNS1_3gpuE2ELNS1_3repE0EEENS1_30default_config_static_selectorELNS0_4arch9wavefront6targetE1EEEvSW_,"axG",@progbits,_ZN7rocprim17ROCPRIM_400000_NS6detail17trampoline_kernelINS0_14default_configENS1_22reduce_config_selectorIN6thrust23THRUST_200600_302600_NS5tupleIblNS6_9null_typeES8_S8_S8_S8_S8_S8_S8_EEEEZNS1_11reduce_implILb1ES3_NS6_12zip_iteratorINS7_INS6_11hip_rocprim26transform_input_iterator_tIbPKhN2at6native10EqualsModeEEENSD_19counting_iterator_tIlEES8_S8_S8_S8_S8_S8_S8_S8_EEEEPS9_S9_NSD_9__find_if7functorIS9_EEEE10hipError_tPvRmT1_T2_T3_mT4_P12ihipStream_tbEUlT_E1_NS1_11comp_targetILNS1_3genE8ELNS1_11target_archE1030ELNS1_3gpuE2ELNS1_3repE0EEENS1_30default_config_static_selectorELNS0_4arch9wavefront6targetE1EEEvSW_,comdat
	.protected	_ZN7rocprim17ROCPRIM_400000_NS6detail17trampoline_kernelINS0_14default_configENS1_22reduce_config_selectorIN6thrust23THRUST_200600_302600_NS5tupleIblNS6_9null_typeES8_S8_S8_S8_S8_S8_S8_EEEEZNS1_11reduce_implILb1ES3_NS6_12zip_iteratorINS7_INS6_11hip_rocprim26transform_input_iterator_tIbPKhN2at6native10EqualsModeEEENSD_19counting_iterator_tIlEES8_S8_S8_S8_S8_S8_S8_S8_EEEEPS9_S9_NSD_9__find_if7functorIS9_EEEE10hipError_tPvRmT1_T2_T3_mT4_P12ihipStream_tbEUlT_E1_NS1_11comp_targetILNS1_3genE8ELNS1_11target_archE1030ELNS1_3gpuE2ELNS1_3repE0EEENS1_30default_config_static_selectorELNS0_4arch9wavefront6targetE1EEEvSW_ ; -- Begin function _ZN7rocprim17ROCPRIM_400000_NS6detail17trampoline_kernelINS0_14default_configENS1_22reduce_config_selectorIN6thrust23THRUST_200600_302600_NS5tupleIblNS6_9null_typeES8_S8_S8_S8_S8_S8_S8_EEEEZNS1_11reduce_implILb1ES3_NS6_12zip_iteratorINS7_INS6_11hip_rocprim26transform_input_iterator_tIbPKhN2at6native10EqualsModeEEENSD_19counting_iterator_tIlEES8_S8_S8_S8_S8_S8_S8_S8_EEEEPS9_S9_NSD_9__find_if7functorIS9_EEEE10hipError_tPvRmT1_T2_T3_mT4_P12ihipStream_tbEUlT_E1_NS1_11comp_targetILNS1_3genE8ELNS1_11target_archE1030ELNS1_3gpuE2ELNS1_3repE0EEENS1_30default_config_static_selectorELNS0_4arch9wavefront6targetE1EEEvSW_
	.globl	_ZN7rocprim17ROCPRIM_400000_NS6detail17trampoline_kernelINS0_14default_configENS1_22reduce_config_selectorIN6thrust23THRUST_200600_302600_NS5tupleIblNS6_9null_typeES8_S8_S8_S8_S8_S8_S8_EEEEZNS1_11reduce_implILb1ES3_NS6_12zip_iteratorINS7_INS6_11hip_rocprim26transform_input_iterator_tIbPKhN2at6native10EqualsModeEEENSD_19counting_iterator_tIlEES8_S8_S8_S8_S8_S8_S8_S8_EEEEPS9_S9_NSD_9__find_if7functorIS9_EEEE10hipError_tPvRmT1_T2_T3_mT4_P12ihipStream_tbEUlT_E1_NS1_11comp_targetILNS1_3genE8ELNS1_11target_archE1030ELNS1_3gpuE2ELNS1_3repE0EEENS1_30default_config_static_selectorELNS0_4arch9wavefront6targetE1EEEvSW_
	.p2align	8
	.type	_ZN7rocprim17ROCPRIM_400000_NS6detail17trampoline_kernelINS0_14default_configENS1_22reduce_config_selectorIN6thrust23THRUST_200600_302600_NS5tupleIblNS6_9null_typeES8_S8_S8_S8_S8_S8_S8_EEEEZNS1_11reduce_implILb1ES3_NS6_12zip_iteratorINS7_INS6_11hip_rocprim26transform_input_iterator_tIbPKhN2at6native10EqualsModeEEENSD_19counting_iterator_tIlEES8_S8_S8_S8_S8_S8_S8_S8_EEEEPS9_S9_NSD_9__find_if7functorIS9_EEEE10hipError_tPvRmT1_T2_T3_mT4_P12ihipStream_tbEUlT_E1_NS1_11comp_targetILNS1_3genE8ELNS1_11target_archE1030ELNS1_3gpuE2ELNS1_3repE0EEENS1_30default_config_static_selectorELNS0_4arch9wavefront6targetE1EEEvSW_,@function
_ZN7rocprim17ROCPRIM_400000_NS6detail17trampoline_kernelINS0_14default_configENS1_22reduce_config_selectorIN6thrust23THRUST_200600_302600_NS5tupleIblNS6_9null_typeES8_S8_S8_S8_S8_S8_S8_EEEEZNS1_11reduce_implILb1ES3_NS6_12zip_iteratorINS7_INS6_11hip_rocprim26transform_input_iterator_tIbPKhN2at6native10EqualsModeEEENSD_19counting_iterator_tIlEES8_S8_S8_S8_S8_S8_S8_S8_EEEEPS9_S9_NSD_9__find_if7functorIS9_EEEE10hipError_tPvRmT1_T2_T3_mT4_P12ihipStream_tbEUlT_E1_NS1_11comp_targetILNS1_3genE8ELNS1_11target_archE1030ELNS1_3gpuE2ELNS1_3repE0EEENS1_30default_config_static_selectorELNS0_4arch9wavefront6targetE1EEEvSW_: ; @_ZN7rocprim17ROCPRIM_400000_NS6detail17trampoline_kernelINS0_14default_configENS1_22reduce_config_selectorIN6thrust23THRUST_200600_302600_NS5tupleIblNS6_9null_typeES8_S8_S8_S8_S8_S8_S8_EEEEZNS1_11reduce_implILb1ES3_NS6_12zip_iteratorINS7_INS6_11hip_rocprim26transform_input_iterator_tIbPKhN2at6native10EqualsModeEEENSD_19counting_iterator_tIlEES8_S8_S8_S8_S8_S8_S8_S8_EEEEPS9_S9_NSD_9__find_if7functorIS9_EEEE10hipError_tPvRmT1_T2_T3_mT4_P12ihipStream_tbEUlT_E1_NS1_11comp_targetILNS1_3genE8ELNS1_11target_archE1030ELNS1_3gpuE2ELNS1_3repE0EEENS1_30default_config_static_selectorELNS0_4arch9wavefront6targetE1EEEvSW_
; %bb.0:
	.section	.rodata,"a",@progbits
	.p2align	6, 0x0
	.amdhsa_kernel _ZN7rocprim17ROCPRIM_400000_NS6detail17trampoline_kernelINS0_14default_configENS1_22reduce_config_selectorIN6thrust23THRUST_200600_302600_NS5tupleIblNS6_9null_typeES8_S8_S8_S8_S8_S8_S8_EEEEZNS1_11reduce_implILb1ES3_NS6_12zip_iteratorINS7_INS6_11hip_rocprim26transform_input_iterator_tIbPKhN2at6native10EqualsModeEEENSD_19counting_iterator_tIlEES8_S8_S8_S8_S8_S8_S8_S8_EEEEPS9_S9_NSD_9__find_if7functorIS9_EEEE10hipError_tPvRmT1_T2_T3_mT4_P12ihipStream_tbEUlT_E1_NS1_11comp_targetILNS1_3genE8ELNS1_11target_archE1030ELNS1_3gpuE2ELNS1_3repE0EEENS1_30default_config_static_selectorELNS0_4arch9wavefront6targetE1EEEvSW_
		.amdhsa_group_segment_fixed_size 0
		.amdhsa_private_segment_fixed_size 0
		.amdhsa_kernarg_size 72
		.amdhsa_user_sgpr_count 6
		.amdhsa_user_sgpr_private_segment_buffer 1
		.amdhsa_user_sgpr_dispatch_ptr 0
		.amdhsa_user_sgpr_queue_ptr 0
		.amdhsa_user_sgpr_kernarg_segment_ptr 1
		.amdhsa_user_sgpr_dispatch_id 0
		.amdhsa_user_sgpr_flat_scratch_init 0
		.amdhsa_user_sgpr_kernarg_preload_length 0
		.amdhsa_user_sgpr_kernarg_preload_offset 0
		.amdhsa_user_sgpr_private_segment_size 0
		.amdhsa_uses_dynamic_stack 0
		.amdhsa_system_sgpr_private_segment_wavefront_offset 0
		.amdhsa_system_sgpr_workgroup_id_x 1
		.amdhsa_system_sgpr_workgroup_id_y 0
		.amdhsa_system_sgpr_workgroup_id_z 0
		.amdhsa_system_sgpr_workgroup_info 0
		.amdhsa_system_vgpr_workitem_id 0
		.amdhsa_next_free_vgpr 1
		.amdhsa_next_free_sgpr 0
		.amdhsa_accum_offset 4
		.amdhsa_reserve_vcc 0
		.amdhsa_reserve_flat_scratch 0
		.amdhsa_float_round_mode_32 0
		.amdhsa_float_round_mode_16_64 0
		.amdhsa_float_denorm_mode_32 3
		.amdhsa_float_denorm_mode_16_64 3
		.amdhsa_dx10_clamp 1
		.amdhsa_ieee_mode 1
		.amdhsa_fp16_overflow 0
		.amdhsa_tg_split 0
		.amdhsa_exception_fp_ieee_invalid_op 0
		.amdhsa_exception_fp_denorm_src 0
		.amdhsa_exception_fp_ieee_div_zero 0
		.amdhsa_exception_fp_ieee_overflow 0
		.amdhsa_exception_fp_ieee_underflow 0
		.amdhsa_exception_fp_ieee_inexact 0
		.amdhsa_exception_int_div_zero 0
	.end_amdhsa_kernel
	.section	.text._ZN7rocprim17ROCPRIM_400000_NS6detail17trampoline_kernelINS0_14default_configENS1_22reduce_config_selectorIN6thrust23THRUST_200600_302600_NS5tupleIblNS6_9null_typeES8_S8_S8_S8_S8_S8_S8_EEEEZNS1_11reduce_implILb1ES3_NS6_12zip_iteratorINS7_INS6_11hip_rocprim26transform_input_iterator_tIbPKhN2at6native10EqualsModeEEENSD_19counting_iterator_tIlEES8_S8_S8_S8_S8_S8_S8_S8_EEEEPS9_S9_NSD_9__find_if7functorIS9_EEEE10hipError_tPvRmT1_T2_T3_mT4_P12ihipStream_tbEUlT_E1_NS1_11comp_targetILNS1_3genE8ELNS1_11target_archE1030ELNS1_3gpuE2ELNS1_3repE0EEENS1_30default_config_static_selectorELNS0_4arch9wavefront6targetE1EEEvSW_,"axG",@progbits,_ZN7rocprim17ROCPRIM_400000_NS6detail17trampoline_kernelINS0_14default_configENS1_22reduce_config_selectorIN6thrust23THRUST_200600_302600_NS5tupleIblNS6_9null_typeES8_S8_S8_S8_S8_S8_S8_EEEEZNS1_11reduce_implILb1ES3_NS6_12zip_iteratorINS7_INS6_11hip_rocprim26transform_input_iterator_tIbPKhN2at6native10EqualsModeEEENSD_19counting_iterator_tIlEES8_S8_S8_S8_S8_S8_S8_S8_EEEEPS9_S9_NSD_9__find_if7functorIS9_EEEE10hipError_tPvRmT1_T2_T3_mT4_P12ihipStream_tbEUlT_E1_NS1_11comp_targetILNS1_3genE8ELNS1_11target_archE1030ELNS1_3gpuE2ELNS1_3repE0EEENS1_30default_config_static_selectorELNS0_4arch9wavefront6targetE1EEEvSW_,comdat
.Lfunc_end71:
	.size	_ZN7rocprim17ROCPRIM_400000_NS6detail17trampoline_kernelINS0_14default_configENS1_22reduce_config_selectorIN6thrust23THRUST_200600_302600_NS5tupleIblNS6_9null_typeES8_S8_S8_S8_S8_S8_S8_EEEEZNS1_11reduce_implILb1ES3_NS6_12zip_iteratorINS7_INS6_11hip_rocprim26transform_input_iterator_tIbPKhN2at6native10EqualsModeEEENSD_19counting_iterator_tIlEES8_S8_S8_S8_S8_S8_S8_S8_EEEEPS9_S9_NSD_9__find_if7functorIS9_EEEE10hipError_tPvRmT1_T2_T3_mT4_P12ihipStream_tbEUlT_E1_NS1_11comp_targetILNS1_3genE8ELNS1_11target_archE1030ELNS1_3gpuE2ELNS1_3repE0EEENS1_30default_config_static_selectorELNS0_4arch9wavefront6targetE1EEEvSW_, .Lfunc_end71-_ZN7rocprim17ROCPRIM_400000_NS6detail17trampoline_kernelINS0_14default_configENS1_22reduce_config_selectorIN6thrust23THRUST_200600_302600_NS5tupleIblNS6_9null_typeES8_S8_S8_S8_S8_S8_S8_EEEEZNS1_11reduce_implILb1ES3_NS6_12zip_iteratorINS7_INS6_11hip_rocprim26transform_input_iterator_tIbPKhN2at6native10EqualsModeEEENSD_19counting_iterator_tIlEES8_S8_S8_S8_S8_S8_S8_S8_EEEEPS9_S9_NSD_9__find_if7functorIS9_EEEE10hipError_tPvRmT1_T2_T3_mT4_P12ihipStream_tbEUlT_E1_NS1_11comp_targetILNS1_3genE8ELNS1_11target_archE1030ELNS1_3gpuE2ELNS1_3repE0EEENS1_30default_config_static_selectorELNS0_4arch9wavefront6targetE1EEEvSW_
                                        ; -- End function
	.section	.AMDGPU.csdata,"",@progbits
; Kernel info:
; codeLenInByte = 0
; NumSgprs: 4
; NumVgprs: 0
; NumAgprs: 0
; TotalNumVgprs: 0
; ScratchSize: 0
; MemoryBound: 0
; FloatMode: 240
; IeeeMode: 1
; LDSByteSize: 0 bytes/workgroup (compile time only)
; SGPRBlocks: 0
; VGPRBlocks: 0
; NumSGPRsForWavesPerEU: 4
; NumVGPRsForWavesPerEU: 1
; AccumOffset: 4
; Occupancy: 8
; WaveLimiterHint : 0
; COMPUTE_PGM_RSRC2:SCRATCH_EN: 0
; COMPUTE_PGM_RSRC2:USER_SGPR: 6
; COMPUTE_PGM_RSRC2:TRAP_HANDLER: 0
; COMPUTE_PGM_RSRC2:TGID_X_EN: 1
; COMPUTE_PGM_RSRC2:TGID_Y_EN: 0
; COMPUTE_PGM_RSRC2:TGID_Z_EN: 0
; COMPUTE_PGM_RSRC2:TIDIG_COMP_CNT: 0
; COMPUTE_PGM_RSRC3_GFX90A:ACCUM_OFFSET: 0
; COMPUTE_PGM_RSRC3_GFX90A:TG_SPLIT: 0
	.section	.text._ZN6thrust23THRUST_200600_302600_NS11hip_rocprim14__parallel_for6kernelILj256ENS1_10for_each_fINS0_7pointerINS0_5tupleIblNS0_9null_typeES7_S7_S7_S7_S7_S7_S7_EENS0_6detail22execute_with_allocatorIRN2at4cuda15ThrustAllocatorENS1_22execute_on_stream_baseEEENS0_11use_defaultESH_EENS9_16wrapped_functionINS9_23allocator_traits_detail24construct1_via_allocatorINS9_18no_throw_allocatorINS9_19temporary_allocatorIS8_SG_EEEEEEvEEEEmLj1EEEvT0_T1_SU_,"axG",@progbits,_ZN6thrust23THRUST_200600_302600_NS11hip_rocprim14__parallel_for6kernelILj256ENS1_10for_each_fINS0_7pointerINS0_5tupleIblNS0_9null_typeES7_S7_S7_S7_S7_S7_S7_EENS0_6detail22execute_with_allocatorIRN2at4cuda15ThrustAllocatorENS1_22execute_on_stream_baseEEENS0_11use_defaultESH_EENS9_16wrapped_functionINS9_23allocator_traits_detail24construct1_via_allocatorINS9_18no_throw_allocatorINS9_19temporary_allocatorIS8_SG_EEEEEEvEEEEmLj1EEEvT0_T1_SU_,comdat
	.protected	_ZN6thrust23THRUST_200600_302600_NS11hip_rocprim14__parallel_for6kernelILj256ENS1_10for_each_fINS0_7pointerINS0_5tupleIblNS0_9null_typeES7_S7_S7_S7_S7_S7_S7_EENS0_6detail22execute_with_allocatorIRN2at4cuda15ThrustAllocatorENS1_22execute_on_stream_baseEEENS0_11use_defaultESH_EENS9_16wrapped_functionINS9_23allocator_traits_detail24construct1_via_allocatorINS9_18no_throw_allocatorINS9_19temporary_allocatorIS8_SG_EEEEEEvEEEEmLj1EEEvT0_T1_SU_ ; -- Begin function _ZN6thrust23THRUST_200600_302600_NS11hip_rocprim14__parallel_for6kernelILj256ENS1_10for_each_fINS0_7pointerINS0_5tupleIblNS0_9null_typeES7_S7_S7_S7_S7_S7_S7_EENS0_6detail22execute_with_allocatorIRN2at4cuda15ThrustAllocatorENS1_22execute_on_stream_baseEEENS0_11use_defaultESH_EENS9_16wrapped_functionINS9_23allocator_traits_detail24construct1_via_allocatorINS9_18no_throw_allocatorINS9_19temporary_allocatorIS8_SG_EEEEEEvEEEEmLj1EEEvT0_T1_SU_
	.globl	_ZN6thrust23THRUST_200600_302600_NS11hip_rocprim14__parallel_for6kernelILj256ENS1_10for_each_fINS0_7pointerINS0_5tupleIblNS0_9null_typeES7_S7_S7_S7_S7_S7_S7_EENS0_6detail22execute_with_allocatorIRN2at4cuda15ThrustAllocatorENS1_22execute_on_stream_baseEEENS0_11use_defaultESH_EENS9_16wrapped_functionINS9_23allocator_traits_detail24construct1_via_allocatorINS9_18no_throw_allocatorINS9_19temporary_allocatorIS8_SG_EEEEEEvEEEEmLj1EEEvT0_T1_SU_
	.p2align	8
	.type	_ZN6thrust23THRUST_200600_302600_NS11hip_rocprim14__parallel_for6kernelILj256ENS1_10for_each_fINS0_7pointerINS0_5tupleIblNS0_9null_typeES7_S7_S7_S7_S7_S7_S7_EENS0_6detail22execute_with_allocatorIRN2at4cuda15ThrustAllocatorENS1_22execute_on_stream_baseEEENS0_11use_defaultESH_EENS9_16wrapped_functionINS9_23allocator_traits_detail24construct1_via_allocatorINS9_18no_throw_allocatorINS9_19temporary_allocatorIS8_SG_EEEEEEvEEEEmLj1EEEvT0_T1_SU_,@function
_ZN6thrust23THRUST_200600_302600_NS11hip_rocprim14__parallel_for6kernelILj256ENS1_10for_each_fINS0_7pointerINS0_5tupleIblNS0_9null_typeES7_S7_S7_S7_S7_S7_S7_EENS0_6detail22execute_with_allocatorIRN2at4cuda15ThrustAllocatorENS1_22execute_on_stream_baseEEENS0_11use_defaultESH_EENS9_16wrapped_functionINS9_23allocator_traits_detail24construct1_via_allocatorINS9_18no_throw_allocatorINS9_19temporary_allocatorIS8_SG_EEEEEEvEEEEmLj1EEEvT0_T1_SU_: ; @_ZN6thrust23THRUST_200600_302600_NS11hip_rocprim14__parallel_for6kernelILj256ENS1_10for_each_fINS0_7pointerINS0_5tupleIblNS0_9null_typeES7_S7_S7_S7_S7_S7_S7_EENS0_6detail22execute_with_allocatorIRN2at4cuda15ThrustAllocatorENS1_22execute_on_stream_baseEEENS0_11use_defaultESH_EENS9_16wrapped_functionINS9_23allocator_traits_detail24construct1_via_allocatorINS9_18no_throw_allocatorINS9_19temporary_allocatorIS8_SG_EEEEEEvEEEEmLj1EEEvT0_T1_SU_
; %bb.0:
	s_load_dwordx4 s[8:11], s[4:5], 0x10
	s_load_dwordx2 s[0:1], s[4:5], 0x0
	s_lshl_b32 s2, s6, 8
	v_mov_b32_e32 v2, 0x100
	v_mov_b32_e32 v3, 0
	s_waitcnt lgkmcnt(0)
	s_add_u32 s4, s2, s10
	s_addc_u32 s5, 0, s11
	s_sub_u32 s2, s8, s4
	s_subb_u32 s3, s9, s5
	v_cmp_lt_u64_e32 vcc, s[2:3], v[2:3]
	s_cbranch_vccz .LBB72_4
; %bb.1:
	v_cmp_gt_u32_e32 vcc, s2, v0
	s_mov_b64 s[6:7], 0
	s_mov_b64 s[2:3], 0
                                        ; implicit-def: $vgpr2_vgpr3
	s_and_saveexec_b64 s[8:9], vcc
	s_xor_b64 s[8:9], exec, s[8:9]
; %bb.2:
	s_lshl_b64 s[10:11], s[4:5], 4
	s_add_u32 s10, s0, s10
	s_addc_u32 s11, s1, s11
	v_lshlrev_b32_e32 v1, 4, v0
	v_mov_b32_e32 v3, s11
	v_add_co_u32_e32 v2, vcc, s10, v1
	s_mov_b64 s[2:3], exec
	v_addc_co_u32_e32 v3, vcc, 0, v3, vcc
; %bb.3:
	s_or_b64 exec, exec, s[8:9]
	s_and_b64 vcc, exec, s[6:7]
	s_cbranch_vccnz .LBB72_5
	s_branch .LBB72_6
.LBB72_4:
	s_mov_b64 s[2:3], 0
                                        ; implicit-def: $vgpr2_vgpr3
	s_cbranch_execz .LBB72_6
.LBB72_5:
	s_lshl_b64 s[4:5], s[4:5], 4
	s_add_u32 s0, s0, s4
	s_addc_u32 s1, s1, s5
	v_lshlrev_b32_e32 v0, 4, v0
	v_mov_b32_e32 v1, s1
	v_add_co_u32_e32 v2, vcc, s0, v0
	v_addc_co_u32_e32 v3, vcc, 0, v1, vcc
	s_or_b64 s[2:3], s[2:3], exec
.LBB72_6:
	s_and_saveexec_b64 s[0:1], s[2:3]
	s_cbranch_execnz .LBB72_8
; %bb.7:
	s_endpgm
.LBB72_8:
	v_mov_b32_e32 v0, 0
	v_mov_b32_e32 v1, v0
	flat_store_byte v[2:3], v0
	flat_store_dwordx2 v[2:3], v[0:1] offset:8
	s_endpgm
	.section	.rodata,"a",@progbits
	.p2align	6, 0x0
	.amdhsa_kernel _ZN6thrust23THRUST_200600_302600_NS11hip_rocprim14__parallel_for6kernelILj256ENS1_10for_each_fINS0_7pointerINS0_5tupleIblNS0_9null_typeES7_S7_S7_S7_S7_S7_S7_EENS0_6detail22execute_with_allocatorIRN2at4cuda15ThrustAllocatorENS1_22execute_on_stream_baseEEENS0_11use_defaultESH_EENS9_16wrapped_functionINS9_23allocator_traits_detail24construct1_via_allocatorINS9_18no_throw_allocatorINS9_19temporary_allocatorIS8_SG_EEEEEEvEEEEmLj1EEEvT0_T1_SU_
		.amdhsa_group_segment_fixed_size 0
		.amdhsa_private_segment_fixed_size 0
		.amdhsa_kernarg_size 32
		.amdhsa_user_sgpr_count 6
		.amdhsa_user_sgpr_private_segment_buffer 1
		.amdhsa_user_sgpr_dispatch_ptr 0
		.amdhsa_user_sgpr_queue_ptr 0
		.amdhsa_user_sgpr_kernarg_segment_ptr 1
		.amdhsa_user_sgpr_dispatch_id 0
		.amdhsa_user_sgpr_flat_scratch_init 0
		.amdhsa_user_sgpr_kernarg_preload_length 0
		.amdhsa_user_sgpr_kernarg_preload_offset 0
		.amdhsa_user_sgpr_private_segment_size 0
		.amdhsa_uses_dynamic_stack 0
		.amdhsa_system_sgpr_private_segment_wavefront_offset 0
		.amdhsa_system_sgpr_workgroup_id_x 1
		.amdhsa_system_sgpr_workgroup_id_y 0
		.amdhsa_system_sgpr_workgroup_id_z 0
		.amdhsa_system_sgpr_workgroup_info 0
		.amdhsa_system_vgpr_workitem_id 0
		.amdhsa_next_free_vgpr 4
		.amdhsa_next_free_sgpr 12
		.amdhsa_accum_offset 4
		.amdhsa_reserve_vcc 1
		.amdhsa_reserve_flat_scratch 0
		.amdhsa_float_round_mode_32 0
		.amdhsa_float_round_mode_16_64 0
		.amdhsa_float_denorm_mode_32 3
		.amdhsa_float_denorm_mode_16_64 3
		.amdhsa_dx10_clamp 1
		.amdhsa_ieee_mode 1
		.amdhsa_fp16_overflow 0
		.amdhsa_tg_split 0
		.amdhsa_exception_fp_ieee_invalid_op 0
		.amdhsa_exception_fp_denorm_src 0
		.amdhsa_exception_fp_ieee_div_zero 0
		.amdhsa_exception_fp_ieee_overflow 0
		.amdhsa_exception_fp_ieee_underflow 0
		.amdhsa_exception_fp_ieee_inexact 0
		.amdhsa_exception_int_div_zero 0
	.end_amdhsa_kernel
	.section	.text._ZN6thrust23THRUST_200600_302600_NS11hip_rocprim14__parallel_for6kernelILj256ENS1_10for_each_fINS0_7pointerINS0_5tupleIblNS0_9null_typeES7_S7_S7_S7_S7_S7_S7_EENS0_6detail22execute_with_allocatorIRN2at4cuda15ThrustAllocatorENS1_22execute_on_stream_baseEEENS0_11use_defaultESH_EENS9_16wrapped_functionINS9_23allocator_traits_detail24construct1_via_allocatorINS9_18no_throw_allocatorINS9_19temporary_allocatorIS8_SG_EEEEEEvEEEEmLj1EEEvT0_T1_SU_,"axG",@progbits,_ZN6thrust23THRUST_200600_302600_NS11hip_rocprim14__parallel_for6kernelILj256ENS1_10for_each_fINS0_7pointerINS0_5tupleIblNS0_9null_typeES7_S7_S7_S7_S7_S7_S7_EENS0_6detail22execute_with_allocatorIRN2at4cuda15ThrustAllocatorENS1_22execute_on_stream_baseEEENS0_11use_defaultESH_EENS9_16wrapped_functionINS9_23allocator_traits_detail24construct1_via_allocatorINS9_18no_throw_allocatorINS9_19temporary_allocatorIS8_SG_EEEEEEvEEEEmLj1EEEvT0_T1_SU_,comdat
.Lfunc_end72:
	.size	_ZN6thrust23THRUST_200600_302600_NS11hip_rocprim14__parallel_for6kernelILj256ENS1_10for_each_fINS0_7pointerINS0_5tupleIblNS0_9null_typeES7_S7_S7_S7_S7_S7_S7_EENS0_6detail22execute_with_allocatorIRN2at4cuda15ThrustAllocatorENS1_22execute_on_stream_baseEEENS0_11use_defaultESH_EENS9_16wrapped_functionINS9_23allocator_traits_detail24construct1_via_allocatorINS9_18no_throw_allocatorINS9_19temporary_allocatorIS8_SG_EEEEEEvEEEEmLj1EEEvT0_T1_SU_, .Lfunc_end72-_ZN6thrust23THRUST_200600_302600_NS11hip_rocprim14__parallel_for6kernelILj256ENS1_10for_each_fINS0_7pointerINS0_5tupleIblNS0_9null_typeES7_S7_S7_S7_S7_S7_S7_EENS0_6detail22execute_with_allocatorIRN2at4cuda15ThrustAllocatorENS1_22execute_on_stream_baseEEENS0_11use_defaultESH_EENS9_16wrapped_functionINS9_23allocator_traits_detail24construct1_via_allocatorINS9_18no_throw_allocatorINS9_19temporary_allocatorIS8_SG_EEEEEEvEEEEmLj1EEEvT0_T1_SU_
                                        ; -- End function
	.section	.AMDGPU.csdata,"",@progbits
; Kernel info:
; codeLenInByte = 208
; NumSgprs: 16
; NumVgprs: 4
; NumAgprs: 0
; TotalNumVgprs: 4
; ScratchSize: 0
; MemoryBound: 0
; FloatMode: 240
; IeeeMode: 1
; LDSByteSize: 0 bytes/workgroup (compile time only)
; SGPRBlocks: 1
; VGPRBlocks: 0
; NumSGPRsForWavesPerEU: 16
; NumVGPRsForWavesPerEU: 4
; AccumOffset: 4
; Occupancy: 8
; WaveLimiterHint : 0
; COMPUTE_PGM_RSRC2:SCRATCH_EN: 0
; COMPUTE_PGM_RSRC2:USER_SGPR: 6
; COMPUTE_PGM_RSRC2:TRAP_HANDLER: 0
; COMPUTE_PGM_RSRC2:TGID_X_EN: 1
; COMPUTE_PGM_RSRC2:TGID_Y_EN: 0
; COMPUTE_PGM_RSRC2:TGID_Z_EN: 0
; COMPUTE_PGM_RSRC2:TIDIG_COMP_CNT: 0
; COMPUTE_PGM_RSRC3_GFX90A:ACCUM_OFFSET: 0
; COMPUTE_PGM_RSRC3_GFX90A:TG_SPLIT: 0
	.section	.text._ZN6thrust23THRUST_200600_302600_NS11hip_rocprim14__parallel_for6kernelILj256ENS1_10for_each_fINS0_7pointerINS0_5tupleIblNS0_9null_typeES7_S7_S7_S7_S7_S7_S7_EENS0_6detail22execute_with_allocatorIRN2at4cuda15ThrustAllocatorENS1_22execute_on_stream_baseEEENS0_11use_defaultESH_EENS9_16wrapped_functionINS9_23allocator_traits_detail5gozerEvEEEElLj1EEEvT0_T1_SP_,"axG",@progbits,_ZN6thrust23THRUST_200600_302600_NS11hip_rocprim14__parallel_for6kernelILj256ENS1_10for_each_fINS0_7pointerINS0_5tupleIblNS0_9null_typeES7_S7_S7_S7_S7_S7_S7_EENS0_6detail22execute_with_allocatorIRN2at4cuda15ThrustAllocatorENS1_22execute_on_stream_baseEEENS0_11use_defaultESH_EENS9_16wrapped_functionINS9_23allocator_traits_detail5gozerEvEEEElLj1EEEvT0_T1_SP_,comdat
	.protected	_ZN6thrust23THRUST_200600_302600_NS11hip_rocprim14__parallel_for6kernelILj256ENS1_10for_each_fINS0_7pointerINS0_5tupleIblNS0_9null_typeES7_S7_S7_S7_S7_S7_S7_EENS0_6detail22execute_with_allocatorIRN2at4cuda15ThrustAllocatorENS1_22execute_on_stream_baseEEENS0_11use_defaultESH_EENS9_16wrapped_functionINS9_23allocator_traits_detail5gozerEvEEEElLj1EEEvT0_T1_SP_ ; -- Begin function _ZN6thrust23THRUST_200600_302600_NS11hip_rocprim14__parallel_for6kernelILj256ENS1_10for_each_fINS0_7pointerINS0_5tupleIblNS0_9null_typeES7_S7_S7_S7_S7_S7_S7_EENS0_6detail22execute_with_allocatorIRN2at4cuda15ThrustAllocatorENS1_22execute_on_stream_baseEEENS0_11use_defaultESH_EENS9_16wrapped_functionINS9_23allocator_traits_detail5gozerEvEEEElLj1EEEvT0_T1_SP_
	.globl	_ZN6thrust23THRUST_200600_302600_NS11hip_rocprim14__parallel_for6kernelILj256ENS1_10for_each_fINS0_7pointerINS0_5tupleIblNS0_9null_typeES7_S7_S7_S7_S7_S7_S7_EENS0_6detail22execute_with_allocatorIRN2at4cuda15ThrustAllocatorENS1_22execute_on_stream_baseEEENS0_11use_defaultESH_EENS9_16wrapped_functionINS9_23allocator_traits_detail5gozerEvEEEElLj1EEEvT0_T1_SP_
	.p2align	8
	.type	_ZN6thrust23THRUST_200600_302600_NS11hip_rocprim14__parallel_for6kernelILj256ENS1_10for_each_fINS0_7pointerINS0_5tupleIblNS0_9null_typeES7_S7_S7_S7_S7_S7_S7_EENS0_6detail22execute_with_allocatorIRN2at4cuda15ThrustAllocatorENS1_22execute_on_stream_baseEEENS0_11use_defaultESH_EENS9_16wrapped_functionINS9_23allocator_traits_detail5gozerEvEEEElLj1EEEvT0_T1_SP_,@function
_ZN6thrust23THRUST_200600_302600_NS11hip_rocprim14__parallel_for6kernelILj256ENS1_10for_each_fINS0_7pointerINS0_5tupleIblNS0_9null_typeES7_S7_S7_S7_S7_S7_S7_EENS0_6detail22execute_with_allocatorIRN2at4cuda15ThrustAllocatorENS1_22execute_on_stream_baseEEENS0_11use_defaultESH_EENS9_16wrapped_functionINS9_23allocator_traits_detail5gozerEvEEEElLj1EEEvT0_T1_SP_: ; @_ZN6thrust23THRUST_200600_302600_NS11hip_rocprim14__parallel_for6kernelILj256ENS1_10for_each_fINS0_7pointerINS0_5tupleIblNS0_9null_typeES7_S7_S7_S7_S7_S7_S7_EENS0_6detail22execute_with_allocatorIRN2at4cuda15ThrustAllocatorENS1_22execute_on_stream_baseEEENS0_11use_defaultESH_EENS9_16wrapped_functionINS9_23allocator_traits_detail5gozerEvEEEElLj1EEEvT0_T1_SP_
; %bb.0:
	s_endpgm
	.section	.rodata,"a",@progbits
	.p2align	6, 0x0
	.amdhsa_kernel _ZN6thrust23THRUST_200600_302600_NS11hip_rocprim14__parallel_for6kernelILj256ENS1_10for_each_fINS0_7pointerINS0_5tupleIblNS0_9null_typeES7_S7_S7_S7_S7_S7_S7_EENS0_6detail22execute_with_allocatorIRN2at4cuda15ThrustAllocatorENS1_22execute_on_stream_baseEEENS0_11use_defaultESH_EENS9_16wrapped_functionINS9_23allocator_traits_detail5gozerEvEEEElLj1EEEvT0_T1_SP_
		.amdhsa_group_segment_fixed_size 0
		.amdhsa_private_segment_fixed_size 0
		.amdhsa_kernarg_size 32
		.amdhsa_user_sgpr_count 6
		.amdhsa_user_sgpr_private_segment_buffer 1
		.amdhsa_user_sgpr_dispatch_ptr 0
		.amdhsa_user_sgpr_queue_ptr 0
		.amdhsa_user_sgpr_kernarg_segment_ptr 1
		.amdhsa_user_sgpr_dispatch_id 0
		.amdhsa_user_sgpr_flat_scratch_init 0
		.amdhsa_user_sgpr_kernarg_preload_length 0
		.amdhsa_user_sgpr_kernarg_preload_offset 0
		.amdhsa_user_sgpr_private_segment_size 0
		.amdhsa_uses_dynamic_stack 0
		.amdhsa_system_sgpr_private_segment_wavefront_offset 0
		.amdhsa_system_sgpr_workgroup_id_x 1
		.amdhsa_system_sgpr_workgroup_id_y 0
		.amdhsa_system_sgpr_workgroup_id_z 0
		.amdhsa_system_sgpr_workgroup_info 0
		.amdhsa_system_vgpr_workitem_id 0
		.amdhsa_next_free_vgpr 1
		.amdhsa_next_free_sgpr 0
		.amdhsa_accum_offset 4
		.amdhsa_reserve_vcc 0
		.amdhsa_reserve_flat_scratch 0
		.amdhsa_float_round_mode_32 0
		.amdhsa_float_round_mode_16_64 0
		.amdhsa_float_denorm_mode_32 3
		.amdhsa_float_denorm_mode_16_64 3
		.amdhsa_dx10_clamp 1
		.amdhsa_ieee_mode 1
		.amdhsa_fp16_overflow 0
		.amdhsa_tg_split 0
		.amdhsa_exception_fp_ieee_invalid_op 0
		.amdhsa_exception_fp_denorm_src 0
		.amdhsa_exception_fp_ieee_div_zero 0
		.amdhsa_exception_fp_ieee_overflow 0
		.amdhsa_exception_fp_ieee_underflow 0
		.amdhsa_exception_fp_ieee_inexact 0
		.amdhsa_exception_int_div_zero 0
	.end_amdhsa_kernel
	.section	.text._ZN6thrust23THRUST_200600_302600_NS11hip_rocprim14__parallel_for6kernelILj256ENS1_10for_each_fINS0_7pointerINS0_5tupleIblNS0_9null_typeES7_S7_S7_S7_S7_S7_S7_EENS0_6detail22execute_with_allocatorIRN2at4cuda15ThrustAllocatorENS1_22execute_on_stream_baseEEENS0_11use_defaultESH_EENS9_16wrapped_functionINS9_23allocator_traits_detail5gozerEvEEEElLj1EEEvT0_T1_SP_,"axG",@progbits,_ZN6thrust23THRUST_200600_302600_NS11hip_rocprim14__parallel_for6kernelILj256ENS1_10for_each_fINS0_7pointerINS0_5tupleIblNS0_9null_typeES7_S7_S7_S7_S7_S7_S7_EENS0_6detail22execute_with_allocatorIRN2at4cuda15ThrustAllocatorENS1_22execute_on_stream_baseEEENS0_11use_defaultESH_EENS9_16wrapped_functionINS9_23allocator_traits_detail5gozerEvEEEElLj1EEEvT0_T1_SP_,comdat
.Lfunc_end73:
	.size	_ZN6thrust23THRUST_200600_302600_NS11hip_rocprim14__parallel_for6kernelILj256ENS1_10for_each_fINS0_7pointerINS0_5tupleIblNS0_9null_typeES7_S7_S7_S7_S7_S7_S7_EENS0_6detail22execute_with_allocatorIRN2at4cuda15ThrustAllocatorENS1_22execute_on_stream_baseEEENS0_11use_defaultESH_EENS9_16wrapped_functionINS9_23allocator_traits_detail5gozerEvEEEElLj1EEEvT0_T1_SP_, .Lfunc_end73-_ZN6thrust23THRUST_200600_302600_NS11hip_rocprim14__parallel_for6kernelILj256ENS1_10for_each_fINS0_7pointerINS0_5tupleIblNS0_9null_typeES7_S7_S7_S7_S7_S7_S7_EENS0_6detail22execute_with_allocatorIRN2at4cuda15ThrustAllocatorENS1_22execute_on_stream_baseEEENS0_11use_defaultESH_EENS9_16wrapped_functionINS9_23allocator_traits_detail5gozerEvEEEElLj1EEEvT0_T1_SP_
                                        ; -- End function
	.section	.AMDGPU.csdata,"",@progbits
; Kernel info:
; codeLenInByte = 4
; NumSgprs: 4
; NumVgprs: 0
; NumAgprs: 0
; TotalNumVgprs: 0
; ScratchSize: 0
; MemoryBound: 0
; FloatMode: 240
; IeeeMode: 1
; LDSByteSize: 0 bytes/workgroup (compile time only)
; SGPRBlocks: 0
; VGPRBlocks: 0
; NumSGPRsForWavesPerEU: 4
; NumVGPRsForWavesPerEU: 1
; AccumOffset: 4
; Occupancy: 8
; WaveLimiterHint : 0
; COMPUTE_PGM_RSRC2:SCRATCH_EN: 0
; COMPUTE_PGM_RSRC2:USER_SGPR: 6
; COMPUTE_PGM_RSRC2:TRAP_HANDLER: 0
; COMPUTE_PGM_RSRC2:TGID_X_EN: 1
; COMPUTE_PGM_RSRC2:TGID_Y_EN: 0
; COMPUTE_PGM_RSRC2:TGID_Z_EN: 0
; COMPUTE_PGM_RSRC2:TIDIG_COMP_CNT: 0
; COMPUTE_PGM_RSRC3_GFX90A:ACCUM_OFFSET: 0
; COMPUTE_PGM_RSRC3_GFX90A:TG_SPLIT: 0
	.section	.text._ZN6thrust23THRUST_200600_302600_NS11hip_rocprim14__parallel_for6kernelILj256ENS1_20__uninitialized_copy7functorIPNS0_5tupleIblNS0_9null_typeES7_S7_S7_S7_S7_S7_S7_EENS0_7pointerIS8_NS0_6detail22execute_with_allocatorIRN2at4cuda15ThrustAllocatorENS1_22execute_on_stream_baseEEENS0_11use_defaultESJ_EEEEmLj1EEEvT0_T1_SN_,"axG",@progbits,_ZN6thrust23THRUST_200600_302600_NS11hip_rocprim14__parallel_for6kernelILj256ENS1_20__uninitialized_copy7functorIPNS0_5tupleIblNS0_9null_typeES7_S7_S7_S7_S7_S7_S7_EENS0_7pointerIS8_NS0_6detail22execute_with_allocatorIRN2at4cuda15ThrustAllocatorENS1_22execute_on_stream_baseEEENS0_11use_defaultESJ_EEEEmLj1EEEvT0_T1_SN_,comdat
	.protected	_ZN6thrust23THRUST_200600_302600_NS11hip_rocprim14__parallel_for6kernelILj256ENS1_20__uninitialized_copy7functorIPNS0_5tupleIblNS0_9null_typeES7_S7_S7_S7_S7_S7_S7_EENS0_7pointerIS8_NS0_6detail22execute_with_allocatorIRN2at4cuda15ThrustAllocatorENS1_22execute_on_stream_baseEEENS0_11use_defaultESJ_EEEEmLj1EEEvT0_T1_SN_ ; -- Begin function _ZN6thrust23THRUST_200600_302600_NS11hip_rocprim14__parallel_for6kernelILj256ENS1_20__uninitialized_copy7functorIPNS0_5tupleIblNS0_9null_typeES7_S7_S7_S7_S7_S7_S7_EENS0_7pointerIS8_NS0_6detail22execute_with_allocatorIRN2at4cuda15ThrustAllocatorENS1_22execute_on_stream_baseEEENS0_11use_defaultESJ_EEEEmLj1EEEvT0_T1_SN_
	.globl	_ZN6thrust23THRUST_200600_302600_NS11hip_rocprim14__parallel_for6kernelILj256ENS1_20__uninitialized_copy7functorIPNS0_5tupleIblNS0_9null_typeES7_S7_S7_S7_S7_S7_S7_EENS0_7pointerIS8_NS0_6detail22execute_with_allocatorIRN2at4cuda15ThrustAllocatorENS1_22execute_on_stream_baseEEENS0_11use_defaultESJ_EEEEmLj1EEEvT0_T1_SN_
	.p2align	8
	.type	_ZN6thrust23THRUST_200600_302600_NS11hip_rocprim14__parallel_for6kernelILj256ENS1_20__uninitialized_copy7functorIPNS0_5tupleIblNS0_9null_typeES7_S7_S7_S7_S7_S7_S7_EENS0_7pointerIS8_NS0_6detail22execute_with_allocatorIRN2at4cuda15ThrustAllocatorENS1_22execute_on_stream_baseEEENS0_11use_defaultESJ_EEEEmLj1EEEvT0_T1_SN_,@function
_ZN6thrust23THRUST_200600_302600_NS11hip_rocprim14__parallel_for6kernelILj256ENS1_20__uninitialized_copy7functorIPNS0_5tupleIblNS0_9null_typeES7_S7_S7_S7_S7_S7_S7_EENS0_7pointerIS8_NS0_6detail22execute_with_allocatorIRN2at4cuda15ThrustAllocatorENS1_22execute_on_stream_baseEEENS0_11use_defaultESJ_EEEEmLj1EEEvT0_T1_SN_: ; @_ZN6thrust23THRUST_200600_302600_NS11hip_rocprim14__parallel_for6kernelILj256ENS1_20__uninitialized_copy7functorIPNS0_5tupleIblNS0_9null_typeES7_S7_S7_S7_S7_S7_S7_EENS0_7pointerIS8_NS0_6detail22execute_with_allocatorIRN2at4cuda15ThrustAllocatorENS1_22execute_on_stream_baseEEENS0_11use_defaultESJ_EEEEmLj1EEEvT0_T1_SN_
; %bb.0:
	s_load_dwordx8 s[8:15], s[4:5], 0x0
	s_lshl_b32 s0, s6, 8
	v_mov_b32_e32 v2, 0x100
	v_mov_b32_e32 v3, 0
	s_waitcnt lgkmcnt(0)
	s_add_u32 s4, s0, s14
	s_addc_u32 s5, 0, s15
	s_sub_u32 s2, s12, s4
	s_subb_u32 s3, s13, s5
	v_cmp_lt_u64_e32 vcc, s[2:3], v[2:3]
	s_mov_b64 s[0:1], -1
	s_cbranch_vccnz .LBB74_3
; %bb.1:
	s_andn2_b64 vcc, exec, s[0:1]
	s_cbranch_vccz .LBB74_6
.LBB74_2:
	s_endpgm
.LBB74_3:
	v_cmp_gt_u32_e32 vcc, s2, v0
	s_and_saveexec_b64 s[0:1], vcc
	s_cbranch_execz .LBB74_5
; %bb.4:
	v_mov_b32_e32 v1, s5
	v_add_co_u32_e32 v2, vcc, s4, v0
	v_addc_co_u32_e32 v3, vcc, 0, v1, vcc
	v_lshlrev_b64 v[6:7], 4, v[2:3]
	v_mov_b32_e32 v1, s9
	v_add_co_u32_e32 v2, vcc, s8, v6
	v_addc_co_u32_e32 v3, vcc, v1, v7, vcc
	global_load_dwordx4 v[2:5], v[2:3], off
	v_mov_b32_e32 v1, s11
	v_add_co_u32_e32 v6, vcc, s10, v6
	v_addc_co_u32_e32 v7, vcc, v1, v7, vcc
	s_waitcnt vmcnt(0)
	flat_store_dwordx4 v[6:7], v[2:5]
.LBB74_5:
	s_or_b64 exec, exec, s[0:1]
	s_cbranch_execnz .LBB74_2
.LBB74_6:
	v_mov_b32_e32 v1, s5
	v_add_co_u32_e32 v0, vcc, s4, v0
	v_addc_co_u32_e32 v1, vcc, 0, v1, vcc
	v_lshlrev_b64 v[4:5], 4, v[0:1]
	v_mov_b32_e32 v1, s9
	v_add_co_u32_e32 v0, vcc, s8, v4
	v_addc_co_u32_e32 v1, vcc, v1, v5, vcc
	global_load_dwordx4 v[0:3], v[0:1], off
	v_mov_b32_e32 v6, s11
	v_add_co_u32_e32 v4, vcc, s10, v4
	v_addc_co_u32_e32 v5, vcc, v6, v5, vcc
	s_waitcnt vmcnt(0)
	flat_store_dwordx4 v[4:5], v[0:3]
	s_endpgm
	.section	.rodata,"a",@progbits
	.p2align	6, 0x0
	.amdhsa_kernel _ZN6thrust23THRUST_200600_302600_NS11hip_rocprim14__parallel_for6kernelILj256ENS1_20__uninitialized_copy7functorIPNS0_5tupleIblNS0_9null_typeES7_S7_S7_S7_S7_S7_S7_EENS0_7pointerIS8_NS0_6detail22execute_with_allocatorIRN2at4cuda15ThrustAllocatorENS1_22execute_on_stream_baseEEENS0_11use_defaultESJ_EEEEmLj1EEEvT0_T1_SN_
		.amdhsa_group_segment_fixed_size 0
		.amdhsa_private_segment_fixed_size 0
		.amdhsa_kernarg_size 32
		.amdhsa_user_sgpr_count 6
		.amdhsa_user_sgpr_private_segment_buffer 1
		.amdhsa_user_sgpr_dispatch_ptr 0
		.amdhsa_user_sgpr_queue_ptr 0
		.amdhsa_user_sgpr_kernarg_segment_ptr 1
		.amdhsa_user_sgpr_dispatch_id 0
		.amdhsa_user_sgpr_flat_scratch_init 0
		.amdhsa_user_sgpr_kernarg_preload_length 0
		.amdhsa_user_sgpr_kernarg_preload_offset 0
		.amdhsa_user_sgpr_private_segment_size 0
		.amdhsa_uses_dynamic_stack 0
		.amdhsa_system_sgpr_private_segment_wavefront_offset 0
		.amdhsa_system_sgpr_workgroup_id_x 1
		.amdhsa_system_sgpr_workgroup_id_y 0
		.amdhsa_system_sgpr_workgroup_id_z 0
		.amdhsa_system_sgpr_workgroup_info 0
		.amdhsa_system_vgpr_workitem_id 0
		.amdhsa_next_free_vgpr 8
		.amdhsa_next_free_sgpr 16
		.amdhsa_accum_offset 8
		.amdhsa_reserve_vcc 1
		.amdhsa_reserve_flat_scratch 0
		.amdhsa_float_round_mode_32 0
		.amdhsa_float_round_mode_16_64 0
		.amdhsa_float_denorm_mode_32 3
		.amdhsa_float_denorm_mode_16_64 3
		.amdhsa_dx10_clamp 1
		.amdhsa_ieee_mode 1
		.amdhsa_fp16_overflow 0
		.amdhsa_tg_split 0
		.amdhsa_exception_fp_ieee_invalid_op 0
		.amdhsa_exception_fp_denorm_src 0
		.amdhsa_exception_fp_ieee_div_zero 0
		.amdhsa_exception_fp_ieee_overflow 0
		.amdhsa_exception_fp_ieee_underflow 0
		.amdhsa_exception_fp_ieee_inexact 0
		.amdhsa_exception_int_div_zero 0
	.end_amdhsa_kernel
	.section	.text._ZN6thrust23THRUST_200600_302600_NS11hip_rocprim14__parallel_for6kernelILj256ENS1_20__uninitialized_copy7functorIPNS0_5tupleIblNS0_9null_typeES7_S7_S7_S7_S7_S7_S7_EENS0_7pointerIS8_NS0_6detail22execute_with_allocatorIRN2at4cuda15ThrustAllocatorENS1_22execute_on_stream_baseEEENS0_11use_defaultESJ_EEEEmLj1EEEvT0_T1_SN_,"axG",@progbits,_ZN6thrust23THRUST_200600_302600_NS11hip_rocprim14__parallel_for6kernelILj256ENS1_20__uninitialized_copy7functorIPNS0_5tupleIblNS0_9null_typeES7_S7_S7_S7_S7_S7_S7_EENS0_7pointerIS8_NS0_6detail22execute_with_allocatorIRN2at4cuda15ThrustAllocatorENS1_22execute_on_stream_baseEEENS0_11use_defaultESJ_EEEEmLj1EEEvT0_T1_SN_,comdat
.Lfunc_end74:
	.size	_ZN6thrust23THRUST_200600_302600_NS11hip_rocprim14__parallel_for6kernelILj256ENS1_20__uninitialized_copy7functorIPNS0_5tupleIblNS0_9null_typeES7_S7_S7_S7_S7_S7_S7_EENS0_7pointerIS8_NS0_6detail22execute_with_allocatorIRN2at4cuda15ThrustAllocatorENS1_22execute_on_stream_baseEEENS0_11use_defaultESJ_EEEEmLj1EEEvT0_T1_SN_, .Lfunc_end74-_ZN6thrust23THRUST_200600_302600_NS11hip_rocprim14__parallel_for6kernelILj256ENS1_20__uninitialized_copy7functorIPNS0_5tupleIblNS0_9null_typeES7_S7_S7_S7_S7_S7_S7_EENS0_7pointerIS8_NS0_6detail22execute_with_allocatorIRN2at4cuda15ThrustAllocatorENS1_22execute_on_stream_baseEEENS0_11use_defaultESJ_EEEEmLj1EEEvT0_T1_SN_
                                        ; -- End function
	.section	.AMDGPU.csdata,"",@progbits
; Kernel info:
; codeLenInByte = 220
; NumSgprs: 20
; NumVgprs: 8
; NumAgprs: 0
; TotalNumVgprs: 8
; ScratchSize: 0
; MemoryBound: 0
; FloatMode: 240
; IeeeMode: 1
; LDSByteSize: 0 bytes/workgroup (compile time only)
; SGPRBlocks: 2
; VGPRBlocks: 0
; NumSGPRsForWavesPerEU: 20
; NumVGPRsForWavesPerEU: 8
; AccumOffset: 8
; Occupancy: 8
; WaveLimiterHint : 0
; COMPUTE_PGM_RSRC2:SCRATCH_EN: 0
; COMPUTE_PGM_RSRC2:USER_SGPR: 6
; COMPUTE_PGM_RSRC2:TRAP_HANDLER: 0
; COMPUTE_PGM_RSRC2:TGID_X_EN: 1
; COMPUTE_PGM_RSRC2:TGID_Y_EN: 0
; COMPUTE_PGM_RSRC2:TGID_Z_EN: 0
; COMPUTE_PGM_RSRC2:TIDIG_COMP_CNT: 0
; COMPUTE_PGM_RSRC3_GFX90A:ACCUM_OFFSET: 1
; COMPUTE_PGM_RSRC3_GFX90A:TG_SPLIT: 0
	.section	.text._ZN2at6native12compute_modeIhLj2048EEEvPKT_NS_4cuda6detail10TensorInfoIS2_jEENS7_IljEEll,"axG",@progbits,_ZN2at6native12compute_modeIhLj2048EEEvPKT_NS_4cuda6detail10TensorInfoIS2_jEENS7_IljEEll,comdat
	.protected	_ZN2at6native12compute_modeIhLj2048EEEvPKT_NS_4cuda6detail10TensorInfoIS2_jEENS7_IljEEll ; -- Begin function _ZN2at6native12compute_modeIhLj2048EEEvPKT_NS_4cuda6detail10TensorInfoIS2_jEENS7_IljEEll
	.globl	_ZN2at6native12compute_modeIhLj2048EEEvPKT_NS_4cuda6detail10TensorInfoIS2_jEENS7_IljEEll
	.p2align	8
	.type	_ZN2at6native12compute_modeIhLj2048EEEvPKT_NS_4cuda6detail10TensorInfoIS2_jEENS7_IljEEll,@function
_ZN2at6native12compute_modeIhLj2048EEEvPKT_NS_4cuda6detail10TensorInfoIS2_jEENS7_IljEEll: ; @_ZN2at6native12compute_modeIhLj2048EEEvPKT_NS_4cuda6detail10TensorInfoIS2_jEENS7_IljEEll
; %bb.0:
	s_load_dwordx4 s[16:19], s[4:5], 0x1b8
	s_load_dwordx2 s[2:3], s[4:5], 0x1c8
	s_add_u32 s0, s4, 0x1c8
	s_addc_u32 s1, s5, 0
	s_waitcnt lgkmcnt(0)
	v_mov_b32_e32 v2, s18
	s_mul_i32 s3, s3, s8
	s_add_i32 s3, s3, s7
	s_mul_i32 s2, s3, s2
	v_mov_b32_e32 v3, s19
	s_add_i32 s18, s2, s6
	s_mov_b32 s19, 0
	v_cmp_ge_i64_e32 vcc, s[18:19], v[2:3]
	s_cbranch_vccnz .LBB75_134
; %bb.1:
	s_load_dwordx2 s[20:21], s[4:5], 0x0
	s_load_dword s2, s[0:1], 0xc
	v_mov_b32_e32 v3, 0
	v_mov_b32_e32 v1, v3
	s_mul_i32 s19, s18, s16
	v_cmp_gt_i64_e32 vcc, s[16:17], v[0:1]
	v_add_u32_e32 v1, 1, v0
	s_and_saveexec_b64 s[0:1], vcc
	s_cbranch_execz .LBB75_3
; %bb.2:
	v_add_u32_e32 v2, s19, v0
	s_waitcnt lgkmcnt(0)
	global_load_ubyte v2, v2, s[20:21]
	s_waitcnt vmcnt(0)
	ds_write_b8 v1, v2
.LBB75_3:
	s_or_b64 exec, exec, s[0:1]
	s_load_dwordx2 s[14:15], s[4:5], 0xe0
	s_waitcnt lgkmcnt(0)
	s_and_b32 s22, 0xffff, s2
	v_add_u32_e32 v2, s22, v0
	v_cmp_gt_i64_e64 s[0:1], s[16:17], v[2:3]
	s_and_saveexec_b64 s[2:3], s[0:1]
	s_cbranch_execz .LBB75_5
; %bb.4:
	v_add_u32_e32 v3, s19, v2
	global_load_ubyte v3, v3, s[20:21]
	v_add_u32_e32 v2, 1, v2
	s_waitcnt vmcnt(0)
	ds_write_b8 v2, v3
.LBB75_5:
	s_or_b64 exec, exec, s[2:3]
	v_cndmask_b32_e64 v2, 0, 1, vcc
	ds_write_b8 v1, v2 offset:2048
	v_add_u32_e32 v2, s22, v1
	v_cndmask_b32_e64 v3, 0, 1, s[0:1]
	ds_write_b8 v2, v3 offset:2048
	v_lshlrev_b32_e32 v2, 1, v0
	s_mov_b32 s6, 2
	s_waitcnt lgkmcnt(0)
	s_barrier
	s_branch .LBB75_7
.LBB75_6:                               ;   in Loop: Header=BB75_7 Depth=1
	s_lshl_b32 s0, s6, 2
	s_cmpk_gt_u32 s6, 0x1ff
	s_mov_b32 s6, s0
	s_cbranch_scc1 .LBB75_23
.LBB75_7:                               ; =>This Loop Header: Depth=1
                                        ;     Child Loop BB75_9 Depth 2
                                        ;     Child Loop BB75_17 Depth 2
	s_lshr_b32 s7, s6, 1
	v_and_b32_e32 v3, s7, v0
	v_cmp_ne_u32_e32 vcc, 0, v3
	v_cndmask_b32_e64 v3, 0, 1, vcc
	s_branch .LBB75_9
.LBB75_8:                               ;   in Loop: Header=BB75_9 Depth=2
	s_or_b64 exec, exec, s[0:1]
	s_lshr_b32 s0, s7, 1
	s_cmp_lt_u32 s7, 2
	s_mov_b32 s7, s0
	s_cbranch_scc1 .LBB75_15
.LBB75_9:                               ;   Parent Loop BB75_7 Depth=1
                                        ; =>  This Inner Loop Header: Depth=2
	s_add_i32 s0, s7, -1
	v_and_b32_e32 v4, s0, v0
	v_sub_u32_e32 v4, v2, v4
	v_add_u32_e32 v4, 1, v4
	s_barrier
	v_add_u32_e32 v5, s7, v4
	ds_read_u8 v6, v4
	ds_read_u8 v7, v5
                                        ; implicit-def: $sgpr8
	s_waitcnt lgkmcnt(0)
	v_cmp_ge_u16_e64 s[0:1], v6, v7
	v_cmp_lt_u16_e32 vcc, v6, v7
	s_and_saveexec_b64 s[2:3], vcc
	s_cbranch_execnz .LBB75_12
; %bb.10:                               ;   in Loop: Header=BB75_9 Depth=2
	s_or_b64 exec, exec, s[2:3]
	v_mov_b32_e32 v8, s8
	s_and_saveexec_b64 s[2:3], s[0:1]
	s_cbranch_execnz .LBB75_13
.LBB75_11:                              ;   in Loop: Header=BB75_9 Depth=2
	s_or_b64 exec, exec, s[2:3]
	v_cmp_eq_u32_e32 vcc, v8, v3
	s_and_saveexec_b64 s[0:1], vcc
	s_cbranch_execz .LBB75_8
	s_branch .LBB75_14
.LBB75_12:                              ;   in Loop: Header=BB75_9 Depth=2
	ds_read_u8 v8, v4 offset:2048
	s_andn2_b64 s[0:1], s[0:1], exec
	s_mov_b32 s8, 1
	s_waitcnt lgkmcnt(0)
	v_and_b32_e32 v8, 1, v8
	v_cmp_eq_u32_e32 vcc, 1, v8
	s_xor_b64 s[10:11], vcc, -1
	s_and_b64 s[10:11], s[10:11], exec
	s_or_b64 s[0:1], s[0:1], s[10:11]
	s_or_b64 exec, exec, s[2:3]
	v_mov_b32_e32 v8, s8
	s_and_saveexec_b64 s[2:3], s[0:1]
	s_cbranch_execz .LBB75_11
.LBB75_13:                              ;   in Loop: Header=BB75_9 Depth=2
	ds_read_u8 v8, v5 offset:2048
	s_waitcnt lgkmcnt(0)
	v_xor_b32_e32 v8, 1, v8
	s_or_b64 exec, exec, s[2:3]
	v_cmp_eq_u32_e32 vcc, v8, v3
	s_and_saveexec_b64 s[0:1], vcc
	s_cbranch_execz .LBB75_8
.LBB75_14:                              ;   in Loop: Header=BB75_9 Depth=2
	ds_write_b8 v4, v7
	ds_write_b8 v5, v6
	ds_read_u8 v6, v5 offset:2048
	ds_read_u8 v7, v4 offset:2048
	s_waitcnt lgkmcnt(1)
	ds_write_b8 v4, v6 offset:2048
	s_waitcnt lgkmcnt(1)
	ds_write_b8 v5, v7 offset:2048
	s_branch .LBB75_8
.LBB75_15:                              ;   in Loop: Header=BB75_7 Depth=1
	v_and_b32_e32 v3, s6, v0
	v_cmp_ne_u32_e32 vcc, 0, v3
	v_cndmask_b32_e64 v3, 0, 1, vcc
	s_mov_b32 s7, s6
	s_branch .LBB75_17
.LBB75_16:                              ;   in Loop: Header=BB75_17 Depth=2
	s_or_b64 exec, exec, s[0:1]
	s_lshr_b32 s0, s7, 1
	s_cmp_gt_u32 s7, 1
	s_mov_b32 s7, s0
	s_cbranch_scc0 .LBB75_6
.LBB75_17:                              ;   Parent Loop BB75_7 Depth=1
                                        ; =>  This Inner Loop Header: Depth=2
	s_add_i32 s0, s7, -1
	v_and_b32_e32 v4, s0, v0
	v_sub_u32_e32 v4, v2, v4
	v_add_u32_e32 v4, 1, v4
	s_waitcnt lgkmcnt(0)
	s_barrier
	v_add_u32_e32 v5, s7, v4
	ds_read_u8 v6, v4
	ds_read_u8 v7, v5
                                        ; implicit-def: $sgpr8
	s_waitcnt lgkmcnt(0)
	v_cmp_ge_u16_e64 s[0:1], v6, v7
	v_cmp_lt_u16_e32 vcc, v6, v7
	s_and_saveexec_b64 s[2:3], vcc
	s_cbranch_execnz .LBB75_20
; %bb.18:                               ;   in Loop: Header=BB75_17 Depth=2
	s_or_b64 exec, exec, s[2:3]
	v_mov_b32_e32 v8, s8
	s_and_saveexec_b64 s[2:3], s[0:1]
	s_cbranch_execnz .LBB75_21
.LBB75_19:                              ;   in Loop: Header=BB75_17 Depth=2
	s_or_b64 exec, exec, s[2:3]
	v_cmp_eq_u32_e32 vcc, v8, v3
	s_and_saveexec_b64 s[0:1], vcc
	s_cbranch_execz .LBB75_16
	s_branch .LBB75_22
.LBB75_20:                              ;   in Loop: Header=BB75_17 Depth=2
	ds_read_u8 v8, v4 offset:2048
	s_andn2_b64 s[0:1], s[0:1], exec
	s_mov_b32 s8, 1
	s_waitcnt lgkmcnt(0)
	v_and_b32_e32 v8, 1, v8
	v_cmp_eq_u32_e32 vcc, 1, v8
	s_xor_b64 s[10:11], vcc, -1
	s_and_b64 s[10:11], s[10:11], exec
	s_or_b64 s[0:1], s[0:1], s[10:11]
	s_or_b64 exec, exec, s[2:3]
	v_mov_b32_e32 v8, s8
	s_and_saveexec_b64 s[2:3], s[0:1]
	s_cbranch_execz .LBB75_19
.LBB75_21:                              ;   in Loop: Header=BB75_17 Depth=2
	ds_read_u8 v8, v5 offset:2048
	s_waitcnt lgkmcnt(0)
	v_xor_b32_e32 v8, 1, v8
	s_or_b64 exec, exec, s[2:3]
	v_cmp_eq_u32_e32 vcc, v8, v3
	s_and_saveexec_b64 s[0:1], vcc
	s_cbranch_execz .LBB75_16
.LBB75_22:                              ;   in Loop: Header=BB75_17 Depth=2
	ds_write_b8 v4, v7
	ds_write_b8 v5, v6
	ds_read_u8 v6, v5 offset:2048
	ds_read_u8 v7, v4 offset:2048
	s_waitcnt lgkmcnt(1)
	ds_write_b8 v4, v6 offset:2048
	s_waitcnt lgkmcnt(1)
	ds_write_b8 v5, v7 offset:2048
	s_branch .LBB75_16
.LBB75_23:
	s_waitcnt lgkmcnt(0)
	s_barrier
	ds_read_u8 v3, v1
	ds_read_u8 v4, v1 offset:1024
	s_mov_b32 s6, 1
	s_waitcnt lgkmcnt(0)
	v_cmp_ge_u16_e64 s[0:1], v3, v4
	v_cmp_lt_u16_e32 vcc, v3, v4
	s_and_saveexec_b64 s[2:3], vcc
	s_cbranch_execnz .LBB75_135
; %bb.24:
	s_or_b64 exec, exec, s[2:3]
	v_mov_b32_e32 v5, s6
	s_and_saveexec_b64 s[2:3], s[0:1]
	s_cbranch_execnz .LBB75_136
.LBB75_25:
	s_or_b64 exec, exec, s[2:3]
	v_cmp_eq_u32_e32 vcc, 0, v5
	s_and_saveexec_b64 s[0:1], vcc
	s_cbranch_execz .LBB75_27
.LBB75_26:
	ds_read_u8 v5, v1 offset:3072
	ds_read_u8 v6, v1 offset:2048
	ds_write_b8 v1, v4
	ds_write_b8 v1, v3 offset:1024
	s_waitcnt lgkmcnt(3)
	ds_write_b8 v1, v5 offset:2048
	s_waitcnt lgkmcnt(3)
	ds_write_b8 v1, v6 offset:3072
.LBB75_27:
	s_or_b64 exec, exec, s[0:1]
	v_and_b32_e32 v1, 0x1ff, v0
	v_sub_u32_e32 v1, v2, v1
	v_add_u32_e32 v1, 1, v1
	s_waitcnt lgkmcnt(0)
	s_barrier
	ds_read_u8 v3, v1
	ds_read_u8 v4, v1 offset:512
	s_waitcnt lgkmcnt(0)
	v_cmp_ge_u16_e64 s[0:1], v3, v4
	v_cmp_lt_u16_e32 vcc, v3, v4
	s_and_saveexec_b64 s[2:3], vcc
	s_cbranch_execnz .LBB75_137
; %bb.28:
	s_or_b64 exec, exec, s[2:3]
	v_mov_b32_e32 v5, s6
	s_and_saveexec_b64 s[2:3], s[0:1]
	s_cbranch_execnz .LBB75_138
.LBB75_29:
	s_or_b64 exec, exec, s[2:3]
	v_cmp_eq_u32_e32 vcc, 0, v5
	s_and_saveexec_b64 s[0:1], vcc
	s_cbranch_execz .LBB75_31
.LBB75_30:
	ds_read_u8 v5, v1 offset:2560
	ds_read_u8 v6, v1 offset:2048
	ds_write_b8 v1, v4
	ds_write_b8 v1, v3 offset:512
	s_waitcnt lgkmcnt(3)
	ds_write_b8 v1, v5 offset:2048
	s_waitcnt lgkmcnt(3)
	ds_write_b8 v1, v6 offset:2560
.LBB75_31:
	s_or_b64 exec, exec, s[0:1]
	v_sub_u32_sdwa v1, v2, v0 dst_sel:DWORD dst_unused:UNUSED_PAD src0_sel:DWORD src1_sel:BYTE_0
	v_add_u32_e32 v1, 1, v1
	s_waitcnt lgkmcnt(0)
	s_barrier
	ds_read_u8 v3, v1
	ds_read_u8 v4, v1 offset:256
	s_waitcnt lgkmcnt(0)
	v_cmp_ge_u16_e64 s[0:1], v3, v4
	v_cmp_lt_u16_e32 vcc, v3, v4
	s_and_saveexec_b64 s[2:3], vcc
	s_cbranch_execnz .LBB75_139
; %bb.32:
	s_or_b64 exec, exec, s[2:3]
	v_mov_b32_e32 v5, s6
	s_and_saveexec_b64 s[2:3], s[0:1]
	s_cbranch_execnz .LBB75_140
.LBB75_33:
	s_or_b64 exec, exec, s[2:3]
	v_cmp_eq_u32_e32 vcc, 0, v5
	s_and_saveexec_b64 s[0:1], vcc
	s_cbranch_execz .LBB75_35
.LBB75_34:
	ds_read_u8 v5, v1 offset:2304
	ds_read_u8 v6, v1 offset:2048
	ds_write_b8 v1, v4
	ds_write_b8 v1, v3 offset:256
	s_waitcnt lgkmcnt(3)
	ds_write_b8 v1, v5 offset:2048
	s_waitcnt lgkmcnt(3)
	ds_write_b8 v1, v6 offset:2304
.LBB75_35:
	s_or_b64 exec, exec, s[0:1]
	v_and_b32_e32 v1, 0x7f, v0
	v_sub_u32_e32 v1, v2, v1
	v_add_u32_e32 v1, 1, v1
	s_waitcnt lgkmcnt(0)
	s_barrier
	ds_read_u8 v3, v1
	ds_read_u8 v4, v1 offset:128
	s_waitcnt lgkmcnt(0)
	v_cmp_ge_u16_e64 s[0:1], v3, v4
	v_cmp_lt_u16_e32 vcc, v3, v4
	s_and_saveexec_b64 s[2:3], vcc
	s_cbranch_execnz .LBB75_141
; %bb.36:
	s_or_b64 exec, exec, s[2:3]
	v_mov_b32_e32 v5, s6
	s_and_saveexec_b64 s[2:3], s[0:1]
	s_cbranch_execnz .LBB75_142
.LBB75_37:
	s_or_b64 exec, exec, s[2:3]
	v_cmp_eq_u32_e32 vcc, 0, v5
	s_and_saveexec_b64 s[0:1], vcc
	s_cbranch_execz .LBB75_39
.LBB75_38:
	ds_read_u8 v5, v1 offset:2176
	ds_read_u8 v6, v1 offset:2048
	ds_write_b8 v1, v4
	ds_write_b8 v1, v3 offset:128
	s_waitcnt lgkmcnt(3)
	ds_write_b8 v1, v5 offset:2048
	s_waitcnt lgkmcnt(3)
	ds_write_b8 v1, v6 offset:2176
.LBB75_39:
	s_or_b64 exec, exec, s[0:1]
	v_and_b32_e32 v1, 63, v0
	v_sub_u32_e32 v3, v2, v1
	v_add_u32_e32 v3, 1, v3
	s_waitcnt lgkmcnt(0)
	s_barrier
	ds_read_u8 v4, v3
	ds_read_u8 v5, v3 offset:64
	s_waitcnt lgkmcnt(0)
	v_cmp_ge_u16_e64 s[2:3], v4, v5
	v_cmp_lt_u16_e32 vcc, v4, v5
	s_and_saveexec_b64 s[0:1], vcc
	s_cbranch_execz .LBB75_41
; %bb.40:
	ds_read_u8 v6, v3 offset:2048
	s_andn2_b64 s[2:3], s[2:3], exec
	s_waitcnt lgkmcnt(0)
	v_and_b32_e32 v6, 1, v6
	v_cmp_eq_u32_e32 vcc, 1, v6
	s_xor_b64 s[6:7], vcc, -1
	s_and_b64 s[6:7], s[6:7], exec
	s_or_b64 s[2:3], s[2:3], s[6:7]
.LBB75_41:
	s_or_b64 exec, exec, s[0:1]
	s_and_saveexec_b64 s[0:1], s[2:3]
	s_cbranch_execz .LBB75_44
; %bb.42:
	ds_read_u8 v6, v3 offset:2112
	s_waitcnt lgkmcnt(0)
	v_cmp_ne_u16_e32 vcc, 0, v6
	s_and_b64 exec, exec, vcc
	s_cbranch_execz .LBB75_44
; %bb.43:
	ds_read_u8 v7, v3 offset:2048
	ds_write_b8 v3, v5
	ds_write_b8 v3, v4 offset:64
	ds_write_b8 v3, v6 offset:2048
	s_waitcnt lgkmcnt(3)
	ds_write_b8 v3, v7 offset:2112
.LBB75_44:
	s_or_b64 exec, exec, s[0:1]
	v_and_b32_e32 v3, 31, v0
	v_sub_u32_e32 v3, v2, v3
	v_add_u32_e32 v3, 1, v3
	s_waitcnt lgkmcnt(0)
	s_barrier
	ds_read_u8 v4, v3
	ds_read_u8 v5, v3 offset:32
	s_waitcnt lgkmcnt(0)
	v_cmp_ge_u16_e64 s[2:3], v4, v5
	v_cmp_lt_u16_e32 vcc, v4, v5
	s_and_saveexec_b64 s[0:1], vcc
	s_cbranch_execz .LBB75_46
; %bb.45:
	ds_read_u8 v6, v3 offset:2048
	s_andn2_b64 s[2:3], s[2:3], exec
	s_waitcnt lgkmcnt(0)
	v_and_b32_e32 v6, 1, v6
	v_cmp_eq_u32_e32 vcc, 1, v6
	s_xor_b64 s[6:7], vcc, -1
	s_and_b64 s[6:7], s[6:7], exec
	s_or_b64 s[2:3], s[2:3], s[6:7]
.LBB75_46:
	s_or_b64 exec, exec, s[0:1]
	s_and_saveexec_b64 s[0:1], s[2:3]
	s_cbranch_execz .LBB75_49
; %bb.47:
	ds_read_u8 v6, v3 offset:2080
	s_waitcnt lgkmcnt(0)
	v_cmp_ne_u16_e32 vcc, 0, v6
	s_and_b64 exec, exec, vcc
	s_cbranch_execz .LBB75_49
; %bb.48:
	ds_read_u8 v7, v3 offset:2048
	ds_write_b8 v3, v5
	ds_write_b8 v3, v4 offset:32
	ds_write_b8 v3, v6 offset:2048
	s_waitcnt lgkmcnt(3)
	ds_write_b8 v3, v7 offset:2080
.LBB75_49:
	s_or_b64 exec, exec, s[0:1]
	v_and_b32_e32 v3, 15, v0
	v_sub_u32_e32 v3, v2, v3
	v_add_u32_e32 v3, 1, v3
	s_waitcnt lgkmcnt(0)
	s_barrier
	ds_read_u8 v4, v3
	ds_read_u8 v5, v3 offset:16
	s_waitcnt lgkmcnt(0)
	v_cmp_ge_u16_e64 s[2:3], v4, v5
	v_cmp_lt_u16_e32 vcc, v4, v5
	s_and_saveexec_b64 s[0:1], vcc
	s_cbranch_execz .LBB75_51
; %bb.50:
	ds_read_u8 v6, v3 offset:2048
	s_andn2_b64 s[2:3], s[2:3], exec
	s_waitcnt lgkmcnt(0)
	v_and_b32_e32 v6, 1, v6
	v_cmp_eq_u32_e32 vcc, 1, v6
	s_xor_b64 s[6:7], vcc, -1
	s_and_b64 s[6:7], s[6:7], exec
	s_or_b64 s[2:3], s[2:3], s[6:7]
.LBB75_51:
	s_or_b64 exec, exec, s[0:1]
	s_and_saveexec_b64 s[0:1], s[2:3]
	s_cbranch_execz .LBB75_54
; %bb.52:
	ds_read_u8 v6, v3 offset:2064
	s_waitcnt lgkmcnt(0)
	v_cmp_ne_u16_e32 vcc, 0, v6
	s_and_b64 exec, exec, vcc
	s_cbranch_execz .LBB75_54
; %bb.53:
	ds_read_u8 v7, v3 offset:2048
	ds_write_b8 v3, v5
	ds_write_b8 v3, v4 offset:16
	ds_write_b8 v3, v6 offset:2048
	s_waitcnt lgkmcnt(3)
	ds_write_b8 v3, v7 offset:2064
.LBB75_54:
	s_or_b64 exec, exec, s[0:1]
	v_and_b32_e32 v3, 7, v0
	v_sub_u32_e32 v3, v2, v3
	v_add_u32_e32 v3, 1, v3
	s_waitcnt lgkmcnt(0)
	s_barrier
	ds_read_u8 v4, v3
	ds_read_u8 v5, v3 offset:8
	s_waitcnt lgkmcnt(0)
	v_cmp_ge_u16_e64 s[2:3], v4, v5
	v_cmp_lt_u16_e32 vcc, v4, v5
	s_and_saveexec_b64 s[0:1], vcc
	s_cbranch_execz .LBB75_56
; %bb.55:
	ds_read_u8 v6, v3 offset:2048
	s_andn2_b64 s[2:3], s[2:3], exec
	s_waitcnt lgkmcnt(0)
	v_and_b32_e32 v6, 1, v6
	v_cmp_eq_u32_e32 vcc, 1, v6
	s_xor_b64 s[6:7], vcc, -1
	s_and_b64 s[6:7], s[6:7], exec
	s_or_b64 s[2:3], s[2:3], s[6:7]
.LBB75_56:
	s_or_b64 exec, exec, s[0:1]
	s_and_saveexec_b64 s[0:1], s[2:3]
	s_cbranch_execz .LBB75_59
; %bb.57:
	ds_read_u8 v6, v3 offset:2056
	s_waitcnt lgkmcnt(0)
	v_cmp_ne_u16_e32 vcc, 0, v6
	s_and_b64 exec, exec, vcc
	s_cbranch_execz .LBB75_59
; %bb.58:
	ds_read_u8 v7, v3 offset:2048
	ds_write_b8 v3, v5
	ds_write_b8 v3, v4 offset:8
	ds_write_b8 v3, v6 offset:2048
	s_waitcnt lgkmcnt(3)
	ds_write_b8 v3, v7 offset:2056
.LBB75_59:
	s_or_b64 exec, exec, s[0:1]
	v_and_b32_e32 v3, 3, v0
	v_sub_u32_e32 v3, v2, v3
	v_add_u32_e32 v3, 1, v3
	s_waitcnt lgkmcnt(0)
	s_barrier
	ds_read_u8 v4, v3
	ds_read_u8 v5, v3 offset:4
	s_waitcnt lgkmcnt(0)
	v_cmp_ge_u16_e64 s[2:3], v4, v5
	v_cmp_lt_u16_e32 vcc, v4, v5
	s_and_saveexec_b64 s[0:1], vcc
	s_cbranch_execz .LBB75_61
; %bb.60:
	ds_read_u8 v6, v3 offset:2048
	s_andn2_b64 s[2:3], s[2:3], exec
	s_waitcnt lgkmcnt(0)
	v_and_b32_e32 v6, 1, v6
	v_cmp_eq_u32_e32 vcc, 1, v6
	s_xor_b64 s[6:7], vcc, -1
	s_and_b64 s[6:7], s[6:7], exec
	s_or_b64 s[2:3], s[2:3], s[6:7]
.LBB75_61:
	s_or_b64 exec, exec, s[0:1]
	s_and_saveexec_b64 s[0:1], s[2:3]
	s_cbranch_execz .LBB75_64
; %bb.62:
	ds_read_u8 v6, v3 offset:2052
	s_waitcnt lgkmcnt(0)
	v_cmp_ne_u16_e32 vcc, 0, v6
	s_and_b64 exec, exec, vcc
	s_cbranch_execz .LBB75_64
; %bb.63:
	ds_read_u8 v7, v3 offset:2048
	ds_write_b8 v3, v5
	ds_write_b8 v3, v4 offset:4
	ds_write_b8 v3, v6 offset:2048
	s_waitcnt lgkmcnt(3)
	ds_write_b8 v3, v7 offset:2052
.LBB75_64:
	s_or_b64 exec, exec, s[0:1]
	v_and_b32_e32 v3, 1, v0
	v_sub_u32_e32 v3, v2, v3
	v_add_u32_e32 v3, 1, v3
	s_waitcnt lgkmcnt(0)
	s_barrier
	ds_read_u8 v4, v3
	ds_read_u8 v5, v3 offset:2
	s_waitcnt lgkmcnt(0)
	v_cmp_ge_u16_e64 s[2:3], v4, v5
	v_cmp_lt_u16_e32 vcc, v4, v5
	s_and_saveexec_b64 s[0:1], vcc
	s_cbranch_execz .LBB75_66
; %bb.65:
	ds_read_u8 v6, v3 offset:2048
	s_andn2_b64 s[2:3], s[2:3], exec
	s_waitcnt lgkmcnt(0)
	v_and_b32_e32 v6, 1, v6
	v_cmp_eq_u32_e32 vcc, 1, v6
	s_xor_b64 s[6:7], vcc, -1
	s_and_b64 s[6:7], s[6:7], exec
	s_or_b64 s[2:3], s[2:3], s[6:7]
.LBB75_66:
	s_or_b64 exec, exec, s[0:1]
	s_and_saveexec_b64 s[0:1], s[2:3]
	s_cbranch_execz .LBB75_69
; %bb.67:
	ds_read_u8 v6, v3 offset:2050
	s_waitcnt lgkmcnt(0)
	v_cmp_ne_u16_e32 vcc, 0, v6
	s_and_b64 exec, exec, vcc
	s_cbranch_execz .LBB75_69
; %bb.68:
	ds_read_u8 v7, v3 offset:2048
	ds_write_b8 v3, v5
	ds_write_b8 v3, v4 offset:2
	ds_write_b8 v3, v6 offset:2048
	s_waitcnt lgkmcnt(3)
	ds_write_b8 v3, v7 offset:2050
.LBB75_69:
	s_or_b64 exec, exec, s[0:1]
	v_add_u32_e32 v4, 1, v2
	s_waitcnt lgkmcnt(0)
	s_barrier
	ds_read_u8 v3, v4
	ds_read_u8 v6, v4 offset:1
	s_add_i32 s10, 1, 0x800
	s_waitcnt lgkmcnt(0)
	v_cmp_ge_u16_e64 s[2:3], v3, v6
	v_cmp_lt_u16_e32 vcc, v3, v6
	s_and_saveexec_b64 s[0:1], vcc
	s_cbranch_execz .LBB75_71
; %bb.70:
	ds_read_u8 v5, v4 offset:2048
	s_andn2_b64 s[2:3], s[2:3], exec
	s_waitcnt lgkmcnt(0)
	v_and_b32_e32 v5, 1, v5
	v_cmp_eq_u32_e32 vcc, 1, v5
	s_xor_b64 s[6:7], vcc, -1
	s_and_b64 s[6:7], s[6:7], exec
	s_or_b64 s[2:3], s[2:3], s[6:7]
.LBB75_71:
	s_or_b64 exec, exec, s[0:1]
	v_add_u32_e32 v5, s10, v2
	s_and_saveexec_b64 s[0:1], s[2:3]
	s_cbranch_execz .LBB75_74
; %bb.72:
	ds_read_u8 v7, v5 offset:1
	s_waitcnt lgkmcnt(0)
	v_cmp_ne_u16_e32 vcc, 0, v7
	s_and_b64 exec, exec, vcc
	s_cbranch_execz .LBB75_74
; %bb.73:
	ds_read_u8 v8, v4 offset:2048
	ds_write_b8 v4, v6
	ds_write_b8 v4, v3 offset:1
	ds_write_b8 v4, v7 offset:2048
	s_waitcnt lgkmcnt(3)
	ds_write_b8 v5, v8 offset:1
.LBB75_74:
	s_or_b64 exec, exec, s[0:1]
	v_cmp_eq_u32_e32 vcc, 0, v0
	s_waitcnt lgkmcnt(0)
	s_barrier
	s_barrier
	s_and_saveexec_b64 s[0:1], vcc
	s_cbranch_execz .LBB75_76
; %bb.75:
	v_mov_b32_e32 v3, 1
	v_mov_b32_e32 v6, 0
	ds_write_b8 v3, v3 offset:2052
	ds_write_b32 v3, v6 offset:2048
.LBB75_76:
	s_or_b64 exec, exec, s[0:1]
	ds_read_u8 v3, v4
	ds_read_u8 v7, v4 offset:1
	v_mad_u32_u24 v8, v0, 14, v5
	v_mul_u32_u24_e32 v6, 14, v0
	s_waitcnt lgkmcnt(0)
	v_cmp_ne_u16_e64 s[0:1], v3, v7
	v_cndmask_b32_e64 v9, 0, 1, s[0:1]
	v_cmp_eq_u16_e64 s[0:1], v3, v7
	v_cndmask_b32_e64 v3, 0, 1, s[0:1]
	s_movk_i32 s0, 0x3ff
	ds_write_b32 v8, v3 offset:8
	v_cmp_ne_u32_e64 s[2:3], s0, v0
	v_mov_b32_e32 v3, 0x800
	ds_write_b8 v8, v9 offset:12
	s_and_saveexec_b64 s[6:7], s[2:3]
	s_cbranch_execz .LBB75_78
; %bb.77:
	ds_read_u8 v8, v4 offset:2
	v_add_u32_e32 v3, 2, v2
	v_lshl_add_u32 v9, v2, 3, s10
	s_waitcnt lgkmcnt(0)
	v_cmp_ne_u16_e64 s[0:1], v7, v8
	v_cndmask_b32_e64 v10, 0, 1, s[0:1]
	v_cmp_eq_u16_e64 s[0:1], v7, v8
	v_cndmask_b32_e64 v7, 0, 1, s[0:1]
	ds_write_b8 v9, v10 offset:20
	ds_write_b32 v9, v7 offset:16
.LBB75_78:
	s_or_b64 exec, exec, s[6:7]
	v_add_u32_e32 v5, v5, v6
	s_waitcnt lgkmcnt(0)
	s_barrier
	ds_read_u8 v7, v5 offset:12
	v_add_u32_e32 v4, v4, v6
	ds_read_b32 v6, v4 offset:2048
	ds_read_b32 v8, v5 offset:8
	ds_read_u8 v9, v4 offset:2052
	s_waitcnt lgkmcnt(3)
	v_and_b32_e32 v10, 1, v7
	v_cmp_eq_u32_e64 s[0:1], 1, v10
	s_waitcnt lgkmcnt(2)
	v_cndmask_b32_e64 v6, v6, 0, s[0:1]
	s_waitcnt lgkmcnt(0)
	v_or_b32_e32 v7, v9, v7
	v_add_u32_e32 v6, v6, v8
	v_and_b32_e32 v7, 1, v7
	ds_write2_b32 v5, v6, v7 offset0:2 offset1:3
	v_lshlrev_b32_e32 v6, 1, v3
	s_movk_i32 s0, 0x200
	v_add_u32_e32 v7, -1, v6
	v_cmp_gt_u32_e64 s[0:1], s0, v0
	s_waitcnt lgkmcnt(0)
	s_barrier
	s_and_saveexec_b64 s[6:7], s[0:1]
	s_cbranch_execz .LBB75_80
; %bb.79:
	v_lshl_add_u32 v8, v7, 3, 1
	ds_read_b32 v9, v8 offset:2048
	ds_read_u8 v10, v8 offset:2052
	v_lshl_add_u32 v11, v6, 3, 1
	ds_read_b32 v12, v11 offset:2024
	ds_read_u8 v11, v11 offset:2028
	v_add_u32_e32 v8, 0x800, v8
	s_waitcnt lgkmcnt(2)
	v_and_b32_e32 v13, 1, v10
	v_cmp_eq_u32_e64 s[0:1], 1, v13
	s_waitcnt lgkmcnt(1)
	v_cndmask_b32_e64 v12, v12, 0, s[0:1]
	s_waitcnt lgkmcnt(0)
	v_or_b32_e32 v10, v11, v10
	v_add_u32_e32 v9, v12, v9
	v_and_b32_e32 v10, 1, v10
	ds_write2_b32 v8, v9, v10 offset1:1
.LBB75_80:
	s_or_b64 exec, exec, s[6:7]
	s_movk_i32 s0, 0x100
	v_lshlrev_b32_e32 v8, 2, v3
	v_add_u32_e32 v7, v7, v6
	v_cmp_gt_u32_e64 s[0:1], s0, v0
	s_waitcnt lgkmcnt(0)
	s_barrier
	s_and_saveexec_b64 s[6:7], s[0:1]
	s_cbranch_execz .LBB75_82
; %bb.81:
	v_lshl_add_u32 v9, v7, 3, 1
	ds_read_b32 v10, v9 offset:2048
	ds_read_u8 v11, v9 offset:2052
	v_lshl_add_u32 v12, v8, 3, 1
	ds_read_b32 v13, v12 offset:2008
	ds_read_u8 v12, v12 offset:2012
	v_add_u32_e32 v9, 0x800, v9
	s_waitcnt lgkmcnt(2)
	v_and_b32_e32 v14, 1, v11
	v_cmp_eq_u32_e64 s[0:1], 1, v14
	s_waitcnt lgkmcnt(1)
	v_cndmask_b32_e64 v13, v13, 0, s[0:1]
	s_waitcnt lgkmcnt(0)
	v_or_b32_e32 v11, v12, v11
	v_add_u32_e32 v10, v13, v10
	v_and_b32_e32 v11, 1, v11
	ds_write2_b32 v9, v10, v11 offset1:1
.LBB75_82:
	s_or_b64 exec, exec, s[6:7]
	s_movk_i32 s0, 0x80
	v_lshlrev_b32_e32 v10, 3, v3
	v_add_u32_e32 v9, v7, v8
	v_cmp_gt_u32_e64 s[0:1], s0, v0
	s_waitcnt lgkmcnt(0)
	s_barrier
	s_and_saveexec_b64 s[6:7], s[0:1]
	s_cbranch_execz .LBB75_84
; %bb.83:
	v_lshl_add_u32 v11, v9, 3, 1
	ds_read_b32 v12, v11 offset:2048
	ds_read_u8 v13, v11 offset:2052
	v_lshl_add_u32 v14, v10, 3, 1
	ds_read_b32 v15, v14 offset:1976
	ds_read_u8 v14, v14 offset:1980
	v_add_u32_e32 v11, 0x800, v11
	s_waitcnt lgkmcnt(2)
	v_and_b32_e32 v16, 1, v13
	v_cmp_eq_u32_e64 s[0:1], 1, v16
	s_waitcnt lgkmcnt(1)
	v_cndmask_b32_e64 v15, v15, 0, s[0:1]
	s_waitcnt lgkmcnt(0)
	v_or_b32_e32 v13, v14, v13
	v_add_u32_e32 v12, v15, v12
	v_and_b32_e32 v13, 1, v13
	ds_write2_b32 v11, v12, v13 offset1:1
.LBB75_84:
	s_or_b64 exec, exec, s[6:7]
	v_lshlrev_b32_e32 v12, 4, v3
	v_add_u32_e32 v11, v9, v10
	v_cmp_gt_u32_e64 s[0:1], 64, v0
	s_waitcnt lgkmcnt(0)
	s_barrier
	s_and_saveexec_b64 s[8:9], s[0:1]
	s_cbranch_execz .LBB75_86
; %bb.85:
	v_lshl_add_u32 v13, v11, 3, 1
	ds_read_b32 v14, v13 offset:2048
	ds_read_u8 v15, v13 offset:2052
	v_lshl_add_u32 v16, v12, 3, 1
	ds_read_b32 v17, v16 offset:1912
	ds_read_u8 v16, v16 offset:1916
	v_add_u32_e32 v13, 0x800, v13
	s_waitcnt lgkmcnt(2)
	v_and_b32_e32 v18, 1, v15
	v_cmp_eq_u32_e64 s[6:7], 1, v18
	s_waitcnt lgkmcnt(1)
	v_cndmask_b32_e64 v17, v17, 0, s[6:7]
	s_waitcnt lgkmcnt(0)
	v_or_b32_e32 v15, v16, v15
	v_add_u32_e32 v14, v17, v14
	v_and_b32_e32 v15, 1, v15
	ds_write2_b32 v13, v14, v15 offset1:1
.LBB75_86:
	s_or_b64 exec, exec, s[8:9]
	;; [unrolled: 27-line block ×5, first 2 shown]
	v_lshlrev_b32_e32 v20, 8, v3
	v_add_u32_e32 v19, v17, v18
	v_cmp_gt_u32_e64 s[6:7], 4, v0
	s_waitcnt lgkmcnt(0)
	s_barrier
	s_and_saveexec_b64 s[8:9], s[6:7]
	s_cbranch_execz .LBB75_94
; %bb.93:
	v_lshl_add_u32 v21, v19, 3, 1
	v_add_u32_e32 v22, 0x800, v21
	v_lshl_add_u32 v23, v20, 3, 1
	ds_read_b32 v24, v21 offset:2048
	ds_read_u8 v21, v21 offset:2052
	v_add_u32_e32 v25, -8, v23
	v_add_u32_e32 v23, -4, v23
	ds_read_b32 v25, v25
	ds_read_u8 v23, v23
	s_waitcnt lgkmcnt(2)
	v_and_b32_e32 v26, 1, v21
	v_cmp_eq_u32_e64 s[6:7], 1, v26
	s_waitcnt lgkmcnt(1)
	v_cndmask_b32_e64 v25, v25, 0, s[6:7]
	s_waitcnt lgkmcnt(0)
	v_or_b32_e32 v21, v23, v21
	v_add_u32_e32 v24, v25, v24
	v_and_b32_e32 v21, 1, v21
	ds_write2_b32 v22, v24, v21 offset1:1
.LBB75_94:
	s_or_b64 exec, exec, s[8:9]
	v_add_u32_e32 v21, v19, v20
	v_cmp_gt_u32_e64 s[6:7], 2, v0
	v_lshl_add_u32 v21, v21, 3, 1
	s_waitcnt lgkmcnt(0)
	s_barrier
	s_and_saveexec_b64 s[8:9], s[6:7]
	s_cbranch_execz .LBB75_96
; %bb.95:
	v_lshl_add_u32 v23, v3, 12, 1
	v_add_u32_e32 v24, 0xfffff7f8, v23
	ds_read_u8 v25, v21 offset:2052
	ds_read_b32 v24, v24
	v_add_u32_e32 v23, 0xfffff7fc, v23
	ds_read_b32 v26, v21 offset:2048
	ds_read_u8 v23, v23
	v_add_u32_e32 v22, 0x800, v21
	s_waitcnt lgkmcnt(3)
	v_and_b32_e32 v27, 1, v25
	v_cmp_eq_u32_e64 s[6:7], 1, v27
	s_waitcnt lgkmcnt(2)
	v_cndmask_b32_e64 v24, v24, 0, s[6:7]
	s_waitcnt lgkmcnt(0)
	v_or_b32_e32 v23, v23, v25
	v_add_u32_e32 v24, v24, v26
	v_and_b32_e32 v23, 1, v23
	ds_write2_b32 v22, v24, v23 offset1:1
.LBB75_96:
	s_or_b64 exec, exec, s[8:9]
	s_waitcnt lgkmcnt(0)
	s_barrier
	s_and_saveexec_b64 s[8:9], vcc
	s_cbranch_execz .LBB75_98
; %bb.97:
	v_mov_b32_e32 v24, 1
	s_movk_i32 s6, 0xf8
	ds_read_u8 v25, v24 offset:18428
	v_add_u32_e64 v22, s6, 1
	ds_read2st64_b32 v[22:23], v22 offset0:39 offset1:71
	ds_read_u8 v24, v24 offset:10236
	s_add_i32 s11, 1, 0x47f8
	s_waitcnt lgkmcnt(2)
	v_and_b32_e32 v26, 1, v25
	v_cmp_eq_u32_e64 s[6:7], 1, v26
	s_waitcnt lgkmcnt(1)
	v_cndmask_b32_e64 v22, v22, 0, s[6:7]
	v_add_u32_e32 v22, v22, v23
	s_waitcnt lgkmcnt(0)
	v_or_b32_e32 v23, v24, v25
	v_and_b32_e32 v23, 1, v23
	v_mov_b32_e32 v24, s11
	ds_write2_b32 v24, v22, v23 offset1:1
.LBB75_98:
	s_or_b64 exec, exec, s[8:9]
	s_waitcnt lgkmcnt(0)
	s_barrier
	s_and_saveexec_b64 s[8:9], vcc
	s_cbranch_execz .LBB75_100
; %bb.99:
	v_mov_b32_e32 v22, 1
	ds_read_u8 v23, v22 offset:14332
	ds_read_b32 v22, v22 offset:14328
	ds_read_b32 v24, v21 offset:2048
	ds_read_u8 v21, v21 offset:2052
	s_add_i32 s11, 1, 0x37f8
	s_waitcnt lgkmcnt(3)
	v_and_b32_e32 v25, 1, v23
	v_cmp_eq_u32_e64 s[6:7], 1, v25
	s_waitcnt lgkmcnt(1)
	v_cndmask_b32_e64 v24, v24, 0, s[6:7]
	s_waitcnt lgkmcnt(0)
	v_or_b32_e32 v21, v21, v23
	v_add_u32_e32 v22, v24, v22
	v_and_b32_e32 v21, 1, v21
	v_mov_b32_e32 v23, s11
	ds_write2_b32 v23, v22, v21 offset1:1
.LBB75_100:
	s_or_b64 exec, exec, s[8:9]
	v_cmp_gt_u32_e64 s[6:7], 3, v0
	s_waitcnt lgkmcnt(0)
	s_barrier
	s_and_saveexec_b64 s[8:9], s[6:7]
	s_cbranch_execz .LBB75_102
; %bb.101:
	v_lshl_add_u32 v20, v20, 3, s10
	ds_read_b32 v21, v20 offset:2040
	ds_read_u8 v22, v20 offset:2044
	v_lshl_add_u32 v19, v19, 3, s10
	ds_read_b32 v23, v19
	ds_read_u8 v19, v19 offset:4
	v_add_u32_e32 v20, 0x7f8, v20
	s_waitcnt lgkmcnt(2)
	v_and_b32_e32 v24, 1, v22
	v_cmp_eq_u32_e64 s[6:7], 1, v24
	s_waitcnt lgkmcnt(1)
	v_cndmask_b32_e64 v23, v23, 0, s[6:7]
	s_waitcnt lgkmcnt(0)
	v_or_b32_e32 v19, v19, v22
	v_add_u32_e32 v21, v23, v21
	v_and_b32_e32 v19, 1, v19
	ds_write2_b32 v20, v21, v19 offset1:1
.LBB75_102:
	s_or_b64 exec, exec, s[8:9]
	v_cmp_gt_u32_e64 s[6:7], 7, v0
	s_waitcnt lgkmcnt(0)
	s_barrier
	s_and_saveexec_b64 s[8:9], s[6:7]
	s_cbranch_execz .LBB75_104
; %bb.103:
	v_lshl_add_u32 v18, v18, 3, s10
	ds_read_u8 v19, v18 offset:1020
	v_lshl_add_u32 v17, v17, 3, s10
	ds_read_b32 v20, v17
	ds_read_b32 v21, v18 offset:1016
	ds_read_u8 v17, v17 offset:4
	s_waitcnt lgkmcnt(3)
	v_and_b32_e32 v22, 1, v19
	v_cmp_eq_u32_e64 s[6:7], 1, v22
	s_waitcnt lgkmcnt(2)
	v_cndmask_b32_e64 v20, v20, 0, s[6:7]
	s_waitcnt lgkmcnt(0)
	v_or_b32_e32 v17, v17, v19
	v_add_u32_e32 v20, v20, v21
	v_and_b32_e32 v17, 1, v17
	ds_write2_b32 v18, v20, v17 offset0:254 offset1:255
.LBB75_104:
	s_or_b64 exec, exec, s[8:9]
	v_cmp_gt_u32_e64 s[6:7], 15, v0
	s_waitcnt lgkmcnt(0)
	s_barrier
	s_and_saveexec_b64 s[8:9], s[6:7]
	s_cbranch_execz .LBB75_106
; %bb.105:
	v_lshl_add_u32 v16, v16, 3, s10
	ds_read_u8 v17, v16 offset:508
	v_lshl_add_u32 v15, v15, 3, s10
	ds_read_b32 v18, v15
	ds_read_b32 v19, v16 offset:504
	ds_read_u8 v15, v15 offset:4
	s_waitcnt lgkmcnt(3)
	v_and_b32_e32 v20, 1, v17
	v_cmp_eq_u32_e64 s[6:7], 1, v20
	s_waitcnt lgkmcnt(2)
	v_cndmask_b32_e64 v18, v18, 0, s[6:7]
	s_waitcnt lgkmcnt(0)
	v_or_b32_e32 v15, v15, v17
	v_add_u32_e32 v18, v18, v19
	v_and_b32_e32 v15, 1, v15
	ds_write2_b32 v16, v18, v15 offset0:126 offset1:127
.LBB75_106:
	;; [unrolled: 24-line block ×4, first 2 shown]
	s_or_b64 exec, exec, s[8:9]
	s_movk_i32 s6, 0x7f
	v_cmp_gt_u32_e64 s[6:7], s6, v0
	s_waitcnt lgkmcnt(0)
	s_barrier
	s_and_saveexec_b64 s[8:9], s[6:7]
	s_cbranch_execz .LBB75_112
; %bb.111:
	v_lshl_add_u32 v10, v10, 3, s10
	ds_read_u8 v11, v10 offset:60
	v_lshl_add_u32 v9, v9, 3, s10
	ds_read_b32 v12, v9
	ds_read_b32 v13, v10 offset:56
	ds_read_u8 v9, v9 offset:4
	s_waitcnt lgkmcnt(3)
	v_and_b32_e32 v14, 1, v11
	v_cmp_eq_u32_e64 s[6:7], 1, v14
	s_waitcnt lgkmcnt(2)
	v_cndmask_b32_e64 v12, v12, 0, s[6:7]
	s_waitcnt lgkmcnt(0)
	v_or_b32_e32 v9, v9, v11
	v_add_u32_e32 v12, v12, v13
	v_and_b32_e32 v9, 1, v9
	ds_write2_b32 v10, v12, v9 offset0:14 offset1:15
.LBB75_112:
	s_or_b64 exec, exec, s[8:9]
	s_movk_i32 s6, 0xff
	v_cmp_gt_u32_e64 s[6:7], s6, v0
	s_waitcnt lgkmcnt(0)
	s_barrier
	s_and_saveexec_b64 s[8:9], s[6:7]
	s_cbranch_execz .LBB75_114
; %bb.113:
	v_lshl_add_u32 v8, v8, 3, s10
	ds_read_u8 v9, v8 offset:28
	v_lshl_add_u32 v7, v7, 3, s10
	ds_read_b32 v10, v7
	ds_read_b32 v11, v8 offset:24
	ds_read_u8 v7, v7 offset:4
	s_waitcnt lgkmcnt(3)
	v_and_b32_e32 v12, 1, v9
	v_cmp_eq_u32_e64 s[6:7], 1, v12
	s_waitcnt lgkmcnt(2)
	v_cndmask_b32_e64 v10, v10, 0, s[6:7]
	s_waitcnt lgkmcnt(0)
	v_or_b32_e32 v7, v7, v9
	v_add_u32_e32 v10, v10, v11
	v_and_b32_e32 v7, 1, v7
	ds_write2_b32 v8, v10, v7 offset0:6 offset1:7
.LBB75_114:
	s_or_b64 exec, exec, s[8:9]
	s_movk_i32 s6, 0x1ff
	v_cmp_gt_u32_e64 s[6:7], s6, v0
	s_waitcnt lgkmcnt(0)
	s_barrier
	s_and_saveexec_b64 s[8:9], s[6:7]
	s_cbranch_execz .LBB75_116
; %bb.115:
	v_lshl_add_u32 v6, v6, 3, s10
	ds_read_u8 v7, v6 offset:12
	v_add_u32_e32 v8, -8, v6
	ds_read_b32 v9, v8
	ds_read_b32 v10, v6 offset:8
	ds_read_u8 v8, v8 offset:4
	s_waitcnt lgkmcnt(3)
	v_and_b32_e32 v11, 1, v7
	v_cmp_eq_u32_e64 s[6:7], 1, v11
	s_waitcnt lgkmcnt(2)
	v_cndmask_b32_e64 v9, v9, 0, s[6:7]
	s_waitcnt lgkmcnt(0)
	v_or_b32_e32 v7, v8, v7
	v_add_u32_e32 v9, v9, v10
	v_and_b32_e32 v7, 1, v7
	ds_write2_b32 v6, v9, v7 offset0:2 offset1:3
.LBB75_116:
	s_or_b64 exec, exec, s[8:9]
	s_waitcnt lgkmcnt(0)
	s_barrier
	s_and_saveexec_b64 s[6:7], s[2:3]
	s_cbranch_execz .LBB75_118
; %bb.117:
	v_lshl_add_u32 v3, v3, 3, 1
	ds_read_u8 v6, v3 offset:2052
	ds_read_b32 v7, v5 offset:8
	v_add_u32_e32 v8, 0x800, v3
	ds_read_b32 v3, v3 offset:2048
	ds_read_u8 v9, v5 offset:12
	s_waitcnt lgkmcnt(3)
	v_and_b32_e32 v10, 1, v6
	v_cmp_eq_u32_e64 s[2:3], 1, v10
	s_waitcnt lgkmcnt(2)
	v_cndmask_b32_e64 v7, v7, 0, s[2:3]
	s_waitcnt lgkmcnt(0)
	v_or_b32_e32 v6, v9, v6
	v_add_u32_e32 v3, v7, v3
	v_and_b32_e32 v6, 1, v6
	ds_write2_b32 v8, v3, v6 offset1:1
.LBB75_118:
	s_or_b64 exec, exec, s[6:7]
	s_waitcnt lgkmcnt(0)
	s_barrier
	ds_read_b32 v3, v4 offset:2048
	ds_read_b32 v5, v5 offset:8
	v_mbcnt_lo_u32_b32 v8, -1, 0
	v_mbcnt_hi_u32_b32 v13, -1, v8
	v_and_b32_e32 v14, 63, v13
	v_or_b32_e32 v4, 1, v2
	v_cmp_gt_u32_e64 s[8:9], 32, v14
	v_cmp_gt_u32_e64 s[2:3], s16, v2
	;; [unrolled: 1-line block ×3, first 2 shown]
	v_cndmask_b32_e64 v8, 0, 1, s[8:9]
	s_waitcnt lgkmcnt(1)
	v_cndmask_b32_e64 v3, 0, v3, s[2:3]
	s_waitcnt lgkmcnt(0)
	v_cndmask_b32_e64 v5, 0, v5, s[6:7]
	v_lshlrev_b32_e32 v8, 5, v8
	v_cndmask_b32_e64 v6, 0, v2, s[2:3]
	v_max_u32_e32 v7, v5, v3
	v_add_lshl_u32 v8, v8, v13, 2
	v_cndmask_b32_e64 v9, 0, v4, s[6:7]
	v_cmp_gt_u32_e64 s[8:9], v5, v3
	ds_bpermute_b32 v10, v8, v7
	v_cndmask_b32_e64 v3, v6, v9, s[8:9]
	ds_bpermute_b32 v5, v8, v3
	v_cmp_gt_u32_e64 s[8:9], 48, v14
	v_cndmask_b32_e64 v9, 0, 1, s[8:9]
	v_lshlrev_b32_e32 v9, 4, v9
	s_waitcnt lgkmcnt(1)
	v_max_u32_e32 v6, v10, v7
	v_add_lshl_u32 v9, v9, v13, 2
	v_cmp_gt_u32_e64 s[8:9], v10, v7
	ds_bpermute_b32 v11, v9, v6
	s_waitcnt lgkmcnt(1)
	v_cndmask_b32_e64 v3, v3, v5, s[8:9]
	ds_bpermute_b32 v5, v9, v3
	v_cmp_gt_u32_e64 s[8:9], 56, v14
	v_cndmask_b32_e64 v10, 0, 1, s[8:9]
	v_lshlrev_b32_e32 v10, 3, v10
	s_waitcnt lgkmcnt(1)
	v_max_u32_e32 v7, v11, v6
	v_add_lshl_u32 v10, v10, v13, 2
	v_cmp_gt_u32_e64 s[8:9], v11, v6
	ds_bpermute_b32 v12, v10, v7
	s_waitcnt lgkmcnt(1)
	;; [unrolled: 11-line block ×4, first 2 shown]
	v_cndmask_b32_e64 v5, v3, v5, s[8:9]
	ds_bpermute_b32 v6, v12, v5
	s_waitcnt lgkmcnt(0)
	s_barrier
	v_cmp_gt_u32_e64 s[8:9], v16, v7
	v_max_u32_e32 v3, v16, v7
	v_cndmask_b32_e64 v5, v5, v6, s[8:9]
	v_cmp_ne_u32_e64 s[8:9], 63, v14
	v_addc_co_u32_e64 v6, s[8:9], 0, v13, s[8:9]
	v_lshlrev_b32_e32 v13, 2, v6
	ds_bpermute_b32 v6, v13, v5
	ds_bpermute_b32 v7, v13, v3
	v_cmp_eq_u32_e64 s[8:9], 0, v1
	s_waitcnt lgkmcnt(0)
	s_barrier
	s_and_saveexec_b64 s[12:13], s[8:9]
	s_cbranch_execz .LBB75_120
; %bb.119:
	v_lshrrev_b32_e32 v14, 3, v0
	v_add_u32_e32 v14, 1, v14
	v_cmp_gt_u32_e64 s[10:11], v7, v3
	v_add_u32_e32 v14, 0x800, v14
	v_cndmask_b32_e64 v5, v5, v6, s[10:11]
	v_max_u32_e32 v3, v7, v3
	ds_write2_b32 v14, v3, v5 offset1:1
.LBB75_120:
	s_or_b64 exec, exec, s[12:13]
	s_lshr_b32 s10, s22, 6
	v_cmp_gt_u32_e64 s[10:11], s10, v0
	v_lshl_add_u32 v14, v1, 3, 1
	v_mov_b32_e32 v3, 0
	v_mov_b32_e32 v5, 0
	s_waitcnt lgkmcnt(0)
	s_barrier
	s_and_saveexec_b64 s[12:13], s[10:11]
	s_cbranch_execnz .LBB75_143
; %bb.121:
	s_or_b64 exec, exec, s[12:13]
	s_and_saveexec_b64 s[12:13], s[10:11]
	s_cbranch_execnz .LBB75_144
.LBB75_122:
	s_or_b64 exec, exec, s[12:13]
	s_and_saveexec_b64 s[22:23], s[0:1]
	s_cbranch_execnz .LBB75_145
.LBB75_123:
	s_or_b64 exec, exec, s[22:23]
	s_and_saveexec_b64 s[12:13], vcc
	s_cbranch_execz .LBB75_125
.LBB75_124:
	s_waitcnt lgkmcnt(0)
	v_add_u32_e32 v3, 1, v3
	ds_read_u8 v3, v3
	v_mov_b32_e32 v5, 0
	s_waitcnt lgkmcnt(0)
	ds_write_b8 v5, v3
.LBB75_125:
	s_or_b64 exec, exec, s[12:13]
	s_mov_b32 s22, 0
	s_waitcnt lgkmcnt(0)
	v_mov_b32_e32 v3, 0
	s_mov_b32 s23, s22
	v_cmp_gt_i64_e64 s[12:13], s[16:17], v[2:3]
	v_pk_mov_b32 v[6:7], s[22:23], s[22:23] op_sel:[0,1]
	s_barrier
	s_and_saveexec_b64 s[22:23], s[12:13]
	s_cbranch_execz .LBB75_127
; %bb.126:
	v_add_u32_e32 v5, s19, v2
	global_load_ubyte v5, v5, s[20:21]
	ds_read_u8 v6, v3
	s_waitcnt vmcnt(0) lgkmcnt(0)
	v_cmp_eq_u16_e64 s[12:13], v5, v6
	v_cndmask_b32_e64 v2, 0, v2, s[12:13]
	v_pk_mov_b32 v[6:7], v[2:3], v[2:3] op_sel:[0,1]
.LBB75_127:
	s_or_b64 exec, exec, s[22:23]
	v_mov_b32_e32 v5, v3
	v_cmp_gt_i64_e64 s[12:13], s[16:17], v[4:5]
	s_and_saveexec_b64 s[16:17], s[12:13]
	s_cbranch_execz .LBB75_129
; %bb.128:
	v_add_u32_e32 v2, s19, v4
	global_load_ubyte v2, v2, s[20:21]
	v_mov_b32_e32 v3, 0
	ds_read_u8 v3, v3
	s_waitcnt vmcnt(0) lgkmcnt(0)
	v_cmp_eq_u16_e64 s[12:13], v2, v3
	v_cndmask_b32_e64 v7, 0, v4, s[12:13]
.LBB75_129:
	s_or_b64 exec, exec, s[16:17]
	v_cndmask_b32_e64 v2, 0, v6, s[2:3]
	v_cndmask_b32_e64 v3, 0, v7, s[6:7]
	v_max_u32_e32 v2, v3, v2
	ds_bpermute_b32 v3, v8, v2
	s_waitcnt lgkmcnt(0)
	s_barrier
	v_max_u32_e32 v2, v3, v2
	ds_bpermute_b32 v3, v9, v2
	s_waitcnt lgkmcnt(0)
	v_max_u32_e32 v2, v3, v2
	ds_bpermute_b32 v3, v10, v2
	s_waitcnt lgkmcnt(0)
	;; [unrolled: 3-line block ×4, first 2 shown]
	v_max_u32_e32 v2, v3, v2
	ds_bpermute_b32 v3, v13, v2
	s_and_saveexec_b64 s[2:3], s[8:9]
	s_cbranch_execz .LBB75_131
; %bb.130:
	v_lshrrev_b32_e32 v0, 4, v0
	v_add_u32_e32 v0, 1, v0
	s_waitcnt lgkmcnt(0)
	v_max_u32_e32 v2, v3, v2
	ds_write_b32 v0, v2
.LBB75_131:
	s_or_b64 exec, exec, s[2:3]
	v_mov_b32_e32 v0, 0
	s_waitcnt lgkmcnt(0)
	s_barrier
	s_and_saveexec_b64 s[2:3], s[10:11]
	s_cbranch_execnz .LBB75_146
; %bb.132:
	s_or_b64 exec, exec, s[2:3]
	s_and_saveexec_b64 s[2:3], s[0:1]
	s_cbranch_execnz .LBB75_147
.LBB75_133:
	s_or_b64 exec, exec, s[2:3]
	s_and_saveexec_b64 s[0:1], vcc
	s_cbranch_execnz .LBB75_148
.LBB75_134:
	s_endpgm
.LBB75_135:
	ds_read_u8 v5, v1 offset:2048
	s_andn2_b64 s[0:1], s[0:1], exec
	s_waitcnt lgkmcnt(0)
	v_and_b32_e32 v5, 1, v5
	v_cmp_eq_u32_e32 vcc, 1, v5
	s_xor_b64 s[8:9], vcc, -1
	s_and_b64 s[8:9], s[8:9], exec
	s_or_b64 s[0:1], s[0:1], s[8:9]
	s_or_b64 exec, exec, s[2:3]
	v_mov_b32_e32 v5, s6
	s_and_saveexec_b64 s[2:3], s[0:1]
	s_cbranch_execz .LBB75_25
.LBB75_136:
	ds_read_u8 v5, v1 offset:3072
	s_waitcnt lgkmcnt(0)
	v_xor_b32_e32 v5, 1, v5
	s_or_b64 exec, exec, s[2:3]
	v_cmp_eq_u32_e32 vcc, 0, v5
	s_and_saveexec_b64 s[0:1], vcc
	s_cbranch_execnz .LBB75_26
	s_branch .LBB75_27
.LBB75_137:
	ds_read_u8 v5, v1 offset:2048
	s_andn2_b64 s[0:1], s[0:1], exec
	s_waitcnt lgkmcnt(0)
	v_and_b32_e32 v5, 1, v5
	v_cmp_eq_u32_e32 vcc, 1, v5
	s_xor_b64 s[8:9], vcc, -1
	s_and_b64 s[8:9], s[8:9], exec
	s_or_b64 s[0:1], s[0:1], s[8:9]
	s_or_b64 exec, exec, s[2:3]
	v_mov_b32_e32 v5, s6
	s_and_saveexec_b64 s[2:3], s[0:1]
	s_cbranch_execz .LBB75_29
.LBB75_138:
	ds_read_u8 v5, v1 offset:2560
	s_waitcnt lgkmcnt(0)
	v_xor_b32_e32 v5, 1, v5
	s_or_b64 exec, exec, s[2:3]
	v_cmp_eq_u32_e32 vcc, 0, v5
	s_and_saveexec_b64 s[0:1], vcc
	s_cbranch_execnz .LBB75_30
	s_branch .LBB75_31
.LBB75_139:
	ds_read_u8 v5, v1 offset:2048
	s_andn2_b64 s[0:1], s[0:1], exec
	s_waitcnt lgkmcnt(0)
	v_and_b32_e32 v5, 1, v5
	v_cmp_eq_u32_e32 vcc, 1, v5
	s_xor_b64 s[8:9], vcc, -1
	s_and_b64 s[8:9], s[8:9], exec
	s_or_b64 s[0:1], s[0:1], s[8:9]
	s_or_b64 exec, exec, s[2:3]
	v_mov_b32_e32 v5, s6
	s_and_saveexec_b64 s[2:3], s[0:1]
	s_cbranch_execz .LBB75_33
.LBB75_140:
	ds_read_u8 v5, v1 offset:2304
	s_waitcnt lgkmcnt(0)
	v_xor_b32_e32 v5, 1, v5
	s_or_b64 exec, exec, s[2:3]
	v_cmp_eq_u32_e32 vcc, 0, v5
	s_and_saveexec_b64 s[0:1], vcc
	s_cbranch_execnz .LBB75_34
	s_branch .LBB75_35
.LBB75_141:
	ds_read_u8 v5, v1 offset:2048
	s_andn2_b64 s[0:1], s[0:1], exec
	s_waitcnt lgkmcnt(0)
	v_and_b32_e32 v5, 1, v5
	v_cmp_eq_u32_e32 vcc, 1, v5
	s_xor_b64 s[8:9], vcc, -1
	s_and_b64 s[8:9], s[8:9], exec
	s_or_b64 s[0:1], s[0:1], s[8:9]
	s_or_b64 exec, exec, s[2:3]
	v_mov_b32_e32 v5, s6
	s_and_saveexec_b64 s[2:3], s[0:1]
	s_cbranch_execz .LBB75_37
.LBB75_142:
	ds_read_u8 v5, v1 offset:2176
	s_waitcnt lgkmcnt(0)
	v_xor_b32_e32 v5, 1, v5
	s_or_b64 exec, exec, s[2:3]
	v_cmp_eq_u32_e32 vcc, 0, v5
	s_and_saveexec_b64 s[0:1], vcc
	s_cbranch_execnz .LBB75_38
	s_branch .LBB75_39
.LBB75_143:
	ds_read_b32 v5, v14 offset:2048
	s_or_b64 exec, exec, s[12:13]
	s_and_saveexec_b64 s[12:13], s[10:11]
	s_cbranch_execz .LBB75_122
.LBB75_144:
	ds_read_b32 v3, v14 offset:2052
	s_or_b64 exec, exec, s[12:13]
	s_and_saveexec_b64 s[22:23], s[0:1]
	s_cbranch_execz .LBB75_123
.LBB75_145:
	s_waitcnt lgkmcnt(0)
	ds_bpermute_b32 v6, v8, v5
	ds_bpermute_b32 v7, v8, v3
	s_waitcnt lgkmcnt(1)
	v_max_u32_e32 v15, v6, v5
	v_cmp_gt_u32_e64 s[12:13], v6, v5
	ds_bpermute_b32 v16, v9, v15
	s_waitcnt lgkmcnt(1)
	v_cndmask_b32_e64 v3, v3, v7, s[12:13]
	ds_bpermute_b32 v5, v9, v3
	s_waitcnt lgkmcnt(1)
	v_max_u32_e32 v6, v16, v15
	v_cmp_gt_u32_e64 s[12:13], v16, v15
	ds_bpermute_b32 v7, v10, v6
	s_waitcnt lgkmcnt(1)
	v_cndmask_b32_e64 v3, v3, v5, s[12:13]
	ds_bpermute_b32 v5, v10, v3
	s_waitcnt lgkmcnt(1)
	v_max_u32_e32 v15, v7, v6
	v_cmp_gt_u32_e64 s[12:13], v7, v6
	ds_bpermute_b32 v16, v11, v15
	s_waitcnt lgkmcnt(1)
	v_cndmask_b32_e64 v3, v3, v5, s[12:13]
	ds_bpermute_b32 v5, v11, v3
	s_waitcnt lgkmcnt(1)
	v_max_u32_e32 v6, v16, v15
	v_cmp_gt_u32_e64 s[12:13], v16, v15
	ds_bpermute_b32 v7, v12, v6
	s_waitcnt lgkmcnt(1)
	v_cndmask_b32_e64 v3, v3, v5, s[12:13]
	ds_bpermute_b32 v5, v12, v3
	s_waitcnt lgkmcnt(1)
	v_max_u32_e32 v15, v7, v6
	v_cmp_gt_u32_e64 s[12:13], v7, v6
	s_waitcnt lgkmcnt(0)
	v_cndmask_b32_e64 v3, v3, v5, s[12:13]
	ds_bpermute_b32 v5, v13, v15
	ds_bpermute_b32 v6, v13, v3
	s_waitcnt lgkmcnt(1)
	v_cmp_gt_u32_e64 s[12:13], v5, v15
	s_waitcnt lgkmcnt(0)
	v_cndmask_b32_e64 v3, v3, v6, s[12:13]
	s_or_b64 exec, exec, s[22:23]
	s_and_saveexec_b64 s[12:13], vcc
	s_cbranch_execnz .LBB75_124
	s_branch .LBB75_125
.LBB75_146:
	v_lshlrev_b32_e32 v0, 2, v1
	v_sub_u32_e32 v0, v14, v0
	ds_read_b32 v0, v0
	s_or_b64 exec, exec, s[2:3]
	s_and_saveexec_b64 s[2:3], s[0:1]
	s_cbranch_execz .LBB75_133
.LBB75_147:
	s_waitcnt lgkmcnt(0)
	ds_bpermute_b32 v1, v8, v0
	s_waitcnt lgkmcnt(0)
	v_max_u32_e32 v0, v1, v0
	ds_bpermute_b32 v1, v9, v0
	s_waitcnt lgkmcnt(0)
	v_max_u32_e32 v0, v1, v0
	;; [unrolled: 3-line block ×6, first 2 shown]
	s_or_b64 exec, exec, s[2:3]
	s_and_saveexec_b64 s[0:1], vcc
	s_cbranch_execz .LBB75_134
.LBB75_148:
	s_load_dword s2, s[4:5], 0xd8
	s_add_u32 s0, s4, 8
	s_addc_u32 s1, s5, 0
	s_mov_b32 s3, 0
	s_waitcnt lgkmcnt(0)
	s_cmp_lt_i32 s2, 2
	s_cbranch_scc1 .LBB75_151
; %bb.149:
	s_add_i32 s6, s2, 1
	s_add_i32 s2, s2, -1
	s_lshl_b64 s[4:5], s[2:3], 2
	s_add_u32 s2, s4, s0
	s_addc_u32 s5, s5, s1
	s_add_u32 s4, s2, 8
	s_addc_u32 s5, s5, 0
.LBB75_150:                             ; =>This Inner Loop Header: Depth=1
	s_load_dword s2, s[4:5], 0x0
	s_load_dword s8, s[4:5], 0x64
	s_mov_b32 s7, s18
	s_waitcnt lgkmcnt(0)
	v_cvt_f32_u32_e32 v1, s2
	s_sub_i32 s9, 0, s2
	v_rcp_iflag_f32_e32 v1, v1
	v_mul_f32_e32 v1, 0x4f7ffffe, v1
	v_cvt_u32_f32_e32 v1, v1
	v_readfirstlane_b32 s10, v1
	s_mul_i32 s9, s9, s10
	s_mul_hi_u32 s9, s10, s9
	s_add_i32 s10, s10, s9
	s_mul_hi_u32 s9, s18, s10
	s_mul_i32 s10, s9, s2
	s_sub_i32 s10, s18, s10
	s_add_i32 s11, s9, 1
	s_sub_i32 s12, s10, s2
	s_cmp_ge_u32 s10, s2
	s_cselect_b32 s9, s11, s9
	s_cselect_b32 s10, s12, s10
	s_add_i32 s11, s9, 1
	s_cmp_ge_u32 s10, s2
	s_cselect_b32 s18, s11, s9
	s_mul_i32 s2, s18, s2
	s_sub_i32 s2, s7, s2
	s_mul_i32 s2, s8, s2
	s_add_i32 s6, s6, -1
	s_add_i32 s3, s2, s3
	s_add_u32 s4, s4, -4
	s_addc_u32 s5, s5, -1
	s_cmp_gt_u32 s6, 2
	s_cbranch_scc1 .LBB75_150
.LBB75_151:
	s_load_dword s2, s[0:1], 0x6c
	v_mov_b32_e32 v1, 0
	s_load_dwordx2 s[0:1], s[0:1], 0x0
	ds_read_u8 v2, v1
	s_mov_b32 s5, 0
	s_waitcnt lgkmcnt(0)
	s_mul_i32 s2, s2, s18
	s_add_i32 s4, s2, s3
	v_mov_b32_e32 v3, s4
	global_store_byte v3, v2, s[0:1]
	s_lshl_b64 s[0:1], s[4:5], 3
	s_add_u32 s0, s14, s0
	s_addc_u32 s1, s15, s1
	global_store_dwordx2 v1, v[0:1], s[0:1]
	s_endpgm
	.section	.rodata,"a",@progbits
	.p2align	6, 0x0
	.amdhsa_kernel _ZN2at6native12compute_modeIhLj2048EEEvPKT_NS_4cuda6detail10TensorInfoIS2_jEENS7_IljEEll
		.amdhsa_group_segment_fixed_size 1
		.amdhsa_private_segment_fixed_size 0
		.amdhsa_kernarg_size 712
		.amdhsa_user_sgpr_count 6
		.amdhsa_user_sgpr_private_segment_buffer 1
		.amdhsa_user_sgpr_dispatch_ptr 0
		.amdhsa_user_sgpr_queue_ptr 0
		.amdhsa_user_sgpr_kernarg_segment_ptr 1
		.amdhsa_user_sgpr_dispatch_id 0
		.amdhsa_user_sgpr_flat_scratch_init 0
		.amdhsa_user_sgpr_kernarg_preload_length 0
		.amdhsa_user_sgpr_kernarg_preload_offset 0
		.amdhsa_user_sgpr_private_segment_size 0
		.amdhsa_uses_dynamic_stack 0
		.amdhsa_system_sgpr_private_segment_wavefront_offset 0
		.amdhsa_system_sgpr_workgroup_id_x 1
		.amdhsa_system_sgpr_workgroup_id_y 1
		.amdhsa_system_sgpr_workgroup_id_z 1
		.amdhsa_system_sgpr_workgroup_info 0
		.amdhsa_system_vgpr_workitem_id 0
		.amdhsa_next_free_vgpr 28
		.amdhsa_next_free_sgpr 24
		.amdhsa_accum_offset 28
		.amdhsa_reserve_vcc 1
		.amdhsa_reserve_flat_scratch 0
		.amdhsa_float_round_mode_32 0
		.amdhsa_float_round_mode_16_64 0
		.amdhsa_float_denorm_mode_32 3
		.amdhsa_float_denorm_mode_16_64 3
		.amdhsa_dx10_clamp 1
		.amdhsa_ieee_mode 1
		.amdhsa_fp16_overflow 0
		.amdhsa_tg_split 0
		.amdhsa_exception_fp_ieee_invalid_op 0
		.amdhsa_exception_fp_denorm_src 0
		.amdhsa_exception_fp_ieee_div_zero 0
		.amdhsa_exception_fp_ieee_overflow 0
		.amdhsa_exception_fp_ieee_underflow 0
		.amdhsa_exception_fp_ieee_inexact 0
		.amdhsa_exception_int_div_zero 0
	.end_amdhsa_kernel
	.section	.text._ZN2at6native12compute_modeIhLj2048EEEvPKT_NS_4cuda6detail10TensorInfoIS2_jEENS7_IljEEll,"axG",@progbits,_ZN2at6native12compute_modeIhLj2048EEEvPKT_NS_4cuda6detail10TensorInfoIS2_jEENS7_IljEEll,comdat
.Lfunc_end75:
	.size	_ZN2at6native12compute_modeIhLj2048EEEvPKT_NS_4cuda6detail10TensorInfoIS2_jEENS7_IljEEll, .Lfunc_end75-_ZN2at6native12compute_modeIhLj2048EEEvPKT_NS_4cuda6detail10TensorInfoIS2_jEENS7_IljEEll
                                        ; -- End function
	.section	.AMDGPU.csdata,"",@progbits
; Kernel info:
; codeLenInByte = 7980
; NumSgprs: 28
; NumVgprs: 28
; NumAgprs: 0
; TotalNumVgprs: 28
; ScratchSize: 0
; MemoryBound: 0
; FloatMode: 240
; IeeeMode: 1
; LDSByteSize: 1 bytes/workgroup (compile time only)
; SGPRBlocks: 3
; VGPRBlocks: 3
; NumSGPRsForWavesPerEU: 28
; NumVGPRsForWavesPerEU: 28
; AccumOffset: 28
; Occupancy: 8
; WaveLimiterHint : 1
; COMPUTE_PGM_RSRC2:SCRATCH_EN: 0
; COMPUTE_PGM_RSRC2:USER_SGPR: 6
; COMPUTE_PGM_RSRC2:TRAP_HANDLER: 0
; COMPUTE_PGM_RSRC2:TGID_X_EN: 1
; COMPUTE_PGM_RSRC2:TGID_Y_EN: 1
; COMPUTE_PGM_RSRC2:TGID_Z_EN: 1
; COMPUTE_PGM_RSRC2:TIDIG_COMP_CNT: 0
; COMPUTE_PGM_RSRC3_GFX90A:ACCUM_OFFSET: 6
; COMPUTE_PGM_RSRC3_GFX90A:TG_SPLIT: 0
	.section	.text._ZN2at6native12compute_modeIhLj1024EEEvPKT_NS_4cuda6detail10TensorInfoIS2_jEENS7_IljEEll,"axG",@progbits,_ZN2at6native12compute_modeIhLj1024EEEvPKT_NS_4cuda6detail10TensorInfoIS2_jEENS7_IljEEll,comdat
	.protected	_ZN2at6native12compute_modeIhLj1024EEEvPKT_NS_4cuda6detail10TensorInfoIS2_jEENS7_IljEEll ; -- Begin function _ZN2at6native12compute_modeIhLj1024EEEvPKT_NS_4cuda6detail10TensorInfoIS2_jEENS7_IljEEll
	.globl	_ZN2at6native12compute_modeIhLj1024EEEvPKT_NS_4cuda6detail10TensorInfoIS2_jEENS7_IljEEll
	.p2align	8
	.type	_ZN2at6native12compute_modeIhLj1024EEEvPKT_NS_4cuda6detail10TensorInfoIS2_jEENS7_IljEEll,@function
_ZN2at6native12compute_modeIhLj1024EEEvPKT_NS_4cuda6detail10TensorInfoIS2_jEENS7_IljEEll: ; @_ZN2at6native12compute_modeIhLj1024EEEvPKT_NS_4cuda6detail10TensorInfoIS2_jEENS7_IljEEll
; %bb.0:
	s_load_dwordx4 s[16:19], s[4:5], 0x1b8
	s_load_dwordx2 s[2:3], s[4:5], 0x1c8
	s_add_u32 s0, s4, 0x1c8
	s_addc_u32 s1, s5, 0
	s_mov_b32 s15, 0
	s_waitcnt lgkmcnt(0)
	v_mov_b32_e32 v2, s18
	s_mul_i32 s3, s3, s8
	s_add_i32 s3, s3, s7
	s_mul_i32 s2, s3, s2
	v_mov_b32_e32 v3, s19
	s_add_i32 s14, s2, s6
	v_cmp_ge_i64_e32 vcc, s[14:15], v[2:3]
	s_cbranch_vccnz .LBB76_308
; %bb.1:
	s_load_dwordx2 s[18:19], s[4:5], 0x0
	s_load_dword s2, s[0:1], 0xc
	v_mov_b32_e32 v3, 0
	v_mov_b32_e32 v1, v3
	s_mul_i32 s15, s14, s16
	v_cmp_gt_i64_e32 vcc, s[16:17], v[0:1]
	v_add_u32_e32 v1, 1, v0
	s_and_saveexec_b64 s[0:1], vcc
	s_cbranch_execz .LBB76_3
; %bb.2:
	v_add_u32_e32 v2, s15, v0
	s_waitcnt lgkmcnt(0)
	global_load_ubyte v2, v2, s[18:19]
	s_waitcnt vmcnt(0)
	ds_write_b8 v1, v2
.LBB76_3:
	s_or_b64 exec, exec, s[0:1]
	s_waitcnt lgkmcnt(0)
	s_and_b32 s20, 0xffff, s2
	v_add_u32_e32 v2, s20, v0
	v_cmp_gt_i64_e64 s[0:1], s[16:17], v[2:3]
	s_and_saveexec_b64 s[2:3], s[0:1]
	s_cbranch_execz .LBB76_5
; %bb.4:
	v_add_u32_e32 v3, s15, v2
	global_load_ubyte v3, v3, s[18:19]
	v_add_u32_e32 v2, 1, v2
	s_waitcnt vmcnt(0)
	ds_write_b8 v2, v3
.LBB76_5:
	s_or_b64 exec, exec, s[2:3]
	v_cndmask_b32_e64 v2, 0, 1, vcc
	ds_write_b8 v1, v2 offset:1024
	v_add_u32_e32 v2, s20, v1
	v_cndmask_b32_e64 v3, 0, 1, s[0:1]
	v_add_u32_e32 v1, v1, v0
	ds_write_b8 v2, v3 offset:1024
	s_waitcnt lgkmcnt(0)
	s_barrier
	s_barrier
	ds_read_u8 v4, v1
	ds_read_u8 v5, v1 offset:1
	s_mov_b32 s6, 1
	s_waitcnt lgkmcnt(0)
	v_cmp_ge_u16_e64 s[0:1], v4, v5
	v_cmp_lt_u16_e32 vcc, v4, v5
	s_and_saveexec_b64 s[2:3], vcc
	s_cbranch_execz .LBB76_7
; %bb.6:
	ds_read_u8 v2, v1 offset:1024
	s_andn2_b64 s[0:1], s[0:1], exec
	s_waitcnt lgkmcnt(0)
	v_and_b32_e32 v2, 1, v2
	v_cmp_eq_u32_e32 vcc, 1, v2
	s_xor_b64 s[8:9], vcc, -1
	s_and_b64 s[8:9], s[8:9], exec
	s_or_b64 s[0:1], s[0:1], s[8:9]
.LBB76_7:
	s_or_b64 exec, exec, s[2:3]
	v_lshlrev_b32_e32 v2, 1, v0
	v_mov_b32_e32 v7, s6
	v_add_u32_e32 v3, 1, v2
	s_and_saveexec_b64 s[2:3], s[0:1]
	s_cbranch_execz .LBB76_9
; %bb.8:
	ds_read_u8 v6, v3 offset:1025
	s_waitcnt lgkmcnt(0)
	v_xor_b32_e32 v7, 1, v6
.LBB76_9:
	s_or_b64 exec, exec, s[2:3]
	v_and_b32_e32 v6, 1, v0
	v_cmp_eq_u32_e32 vcc, v7, v6
	s_and_saveexec_b64 s[0:1], vcc
	s_cbranch_execz .LBB76_11
; %bb.10:
	ds_read_u8 v7, v3 offset:1025
	ds_read_u8 v8, v1 offset:1024
	ds_write_b8 v1, v5
	ds_write_b8 v1, v4 offset:1
	s_waitcnt lgkmcnt(3)
	ds_write_b8 v1, v7 offset:1024
	s_waitcnt lgkmcnt(3)
	ds_write_b8 v3, v8 offset:1025
.LBB76_11:
	s_or_b64 exec, exec, s[0:1]
	v_sub_u32_e32 v4, v2, v6
	v_add_u32_e32 v4, 1, v4
	s_waitcnt lgkmcnt(0)
	s_barrier
	ds_read_u8 v6, v4
	ds_read_u8 v7, v4 offset:2
	s_mov_b64 s[0:1], -1
                                        ; implicit-def: $sgpr6
	s_waitcnt lgkmcnt(0)
	v_cmp_lt_u16_e32 vcc, v6, v7
	s_and_saveexec_b64 s[2:3], vcc
	s_xor_b64 s[2:3], exec, s[2:3]
	s_cbranch_execz .LBB76_13
; %bb.12:
	ds_read_u8 v5, v4 offset:1024
	s_mov_b32 s6, 1
	s_waitcnt lgkmcnt(0)
	v_and_b32_e32 v5, 1, v5
	v_cmp_eq_u32_e32 vcc, 1, v5
	s_xor_b64 s[0:1], vcc, -1
	s_orn2_b64 s[0:1], s[0:1], exec
.LBB76_13:
	s_or_b64 exec, exec, s[2:3]
	v_mov_b32_e32 v8, s6
	s_and_saveexec_b64 s[2:3], s[0:1]
	s_cbranch_execz .LBB76_15
; %bb.14:
	ds_read_u8 v5, v4 offset:1026
	s_waitcnt lgkmcnt(0)
	v_xor_b32_e32 v8, 1, v5
.LBB76_15:
	s_or_b64 exec, exec, s[2:3]
	v_bfe_u32 v5, v0, 1, 1
	v_cmp_eq_u32_e32 vcc, v8, v5
	s_and_saveexec_b64 s[0:1], vcc
	s_cbranch_execz .LBB76_17
; %bb.16:
	ds_read_u8 v8, v4 offset:1026
	ds_read_u8 v9, v4 offset:1024
	ds_write_b8 v4, v7
	ds_write_b8 v4, v6 offset:2
	s_waitcnt lgkmcnt(3)
	ds_write_b8 v4, v8 offset:1024
	s_waitcnt lgkmcnt(3)
	ds_write_b8 v4, v9 offset:1026
.LBB76_17:
	s_or_b64 exec, exec, s[0:1]
	s_waitcnt lgkmcnt(0)
	s_barrier
	ds_read_u8 v6, v1
	ds_read_u8 v7, v1 offset:1
                                        ; implicit-def: $sgpr6
	s_waitcnt lgkmcnt(0)
	v_cmp_ge_u16_e64 s[0:1], v6, v7
	v_cmp_lt_u16_e32 vcc, v6, v7
	s_and_saveexec_b64 s[2:3], vcc
	s_cbranch_execnz .LBB76_309
; %bb.18:
	s_or_b64 exec, exec, s[2:3]
	v_mov_b32_e32 v8, s6
	s_and_saveexec_b64 s[2:3], s[0:1]
	s_cbranch_execnz .LBB76_310
.LBB76_19:
	s_or_b64 exec, exec, s[2:3]
	v_cmp_eq_u32_e32 vcc, v8, v5
	s_and_saveexec_b64 s[0:1], vcc
	s_cbranch_execz .LBB76_21
.LBB76_20:
	ds_read_u8 v5, v3 offset:1025
	ds_read_u8 v8, v1 offset:1024
	ds_write_b8 v1, v7
	ds_write_b8 v1, v6 offset:1
	s_waitcnt lgkmcnt(3)
	ds_write_b8 v1, v5 offset:1024
	s_waitcnt lgkmcnt(3)
	ds_write_b8 v3, v8 offset:1025
.LBB76_21:
	s_or_b64 exec, exec, s[0:1]
	v_and_b32_e32 v5, 3, v0
	v_sub_u32_e32 v5, v2, v5
	v_add_u32_e32 v5, 1, v5
	s_waitcnt lgkmcnt(0)
	s_barrier
	ds_read_u8 v7, v5
	ds_read_u8 v8, v5 offset:4
	s_mov_b32 s6, 1
	s_waitcnt lgkmcnt(0)
	v_cmp_ge_u16_e64 s[0:1], v7, v8
	v_cmp_lt_u16_e32 vcc, v7, v8
	s_and_saveexec_b64 s[2:3], vcc
	s_cbranch_execz .LBB76_23
; %bb.22:
	ds_read_u8 v6, v5 offset:1024
	s_andn2_b64 s[0:1], s[0:1], exec
	s_waitcnt lgkmcnt(0)
	v_and_b32_e32 v6, 1, v6
	v_cmp_eq_u32_e32 vcc, 1, v6
	s_xor_b64 s[8:9], vcc, -1
	s_and_b64 s[8:9], s[8:9], exec
	s_or_b64 s[0:1], s[0:1], s[8:9]
.LBB76_23:
	s_or_b64 exec, exec, s[2:3]
	v_mov_b32_e32 v9, s6
	s_and_saveexec_b64 s[2:3], s[0:1]
	s_cbranch_execz .LBB76_25
; %bb.24:
	ds_read_u8 v6, v5 offset:1028
	s_waitcnt lgkmcnt(0)
	v_xor_b32_e32 v9, 1, v6
.LBB76_25:
	s_or_b64 exec, exec, s[2:3]
	v_bfe_u32 v6, v0, 2, 1
	v_cmp_eq_u32_e32 vcc, v9, v6
	s_and_saveexec_b64 s[0:1], vcc
	s_cbranch_execz .LBB76_27
; %bb.26:
	ds_read_u8 v9, v5 offset:1028
	ds_read_u8 v10, v5 offset:1024
	ds_write_b8 v5, v8
	ds_write_b8 v5, v7 offset:4
	s_waitcnt lgkmcnt(3)
	ds_write_b8 v5, v9 offset:1024
	s_waitcnt lgkmcnt(3)
	ds_write_b8 v5, v10 offset:1028
.LBB76_27:
	s_or_b64 exec, exec, s[0:1]
	s_waitcnt lgkmcnt(0)
	s_barrier
	ds_read_u8 v7, v4
	ds_read_u8 v8, v4 offset:2
	s_waitcnt lgkmcnt(0)
	v_cmp_ge_u16_e64 s[0:1], v7, v8
	v_cmp_lt_u16_e32 vcc, v7, v8
	s_and_saveexec_b64 s[2:3], vcc
	s_cbranch_execnz .LBB76_311
; %bb.28:
	s_or_b64 exec, exec, s[2:3]
	v_mov_b32_e32 v9, s6
	s_and_saveexec_b64 s[2:3], s[0:1]
	s_cbranch_execnz .LBB76_312
.LBB76_29:
	s_or_b64 exec, exec, s[2:3]
	v_cmp_eq_u32_e32 vcc, v9, v6
	s_and_saveexec_b64 s[0:1], vcc
	s_cbranch_execz .LBB76_31
.LBB76_30:
	ds_read_u8 v9, v4 offset:1026
	ds_read_u8 v10, v4 offset:1024
	ds_write_b8 v4, v8
	ds_write_b8 v4, v7 offset:2
	s_waitcnt lgkmcnt(3)
	ds_write_b8 v4, v9 offset:1024
	s_waitcnt lgkmcnt(3)
	ds_write_b8 v4, v10 offset:1026
.LBB76_31:
	s_or_b64 exec, exec, s[0:1]
	s_waitcnt lgkmcnt(0)
	s_barrier
	ds_read_u8 v7, v1
	ds_read_u8 v8, v1 offset:1
                                        ; implicit-def: $sgpr6
	s_waitcnt lgkmcnt(0)
	v_cmp_ge_u16_e64 s[0:1], v7, v8
	v_cmp_lt_u16_e32 vcc, v7, v8
	s_and_saveexec_b64 s[2:3], vcc
	s_cbranch_execnz .LBB76_313
; %bb.32:
	s_or_b64 exec, exec, s[2:3]
	v_mov_b32_e32 v9, s6
	s_and_saveexec_b64 s[2:3], s[0:1]
	s_cbranch_execnz .LBB76_314
.LBB76_33:
	s_or_b64 exec, exec, s[2:3]
	v_cmp_eq_u32_e32 vcc, v9, v6
	s_and_saveexec_b64 s[0:1], vcc
	s_cbranch_execz .LBB76_35
.LBB76_34:
	ds_read_u8 v6, v3 offset:1025
	ds_read_u8 v9, v1 offset:1024
	ds_write_b8 v1, v8
	ds_write_b8 v1, v7 offset:1
	s_waitcnt lgkmcnt(3)
	ds_write_b8 v1, v6 offset:1024
	s_waitcnt lgkmcnt(3)
	ds_write_b8 v3, v9 offset:1025
.LBB76_35:
	s_or_b64 exec, exec, s[0:1]
	v_and_b32_e32 v6, 7, v0
	v_sub_u32_e32 v6, v2, v6
	v_add_u32_e32 v6, 1, v6
	s_waitcnt lgkmcnt(0)
	s_barrier
	ds_read_u8 v8, v6
	ds_read_u8 v9, v6 offset:8
	s_mov_b32 s6, 1
	s_waitcnt lgkmcnt(0)
	v_cmp_ge_u16_e64 s[0:1], v8, v9
	v_cmp_lt_u16_e32 vcc, v8, v9
	s_and_saveexec_b64 s[2:3], vcc
	s_cbranch_execz .LBB76_37
; %bb.36:
	ds_read_u8 v7, v6 offset:1024
	s_andn2_b64 s[0:1], s[0:1], exec
	s_waitcnt lgkmcnt(0)
	v_and_b32_e32 v7, 1, v7
	v_cmp_eq_u32_e32 vcc, 1, v7
	s_xor_b64 s[8:9], vcc, -1
	s_and_b64 s[8:9], s[8:9], exec
	s_or_b64 s[0:1], s[0:1], s[8:9]
.LBB76_37:
	s_or_b64 exec, exec, s[2:3]
	v_mov_b32_e32 v10, s6
	s_and_saveexec_b64 s[2:3], s[0:1]
	s_cbranch_execz .LBB76_39
; %bb.38:
	ds_read_u8 v7, v6 offset:1032
	s_waitcnt lgkmcnt(0)
	v_xor_b32_e32 v10, 1, v7
.LBB76_39:
	s_or_b64 exec, exec, s[2:3]
	v_bfe_u32 v7, v0, 3, 1
	v_cmp_eq_u32_e32 vcc, v10, v7
	s_and_saveexec_b64 s[0:1], vcc
	s_cbranch_execz .LBB76_41
; %bb.40:
	ds_read_u8 v10, v6 offset:1032
	ds_read_u8 v11, v6 offset:1024
	ds_write_b8 v6, v9
	ds_write_b8 v6, v8 offset:8
	s_waitcnt lgkmcnt(3)
	ds_write_b8 v6, v10 offset:1024
	s_waitcnt lgkmcnt(3)
	ds_write_b8 v6, v11 offset:1032
.LBB76_41:
	s_or_b64 exec, exec, s[0:1]
	s_waitcnt lgkmcnt(0)
	s_barrier
	ds_read_u8 v8, v5
	ds_read_u8 v9, v5 offset:4
	s_waitcnt lgkmcnt(0)
	v_cmp_ge_u16_e64 s[0:1], v8, v9
	v_cmp_lt_u16_e32 vcc, v8, v9
	s_and_saveexec_b64 s[2:3], vcc
	s_cbranch_execnz .LBB76_315
; %bb.42:
	s_or_b64 exec, exec, s[2:3]
	v_mov_b32_e32 v10, s6
	s_and_saveexec_b64 s[2:3], s[0:1]
	s_cbranch_execnz .LBB76_316
.LBB76_43:
	s_or_b64 exec, exec, s[2:3]
	v_cmp_eq_u32_e32 vcc, v10, v7
	s_and_saveexec_b64 s[0:1], vcc
	s_cbranch_execz .LBB76_45
.LBB76_44:
	ds_read_u8 v10, v5 offset:1028
	ds_read_u8 v11, v5 offset:1024
	ds_write_b8 v5, v9
	ds_write_b8 v5, v8 offset:4
	s_waitcnt lgkmcnt(3)
	ds_write_b8 v5, v10 offset:1024
	s_waitcnt lgkmcnt(3)
	ds_write_b8 v5, v11 offset:1028
.LBB76_45:
	s_or_b64 exec, exec, s[0:1]
	s_waitcnt lgkmcnt(0)
	s_barrier
	ds_read_u8 v8, v4
	ds_read_u8 v9, v4 offset:2
	s_waitcnt lgkmcnt(0)
	v_cmp_ge_u16_e64 s[0:1], v8, v9
	v_cmp_lt_u16_e32 vcc, v8, v9
	s_and_saveexec_b64 s[2:3], vcc
	s_cbranch_execnz .LBB76_317
; %bb.46:
	s_or_b64 exec, exec, s[2:3]
	v_mov_b32_e32 v10, s6
	s_and_saveexec_b64 s[2:3], s[0:1]
	s_cbranch_execnz .LBB76_318
.LBB76_47:
	s_or_b64 exec, exec, s[2:3]
	v_cmp_eq_u32_e32 vcc, v10, v7
	s_and_saveexec_b64 s[0:1], vcc
	s_cbranch_execz .LBB76_49
.LBB76_48:
	ds_read_u8 v10, v4 offset:1026
	ds_read_u8 v11, v4 offset:1024
	ds_write_b8 v4, v9
	ds_write_b8 v4, v8 offset:2
	s_waitcnt lgkmcnt(3)
	ds_write_b8 v4, v10 offset:1024
	s_waitcnt lgkmcnt(3)
	ds_write_b8 v4, v11 offset:1026
.LBB76_49:
	s_or_b64 exec, exec, s[0:1]
	s_waitcnt lgkmcnt(0)
	s_barrier
	ds_read_u8 v8, v1
	ds_read_u8 v9, v1 offset:1
                                        ; implicit-def: $sgpr6
	s_waitcnt lgkmcnt(0)
	v_cmp_ge_u16_e64 s[0:1], v8, v9
	v_cmp_lt_u16_e32 vcc, v8, v9
	s_and_saveexec_b64 s[2:3], vcc
	s_cbranch_execnz .LBB76_319
; %bb.50:
	s_or_b64 exec, exec, s[2:3]
	v_mov_b32_e32 v10, s6
	s_and_saveexec_b64 s[2:3], s[0:1]
	s_cbranch_execnz .LBB76_320
.LBB76_51:
	s_or_b64 exec, exec, s[2:3]
	v_cmp_eq_u32_e32 vcc, v10, v7
	s_and_saveexec_b64 s[0:1], vcc
	s_cbranch_execz .LBB76_53
.LBB76_52:
	ds_read_u8 v7, v3 offset:1025
	ds_read_u8 v10, v1 offset:1024
	ds_write_b8 v1, v9
	ds_write_b8 v1, v8 offset:1
	s_waitcnt lgkmcnt(3)
	ds_write_b8 v1, v7 offset:1024
	s_waitcnt lgkmcnt(3)
	ds_write_b8 v3, v10 offset:1025
.LBB76_53:
	s_or_b64 exec, exec, s[0:1]
	v_and_b32_e32 v7, 15, v0
	v_sub_u32_e32 v7, v2, v7
	v_add_u32_e32 v7, 1, v7
	s_waitcnt lgkmcnt(0)
	s_barrier
	ds_read_u8 v9, v7
	ds_read_u8 v10, v7 offset:16
	s_mov_b32 s6, 1
	s_waitcnt lgkmcnt(0)
	v_cmp_ge_u16_e64 s[0:1], v9, v10
	v_cmp_lt_u16_e32 vcc, v9, v10
	s_and_saveexec_b64 s[2:3], vcc
	s_cbranch_execz .LBB76_55
; %bb.54:
	ds_read_u8 v8, v7 offset:1024
	s_andn2_b64 s[0:1], s[0:1], exec
	s_waitcnt lgkmcnt(0)
	v_and_b32_e32 v8, 1, v8
	v_cmp_eq_u32_e32 vcc, 1, v8
	s_xor_b64 s[8:9], vcc, -1
	s_and_b64 s[8:9], s[8:9], exec
	s_or_b64 s[0:1], s[0:1], s[8:9]
.LBB76_55:
	s_or_b64 exec, exec, s[2:3]
	v_mov_b32_e32 v11, s6
	s_and_saveexec_b64 s[2:3], s[0:1]
	s_cbranch_execz .LBB76_57
; %bb.56:
	ds_read_u8 v8, v7 offset:1040
	s_waitcnt lgkmcnt(0)
	v_xor_b32_e32 v11, 1, v8
.LBB76_57:
	s_or_b64 exec, exec, s[2:3]
	v_bfe_u32 v8, v0, 4, 1
	v_cmp_eq_u32_e32 vcc, v11, v8
	s_and_saveexec_b64 s[0:1], vcc
	s_cbranch_execz .LBB76_59
; %bb.58:
	ds_read_u8 v11, v7 offset:1040
	ds_read_u8 v12, v7 offset:1024
	ds_write_b8 v7, v10
	ds_write_b8 v7, v9 offset:16
	s_waitcnt lgkmcnt(3)
	ds_write_b8 v7, v11 offset:1024
	s_waitcnt lgkmcnt(3)
	ds_write_b8 v7, v12 offset:1040
.LBB76_59:
	s_or_b64 exec, exec, s[0:1]
	s_waitcnt lgkmcnt(0)
	s_barrier
	ds_read_u8 v9, v6
	ds_read_u8 v10, v6 offset:8
	s_waitcnt lgkmcnt(0)
	v_cmp_ge_u16_e64 s[0:1], v9, v10
	v_cmp_lt_u16_e32 vcc, v9, v10
	s_and_saveexec_b64 s[2:3], vcc
	s_cbranch_execnz .LBB76_321
; %bb.60:
	s_or_b64 exec, exec, s[2:3]
	v_mov_b32_e32 v11, s6
	s_and_saveexec_b64 s[2:3], s[0:1]
	s_cbranch_execnz .LBB76_322
.LBB76_61:
	s_or_b64 exec, exec, s[2:3]
	v_cmp_eq_u32_e32 vcc, v11, v8
	s_and_saveexec_b64 s[0:1], vcc
	s_cbranch_execz .LBB76_63
.LBB76_62:
	ds_read_u8 v11, v6 offset:1032
	ds_read_u8 v12, v6 offset:1024
	ds_write_b8 v6, v10
	ds_write_b8 v6, v9 offset:8
	s_waitcnt lgkmcnt(3)
	ds_write_b8 v6, v11 offset:1024
	s_waitcnt lgkmcnt(3)
	ds_write_b8 v6, v12 offset:1032
.LBB76_63:
	s_or_b64 exec, exec, s[0:1]
	s_waitcnt lgkmcnt(0)
	s_barrier
	ds_read_u8 v9, v5
	ds_read_u8 v10, v5 offset:4
	s_waitcnt lgkmcnt(0)
	v_cmp_ge_u16_e64 s[0:1], v9, v10
	v_cmp_lt_u16_e32 vcc, v9, v10
	s_and_saveexec_b64 s[2:3], vcc
	s_cbranch_execnz .LBB76_323
; %bb.64:
	s_or_b64 exec, exec, s[2:3]
	v_mov_b32_e32 v11, s6
	s_and_saveexec_b64 s[2:3], s[0:1]
	s_cbranch_execnz .LBB76_324
.LBB76_65:
	s_or_b64 exec, exec, s[2:3]
	v_cmp_eq_u32_e32 vcc, v11, v8
	s_and_saveexec_b64 s[0:1], vcc
	s_cbranch_execz .LBB76_67
.LBB76_66:
	ds_read_u8 v11, v5 offset:1028
	ds_read_u8 v12, v5 offset:1024
	ds_write_b8 v5, v10
	ds_write_b8 v5, v9 offset:4
	s_waitcnt lgkmcnt(3)
	ds_write_b8 v5, v11 offset:1024
	s_waitcnt lgkmcnt(3)
	ds_write_b8 v5, v12 offset:1028
.LBB76_67:
	s_or_b64 exec, exec, s[0:1]
	s_waitcnt lgkmcnt(0)
	s_barrier
	ds_read_u8 v9, v4
	ds_read_u8 v10, v4 offset:2
	s_waitcnt lgkmcnt(0)
	v_cmp_ge_u16_e64 s[0:1], v9, v10
	v_cmp_lt_u16_e32 vcc, v9, v10
	s_and_saveexec_b64 s[2:3], vcc
	s_cbranch_execnz .LBB76_325
; %bb.68:
	s_or_b64 exec, exec, s[2:3]
	v_mov_b32_e32 v11, s6
	s_and_saveexec_b64 s[2:3], s[0:1]
	s_cbranch_execnz .LBB76_326
.LBB76_69:
	s_or_b64 exec, exec, s[2:3]
	v_cmp_eq_u32_e32 vcc, v11, v8
	s_and_saveexec_b64 s[0:1], vcc
	s_cbranch_execz .LBB76_71
.LBB76_70:
	ds_read_u8 v11, v4 offset:1026
	ds_read_u8 v12, v4 offset:1024
	ds_write_b8 v4, v10
	ds_write_b8 v4, v9 offset:2
	s_waitcnt lgkmcnt(3)
	ds_write_b8 v4, v11 offset:1024
	s_waitcnt lgkmcnt(3)
	ds_write_b8 v4, v12 offset:1026
.LBB76_71:
	s_or_b64 exec, exec, s[0:1]
	s_waitcnt lgkmcnt(0)
	s_barrier
	ds_read_u8 v9, v1
	ds_read_u8 v10, v1 offset:1
                                        ; implicit-def: $sgpr6
	s_waitcnt lgkmcnt(0)
	v_cmp_ge_u16_e64 s[0:1], v9, v10
	v_cmp_lt_u16_e32 vcc, v9, v10
	s_and_saveexec_b64 s[2:3], vcc
	s_cbranch_execnz .LBB76_327
; %bb.72:
	s_or_b64 exec, exec, s[2:3]
	v_mov_b32_e32 v11, s6
	s_and_saveexec_b64 s[2:3], s[0:1]
	s_cbranch_execnz .LBB76_328
.LBB76_73:
	s_or_b64 exec, exec, s[2:3]
	v_cmp_eq_u32_e32 vcc, v11, v8
	s_and_saveexec_b64 s[0:1], vcc
	s_cbranch_execz .LBB76_75
.LBB76_74:
	ds_read_u8 v8, v3 offset:1025
	ds_read_u8 v11, v1 offset:1024
	ds_write_b8 v1, v10
	ds_write_b8 v1, v9 offset:1
	s_waitcnt lgkmcnt(3)
	ds_write_b8 v1, v8 offset:1024
	s_waitcnt lgkmcnt(3)
	ds_write_b8 v3, v11 offset:1025
.LBB76_75:
	s_or_b64 exec, exec, s[0:1]
	v_and_b32_e32 v8, 31, v0
	v_sub_u32_e32 v8, v2, v8
	v_add_u32_e32 v9, 1, v8
	s_waitcnt lgkmcnt(0)
	s_barrier
	ds_read_u8 v10, v9
	ds_read_u8 v11, v9 offset:32
	s_mov_b32 s6, 1
	s_waitcnt lgkmcnt(0)
	v_cmp_ge_u16_e64 s[0:1], v10, v11
	v_cmp_lt_u16_e32 vcc, v10, v11
	s_and_saveexec_b64 s[2:3], vcc
	s_cbranch_execz .LBB76_77
; %bb.76:
	ds_read_u8 v8, v9 offset:1024
	s_andn2_b64 s[0:1], s[0:1], exec
	s_waitcnt lgkmcnt(0)
	v_and_b32_e32 v8, 1, v8
	v_cmp_eq_u32_e32 vcc, 1, v8
	s_xor_b64 s[8:9], vcc, -1
	s_and_b64 s[8:9], s[8:9], exec
	s_or_b64 s[0:1], s[0:1], s[8:9]
.LBB76_77:
	s_or_b64 exec, exec, s[2:3]
	v_mov_b32_e32 v12, s6
	s_and_saveexec_b64 s[2:3], s[0:1]
	s_cbranch_execz .LBB76_79
; %bb.78:
	ds_read_u8 v8, v9 offset:1056
	s_waitcnt lgkmcnt(0)
	v_xor_b32_e32 v12, 1, v8
.LBB76_79:
	s_or_b64 exec, exec, s[2:3]
	v_bfe_u32 v8, v0, 5, 1
	v_cmp_eq_u32_e32 vcc, v12, v8
	s_and_saveexec_b64 s[0:1], vcc
	s_cbranch_execz .LBB76_81
; %bb.80:
	ds_read_u8 v12, v9 offset:1056
	ds_read_u8 v13, v9 offset:1024
	ds_write_b8 v9, v11
	ds_write_b8 v9, v10 offset:32
	s_waitcnt lgkmcnt(3)
	ds_write_b8 v9, v12 offset:1024
	s_waitcnt lgkmcnt(3)
	ds_write_b8 v9, v13 offset:1056
.LBB76_81:
	s_or_b64 exec, exec, s[0:1]
	s_waitcnt lgkmcnt(0)
	s_barrier
	ds_read_u8 v10, v7
	ds_read_u8 v11, v7 offset:16
	s_waitcnt lgkmcnt(0)
	v_cmp_ge_u16_e64 s[0:1], v10, v11
	v_cmp_lt_u16_e32 vcc, v10, v11
	s_and_saveexec_b64 s[2:3], vcc
	s_cbranch_execnz .LBB76_329
; %bb.82:
	s_or_b64 exec, exec, s[2:3]
	v_mov_b32_e32 v12, s6
	s_and_saveexec_b64 s[2:3], s[0:1]
	s_cbranch_execnz .LBB76_330
.LBB76_83:
	s_or_b64 exec, exec, s[2:3]
	v_cmp_eq_u32_e32 vcc, v12, v8
	s_and_saveexec_b64 s[0:1], vcc
	s_cbranch_execz .LBB76_85
.LBB76_84:
	ds_read_u8 v12, v7 offset:1040
	ds_read_u8 v13, v7 offset:1024
	ds_write_b8 v7, v11
	ds_write_b8 v7, v10 offset:16
	s_waitcnt lgkmcnt(3)
	ds_write_b8 v7, v12 offset:1024
	s_waitcnt lgkmcnt(3)
	ds_write_b8 v7, v13 offset:1040
.LBB76_85:
	s_or_b64 exec, exec, s[0:1]
	s_waitcnt lgkmcnt(0)
	s_barrier
	ds_read_u8 v10, v6
	ds_read_u8 v11, v6 offset:8
	s_waitcnt lgkmcnt(0)
	v_cmp_ge_u16_e64 s[0:1], v10, v11
	v_cmp_lt_u16_e32 vcc, v10, v11
	s_and_saveexec_b64 s[2:3], vcc
	s_cbranch_execnz .LBB76_331
; %bb.86:
	s_or_b64 exec, exec, s[2:3]
	v_mov_b32_e32 v12, s6
	s_and_saveexec_b64 s[2:3], s[0:1]
	s_cbranch_execnz .LBB76_332
.LBB76_87:
	s_or_b64 exec, exec, s[2:3]
	v_cmp_eq_u32_e32 vcc, v12, v8
	s_and_saveexec_b64 s[0:1], vcc
	s_cbranch_execz .LBB76_89
.LBB76_88:
	ds_read_u8 v12, v6 offset:1032
	ds_read_u8 v13, v6 offset:1024
	ds_write_b8 v6, v11
	ds_write_b8 v6, v10 offset:8
	s_waitcnt lgkmcnt(3)
	ds_write_b8 v6, v12 offset:1024
	s_waitcnt lgkmcnt(3)
	ds_write_b8 v6, v13 offset:1032
.LBB76_89:
	s_or_b64 exec, exec, s[0:1]
	s_waitcnt lgkmcnt(0)
	s_barrier
	ds_read_u8 v10, v5
	ds_read_u8 v11, v5 offset:4
	s_waitcnt lgkmcnt(0)
	v_cmp_ge_u16_e64 s[0:1], v10, v11
	v_cmp_lt_u16_e32 vcc, v10, v11
	s_and_saveexec_b64 s[2:3], vcc
	s_cbranch_execnz .LBB76_333
; %bb.90:
	s_or_b64 exec, exec, s[2:3]
	v_mov_b32_e32 v12, s6
	s_and_saveexec_b64 s[2:3], s[0:1]
	s_cbranch_execnz .LBB76_334
.LBB76_91:
	s_or_b64 exec, exec, s[2:3]
	v_cmp_eq_u32_e32 vcc, v12, v8
	s_and_saveexec_b64 s[0:1], vcc
	s_cbranch_execz .LBB76_93
.LBB76_92:
	ds_read_u8 v12, v5 offset:1028
	ds_read_u8 v13, v5 offset:1024
	ds_write_b8 v5, v11
	ds_write_b8 v5, v10 offset:4
	s_waitcnt lgkmcnt(3)
	ds_write_b8 v5, v12 offset:1024
	s_waitcnt lgkmcnt(3)
	ds_write_b8 v5, v13 offset:1028
.LBB76_93:
	s_or_b64 exec, exec, s[0:1]
	s_waitcnt lgkmcnt(0)
	s_barrier
	ds_read_u8 v10, v4
	ds_read_u8 v11, v4 offset:2
	s_waitcnt lgkmcnt(0)
	v_cmp_ge_u16_e64 s[0:1], v10, v11
	v_cmp_lt_u16_e32 vcc, v10, v11
	s_and_saveexec_b64 s[2:3], vcc
	s_cbranch_execnz .LBB76_335
; %bb.94:
	s_or_b64 exec, exec, s[2:3]
	v_mov_b32_e32 v12, s6
	s_and_saveexec_b64 s[2:3], s[0:1]
	s_cbranch_execnz .LBB76_336
.LBB76_95:
	s_or_b64 exec, exec, s[2:3]
	v_cmp_eq_u32_e32 vcc, v12, v8
	s_and_saveexec_b64 s[0:1], vcc
	s_cbranch_execz .LBB76_97
.LBB76_96:
	ds_read_u8 v12, v4 offset:1026
	ds_read_u8 v13, v4 offset:1024
	ds_write_b8 v4, v11
	ds_write_b8 v4, v10 offset:2
	s_waitcnt lgkmcnt(3)
	ds_write_b8 v4, v12 offset:1024
	s_waitcnt lgkmcnt(3)
	ds_write_b8 v4, v13 offset:1026
.LBB76_97:
	s_or_b64 exec, exec, s[0:1]
	s_waitcnt lgkmcnt(0)
	s_barrier
	ds_read_u8 v10, v1
	ds_read_u8 v11, v1 offset:1
                                        ; implicit-def: $sgpr6
	s_waitcnt lgkmcnt(0)
	v_cmp_ge_u16_e64 s[0:1], v10, v11
	v_cmp_lt_u16_e32 vcc, v10, v11
	s_and_saveexec_b64 s[2:3], vcc
	s_cbranch_execnz .LBB76_337
; %bb.98:
	s_or_b64 exec, exec, s[2:3]
	v_mov_b32_e32 v12, s6
	s_and_saveexec_b64 s[2:3], s[0:1]
	s_cbranch_execnz .LBB76_338
.LBB76_99:
	s_or_b64 exec, exec, s[2:3]
	v_cmp_eq_u32_e32 vcc, v12, v8
	s_and_saveexec_b64 s[0:1], vcc
	s_cbranch_execz .LBB76_101
.LBB76_100:
	ds_read_u8 v8, v3 offset:1025
	ds_read_u8 v12, v1 offset:1024
	ds_write_b8 v1, v11
	ds_write_b8 v1, v10 offset:1
	s_waitcnt lgkmcnt(3)
	ds_write_b8 v1, v8 offset:1024
	s_waitcnt lgkmcnt(3)
	ds_write_b8 v3, v12 offset:1025
.LBB76_101:
	s_or_b64 exec, exec, s[0:1]
	v_and_b32_e32 v8, 63, v0
	v_sub_u32_e32 v10, v2, v8
	v_add_u32_e32 v10, 1, v10
	s_waitcnt lgkmcnt(0)
	s_barrier
	ds_read_u8 v12, v10
	ds_read_u8 v13, v10 offset:64
	s_mov_b32 s6, 1
	s_waitcnt lgkmcnt(0)
	v_cmp_ge_u16_e64 s[0:1], v12, v13
	v_cmp_lt_u16_e32 vcc, v12, v13
	s_and_saveexec_b64 s[2:3], vcc
	s_cbranch_execz .LBB76_103
; %bb.102:
	ds_read_u8 v11, v10 offset:1024
	s_andn2_b64 s[0:1], s[0:1], exec
	s_waitcnt lgkmcnt(0)
	v_and_b32_e32 v11, 1, v11
	v_cmp_eq_u32_e32 vcc, 1, v11
	s_xor_b64 s[8:9], vcc, -1
	s_and_b64 s[8:9], s[8:9], exec
	s_or_b64 s[0:1], s[0:1], s[8:9]
.LBB76_103:
	s_or_b64 exec, exec, s[2:3]
	v_mov_b32_e32 v14, s6
	s_and_saveexec_b64 s[2:3], s[0:1]
	s_cbranch_execz .LBB76_105
; %bb.104:
	ds_read_u8 v11, v10 offset:1088
	s_waitcnt lgkmcnt(0)
	v_xor_b32_e32 v14, 1, v11
.LBB76_105:
	s_or_b64 exec, exec, s[2:3]
	v_bfe_u32 v11, v0, 6, 1
	v_cmp_eq_u32_e32 vcc, v14, v11
	s_and_saveexec_b64 s[0:1], vcc
	s_cbranch_execz .LBB76_107
; %bb.106:
	ds_read_u8 v14, v10 offset:1088
	ds_read_u8 v15, v10 offset:1024
	ds_write_b8 v10, v13
	ds_write_b8 v10, v12 offset:64
	s_waitcnt lgkmcnt(3)
	ds_write_b8 v10, v14 offset:1024
	s_waitcnt lgkmcnt(3)
	ds_write_b8 v10, v15 offset:1088
.LBB76_107:
	s_or_b64 exec, exec, s[0:1]
	s_waitcnt lgkmcnt(0)
	s_barrier
	ds_read_u8 v12, v9
	ds_read_u8 v13, v9 offset:32
	s_waitcnt lgkmcnt(0)
	v_cmp_ge_u16_e64 s[0:1], v12, v13
	v_cmp_lt_u16_e32 vcc, v12, v13
	s_and_saveexec_b64 s[2:3], vcc
	s_cbranch_execnz .LBB76_339
; %bb.108:
	s_or_b64 exec, exec, s[2:3]
	v_mov_b32_e32 v14, s6
	s_and_saveexec_b64 s[2:3], s[0:1]
	s_cbranch_execnz .LBB76_340
.LBB76_109:
	s_or_b64 exec, exec, s[2:3]
	v_cmp_eq_u32_e32 vcc, v14, v11
	s_and_saveexec_b64 s[0:1], vcc
	s_cbranch_execz .LBB76_111
.LBB76_110:
	ds_read_u8 v14, v9 offset:1056
	ds_read_u8 v15, v9 offset:1024
	ds_write_b8 v9, v13
	ds_write_b8 v9, v12 offset:32
	s_waitcnt lgkmcnt(3)
	ds_write_b8 v9, v14 offset:1024
	s_waitcnt lgkmcnt(3)
	ds_write_b8 v9, v15 offset:1056
.LBB76_111:
	s_or_b64 exec, exec, s[0:1]
	s_waitcnt lgkmcnt(0)
	s_barrier
	ds_read_u8 v12, v7
	ds_read_u8 v13, v7 offset:16
	s_waitcnt lgkmcnt(0)
	v_cmp_ge_u16_e64 s[0:1], v12, v13
	v_cmp_lt_u16_e32 vcc, v12, v13
	s_and_saveexec_b64 s[2:3], vcc
	s_cbranch_execnz .LBB76_341
; %bb.112:
	s_or_b64 exec, exec, s[2:3]
	v_mov_b32_e32 v14, s6
	s_and_saveexec_b64 s[2:3], s[0:1]
	s_cbranch_execnz .LBB76_342
.LBB76_113:
	s_or_b64 exec, exec, s[2:3]
	v_cmp_eq_u32_e32 vcc, v14, v11
	s_and_saveexec_b64 s[0:1], vcc
	s_cbranch_execz .LBB76_115
.LBB76_114:
	ds_read_u8 v14, v7 offset:1040
	ds_read_u8 v15, v7 offset:1024
	ds_write_b8 v7, v13
	ds_write_b8 v7, v12 offset:16
	s_waitcnt lgkmcnt(3)
	ds_write_b8 v7, v14 offset:1024
	s_waitcnt lgkmcnt(3)
	ds_write_b8 v7, v15 offset:1040
.LBB76_115:
	s_or_b64 exec, exec, s[0:1]
	s_waitcnt lgkmcnt(0)
	s_barrier
	ds_read_u8 v12, v6
	ds_read_u8 v13, v6 offset:8
	s_waitcnt lgkmcnt(0)
	v_cmp_ge_u16_e64 s[0:1], v12, v13
	v_cmp_lt_u16_e32 vcc, v12, v13
	s_and_saveexec_b64 s[2:3], vcc
	s_cbranch_execnz .LBB76_343
; %bb.116:
	s_or_b64 exec, exec, s[2:3]
	v_mov_b32_e32 v14, s6
	s_and_saveexec_b64 s[2:3], s[0:1]
	s_cbranch_execnz .LBB76_344
.LBB76_117:
	s_or_b64 exec, exec, s[2:3]
	v_cmp_eq_u32_e32 vcc, v14, v11
	s_and_saveexec_b64 s[0:1], vcc
	s_cbranch_execz .LBB76_119
.LBB76_118:
	ds_read_u8 v14, v6 offset:1032
	ds_read_u8 v15, v6 offset:1024
	ds_write_b8 v6, v13
	ds_write_b8 v6, v12 offset:8
	s_waitcnt lgkmcnt(3)
	ds_write_b8 v6, v14 offset:1024
	s_waitcnt lgkmcnt(3)
	ds_write_b8 v6, v15 offset:1032
.LBB76_119:
	s_or_b64 exec, exec, s[0:1]
	s_waitcnt lgkmcnt(0)
	s_barrier
	ds_read_u8 v12, v5
	ds_read_u8 v13, v5 offset:4
	s_waitcnt lgkmcnt(0)
	v_cmp_ge_u16_e64 s[0:1], v12, v13
	v_cmp_lt_u16_e32 vcc, v12, v13
	s_and_saveexec_b64 s[2:3], vcc
	s_cbranch_execnz .LBB76_345
; %bb.120:
	s_or_b64 exec, exec, s[2:3]
	v_mov_b32_e32 v14, s6
	s_and_saveexec_b64 s[2:3], s[0:1]
	s_cbranch_execnz .LBB76_346
.LBB76_121:
	s_or_b64 exec, exec, s[2:3]
	v_cmp_eq_u32_e32 vcc, v14, v11
	s_and_saveexec_b64 s[0:1], vcc
	s_cbranch_execz .LBB76_123
.LBB76_122:
	ds_read_u8 v14, v5 offset:1028
	ds_read_u8 v15, v5 offset:1024
	ds_write_b8 v5, v13
	ds_write_b8 v5, v12 offset:4
	s_waitcnt lgkmcnt(3)
	ds_write_b8 v5, v14 offset:1024
	s_waitcnt lgkmcnt(3)
	ds_write_b8 v5, v15 offset:1028
.LBB76_123:
	s_or_b64 exec, exec, s[0:1]
	s_waitcnt lgkmcnt(0)
	s_barrier
	ds_read_u8 v12, v4
	ds_read_u8 v13, v4 offset:2
	s_waitcnt lgkmcnt(0)
	v_cmp_ge_u16_e64 s[0:1], v12, v13
	v_cmp_lt_u16_e32 vcc, v12, v13
	s_and_saveexec_b64 s[2:3], vcc
	s_cbranch_execnz .LBB76_347
; %bb.124:
	s_or_b64 exec, exec, s[2:3]
	v_mov_b32_e32 v14, s6
	s_and_saveexec_b64 s[2:3], s[0:1]
	s_cbranch_execnz .LBB76_348
.LBB76_125:
	s_or_b64 exec, exec, s[2:3]
	v_cmp_eq_u32_e32 vcc, v14, v11
	s_and_saveexec_b64 s[0:1], vcc
	s_cbranch_execz .LBB76_127
.LBB76_126:
	ds_read_u8 v14, v4 offset:1026
	ds_read_u8 v15, v4 offset:1024
	ds_write_b8 v4, v13
	ds_write_b8 v4, v12 offset:2
	s_waitcnt lgkmcnt(3)
	ds_write_b8 v4, v14 offset:1024
	s_waitcnt lgkmcnt(3)
	ds_write_b8 v4, v15 offset:1026
.LBB76_127:
	s_or_b64 exec, exec, s[0:1]
	s_waitcnt lgkmcnt(0)
	s_barrier
	ds_read_u8 v12, v1
	ds_read_u8 v13, v1 offset:1
                                        ; implicit-def: $sgpr6
	s_waitcnt lgkmcnt(0)
	v_cmp_ge_u16_e64 s[0:1], v12, v13
	v_cmp_lt_u16_e32 vcc, v12, v13
	s_and_saveexec_b64 s[2:3], vcc
	s_cbranch_execnz .LBB76_349
; %bb.128:
	s_or_b64 exec, exec, s[2:3]
	v_mov_b32_e32 v14, s6
	s_and_saveexec_b64 s[2:3], s[0:1]
	s_cbranch_execnz .LBB76_350
.LBB76_129:
	s_or_b64 exec, exec, s[2:3]
	v_cmp_eq_u32_e32 vcc, v14, v11
	s_and_saveexec_b64 s[0:1], vcc
	s_cbranch_execz .LBB76_131
.LBB76_130:
	ds_read_u8 v11, v3 offset:1025
	ds_read_u8 v14, v1 offset:1024
	ds_write_b8 v1, v13
	ds_write_b8 v1, v12 offset:1
	s_waitcnt lgkmcnt(3)
	ds_write_b8 v1, v11 offset:1024
	s_waitcnt lgkmcnt(3)
	ds_write_b8 v3, v14 offset:1025
.LBB76_131:
	s_or_b64 exec, exec, s[0:1]
	v_and_b32_e32 v11, 0x7f, v0
	v_sub_u32_e32 v11, v2, v11
	v_add_u32_e32 v11, 1, v11
	s_waitcnt lgkmcnt(0)
	s_barrier
	ds_read_u8 v13, v11
	ds_read_u8 v14, v11 offset:128
	s_mov_b32 s6, 1
	s_waitcnt lgkmcnt(0)
	v_cmp_ge_u16_e64 s[0:1], v13, v14
	v_cmp_lt_u16_e32 vcc, v13, v14
	s_and_saveexec_b64 s[2:3], vcc
	s_cbranch_execz .LBB76_133
; %bb.132:
	ds_read_u8 v12, v11 offset:1024
	s_andn2_b64 s[0:1], s[0:1], exec
	s_waitcnt lgkmcnt(0)
	v_and_b32_e32 v12, 1, v12
	v_cmp_eq_u32_e32 vcc, 1, v12
	s_xor_b64 s[8:9], vcc, -1
	s_and_b64 s[8:9], s[8:9], exec
	s_or_b64 s[0:1], s[0:1], s[8:9]
.LBB76_133:
	s_or_b64 exec, exec, s[2:3]
	v_mov_b32_e32 v15, s6
	s_and_saveexec_b64 s[2:3], s[0:1]
	s_cbranch_execz .LBB76_135
; %bb.134:
	ds_read_u8 v12, v11 offset:1152
	s_waitcnt lgkmcnt(0)
	v_xor_b32_e32 v15, 1, v12
.LBB76_135:
	s_or_b64 exec, exec, s[2:3]
	v_bfe_u32 v12, v0, 7, 1
	v_cmp_eq_u32_e32 vcc, v15, v12
	s_and_saveexec_b64 s[0:1], vcc
	s_cbranch_execz .LBB76_137
; %bb.136:
	ds_read_u8 v15, v11 offset:1152
	ds_read_u8 v16, v11 offset:1024
	ds_write_b8 v11, v14
	ds_write_b8 v11, v13 offset:128
	s_waitcnt lgkmcnt(3)
	ds_write_b8 v11, v15 offset:1024
	s_waitcnt lgkmcnt(3)
	ds_write_b8 v11, v16 offset:1152
.LBB76_137:
	s_or_b64 exec, exec, s[0:1]
	s_waitcnt lgkmcnt(0)
	s_barrier
	ds_read_u8 v13, v10
	ds_read_u8 v14, v10 offset:64
	s_waitcnt lgkmcnt(0)
	v_cmp_ge_u16_e64 s[0:1], v13, v14
	v_cmp_lt_u16_e32 vcc, v13, v14
	s_and_saveexec_b64 s[2:3], vcc
	s_cbranch_execnz .LBB76_351
; %bb.138:
	s_or_b64 exec, exec, s[2:3]
	v_mov_b32_e32 v15, s6
	s_and_saveexec_b64 s[2:3], s[0:1]
	s_cbranch_execnz .LBB76_352
.LBB76_139:
	s_or_b64 exec, exec, s[2:3]
	v_cmp_eq_u32_e32 vcc, v15, v12
	s_and_saveexec_b64 s[0:1], vcc
	s_cbranch_execz .LBB76_141
.LBB76_140:
	ds_read_u8 v15, v10 offset:1088
	ds_read_u8 v16, v10 offset:1024
	ds_write_b8 v10, v14
	ds_write_b8 v10, v13 offset:64
	s_waitcnt lgkmcnt(3)
	ds_write_b8 v10, v15 offset:1024
	s_waitcnt lgkmcnt(3)
	ds_write_b8 v10, v16 offset:1088
.LBB76_141:
	s_or_b64 exec, exec, s[0:1]
	s_waitcnt lgkmcnt(0)
	s_barrier
	ds_read_u8 v13, v9
	ds_read_u8 v14, v9 offset:32
	s_waitcnt lgkmcnt(0)
	v_cmp_ge_u16_e64 s[0:1], v13, v14
	v_cmp_lt_u16_e32 vcc, v13, v14
	s_and_saveexec_b64 s[2:3], vcc
	s_cbranch_execnz .LBB76_353
; %bb.142:
	s_or_b64 exec, exec, s[2:3]
	v_mov_b32_e32 v15, s6
	s_and_saveexec_b64 s[2:3], s[0:1]
	s_cbranch_execnz .LBB76_354
.LBB76_143:
	s_or_b64 exec, exec, s[2:3]
	v_cmp_eq_u32_e32 vcc, v15, v12
	s_and_saveexec_b64 s[0:1], vcc
	s_cbranch_execz .LBB76_145
.LBB76_144:
	ds_read_u8 v15, v9 offset:1056
	ds_read_u8 v16, v9 offset:1024
	ds_write_b8 v9, v14
	ds_write_b8 v9, v13 offset:32
	s_waitcnt lgkmcnt(3)
	ds_write_b8 v9, v15 offset:1024
	s_waitcnt lgkmcnt(3)
	ds_write_b8 v9, v16 offset:1056
.LBB76_145:
	s_or_b64 exec, exec, s[0:1]
	s_waitcnt lgkmcnt(0)
	s_barrier
	ds_read_u8 v13, v7
	ds_read_u8 v14, v7 offset:16
	s_waitcnt lgkmcnt(0)
	v_cmp_ge_u16_e64 s[0:1], v13, v14
	v_cmp_lt_u16_e32 vcc, v13, v14
	s_and_saveexec_b64 s[2:3], vcc
	s_cbranch_execnz .LBB76_355
; %bb.146:
	s_or_b64 exec, exec, s[2:3]
	v_mov_b32_e32 v15, s6
	s_and_saveexec_b64 s[2:3], s[0:1]
	s_cbranch_execnz .LBB76_356
.LBB76_147:
	s_or_b64 exec, exec, s[2:3]
	v_cmp_eq_u32_e32 vcc, v15, v12
	s_and_saveexec_b64 s[0:1], vcc
	s_cbranch_execz .LBB76_149
.LBB76_148:
	ds_read_u8 v15, v7 offset:1040
	ds_read_u8 v16, v7 offset:1024
	ds_write_b8 v7, v14
	ds_write_b8 v7, v13 offset:16
	s_waitcnt lgkmcnt(3)
	ds_write_b8 v7, v15 offset:1024
	s_waitcnt lgkmcnt(3)
	ds_write_b8 v7, v16 offset:1040
.LBB76_149:
	s_or_b64 exec, exec, s[0:1]
	s_waitcnt lgkmcnt(0)
	s_barrier
	ds_read_u8 v13, v6
	ds_read_u8 v14, v6 offset:8
	s_waitcnt lgkmcnt(0)
	v_cmp_ge_u16_e64 s[0:1], v13, v14
	v_cmp_lt_u16_e32 vcc, v13, v14
	s_and_saveexec_b64 s[2:3], vcc
	s_cbranch_execnz .LBB76_357
; %bb.150:
	s_or_b64 exec, exec, s[2:3]
	v_mov_b32_e32 v15, s6
	s_and_saveexec_b64 s[2:3], s[0:1]
	s_cbranch_execnz .LBB76_358
.LBB76_151:
	s_or_b64 exec, exec, s[2:3]
	v_cmp_eq_u32_e32 vcc, v15, v12
	s_and_saveexec_b64 s[0:1], vcc
	s_cbranch_execz .LBB76_153
.LBB76_152:
	ds_read_u8 v15, v6 offset:1032
	ds_read_u8 v16, v6 offset:1024
	ds_write_b8 v6, v14
	ds_write_b8 v6, v13 offset:8
	s_waitcnt lgkmcnt(3)
	ds_write_b8 v6, v15 offset:1024
	s_waitcnt lgkmcnt(3)
	ds_write_b8 v6, v16 offset:1032
.LBB76_153:
	s_or_b64 exec, exec, s[0:1]
	s_waitcnt lgkmcnt(0)
	s_barrier
	ds_read_u8 v13, v5
	ds_read_u8 v14, v5 offset:4
	s_waitcnt lgkmcnt(0)
	v_cmp_ge_u16_e64 s[0:1], v13, v14
	v_cmp_lt_u16_e32 vcc, v13, v14
	s_and_saveexec_b64 s[2:3], vcc
	s_cbranch_execnz .LBB76_359
; %bb.154:
	s_or_b64 exec, exec, s[2:3]
	v_mov_b32_e32 v15, s6
	s_and_saveexec_b64 s[2:3], s[0:1]
	s_cbranch_execnz .LBB76_360
.LBB76_155:
	s_or_b64 exec, exec, s[2:3]
	v_cmp_eq_u32_e32 vcc, v15, v12
	s_and_saveexec_b64 s[0:1], vcc
	s_cbranch_execz .LBB76_157
.LBB76_156:
	ds_read_u8 v15, v5 offset:1028
	ds_read_u8 v16, v5 offset:1024
	ds_write_b8 v5, v14
	ds_write_b8 v5, v13 offset:4
	s_waitcnt lgkmcnt(3)
	ds_write_b8 v5, v15 offset:1024
	s_waitcnt lgkmcnt(3)
	ds_write_b8 v5, v16 offset:1028
.LBB76_157:
	s_or_b64 exec, exec, s[0:1]
	s_waitcnt lgkmcnt(0)
	s_barrier
	ds_read_u8 v13, v4
	ds_read_u8 v14, v4 offset:2
	s_waitcnt lgkmcnt(0)
	v_cmp_ge_u16_e64 s[0:1], v13, v14
	v_cmp_lt_u16_e32 vcc, v13, v14
	s_and_saveexec_b64 s[2:3], vcc
	s_cbranch_execnz .LBB76_361
; %bb.158:
	s_or_b64 exec, exec, s[2:3]
	v_mov_b32_e32 v15, s6
	s_and_saveexec_b64 s[2:3], s[0:1]
	s_cbranch_execnz .LBB76_362
.LBB76_159:
	s_or_b64 exec, exec, s[2:3]
	v_cmp_eq_u32_e32 vcc, v15, v12
	s_and_saveexec_b64 s[0:1], vcc
	s_cbranch_execz .LBB76_161
.LBB76_160:
	ds_read_u8 v15, v4 offset:1026
	ds_read_u8 v16, v4 offset:1024
	ds_write_b8 v4, v14
	ds_write_b8 v4, v13 offset:2
	s_waitcnt lgkmcnt(3)
	ds_write_b8 v4, v15 offset:1024
	s_waitcnt lgkmcnt(3)
	ds_write_b8 v4, v16 offset:1026
.LBB76_161:
	s_or_b64 exec, exec, s[0:1]
	s_waitcnt lgkmcnt(0)
	s_barrier
	ds_read_u8 v13, v1
	ds_read_u8 v14, v1 offset:1
                                        ; implicit-def: $sgpr6
	s_waitcnt lgkmcnt(0)
	v_cmp_ge_u16_e64 s[0:1], v13, v14
	v_cmp_lt_u16_e32 vcc, v13, v14
	s_and_saveexec_b64 s[2:3], vcc
	s_cbranch_execnz .LBB76_363
; %bb.162:
	s_or_b64 exec, exec, s[2:3]
	v_mov_b32_e32 v15, s6
	s_and_saveexec_b64 s[2:3], s[0:1]
	s_cbranch_execnz .LBB76_364
.LBB76_163:
	s_or_b64 exec, exec, s[2:3]
	v_cmp_eq_u32_e32 vcc, v15, v12
	s_and_saveexec_b64 s[0:1], vcc
	s_cbranch_execz .LBB76_165
.LBB76_164:
	ds_read_u8 v12, v3 offset:1025
	ds_read_u8 v15, v1 offset:1024
	ds_write_b8 v1, v14
	ds_write_b8 v1, v13 offset:1
	s_waitcnt lgkmcnt(3)
	ds_write_b8 v1, v12 offset:1024
	s_waitcnt lgkmcnt(3)
	ds_write_b8 v3, v15 offset:1025
.LBB76_165:
	s_or_b64 exec, exec, s[0:1]
	v_sub_u32_sdwa v12, v2, v0 dst_sel:DWORD dst_unused:UNUSED_PAD src0_sel:DWORD src1_sel:BYTE_0
	v_add_u32_e32 v12, 1, v12
	s_waitcnt lgkmcnt(0)
	s_barrier
	ds_read_u8 v14, v12
	ds_read_u8 v15, v12 offset:256
	s_mov_b32 s6, 1
	s_waitcnt lgkmcnt(0)
	v_cmp_ge_u16_e64 s[0:1], v14, v15
	v_cmp_lt_u16_e32 vcc, v14, v15
	s_and_saveexec_b64 s[2:3], vcc
	s_cbranch_execz .LBB76_167
; %bb.166:
	ds_read_u8 v13, v12 offset:1024
	s_andn2_b64 s[0:1], s[0:1], exec
	s_waitcnt lgkmcnt(0)
	v_and_b32_e32 v13, 1, v13
	v_cmp_eq_u32_e32 vcc, 1, v13
	s_xor_b64 s[8:9], vcc, -1
	s_and_b64 s[8:9], s[8:9], exec
	s_or_b64 s[0:1], s[0:1], s[8:9]
.LBB76_167:
	s_or_b64 exec, exec, s[2:3]
	v_mov_b32_e32 v16, s6
	s_and_saveexec_b64 s[2:3], s[0:1]
	s_cbranch_execz .LBB76_169
; %bb.168:
	ds_read_u8 v13, v12 offset:1280
	s_waitcnt lgkmcnt(0)
	v_xor_b32_e32 v16, 1, v13
.LBB76_169:
	s_or_b64 exec, exec, s[2:3]
	v_bfe_u32 v13, v0, 8, 1
	v_cmp_eq_u32_e32 vcc, v16, v13
	s_and_saveexec_b64 s[0:1], vcc
	s_cbranch_execz .LBB76_171
; %bb.170:
	ds_read_u8 v16, v12 offset:1280
	ds_read_u8 v17, v12 offset:1024
	ds_write_b8 v12, v15
	ds_write_b8 v12, v14 offset:256
	s_waitcnt lgkmcnt(3)
	ds_write_b8 v12, v16 offset:1024
	s_waitcnt lgkmcnt(3)
	ds_write_b8 v12, v17 offset:1280
.LBB76_171:
	s_or_b64 exec, exec, s[0:1]
	s_waitcnt lgkmcnt(0)
	s_barrier
	ds_read_u8 v14, v11
	ds_read_u8 v15, v11 offset:128
	s_waitcnt lgkmcnt(0)
	v_cmp_ge_u16_e64 s[0:1], v14, v15
	v_cmp_lt_u16_e32 vcc, v14, v15
	s_and_saveexec_b64 s[2:3], vcc
	s_cbranch_execnz .LBB76_365
; %bb.172:
	s_or_b64 exec, exec, s[2:3]
	v_mov_b32_e32 v16, s6
	s_and_saveexec_b64 s[2:3], s[0:1]
	s_cbranch_execnz .LBB76_366
.LBB76_173:
	s_or_b64 exec, exec, s[2:3]
	v_cmp_eq_u32_e32 vcc, v16, v13
	s_and_saveexec_b64 s[0:1], vcc
	s_cbranch_execz .LBB76_175
.LBB76_174:
	ds_read_u8 v16, v11 offset:1152
	ds_read_u8 v17, v11 offset:1024
	ds_write_b8 v11, v15
	ds_write_b8 v11, v14 offset:128
	s_waitcnt lgkmcnt(3)
	ds_write_b8 v11, v16 offset:1024
	s_waitcnt lgkmcnt(3)
	ds_write_b8 v11, v17 offset:1152
.LBB76_175:
	s_or_b64 exec, exec, s[0:1]
	s_waitcnt lgkmcnt(0)
	s_barrier
	ds_read_u8 v14, v10
	ds_read_u8 v15, v10 offset:64
	s_waitcnt lgkmcnt(0)
	v_cmp_ge_u16_e64 s[0:1], v14, v15
	v_cmp_lt_u16_e32 vcc, v14, v15
	s_and_saveexec_b64 s[2:3], vcc
	s_cbranch_execnz .LBB76_367
; %bb.176:
	s_or_b64 exec, exec, s[2:3]
	v_mov_b32_e32 v16, s6
	s_and_saveexec_b64 s[2:3], s[0:1]
	s_cbranch_execnz .LBB76_368
.LBB76_177:
	s_or_b64 exec, exec, s[2:3]
	v_cmp_eq_u32_e32 vcc, v16, v13
	s_and_saveexec_b64 s[0:1], vcc
	s_cbranch_execz .LBB76_179
.LBB76_178:
	ds_read_u8 v16, v10 offset:1088
	ds_read_u8 v17, v10 offset:1024
	ds_write_b8 v10, v15
	ds_write_b8 v10, v14 offset:64
	s_waitcnt lgkmcnt(3)
	ds_write_b8 v10, v16 offset:1024
	s_waitcnt lgkmcnt(3)
	ds_write_b8 v10, v17 offset:1088
.LBB76_179:
	s_or_b64 exec, exec, s[0:1]
	s_waitcnt lgkmcnt(0)
	s_barrier
	ds_read_u8 v14, v9
	ds_read_u8 v15, v9 offset:32
	s_waitcnt lgkmcnt(0)
	v_cmp_ge_u16_e64 s[0:1], v14, v15
	v_cmp_lt_u16_e32 vcc, v14, v15
	s_and_saveexec_b64 s[2:3], vcc
	s_cbranch_execnz .LBB76_369
; %bb.180:
	s_or_b64 exec, exec, s[2:3]
	v_mov_b32_e32 v16, s6
	s_and_saveexec_b64 s[2:3], s[0:1]
	s_cbranch_execnz .LBB76_370
.LBB76_181:
	s_or_b64 exec, exec, s[2:3]
	v_cmp_eq_u32_e32 vcc, v16, v13
	s_and_saveexec_b64 s[0:1], vcc
	s_cbranch_execz .LBB76_183
.LBB76_182:
	ds_read_u8 v16, v9 offset:1056
	ds_read_u8 v17, v9 offset:1024
	ds_write_b8 v9, v15
	ds_write_b8 v9, v14 offset:32
	s_waitcnt lgkmcnt(3)
	ds_write_b8 v9, v16 offset:1024
	s_waitcnt lgkmcnt(3)
	ds_write_b8 v9, v17 offset:1056
.LBB76_183:
	s_or_b64 exec, exec, s[0:1]
	s_waitcnt lgkmcnt(0)
	s_barrier
	ds_read_u8 v14, v7
	ds_read_u8 v15, v7 offset:16
	s_waitcnt lgkmcnt(0)
	v_cmp_ge_u16_e64 s[0:1], v14, v15
	v_cmp_lt_u16_e32 vcc, v14, v15
	s_and_saveexec_b64 s[2:3], vcc
	s_cbranch_execnz .LBB76_371
; %bb.184:
	s_or_b64 exec, exec, s[2:3]
	v_mov_b32_e32 v16, s6
	s_and_saveexec_b64 s[2:3], s[0:1]
	s_cbranch_execnz .LBB76_372
.LBB76_185:
	s_or_b64 exec, exec, s[2:3]
	v_cmp_eq_u32_e32 vcc, v16, v13
	s_and_saveexec_b64 s[0:1], vcc
	s_cbranch_execz .LBB76_187
.LBB76_186:
	ds_read_u8 v16, v7 offset:1040
	ds_read_u8 v17, v7 offset:1024
	ds_write_b8 v7, v15
	ds_write_b8 v7, v14 offset:16
	s_waitcnt lgkmcnt(3)
	ds_write_b8 v7, v16 offset:1024
	s_waitcnt lgkmcnt(3)
	ds_write_b8 v7, v17 offset:1040
.LBB76_187:
	s_or_b64 exec, exec, s[0:1]
	s_waitcnt lgkmcnt(0)
	s_barrier
	ds_read_u8 v14, v6
	ds_read_u8 v15, v6 offset:8
	s_waitcnt lgkmcnt(0)
	v_cmp_ge_u16_e64 s[0:1], v14, v15
	v_cmp_lt_u16_e32 vcc, v14, v15
	s_and_saveexec_b64 s[2:3], vcc
	s_cbranch_execnz .LBB76_373
; %bb.188:
	s_or_b64 exec, exec, s[2:3]
	v_mov_b32_e32 v16, s6
	s_and_saveexec_b64 s[2:3], s[0:1]
	s_cbranch_execnz .LBB76_374
.LBB76_189:
	s_or_b64 exec, exec, s[2:3]
	v_cmp_eq_u32_e32 vcc, v16, v13
	s_and_saveexec_b64 s[0:1], vcc
	s_cbranch_execz .LBB76_191
.LBB76_190:
	ds_read_u8 v16, v6 offset:1032
	ds_read_u8 v17, v6 offset:1024
	ds_write_b8 v6, v15
	ds_write_b8 v6, v14 offset:8
	s_waitcnt lgkmcnt(3)
	ds_write_b8 v6, v16 offset:1024
	s_waitcnt lgkmcnt(3)
	ds_write_b8 v6, v17 offset:1032
.LBB76_191:
	s_or_b64 exec, exec, s[0:1]
	s_waitcnt lgkmcnt(0)
	s_barrier
	ds_read_u8 v14, v5
	ds_read_u8 v15, v5 offset:4
	s_waitcnt lgkmcnt(0)
	v_cmp_ge_u16_e64 s[0:1], v14, v15
	v_cmp_lt_u16_e32 vcc, v14, v15
	s_and_saveexec_b64 s[2:3], vcc
	s_cbranch_execnz .LBB76_375
; %bb.192:
	s_or_b64 exec, exec, s[2:3]
	v_mov_b32_e32 v16, s6
	s_and_saveexec_b64 s[2:3], s[0:1]
	s_cbranch_execnz .LBB76_376
.LBB76_193:
	s_or_b64 exec, exec, s[2:3]
	v_cmp_eq_u32_e32 vcc, v16, v13
	s_and_saveexec_b64 s[0:1], vcc
	s_cbranch_execz .LBB76_195
.LBB76_194:
	ds_read_u8 v16, v5 offset:1028
	ds_read_u8 v17, v5 offset:1024
	ds_write_b8 v5, v15
	ds_write_b8 v5, v14 offset:4
	s_waitcnt lgkmcnt(3)
	ds_write_b8 v5, v16 offset:1024
	s_waitcnt lgkmcnt(3)
	ds_write_b8 v5, v17 offset:1028
.LBB76_195:
	s_or_b64 exec, exec, s[0:1]
	s_waitcnt lgkmcnt(0)
	s_barrier
	ds_read_u8 v14, v4
	ds_read_u8 v15, v4 offset:2
	s_waitcnt lgkmcnt(0)
	v_cmp_ge_u16_e64 s[0:1], v14, v15
	v_cmp_lt_u16_e32 vcc, v14, v15
	s_and_saveexec_b64 s[2:3], vcc
	s_cbranch_execnz .LBB76_377
; %bb.196:
	s_or_b64 exec, exec, s[2:3]
	v_mov_b32_e32 v16, s6
	s_and_saveexec_b64 s[2:3], s[0:1]
	s_cbranch_execnz .LBB76_378
.LBB76_197:
	s_or_b64 exec, exec, s[2:3]
	v_cmp_eq_u32_e32 vcc, v16, v13
	s_and_saveexec_b64 s[0:1], vcc
	s_cbranch_execz .LBB76_199
.LBB76_198:
	ds_read_u8 v16, v4 offset:1026
	ds_read_u8 v17, v4 offset:1024
	ds_write_b8 v4, v15
	ds_write_b8 v4, v14 offset:2
	s_waitcnt lgkmcnt(3)
	ds_write_b8 v4, v16 offset:1024
	s_waitcnt lgkmcnt(3)
	ds_write_b8 v4, v17 offset:1026
.LBB76_199:
	s_or_b64 exec, exec, s[0:1]
	s_waitcnt lgkmcnt(0)
	s_barrier
	ds_read_u8 v14, v1
	ds_read_u8 v15, v1 offset:1
                                        ; implicit-def: $sgpr6
	s_waitcnt lgkmcnt(0)
	v_cmp_ge_u16_e64 s[0:1], v14, v15
	v_cmp_lt_u16_e32 vcc, v14, v15
	s_and_saveexec_b64 s[2:3], vcc
	s_cbranch_execnz .LBB76_379
; %bb.200:
	s_or_b64 exec, exec, s[2:3]
	v_mov_b32_e32 v16, s6
	s_and_saveexec_b64 s[2:3], s[0:1]
	s_cbranch_execnz .LBB76_380
.LBB76_201:
	s_or_b64 exec, exec, s[2:3]
	v_cmp_eq_u32_e32 vcc, v16, v13
	s_and_saveexec_b64 s[0:1], vcc
	s_cbranch_execz .LBB76_203
.LBB76_202:
	ds_read_u8 v13, v3 offset:1025
	ds_read_u8 v16, v1 offset:1024
	ds_write_b8 v1, v15
	ds_write_b8 v1, v14 offset:1
	s_waitcnt lgkmcnt(3)
	ds_write_b8 v1, v13 offset:1024
	s_waitcnt lgkmcnt(3)
	ds_write_b8 v3, v16 offset:1025
.LBB76_203:
	s_or_b64 exec, exec, s[0:1]
	v_and_b32_e32 v13, 0x1ff, v0
	v_sub_u32_e32 v13, v2, v13
	v_add_u32_e32 v13, 1, v13
	s_waitcnt lgkmcnt(0)
	s_barrier
	ds_read_u8 v14, v13
	ds_read_u8 v15, v13 offset:512
	s_mov_b32 s6, 1
	s_waitcnt lgkmcnt(0)
	v_cmp_ge_u16_e64 s[0:1], v14, v15
	v_cmp_lt_u16_e32 vcc, v14, v15
	s_and_saveexec_b64 s[2:3], vcc
	s_cbranch_execnz .LBB76_381
; %bb.204:
	s_or_b64 exec, exec, s[2:3]
	v_mov_b32_e32 v16, s6
	s_and_saveexec_b64 s[2:3], s[0:1]
	s_cbranch_execnz .LBB76_382
.LBB76_205:
	s_or_b64 exec, exec, s[2:3]
	v_cmp_eq_u32_e32 vcc, 0, v16
	s_and_saveexec_b64 s[0:1], vcc
	s_cbranch_execz .LBB76_207
.LBB76_206:
	ds_read_u8 v16, v13 offset:1536
	ds_read_u8 v17, v13 offset:1024
	ds_write_b8 v13, v15
	ds_write_b8 v13, v14 offset:512
	s_waitcnt lgkmcnt(3)
	ds_write_b8 v13, v16 offset:1024
	s_waitcnt lgkmcnt(3)
	ds_write_b8 v13, v17 offset:1536
.LBB76_207:
	s_or_b64 exec, exec, s[0:1]
	s_waitcnt lgkmcnt(0)
	s_barrier
	ds_read_u8 v13, v12
	ds_read_u8 v14, v12 offset:256
	s_waitcnt lgkmcnt(0)
	v_cmp_ge_u16_e64 s[0:1], v13, v14
	v_cmp_lt_u16_e32 vcc, v13, v14
	s_and_saveexec_b64 s[2:3], vcc
	s_cbranch_execnz .LBB76_383
; %bb.208:
	s_or_b64 exec, exec, s[2:3]
	v_mov_b32_e32 v15, s6
	s_and_saveexec_b64 s[2:3], s[0:1]
	s_cbranch_execnz .LBB76_384
.LBB76_209:
	s_or_b64 exec, exec, s[2:3]
	v_cmp_eq_u32_e32 vcc, 0, v15
	s_and_saveexec_b64 s[0:1], vcc
	s_cbranch_execz .LBB76_211
.LBB76_210:
	ds_read_u8 v15, v12 offset:1280
	ds_read_u8 v16, v12 offset:1024
	ds_write_b8 v12, v14
	ds_write_b8 v12, v13 offset:256
	s_waitcnt lgkmcnt(3)
	ds_write_b8 v12, v15 offset:1024
	s_waitcnt lgkmcnt(3)
	ds_write_b8 v12, v16 offset:1280
.LBB76_211:
	s_or_b64 exec, exec, s[0:1]
	s_waitcnt lgkmcnt(0)
	s_barrier
	ds_read_u8 v12, v11
	ds_read_u8 v13, v11 offset:128
	s_waitcnt lgkmcnt(0)
	v_cmp_ge_u16_e64 s[0:1], v12, v13
	v_cmp_lt_u16_e32 vcc, v12, v13
	s_and_saveexec_b64 s[2:3], vcc
	s_cbranch_execnz .LBB76_385
; %bb.212:
	s_or_b64 exec, exec, s[2:3]
	v_mov_b32_e32 v14, s6
	s_and_saveexec_b64 s[2:3], s[0:1]
	s_cbranch_execnz .LBB76_386
.LBB76_213:
	s_or_b64 exec, exec, s[2:3]
	v_cmp_eq_u32_e32 vcc, 0, v14
	s_and_saveexec_b64 s[0:1], vcc
	s_cbranch_execz .LBB76_215
.LBB76_214:
	ds_read_u8 v14, v11 offset:1152
	ds_read_u8 v15, v11 offset:1024
	ds_write_b8 v11, v13
	ds_write_b8 v11, v12 offset:128
	s_waitcnt lgkmcnt(3)
	ds_write_b8 v11, v14 offset:1024
	s_waitcnt lgkmcnt(3)
	ds_write_b8 v11, v15 offset:1152
.LBB76_215:
	s_or_b64 exec, exec, s[0:1]
	s_waitcnt lgkmcnt(0)
	s_barrier
	ds_read_u8 v11, v10
	ds_read_u8 v12, v10 offset:64
	s_waitcnt lgkmcnt(0)
	v_cmp_ge_u16_e64 s[2:3], v11, v12
	v_cmp_lt_u16_e32 vcc, v11, v12
	s_and_saveexec_b64 s[0:1], vcc
	s_cbranch_execz .LBB76_217
; %bb.216:
	ds_read_u8 v13, v10 offset:1024
	s_andn2_b64 s[2:3], s[2:3], exec
	s_waitcnt lgkmcnt(0)
	v_and_b32_e32 v13, 1, v13
	v_cmp_eq_u32_e32 vcc, 1, v13
	s_xor_b64 s[6:7], vcc, -1
	s_and_b64 s[6:7], s[6:7], exec
	s_or_b64 s[2:3], s[2:3], s[6:7]
.LBB76_217:
	s_or_b64 exec, exec, s[0:1]
	s_and_saveexec_b64 s[0:1], s[2:3]
	s_cbranch_execz .LBB76_220
; %bb.218:
	ds_read_u8 v13, v10 offset:1088
	s_waitcnt lgkmcnt(0)
	v_cmp_ne_u16_e32 vcc, 0, v13
	s_and_b64 exec, exec, vcc
	s_cbranch_execz .LBB76_220
; %bb.219:
	ds_read_u8 v14, v10 offset:1024
	ds_write_b8 v10, v12
	ds_write_b8 v10, v11 offset:64
	ds_write_b8 v10, v13 offset:1024
	s_waitcnt lgkmcnt(3)
	ds_write_b8 v10, v14 offset:1088
.LBB76_220:
	s_or_b64 exec, exec, s[0:1]
	s_waitcnt lgkmcnt(0)
	s_barrier
	ds_read_u8 v10, v9
	ds_read_u8 v11, v9 offset:32
	s_waitcnt lgkmcnt(0)
	v_cmp_ge_u16_e64 s[2:3], v10, v11
	v_cmp_lt_u16_e32 vcc, v10, v11
	s_and_saveexec_b64 s[0:1], vcc
	s_cbranch_execz .LBB76_222
; %bb.221:
	ds_read_u8 v12, v9 offset:1024
	s_andn2_b64 s[2:3], s[2:3], exec
	s_waitcnt lgkmcnt(0)
	v_and_b32_e32 v12, 1, v12
	v_cmp_eq_u32_e32 vcc, 1, v12
	s_xor_b64 s[6:7], vcc, -1
	s_and_b64 s[6:7], s[6:7], exec
	s_or_b64 s[2:3], s[2:3], s[6:7]
.LBB76_222:
	s_or_b64 exec, exec, s[0:1]
	s_and_saveexec_b64 s[0:1], s[2:3]
	s_cbranch_execz .LBB76_225
; %bb.223:
	ds_read_u8 v12, v9 offset:1056
	s_waitcnt lgkmcnt(0)
	v_cmp_ne_u16_e32 vcc, 0, v12
	s_and_b64 exec, exec, vcc
	s_cbranch_execz .LBB76_225
; %bb.224:
	ds_read_u8 v13, v9 offset:1024
	ds_write_b8 v9, v11
	ds_write_b8 v9, v10 offset:32
	ds_write_b8 v9, v12 offset:1024
	s_waitcnt lgkmcnt(3)
	ds_write_b8 v9, v13 offset:1056
.LBB76_225:
	;; [unrolled: 37-line block ×7, first 2 shown]
	s_or_b64 exec, exec, s[0:1]
	v_cmp_eq_u32_e32 vcc, 0, v0
	s_waitcnt lgkmcnt(0)
	s_barrier
	s_barrier
	s_and_saveexec_b64 s[0:1], vcc
	s_cbranch_execz .LBB76_252
; %bb.251:
	v_mov_b32_e32 v4, 1
	v_mov_b32_e32 v5, 0
	ds_write_b8 v4, v4 offset:1028
	ds_write_b32 v4, v5 offset:1024
.LBB76_252:
	s_or_b64 exec, exec, s[0:1]
	ds_read_u8 v5, v1
	ds_read_u8 v4, v1 offset:1
	s_add_i32 s10, 1, 0x400
	v_lshl_add_u32 v1, v2, 3, s10
	s_waitcnt lgkmcnt(0)
	v_cmp_ne_u16_e64 s[0:1], v5, v4
	v_cndmask_b32_e64 v6, 0, 1, s[0:1]
	v_cmp_eq_u16_e64 s[0:1], v5, v4
	v_cndmask_b32_e64 v5, 0, 1, s[0:1]
	s_movk_i32 s0, 0x1ff
	v_cmp_gt_u32_e64 s[2:3], s0, v0
	ds_write_b8 v1, v6 offset:12
	ds_write_b32 v1, v5 offset:8
	s_and_saveexec_b64 s[6:7], s[2:3]
	s_cbranch_execz .LBB76_254
; %bb.253:
	ds_read_u8 v3, v3 offset:2
	s_waitcnt lgkmcnt(0)
	v_cmp_ne_u16_e64 s[0:1], v4, v3
	v_cndmask_b32_e64 v5, 0, 1, s[0:1]
	v_cmp_eq_u16_e64 s[0:1], v4, v3
	v_cndmask_b32_e64 v3, 0, 1, s[0:1]
	ds_write_b8 v1, v5 offset:20
	ds_write_b32 v1, v3 offset:16
.LBB76_254:
	s_or_b64 exec, exec, s[6:7]
	s_movk_i32 s0, 0x200
	v_cmp_gt_u32_e64 s[0:1], s0, v0
	v_lshl_add_u32 v3, v2, 3, 1
	s_waitcnt lgkmcnt(0)
	s_barrier
	s_and_saveexec_b64 s[6:7], s[0:1]
	s_cbranch_execz .LBB76_256
; %bb.255:
	ds_read_u8 v4, v1 offset:12
	ds_read_b32 v5, v3 offset:1024
	ds_read_b32 v6, v1 offset:8
	ds_read_u8 v7, v3 offset:1028
	s_waitcnt lgkmcnt(3)
	v_and_b32_e32 v9, 1, v4
	v_cmp_eq_u32_e64 s[0:1], 1, v9
	s_waitcnt lgkmcnt(2)
	v_cndmask_b32_e64 v5, v5, 0, s[0:1]
	s_waitcnt lgkmcnt(0)
	v_or_b32_e32 v4, v7, v4
	v_add_u32_e32 v5, v5, v6
	v_and_b32_e32 v4, 1, v4
	ds_write2_b32 v1, v5, v4 offset0:2 offset1:3
.LBB76_256:
	s_or_b64 exec, exec, s[6:7]
	v_add_u32_e32 v14, 2, v2
	v_lshlrev_b32_e32 v4, 1, v14
	s_movk_i32 s0, 0x100
	v_add_u32_e32 v5, -1, v4
	v_cmp_gt_u32_e64 s[0:1], s0, v0
	s_waitcnt lgkmcnt(0)
	s_barrier
	s_and_saveexec_b64 s[6:7], s[0:1]
	s_cbranch_execz .LBB76_258
; %bb.257:
	v_lshl_add_u32 v6, v5, 3, 1
	ds_read_b32 v7, v6 offset:1024
	ds_read_u8 v9, v6 offset:1028
	v_lshl_add_u32 v10, v4, 3, 1
	ds_read_b32 v11, v10 offset:1000
	ds_read_u8 v10, v10 offset:1004
	v_add_u32_e32 v6, 0x400, v6
	s_waitcnt lgkmcnt(2)
	v_and_b32_e32 v12, 1, v9
	v_cmp_eq_u32_e64 s[0:1], 1, v12
	s_waitcnt lgkmcnt(1)
	v_cndmask_b32_e64 v11, v11, 0, s[0:1]
	s_waitcnt lgkmcnt(0)
	v_or_b32_e32 v9, v10, v9
	v_add_u32_e32 v7, v11, v7
	v_and_b32_e32 v9, 1, v9
	ds_write2_b32 v6, v7, v9 offset1:1
.LBB76_258:
	s_or_b64 exec, exec, s[6:7]
	s_movk_i32 s0, 0x80
	v_lshlrev_b32_e32 v6, 2, v14
	v_add_u32_e32 v5, v5, v4
	v_cmp_gt_u32_e64 s[0:1], s0, v0
	s_waitcnt lgkmcnt(0)
	s_barrier
	s_and_saveexec_b64 s[6:7], s[0:1]
	s_cbranch_execz .LBB76_260
; %bb.259:
	v_lshl_add_u32 v7, v5, 3, 1
	ds_read_b32 v9, v7 offset:1024
	ds_read_u8 v10, v7 offset:1028
	v_lshl_add_u32 v11, v6, 3, 1
	ds_read_b32 v12, v11 offset:984
	ds_read_u8 v11, v11 offset:988
	v_add_u32_e32 v7, 0x400, v7
	s_waitcnt lgkmcnt(2)
	v_and_b32_e32 v13, 1, v10
	v_cmp_eq_u32_e64 s[0:1], 1, v13
	s_waitcnt lgkmcnt(1)
	v_cndmask_b32_e64 v12, v12, 0, s[0:1]
	s_waitcnt lgkmcnt(0)
	v_or_b32_e32 v10, v11, v10
	v_add_u32_e32 v9, v12, v9
	v_and_b32_e32 v10, 1, v10
	ds_write2_b32 v7, v9, v10 offset1:1
.LBB76_260:
	s_or_b64 exec, exec, s[6:7]
	v_lshlrev_b32_e32 v9, 3, v14
	v_add_u32_e32 v7, v5, v6
	v_cmp_gt_u32_e64 s[0:1], 64, v0
	s_waitcnt lgkmcnt(0)
	s_barrier
	s_and_saveexec_b64 s[8:9], s[0:1]
	s_cbranch_execz .LBB76_262
; %bb.261:
	v_lshl_add_u32 v10, v7, 3, 1
	ds_read_b32 v11, v10 offset:1024
	ds_read_u8 v12, v10 offset:1028
	v_lshl_add_u32 v13, v9, 3, 1
	ds_read_b32 v15, v13 offset:952
	ds_read_u8 v13, v13 offset:956
	v_add_u32_e32 v10, 0x400, v10
	s_waitcnt lgkmcnt(2)
	v_and_b32_e32 v16, 1, v12
	v_cmp_eq_u32_e64 s[6:7], 1, v16
	s_waitcnt lgkmcnt(1)
	v_cndmask_b32_e64 v15, v15, 0, s[6:7]
	s_waitcnt lgkmcnt(0)
	v_or_b32_e32 v12, v13, v12
	v_add_u32_e32 v11, v15, v11
	v_and_b32_e32 v12, 1, v12
	ds_write2_b32 v10, v11, v12 offset1:1
.LBB76_262:
	s_or_b64 exec, exec, s[8:9]
	;; [unrolled: 27-line block ×5, first 2 shown]
	v_lshlrev_b32_e32 v18, 7, v14
	v_add_u32_e32 v17, v15, v16
	v_cmp_gt_u32_e64 s[6:7], 4, v0
	s_waitcnt lgkmcnt(0)
	s_barrier
	s_and_saveexec_b64 s[8:9], s[6:7]
	s_cbranch_execz .LBB76_270
; %bb.269:
	v_lshl_add_u32 v19, v17, 3, 1
	v_add_u32_e32 v20, 0x400, v19
	v_lshl_add_u32 v21, v18, 3, 1
	ds_read_b32 v22, v19 offset:1024
	ds_read_u8 v19, v19 offset:1028
	v_add_u32_e32 v23, -8, v21
	v_add_u32_e32 v21, -4, v21
	ds_read_b32 v23, v23
	ds_read_u8 v21, v21
	s_waitcnt lgkmcnt(2)
	v_and_b32_e32 v24, 1, v19
	v_cmp_eq_u32_e64 s[6:7], 1, v24
	s_waitcnt lgkmcnt(1)
	v_cndmask_b32_e64 v23, v23, 0, s[6:7]
	s_waitcnt lgkmcnt(0)
	v_or_b32_e32 v19, v21, v19
	v_add_u32_e32 v22, v23, v22
	v_and_b32_e32 v19, 1, v19
	ds_write2_b32 v20, v22, v19 offset1:1
.LBB76_270:
	s_or_b64 exec, exec, s[8:9]
	v_add_u32_e32 v19, v17, v18
	v_cmp_gt_u32_e64 s[6:7], 2, v0
	v_lshl_add_u32 v19, v19, 3, 1
	s_waitcnt lgkmcnt(0)
	s_barrier
	s_and_saveexec_b64 s[8:9], s[6:7]
	s_cbranch_execz .LBB76_272
; %bb.271:
	v_lshl_add_u32 v14, v14, 11, 1
	v_add_u32_e32 v21, 0xfffffbf8, v14
	ds_read_u8 v22, v19 offset:1028
	ds_read_b32 v21, v21
	v_add_u32_e32 v14, 0xfffffbfc, v14
	ds_read_b32 v23, v19 offset:1024
	ds_read_u8 v14, v14
	v_add_u32_e32 v20, 0x400, v19
	s_waitcnt lgkmcnt(3)
	v_and_b32_e32 v24, 1, v22
	v_cmp_eq_u32_e64 s[6:7], 1, v24
	s_waitcnt lgkmcnt(2)
	v_cndmask_b32_e64 v21, v21, 0, s[6:7]
	s_waitcnt lgkmcnt(0)
	v_or_b32_e32 v14, v14, v22
	v_add_u32_e32 v21, v21, v23
	v_and_b32_e32 v14, 1, v14
	ds_write2_b32 v20, v21, v14 offset1:1
.LBB76_272:
	s_or_b64 exec, exec, s[8:9]
	s_waitcnt lgkmcnt(0)
	s_barrier
	s_and_saveexec_b64 s[8:9], vcc
	s_cbranch_execz .LBB76_274
; %bb.273:
	v_mov_b32_e32 v14, 1
	s_movk_i32 s6, 0xf8
	ds_read_u8 v22, v14 offset:9212
	v_add_u32_e64 v20, s6, 1
	ds_read2st64_b32 v[20:21], v20 offset0:19 offset1:35
	ds_read_u8 v14, v14 offset:5116
	s_add_i32 s11, 1, 0x23f8
	s_waitcnt lgkmcnt(2)
	v_and_b32_e32 v23, 1, v22
	v_cmp_eq_u32_e64 s[6:7], 1, v23
	s_waitcnt lgkmcnt(1)
	v_cndmask_b32_e64 v20, v20, 0, s[6:7]
	s_waitcnt lgkmcnt(0)
	v_or_b32_e32 v14, v14, v22
	v_add_u32_e32 v20, v20, v21
	v_and_b32_e32 v14, 1, v14
	v_mov_b32_e32 v21, s11
	ds_write2_b32 v21, v20, v14 offset1:1
.LBB76_274:
	s_or_b64 exec, exec, s[8:9]
	s_waitcnt lgkmcnt(0)
	s_barrier
	s_and_saveexec_b64 s[8:9], vcc
	s_cbranch_execz .LBB76_276
; %bb.275:
	v_mov_b32_e32 v14, 1
	ds_read_u8 v20, v14 offset:7164
	ds_read_b32 v14, v14 offset:7160
	ds_read_b32 v21, v19 offset:1024
	ds_read_u8 v19, v19 offset:1028
	s_add_i32 s11, 1, 0x1bf8
	s_waitcnt lgkmcnt(3)
	v_and_b32_e32 v22, 1, v20
	v_cmp_eq_u32_e64 s[6:7], 1, v22
	s_waitcnt lgkmcnt(1)
	v_cndmask_b32_e64 v21, v21, 0, s[6:7]
	s_waitcnt lgkmcnt(0)
	v_or_b32_e32 v19, v19, v20
	v_add_u32_e32 v14, v21, v14
	v_and_b32_e32 v19, 1, v19
	v_mov_b32_e32 v20, s11
	ds_write2_b32 v20, v14, v19 offset1:1
.LBB76_276:
	s_or_b64 exec, exec, s[8:9]
	v_cmp_gt_u32_e64 s[6:7], 3, v0
	s_waitcnt lgkmcnt(0)
	s_barrier
	s_and_saveexec_b64 s[8:9], s[6:7]
	s_cbranch_execz .LBB76_278
; %bb.277:
	v_lshl_add_u32 v14, v18, 3, s10
	ds_read_u8 v18, v14 offset:1020
	v_lshl_add_u32 v17, v17, 3, s10
	ds_read_b32 v19, v17
	ds_read_b32 v20, v14 offset:1016
	ds_read_u8 v17, v17 offset:4
	s_waitcnt lgkmcnt(3)
	v_and_b32_e32 v21, 1, v18
	v_cmp_eq_u32_e64 s[6:7], 1, v21
	s_waitcnt lgkmcnt(2)
	v_cndmask_b32_e64 v19, v19, 0, s[6:7]
	s_waitcnt lgkmcnt(0)
	v_or_b32_e32 v17, v17, v18
	v_add_u32_e32 v19, v19, v20
	v_and_b32_e32 v17, 1, v17
	ds_write2_b32 v14, v19, v17 offset0:254 offset1:255
.LBB76_278:
	s_or_b64 exec, exec, s[8:9]
	v_cmp_gt_u32_e64 s[6:7], 7, v0
	s_waitcnt lgkmcnt(0)
	s_barrier
	s_and_saveexec_b64 s[8:9], s[6:7]
	s_cbranch_execz .LBB76_280
; %bb.279:
	v_lshl_add_u32 v14, v16, 3, s10
	ds_read_u8 v16, v14 offset:508
	v_lshl_add_u32 v15, v15, 3, s10
	ds_read_b32 v17, v15
	ds_read_b32 v18, v14 offset:504
	ds_read_u8 v15, v15 offset:4
	s_waitcnt lgkmcnt(3)
	v_and_b32_e32 v19, 1, v16
	v_cmp_eq_u32_e64 s[6:7], 1, v19
	s_waitcnt lgkmcnt(2)
	v_cndmask_b32_e64 v17, v17, 0, s[6:7]
	s_waitcnt lgkmcnt(0)
	v_or_b32_e32 v15, v15, v16
	v_add_u32_e32 v17, v17, v18
	v_and_b32_e32 v15, 1, v15
	ds_write2_b32 v14, v17, v15 offset0:126 offset1:127
.LBB76_280:
	;; [unrolled: 24-line block ×5, first 2 shown]
	s_or_b64 exec, exec, s[8:9]
	s_movk_i32 s6, 0x7f
	v_cmp_gt_u32_e64 s[6:7], s6, v0
	s_waitcnt lgkmcnt(0)
	s_barrier
	s_and_saveexec_b64 s[8:9], s[6:7]
	s_cbranch_execz .LBB76_288
; %bb.287:
	v_lshl_add_u32 v6, v6, 3, s10
	ds_read_u8 v7, v6 offset:28
	v_lshl_add_u32 v5, v5, 3, s10
	ds_read_b32 v9, v5
	ds_read_b32 v10, v6 offset:24
	ds_read_u8 v5, v5 offset:4
	s_waitcnt lgkmcnt(3)
	v_and_b32_e32 v11, 1, v7
	v_cmp_eq_u32_e64 s[6:7], 1, v11
	s_waitcnt lgkmcnt(2)
	v_cndmask_b32_e64 v9, v9, 0, s[6:7]
	s_waitcnt lgkmcnt(0)
	v_or_b32_e32 v5, v5, v7
	v_add_u32_e32 v9, v9, v10
	v_and_b32_e32 v5, 1, v5
	ds_write2_b32 v6, v9, v5 offset0:6 offset1:7
.LBB76_288:
	s_or_b64 exec, exec, s[8:9]
	s_movk_i32 s6, 0xff
	v_cmp_gt_u32_e64 s[6:7], s6, v0
	s_waitcnt lgkmcnt(0)
	s_barrier
	s_and_saveexec_b64 s[8:9], s[6:7]
	s_cbranch_execz .LBB76_290
; %bb.289:
	v_lshl_add_u32 v4, v4, 3, s10
	ds_read_u8 v5, v4 offset:12
	v_add_u32_e32 v6, -8, v4
	ds_read_b32 v7, v6
	ds_read_b32 v9, v4 offset:8
	ds_read_u8 v6, v6 offset:4
	s_waitcnt lgkmcnt(3)
	v_and_b32_e32 v10, 1, v5
	v_cmp_eq_u32_e64 s[6:7], 1, v10
	s_waitcnt lgkmcnt(2)
	v_cndmask_b32_e64 v7, v7, 0, s[6:7]
	s_waitcnt lgkmcnt(0)
	v_or_b32_e32 v5, v6, v5
	v_add_u32_e32 v7, v7, v9
	v_and_b32_e32 v5, 1, v5
	ds_write2_b32 v4, v7, v5 offset0:2 offset1:3
.LBB76_290:
	s_or_b64 exec, exec, s[8:9]
	s_waitcnt lgkmcnt(0)
	s_barrier
	s_and_saveexec_b64 s[6:7], s[2:3]
	s_cbranch_execz .LBB76_292
; %bb.291:
	ds_read_u8 v6, v1 offset:20
	ds_read_u8 v7, v1 offset:12
	ds_read2_b32 v[4:5], v1 offset0:2 offset1:4
	s_waitcnt lgkmcnt(2)
	v_and_b32_e32 v9, 1, v6
	v_cmp_eq_u32_e64 s[2:3], 1, v9
	s_waitcnt lgkmcnt(1)
	v_or_b32_e32 v6, v7, v6
	s_waitcnt lgkmcnt(0)
	v_cndmask_b32_e64 v4, v4, 0, s[2:3]
	v_add_u32_e32 v4, v4, v5
	v_and_b32_e32 v5, 1, v6
	ds_write2_b32 v1, v4, v5 offset0:4 offset1:5
.LBB76_292:
	s_or_b64 exec, exec, s[6:7]
	s_waitcnt lgkmcnt(0)
	s_barrier
	ds_read_b32 v3, v3 offset:1024
	ds_read_b32 v1, v1 offset:8
	v_or_b32_e32 v4, 1, v2
	v_cmp_gt_u32_e64 s[6:7], s16, v4
	v_cmp_gt_u32_e64 s[2:3], s16, v2
	s_waitcnt lgkmcnt(1)
	v_cndmask_b32_e64 v3, 0, v3, s[2:3]
	s_waitcnt lgkmcnt(0)
	v_cndmask_b32_e64 v6, 0, v1, s[6:7]
	v_mbcnt_lo_u32_b32 v1, -1, 0
	v_mbcnt_hi_u32_b32 v13, -1, v1
	v_and_b32_e32 v14, 63, v13
	v_cmp_gt_u32_e64 s[8:9], 32, v14
	v_cndmask_b32_e64 v1, 0, 1, s[8:9]
	v_lshlrev_b32_e32 v1, 5, v1
	v_cndmask_b32_e64 v5, 0, v2, s[2:3]
	v_max_u32_e32 v7, v6, v3
	v_add_lshl_u32 v1, v1, v13, 2
	v_cndmask_b32_e64 v9, 0, v4, s[6:7]
	v_cmp_gt_u32_e64 s[8:9], v6, v3
	ds_bpermute_b32 v10, v1, v7
	v_cndmask_b32_e64 v3, v5, v9, s[8:9]
	ds_bpermute_b32 v5, v1, v3
	v_cmp_gt_u32_e64 s[8:9], 48, v14
	v_cndmask_b32_e64 v9, 0, 1, s[8:9]
	v_lshlrev_b32_e32 v9, 4, v9
	s_waitcnt lgkmcnt(1)
	v_max_u32_e32 v6, v10, v7
	v_add_lshl_u32 v9, v9, v13, 2
	v_cmp_gt_u32_e64 s[8:9], v10, v7
	ds_bpermute_b32 v11, v9, v6
	s_waitcnt lgkmcnt(1)
	v_cndmask_b32_e64 v3, v3, v5, s[8:9]
	ds_bpermute_b32 v5, v9, v3
	v_cmp_gt_u32_e64 s[8:9], 56, v14
	v_cndmask_b32_e64 v10, 0, 1, s[8:9]
	v_lshlrev_b32_e32 v10, 3, v10
	s_waitcnt lgkmcnt(1)
	v_max_u32_e32 v7, v11, v6
	v_add_lshl_u32 v10, v10, v13, 2
	v_cmp_gt_u32_e64 s[8:9], v11, v6
	ds_bpermute_b32 v12, v10, v7
	s_waitcnt lgkmcnt(1)
	;; [unrolled: 11-line block ×4, first 2 shown]
	v_cndmask_b32_e64 v5, v3, v5, s[8:9]
	ds_bpermute_b32 v6, v12, v5
	s_waitcnt lgkmcnt(0)
	s_barrier
	v_cmp_gt_u32_e64 s[8:9], v16, v7
	v_max_u32_e32 v3, v16, v7
	v_cndmask_b32_e64 v5, v5, v6, s[8:9]
	v_cmp_ne_u32_e64 s[8:9], 63, v14
	v_addc_co_u32_e64 v6, s[8:9], 0, v13, s[8:9]
	v_lshlrev_b32_e32 v13, 2, v6
	ds_bpermute_b32 v6, v13, v5
	ds_bpermute_b32 v7, v13, v3
	v_cmp_eq_u32_e64 s[8:9], 0, v8
	s_waitcnt lgkmcnt(0)
	s_barrier
	s_and_saveexec_b64 s[12:13], s[8:9]
	s_cbranch_execz .LBB76_294
; %bb.293:
	v_lshrrev_b32_e32 v14, 3, v0
	v_add_u32_e32 v14, 1, v14
	v_cmp_gt_u32_e64 s[10:11], v7, v3
	v_add_u32_e32 v14, 0x400, v14
	v_cndmask_b32_e64 v5, v5, v6, s[10:11]
	v_max_u32_e32 v3, v7, v3
	ds_write2_b32 v14, v3, v5 offset1:1
.LBB76_294:
	s_or_b64 exec, exec, s[12:13]
	s_lshr_b32 s10, s20, 6
	v_cmp_gt_u32_e64 s[10:11], s10, v0
	v_lshl_add_u32 v14, v8, 3, 1
	v_mov_b32_e32 v3, 0
	v_mov_b32_e32 v5, 0
	s_waitcnt lgkmcnt(0)
	s_barrier
	s_and_saveexec_b64 s[12:13], s[10:11]
	s_cbranch_execnz .LBB76_387
; %bb.295:
	s_or_b64 exec, exec, s[12:13]
	s_and_saveexec_b64 s[12:13], s[10:11]
	s_cbranch_execnz .LBB76_388
.LBB76_296:
	s_or_b64 exec, exec, s[12:13]
	s_and_saveexec_b64 s[20:21], s[0:1]
	s_cbranch_execnz .LBB76_389
.LBB76_297:
	s_or_b64 exec, exec, s[20:21]
	s_and_saveexec_b64 s[12:13], vcc
	s_cbranch_execz .LBB76_299
.LBB76_298:
	s_waitcnt lgkmcnt(0)
	v_add_u32_e32 v3, 1, v3
	ds_read_u8 v3, v3
	v_mov_b32_e32 v5, 0
	s_waitcnt lgkmcnt(0)
	ds_write_b8 v5, v3
.LBB76_299:
	s_or_b64 exec, exec, s[12:13]
	s_mov_b32 s20, 0
	s_waitcnt lgkmcnt(0)
	v_mov_b32_e32 v3, 0
	s_mov_b32 s21, s20
	v_cmp_gt_i64_e64 s[12:13], s[16:17], v[2:3]
	v_pk_mov_b32 v[6:7], s[20:21], s[20:21] op_sel:[0,1]
	s_barrier
	s_and_saveexec_b64 s[20:21], s[12:13]
	s_cbranch_execz .LBB76_301
; %bb.300:
	v_add_u32_e32 v5, s15, v2
	global_load_ubyte v5, v5, s[18:19]
	ds_read_u8 v6, v3
	s_waitcnt vmcnt(0) lgkmcnt(0)
	v_cmp_eq_u16_e64 s[12:13], v5, v6
	v_cndmask_b32_e64 v2, 0, v2, s[12:13]
	v_pk_mov_b32 v[6:7], v[2:3], v[2:3] op_sel:[0,1]
.LBB76_301:
	s_or_b64 exec, exec, s[20:21]
	v_mov_b32_e32 v5, v3
	v_cmp_gt_i64_e64 s[12:13], s[16:17], v[4:5]
	s_and_saveexec_b64 s[16:17], s[12:13]
	s_cbranch_execz .LBB76_303
; %bb.302:
	v_add_u32_e32 v2, s15, v4
	global_load_ubyte v2, v2, s[18:19]
	v_mov_b32_e32 v3, 0
	ds_read_u8 v3, v3
	s_waitcnt vmcnt(0) lgkmcnt(0)
	v_cmp_eq_u16_e64 s[12:13], v2, v3
	v_cndmask_b32_e64 v7, 0, v4, s[12:13]
.LBB76_303:
	s_or_b64 exec, exec, s[16:17]
	v_cndmask_b32_e64 v2, 0, v6, s[2:3]
	v_cndmask_b32_e64 v3, 0, v7, s[6:7]
	v_max_u32_e32 v2, v3, v2
	ds_bpermute_b32 v3, v1, v2
	s_waitcnt lgkmcnt(0)
	s_barrier
	v_max_u32_e32 v2, v3, v2
	ds_bpermute_b32 v3, v9, v2
	s_waitcnt lgkmcnt(0)
	v_max_u32_e32 v2, v3, v2
	ds_bpermute_b32 v3, v10, v2
	s_waitcnt lgkmcnt(0)
	;; [unrolled: 3-line block ×4, first 2 shown]
	v_max_u32_e32 v2, v3, v2
	ds_bpermute_b32 v3, v13, v2
	s_and_saveexec_b64 s[2:3], s[8:9]
	s_cbranch_execz .LBB76_305
; %bb.304:
	v_lshrrev_b32_e32 v0, 4, v0
	v_add_u32_e32 v0, 1, v0
	s_waitcnt lgkmcnt(0)
	v_max_u32_e32 v2, v3, v2
	ds_write_b32 v0, v2
.LBB76_305:
	s_or_b64 exec, exec, s[2:3]
	v_mov_b32_e32 v0, 0
	s_waitcnt lgkmcnt(0)
	s_barrier
	s_and_saveexec_b64 s[2:3], s[10:11]
	s_cbranch_execnz .LBB76_390
; %bb.306:
	s_or_b64 exec, exec, s[2:3]
	s_and_saveexec_b64 s[2:3], s[0:1]
	s_cbranch_execnz .LBB76_391
.LBB76_307:
	s_or_b64 exec, exec, s[2:3]
	s_and_saveexec_b64 s[0:1], vcc
	s_cbranch_execnz .LBB76_392
.LBB76_308:
	s_endpgm
.LBB76_309:
	ds_read_u8 v8, v1 offset:1024
	s_andn2_b64 s[0:1], s[0:1], exec
	s_mov_b32 s6, 1
	s_waitcnt lgkmcnt(0)
	v_and_b32_e32 v8, 1, v8
	v_cmp_eq_u32_e32 vcc, 1, v8
	s_xor_b64 s[8:9], vcc, -1
	s_and_b64 s[8:9], s[8:9], exec
	s_or_b64 s[0:1], s[0:1], s[8:9]
	s_or_b64 exec, exec, s[2:3]
	v_mov_b32_e32 v8, s6
	s_and_saveexec_b64 s[2:3], s[0:1]
	s_cbranch_execz .LBB76_19
.LBB76_310:
	ds_read_u8 v8, v3 offset:1025
	s_waitcnt lgkmcnt(0)
	v_xor_b32_e32 v8, 1, v8
	s_or_b64 exec, exec, s[2:3]
	v_cmp_eq_u32_e32 vcc, v8, v5
	s_and_saveexec_b64 s[0:1], vcc
	s_cbranch_execnz .LBB76_20
	s_branch .LBB76_21
.LBB76_311:
	ds_read_u8 v9, v4 offset:1024
	s_andn2_b64 s[0:1], s[0:1], exec
	s_waitcnt lgkmcnt(0)
	v_and_b32_e32 v9, 1, v9
	v_cmp_eq_u32_e32 vcc, 1, v9
	s_xor_b64 s[8:9], vcc, -1
	s_and_b64 s[8:9], s[8:9], exec
	s_or_b64 s[0:1], s[0:1], s[8:9]
	s_or_b64 exec, exec, s[2:3]
	v_mov_b32_e32 v9, s6
	s_and_saveexec_b64 s[2:3], s[0:1]
	s_cbranch_execz .LBB76_29
.LBB76_312:
	ds_read_u8 v9, v4 offset:1026
	s_waitcnt lgkmcnt(0)
	v_xor_b32_e32 v9, 1, v9
	s_or_b64 exec, exec, s[2:3]
	v_cmp_eq_u32_e32 vcc, v9, v6
	s_and_saveexec_b64 s[0:1], vcc
	s_cbranch_execnz .LBB76_30
	s_branch .LBB76_31
.LBB76_313:
	ds_read_u8 v9, v1 offset:1024
	s_andn2_b64 s[0:1], s[0:1], exec
	s_mov_b32 s6, 1
	s_waitcnt lgkmcnt(0)
	v_and_b32_e32 v9, 1, v9
	v_cmp_eq_u32_e32 vcc, 1, v9
	s_xor_b64 s[8:9], vcc, -1
	s_and_b64 s[8:9], s[8:9], exec
	s_or_b64 s[0:1], s[0:1], s[8:9]
	s_or_b64 exec, exec, s[2:3]
	v_mov_b32_e32 v9, s6
	s_and_saveexec_b64 s[2:3], s[0:1]
	s_cbranch_execz .LBB76_33
.LBB76_314:
	ds_read_u8 v9, v3 offset:1025
	s_waitcnt lgkmcnt(0)
	v_xor_b32_e32 v9, 1, v9
	s_or_b64 exec, exec, s[2:3]
	v_cmp_eq_u32_e32 vcc, v9, v6
	s_and_saveexec_b64 s[0:1], vcc
	s_cbranch_execnz .LBB76_34
	s_branch .LBB76_35
.LBB76_315:
	ds_read_u8 v10, v5 offset:1024
	s_andn2_b64 s[0:1], s[0:1], exec
	s_waitcnt lgkmcnt(0)
	v_and_b32_e32 v10, 1, v10
	v_cmp_eq_u32_e32 vcc, 1, v10
	s_xor_b64 s[8:9], vcc, -1
	s_and_b64 s[8:9], s[8:9], exec
	s_or_b64 s[0:1], s[0:1], s[8:9]
	s_or_b64 exec, exec, s[2:3]
	v_mov_b32_e32 v10, s6
	s_and_saveexec_b64 s[2:3], s[0:1]
	s_cbranch_execz .LBB76_43
.LBB76_316:
	ds_read_u8 v10, v5 offset:1028
	s_waitcnt lgkmcnt(0)
	v_xor_b32_e32 v10, 1, v10
	s_or_b64 exec, exec, s[2:3]
	v_cmp_eq_u32_e32 vcc, v10, v7
	s_and_saveexec_b64 s[0:1], vcc
	s_cbranch_execnz .LBB76_44
	s_branch .LBB76_45
.LBB76_317:
	ds_read_u8 v10, v4 offset:1024
	s_andn2_b64 s[0:1], s[0:1], exec
	s_waitcnt lgkmcnt(0)
	v_and_b32_e32 v10, 1, v10
	v_cmp_eq_u32_e32 vcc, 1, v10
	s_xor_b64 s[8:9], vcc, -1
	s_and_b64 s[8:9], s[8:9], exec
	s_or_b64 s[0:1], s[0:1], s[8:9]
	s_or_b64 exec, exec, s[2:3]
	v_mov_b32_e32 v10, s6
	s_and_saveexec_b64 s[2:3], s[0:1]
	s_cbranch_execz .LBB76_47
.LBB76_318:
	ds_read_u8 v10, v4 offset:1026
	s_waitcnt lgkmcnt(0)
	v_xor_b32_e32 v10, 1, v10
	s_or_b64 exec, exec, s[2:3]
	v_cmp_eq_u32_e32 vcc, v10, v7
	s_and_saveexec_b64 s[0:1], vcc
	s_cbranch_execnz .LBB76_48
	s_branch .LBB76_49
.LBB76_319:
	ds_read_u8 v10, v1 offset:1024
	s_andn2_b64 s[0:1], s[0:1], exec
	s_mov_b32 s6, 1
	s_waitcnt lgkmcnt(0)
	v_and_b32_e32 v10, 1, v10
	v_cmp_eq_u32_e32 vcc, 1, v10
	s_xor_b64 s[8:9], vcc, -1
	s_and_b64 s[8:9], s[8:9], exec
	s_or_b64 s[0:1], s[0:1], s[8:9]
	s_or_b64 exec, exec, s[2:3]
	v_mov_b32_e32 v10, s6
	s_and_saveexec_b64 s[2:3], s[0:1]
	s_cbranch_execz .LBB76_51
.LBB76_320:
	ds_read_u8 v10, v3 offset:1025
	s_waitcnt lgkmcnt(0)
	v_xor_b32_e32 v10, 1, v10
	s_or_b64 exec, exec, s[2:3]
	v_cmp_eq_u32_e32 vcc, v10, v7
	s_and_saveexec_b64 s[0:1], vcc
	s_cbranch_execnz .LBB76_52
	s_branch .LBB76_53
.LBB76_321:
	ds_read_u8 v11, v6 offset:1024
	s_andn2_b64 s[0:1], s[0:1], exec
	s_waitcnt lgkmcnt(0)
	v_and_b32_e32 v11, 1, v11
	v_cmp_eq_u32_e32 vcc, 1, v11
	s_xor_b64 s[8:9], vcc, -1
	s_and_b64 s[8:9], s[8:9], exec
	s_or_b64 s[0:1], s[0:1], s[8:9]
	s_or_b64 exec, exec, s[2:3]
	v_mov_b32_e32 v11, s6
	s_and_saveexec_b64 s[2:3], s[0:1]
	s_cbranch_execz .LBB76_61
.LBB76_322:
	ds_read_u8 v11, v6 offset:1032
	s_waitcnt lgkmcnt(0)
	v_xor_b32_e32 v11, 1, v11
	s_or_b64 exec, exec, s[2:3]
	v_cmp_eq_u32_e32 vcc, v11, v8
	s_and_saveexec_b64 s[0:1], vcc
	s_cbranch_execnz .LBB76_62
	s_branch .LBB76_63
.LBB76_323:
	ds_read_u8 v11, v5 offset:1024
	s_andn2_b64 s[0:1], s[0:1], exec
	s_waitcnt lgkmcnt(0)
	v_and_b32_e32 v11, 1, v11
	v_cmp_eq_u32_e32 vcc, 1, v11
	s_xor_b64 s[8:9], vcc, -1
	s_and_b64 s[8:9], s[8:9], exec
	s_or_b64 s[0:1], s[0:1], s[8:9]
	s_or_b64 exec, exec, s[2:3]
	v_mov_b32_e32 v11, s6
	s_and_saveexec_b64 s[2:3], s[0:1]
	s_cbranch_execz .LBB76_65
.LBB76_324:
	ds_read_u8 v11, v5 offset:1028
	s_waitcnt lgkmcnt(0)
	v_xor_b32_e32 v11, 1, v11
	s_or_b64 exec, exec, s[2:3]
	v_cmp_eq_u32_e32 vcc, v11, v8
	s_and_saveexec_b64 s[0:1], vcc
	s_cbranch_execnz .LBB76_66
	s_branch .LBB76_67
.LBB76_325:
	ds_read_u8 v11, v4 offset:1024
	s_andn2_b64 s[0:1], s[0:1], exec
	s_waitcnt lgkmcnt(0)
	v_and_b32_e32 v11, 1, v11
	v_cmp_eq_u32_e32 vcc, 1, v11
	s_xor_b64 s[8:9], vcc, -1
	s_and_b64 s[8:9], s[8:9], exec
	s_or_b64 s[0:1], s[0:1], s[8:9]
	s_or_b64 exec, exec, s[2:3]
	v_mov_b32_e32 v11, s6
	s_and_saveexec_b64 s[2:3], s[0:1]
	s_cbranch_execz .LBB76_69
.LBB76_326:
	ds_read_u8 v11, v4 offset:1026
	s_waitcnt lgkmcnt(0)
	v_xor_b32_e32 v11, 1, v11
	s_or_b64 exec, exec, s[2:3]
	v_cmp_eq_u32_e32 vcc, v11, v8
	s_and_saveexec_b64 s[0:1], vcc
	s_cbranch_execnz .LBB76_70
	s_branch .LBB76_71
.LBB76_327:
	ds_read_u8 v11, v1 offset:1024
	s_andn2_b64 s[0:1], s[0:1], exec
	s_mov_b32 s6, 1
	s_waitcnt lgkmcnt(0)
	v_and_b32_e32 v11, 1, v11
	v_cmp_eq_u32_e32 vcc, 1, v11
	s_xor_b64 s[8:9], vcc, -1
	s_and_b64 s[8:9], s[8:9], exec
	s_or_b64 s[0:1], s[0:1], s[8:9]
	s_or_b64 exec, exec, s[2:3]
	v_mov_b32_e32 v11, s6
	s_and_saveexec_b64 s[2:3], s[0:1]
	s_cbranch_execz .LBB76_73
.LBB76_328:
	ds_read_u8 v11, v3 offset:1025
	s_waitcnt lgkmcnt(0)
	v_xor_b32_e32 v11, 1, v11
	s_or_b64 exec, exec, s[2:3]
	v_cmp_eq_u32_e32 vcc, v11, v8
	s_and_saveexec_b64 s[0:1], vcc
	s_cbranch_execnz .LBB76_74
	s_branch .LBB76_75
.LBB76_329:
	ds_read_u8 v12, v7 offset:1024
	s_andn2_b64 s[0:1], s[0:1], exec
	s_waitcnt lgkmcnt(0)
	v_and_b32_e32 v12, 1, v12
	v_cmp_eq_u32_e32 vcc, 1, v12
	s_xor_b64 s[8:9], vcc, -1
	s_and_b64 s[8:9], s[8:9], exec
	s_or_b64 s[0:1], s[0:1], s[8:9]
	s_or_b64 exec, exec, s[2:3]
	v_mov_b32_e32 v12, s6
	s_and_saveexec_b64 s[2:3], s[0:1]
	s_cbranch_execz .LBB76_83
.LBB76_330:
	ds_read_u8 v12, v7 offset:1040
	s_waitcnt lgkmcnt(0)
	v_xor_b32_e32 v12, 1, v12
	s_or_b64 exec, exec, s[2:3]
	v_cmp_eq_u32_e32 vcc, v12, v8
	s_and_saveexec_b64 s[0:1], vcc
	s_cbranch_execnz .LBB76_84
	s_branch .LBB76_85
.LBB76_331:
	ds_read_u8 v12, v6 offset:1024
	s_andn2_b64 s[0:1], s[0:1], exec
	s_waitcnt lgkmcnt(0)
	v_and_b32_e32 v12, 1, v12
	v_cmp_eq_u32_e32 vcc, 1, v12
	s_xor_b64 s[8:9], vcc, -1
	s_and_b64 s[8:9], s[8:9], exec
	s_or_b64 s[0:1], s[0:1], s[8:9]
	s_or_b64 exec, exec, s[2:3]
	v_mov_b32_e32 v12, s6
	s_and_saveexec_b64 s[2:3], s[0:1]
	s_cbranch_execz .LBB76_87
.LBB76_332:
	ds_read_u8 v12, v6 offset:1032
	s_waitcnt lgkmcnt(0)
	v_xor_b32_e32 v12, 1, v12
	s_or_b64 exec, exec, s[2:3]
	v_cmp_eq_u32_e32 vcc, v12, v8
	s_and_saveexec_b64 s[0:1], vcc
	s_cbranch_execnz .LBB76_88
	s_branch .LBB76_89
.LBB76_333:
	ds_read_u8 v12, v5 offset:1024
	s_andn2_b64 s[0:1], s[0:1], exec
	s_waitcnt lgkmcnt(0)
	v_and_b32_e32 v12, 1, v12
	v_cmp_eq_u32_e32 vcc, 1, v12
	s_xor_b64 s[8:9], vcc, -1
	s_and_b64 s[8:9], s[8:9], exec
	s_or_b64 s[0:1], s[0:1], s[8:9]
	s_or_b64 exec, exec, s[2:3]
	v_mov_b32_e32 v12, s6
	s_and_saveexec_b64 s[2:3], s[0:1]
	s_cbranch_execz .LBB76_91
.LBB76_334:
	ds_read_u8 v12, v5 offset:1028
	s_waitcnt lgkmcnt(0)
	v_xor_b32_e32 v12, 1, v12
	s_or_b64 exec, exec, s[2:3]
	v_cmp_eq_u32_e32 vcc, v12, v8
	s_and_saveexec_b64 s[0:1], vcc
	s_cbranch_execnz .LBB76_92
	s_branch .LBB76_93
.LBB76_335:
	ds_read_u8 v12, v4 offset:1024
	s_andn2_b64 s[0:1], s[0:1], exec
	s_waitcnt lgkmcnt(0)
	v_and_b32_e32 v12, 1, v12
	v_cmp_eq_u32_e32 vcc, 1, v12
	s_xor_b64 s[8:9], vcc, -1
	s_and_b64 s[8:9], s[8:9], exec
	s_or_b64 s[0:1], s[0:1], s[8:9]
	s_or_b64 exec, exec, s[2:3]
	v_mov_b32_e32 v12, s6
	s_and_saveexec_b64 s[2:3], s[0:1]
	s_cbranch_execz .LBB76_95
.LBB76_336:
	ds_read_u8 v12, v4 offset:1026
	s_waitcnt lgkmcnt(0)
	v_xor_b32_e32 v12, 1, v12
	s_or_b64 exec, exec, s[2:3]
	v_cmp_eq_u32_e32 vcc, v12, v8
	s_and_saveexec_b64 s[0:1], vcc
	s_cbranch_execnz .LBB76_96
	s_branch .LBB76_97
.LBB76_337:
	ds_read_u8 v12, v1 offset:1024
	s_andn2_b64 s[0:1], s[0:1], exec
	s_mov_b32 s6, 1
	s_waitcnt lgkmcnt(0)
	v_and_b32_e32 v12, 1, v12
	v_cmp_eq_u32_e32 vcc, 1, v12
	s_xor_b64 s[8:9], vcc, -1
	s_and_b64 s[8:9], s[8:9], exec
	s_or_b64 s[0:1], s[0:1], s[8:9]
	s_or_b64 exec, exec, s[2:3]
	v_mov_b32_e32 v12, s6
	s_and_saveexec_b64 s[2:3], s[0:1]
	s_cbranch_execz .LBB76_99
.LBB76_338:
	ds_read_u8 v12, v3 offset:1025
	s_waitcnt lgkmcnt(0)
	v_xor_b32_e32 v12, 1, v12
	s_or_b64 exec, exec, s[2:3]
	v_cmp_eq_u32_e32 vcc, v12, v8
	s_and_saveexec_b64 s[0:1], vcc
	s_cbranch_execnz .LBB76_100
	s_branch .LBB76_101
.LBB76_339:
	ds_read_u8 v14, v9 offset:1024
	s_andn2_b64 s[0:1], s[0:1], exec
	s_waitcnt lgkmcnt(0)
	v_and_b32_e32 v14, 1, v14
	v_cmp_eq_u32_e32 vcc, 1, v14
	s_xor_b64 s[8:9], vcc, -1
	s_and_b64 s[8:9], s[8:9], exec
	s_or_b64 s[0:1], s[0:1], s[8:9]
	s_or_b64 exec, exec, s[2:3]
	v_mov_b32_e32 v14, s6
	s_and_saveexec_b64 s[2:3], s[0:1]
	s_cbranch_execz .LBB76_109
.LBB76_340:
	ds_read_u8 v14, v9 offset:1056
	s_waitcnt lgkmcnt(0)
	v_xor_b32_e32 v14, 1, v14
	s_or_b64 exec, exec, s[2:3]
	v_cmp_eq_u32_e32 vcc, v14, v11
	s_and_saveexec_b64 s[0:1], vcc
	s_cbranch_execnz .LBB76_110
	s_branch .LBB76_111
.LBB76_341:
	ds_read_u8 v14, v7 offset:1024
	s_andn2_b64 s[0:1], s[0:1], exec
	s_waitcnt lgkmcnt(0)
	v_and_b32_e32 v14, 1, v14
	v_cmp_eq_u32_e32 vcc, 1, v14
	s_xor_b64 s[8:9], vcc, -1
	s_and_b64 s[8:9], s[8:9], exec
	s_or_b64 s[0:1], s[0:1], s[8:9]
	s_or_b64 exec, exec, s[2:3]
	v_mov_b32_e32 v14, s6
	s_and_saveexec_b64 s[2:3], s[0:1]
	s_cbranch_execz .LBB76_113
.LBB76_342:
	ds_read_u8 v14, v7 offset:1040
	s_waitcnt lgkmcnt(0)
	v_xor_b32_e32 v14, 1, v14
	s_or_b64 exec, exec, s[2:3]
	v_cmp_eq_u32_e32 vcc, v14, v11
	s_and_saveexec_b64 s[0:1], vcc
	s_cbranch_execnz .LBB76_114
	s_branch .LBB76_115
.LBB76_343:
	ds_read_u8 v14, v6 offset:1024
	s_andn2_b64 s[0:1], s[0:1], exec
	s_waitcnt lgkmcnt(0)
	v_and_b32_e32 v14, 1, v14
	v_cmp_eq_u32_e32 vcc, 1, v14
	s_xor_b64 s[8:9], vcc, -1
	s_and_b64 s[8:9], s[8:9], exec
	s_or_b64 s[0:1], s[0:1], s[8:9]
	s_or_b64 exec, exec, s[2:3]
	v_mov_b32_e32 v14, s6
	s_and_saveexec_b64 s[2:3], s[0:1]
	s_cbranch_execz .LBB76_117
.LBB76_344:
	ds_read_u8 v14, v6 offset:1032
	s_waitcnt lgkmcnt(0)
	v_xor_b32_e32 v14, 1, v14
	s_or_b64 exec, exec, s[2:3]
	v_cmp_eq_u32_e32 vcc, v14, v11
	s_and_saveexec_b64 s[0:1], vcc
	s_cbranch_execnz .LBB76_118
	s_branch .LBB76_119
.LBB76_345:
	ds_read_u8 v14, v5 offset:1024
	s_andn2_b64 s[0:1], s[0:1], exec
	s_waitcnt lgkmcnt(0)
	v_and_b32_e32 v14, 1, v14
	v_cmp_eq_u32_e32 vcc, 1, v14
	s_xor_b64 s[8:9], vcc, -1
	s_and_b64 s[8:9], s[8:9], exec
	s_or_b64 s[0:1], s[0:1], s[8:9]
	s_or_b64 exec, exec, s[2:3]
	v_mov_b32_e32 v14, s6
	s_and_saveexec_b64 s[2:3], s[0:1]
	s_cbranch_execz .LBB76_121
.LBB76_346:
	ds_read_u8 v14, v5 offset:1028
	s_waitcnt lgkmcnt(0)
	v_xor_b32_e32 v14, 1, v14
	s_or_b64 exec, exec, s[2:3]
	v_cmp_eq_u32_e32 vcc, v14, v11
	s_and_saveexec_b64 s[0:1], vcc
	s_cbranch_execnz .LBB76_122
	s_branch .LBB76_123
.LBB76_347:
	ds_read_u8 v14, v4 offset:1024
	s_andn2_b64 s[0:1], s[0:1], exec
	s_waitcnt lgkmcnt(0)
	v_and_b32_e32 v14, 1, v14
	v_cmp_eq_u32_e32 vcc, 1, v14
	s_xor_b64 s[8:9], vcc, -1
	s_and_b64 s[8:9], s[8:9], exec
	s_or_b64 s[0:1], s[0:1], s[8:9]
	s_or_b64 exec, exec, s[2:3]
	v_mov_b32_e32 v14, s6
	s_and_saveexec_b64 s[2:3], s[0:1]
	s_cbranch_execz .LBB76_125
.LBB76_348:
	ds_read_u8 v14, v4 offset:1026
	s_waitcnt lgkmcnt(0)
	v_xor_b32_e32 v14, 1, v14
	s_or_b64 exec, exec, s[2:3]
	v_cmp_eq_u32_e32 vcc, v14, v11
	s_and_saveexec_b64 s[0:1], vcc
	s_cbranch_execnz .LBB76_126
	s_branch .LBB76_127
.LBB76_349:
	ds_read_u8 v14, v1 offset:1024
	s_andn2_b64 s[0:1], s[0:1], exec
	s_mov_b32 s6, 1
	s_waitcnt lgkmcnt(0)
	v_and_b32_e32 v14, 1, v14
	v_cmp_eq_u32_e32 vcc, 1, v14
	s_xor_b64 s[8:9], vcc, -1
	s_and_b64 s[8:9], s[8:9], exec
	s_or_b64 s[0:1], s[0:1], s[8:9]
	s_or_b64 exec, exec, s[2:3]
	v_mov_b32_e32 v14, s6
	s_and_saveexec_b64 s[2:3], s[0:1]
	s_cbranch_execz .LBB76_129
.LBB76_350:
	ds_read_u8 v14, v3 offset:1025
	s_waitcnt lgkmcnt(0)
	v_xor_b32_e32 v14, 1, v14
	s_or_b64 exec, exec, s[2:3]
	v_cmp_eq_u32_e32 vcc, v14, v11
	s_and_saveexec_b64 s[0:1], vcc
	s_cbranch_execnz .LBB76_130
	s_branch .LBB76_131
.LBB76_351:
	ds_read_u8 v15, v10 offset:1024
	s_andn2_b64 s[0:1], s[0:1], exec
	s_waitcnt lgkmcnt(0)
	v_and_b32_e32 v15, 1, v15
	v_cmp_eq_u32_e32 vcc, 1, v15
	s_xor_b64 s[8:9], vcc, -1
	s_and_b64 s[8:9], s[8:9], exec
	s_or_b64 s[0:1], s[0:1], s[8:9]
	s_or_b64 exec, exec, s[2:3]
	v_mov_b32_e32 v15, s6
	s_and_saveexec_b64 s[2:3], s[0:1]
	s_cbranch_execz .LBB76_139
.LBB76_352:
	ds_read_u8 v15, v10 offset:1088
	s_waitcnt lgkmcnt(0)
	v_xor_b32_e32 v15, 1, v15
	s_or_b64 exec, exec, s[2:3]
	v_cmp_eq_u32_e32 vcc, v15, v12
	s_and_saveexec_b64 s[0:1], vcc
	s_cbranch_execnz .LBB76_140
	s_branch .LBB76_141
.LBB76_353:
	ds_read_u8 v15, v9 offset:1024
	s_andn2_b64 s[0:1], s[0:1], exec
	s_waitcnt lgkmcnt(0)
	v_and_b32_e32 v15, 1, v15
	v_cmp_eq_u32_e32 vcc, 1, v15
	s_xor_b64 s[8:9], vcc, -1
	s_and_b64 s[8:9], s[8:9], exec
	s_or_b64 s[0:1], s[0:1], s[8:9]
	s_or_b64 exec, exec, s[2:3]
	v_mov_b32_e32 v15, s6
	s_and_saveexec_b64 s[2:3], s[0:1]
	s_cbranch_execz .LBB76_143
.LBB76_354:
	ds_read_u8 v15, v9 offset:1056
	s_waitcnt lgkmcnt(0)
	v_xor_b32_e32 v15, 1, v15
	s_or_b64 exec, exec, s[2:3]
	v_cmp_eq_u32_e32 vcc, v15, v12
	s_and_saveexec_b64 s[0:1], vcc
	s_cbranch_execnz .LBB76_144
	s_branch .LBB76_145
.LBB76_355:
	ds_read_u8 v15, v7 offset:1024
	s_andn2_b64 s[0:1], s[0:1], exec
	s_waitcnt lgkmcnt(0)
	v_and_b32_e32 v15, 1, v15
	v_cmp_eq_u32_e32 vcc, 1, v15
	s_xor_b64 s[8:9], vcc, -1
	s_and_b64 s[8:9], s[8:9], exec
	s_or_b64 s[0:1], s[0:1], s[8:9]
	s_or_b64 exec, exec, s[2:3]
	v_mov_b32_e32 v15, s6
	s_and_saveexec_b64 s[2:3], s[0:1]
	s_cbranch_execz .LBB76_147
.LBB76_356:
	ds_read_u8 v15, v7 offset:1040
	s_waitcnt lgkmcnt(0)
	v_xor_b32_e32 v15, 1, v15
	s_or_b64 exec, exec, s[2:3]
	v_cmp_eq_u32_e32 vcc, v15, v12
	s_and_saveexec_b64 s[0:1], vcc
	s_cbranch_execnz .LBB76_148
	s_branch .LBB76_149
.LBB76_357:
	ds_read_u8 v15, v6 offset:1024
	s_andn2_b64 s[0:1], s[0:1], exec
	s_waitcnt lgkmcnt(0)
	v_and_b32_e32 v15, 1, v15
	v_cmp_eq_u32_e32 vcc, 1, v15
	s_xor_b64 s[8:9], vcc, -1
	s_and_b64 s[8:9], s[8:9], exec
	s_or_b64 s[0:1], s[0:1], s[8:9]
	s_or_b64 exec, exec, s[2:3]
	v_mov_b32_e32 v15, s6
	s_and_saveexec_b64 s[2:3], s[0:1]
	s_cbranch_execz .LBB76_151
.LBB76_358:
	ds_read_u8 v15, v6 offset:1032
	s_waitcnt lgkmcnt(0)
	v_xor_b32_e32 v15, 1, v15
	s_or_b64 exec, exec, s[2:3]
	v_cmp_eq_u32_e32 vcc, v15, v12
	s_and_saveexec_b64 s[0:1], vcc
	s_cbranch_execnz .LBB76_152
	s_branch .LBB76_153
.LBB76_359:
	ds_read_u8 v15, v5 offset:1024
	s_andn2_b64 s[0:1], s[0:1], exec
	s_waitcnt lgkmcnt(0)
	v_and_b32_e32 v15, 1, v15
	v_cmp_eq_u32_e32 vcc, 1, v15
	s_xor_b64 s[8:9], vcc, -1
	s_and_b64 s[8:9], s[8:9], exec
	s_or_b64 s[0:1], s[0:1], s[8:9]
	s_or_b64 exec, exec, s[2:3]
	v_mov_b32_e32 v15, s6
	s_and_saveexec_b64 s[2:3], s[0:1]
	s_cbranch_execz .LBB76_155
.LBB76_360:
	ds_read_u8 v15, v5 offset:1028
	s_waitcnt lgkmcnt(0)
	v_xor_b32_e32 v15, 1, v15
	s_or_b64 exec, exec, s[2:3]
	v_cmp_eq_u32_e32 vcc, v15, v12
	s_and_saveexec_b64 s[0:1], vcc
	s_cbranch_execnz .LBB76_156
	s_branch .LBB76_157
.LBB76_361:
	ds_read_u8 v15, v4 offset:1024
	s_andn2_b64 s[0:1], s[0:1], exec
	s_waitcnt lgkmcnt(0)
	v_and_b32_e32 v15, 1, v15
	v_cmp_eq_u32_e32 vcc, 1, v15
	s_xor_b64 s[8:9], vcc, -1
	s_and_b64 s[8:9], s[8:9], exec
	s_or_b64 s[0:1], s[0:1], s[8:9]
	s_or_b64 exec, exec, s[2:3]
	v_mov_b32_e32 v15, s6
	s_and_saveexec_b64 s[2:3], s[0:1]
	s_cbranch_execz .LBB76_159
.LBB76_362:
	ds_read_u8 v15, v4 offset:1026
	s_waitcnt lgkmcnt(0)
	v_xor_b32_e32 v15, 1, v15
	s_or_b64 exec, exec, s[2:3]
	v_cmp_eq_u32_e32 vcc, v15, v12
	s_and_saveexec_b64 s[0:1], vcc
	s_cbranch_execnz .LBB76_160
	s_branch .LBB76_161
.LBB76_363:
	ds_read_u8 v15, v1 offset:1024
	s_andn2_b64 s[0:1], s[0:1], exec
	s_mov_b32 s6, 1
	s_waitcnt lgkmcnt(0)
	v_and_b32_e32 v15, 1, v15
	v_cmp_eq_u32_e32 vcc, 1, v15
	s_xor_b64 s[8:9], vcc, -1
	s_and_b64 s[8:9], s[8:9], exec
	s_or_b64 s[0:1], s[0:1], s[8:9]
	s_or_b64 exec, exec, s[2:3]
	v_mov_b32_e32 v15, s6
	s_and_saveexec_b64 s[2:3], s[0:1]
	s_cbranch_execz .LBB76_163
.LBB76_364:
	ds_read_u8 v15, v3 offset:1025
	s_waitcnt lgkmcnt(0)
	v_xor_b32_e32 v15, 1, v15
	s_or_b64 exec, exec, s[2:3]
	v_cmp_eq_u32_e32 vcc, v15, v12
	s_and_saveexec_b64 s[0:1], vcc
	s_cbranch_execnz .LBB76_164
	s_branch .LBB76_165
.LBB76_365:
	ds_read_u8 v16, v11 offset:1024
	s_andn2_b64 s[0:1], s[0:1], exec
	s_waitcnt lgkmcnt(0)
	v_and_b32_e32 v16, 1, v16
	v_cmp_eq_u32_e32 vcc, 1, v16
	s_xor_b64 s[8:9], vcc, -1
	s_and_b64 s[8:9], s[8:9], exec
	s_or_b64 s[0:1], s[0:1], s[8:9]
	s_or_b64 exec, exec, s[2:3]
	v_mov_b32_e32 v16, s6
	s_and_saveexec_b64 s[2:3], s[0:1]
	s_cbranch_execz .LBB76_173
.LBB76_366:
	ds_read_u8 v16, v11 offset:1152
	s_waitcnt lgkmcnt(0)
	v_xor_b32_e32 v16, 1, v16
	s_or_b64 exec, exec, s[2:3]
	v_cmp_eq_u32_e32 vcc, v16, v13
	s_and_saveexec_b64 s[0:1], vcc
	s_cbranch_execnz .LBB76_174
	s_branch .LBB76_175
.LBB76_367:
	ds_read_u8 v16, v10 offset:1024
	s_andn2_b64 s[0:1], s[0:1], exec
	s_waitcnt lgkmcnt(0)
	v_and_b32_e32 v16, 1, v16
	v_cmp_eq_u32_e32 vcc, 1, v16
	s_xor_b64 s[8:9], vcc, -1
	s_and_b64 s[8:9], s[8:9], exec
	s_or_b64 s[0:1], s[0:1], s[8:9]
	s_or_b64 exec, exec, s[2:3]
	v_mov_b32_e32 v16, s6
	s_and_saveexec_b64 s[2:3], s[0:1]
	s_cbranch_execz .LBB76_177
.LBB76_368:
	ds_read_u8 v16, v10 offset:1088
	s_waitcnt lgkmcnt(0)
	v_xor_b32_e32 v16, 1, v16
	s_or_b64 exec, exec, s[2:3]
	v_cmp_eq_u32_e32 vcc, v16, v13
	s_and_saveexec_b64 s[0:1], vcc
	s_cbranch_execnz .LBB76_178
	s_branch .LBB76_179
.LBB76_369:
	ds_read_u8 v16, v9 offset:1024
	s_andn2_b64 s[0:1], s[0:1], exec
	s_waitcnt lgkmcnt(0)
	v_and_b32_e32 v16, 1, v16
	v_cmp_eq_u32_e32 vcc, 1, v16
	s_xor_b64 s[8:9], vcc, -1
	s_and_b64 s[8:9], s[8:9], exec
	s_or_b64 s[0:1], s[0:1], s[8:9]
	s_or_b64 exec, exec, s[2:3]
	v_mov_b32_e32 v16, s6
	s_and_saveexec_b64 s[2:3], s[0:1]
	s_cbranch_execz .LBB76_181
.LBB76_370:
	ds_read_u8 v16, v9 offset:1056
	s_waitcnt lgkmcnt(0)
	v_xor_b32_e32 v16, 1, v16
	s_or_b64 exec, exec, s[2:3]
	v_cmp_eq_u32_e32 vcc, v16, v13
	s_and_saveexec_b64 s[0:1], vcc
	s_cbranch_execnz .LBB76_182
	s_branch .LBB76_183
.LBB76_371:
	ds_read_u8 v16, v7 offset:1024
	s_andn2_b64 s[0:1], s[0:1], exec
	s_waitcnt lgkmcnt(0)
	v_and_b32_e32 v16, 1, v16
	v_cmp_eq_u32_e32 vcc, 1, v16
	s_xor_b64 s[8:9], vcc, -1
	s_and_b64 s[8:9], s[8:9], exec
	s_or_b64 s[0:1], s[0:1], s[8:9]
	s_or_b64 exec, exec, s[2:3]
	v_mov_b32_e32 v16, s6
	s_and_saveexec_b64 s[2:3], s[0:1]
	s_cbranch_execz .LBB76_185
.LBB76_372:
	ds_read_u8 v16, v7 offset:1040
	s_waitcnt lgkmcnt(0)
	v_xor_b32_e32 v16, 1, v16
	s_or_b64 exec, exec, s[2:3]
	v_cmp_eq_u32_e32 vcc, v16, v13
	s_and_saveexec_b64 s[0:1], vcc
	s_cbranch_execnz .LBB76_186
	s_branch .LBB76_187
.LBB76_373:
	ds_read_u8 v16, v6 offset:1024
	s_andn2_b64 s[0:1], s[0:1], exec
	s_waitcnt lgkmcnt(0)
	v_and_b32_e32 v16, 1, v16
	v_cmp_eq_u32_e32 vcc, 1, v16
	s_xor_b64 s[8:9], vcc, -1
	s_and_b64 s[8:9], s[8:9], exec
	s_or_b64 s[0:1], s[0:1], s[8:9]
	s_or_b64 exec, exec, s[2:3]
	v_mov_b32_e32 v16, s6
	s_and_saveexec_b64 s[2:3], s[0:1]
	s_cbranch_execz .LBB76_189
.LBB76_374:
	ds_read_u8 v16, v6 offset:1032
	s_waitcnt lgkmcnt(0)
	v_xor_b32_e32 v16, 1, v16
	s_or_b64 exec, exec, s[2:3]
	v_cmp_eq_u32_e32 vcc, v16, v13
	s_and_saveexec_b64 s[0:1], vcc
	s_cbranch_execnz .LBB76_190
	s_branch .LBB76_191
.LBB76_375:
	ds_read_u8 v16, v5 offset:1024
	s_andn2_b64 s[0:1], s[0:1], exec
	s_waitcnt lgkmcnt(0)
	v_and_b32_e32 v16, 1, v16
	v_cmp_eq_u32_e32 vcc, 1, v16
	s_xor_b64 s[8:9], vcc, -1
	s_and_b64 s[8:9], s[8:9], exec
	s_or_b64 s[0:1], s[0:1], s[8:9]
	s_or_b64 exec, exec, s[2:3]
	v_mov_b32_e32 v16, s6
	s_and_saveexec_b64 s[2:3], s[0:1]
	s_cbranch_execz .LBB76_193
.LBB76_376:
	ds_read_u8 v16, v5 offset:1028
	s_waitcnt lgkmcnt(0)
	v_xor_b32_e32 v16, 1, v16
	s_or_b64 exec, exec, s[2:3]
	v_cmp_eq_u32_e32 vcc, v16, v13
	s_and_saveexec_b64 s[0:1], vcc
	s_cbranch_execnz .LBB76_194
	s_branch .LBB76_195
.LBB76_377:
	ds_read_u8 v16, v4 offset:1024
	s_andn2_b64 s[0:1], s[0:1], exec
	s_waitcnt lgkmcnt(0)
	v_and_b32_e32 v16, 1, v16
	v_cmp_eq_u32_e32 vcc, 1, v16
	s_xor_b64 s[8:9], vcc, -1
	s_and_b64 s[8:9], s[8:9], exec
	s_or_b64 s[0:1], s[0:1], s[8:9]
	s_or_b64 exec, exec, s[2:3]
	v_mov_b32_e32 v16, s6
	s_and_saveexec_b64 s[2:3], s[0:1]
	s_cbranch_execz .LBB76_197
.LBB76_378:
	ds_read_u8 v16, v4 offset:1026
	s_waitcnt lgkmcnt(0)
	v_xor_b32_e32 v16, 1, v16
	s_or_b64 exec, exec, s[2:3]
	v_cmp_eq_u32_e32 vcc, v16, v13
	s_and_saveexec_b64 s[0:1], vcc
	s_cbranch_execnz .LBB76_198
	s_branch .LBB76_199
.LBB76_379:
	ds_read_u8 v16, v1 offset:1024
	s_andn2_b64 s[0:1], s[0:1], exec
	s_mov_b32 s6, 1
	s_waitcnt lgkmcnt(0)
	v_and_b32_e32 v16, 1, v16
	v_cmp_eq_u32_e32 vcc, 1, v16
	s_xor_b64 s[8:9], vcc, -1
	s_and_b64 s[8:9], s[8:9], exec
	s_or_b64 s[0:1], s[0:1], s[8:9]
	s_or_b64 exec, exec, s[2:3]
	v_mov_b32_e32 v16, s6
	s_and_saveexec_b64 s[2:3], s[0:1]
	s_cbranch_execz .LBB76_201
.LBB76_380:
	ds_read_u8 v16, v3 offset:1025
	s_waitcnt lgkmcnt(0)
	v_xor_b32_e32 v16, 1, v16
	s_or_b64 exec, exec, s[2:3]
	v_cmp_eq_u32_e32 vcc, v16, v13
	s_and_saveexec_b64 s[0:1], vcc
	s_cbranch_execnz .LBB76_202
	s_branch .LBB76_203
.LBB76_381:
	ds_read_u8 v16, v13 offset:1024
	s_andn2_b64 s[0:1], s[0:1], exec
	s_waitcnt lgkmcnt(0)
	v_and_b32_e32 v16, 1, v16
	v_cmp_eq_u32_e32 vcc, 1, v16
	s_xor_b64 s[8:9], vcc, -1
	s_and_b64 s[8:9], s[8:9], exec
	s_or_b64 s[0:1], s[0:1], s[8:9]
	s_or_b64 exec, exec, s[2:3]
	v_mov_b32_e32 v16, s6
	s_and_saveexec_b64 s[2:3], s[0:1]
	s_cbranch_execz .LBB76_205
.LBB76_382:
	ds_read_u8 v16, v13 offset:1536
	s_waitcnt lgkmcnt(0)
	v_xor_b32_e32 v16, 1, v16
	s_or_b64 exec, exec, s[2:3]
	v_cmp_eq_u32_e32 vcc, 0, v16
	s_and_saveexec_b64 s[0:1], vcc
	s_cbranch_execnz .LBB76_206
	s_branch .LBB76_207
.LBB76_383:
	ds_read_u8 v15, v12 offset:1024
	s_andn2_b64 s[0:1], s[0:1], exec
	s_waitcnt lgkmcnt(0)
	v_and_b32_e32 v15, 1, v15
	v_cmp_eq_u32_e32 vcc, 1, v15
	s_xor_b64 s[8:9], vcc, -1
	s_and_b64 s[8:9], s[8:9], exec
	s_or_b64 s[0:1], s[0:1], s[8:9]
	s_or_b64 exec, exec, s[2:3]
	v_mov_b32_e32 v15, s6
	s_and_saveexec_b64 s[2:3], s[0:1]
	s_cbranch_execz .LBB76_209
.LBB76_384:
	ds_read_u8 v15, v12 offset:1280
	s_waitcnt lgkmcnt(0)
	v_xor_b32_e32 v15, 1, v15
	s_or_b64 exec, exec, s[2:3]
	v_cmp_eq_u32_e32 vcc, 0, v15
	s_and_saveexec_b64 s[0:1], vcc
	s_cbranch_execnz .LBB76_210
	s_branch .LBB76_211
.LBB76_385:
	ds_read_u8 v14, v11 offset:1024
	s_andn2_b64 s[0:1], s[0:1], exec
	s_waitcnt lgkmcnt(0)
	v_and_b32_e32 v14, 1, v14
	v_cmp_eq_u32_e32 vcc, 1, v14
	s_xor_b64 s[8:9], vcc, -1
	s_and_b64 s[8:9], s[8:9], exec
	s_or_b64 s[0:1], s[0:1], s[8:9]
	s_or_b64 exec, exec, s[2:3]
	v_mov_b32_e32 v14, s6
	s_and_saveexec_b64 s[2:3], s[0:1]
	s_cbranch_execz .LBB76_213
.LBB76_386:
	ds_read_u8 v14, v11 offset:1152
	s_waitcnt lgkmcnt(0)
	v_xor_b32_e32 v14, 1, v14
	s_or_b64 exec, exec, s[2:3]
	v_cmp_eq_u32_e32 vcc, 0, v14
	s_and_saveexec_b64 s[0:1], vcc
	s_cbranch_execnz .LBB76_214
	s_branch .LBB76_215
.LBB76_387:
	ds_read_b32 v5, v14 offset:1024
	s_or_b64 exec, exec, s[12:13]
	s_and_saveexec_b64 s[12:13], s[10:11]
	s_cbranch_execz .LBB76_296
.LBB76_388:
	ds_read_b32 v3, v14 offset:1028
	s_or_b64 exec, exec, s[12:13]
	s_and_saveexec_b64 s[20:21], s[0:1]
	s_cbranch_execz .LBB76_297
.LBB76_389:
	s_waitcnt lgkmcnt(0)
	ds_bpermute_b32 v6, v1, v5
	ds_bpermute_b32 v7, v1, v3
	s_waitcnt lgkmcnt(1)
	v_max_u32_e32 v15, v6, v5
	v_cmp_gt_u32_e64 s[12:13], v6, v5
	ds_bpermute_b32 v16, v9, v15
	s_waitcnt lgkmcnt(1)
	v_cndmask_b32_e64 v3, v3, v7, s[12:13]
	ds_bpermute_b32 v5, v9, v3
	s_waitcnt lgkmcnt(1)
	v_max_u32_e32 v6, v16, v15
	v_cmp_gt_u32_e64 s[12:13], v16, v15
	ds_bpermute_b32 v7, v10, v6
	s_waitcnt lgkmcnt(1)
	v_cndmask_b32_e64 v3, v3, v5, s[12:13]
	;; [unrolled: 7-line block ×4, first 2 shown]
	ds_bpermute_b32 v5, v12, v3
	s_waitcnt lgkmcnt(1)
	v_max_u32_e32 v15, v7, v6
	v_cmp_gt_u32_e64 s[12:13], v7, v6
	s_waitcnt lgkmcnt(0)
	v_cndmask_b32_e64 v3, v3, v5, s[12:13]
	ds_bpermute_b32 v5, v13, v15
	ds_bpermute_b32 v6, v13, v3
	s_waitcnt lgkmcnt(1)
	v_cmp_gt_u32_e64 s[12:13], v5, v15
	s_waitcnt lgkmcnt(0)
	v_cndmask_b32_e64 v3, v3, v6, s[12:13]
	s_or_b64 exec, exec, s[20:21]
	s_and_saveexec_b64 s[12:13], vcc
	s_cbranch_execnz .LBB76_298
	s_branch .LBB76_299
.LBB76_390:
	v_lshlrev_b32_e32 v0, 2, v8
	v_sub_u32_e32 v0, v14, v0
	ds_read_b32 v0, v0
	s_or_b64 exec, exec, s[2:3]
	s_and_saveexec_b64 s[2:3], s[0:1]
	s_cbranch_execz .LBB76_307
.LBB76_391:
	s_waitcnt lgkmcnt(0)
	ds_bpermute_b32 v1, v1, v0
	s_waitcnt lgkmcnt(0)
	v_max_u32_e32 v0, v1, v0
	ds_bpermute_b32 v1, v9, v0
	s_waitcnt lgkmcnt(0)
	v_max_u32_e32 v0, v1, v0
	;; [unrolled: 3-line block ×6, first 2 shown]
	s_or_b64 exec, exec, s[2:3]
	s_and_saveexec_b64 s[0:1], vcc
	s_cbranch_execz .LBB76_308
.LBB76_392:
	s_load_dword s6, s[4:5], 0xd8
	s_load_dwordx2 s[0:1], s[4:5], 0xe0
	s_add_u32 s2, s4, 8
	s_addc_u32 s3, s5, 0
	s_mov_b32 s5, 0
	s_waitcnt lgkmcnt(0)
	s_cmp_lt_i32 s6, 2
	s_cbranch_scc1 .LBB76_395
; %bb.393:
	s_add_i32 s4, s6, -1
	s_add_i32 s8, s6, 1
	s_lshl_b64 s[6:7], s[4:5], 2
	s_add_u32 s4, s6, s2
	s_addc_u32 s7, s7, s3
	s_add_u32 s6, s4, 8
	s_addc_u32 s7, s7, 0
.LBB76_394:                             ; =>This Inner Loop Header: Depth=1
	s_load_dword s4, s[6:7], 0x0
	s_load_dword s10, s[6:7], 0x64
	s_mov_b32 s9, s14
	s_waitcnt lgkmcnt(0)
	v_cvt_f32_u32_e32 v1, s4
	s_sub_i32 s11, 0, s4
	v_rcp_iflag_f32_e32 v1, v1
	v_mul_f32_e32 v1, 0x4f7ffffe, v1
	v_cvt_u32_f32_e32 v1, v1
	v_readfirstlane_b32 s12, v1
	s_mul_i32 s11, s11, s12
	s_mul_hi_u32 s11, s12, s11
	s_add_i32 s12, s12, s11
	s_mul_hi_u32 s11, s14, s12
	s_mul_i32 s12, s11, s4
	s_sub_i32 s12, s14, s12
	s_add_i32 s13, s11, 1
	s_sub_i32 s14, s12, s4
	s_cmp_ge_u32 s12, s4
	s_cselect_b32 s11, s13, s11
	s_cselect_b32 s12, s14, s12
	s_add_i32 s13, s11, 1
	s_cmp_ge_u32 s12, s4
	s_cselect_b32 s14, s13, s11
	s_mul_i32 s4, s14, s4
	s_sub_i32 s4, s9, s4
	s_mul_i32 s4, s10, s4
	s_add_i32 s8, s8, -1
	s_add_i32 s5, s4, s5
	s_add_u32 s6, s6, -4
	s_addc_u32 s7, s7, -1
	s_cmp_gt_u32 s8, 2
	s_cbranch_scc1 .LBB76_394
.LBB76_395:
	s_load_dword s4, s[2:3], 0x6c
	v_mov_b32_e32 v1, 0
	s_load_dwordx2 s[2:3], s[2:3], 0x0
	ds_read_u8 v2, v1
	s_mov_b32 s7, 0
	s_waitcnt lgkmcnt(0)
	s_mul_i32 s4, s4, s14
	s_add_i32 s6, s4, s5
	v_mov_b32_e32 v3, s6
	global_store_byte v3, v2, s[2:3]
	s_lshl_b64 s[2:3], s[6:7], 3
	s_add_u32 s0, s0, s2
	s_addc_u32 s1, s1, s3
	global_store_dwordx2 v1, v[0:1], s[0:1]
	s_endpgm
	.section	.rodata,"a",@progbits
	.p2align	6, 0x0
	.amdhsa_kernel _ZN2at6native12compute_modeIhLj1024EEEvPKT_NS_4cuda6detail10TensorInfoIS2_jEENS7_IljEEll
		.amdhsa_group_segment_fixed_size 1
		.amdhsa_private_segment_fixed_size 0
		.amdhsa_kernarg_size 712
		.amdhsa_user_sgpr_count 6
		.amdhsa_user_sgpr_private_segment_buffer 1
		.amdhsa_user_sgpr_dispatch_ptr 0
		.amdhsa_user_sgpr_queue_ptr 0
		.amdhsa_user_sgpr_kernarg_segment_ptr 1
		.amdhsa_user_sgpr_dispatch_id 0
		.amdhsa_user_sgpr_flat_scratch_init 0
		.amdhsa_user_sgpr_kernarg_preload_length 0
		.amdhsa_user_sgpr_kernarg_preload_offset 0
		.amdhsa_user_sgpr_private_segment_size 0
		.amdhsa_uses_dynamic_stack 0
		.amdhsa_system_sgpr_private_segment_wavefront_offset 0
		.amdhsa_system_sgpr_workgroup_id_x 1
		.amdhsa_system_sgpr_workgroup_id_y 1
		.amdhsa_system_sgpr_workgroup_id_z 1
		.amdhsa_system_sgpr_workgroup_info 0
		.amdhsa_system_vgpr_workitem_id 0
		.amdhsa_next_free_vgpr 25
		.amdhsa_next_free_sgpr 22
		.amdhsa_accum_offset 28
		.amdhsa_reserve_vcc 1
		.amdhsa_reserve_flat_scratch 0
		.amdhsa_float_round_mode_32 0
		.amdhsa_float_round_mode_16_64 0
		.amdhsa_float_denorm_mode_32 3
		.amdhsa_float_denorm_mode_16_64 3
		.amdhsa_dx10_clamp 1
		.amdhsa_ieee_mode 1
		.amdhsa_fp16_overflow 0
		.amdhsa_tg_split 0
		.amdhsa_exception_fp_ieee_invalid_op 0
		.amdhsa_exception_fp_denorm_src 0
		.amdhsa_exception_fp_ieee_div_zero 0
		.amdhsa_exception_fp_ieee_overflow 0
		.amdhsa_exception_fp_ieee_underflow 0
		.amdhsa_exception_fp_ieee_inexact 0
		.amdhsa_exception_int_div_zero 0
	.end_amdhsa_kernel
	.section	.text._ZN2at6native12compute_modeIhLj1024EEEvPKT_NS_4cuda6detail10TensorInfoIS2_jEENS7_IljEEll,"axG",@progbits,_ZN2at6native12compute_modeIhLj1024EEEvPKT_NS_4cuda6detail10TensorInfoIS2_jEENS7_IljEEll,comdat
.Lfunc_end76:
	.size	_ZN2at6native12compute_modeIhLj1024EEEvPKT_NS_4cuda6detail10TensorInfoIS2_jEENS7_IljEEll, .Lfunc_end76-_ZN2at6native12compute_modeIhLj1024EEEvPKT_NS_4cuda6detail10TensorInfoIS2_jEENS7_IljEEll
                                        ; -- End function
	.section	.AMDGPU.csdata,"",@progbits
; Kernel info:
; codeLenInByte = 16888
; NumSgprs: 26
; NumVgprs: 25
; NumAgprs: 0
; TotalNumVgprs: 25
; ScratchSize: 0
; MemoryBound: 0
; FloatMode: 240
; IeeeMode: 1
; LDSByteSize: 1 bytes/workgroup (compile time only)
; SGPRBlocks: 3
; VGPRBlocks: 3
; NumSGPRsForWavesPerEU: 26
; NumVGPRsForWavesPerEU: 25
; AccumOffset: 28
; Occupancy: 8
; WaveLimiterHint : 1
; COMPUTE_PGM_RSRC2:SCRATCH_EN: 0
; COMPUTE_PGM_RSRC2:USER_SGPR: 6
; COMPUTE_PGM_RSRC2:TRAP_HANDLER: 0
; COMPUTE_PGM_RSRC2:TGID_X_EN: 1
; COMPUTE_PGM_RSRC2:TGID_Y_EN: 1
; COMPUTE_PGM_RSRC2:TGID_Z_EN: 1
; COMPUTE_PGM_RSRC2:TIDIG_COMP_CNT: 0
; COMPUTE_PGM_RSRC3_GFX90A:ACCUM_OFFSET: 6
; COMPUTE_PGM_RSRC3_GFX90A:TG_SPLIT: 0
	.section	.text._ZN2at6native12compute_modeIhLj128EEEvPKT_NS_4cuda6detail10TensorInfoIS2_jEENS7_IljEEll,"axG",@progbits,_ZN2at6native12compute_modeIhLj128EEEvPKT_NS_4cuda6detail10TensorInfoIS2_jEENS7_IljEEll,comdat
	.protected	_ZN2at6native12compute_modeIhLj128EEEvPKT_NS_4cuda6detail10TensorInfoIS2_jEENS7_IljEEll ; -- Begin function _ZN2at6native12compute_modeIhLj128EEEvPKT_NS_4cuda6detail10TensorInfoIS2_jEENS7_IljEEll
	.globl	_ZN2at6native12compute_modeIhLj128EEEvPKT_NS_4cuda6detail10TensorInfoIS2_jEENS7_IljEEll
	.p2align	8
	.type	_ZN2at6native12compute_modeIhLj128EEEvPKT_NS_4cuda6detail10TensorInfoIS2_jEENS7_IljEEll,@function
_ZN2at6native12compute_modeIhLj128EEEvPKT_NS_4cuda6detail10TensorInfoIS2_jEENS7_IljEEll: ; @_ZN2at6native12compute_modeIhLj128EEEvPKT_NS_4cuda6detail10TensorInfoIS2_jEENS7_IljEEll
; %bb.0:
	s_load_dwordx4 s[16:19], s[4:5], 0x1b8
	s_load_dwordx2 s[2:3], s[4:5], 0x1c8
	s_add_u32 s0, s4, 0x1c8
	s_addc_u32 s1, s5, 0
	s_mov_b32 s15, 0
	s_waitcnt lgkmcnt(0)
	v_mov_b32_e32 v2, s18
	s_mul_i32 s3, s3, s8
	s_add_i32 s3, s3, s7
	s_mul_i32 s2, s3, s2
	v_mov_b32_e32 v3, s19
	s_add_i32 s14, s2, s6
	v_cmp_ge_i64_e32 vcc, s[14:15], v[2:3]
	s_cbranch_vccnz .LBB77_182
; %bb.1:
	s_load_dwordx2 s[18:19], s[4:5], 0x0
	s_load_dword s2, s[0:1], 0xc
	v_mov_b32_e32 v3, 0
	v_mov_b32_e32 v1, v3
	s_mul_i32 s15, s14, s16
	v_cmp_gt_i64_e32 vcc, s[16:17], v[0:1]
	v_add_u32_e32 v1, 1, v0
	s_and_saveexec_b64 s[0:1], vcc
	s_cbranch_execz .LBB77_3
; %bb.2:
	v_add_u32_e32 v2, s15, v0
	s_waitcnt lgkmcnt(0)
	global_load_ubyte v2, v2, s[18:19]
	s_waitcnt vmcnt(0)
	ds_write_b8 v1, v2
.LBB77_3:
	s_or_b64 exec, exec, s[0:1]
	s_waitcnt lgkmcnt(0)
	s_and_b32 s20, 0xffff, s2
	v_add_u32_e32 v2, s20, v0
	v_cmp_gt_i64_e64 s[0:1], s[16:17], v[2:3]
	s_and_saveexec_b64 s[2:3], s[0:1]
	s_cbranch_execz .LBB77_5
; %bb.4:
	v_add_u32_e32 v3, s15, v2
	global_load_ubyte v3, v3, s[18:19]
	v_add_u32_e32 v2, 1, v2
	s_waitcnt vmcnt(0)
	ds_write_b8 v2, v3
.LBB77_5:
	s_or_b64 exec, exec, s[2:3]
	v_cndmask_b32_e64 v2, 0, 1, vcc
	ds_write_b8 v1, v2 offset:128
	v_add_u32_e32 v2, s20, v1
	v_cndmask_b32_e64 v3, 0, 1, s[0:1]
	v_add_u32_e32 v1, v1, v0
	ds_write_b8 v2, v3 offset:128
	s_waitcnt lgkmcnt(0)
	s_barrier
	s_barrier
	ds_read_u8 v4, v1
	ds_read_u8 v5, v1 offset:1
	s_mov_b32 s6, 1
	s_waitcnt lgkmcnt(0)
	v_cmp_ge_u16_e64 s[0:1], v4, v5
	v_cmp_lt_u16_e32 vcc, v4, v5
	s_and_saveexec_b64 s[2:3], vcc
	s_cbranch_execz .LBB77_7
; %bb.6:
	ds_read_u8 v2, v1 offset:128
	s_andn2_b64 s[0:1], s[0:1], exec
	s_waitcnt lgkmcnt(0)
	v_and_b32_e32 v2, 1, v2
	v_cmp_eq_u32_e32 vcc, 1, v2
	s_xor_b64 s[8:9], vcc, -1
	s_and_b64 s[8:9], s[8:9], exec
	s_or_b64 s[0:1], s[0:1], s[8:9]
.LBB77_7:
	s_or_b64 exec, exec, s[2:3]
	v_lshlrev_b32_e32 v2, 1, v0
	v_mov_b32_e32 v7, s6
	v_add_u32_e32 v3, 1, v2
	s_and_saveexec_b64 s[2:3], s[0:1]
	s_cbranch_execz .LBB77_9
; %bb.8:
	ds_read_u8 v6, v3 offset:129
	s_waitcnt lgkmcnt(0)
	v_xor_b32_e32 v7, 1, v6
.LBB77_9:
	s_or_b64 exec, exec, s[2:3]
	v_and_b32_e32 v6, 1, v0
	v_cmp_eq_u32_e32 vcc, v7, v6
	s_and_saveexec_b64 s[0:1], vcc
	s_cbranch_execz .LBB77_11
; %bb.10:
	ds_read_u8 v7, v3 offset:129
	ds_read_u8 v8, v1 offset:128
	ds_write_b8 v1, v5
	ds_write_b8 v1, v4 offset:1
	s_waitcnt lgkmcnt(3)
	ds_write_b8 v1, v7 offset:128
	s_waitcnt lgkmcnt(3)
	ds_write_b8 v3, v8 offset:129
.LBB77_11:
	s_or_b64 exec, exec, s[0:1]
	v_sub_u32_e32 v4, v2, v6
	v_add_u32_e32 v4, 1, v4
	s_waitcnt lgkmcnt(0)
	s_barrier
	ds_read_u8 v6, v4
	ds_read_u8 v7, v4 offset:2
	s_mov_b64 s[0:1], -1
                                        ; implicit-def: $sgpr6
	s_waitcnt lgkmcnt(0)
	v_cmp_lt_u16_e32 vcc, v6, v7
	s_and_saveexec_b64 s[2:3], vcc
	s_xor_b64 s[2:3], exec, s[2:3]
	s_cbranch_execz .LBB77_13
; %bb.12:
	ds_read_u8 v5, v4 offset:128
	s_mov_b32 s6, 1
	s_waitcnt lgkmcnt(0)
	v_and_b32_e32 v5, 1, v5
	v_cmp_eq_u32_e32 vcc, 1, v5
	s_xor_b64 s[0:1], vcc, -1
	s_orn2_b64 s[0:1], s[0:1], exec
.LBB77_13:
	s_or_b64 exec, exec, s[2:3]
	v_mov_b32_e32 v8, s6
	s_and_saveexec_b64 s[2:3], s[0:1]
	s_cbranch_execz .LBB77_15
; %bb.14:
	ds_read_u8 v5, v4 offset:130
	s_waitcnt lgkmcnt(0)
	v_xor_b32_e32 v8, 1, v5
.LBB77_15:
	s_or_b64 exec, exec, s[2:3]
	v_bfe_u32 v5, v0, 1, 1
	v_cmp_eq_u32_e32 vcc, v8, v5
	s_and_saveexec_b64 s[0:1], vcc
	s_cbranch_execz .LBB77_17
; %bb.16:
	ds_read_u8 v8, v4 offset:130
	ds_read_u8 v9, v4 offset:128
	ds_write_b8 v4, v7
	ds_write_b8 v4, v6 offset:2
	s_waitcnt lgkmcnt(3)
	ds_write_b8 v4, v8 offset:128
	s_waitcnt lgkmcnt(3)
	ds_write_b8 v4, v9 offset:130
.LBB77_17:
	s_or_b64 exec, exec, s[0:1]
	s_waitcnt lgkmcnt(0)
	s_barrier
	ds_read_u8 v6, v1
	ds_read_u8 v7, v1 offset:1
                                        ; implicit-def: $sgpr6
	s_waitcnt lgkmcnt(0)
	v_cmp_ge_u16_e64 s[0:1], v6, v7
	v_cmp_lt_u16_e32 vcc, v6, v7
	s_and_saveexec_b64 s[2:3], vcc
	s_cbranch_execnz .LBB77_183
; %bb.18:
	s_or_b64 exec, exec, s[2:3]
	v_mov_b32_e32 v8, s6
	s_and_saveexec_b64 s[2:3], s[0:1]
	s_cbranch_execnz .LBB77_184
.LBB77_19:
	s_or_b64 exec, exec, s[2:3]
	v_cmp_eq_u32_e32 vcc, v8, v5
	s_and_saveexec_b64 s[0:1], vcc
	s_cbranch_execz .LBB77_21
.LBB77_20:
	ds_read_u8 v5, v3 offset:129
	ds_read_u8 v8, v1 offset:128
	ds_write_b8 v1, v7
	ds_write_b8 v1, v6 offset:1
	s_waitcnt lgkmcnt(3)
	ds_write_b8 v1, v5 offset:128
	s_waitcnt lgkmcnt(3)
	ds_write_b8 v3, v8 offset:129
.LBB77_21:
	s_or_b64 exec, exec, s[0:1]
	v_and_b32_e32 v5, 3, v0
	v_sub_u32_e32 v5, v2, v5
	v_add_u32_e32 v5, 1, v5
	s_waitcnt lgkmcnt(0)
	s_barrier
	ds_read_u8 v7, v5
	ds_read_u8 v8, v5 offset:4
	s_mov_b32 s6, 1
	s_waitcnt lgkmcnt(0)
	v_cmp_ge_u16_e64 s[0:1], v7, v8
	v_cmp_lt_u16_e32 vcc, v7, v8
	s_and_saveexec_b64 s[2:3], vcc
	s_cbranch_execz .LBB77_23
; %bb.22:
	ds_read_u8 v6, v5 offset:128
	s_andn2_b64 s[0:1], s[0:1], exec
	s_waitcnt lgkmcnt(0)
	v_and_b32_e32 v6, 1, v6
	v_cmp_eq_u32_e32 vcc, 1, v6
	s_xor_b64 s[8:9], vcc, -1
	s_and_b64 s[8:9], s[8:9], exec
	s_or_b64 s[0:1], s[0:1], s[8:9]
.LBB77_23:
	s_or_b64 exec, exec, s[2:3]
	v_mov_b32_e32 v9, s6
	s_and_saveexec_b64 s[2:3], s[0:1]
	s_cbranch_execz .LBB77_25
; %bb.24:
	ds_read_u8 v6, v5 offset:132
	s_waitcnt lgkmcnt(0)
	v_xor_b32_e32 v9, 1, v6
.LBB77_25:
	s_or_b64 exec, exec, s[2:3]
	v_bfe_u32 v6, v0, 2, 1
	v_cmp_eq_u32_e32 vcc, v9, v6
	s_and_saveexec_b64 s[0:1], vcc
	s_cbranch_execz .LBB77_27
; %bb.26:
	ds_read_u8 v9, v5 offset:132
	ds_read_u8 v10, v5 offset:128
	ds_write_b8 v5, v8
	ds_write_b8 v5, v7 offset:4
	s_waitcnt lgkmcnt(3)
	ds_write_b8 v5, v9 offset:128
	s_waitcnt lgkmcnt(3)
	ds_write_b8 v5, v10 offset:132
.LBB77_27:
	s_or_b64 exec, exec, s[0:1]
	s_waitcnt lgkmcnt(0)
	s_barrier
	ds_read_u8 v7, v4
	ds_read_u8 v8, v4 offset:2
	s_waitcnt lgkmcnt(0)
	v_cmp_ge_u16_e64 s[0:1], v7, v8
	v_cmp_lt_u16_e32 vcc, v7, v8
	s_and_saveexec_b64 s[2:3], vcc
	s_cbranch_execnz .LBB77_185
; %bb.28:
	s_or_b64 exec, exec, s[2:3]
	v_mov_b32_e32 v9, s6
	s_and_saveexec_b64 s[2:3], s[0:1]
	s_cbranch_execnz .LBB77_186
.LBB77_29:
	s_or_b64 exec, exec, s[2:3]
	v_cmp_eq_u32_e32 vcc, v9, v6
	s_and_saveexec_b64 s[0:1], vcc
	s_cbranch_execz .LBB77_31
.LBB77_30:
	ds_read_u8 v9, v4 offset:130
	ds_read_u8 v10, v4 offset:128
	ds_write_b8 v4, v8
	ds_write_b8 v4, v7 offset:2
	s_waitcnt lgkmcnt(3)
	ds_write_b8 v4, v9 offset:128
	s_waitcnt lgkmcnt(3)
	ds_write_b8 v4, v10 offset:130
.LBB77_31:
	s_or_b64 exec, exec, s[0:1]
	s_waitcnt lgkmcnt(0)
	s_barrier
	ds_read_u8 v7, v1
	ds_read_u8 v8, v1 offset:1
                                        ; implicit-def: $sgpr6
	s_waitcnt lgkmcnt(0)
	v_cmp_ge_u16_e64 s[0:1], v7, v8
	v_cmp_lt_u16_e32 vcc, v7, v8
	s_and_saveexec_b64 s[2:3], vcc
	s_cbranch_execnz .LBB77_187
; %bb.32:
	s_or_b64 exec, exec, s[2:3]
	v_mov_b32_e32 v9, s6
	s_and_saveexec_b64 s[2:3], s[0:1]
	s_cbranch_execnz .LBB77_188
.LBB77_33:
	s_or_b64 exec, exec, s[2:3]
	v_cmp_eq_u32_e32 vcc, v9, v6
	s_and_saveexec_b64 s[0:1], vcc
	s_cbranch_execz .LBB77_35
.LBB77_34:
	ds_read_u8 v6, v3 offset:129
	ds_read_u8 v9, v1 offset:128
	ds_write_b8 v1, v8
	ds_write_b8 v1, v7 offset:1
	s_waitcnt lgkmcnt(3)
	ds_write_b8 v1, v6 offset:128
	s_waitcnt lgkmcnt(3)
	ds_write_b8 v3, v9 offset:129
.LBB77_35:
	s_or_b64 exec, exec, s[0:1]
	v_and_b32_e32 v6, 7, v0
	v_sub_u32_e32 v6, v2, v6
	v_add_u32_e32 v6, 1, v6
	s_waitcnt lgkmcnt(0)
	s_barrier
	ds_read_u8 v8, v6
	ds_read_u8 v9, v6 offset:8
	s_mov_b32 s6, 1
	s_waitcnt lgkmcnt(0)
	v_cmp_ge_u16_e64 s[0:1], v8, v9
	v_cmp_lt_u16_e32 vcc, v8, v9
	s_and_saveexec_b64 s[2:3], vcc
	s_cbranch_execz .LBB77_37
; %bb.36:
	ds_read_u8 v7, v6 offset:128
	s_andn2_b64 s[0:1], s[0:1], exec
	s_waitcnt lgkmcnt(0)
	v_and_b32_e32 v7, 1, v7
	v_cmp_eq_u32_e32 vcc, 1, v7
	s_xor_b64 s[8:9], vcc, -1
	s_and_b64 s[8:9], s[8:9], exec
	s_or_b64 s[0:1], s[0:1], s[8:9]
.LBB77_37:
	s_or_b64 exec, exec, s[2:3]
	v_mov_b32_e32 v10, s6
	s_and_saveexec_b64 s[2:3], s[0:1]
	s_cbranch_execz .LBB77_39
; %bb.38:
	ds_read_u8 v7, v6 offset:136
	s_waitcnt lgkmcnt(0)
	v_xor_b32_e32 v10, 1, v7
.LBB77_39:
	s_or_b64 exec, exec, s[2:3]
	v_bfe_u32 v7, v0, 3, 1
	v_cmp_eq_u32_e32 vcc, v10, v7
	s_and_saveexec_b64 s[0:1], vcc
	s_cbranch_execz .LBB77_41
; %bb.40:
	ds_read_u8 v10, v6 offset:136
	ds_read_u8 v11, v6 offset:128
	ds_write_b8 v6, v9
	ds_write_b8 v6, v8 offset:8
	s_waitcnt lgkmcnt(3)
	ds_write_b8 v6, v10 offset:128
	s_waitcnt lgkmcnt(3)
	ds_write_b8 v6, v11 offset:136
.LBB77_41:
	s_or_b64 exec, exec, s[0:1]
	s_waitcnt lgkmcnt(0)
	s_barrier
	ds_read_u8 v8, v5
	ds_read_u8 v9, v5 offset:4
	s_waitcnt lgkmcnt(0)
	v_cmp_ge_u16_e64 s[0:1], v8, v9
	v_cmp_lt_u16_e32 vcc, v8, v9
	s_and_saveexec_b64 s[2:3], vcc
	s_cbranch_execnz .LBB77_189
; %bb.42:
	s_or_b64 exec, exec, s[2:3]
	v_mov_b32_e32 v10, s6
	s_and_saveexec_b64 s[2:3], s[0:1]
	s_cbranch_execnz .LBB77_190
.LBB77_43:
	s_or_b64 exec, exec, s[2:3]
	v_cmp_eq_u32_e32 vcc, v10, v7
	s_and_saveexec_b64 s[0:1], vcc
	s_cbranch_execz .LBB77_45
.LBB77_44:
	ds_read_u8 v10, v5 offset:132
	ds_read_u8 v11, v5 offset:128
	ds_write_b8 v5, v9
	ds_write_b8 v5, v8 offset:4
	s_waitcnt lgkmcnt(3)
	ds_write_b8 v5, v10 offset:128
	s_waitcnt lgkmcnt(3)
	ds_write_b8 v5, v11 offset:132
.LBB77_45:
	s_or_b64 exec, exec, s[0:1]
	s_waitcnt lgkmcnt(0)
	s_barrier
	ds_read_u8 v8, v4
	ds_read_u8 v9, v4 offset:2
	s_waitcnt lgkmcnt(0)
	v_cmp_ge_u16_e64 s[0:1], v8, v9
	v_cmp_lt_u16_e32 vcc, v8, v9
	s_and_saveexec_b64 s[2:3], vcc
	s_cbranch_execnz .LBB77_191
; %bb.46:
	s_or_b64 exec, exec, s[2:3]
	v_mov_b32_e32 v10, s6
	s_and_saveexec_b64 s[2:3], s[0:1]
	s_cbranch_execnz .LBB77_192
.LBB77_47:
	s_or_b64 exec, exec, s[2:3]
	v_cmp_eq_u32_e32 vcc, v10, v7
	s_and_saveexec_b64 s[0:1], vcc
	s_cbranch_execz .LBB77_49
.LBB77_48:
	ds_read_u8 v10, v4 offset:130
	ds_read_u8 v11, v4 offset:128
	ds_write_b8 v4, v9
	ds_write_b8 v4, v8 offset:2
	s_waitcnt lgkmcnt(3)
	ds_write_b8 v4, v10 offset:128
	s_waitcnt lgkmcnt(3)
	ds_write_b8 v4, v11 offset:130
.LBB77_49:
	s_or_b64 exec, exec, s[0:1]
	s_waitcnt lgkmcnt(0)
	s_barrier
	ds_read_u8 v8, v1
	ds_read_u8 v9, v1 offset:1
                                        ; implicit-def: $sgpr6
	s_waitcnt lgkmcnt(0)
	v_cmp_ge_u16_e64 s[0:1], v8, v9
	v_cmp_lt_u16_e32 vcc, v8, v9
	s_and_saveexec_b64 s[2:3], vcc
	s_cbranch_execnz .LBB77_193
; %bb.50:
	s_or_b64 exec, exec, s[2:3]
	v_mov_b32_e32 v10, s6
	s_and_saveexec_b64 s[2:3], s[0:1]
	s_cbranch_execnz .LBB77_194
.LBB77_51:
	s_or_b64 exec, exec, s[2:3]
	v_cmp_eq_u32_e32 vcc, v10, v7
	s_and_saveexec_b64 s[0:1], vcc
	s_cbranch_execz .LBB77_53
.LBB77_52:
	ds_read_u8 v7, v3 offset:129
	ds_read_u8 v10, v1 offset:128
	ds_write_b8 v1, v9
	ds_write_b8 v1, v8 offset:1
	s_waitcnt lgkmcnt(3)
	ds_write_b8 v1, v7 offset:128
	s_waitcnt lgkmcnt(3)
	ds_write_b8 v3, v10 offset:129
.LBB77_53:
	s_or_b64 exec, exec, s[0:1]
	v_and_b32_e32 v7, 15, v0
	v_sub_u32_e32 v7, v2, v7
	v_add_u32_e32 v7, 1, v7
	s_waitcnt lgkmcnt(0)
	s_barrier
	ds_read_u8 v9, v7
	ds_read_u8 v10, v7 offset:16
	s_mov_b32 s6, 1
	s_waitcnt lgkmcnt(0)
	v_cmp_ge_u16_e64 s[0:1], v9, v10
	v_cmp_lt_u16_e32 vcc, v9, v10
	s_and_saveexec_b64 s[2:3], vcc
	s_cbranch_execz .LBB77_55
; %bb.54:
	ds_read_u8 v8, v7 offset:128
	s_andn2_b64 s[0:1], s[0:1], exec
	s_waitcnt lgkmcnt(0)
	v_and_b32_e32 v8, 1, v8
	v_cmp_eq_u32_e32 vcc, 1, v8
	s_xor_b64 s[8:9], vcc, -1
	s_and_b64 s[8:9], s[8:9], exec
	s_or_b64 s[0:1], s[0:1], s[8:9]
.LBB77_55:
	s_or_b64 exec, exec, s[2:3]
	v_mov_b32_e32 v11, s6
	s_and_saveexec_b64 s[2:3], s[0:1]
	s_cbranch_execz .LBB77_57
; %bb.56:
	ds_read_u8 v8, v7 offset:144
	s_waitcnt lgkmcnt(0)
	v_xor_b32_e32 v11, 1, v8
.LBB77_57:
	s_or_b64 exec, exec, s[2:3]
	v_bfe_u32 v8, v0, 4, 1
	v_cmp_eq_u32_e32 vcc, v11, v8
	s_and_saveexec_b64 s[0:1], vcc
	s_cbranch_execz .LBB77_59
; %bb.58:
	ds_read_u8 v11, v7 offset:144
	ds_read_u8 v12, v7 offset:128
	ds_write_b8 v7, v10
	ds_write_b8 v7, v9 offset:16
	s_waitcnt lgkmcnt(3)
	ds_write_b8 v7, v11 offset:128
	s_waitcnt lgkmcnt(3)
	ds_write_b8 v7, v12 offset:144
.LBB77_59:
	s_or_b64 exec, exec, s[0:1]
	s_waitcnt lgkmcnt(0)
	s_barrier
	ds_read_u8 v9, v6
	ds_read_u8 v10, v6 offset:8
	s_waitcnt lgkmcnt(0)
	v_cmp_ge_u16_e64 s[0:1], v9, v10
	v_cmp_lt_u16_e32 vcc, v9, v10
	s_and_saveexec_b64 s[2:3], vcc
	s_cbranch_execnz .LBB77_195
; %bb.60:
	s_or_b64 exec, exec, s[2:3]
	v_mov_b32_e32 v11, s6
	s_and_saveexec_b64 s[2:3], s[0:1]
	s_cbranch_execnz .LBB77_196
.LBB77_61:
	s_or_b64 exec, exec, s[2:3]
	v_cmp_eq_u32_e32 vcc, v11, v8
	s_and_saveexec_b64 s[0:1], vcc
	s_cbranch_execz .LBB77_63
.LBB77_62:
	ds_read_u8 v11, v6 offset:136
	ds_read_u8 v12, v6 offset:128
	ds_write_b8 v6, v10
	ds_write_b8 v6, v9 offset:8
	s_waitcnt lgkmcnt(3)
	ds_write_b8 v6, v11 offset:128
	s_waitcnt lgkmcnt(3)
	ds_write_b8 v6, v12 offset:136
.LBB77_63:
	s_or_b64 exec, exec, s[0:1]
	s_waitcnt lgkmcnt(0)
	s_barrier
	ds_read_u8 v9, v5
	ds_read_u8 v10, v5 offset:4
	s_waitcnt lgkmcnt(0)
	v_cmp_ge_u16_e64 s[0:1], v9, v10
	v_cmp_lt_u16_e32 vcc, v9, v10
	s_and_saveexec_b64 s[2:3], vcc
	s_cbranch_execnz .LBB77_197
; %bb.64:
	s_or_b64 exec, exec, s[2:3]
	v_mov_b32_e32 v11, s6
	s_and_saveexec_b64 s[2:3], s[0:1]
	s_cbranch_execnz .LBB77_198
.LBB77_65:
	s_or_b64 exec, exec, s[2:3]
	v_cmp_eq_u32_e32 vcc, v11, v8
	s_and_saveexec_b64 s[0:1], vcc
	s_cbranch_execz .LBB77_67
.LBB77_66:
	ds_read_u8 v11, v5 offset:132
	ds_read_u8 v12, v5 offset:128
	ds_write_b8 v5, v10
	ds_write_b8 v5, v9 offset:4
	s_waitcnt lgkmcnt(3)
	ds_write_b8 v5, v11 offset:128
	s_waitcnt lgkmcnt(3)
	ds_write_b8 v5, v12 offset:132
.LBB77_67:
	s_or_b64 exec, exec, s[0:1]
	s_waitcnt lgkmcnt(0)
	s_barrier
	ds_read_u8 v9, v4
	ds_read_u8 v10, v4 offset:2
	s_waitcnt lgkmcnt(0)
	v_cmp_ge_u16_e64 s[0:1], v9, v10
	v_cmp_lt_u16_e32 vcc, v9, v10
	s_and_saveexec_b64 s[2:3], vcc
	s_cbranch_execnz .LBB77_199
; %bb.68:
	s_or_b64 exec, exec, s[2:3]
	v_mov_b32_e32 v11, s6
	s_and_saveexec_b64 s[2:3], s[0:1]
	s_cbranch_execnz .LBB77_200
.LBB77_69:
	s_or_b64 exec, exec, s[2:3]
	v_cmp_eq_u32_e32 vcc, v11, v8
	s_and_saveexec_b64 s[0:1], vcc
	s_cbranch_execz .LBB77_71
.LBB77_70:
	ds_read_u8 v11, v4 offset:130
	ds_read_u8 v12, v4 offset:128
	ds_write_b8 v4, v10
	ds_write_b8 v4, v9 offset:2
	s_waitcnt lgkmcnt(3)
	ds_write_b8 v4, v11 offset:128
	s_waitcnt lgkmcnt(3)
	ds_write_b8 v4, v12 offset:130
.LBB77_71:
	s_or_b64 exec, exec, s[0:1]
	s_waitcnt lgkmcnt(0)
	s_barrier
	ds_read_u8 v9, v1
	ds_read_u8 v10, v1 offset:1
                                        ; implicit-def: $sgpr6
	s_waitcnt lgkmcnt(0)
	v_cmp_ge_u16_e64 s[0:1], v9, v10
	v_cmp_lt_u16_e32 vcc, v9, v10
	s_and_saveexec_b64 s[2:3], vcc
	s_cbranch_execnz .LBB77_201
; %bb.72:
	s_or_b64 exec, exec, s[2:3]
	v_mov_b32_e32 v11, s6
	s_and_saveexec_b64 s[2:3], s[0:1]
	s_cbranch_execnz .LBB77_202
.LBB77_73:
	s_or_b64 exec, exec, s[2:3]
	v_cmp_eq_u32_e32 vcc, v11, v8
	s_and_saveexec_b64 s[0:1], vcc
	s_cbranch_execz .LBB77_75
.LBB77_74:
	ds_read_u8 v8, v3 offset:129
	ds_read_u8 v11, v1 offset:128
	ds_write_b8 v1, v10
	ds_write_b8 v1, v9 offset:1
	s_waitcnt lgkmcnt(3)
	ds_write_b8 v1, v8 offset:128
	s_waitcnt lgkmcnt(3)
	ds_write_b8 v3, v11 offset:129
.LBB77_75:
	s_or_b64 exec, exec, s[0:1]
	v_and_b32_e32 v8, 31, v0
	v_sub_u32_e32 v8, v2, v8
	v_add_u32_e32 v9, 1, v8
	s_waitcnt lgkmcnt(0)
	s_barrier
	ds_read_u8 v10, v9
	ds_read_u8 v11, v9 offset:32
	s_mov_b32 s6, 1
	s_waitcnt lgkmcnt(0)
	v_cmp_ge_u16_e64 s[0:1], v10, v11
	v_cmp_lt_u16_e32 vcc, v10, v11
	s_and_saveexec_b64 s[2:3], vcc
	s_cbranch_execz .LBB77_77
; %bb.76:
	ds_read_u8 v8, v9 offset:128
	s_andn2_b64 s[0:1], s[0:1], exec
	s_waitcnt lgkmcnt(0)
	v_and_b32_e32 v8, 1, v8
	v_cmp_eq_u32_e32 vcc, 1, v8
	s_xor_b64 s[8:9], vcc, -1
	s_and_b64 s[8:9], s[8:9], exec
	s_or_b64 s[0:1], s[0:1], s[8:9]
.LBB77_77:
	s_or_b64 exec, exec, s[2:3]
	v_mov_b32_e32 v12, s6
	s_and_saveexec_b64 s[2:3], s[0:1]
	s_cbranch_execz .LBB77_79
; %bb.78:
	ds_read_u8 v8, v9 offset:160
	s_waitcnt lgkmcnt(0)
	v_xor_b32_e32 v12, 1, v8
.LBB77_79:
	s_or_b64 exec, exec, s[2:3]
	v_bfe_u32 v8, v0, 5, 1
	v_cmp_eq_u32_e32 vcc, v12, v8
	s_and_saveexec_b64 s[0:1], vcc
	s_cbranch_execz .LBB77_81
; %bb.80:
	ds_read_u8 v12, v9 offset:160
	ds_read_u8 v13, v9 offset:128
	ds_write_b8 v9, v11
	ds_write_b8 v9, v10 offset:32
	s_waitcnt lgkmcnt(3)
	ds_write_b8 v9, v12 offset:128
	s_waitcnt lgkmcnt(3)
	ds_write_b8 v9, v13 offset:160
.LBB77_81:
	s_or_b64 exec, exec, s[0:1]
	s_waitcnt lgkmcnt(0)
	s_barrier
	ds_read_u8 v10, v7
	ds_read_u8 v11, v7 offset:16
	s_waitcnt lgkmcnt(0)
	v_cmp_ge_u16_e64 s[0:1], v10, v11
	v_cmp_lt_u16_e32 vcc, v10, v11
	s_and_saveexec_b64 s[2:3], vcc
	s_cbranch_execnz .LBB77_203
; %bb.82:
	s_or_b64 exec, exec, s[2:3]
	v_mov_b32_e32 v12, s6
	s_and_saveexec_b64 s[2:3], s[0:1]
	s_cbranch_execnz .LBB77_204
.LBB77_83:
	s_or_b64 exec, exec, s[2:3]
	v_cmp_eq_u32_e32 vcc, v12, v8
	s_and_saveexec_b64 s[0:1], vcc
	s_cbranch_execz .LBB77_85
.LBB77_84:
	ds_read_u8 v12, v7 offset:144
	ds_read_u8 v13, v7 offset:128
	ds_write_b8 v7, v11
	ds_write_b8 v7, v10 offset:16
	s_waitcnt lgkmcnt(3)
	ds_write_b8 v7, v12 offset:128
	s_waitcnt lgkmcnt(3)
	ds_write_b8 v7, v13 offset:144
.LBB77_85:
	s_or_b64 exec, exec, s[0:1]
	s_waitcnt lgkmcnt(0)
	s_barrier
	ds_read_u8 v10, v6
	ds_read_u8 v11, v6 offset:8
	s_waitcnt lgkmcnt(0)
	v_cmp_ge_u16_e64 s[0:1], v10, v11
	v_cmp_lt_u16_e32 vcc, v10, v11
	s_and_saveexec_b64 s[2:3], vcc
	s_cbranch_execnz .LBB77_205
; %bb.86:
	s_or_b64 exec, exec, s[2:3]
	v_mov_b32_e32 v12, s6
	s_and_saveexec_b64 s[2:3], s[0:1]
	s_cbranch_execnz .LBB77_206
.LBB77_87:
	s_or_b64 exec, exec, s[2:3]
	v_cmp_eq_u32_e32 vcc, v12, v8
	s_and_saveexec_b64 s[0:1], vcc
	s_cbranch_execz .LBB77_89
.LBB77_88:
	ds_read_u8 v12, v6 offset:136
	ds_read_u8 v13, v6 offset:128
	ds_write_b8 v6, v11
	ds_write_b8 v6, v10 offset:8
	s_waitcnt lgkmcnt(3)
	ds_write_b8 v6, v12 offset:128
	s_waitcnt lgkmcnt(3)
	ds_write_b8 v6, v13 offset:136
.LBB77_89:
	s_or_b64 exec, exec, s[0:1]
	s_waitcnt lgkmcnt(0)
	s_barrier
	ds_read_u8 v10, v5
	ds_read_u8 v11, v5 offset:4
	s_waitcnt lgkmcnt(0)
	v_cmp_ge_u16_e64 s[0:1], v10, v11
	v_cmp_lt_u16_e32 vcc, v10, v11
	s_and_saveexec_b64 s[2:3], vcc
	s_cbranch_execnz .LBB77_207
; %bb.90:
	s_or_b64 exec, exec, s[2:3]
	v_mov_b32_e32 v12, s6
	s_and_saveexec_b64 s[2:3], s[0:1]
	s_cbranch_execnz .LBB77_208
.LBB77_91:
	s_or_b64 exec, exec, s[2:3]
	v_cmp_eq_u32_e32 vcc, v12, v8
	s_and_saveexec_b64 s[0:1], vcc
	s_cbranch_execz .LBB77_93
.LBB77_92:
	ds_read_u8 v12, v5 offset:132
	ds_read_u8 v13, v5 offset:128
	ds_write_b8 v5, v11
	ds_write_b8 v5, v10 offset:4
	s_waitcnt lgkmcnt(3)
	ds_write_b8 v5, v12 offset:128
	s_waitcnt lgkmcnt(3)
	ds_write_b8 v5, v13 offset:132
.LBB77_93:
	s_or_b64 exec, exec, s[0:1]
	s_waitcnt lgkmcnt(0)
	s_barrier
	ds_read_u8 v10, v4
	ds_read_u8 v11, v4 offset:2
	s_waitcnt lgkmcnt(0)
	v_cmp_ge_u16_e64 s[0:1], v10, v11
	v_cmp_lt_u16_e32 vcc, v10, v11
	s_and_saveexec_b64 s[2:3], vcc
	s_cbranch_execnz .LBB77_209
; %bb.94:
	s_or_b64 exec, exec, s[2:3]
	v_mov_b32_e32 v12, s6
	s_and_saveexec_b64 s[2:3], s[0:1]
	s_cbranch_execnz .LBB77_210
.LBB77_95:
	s_or_b64 exec, exec, s[2:3]
	v_cmp_eq_u32_e32 vcc, v12, v8
	s_and_saveexec_b64 s[0:1], vcc
	s_cbranch_execz .LBB77_97
.LBB77_96:
	ds_read_u8 v12, v4 offset:130
	ds_read_u8 v13, v4 offset:128
	ds_write_b8 v4, v11
	ds_write_b8 v4, v10 offset:2
	s_waitcnt lgkmcnt(3)
	ds_write_b8 v4, v12 offset:128
	s_waitcnt lgkmcnt(3)
	ds_write_b8 v4, v13 offset:130
.LBB77_97:
	s_or_b64 exec, exec, s[0:1]
	s_waitcnt lgkmcnt(0)
	s_barrier
	ds_read_u8 v10, v1
	ds_read_u8 v11, v1 offset:1
                                        ; implicit-def: $sgpr6
	s_waitcnt lgkmcnt(0)
	v_cmp_ge_u16_e64 s[0:1], v10, v11
	v_cmp_lt_u16_e32 vcc, v10, v11
	s_and_saveexec_b64 s[2:3], vcc
	s_cbranch_execnz .LBB77_211
; %bb.98:
	s_or_b64 exec, exec, s[2:3]
	v_mov_b32_e32 v12, s6
	s_and_saveexec_b64 s[2:3], s[0:1]
	s_cbranch_execnz .LBB77_212
.LBB77_99:
	s_or_b64 exec, exec, s[2:3]
	v_cmp_eq_u32_e32 vcc, v12, v8
	s_and_saveexec_b64 s[0:1], vcc
	s_cbranch_execz .LBB77_101
.LBB77_100:
	ds_read_u8 v8, v3 offset:129
	ds_read_u8 v12, v1 offset:128
	ds_write_b8 v1, v11
	ds_write_b8 v1, v10 offset:1
	s_waitcnt lgkmcnt(3)
	ds_write_b8 v1, v8 offset:128
	s_waitcnt lgkmcnt(3)
	ds_write_b8 v3, v12 offset:129
.LBB77_101:
	s_or_b64 exec, exec, s[0:1]
	v_and_b32_e32 v8, 63, v0
	v_sub_u32_e32 v10, v2, v8
	v_add_u32_e32 v10, 1, v10
	s_waitcnt lgkmcnt(0)
	s_barrier
	ds_read_u8 v11, v10
	ds_read_u8 v12, v10 offset:64
	s_waitcnt lgkmcnt(0)
	v_cmp_ge_u16_e64 s[2:3], v11, v12
	v_cmp_lt_u16_e32 vcc, v11, v12
	s_and_saveexec_b64 s[0:1], vcc
	s_cbranch_execz .LBB77_103
; %bb.102:
	ds_read_u8 v13, v10 offset:128
	s_andn2_b64 s[2:3], s[2:3], exec
	s_waitcnt lgkmcnt(0)
	v_and_b32_e32 v13, 1, v13
	v_cmp_eq_u32_e32 vcc, 1, v13
	s_xor_b64 s[6:7], vcc, -1
	s_and_b64 s[6:7], s[6:7], exec
	s_or_b64 s[2:3], s[2:3], s[6:7]
.LBB77_103:
	s_or_b64 exec, exec, s[0:1]
	s_and_saveexec_b64 s[0:1], s[2:3]
	s_cbranch_execz .LBB77_106
; %bb.104:
	ds_read_u8 v13, v10 offset:192
	s_waitcnt lgkmcnt(0)
	v_cmp_ne_u16_e32 vcc, 0, v13
	s_and_b64 exec, exec, vcc
	s_cbranch_execz .LBB77_106
; %bb.105:
	ds_read_u8 v14, v10 offset:128
	ds_write_b8 v10, v12
	ds_write_b8 v10, v11 offset:64
	ds_write_b8 v10, v13 offset:128
	s_waitcnt lgkmcnt(3)
	ds_write_b8 v10, v14 offset:192
.LBB77_106:
	s_or_b64 exec, exec, s[0:1]
	s_waitcnt lgkmcnt(0)
	s_barrier
	ds_read_u8 v10, v9
	ds_read_u8 v11, v9 offset:32
	s_waitcnt lgkmcnt(0)
	v_cmp_ge_u16_e64 s[2:3], v10, v11
	v_cmp_lt_u16_e32 vcc, v10, v11
	s_and_saveexec_b64 s[0:1], vcc
	s_cbranch_execz .LBB77_108
; %bb.107:
	ds_read_u8 v12, v9 offset:128
	s_andn2_b64 s[2:3], s[2:3], exec
	s_waitcnt lgkmcnt(0)
	v_and_b32_e32 v12, 1, v12
	v_cmp_eq_u32_e32 vcc, 1, v12
	s_xor_b64 s[6:7], vcc, -1
	s_and_b64 s[6:7], s[6:7], exec
	s_or_b64 s[2:3], s[2:3], s[6:7]
.LBB77_108:
	s_or_b64 exec, exec, s[0:1]
	s_and_saveexec_b64 s[0:1], s[2:3]
	s_cbranch_execz .LBB77_111
; %bb.109:
	ds_read_u8 v12, v9 offset:160
	s_waitcnt lgkmcnt(0)
	v_cmp_ne_u16_e32 vcc, 0, v12
	s_and_b64 exec, exec, vcc
	s_cbranch_execz .LBB77_111
; %bb.110:
	ds_read_u8 v13, v9 offset:128
	ds_write_b8 v9, v11
	ds_write_b8 v9, v10 offset:32
	ds_write_b8 v9, v12 offset:128
	s_waitcnt lgkmcnt(3)
	ds_write_b8 v9, v13 offset:160
.LBB77_111:
	s_or_b64 exec, exec, s[0:1]
	;; [unrolled: 37-line block ×7, first 2 shown]
	v_cmp_eq_u32_e32 vcc, 0, v0
	s_waitcnt lgkmcnt(0)
	s_barrier
	s_barrier
	s_and_saveexec_b64 s[0:1], vcc
	s_cbranch_execz .LBB77_138
; %bb.137:
	v_mov_b32_e32 v4, 1
	v_mov_b32_e32 v5, 0
	ds_write_b8 v4, v4 offset:132
	ds_write_b32 v4, v5 offset:128
.LBB77_138:
	s_or_b64 exec, exec, s[0:1]
	ds_read_u8 v5, v1
	ds_read_u8 v4, v1 offset:1
	s_add_i32 s10, 1, 0x80
	v_lshl_add_u32 v1, v2, 3, s10
	v_cmp_gt_u32_e64 s[2:3], 63, v0
	s_waitcnt lgkmcnt(0)
	v_cmp_ne_u16_e64 s[0:1], v5, v4
	v_cndmask_b32_e64 v6, 0, 1, s[0:1]
	v_cmp_eq_u16_e64 s[0:1], v5, v4
	v_cndmask_b32_e64 v5, 0, 1, s[0:1]
	ds_write_b8 v1, v6 offset:12
	ds_write_b32 v1, v5 offset:8
	s_and_saveexec_b64 s[6:7], s[2:3]
	s_cbranch_execz .LBB77_140
; %bb.139:
	ds_read_u8 v3, v3 offset:2
	s_waitcnt lgkmcnt(0)
	v_cmp_ne_u16_e64 s[0:1], v4, v3
	v_cndmask_b32_e64 v5, 0, 1, s[0:1]
	v_cmp_eq_u16_e64 s[0:1], v4, v3
	v_cndmask_b32_e64 v3, 0, 1, s[0:1]
	ds_write_b8 v1, v5 offset:20
	ds_write_b32 v1, v3 offset:16
.LBB77_140:
	s_or_b64 exec, exec, s[6:7]
	v_cmp_gt_u32_e64 s[0:1], 64, v0
	v_lshl_add_u32 v3, v2, 3, 1
	s_waitcnt lgkmcnt(0)
	s_barrier
	s_and_saveexec_b64 s[8:9], s[0:1]
	s_cbranch_execz .LBB77_142
; %bb.141:
	ds_read_u8 v4, v1 offset:12
	ds_read_b32 v5, v3 offset:128
	ds_read_b32 v6, v1 offset:8
	ds_read_u8 v7, v3 offset:132
	s_waitcnt lgkmcnt(3)
	v_and_b32_e32 v9, 1, v4
	v_cmp_eq_u32_e64 s[6:7], 1, v9
	s_waitcnt lgkmcnt(2)
	v_cndmask_b32_e64 v5, v5, 0, s[6:7]
	s_waitcnt lgkmcnt(0)
	v_or_b32_e32 v4, v7, v4
	v_add_u32_e32 v5, v5, v6
	v_and_b32_e32 v4, 1, v4
	ds_write2_b32 v1, v5, v4 offset0:2 offset1:3
.LBB77_142:
	s_or_b64 exec, exec, s[8:9]
	v_add_u32_e32 v10, 2, v2
	v_lshlrev_b32_e32 v4, 1, v10
	v_add_u32_e32 v5, -1, v4
	v_cmp_gt_u32_e64 s[6:7], 32, v0
	s_waitcnt lgkmcnt(0)
	s_barrier
	s_and_saveexec_b64 s[8:9], s[6:7]
	s_cbranch_execz .LBB77_144
; %bb.143:
	v_lshl_add_u32 v6, v5, 3, 1
	ds_read_u8 v7, v6 offset:132
	v_lshl_add_u32 v9, v4, 3, 1
	ds_read_b32 v11, v9 offset:104
	ds_read_b32 v12, v6 offset:128
	ds_read_u8 v9, v9 offset:108
	s_waitcnt lgkmcnt(3)
	v_and_b32_e32 v13, 1, v7
	v_cmp_eq_u32_e64 s[6:7], 1, v13
	s_waitcnt lgkmcnt(2)
	v_cndmask_b32_e64 v11, v11, 0, s[6:7]
	s_waitcnt lgkmcnt(0)
	v_or_b32_e32 v7, v9, v7
	v_add_u32_e32 v11, v11, v12
	v_and_b32_e32 v7, 1, v7
	ds_write2_b32 v6, v11, v7 offset0:32 offset1:33
.LBB77_144:
	s_or_b64 exec, exec, s[8:9]
	v_lshlrev_b32_e32 v6, 2, v10
	v_add_u32_e32 v5, v5, v4
	v_cmp_gt_u32_e64 s[6:7], 16, v0
	s_waitcnt lgkmcnt(0)
	s_barrier
	s_and_saveexec_b64 s[8:9], s[6:7]
	s_cbranch_execz .LBB77_146
; %bb.145:
	v_lshl_add_u32 v7, v5, 3, 1
	ds_read_u8 v9, v7 offset:132
	v_lshl_add_u32 v11, v6, 3, 1
	ds_read_b32 v12, v11 offset:88
	ds_read_b32 v13, v7 offset:128
	ds_read_u8 v11, v11 offset:92
	s_waitcnt lgkmcnt(3)
	v_and_b32_e32 v14, 1, v9
	v_cmp_eq_u32_e64 s[6:7], 1, v14
	s_waitcnt lgkmcnt(2)
	v_cndmask_b32_e64 v12, v12, 0, s[6:7]
	s_waitcnt lgkmcnt(0)
	v_or_b32_e32 v9, v11, v9
	v_add_u32_e32 v12, v12, v13
	v_and_b32_e32 v9, 1, v9
	ds_write2_b32 v7, v12, v9 offset0:32 offset1:33
.LBB77_146:
	s_or_b64 exec, exec, s[8:9]
	v_lshlrev_b32_e32 v9, 3, v10
	v_add_u32_e32 v7, v5, v6
	v_cmp_gt_u32_e64 s[6:7], 8, v0
	s_waitcnt lgkmcnt(0)
	s_barrier
	s_and_saveexec_b64 s[8:9], s[6:7]
	s_cbranch_execz .LBB77_148
; %bb.147:
	v_lshl_add_u32 v11, v7, 3, 1
	ds_read_u8 v12, v11 offset:132
	v_lshl_add_u32 v13, v9, 3, 1
	ds_read_b32 v14, v13 offset:56
	ds_read_b32 v15, v11 offset:128
	ds_read_u8 v13, v13 offset:60
	s_waitcnt lgkmcnt(3)
	v_and_b32_e32 v16, 1, v12
	v_cmp_eq_u32_e64 s[6:7], 1, v16
	s_waitcnt lgkmcnt(2)
	v_cndmask_b32_e64 v14, v14, 0, s[6:7]
	s_waitcnt lgkmcnt(0)
	v_or_b32_e32 v12, v13, v12
	v_add_u32_e32 v14, v14, v15
	v_and_b32_e32 v12, 1, v12
	ds_write2_b32 v11, v14, v12 offset0:32 offset1:33
.LBB77_148:
	s_or_b64 exec, exec, s[8:9]
	v_lshlrev_b32_e32 v12, 4, v10
	v_add_u32_e32 v11, v7, v9
	v_cmp_gt_u32_e64 s[6:7], 4, v0
	s_waitcnt lgkmcnt(0)
	s_barrier
	s_and_saveexec_b64 s[8:9], s[6:7]
	s_cbranch_execz .LBB77_150
; %bb.149:
	v_lshl_add_u32 v13, v11, 3, 1
	v_lshl_add_u32 v14, v12, 3, 1
	ds_read_b32 v15, v13 offset:128
	ds_read_u8 v16, v13 offset:132
	v_add_u32_e32 v17, -8, v14
	v_add_u32_e32 v14, -4, v14
	ds_read_b32 v17, v17
	ds_read_u8 v14, v14
	s_waitcnt lgkmcnt(2)
	v_and_b32_e32 v18, 1, v16
	v_cmp_eq_u32_e64 s[6:7], 1, v18
	s_waitcnt lgkmcnt(1)
	v_cndmask_b32_e64 v17, v17, 0, s[6:7]
	s_waitcnt lgkmcnt(0)
	v_or_b32_e32 v14, v14, v16
	v_add_u32_e32 v15, v17, v15
	v_and_b32_e32 v14, 1, v14
	ds_write2_b32 v13, v15, v14 offset0:32 offset1:33
.LBB77_150:
	s_or_b64 exec, exec, s[8:9]
	v_add_u32_e32 v13, v11, v12
	v_cmp_gt_u32_e64 s[6:7], 2, v0
	v_lshl_add_u32 v13, v13, 3, 1
	s_waitcnt lgkmcnt(0)
	s_barrier
	s_and_saveexec_b64 s[8:9], s[6:7]
	s_cbranch_execz .LBB77_152
; %bb.151:
	v_lshl_add_u32 v10, v10, 8, 1
	v_add_u32_e32 v14, 0xffffff78, v10
	ds_read_u8 v15, v13 offset:132
	ds_read_b32 v14, v14
	v_add_u32_e32 v10, 0xffffff7c, v10
	ds_read_b32 v16, v13 offset:128
	ds_read_u8 v10, v10
	s_waitcnt lgkmcnt(3)
	v_and_b32_e32 v17, 1, v15
	v_cmp_eq_u32_e64 s[6:7], 1, v17
	s_waitcnt lgkmcnt(2)
	v_cndmask_b32_e64 v14, v14, 0, s[6:7]
	s_waitcnt lgkmcnt(0)
	v_or_b32_e32 v10, v10, v15
	v_add_u32_e32 v14, v14, v16
	v_and_b32_e32 v10, 1, v10
	ds_write2_b32 v13, v14, v10 offset0:32 offset1:33
.LBB77_152:
	s_or_b64 exec, exec, s[8:9]
	s_waitcnt lgkmcnt(0)
	s_barrier
	s_and_saveexec_b64 s[8:9], vcc
	s_cbranch_execz .LBB77_154
; %bb.153:
	v_mov_b32_e32 v10, 1
	s_movk_i32 s6, 0x78
	ds_read_u8 v16, v10 offset:1148
	v_add_u32_e64 v14, s6, 1
	ds_read2st64_b32 v[14:15], v14 offset0:2 offset1:4
	ds_read_u8 v10, v10 offset:636
	s_add_i32 s11, 1, 0x478
	s_waitcnt lgkmcnt(2)
	v_and_b32_e32 v17, 1, v16
	v_cmp_eq_u32_e64 s[6:7], 1, v17
	s_waitcnt lgkmcnt(1)
	v_cndmask_b32_e64 v14, v14, 0, s[6:7]
	s_waitcnt lgkmcnt(0)
	v_or_b32_e32 v10, v10, v16
	v_add_u32_e32 v14, v14, v15
	v_and_b32_e32 v10, 1, v10
	v_mov_b32_e32 v15, s11
	ds_write2_b32 v15, v14, v10 offset1:1
.LBB77_154:
	s_or_b64 exec, exec, s[8:9]
	s_waitcnt lgkmcnt(0)
	s_barrier
	s_and_saveexec_b64 s[8:9], vcc
	s_cbranch_execz .LBB77_156
; %bb.155:
	v_mov_b32_e32 v10, 1
	ds_read_u8 v14, v10 offset:892
	ds_read_b32 v15, v13 offset:128
	ds_read_b32 v16, v10 offset:888
	ds_read_u8 v13, v13 offset:132
	s_waitcnt lgkmcnt(3)
	v_and_b32_e32 v17, 1, v14
	v_cmp_eq_u32_e64 s[6:7], 1, v17
	s_waitcnt lgkmcnt(2)
	v_cndmask_b32_e64 v15, v15, 0, s[6:7]
	s_waitcnt lgkmcnt(0)
	v_or_b32_e32 v13, v13, v14
	v_add_u32_e32 v15, v15, v16
	v_and_b32_e32 v13, 1, v13
	ds_write2_b32 v10, v15, v13 offset0:222 offset1:223
.LBB77_156:
	s_or_b64 exec, exec, s[8:9]
	v_cmp_gt_u32_e64 s[6:7], 3, v0
	s_waitcnt lgkmcnt(0)
	s_barrier
	s_and_saveexec_b64 s[8:9], s[6:7]
	s_cbranch_execz .LBB77_158
; %bb.157:
	v_lshl_add_u32 v10, v12, 3, s10
	ds_read_u8 v12, v10 offset:124
	v_lshl_add_u32 v11, v11, 3, s10
	ds_read_b32 v13, v11
	ds_read_b32 v14, v10 offset:120
	ds_read_u8 v11, v11 offset:4
	s_waitcnt lgkmcnt(3)
	v_and_b32_e32 v15, 1, v12
	v_cmp_eq_u32_e64 s[6:7], 1, v15
	s_waitcnt lgkmcnt(2)
	v_cndmask_b32_e64 v13, v13, 0, s[6:7]
	s_waitcnt lgkmcnt(0)
	v_or_b32_e32 v11, v11, v12
	v_add_u32_e32 v13, v13, v14
	v_and_b32_e32 v11, 1, v11
	ds_write2_b32 v10, v13, v11 offset0:30 offset1:31
.LBB77_158:
	s_or_b64 exec, exec, s[8:9]
	v_cmp_gt_u32_e64 s[6:7], 7, v0
	s_waitcnt lgkmcnt(0)
	s_barrier
	s_and_saveexec_b64 s[8:9], s[6:7]
	s_cbranch_execz .LBB77_160
; %bb.159:
	v_lshl_add_u32 v9, v9, 3, s10
	ds_read_u8 v10, v9 offset:60
	v_lshl_add_u32 v7, v7, 3, s10
	ds_read_b32 v11, v7
	ds_read_b32 v12, v9 offset:56
	ds_read_u8 v7, v7 offset:4
	s_waitcnt lgkmcnt(3)
	v_and_b32_e32 v13, 1, v10
	v_cmp_eq_u32_e64 s[6:7], 1, v13
	s_waitcnt lgkmcnt(2)
	v_cndmask_b32_e64 v11, v11, 0, s[6:7]
	s_waitcnt lgkmcnt(0)
	v_or_b32_e32 v7, v7, v10
	v_add_u32_e32 v11, v11, v12
	v_and_b32_e32 v7, 1, v7
	ds_write2_b32 v9, v11, v7 offset0:14 offset1:15
.LBB77_160:
	;; [unrolled: 24-line block ×3, first 2 shown]
	s_or_b64 exec, exec, s[8:9]
	v_cmp_gt_u32_e64 s[6:7], 31, v0
	s_waitcnt lgkmcnt(0)
	s_barrier
	s_and_saveexec_b64 s[8:9], s[6:7]
	s_cbranch_execz .LBB77_164
; %bb.163:
	v_lshl_add_u32 v4, v4, 3, s10
	ds_read_u8 v5, v4 offset:12
	v_add_u32_e32 v6, -8, v4
	ds_read_b32 v7, v6
	ds_read_b32 v9, v4 offset:8
	ds_read_u8 v6, v6 offset:4
	s_waitcnt lgkmcnt(3)
	v_and_b32_e32 v10, 1, v5
	v_cmp_eq_u32_e64 s[6:7], 1, v10
	s_waitcnt lgkmcnt(2)
	v_cndmask_b32_e64 v7, v7, 0, s[6:7]
	s_waitcnt lgkmcnt(0)
	v_or_b32_e32 v5, v6, v5
	v_add_u32_e32 v7, v7, v9
	v_and_b32_e32 v5, 1, v5
	ds_write2_b32 v4, v7, v5 offset0:2 offset1:3
.LBB77_164:
	s_or_b64 exec, exec, s[8:9]
	s_waitcnt lgkmcnt(0)
	s_barrier
	s_and_saveexec_b64 s[6:7], s[2:3]
	s_cbranch_execz .LBB77_166
; %bb.165:
	ds_read_u8 v6, v1 offset:20
	ds_read_u8 v7, v1 offset:12
	ds_read2_b32 v[4:5], v1 offset0:2 offset1:4
	s_waitcnt lgkmcnt(2)
	v_and_b32_e32 v9, 1, v6
	v_cmp_eq_u32_e64 s[2:3], 1, v9
	s_waitcnt lgkmcnt(1)
	v_or_b32_e32 v6, v7, v6
	s_waitcnt lgkmcnt(0)
	v_cndmask_b32_e64 v4, v4, 0, s[2:3]
	v_add_u32_e32 v4, v4, v5
	v_and_b32_e32 v5, 1, v6
	ds_write2_b32 v1, v4, v5 offset0:4 offset1:5
.LBB77_166:
	s_or_b64 exec, exec, s[6:7]
	s_waitcnt lgkmcnt(0)
	s_barrier
	ds_read_b32 v3, v3 offset:128
	ds_read_b32 v1, v1 offset:8
	v_or_b32_e32 v4, 1, v2
	v_cmp_gt_u32_e64 s[6:7], s16, v4
	v_cmp_gt_u32_e64 s[2:3], s16, v2
	s_waitcnt lgkmcnt(1)
	v_cndmask_b32_e64 v3, 0, v3, s[2:3]
	s_waitcnt lgkmcnt(0)
	v_cndmask_b32_e64 v6, 0, v1, s[6:7]
	v_mbcnt_lo_u32_b32 v1, -1, 0
	v_mbcnt_hi_u32_b32 v13, -1, v1
	v_and_b32_e32 v14, 63, v13
	v_cmp_gt_u32_e64 s[8:9], 32, v14
	v_cndmask_b32_e64 v1, 0, 1, s[8:9]
	v_lshlrev_b32_e32 v1, 5, v1
	v_cndmask_b32_e64 v5, 0, v2, s[2:3]
	v_max_u32_e32 v7, v6, v3
	v_add_lshl_u32 v1, v1, v13, 2
	v_cndmask_b32_e64 v9, 0, v4, s[6:7]
	v_cmp_gt_u32_e64 s[8:9], v6, v3
	ds_bpermute_b32 v10, v1, v7
	v_cndmask_b32_e64 v3, v5, v9, s[8:9]
	ds_bpermute_b32 v5, v1, v3
	v_cmp_gt_u32_e64 s[8:9], 48, v14
	v_cndmask_b32_e64 v9, 0, 1, s[8:9]
	v_lshlrev_b32_e32 v9, 4, v9
	s_waitcnt lgkmcnt(1)
	v_max_u32_e32 v6, v10, v7
	v_add_lshl_u32 v9, v9, v13, 2
	v_cmp_gt_u32_e64 s[8:9], v10, v7
	ds_bpermute_b32 v11, v9, v6
	s_waitcnt lgkmcnt(1)
	v_cndmask_b32_e64 v3, v3, v5, s[8:9]
	ds_bpermute_b32 v5, v9, v3
	v_cmp_gt_u32_e64 s[8:9], 56, v14
	v_cndmask_b32_e64 v10, 0, 1, s[8:9]
	v_lshlrev_b32_e32 v10, 3, v10
	s_waitcnt lgkmcnt(1)
	v_max_u32_e32 v7, v11, v6
	v_add_lshl_u32 v10, v10, v13, 2
	v_cmp_gt_u32_e64 s[8:9], v11, v6
	ds_bpermute_b32 v12, v10, v7
	s_waitcnt lgkmcnt(1)
	;; [unrolled: 11-line block ×4, first 2 shown]
	v_cndmask_b32_e64 v5, v3, v5, s[8:9]
	ds_bpermute_b32 v6, v12, v5
	s_waitcnt lgkmcnt(0)
	s_barrier
	v_cmp_gt_u32_e64 s[8:9], v16, v7
	v_max_u32_e32 v3, v16, v7
	v_cndmask_b32_e64 v5, v5, v6, s[8:9]
	v_cmp_ne_u32_e64 s[8:9], 63, v14
	v_addc_co_u32_e64 v6, s[8:9], 0, v13, s[8:9]
	v_lshlrev_b32_e32 v13, 2, v6
	ds_bpermute_b32 v6, v13, v5
	ds_bpermute_b32 v7, v13, v3
	v_cmp_eq_u32_e64 s[8:9], 0, v8
	s_waitcnt lgkmcnt(0)
	s_barrier
	s_and_saveexec_b64 s[12:13], s[8:9]
	s_cbranch_execz .LBB77_168
; %bb.167:
	v_lshrrev_b32_e32 v14, 3, v0
	v_cmp_gt_u32_e64 s[10:11], v7, v3
	v_add_u32_e32 v14, 1, v14
	v_cndmask_b32_e64 v5, v5, v6, s[10:11]
	v_max_u32_e32 v3, v7, v3
	ds_write2_b32 v14, v3, v5 offset0:32 offset1:33
.LBB77_168:
	s_or_b64 exec, exec, s[12:13]
	s_lshr_b32 s10, s20, 6
	v_cmp_gt_u32_e64 s[10:11], s10, v0
	v_lshl_add_u32 v14, v8, 3, 1
	v_mov_b32_e32 v3, 0
	v_mov_b32_e32 v5, 0
	s_waitcnt lgkmcnt(0)
	s_barrier
	s_and_saveexec_b64 s[12:13], s[10:11]
	s_cbranch_execnz .LBB77_213
; %bb.169:
	s_or_b64 exec, exec, s[12:13]
	s_and_saveexec_b64 s[12:13], s[10:11]
	s_cbranch_execnz .LBB77_214
.LBB77_170:
	s_or_b64 exec, exec, s[12:13]
	s_and_saveexec_b64 s[20:21], s[0:1]
	s_cbranch_execnz .LBB77_215
.LBB77_171:
	s_or_b64 exec, exec, s[20:21]
	s_and_saveexec_b64 s[12:13], vcc
	s_cbranch_execz .LBB77_173
.LBB77_172:
	s_waitcnt lgkmcnt(0)
	v_add_u32_e32 v3, 1, v3
	ds_read_u8 v3, v3
	v_mov_b32_e32 v5, 0
	s_waitcnt lgkmcnt(0)
	ds_write_b8 v5, v3
.LBB77_173:
	s_or_b64 exec, exec, s[12:13]
	s_mov_b32 s20, 0
	s_waitcnt lgkmcnt(0)
	v_mov_b32_e32 v3, 0
	s_mov_b32 s21, s20
	v_cmp_gt_i64_e64 s[12:13], s[16:17], v[2:3]
	v_pk_mov_b32 v[6:7], s[20:21], s[20:21] op_sel:[0,1]
	s_barrier
	s_and_saveexec_b64 s[20:21], s[12:13]
	s_cbranch_execz .LBB77_175
; %bb.174:
	v_add_u32_e32 v5, s15, v2
	global_load_ubyte v5, v5, s[18:19]
	ds_read_u8 v6, v3
	s_waitcnt vmcnt(0) lgkmcnt(0)
	v_cmp_eq_u16_e64 s[12:13], v5, v6
	v_cndmask_b32_e64 v2, 0, v2, s[12:13]
	v_pk_mov_b32 v[6:7], v[2:3], v[2:3] op_sel:[0,1]
.LBB77_175:
	s_or_b64 exec, exec, s[20:21]
	v_mov_b32_e32 v5, v3
	v_cmp_gt_i64_e64 s[12:13], s[16:17], v[4:5]
	s_and_saveexec_b64 s[16:17], s[12:13]
	s_cbranch_execz .LBB77_177
; %bb.176:
	v_add_u32_e32 v2, s15, v4
	global_load_ubyte v2, v2, s[18:19]
	v_mov_b32_e32 v3, 0
	ds_read_u8 v3, v3
	s_waitcnt vmcnt(0) lgkmcnt(0)
	v_cmp_eq_u16_e64 s[12:13], v2, v3
	v_cndmask_b32_e64 v7, 0, v4, s[12:13]
.LBB77_177:
	s_or_b64 exec, exec, s[16:17]
	v_cndmask_b32_e64 v2, 0, v6, s[2:3]
	v_cndmask_b32_e64 v3, 0, v7, s[6:7]
	v_max_u32_e32 v2, v3, v2
	ds_bpermute_b32 v3, v1, v2
	s_waitcnt lgkmcnt(0)
	s_barrier
	v_max_u32_e32 v2, v3, v2
	ds_bpermute_b32 v3, v9, v2
	s_waitcnt lgkmcnt(0)
	v_max_u32_e32 v2, v3, v2
	ds_bpermute_b32 v3, v10, v2
	s_waitcnt lgkmcnt(0)
	;; [unrolled: 3-line block ×4, first 2 shown]
	v_max_u32_e32 v2, v3, v2
	ds_bpermute_b32 v3, v13, v2
	s_and_saveexec_b64 s[2:3], s[8:9]
	s_cbranch_execz .LBB77_179
; %bb.178:
	v_lshrrev_b32_e32 v0, 4, v0
	v_add_u32_e32 v0, 1, v0
	s_waitcnt lgkmcnt(0)
	v_max_u32_e32 v2, v3, v2
	ds_write_b32 v0, v2
.LBB77_179:
	s_or_b64 exec, exec, s[2:3]
	v_mov_b32_e32 v0, 0
	s_waitcnt lgkmcnt(0)
	s_barrier
	s_and_saveexec_b64 s[2:3], s[10:11]
	s_cbranch_execnz .LBB77_216
; %bb.180:
	s_or_b64 exec, exec, s[2:3]
	s_and_saveexec_b64 s[2:3], s[0:1]
	s_cbranch_execnz .LBB77_217
.LBB77_181:
	s_or_b64 exec, exec, s[2:3]
	s_and_saveexec_b64 s[0:1], vcc
	s_cbranch_execnz .LBB77_218
.LBB77_182:
	s_endpgm
.LBB77_183:
	ds_read_u8 v8, v1 offset:128
	s_andn2_b64 s[0:1], s[0:1], exec
	s_mov_b32 s6, 1
	s_waitcnt lgkmcnt(0)
	v_and_b32_e32 v8, 1, v8
	v_cmp_eq_u32_e32 vcc, 1, v8
	s_xor_b64 s[8:9], vcc, -1
	s_and_b64 s[8:9], s[8:9], exec
	s_or_b64 s[0:1], s[0:1], s[8:9]
	s_or_b64 exec, exec, s[2:3]
	v_mov_b32_e32 v8, s6
	s_and_saveexec_b64 s[2:3], s[0:1]
	s_cbranch_execz .LBB77_19
.LBB77_184:
	ds_read_u8 v8, v3 offset:129
	s_waitcnt lgkmcnt(0)
	v_xor_b32_e32 v8, 1, v8
	s_or_b64 exec, exec, s[2:3]
	v_cmp_eq_u32_e32 vcc, v8, v5
	s_and_saveexec_b64 s[0:1], vcc
	s_cbranch_execnz .LBB77_20
	s_branch .LBB77_21
.LBB77_185:
	ds_read_u8 v9, v4 offset:128
	s_andn2_b64 s[0:1], s[0:1], exec
	s_waitcnt lgkmcnt(0)
	v_and_b32_e32 v9, 1, v9
	v_cmp_eq_u32_e32 vcc, 1, v9
	s_xor_b64 s[8:9], vcc, -1
	s_and_b64 s[8:9], s[8:9], exec
	s_or_b64 s[0:1], s[0:1], s[8:9]
	s_or_b64 exec, exec, s[2:3]
	v_mov_b32_e32 v9, s6
	s_and_saveexec_b64 s[2:3], s[0:1]
	s_cbranch_execz .LBB77_29
.LBB77_186:
	ds_read_u8 v9, v4 offset:130
	s_waitcnt lgkmcnt(0)
	v_xor_b32_e32 v9, 1, v9
	s_or_b64 exec, exec, s[2:3]
	v_cmp_eq_u32_e32 vcc, v9, v6
	s_and_saveexec_b64 s[0:1], vcc
	s_cbranch_execnz .LBB77_30
	s_branch .LBB77_31
.LBB77_187:
	ds_read_u8 v9, v1 offset:128
	s_andn2_b64 s[0:1], s[0:1], exec
	s_mov_b32 s6, 1
	s_waitcnt lgkmcnt(0)
	v_and_b32_e32 v9, 1, v9
	v_cmp_eq_u32_e32 vcc, 1, v9
	s_xor_b64 s[8:9], vcc, -1
	s_and_b64 s[8:9], s[8:9], exec
	s_or_b64 s[0:1], s[0:1], s[8:9]
	s_or_b64 exec, exec, s[2:3]
	v_mov_b32_e32 v9, s6
	s_and_saveexec_b64 s[2:3], s[0:1]
	s_cbranch_execz .LBB77_33
.LBB77_188:
	ds_read_u8 v9, v3 offset:129
	s_waitcnt lgkmcnt(0)
	v_xor_b32_e32 v9, 1, v9
	s_or_b64 exec, exec, s[2:3]
	v_cmp_eq_u32_e32 vcc, v9, v6
	s_and_saveexec_b64 s[0:1], vcc
	s_cbranch_execnz .LBB77_34
	s_branch .LBB77_35
.LBB77_189:
	ds_read_u8 v10, v5 offset:128
	s_andn2_b64 s[0:1], s[0:1], exec
	s_waitcnt lgkmcnt(0)
	v_and_b32_e32 v10, 1, v10
	v_cmp_eq_u32_e32 vcc, 1, v10
	s_xor_b64 s[8:9], vcc, -1
	s_and_b64 s[8:9], s[8:9], exec
	s_or_b64 s[0:1], s[0:1], s[8:9]
	s_or_b64 exec, exec, s[2:3]
	v_mov_b32_e32 v10, s6
	s_and_saveexec_b64 s[2:3], s[0:1]
	s_cbranch_execz .LBB77_43
.LBB77_190:
	ds_read_u8 v10, v5 offset:132
	s_waitcnt lgkmcnt(0)
	v_xor_b32_e32 v10, 1, v10
	s_or_b64 exec, exec, s[2:3]
	v_cmp_eq_u32_e32 vcc, v10, v7
	s_and_saveexec_b64 s[0:1], vcc
	s_cbranch_execnz .LBB77_44
	s_branch .LBB77_45
.LBB77_191:
	ds_read_u8 v10, v4 offset:128
	s_andn2_b64 s[0:1], s[0:1], exec
	s_waitcnt lgkmcnt(0)
	v_and_b32_e32 v10, 1, v10
	v_cmp_eq_u32_e32 vcc, 1, v10
	s_xor_b64 s[8:9], vcc, -1
	s_and_b64 s[8:9], s[8:9], exec
	s_or_b64 s[0:1], s[0:1], s[8:9]
	s_or_b64 exec, exec, s[2:3]
	v_mov_b32_e32 v10, s6
	s_and_saveexec_b64 s[2:3], s[0:1]
	s_cbranch_execz .LBB77_47
.LBB77_192:
	ds_read_u8 v10, v4 offset:130
	s_waitcnt lgkmcnt(0)
	v_xor_b32_e32 v10, 1, v10
	s_or_b64 exec, exec, s[2:3]
	v_cmp_eq_u32_e32 vcc, v10, v7
	s_and_saveexec_b64 s[0:1], vcc
	s_cbranch_execnz .LBB77_48
	s_branch .LBB77_49
.LBB77_193:
	ds_read_u8 v10, v1 offset:128
	s_andn2_b64 s[0:1], s[0:1], exec
	s_mov_b32 s6, 1
	s_waitcnt lgkmcnt(0)
	v_and_b32_e32 v10, 1, v10
	v_cmp_eq_u32_e32 vcc, 1, v10
	s_xor_b64 s[8:9], vcc, -1
	s_and_b64 s[8:9], s[8:9], exec
	s_or_b64 s[0:1], s[0:1], s[8:9]
	s_or_b64 exec, exec, s[2:3]
	v_mov_b32_e32 v10, s6
	s_and_saveexec_b64 s[2:3], s[0:1]
	s_cbranch_execz .LBB77_51
.LBB77_194:
	ds_read_u8 v10, v3 offset:129
	s_waitcnt lgkmcnt(0)
	v_xor_b32_e32 v10, 1, v10
	s_or_b64 exec, exec, s[2:3]
	v_cmp_eq_u32_e32 vcc, v10, v7
	s_and_saveexec_b64 s[0:1], vcc
	s_cbranch_execnz .LBB77_52
	s_branch .LBB77_53
.LBB77_195:
	ds_read_u8 v11, v6 offset:128
	s_andn2_b64 s[0:1], s[0:1], exec
	s_waitcnt lgkmcnt(0)
	v_and_b32_e32 v11, 1, v11
	v_cmp_eq_u32_e32 vcc, 1, v11
	s_xor_b64 s[8:9], vcc, -1
	s_and_b64 s[8:9], s[8:9], exec
	s_or_b64 s[0:1], s[0:1], s[8:9]
	s_or_b64 exec, exec, s[2:3]
	v_mov_b32_e32 v11, s6
	s_and_saveexec_b64 s[2:3], s[0:1]
	s_cbranch_execz .LBB77_61
.LBB77_196:
	ds_read_u8 v11, v6 offset:136
	s_waitcnt lgkmcnt(0)
	v_xor_b32_e32 v11, 1, v11
	s_or_b64 exec, exec, s[2:3]
	v_cmp_eq_u32_e32 vcc, v11, v8
	s_and_saveexec_b64 s[0:1], vcc
	s_cbranch_execnz .LBB77_62
	s_branch .LBB77_63
.LBB77_197:
	ds_read_u8 v11, v5 offset:128
	s_andn2_b64 s[0:1], s[0:1], exec
	s_waitcnt lgkmcnt(0)
	v_and_b32_e32 v11, 1, v11
	v_cmp_eq_u32_e32 vcc, 1, v11
	s_xor_b64 s[8:9], vcc, -1
	s_and_b64 s[8:9], s[8:9], exec
	s_or_b64 s[0:1], s[0:1], s[8:9]
	s_or_b64 exec, exec, s[2:3]
	v_mov_b32_e32 v11, s6
	s_and_saveexec_b64 s[2:3], s[0:1]
	s_cbranch_execz .LBB77_65
.LBB77_198:
	ds_read_u8 v11, v5 offset:132
	s_waitcnt lgkmcnt(0)
	v_xor_b32_e32 v11, 1, v11
	s_or_b64 exec, exec, s[2:3]
	v_cmp_eq_u32_e32 vcc, v11, v8
	s_and_saveexec_b64 s[0:1], vcc
	s_cbranch_execnz .LBB77_66
	s_branch .LBB77_67
.LBB77_199:
	ds_read_u8 v11, v4 offset:128
	s_andn2_b64 s[0:1], s[0:1], exec
	s_waitcnt lgkmcnt(0)
	v_and_b32_e32 v11, 1, v11
	v_cmp_eq_u32_e32 vcc, 1, v11
	s_xor_b64 s[8:9], vcc, -1
	s_and_b64 s[8:9], s[8:9], exec
	s_or_b64 s[0:1], s[0:1], s[8:9]
	s_or_b64 exec, exec, s[2:3]
	v_mov_b32_e32 v11, s6
	s_and_saveexec_b64 s[2:3], s[0:1]
	s_cbranch_execz .LBB77_69
.LBB77_200:
	ds_read_u8 v11, v4 offset:130
	s_waitcnt lgkmcnt(0)
	v_xor_b32_e32 v11, 1, v11
	s_or_b64 exec, exec, s[2:3]
	v_cmp_eq_u32_e32 vcc, v11, v8
	s_and_saveexec_b64 s[0:1], vcc
	s_cbranch_execnz .LBB77_70
	s_branch .LBB77_71
.LBB77_201:
	ds_read_u8 v11, v1 offset:128
	s_andn2_b64 s[0:1], s[0:1], exec
	s_mov_b32 s6, 1
	s_waitcnt lgkmcnt(0)
	v_and_b32_e32 v11, 1, v11
	v_cmp_eq_u32_e32 vcc, 1, v11
	s_xor_b64 s[8:9], vcc, -1
	s_and_b64 s[8:9], s[8:9], exec
	s_or_b64 s[0:1], s[0:1], s[8:9]
	s_or_b64 exec, exec, s[2:3]
	v_mov_b32_e32 v11, s6
	s_and_saveexec_b64 s[2:3], s[0:1]
	s_cbranch_execz .LBB77_73
.LBB77_202:
	ds_read_u8 v11, v3 offset:129
	s_waitcnt lgkmcnt(0)
	v_xor_b32_e32 v11, 1, v11
	s_or_b64 exec, exec, s[2:3]
	v_cmp_eq_u32_e32 vcc, v11, v8
	s_and_saveexec_b64 s[0:1], vcc
	s_cbranch_execnz .LBB77_74
	s_branch .LBB77_75
.LBB77_203:
	ds_read_u8 v12, v7 offset:128
	s_andn2_b64 s[0:1], s[0:1], exec
	s_waitcnt lgkmcnt(0)
	v_and_b32_e32 v12, 1, v12
	v_cmp_eq_u32_e32 vcc, 1, v12
	s_xor_b64 s[8:9], vcc, -1
	s_and_b64 s[8:9], s[8:9], exec
	s_or_b64 s[0:1], s[0:1], s[8:9]
	s_or_b64 exec, exec, s[2:3]
	v_mov_b32_e32 v12, s6
	s_and_saveexec_b64 s[2:3], s[0:1]
	s_cbranch_execz .LBB77_83
.LBB77_204:
	ds_read_u8 v12, v7 offset:144
	s_waitcnt lgkmcnt(0)
	v_xor_b32_e32 v12, 1, v12
	s_or_b64 exec, exec, s[2:3]
	v_cmp_eq_u32_e32 vcc, v12, v8
	s_and_saveexec_b64 s[0:1], vcc
	s_cbranch_execnz .LBB77_84
	s_branch .LBB77_85
.LBB77_205:
	ds_read_u8 v12, v6 offset:128
	s_andn2_b64 s[0:1], s[0:1], exec
	s_waitcnt lgkmcnt(0)
	v_and_b32_e32 v12, 1, v12
	v_cmp_eq_u32_e32 vcc, 1, v12
	s_xor_b64 s[8:9], vcc, -1
	s_and_b64 s[8:9], s[8:9], exec
	s_or_b64 s[0:1], s[0:1], s[8:9]
	s_or_b64 exec, exec, s[2:3]
	v_mov_b32_e32 v12, s6
	s_and_saveexec_b64 s[2:3], s[0:1]
	s_cbranch_execz .LBB77_87
.LBB77_206:
	ds_read_u8 v12, v6 offset:136
	s_waitcnt lgkmcnt(0)
	v_xor_b32_e32 v12, 1, v12
	s_or_b64 exec, exec, s[2:3]
	v_cmp_eq_u32_e32 vcc, v12, v8
	s_and_saveexec_b64 s[0:1], vcc
	s_cbranch_execnz .LBB77_88
	s_branch .LBB77_89
.LBB77_207:
	ds_read_u8 v12, v5 offset:128
	s_andn2_b64 s[0:1], s[0:1], exec
	s_waitcnt lgkmcnt(0)
	v_and_b32_e32 v12, 1, v12
	v_cmp_eq_u32_e32 vcc, 1, v12
	s_xor_b64 s[8:9], vcc, -1
	s_and_b64 s[8:9], s[8:9], exec
	s_or_b64 s[0:1], s[0:1], s[8:9]
	s_or_b64 exec, exec, s[2:3]
	v_mov_b32_e32 v12, s6
	s_and_saveexec_b64 s[2:3], s[0:1]
	s_cbranch_execz .LBB77_91
.LBB77_208:
	ds_read_u8 v12, v5 offset:132
	s_waitcnt lgkmcnt(0)
	v_xor_b32_e32 v12, 1, v12
	s_or_b64 exec, exec, s[2:3]
	v_cmp_eq_u32_e32 vcc, v12, v8
	s_and_saveexec_b64 s[0:1], vcc
	s_cbranch_execnz .LBB77_92
	s_branch .LBB77_93
.LBB77_209:
	ds_read_u8 v12, v4 offset:128
	s_andn2_b64 s[0:1], s[0:1], exec
	s_waitcnt lgkmcnt(0)
	v_and_b32_e32 v12, 1, v12
	v_cmp_eq_u32_e32 vcc, 1, v12
	s_xor_b64 s[8:9], vcc, -1
	s_and_b64 s[8:9], s[8:9], exec
	s_or_b64 s[0:1], s[0:1], s[8:9]
	s_or_b64 exec, exec, s[2:3]
	v_mov_b32_e32 v12, s6
	s_and_saveexec_b64 s[2:3], s[0:1]
	s_cbranch_execz .LBB77_95
.LBB77_210:
	ds_read_u8 v12, v4 offset:130
	s_waitcnt lgkmcnt(0)
	v_xor_b32_e32 v12, 1, v12
	s_or_b64 exec, exec, s[2:3]
	v_cmp_eq_u32_e32 vcc, v12, v8
	s_and_saveexec_b64 s[0:1], vcc
	s_cbranch_execnz .LBB77_96
	s_branch .LBB77_97
.LBB77_211:
	ds_read_u8 v12, v1 offset:128
	s_andn2_b64 s[0:1], s[0:1], exec
	s_mov_b32 s6, 1
	s_waitcnt lgkmcnt(0)
	v_and_b32_e32 v12, 1, v12
	v_cmp_eq_u32_e32 vcc, 1, v12
	s_xor_b64 s[8:9], vcc, -1
	s_and_b64 s[8:9], s[8:9], exec
	s_or_b64 s[0:1], s[0:1], s[8:9]
	s_or_b64 exec, exec, s[2:3]
	v_mov_b32_e32 v12, s6
	s_and_saveexec_b64 s[2:3], s[0:1]
	s_cbranch_execz .LBB77_99
.LBB77_212:
	ds_read_u8 v12, v3 offset:129
	s_waitcnt lgkmcnt(0)
	v_xor_b32_e32 v12, 1, v12
	s_or_b64 exec, exec, s[2:3]
	v_cmp_eq_u32_e32 vcc, v12, v8
	s_and_saveexec_b64 s[0:1], vcc
	s_cbranch_execnz .LBB77_100
	s_branch .LBB77_101
.LBB77_213:
	ds_read_b32 v5, v14 offset:128
	s_or_b64 exec, exec, s[12:13]
	s_and_saveexec_b64 s[12:13], s[10:11]
	s_cbranch_execz .LBB77_170
.LBB77_214:
	ds_read_b32 v3, v14 offset:132
	s_or_b64 exec, exec, s[12:13]
	s_and_saveexec_b64 s[20:21], s[0:1]
	s_cbranch_execz .LBB77_171
.LBB77_215:
	s_waitcnt lgkmcnt(0)
	ds_bpermute_b32 v6, v1, v5
	ds_bpermute_b32 v7, v1, v3
	s_waitcnt lgkmcnt(1)
	v_max_u32_e32 v15, v6, v5
	v_cmp_gt_u32_e64 s[12:13], v6, v5
	ds_bpermute_b32 v16, v9, v15
	s_waitcnt lgkmcnt(1)
	v_cndmask_b32_e64 v3, v3, v7, s[12:13]
	ds_bpermute_b32 v5, v9, v3
	s_waitcnt lgkmcnt(1)
	v_max_u32_e32 v6, v16, v15
	v_cmp_gt_u32_e64 s[12:13], v16, v15
	ds_bpermute_b32 v7, v10, v6
	s_waitcnt lgkmcnt(1)
	v_cndmask_b32_e64 v3, v3, v5, s[12:13]
	;; [unrolled: 7-line block ×4, first 2 shown]
	ds_bpermute_b32 v5, v12, v3
	s_waitcnt lgkmcnt(1)
	v_max_u32_e32 v15, v7, v6
	v_cmp_gt_u32_e64 s[12:13], v7, v6
	s_waitcnt lgkmcnt(0)
	v_cndmask_b32_e64 v3, v3, v5, s[12:13]
	ds_bpermute_b32 v5, v13, v15
	ds_bpermute_b32 v6, v13, v3
	s_waitcnt lgkmcnt(1)
	v_cmp_gt_u32_e64 s[12:13], v5, v15
	s_waitcnt lgkmcnt(0)
	v_cndmask_b32_e64 v3, v3, v6, s[12:13]
	s_or_b64 exec, exec, s[20:21]
	s_and_saveexec_b64 s[12:13], vcc
	s_cbranch_execnz .LBB77_172
	s_branch .LBB77_173
.LBB77_216:
	v_lshlrev_b32_e32 v0, 2, v8
	v_sub_u32_e32 v0, v14, v0
	ds_read_b32 v0, v0
	s_or_b64 exec, exec, s[2:3]
	s_and_saveexec_b64 s[2:3], s[0:1]
	s_cbranch_execz .LBB77_181
.LBB77_217:
	s_waitcnt lgkmcnt(0)
	ds_bpermute_b32 v1, v1, v0
	s_waitcnt lgkmcnt(0)
	v_max_u32_e32 v0, v1, v0
	ds_bpermute_b32 v1, v9, v0
	s_waitcnt lgkmcnt(0)
	v_max_u32_e32 v0, v1, v0
	;; [unrolled: 3-line block ×6, first 2 shown]
	s_or_b64 exec, exec, s[2:3]
	s_and_saveexec_b64 s[0:1], vcc
	s_cbranch_execz .LBB77_182
.LBB77_218:
	s_load_dword s6, s[4:5], 0xd8
	s_load_dwordx2 s[0:1], s[4:5], 0xe0
	s_add_u32 s2, s4, 8
	s_addc_u32 s3, s5, 0
	s_mov_b32 s5, 0
	s_waitcnt lgkmcnt(0)
	s_cmp_lt_i32 s6, 2
	s_cbranch_scc1 .LBB77_221
; %bb.219:
	s_add_i32 s4, s6, -1
	s_add_i32 s8, s6, 1
	s_lshl_b64 s[6:7], s[4:5], 2
	s_add_u32 s4, s6, s2
	s_addc_u32 s7, s7, s3
	s_add_u32 s6, s4, 8
	s_addc_u32 s7, s7, 0
.LBB77_220:                             ; =>This Inner Loop Header: Depth=1
	s_load_dword s4, s[6:7], 0x0
	s_load_dword s10, s[6:7], 0x64
	s_mov_b32 s9, s14
	s_waitcnt lgkmcnt(0)
	v_cvt_f32_u32_e32 v1, s4
	s_sub_i32 s11, 0, s4
	v_rcp_iflag_f32_e32 v1, v1
	v_mul_f32_e32 v1, 0x4f7ffffe, v1
	v_cvt_u32_f32_e32 v1, v1
	v_readfirstlane_b32 s12, v1
	s_mul_i32 s11, s11, s12
	s_mul_hi_u32 s11, s12, s11
	s_add_i32 s12, s12, s11
	s_mul_hi_u32 s11, s14, s12
	s_mul_i32 s12, s11, s4
	s_sub_i32 s12, s14, s12
	s_add_i32 s13, s11, 1
	s_sub_i32 s14, s12, s4
	s_cmp_ge_u32 s12, s4
	s_cselect_b32 s11, s13, s11
	s_cselect_b32 s12, s14, s12
	s_add_i32 s13, s11, 1
	s_cmp_ge_u32 s12, s4
	s_cselect_b32 s14, s13, s11
	s_mul_i32 s4, s14, s4
	s_sub_i32 s4, s9, s4
	s_mul_i32 s4, s10, s4
	s_add_i32 s8, s8, -1
	s_add_i32 s5, s4, s5
	s_add_u32 s6, s6, -4
	s_addc_u32 s7, s7, -1
	s_cmp_gt_u32 s8, 2
	s_cbranch_scc1 .LBB77_220
.LBB77_221:
	s_load_dword s4, s[2:3], 0x6c
	v_mov_b32_e32 v1, 0
	s_load_dwordx2 s[2:3], s[2:3], 0x0
	ds_read_u8 v2, v1
	s_mov_b32 s7, 0
	s_waitcnt lgkmcnt(0)
	s_mul_i32 s4, s4, s14
	s_add_i32 s6, s4, s5
	v_mov_b32_e32 v3, s6
	global_store_byte v3, v2, s[2:3]
	s_lshl_b64 s[2:3], s[6:7], 3
	s_add_u32 s0, s0, s2
	s_addc_u32 s1, s1, s3
	global_store_dwordx2 v1, v[0:1], s[0:1]
	s_endpgm
	.section	.rodata,"a",@progbits
	.p2align	6, 0x0
	.amdhsa_kernel _ZN2at6native12compute_modeIhLj128EEEvPKT_NS_4cuda6detail10TensorInfoIS2_jEENS7_IljEEll
		.amdhsa_group_segment_fixed_size 1
		.amdhsa_private_segment_fixed_size 0
		.amdhsa_kernarg_size 712
		.amdhsa_user_sgpr_count 6
		.amdhsa_user_sgpr_private_segment_buffer 1
		.amdhsa_user_sgpr_dispatch_ptr 0
		.amdhsa_user_sgpr_queue_ptr 0
		.amdhsa_user_sgpr_kernarg_segment_ptr 1
		.amdhsa_user_sgpr_dispatch_id 0
		.amdhsa_user_sgpr_flat_scratch_init 0
		.amdhsa_user_sgpr_kernarg_preload_length 0
		.amdhsa_user_sgpr_kernarg_preload_offset 0
		.amdhsa_user_sgpr_private_segment_size 0
		.amdhsa_uses_dynamic_stack 0
		.amdhsa_system_sgpr_private_segment_wavefront_offset 0
		.amdhsa_system_sgpr_workgroup_id_x 1
		.amdhsa_system_sgpr_workgroup_id_y 1
		.amdhsa_system_sgpr_workgroup_id_z 1
		.amdhsa_system_sgpr_workgroup_info 0
		.amdhsa_system_vgpr_workitem_id 0
		.amdhsa_next_free_vgpr 19
		.amdhsa_next_free_sgpr 22
		.amdhsa_accum_offset 20
		.amdhsa_reserve_vcc 1
		.amdhsa_reserve_flat_scratch 0
		.amdhsa_float_round_mode_32 0
		.amdhsa_float_round_mode_16_64 0
		.amdhsa_float_denorm_mode_32 3
		.amdhsa_float_denorm_mode_16_64 3
		.amdhsa_dx10_clamp 1
		.amdhsa_ieee_mode 1
		.amdhsa_fp16_overflow 0
		.amdhsa_tg_split 0
		.amdhsa_exception_fp_ieee_invalid_op 0
		.amdhsa_exception_fp_denorm_src 0
		.amdhsa_exception_fp_ieee_div_zero 0
		.amdhsa_exception_fp_ieee_overflow 0
		.amdhsa_exception_fp_ieee_underflow 0
		.amdhsa_exception_fp_ieee_inexact 0
		.amdhsa_exception_int_div_zero 0
	.end_amdhsa_kernel
	.section	.text._ZN2at6native12compute_modeIhLj128EEEvPKT_NS_4cuda6detail10TensorInfoIS2_jEENS7_IljEEll,"axG",@progbits,_ZN2at6native12compute_modeIhLj128EEEvPKT_NS_4cuda6detail10TensorInfoIS2_jEENS7_IljEEll,comdat
.Lfunc_end77:
	.size	_ZN2at6native12compute_modeIhLj128EEEvPKT_NS_4cuda6detail10TensorInfoIS2_jEENS7_IljEEll, .Lfunc_end77-_ZN2at6native12compute_modeIhLj128EEEvPKT_NS_4cuda6detail10TensorInfoIS2_jEENS7_IljEEll
                                        ; -- End function
	.section	.AMDGPU.csdata,"",@progbits
; Kernel info:
; codeLenInByte = 9844
; NumSgprs: 26
; NumVgprs: 19
; NumAgprs: 0
; TotalNumVgprs: 19
; ScratchSize: 0
; MemoryBound: 0
; FloatMode: 240
; IeeeMode: 1
; LDSByteSize: 1 bytes/workgroup (compile time only)
; SGPRBlocks: 3
; VGPRBlocks: 2
; NumSGPRsForWavesPerEU: 26
; NumVGPRsForWavesPerEU: 19
; AccumOffset: 20
; Occupancy: 8
; WaveLimiterHint : 1
; COMPUTE_PGM_RSRC2:SCRATCH_EN: 0
; COMPUTE_PGM_RSRC2:USER_SGPR: 6
; COMPUTE_PGM_RSRC2:TRAP_HANDLER: 0
; COMPUTE_PGM_RSRC2:TGID_X_EN: 1
; COMPUTE_PGM_RSRC2:TGID_Y_EN: 1
; COMPUTE_PGM_RSRC2:TGID_Z_EN: 1
; COMPUTE_PGM_RSRC2:TIDIG_COMP_CNT: 0
; COMPUTE_PGM_RSRC3_GFX90A:ACCUM_OFFSET: 4
; COMPUTE_PGM_RSRC3_GFX90A:TG_SPLIT: 0
	.section	.text._ZN2at6native12compute_modeIaLj2048EEEvPKT_NS_4cuda6detail10TensorInfoIS2_jEENS7_IljEEll,"axG",@progbits,_ZN2at6native12compute_modeIaLj2048EEEvPKT_NS_4cuda6detail10TensorInfoIS2_jEENS7_IljEEll,comdat
	.protected	_ZN2at6native12compute_modeIaLj2048EEEvPKT_NS_4cuda6detail10TensorInfoIS2_jEENS7_IljEEll ; -- Begin function _ZN2at6native12compute_modeIaLj2048EEEvPKT_NS_4cuda6detail10TensorInfoIS2_jEENS7_IljEEll
	.globl	_ZN2at6native12compute_modeIaLj2048EEEvPKT_NS_4cuda6detail10TensorInfoIS2_jEENS7_IljEEll
	.p2align	8
	.type	_ZN2at6native12compute_modeIaLj2048EEEvPKT_NS_4cuda6detail10TensorInfoIS2_jEENS7_IljEEll,@function
_ZN2at6native12compute_modeIaLj2048EEEvPKT_NS_4cuda6detail10TensorInfoIS2_jEENS7_IljEEll: ; @_ZN2at6native12compute_modeIaLj2048EEEvPKT_NS_4cuda6detail10TensorInfoIS2_jEENS7_IljEEll
; %bb.0:
	s_load_dwordx4 s[16:19], s[4:5], 0x1b8
	s_load_dwordx2 s[2:3], s[4:5], 0x1c8
	s_add_u32 s0, s4, 0x1c8
	s_addc_u32 s1, s5, 0
	s_waitcnt lgkmcnt(0)
	v_mov_b32_e32 v2, s18
	s_mul_i32 s3, s3, s8
	s_add_i32 s3, s3, s7
	s_mul_i32 s2, s3, s2
	v_mov_b32_e32 v3, s19
	s_add_i32 s18, s2, s6
	s_mov_b32 s19, 0
	v_cmp_ge_i64_e32 vcc, s[18:19], v[2:3]
	s_cbranch_vccnz .LBB78_134
; %bb.1:
	s_load_dwordx2 s[20:21], s[4:5], 0x0
	s_load_dword s2, s[0:1], 0xc
	v_mov_b32_e32 v3, 0
	v_mov_b32_e32 v1, v3
	s_mul_i32 s19, s18, s16
	v_cmp_gt_i64_e32 vcc, s[16:17], v[0:1]
	v_add_u32_e32 v1, 1, v0
	s_and_saveexec_b64 s[0:1], vcc
	s_cbranch_execz .LBB78_3
; %bb.2:
	v_add_u32_e32 v2, s19, v0
	s_waitcnt lgkmcnt(0)
	global_load_ubyte v2, v2, s[20:21]
	s_waitcnt vmcnt(0)
	ds_write_b8 v1, v2
.LBB78_3:
	s_or_b64 exec, exec, s[0:1]
	s_load_dwordx2 s[14:15], s[4:5], 0xe0
	s_waitcnt lgkmcnt(0)
	s_and_b32 s22, 0xffff, s2
	v_add_u32_e32 v2, s22, v0
	v_cmp_gt_i64_e64 s[0:1], s[16:17], v[2:3]
	s_and_saveexec_b64 s[2:3], s[0:1]
	s_cbranch_execz .LBB78_5
; %bb.4:
	v_add_u32_e32 v3, s19, v2
	global_load_ubyte v3, v3, s[20:21]
	v_add_u32_e32 v2, 1, v2
	s_waitcnt vmcnt(0)
	ds_write_b8 v2, v3
.LBB78_5:
	s_or_b64 exec, exec, s[2:3]
	v_cndmask_b32_e64 v2, 0, 1, vcc
	ds_write_b8 v1, v2 offset:2048
	v_add_u32_e32 v2, s22, v1
	v_cndmask_b32_e64 v3, 0, 1, s[0:1]
	ds_write_b8 v2, v3 offset:2048
	v_lshlrev_b32_e32 v2, 1, v0
	s_mov_b32 s6, 2
	s_waitcnt lgkmcnt(0)
	s_barrier
	s_branch .LBB78_7
.LBB78_6:                               ;   in Loop: Header=BB78_7 Depth=1
	s_lshl_b32 s0, s6, 2
	s_cmpk_gt_u32 s6, 0x1ff
	s_mov_b32 s6, s0
	s_cbranch_scc1 .LBB78_23
.LBB78_7:                               ; =>This Loop Header: Depth=1
                                        ;     Child Loop BB78_9 Depth 2
                                        ;     Child Loop BB78_17 Depth 2
	s_lshr_b32 s7, s6, 1
	v_and_b32_e32 v3, s7, v0
	v_cmp_ne_u32_e32 vcc, 0, v3
	v_cndmask_b32_e64 v3, 0, 1, vcc
	s_branch .LBB78_9
.LBB78_8:                               ;   in Loop: Header=BB78_9 Depth=2
	s_or_b64 exec, exec, s[0:1]
	s_lshr_b32 s0, s7, 1
	s_cmp_lt_u32 s7, 2
	s_mov_b32 s7, s0
	s_cbranch_scc1 .LBB78_15
.LBB78_9:                               ;   Parent Loop BB78_7 Depth=1
                                        ; =>  This Inner Loop Header: Depth=2
	s_add_i32 s0, s7, -1
	v_and_b32_e32 v4, s0, v0
	v_sub_u32_e32 v4, v2, v4
	v_add_u32_e32 v4, 1, v4
	s_barrier
	v_add_u32_e32 v5, s7, v4
	ds_read_i8 v6, v4
	ds_read_i8 v7, v5
                                        ; implicit-def: $sgpr8
	s_waitcnt lgkmcnt(0)
	v_cmp_ge_i16_e64 s[0:1], v6, v7
	v_cmp_lt_i16_e32 vcc, v6, v7
	s_and_saveexec_b64 s[2:3], vcc
	s_cbranch_execnz .LBB78_12
; %bb.10:                               ;   in Loop: Header=BB78_9 Depth=2
	s_or_b64 exec, exec, s[2:3]
	v_mov_b32_e32 v8, s8
	s_and_saveexec_b64 s[2:3], s[0:1]
	s_cbranch_execnz .LBB78_13
.LBB78_11:                              ;   in Loop: Header=BB78_9 Depth=2
	s_or_b64 exec, exec, s[2:3]
	v_cmp_eq_u32_e32 vcc, v8, v3
	s_and_saveexec_b64 s[0:1], vcc
	s_cbranch_execz .LBB78_8
	s_branch .LBB78_14
.LBB78_12:                              ;   in Loop: Header=BB78_9 Depth=2
	ds_read_u8 v8, v4 offset:2048
	s_andn2_b64 s[0:1], s[0:1], exec
	s_mov_b32 s8, 1
	s_waitcnt lgkmcnt(0)
	v_and_b32_e32 v8, 1, v8
	v_cmp_eq_u32_e32 vcc, 1, v8
	s_xor_b64 s[10:11], vcc, -1
	s_and_b64 s[10:11], s[10:11], exec
	s_or_b64 s[0:1], s[0:1], s[10:11]
	s_or_b64 exec, exec, s[2:3]
	v_mov_b32_e32 v8, s8
	s_and_saveexec_b64 s[2:3], s[0:1]
	s_cbranch_execz .LBB78_11
.LBB78_13:                              ;   in Loop: Header=BB78_9 Depth=2
	ds_read_u8 v8, v5 offset:2048
	s_waitcnt lgkmcnt(0)
	v_xor_b32_e32 v8, 1, v8
	s_or_b64 exec, exec, s[2:3]
	v_cmp_eq_u32_e32 vcc, v8, v3
	s_and_saveexec_b64 s[0:1], vcc
	s_cbranch_execz .LBB78_8
.LBB78_14:                              ;   in Loop: Header=BB78_9 Depth=2
	ds_write_b8 v4, v7
	ds_write_b8 v5, v6
	ds_read_u8 v6, v5 offset:2048
	ds_read_u8 v7, v4 offset:2048
	s_waitcnt lgkmcnt(1)
	ds_write_b8 v4, v6 offset:2048
	s_waitcnt lgkmcnt(1)
	ds_write_b8 v5, v7 offset:2048
	s_branch .LBB78_8
.LBB78_15:                              ;   in Loop: Header=BB78_7 Depth=1
	v_and_b32_e32 v3, s6, v0
	v_cmp_ne_u32_e32 vcc, 0, v3
	v_cndmask_b32_e64 v3, 0, 1, vcc
	s_mov_b32 s7, s6
	s_branch .LBB78_17
.LBB78_16:                              ;   in Loop: Header=BB78_17 Depth=2
	s_or_b64 exec, exec, s[0:1]
	s_lshr_b32 s0, s7, 1
	s_cmp_gt_u32 s7, 1
	s_mov_b32 s7, s0
	s_cbranch_scc0 .LBB78_6
.LBB78_17:                              ;   Parent Loop BB78_7 Depth=1
                                        ; =>  This Inner Loop Header: Depth=2
	s_add_i32 s0, s7, -1
	v_and_b32_e32 v4, s0, v0
	v_sub_u32_e32 v4, v2, v4
	v_add_u32_e32 v4, 1, v4
	s_waitcnt lgkmcnt(0)
	s_barrier
	v_add_u32_e32 v5, s7, v4
	ds_read_i8 v6, v4
	ds_read_i8 v7, v5
                                        ; implicit-def: $sgpr8
	s_waitcnt lgkmcnt(0)
	v_cmp_ge_i16_e64 s[0:1], v6, v7
	v_cmp_lt_i16_e32 vcc, v6, v7
	s_and_saveexec_b64 s[2:3], vcc
	s_cbranch_execnz .LBB78_20
; %bb.18:                               ;   in Loop: Header=BB78_17 Depth=2
	s_or_b64 exec, exec, s[2:3]
	v_mov_b32_e32 v8, s8
	s_and_saveexec_b64 s[2:3], s[0:1]
	s_cbranch_execnz .LBB78_21
.LBB78_19:                              ;   in Loop: Header=BB78_17 Depth=2
	s_or_b64 exec, exec, s[2:3]
	v_cmp_eq_u32_e32 vcc, v8, v3
	s_and_saveexec_b64 s[0:1], vcc
	s_cbranch_execz .LBB78_16
	s_branch .LBB78_22
.LBB78_20:                              ;   in Loop: Header=BB78_17 Depth=2
	ds_read_u8 v8, v4 offset:2048
	s_andn2_b64 s[0:1], s[0:1], exec
	s_mov_b32 s8, 1
	s_waitcnt lgkmcnt(0)
	v_and_b32_e32 v8, 1, v8
	v_cmp_eq_u32_e32 vcc, 1, v8
	s_xor_b64 s[10:11], vcc, -1
	s_and_b64 s[10:11], s[10:11], exec
	s_or_b64 s[0:1], s[0:1], s[10:11]
	s_or_b64 exec, exec, s[2:3]
	v_mov_b32_e32 v8, s8
	s_and_saveexec_b64 s[2:3], s[0:1]
	s_cbranch_execz .LBB78_19
.LBB78_21:                              ;   in Loop: Header=BB78_17 Depth=2
	ds_read_u8 v8, v5 offset:2048
	s_waitcnt lgkmcnt(0)
	v_xor_b32_e32 v8, 1, v8
	s_or_b64 exec, exec, s[2:3]
	v_cmp_eq_u32_e32 vcc, v8, v3
	s_and_saveexec_b64 s[0:1], vcc
	s_cbranch_execz .LBB78_16
.LBB78_22:                              ;   in Loop: Header=BB78_17 Depth=2
	ds_write_b8 v4, v7
	ds_write_b8 v5, v6
	ds_read_u8 v6, v5 offset:2048
	ds_read_u8 v7, v4 offset:2048
	s_waitcnt lgkmcnt(1)
	ds_write_b8 v4, v6 offset:2048
	s_waitcnt lgkmcnt(1)
	ds_write_b8 v5, v7 offset:2048
	s_branch .LBB78_16
.LBB78_23:
	s_waitcnt lgkmcnt(0)
	s_barrier
	ds_read_i8 v3, v1
	ds_read_i8 v4, v1 offset:1024
	s_mov_b32 s6, 1
	s_waitcnt lgkmcnt(0)
	v_cmp_ge_i16_e64 s[0:1], v3, v4
	v_cmp_lt_i16_e32 vcc, v3, v4
	s_and_saveexec_b64 s[2:3], vcc
	s_cbranch_execnz .LBB78_135
; %bb.24:
	s_or_b64 exec, exec, s[2:3]
	v_mov_b32_e32 v5, s6
	s_and_saveexec_b64 s[2:3], s[0:1]
	s_cbranch_execnz .LBB78_136
.LBB78_25:
	s_or_b64 exec, exec, s[2:3]
	v_cmp_eq_u32_e32 vcc, 0, v5
	s_and_saveexec_b64 s[0:1], vcc
	s_cbranch_execz .LBB78_27
.LBB78_26:
	ds_read_u8 v5, v1 offset:3072
	ds_read_u8 v6, v1 offset:2048
	ds_write_b8 v1, v4
	ds_write_b8 v1, v3 offset:1024
	s_waitcnt lgkmcnt(3)
	ds_write_b8 v1, v5 offset:2048
	s_waitcnt lgkmcnt(3)
	ds_write_b8 v1, v6 offset:3072
.LBB78_27:
	s_or_b64 exec, exec, s[0:1]
	v_and_b32_e32 v1, 0x1ff, v0
	v_sub_u32_e32 v1, v2, v1
	v_add_u32_e32 v1, 1, v1
	s_waitcnt lgkmcnt(0)
	s_barrier
	ds_read_i8 v3, v1
	ds_read_i8 v4, v1 offset:512
	s_waitcnt lgkmcnt(0)
	v_cmp_ge_i16_e64 s[0:1], v3, v4
	v_cmp_lt_i16_e32 vcc, v3, v4
	s_and_saveexec_b64 s[2:3], vcc
	s_cbranch_execnz .LBB78_137
; %bb.28:
	s_or_b64 exec, exec, s[2:3]
	v_mov_b32_e32 v5, s6
	s_and_saveexec_b64 s[2:3], s[0:1]
	s_cbranch_execnz .LBB78_138
.LBB78_29:
	s_or_b64 exec, exec, s[2:3]
	v_cmp_eq_u32_e32 vcc, 0, v5
	s_and_saveexec_b64 s[0:1], vcc
	s_cbranch_execz .LBB78_31
.LBB78_30:
	ds_read_u8 v5, v1 offset:2560
	ds_read_u8 v6, v1 offset:2048
	ds_write_b8 v1, v4
	ds_write_b8 v1, v3 offset:512
	s_waitcnt lgkmcnt(3)
	ds_write_b8 v1, v5 offset:2048
	s_waitcnt lgkmcnt(3)
	ds_write_b8 v1, v6 offset:2560
.LBB78_31:
	s_or_b64 exec, exec, s[0:1]
	v_sub_u32_sdwa v1, v2, v0 dst_sel:DWORD dst_unused:UNUSED_PAD src0_sel:DWORD src1_sel:BYTE_0
	v_add_u32_e32 v1, 1, v1
	s_waitcnt lgkmcnt(0)
	s_barrier
	ds_read_i8 v3, v1
	ds_read_i8 v4, v1 offset:256
	s_waitcnt lgkmcnt(0)
	v_cmp_ge_i16_e64 s[0:1], v3, v4
	v_cmp_lt_i16_e32 vcc, v3, v4
	s_and_saveexec_b64 s[2:3], vcc
	s_cbranch_execnz .LBB78_139
; %bb.32:
	s_or_b64 exec, exec, s[2:3]
	v_mov_b32_e32 v5, s6
	s_and_saveexec_b64 s[2:3], s[0:1]
	s_cbranch_execnz .LBB78_140
.LBB78_33:
	s_or_b64 exec, exec, s[2:3]
	v_cmp_eq_u32_e32 vcc, 0, v5
	s_and_saveexec_b64 s[0:1], vcc
	s_cbranch_execz .LBB78_35
.LBB78_34:
	ds_read_u8 v5, v1 offset:2304
	ds_read_u8 v6, v1 offset:2048
	ds_write_b8 v1, v4
	ds_write_b8 v1, v3 offset:256
	s_waitcnt lgkmcnt(3)
	ds_write_b8 v1, v5 offset:2048
	s_waitcnt lgkmcnt(3)
	ds_write_b8 v1, v6 offset:2304
.LBB78_35:
	s_or_b64 exec, exec, s[0:1]
	v_and_b32_e32 v1, 0x7f, v0
	v_sub_u32_e32 v1, v2, v1
	v_add_u32_e32 v1, 1, v1
	s_waitcnt lgkmcnt(0)
	s_barrier
	ds_read_i8 v3, v1
	ds_read_i8 v4, v1 offset:128
	s_waitcnt lgkmcnt(0)
	v_cmp_ge_i16_e64 s[0:1], v3, v4
	v_cmp_lt_i16_e32 vcc, v3, v4
	s_and_saveexec_b64 s[2:3], vcc
	s_cbranch_execnz .LBB78_141
; %bb.36:
	s_or_b64 exec, exec, s[2:3]
	v_mov_b32_e32 v5, s6
	s_and_saveexec_b64 s[2:3], s[0:1]
	s_cbranch_execnz .LBB78_142
.LBB78_37:
	s_or_b64 exec, exec, s[2:3]
	v_cmp_eq_u32_e32 vcc, 0, v5
	s_and_saveexec_b64 s[0:1], vcc
	s_cbranch_execz .LBB78_39
.LBB78_38:
	ds_read_u8 v5, v1 offset:2176
	ds_read_u8 v6, v1 offset:2048
	ds_write_b8 v1, v4
	ds_write_b8 v1, v3 offset:128
	s_waitcnt lgkmcnt(3)
	ds_write_b8 v1, v5 offset:2048
	s_waitcnt lgkmcnt(3)
	ds_write_b8 v1, v6 offset:2176
.LBB78_39:
	s_or_b64 exec, exec, s[0:1]
	v_and_b32_e32 v1, 63, v0
	v_sub_u32_e32 v3, v2, v1
	v_add_u32_e32 v3, 1, v3
	s_waitcnt lgkmcnt(0)
	s_barrier
	ds_read_i8 v4, v3
	ds_read_i8 v5, v3 offset:64
	s_waitcnt lgkmcnt(0)
	v_cmp_ge_i16_e64 s[2:3], v4, v5
	v_cmp_lt_i16_e32 vcc, v4, v5
	s_and_saveexec_b64 s[0:1], vcc
	s_cbranch_execz .LBB78_41
; %bb.40:
	ds_read_u8 v6, v3 offset:2048
	s_andn2_b64 s[2:3], s[2:3], exec
	s_waitcnt lgkmcnt(0)
	v_and_b32_e32 v6, 1, v6
	v_cmp_eq_u32_e32 vcc, 1, v6
	s_xor_b64 s[6:7], vcc, -1
	s_and_b64 s[6:7], s[6:7], exec
	s_or_b64 s[2:3], s[2:3], s[6:7]
.LBB78_41:
	s_or_b64 exec, exec, s[0:1]
	s_and_saveexec_b64 s[0:1], s[2:3]
	s_cbranch_execz .LBB78_44
; %bb.42:
	ds_read_u8 v6, v3 offset:2112
	s_waitcnt lgkmcnt(0)
	v_cmp_ne_u16_e32 vcc, 0, v6
	s_and_b64 exec, exec, vcc
	s_cbranch_execz .LBB78_44
; %bb.43:
	ds_read_u8 v7, v3 offset:2048
	ds_write_b8 v3, v5
	ds_write_b8 v3, v4 offset:64
	ds_write_b8 v3, v6 offset:2048
	s_waitcnt lgkmcnt(3)
	ds_write_b8 v3, v7 offset:2112
.LBB78_44:
	s_or_b64 exec, exec, s[0:1]
	v_and_b32_e32 v3, 31, v0
	v_sub_u32_e32 v3, v2, v3
	v_add_u32_e32 v3, 1, v3
	s_waitcnt lgkmcnt(0)
	s_barrier
	ds_read_i8 v4, v3
	ds_read_i8 v5, v3 offset:32
	s_waitcnt lgkmcnt(0)
	v_cmp_ge_i16_e64 s[2:3], v4, v5
	v_cmp_lt_i16_e32 vcc, v4, v5
	s_and_saveexec_b64 s[0:1], vcc
	s_cbranch_execz .LBB78_46
; %bb.45:
	ds_read_u8 v6, v3 offset:2048
	s_andn2_b64 s[2:3], s[2:3], exec
	s_waitcnt lgkmcnt(0)
	v_and_b32_e32 v6, 1, v6
	v_cmp_eq_u32_e32 vcc, 1, v6
	s_xor_b64 s[6:7], vcc, -1
	s_and_b64 s[6:7], s[6:7], exec
	s_or_b64 s[2:3], s[2:3], s[6:7]
.LBB78_46:
	s_or_b64 exec, exec, s[0:1]
	s_and_saveexec_b64 s[0:1], s[2:3]
	s_cbranch_execz .LBB78_49
; %bb.47:
	ds_read_u8 v6, v3 offset:2080
	s_waitcnt lgkmcnt(0)
	v_cmp_ne_u16_e32 vcc, 0, v6
	s_and_b64 exec, exec, vcc
	s_cbranch_execz .LBB78_49
; %bb.48:
	ds_read_u8 v7, v3 offset:2048
	ds_write_b8 v3, v5
	ds_write_b8 v3, v4 offset:32
	ds_write_b8 v3, v6 offset:2048
	s_waitcnt lgkmcnt(3)
	ds_write_b8 v3, v7 offset:2080
.LBB78_49:
	;; [unrolled: 40-line block ×6, first 2 shown]
	s_or_b64 exec, exec, s[0:1]
	v_add_u32_e32 v4, 1, v2
	s_waitcnt lgkmcnt(0)
	s_barrier
	ds_read_i8 v3, v4
	ds_read_i8 v6, v4 offset:1
	s_add_i32 s10, 1, 0x800
	s_waitcnt lgkmcnt(0)
	v_cmp_ge_i16_e64 s[2:3], v3, v6
	v_cmp_lt_i16_e32 vcc, v3, v6
	s_and_saveexec_b64 s[0:1], vcc
	s_cbranch_execz .LBB78_71
; %bb.70:
	ds_read_u8 v5, v4 offset:2048
	s_andn2_b64 s[2:3], s[2:3], exec
	s_waitcnt lgkmcnt(0)
	v_and_b32_e32 v5, 1, v5
	v_cmp_eq_u32_e32 vcc, 1, v5
	s_xor_b64 s[6:7], vcc, -1
	s_and_b64 s[6:7], s[6:7], exec
	s_or_b64 s[2:3], s[2:3], s[6:7]
.LBB78_71:
	s_or_b64 exec, exec, s[0:1]
	v_add_u32_e32 v5, s10, v2
	s_and_saveexec_b64 s[0:1], s[2:3]
	s_cbranch_execz .LBB78_74
; %bb.72:
	ds_read_u8 v7, v5 offset:1
	s_waitcnt lgkmcnt(0)
	v_cmp_ne_u16_e32 vcc, 0, v7
	s_and_b64 exec, exec, vcc
	s_cbranch_execz .LBB78_74
; %bb.73:
	ds_read_u8 v8, v4 offset:2048
	ds_write_b8 v4, v6
	ds_write_b8 v4, v3 offset:1
	ds_write_b8 v4, v7 offset:2048
	s_waitcnt lgkmcnt(3)
	ds_write_b8 v5, v8 offset:1
.LBB78_74:
	s_or_b64 exec, exec, s[0:1]
	v_cmp_eq_u32_e32 vcc, 0, v0
	s_waitcnt lgkmcnt(0)
	s_barrier
	s_barrier
	s_and_saveexec_b64 s[0:1], vcc
	s_cbranch_execz .LBB78_76
; %bb.75:
	v_mov_b32_e32 v3, 1
	v_mov_b32_e32 v6, 0
	ds_write_b8 v3, v3 offset:2052
	ds_write_b32 v3, v6 offset:2048
.LBB78_76:
	s_or_b64 exec, exec, s[0:1]
	ds_read_u8 v3, v4
	ds_read_u8 v7, v4 offset:1
	v_mad_u32_u24 v8, v0, 14, v5
	v_mul_u32_u24_e32 v6, 14, v0
	s_waitcnt lgkmcnt(0)
	v_cmp_ne_u16_e64 s[0:1], v3, v7
	v_cndmask_b32_e64 v9, 0, 1, s[0:1]
	v_cmp_eq_u16_e64 s[0:1], v3, v7
	v_cndmask_b32_e64 v3, 0, 1, s[0:1]
	s_movk_i32 s0, 0x3ff
	ds_write_b32 v8, v3 offset:8
	v_cmp_ne_u32_e64 s[2:3], s0, v0
	v_mov_b32_e32 v3, 0x800
	ds_write_b8 v8, v9 offset:12
	s_and_saveexec_b64 s[6:7], s[2:3]
	s_cbranch_execz .LBB78_78
; %bb.77:
	ds_read_u8 v8, v4 offset:2
	v_add_u32_e32 v3, 2, v2
	v_lshl_add_u32 v9, v2, 3, s10
	s_waitcnt lgkmcnt(0)
	v_cmp_ne_u16_e64 s[0:1], v7, v8
	v_cndmask_b32_e64 v10, 0, 1, s[0:1]
	v_cmp_eq_u16_e64 s[0:1], v7, v8
	v_cndmask_b32_e64 v7, 0, 1, s[0:1]
	ds_write_b8 v9, v10 offset:20
	ds_write_b32 v9, v7 offset:16
.LBB78_78:
	s_or_b64 exec, exec, s[6:7]
	v_add_u32_e32 v5, v5, v6
	s_waitcnt lgkmcnt(0)
	s_barrier
	ds_read_u8 v7, v5 offset:12
	v_add_u32_e32 v4, v4, v6
	ds_read_b32 v6, v4 offset:2048
	ds_read_b32 v8, v5 offset:8
	ds_read_u8 v9, v4 offset:2052
	s_waitcnt lgkmcnt(3)
	v_and_b32_e32 v10, 1, v7
	v_cmp_eq_u32_e64 s[0:1], 1, v10
	s_waitcnt lgkmcnt(2)
	v_cndmask_b32_e64 v6, v6, 0, s[0:1]
	s_waitcnt lgkmcnt(0)
	v_or_b32_e32 v7, v9, v7
	v_add_u32_e32 v6, v6, v8
	v_and_b32_e32 v7, 1, v7
	ds_write2_b32 v5, v6, v7 offset0:2 offset1:3
	v_lshlrev_b32_e32 v6, 1, v3
	s_movk_i32 s0, 0x200
	v_add_u32_e32 v7, -1, v6
	v_cmp_gt_u32_e64 s[0:1], s0, v0
	s_waitcnt lgkmcnt(0)
	s_barrier
	s_and_saveexec_b64 s[6:7], s[0:1]
	s_cbranch_execz .LBB78_80
; %bb.79:
	v_lshl_add_u32 v8, v7, 3, 1
	ds_read_b32 v9, v8 offset:2048
	ds_read_u8 v10, v8 offset:2052
	v_lshl_add_u32 v11, v6, 3, 1
	ds_read_b32 v12, v11 offset:2024
	ds_read_u8 v11, v11 offset:2028
	v_add_u32_e32 v8, 0x800, v8
	s_waitcnt lgkmcnt(2)
	v_and_b32_e32 v13, 1, v10
	v_cmp_eq_u32_e64 s[0:1], 1, v13
	s_waitcnt lgkmcnt(1)
	v_cndmask_b32_e64 v12, v12, 0, s[0:1]
	s_waitcnt lgkmcnt(0)
	v_or_b32_e32 v10, v11, v10
	v_add_u32_e32 v9, v12, v9
	v_and_b32_e32 v10, 1, v10
	ds_write2_b32 v8, v9, v10 offset1:1
.LBB78_80:
	s_or_b64 exec, exec, s[6:7]
	s_movk_i32 s0, 0x100
	v_lshlrev_b32_e32 v8, 2, v3
	v_add_u32_e32 v7, v7, v6
	v_cmp_gt_u32_e64 s[0:1], s0, v0
	s_waitcnt lgkmcnt(0)
	s_barrier
	s_and_saveexec_b64 s[6:7], s[0:1]
	s_cbranch_execz .LBB78_82
; %bb.81:
	v_lshl_add_u32 v9, v7, 3, 1
	ds_read_b32 v10, v9 offset:2048
	ds_read_u8 v11, v9 offset:2052
	v_lshl_add_u32 v12, v8, 3, 1
	ds_read_b32 v13, v12 offset:2008
	ds_read_u8 v12, v12 offset:2012
	v_add_u32_e32 v9, 0x800, v9
	s_waitcnt lgkmcnt(2)
	v_and_b32_e32 v14, 1, v11
	v_cmp_eq_u32_e64 s[0:1], 1, v14
	s_waitcnt lgkmcnt(1)
	v_cndmask_b32_e64 v13, v13, 0, s[0:1]
	s_waitcnt lgkmcnt(0)
	v_or_b32_e32 v11, v12, v11
	v_add_u32_e32 v10, v13, v10
	v_and_b32_e32 v11, 1, v11
	ds_write2_b32 v9, v10, v11 offset1:1
.LBB78_82:
	s_or_b64 exec, exec, s[6:7]
	s_movk_i32 s0, 0x80
	v_lshlrev_b32_e32 v10, 3, v3
	v_add_u32_e32 v9, v7, v8
	v_cmp_gt_u32_e64 s[0:1], s0, v0
	s_waitcnt lgkmcnt(0)
	s_barrier
	s_and_saveexec_b64 s[6:7], s[0:1]
	s_cbranch_execz .LBB78_84
; %bb.83:
	v_lshl_add_u32 v11, v9, 3, 1
	ds_read_b32 v12, v11 offset:2048
	ds_read_u8 v13, v11 offset:2052
	v_lshl_add_u32 v14, v10, 3, 1
	ds_read_b32 v15, v14 offset:1976
	ds_read_u8 v14, v14 offset:1980
	v_add_u32_e32 v11, 0x800, v11
	s_waitcnt lgkmcnt(2)
	v_and_b32_e32 v16, 1, v13
	v_cmp_eq_u32_e64 s[0:1], 1, v16
	s_waitcnt lgkmcnt(1)
	v_cndmask_b32_e64 v15, v15, 0, s[0:1]
	s_waitcnt lgkmcnt(0)
	v_or_b32_e32 v13, v14, v13
	v_add_u32_e32 v12, v15, v12
	v_and_b32_e32 v13, 1, v13
	ds_write2_b32 v11, v12, v13 offset1:1
.LBB78_84:
	s_or_b64 exec, exec, s[6:7]
	v_lshlrev_b32_e32 v12, 4, v3
	v_add_u32_e32 v11, v9, v10
	v_cmp_gt_u32_e64 s[0:1], 64, v0
	s_waitcnt lgkmcnt(0)
	s_barrier
	s_and_saveexec_b64 s[8:9], s[0:1]
	s_cbranch_execz .LBB78_86
; %bb.85:
	v_lshl_add_u32 v13, v11, 3, 1
	ds_read_b32 v14, v13 offset:2048
	ds_read_u8 v15, v13 offset:2052
	v_lshl_add_u32 v16, v12, 3, 1
	ds_read_b32 v17, v16 offset:1912
	ds_read_u8 v16, v16 offset:1916
	v_add_u32_e32 v13, 0x800, v13
	s_waitcnt lgkmcnt(2)
	v_and_b32_e32 v18, 1, v15
	v_cmp_eq_u32_e64 s[6:7], 1, v18
	s_waitcnt lgkmcnt(1)
	v_cndmask_b32_e64 v17, v17, 0, s[6:7]
	s_waitcnt lgkmcnt(0)
	v_or_b32_e32 v15, v16, v15
	v_add_u32_e32 v14, v17, v14
	v_and_b32_e32 v15, 1, v15
	ds_write2_b32 v13, v14, v15 offset1:1
.LBB78_86:
	s_or_b64 exec, exec, s[8:9]
	;; [unrolled: 27-line block ×5, first 2 shown]
	v_lshlrev_b32_e32 v20, 8, v3
	v_add_u32_e32 v19, v17, v18
	v_cmp_gt_u32_e64 s[6:7], 4, v0
	s_waitcnt lgkmcnt(0)
	s_barrier
	s_and_saveexec_b64 s[8:9], s[6:7]
	s_cbranch_execz .LBB78_94
; %bb.93:
	v_lshl_add_u32 v21, v19, 3, 1
	v_add_u32_e32 v22, 0x800, v21
	v_lshl_add_u32 v23, v20, 3, 1
	ds_read_b32 v24, v21 offset:2048
	ds_read_u8 v21, v21 offset:2052
	v_add_u32_e32 v25, -8, v23
	v_add_u32_e32 v23, -4, v23
	ds_read_b32 v25, v25
	ds_read_u8 v23, v23
	s_waitcnt lgkmcnt(2)
	v_and_b32_e32 v26, 1, v21
	v_cmp_eq_u32_e64 s[6:7], 1, v26
	s_waitcnt lgkmcnt(1)
	v_cndmask_b32_e64 v25, v25, 0, s[6:7]
	s_waitcnt lgkmcnt(0)
	v_or_b32_e32 v21, v23, v21
	v_add_u32_e32 v24, v25, v24
	v_and_b32_e32 v21, 1, v21
	ds_write2_b32 v22, v24, v21 offset1:1
.LBB78_94:
	s_or_b64 exec, exec, s[8:9]
	v_add_u32_e32 v21, v19, v20
	v_cmp_gt_u32_e64 s[6:7], 2, v0
	v_lshl_add_u32 v21, v21, 3, 1
	s_waitcnt lgkmcnt(0)
	s_barrier
	s_and_saveexec_b64 s[8:9], s[6:7]
	s_cbranch_execz .LBB78_96
; %bb.95:
	v_lshl_add_u32 v23, v3, 12, 1
	v_add_u32_e32 v24, 0xfffff7f8, v23
	ds_read_u8 v25, v21 offset:2052
	ds_read_b32 v24, v24
	v_add_u32_e32 v23, 0xfffff7fc, v23
	ds_read_b32 v26, v21 offset:2048
	ds_read_u8 v23, v23
	v_add_u32_e32 v22, 0x800, v21
	s_waitcnt lgkmcnt(3)
	v_and_b32_e32 v27, 1, v25
	v_cmp_eq_u32_e64 s[6:7], 1, v27
	s_waitcnt lgkmcnt(2)
	v_cndmask_b32_e64 v24, v24, 0, s[6:7]
	s_waitcnt lgkmcnt(0)
	v_or_b32_e32 v23, v23, v25
	v_add_u32_e32 v24, v24, v26
	v_and_b32_e32 v23, 1, v23
	ds_write2_b32 v22, v24, v23 offset1:1
.LBB78_96:
	s_or_b64 exec, exec, s[8:9]
	s_waitcnt lgkmcnt(0)
	s_barrier
	s_and_saveexec_b64 s[8:9], vcc
	s_cbranch_execz .LBB78_98
; %bb.97:
	v_mov_b32_e32 v24, 1
	s_movk_i32 s6, 0xf8
	ds_read_u8 v25, v24 offset:18428
	v_add_u32_e64 v22, s6, 1
	ds_read2st64_b32 v[22:23], v22 offset0:39 offset1:71
	ds_read_u8 v24, v24 offset:10236
	s_add_i32 s11, 1, 0x47f8
	s_waitcnt lgkmcnt(2)
	v_and_b32_e32 v26, 1, v25
	v_cmp_eq_u32_e64 s[6:7], 1, v26
	s_waitcnt lgkmcnt(1)
	v_cndmask_b32_e64 v22, v22, 0, s[6:7]
	v_add_u32_e32 v22, v22, v23
	s_waitcnt lgkmcnt(0)
	v_or_b32_e32 v23, v24, v25
	v_and_b32_e32 v23, 1, v23
	v_mov_b32_e32 v24, s11
	ds_write2_b32 v24, v22, v23 offset1:1
.LBB78_98:
	s_or_b64 exec, exec, s[8:9]
	s_waitcnt lgkmcnt(0)
	s_barrier
	s_and_saveexec_b64 s[8:9], vcc
	s_cbranch_execz .LBB78_100
; %bb.99:
	v_mov_b32_e32 v22, 1
	ds_read_u8 v23, v22 offset:14332
	ds_read_b32 v22, v22 offset:14328
	ds_read_b32 v24, v21 offset:2048
	ds_read_u8 v21, v21 offset:2052
	s_add_i32 s11, 1, 0x37f8
	s_waitcnt lgkmcnt(3)
	v_and_b32_e32 v25, 1, v23
	v_cmp_eq_u32_e64 s[6:7], 1, v25
	s_waitcnt lgkmcnt(1)
	v_cndmask_b32_e64 v24, v24, 0, s[6:7]
	s_waitcnt lgkmcnt(0)
	v_or_b32_e32 v21, v21, v23
	v_add_u32_e32 v22, v24, v22
	v_and_b32_e32 v21, 1, v21
	v_mov_b32_e32 v23, s11
	ds_write2_b32 v23, v22, v21 offset1:1
.LBB78_100:
	s_or_b64 exec, exec, s[8:9]
	v_cmp_gt_u32_e64 s[6:7], 3, v0
	s_waitcnt lgkmcnt(0)
	s_barrier
	s_and_saveexec_b64 s[8:9], s[6:7]
	s_cbranch_execz .LBB78_102
; %bb.101:
	v_lshl_add_u32 v20, v20, 3, s10
	ds_read_b32 v21, v20 offset:2040
	ds_read_u8 v22, v20 offset:2044
	v_lshl_add_u32 v19, v19, 3, s10
	ds_read_b32 v23, v19
	ds_read_u8 v19, v19 offset:4
	v_add_u32_e32 v20, 0x7f8, v20
	s_waitcnt lgkmcnt(2)
	v_and_b32_e32 v24, 1, v22
	v_cmp_eq_u32_e64 s[6:7], 1, v24
	s_waitcnt lgkmcnt(1)
	v_cndmask_b32_e64 v23, v23, 0, s[6:7]
	s_waitcnt lgkmcnt(0)
	v_or_b32_e32 v19, v19, v22
	v_add_u32_e32 v21, v23, v21
	v_and_b32_e32 v19, 1, v19
	ds_write2_b32 v20, v21, v19 offset1:1
.LBB78_102:
	s_or_b64 exec, exec, s[8:9]
	v_cmp_gt_u32_e64 s[6:7], 7, v0
	s_waitcnt lgkmcnt(0)
	s_barrier
	s_and_saveexec_b64 s[8:9], s[6:7]
	s_cbranch_execz .LBB78_104
; %bb.103:
	v_lshl_add_u32 v18, v18, 3, s10
	ds_read_u8 v19, v18 offset:1020
	v_lshl_add_u32 v17, v17, 3, s10
	ds_read_b32 v20, v17
	ds_read_b32 v21, v18 offset:1016
	ds_read_u8 v17, v17 offset:4
	s_waitcnt lgkmcnt(3)
	v_and_b32_e32 v22, 1, v19
	v_cmp_eq_u32_e64 s[6:7], 1, v22
	s_waitcnt lgkmcnt(2)
	v_cndmask_b32_e64 v20, v20, 0, s[6:7]
	s_waitcnt lgkmcnt(0)
	v_or_b32_e32 v17, v17, v19
	v_add_u32_e32 v20, v20, v21
	v_and_b32_e32 v17, 1, v17
	ds_write2_b32 v18, v20, v17 offset0:254 offset1:255
.LBB78_104:
	s_or_b64 exec, exec, s[8:9]
	v_cmp_gt_u32_e64 s[6:7], 15, v0
	s_waitcnt lgkmcnt(0)
	s_barrier
	s_and_saveexec_b64 s[8:9], s[6:7]
	s_cbranch_execz .LBB78_106
; %bb.105:
	v_lshl_add_u32 v16, v16, 3, s10
	ds_read_u8 v17, v16 offset:508
	v_lshl_add_u32 v15, v15, 3, s10
	ds_read_b32 v18, v15
	ds_read_b32 v19, v16 offset:504
	ds_read_u8 v15, v15 offset:4
	s_waitcnt lgkmcnt(3)
	v_and_b32_e32 v20, 1, v17
	v_cmp_eq_u32_e64 s[6:7], 1, v20
	s_waitcnt lgkmcnt(2)
	v_cndmask_b32_e64 v18, v18, 0, s[6:7]
	s_waitcnt lgkmcnt(0)
	v_or_b32_e32 v15, v15, v17
	v_add_u32_e32 v18, v18, v19
	v_and_b32_e32 v15, 1, v15
	ds_write2_b32 v16, v18, v15 offset0:126 offset1:127
.LBB78_106:
	s_or_b64 exec, exec, s[8:9]
	v_cmp_gt_u32_e64 s[6:7], 31, v0
	s_waitcnt lgkmcnt(0)
	s_barrier
	s_and_saveexec_b64 s[8:9], s[6:7]
	s_cbranch_execz .LBB78_108
; %bb.107:
	v_lshl_add_u32 v14, v14, 3, s10
	ds_read_u8 v15, v14 offset:252
	v_lshl_add_u32 v13, v13, 3, s10
	ds_read_b32 v16, v13
	ds_read_b32 v17, v14 offset:248
	ds_read_u8 v13, v13 offset:4
	s_waitcnt lgkmcnt(3)
	v_and_b32_e32 v18, 1, v15
	v_cmp_eq_u32_e64 s[6:7], 1, v18
	s_waitcnt lgkmcnt(2)
	v_cndmask_b32_e64 v16, v16, 0, s[6:7]
	s_waitcnt lgkmcnt(0)
	v_or_b32_e32 v13, v13, v15
	v_add_u32_e32 v16, v16, v17
	v_and_b32_e32 v13, 1, v13
	ds_write2_b32 v14, v16, v13 offset0:62 offset1:63
.LBB78_108:
	s_or_b64 exec, exec, s[8:9]
	v_cmp_gt_u32_e64 s[6:7], 63, v0
	s_waitcnt lgkmcnt(0)
	s_barrier
	s_and_saveexec_b64 s[8:9], s[6:7]
	s_cbranch_execz .LBB78_110
; %bb.109:
	v_lshl_add_u32 v12, v12, 3, s10
	ds_read_u8 v13, v12 offset:124
	v_lshl_add_u32 v11, v11, 3, s10
	ds_read_b32 v14, v11
	ds_read_b32 v15, v12 offset:120
	ds_read_u8 v11, v11 offset:4
	s_waitcnt lgkmcnt(3)
	v_and_b32_e32 v16, 1, v13
	v_cmp_eq_u32_e64 s[6:7], 1, v16
	s_waitcnt lgkmcnt(2)
	v_cndmask_b32_e64 v14, v14, 0, s[6:7]
	s_waitcnt lgkmcnt(0)
	v_or_b32_e32 v11, v11, v13
	v_add_u32_e32 v14, v14, v15
	v_and_b32_e32 v11, 1, v11
	ds_write2_b32 v12, v14, v11 offset0:30 offset1:31
.LBB78_110:
	s_or_b64 exec, exec, s[8:9]
	s_movk_i32 s6, 0x7f
	v_cmp_gt_u32_e64 s[6:7], s6, v0
	s_waitcnt lgkmcnt(0)
	s_barrier
	s_and_saveexec_b64 s[8:9], s[6:7]
	s_cbranch_execz .LBB78_112
; %bb.111:
	v_lshl_add_u32 v10, v10, 3, s10
	ds_read_u8 v11, v10 offset:60
	v_lshl_add_u32 v9, v9, 3, s10
	ds_read_b32 v12, v9
	ds_read_b32 v13, v10 offset:56
	ds_read_u8 v9, v9 offset:4
	s_waitcnt lgkmcnt(3)
	v_and_b32_e32 v14, 1, v11
	v_cmp_eq_u32_e64 s[6:7], 1, v14
	s_waitcnt lgkmcnt(2)
	v_cndmask_b32_e64 v12, v12, 0, s[6:7]
	s_waitcnt lgkmcnt(0)
	v_or_b32_e32 v9, v9, v11
	v_add_u32_e32 v12, v12, v13
	v_and_b32_e32 v9, 1, v9
	ds_write2_b32 v10, v12, v9 offset0:14 offset1:15
.LBB78_112:
	s_or_b64 exec, exec, s[8:9]
	s_movk_i32 s6, 0xff
	v_cmp_gt_u32_e64 s[6:7], s6, v0
	s_waitcnt lgkmcnt(0)
	s_barrier
	s_and_saveexec_b64 s[8:9], s[6:7]
	s_cbranch_execz .LBB78_114
; %bb.113:
	v_lshl_add_u32 v8, v8, 3, s10
	ds_read_u8 v9, v8 offset:28
	v_lshl_add_u32 v7, v7, 3, s10
	ds_read_b32 v10, v7
	ds_read_b32 v11, v8 offset:24
	ds_read_u8 v7, v7 offset:4
	s_waitcnt lgkmcnt(3)
	v_and_b32_e32 v12, 1, v9
	v_cmp_eq_u32_e64 s[6:7], 1, v12
	s_waitcnt lgkmcnt(2)
	v_cndmask_b32_e64 v10, v10, 0, s[6:7]
	s_waitcnt lgkmcnt(0)
	v_or_b32_e32 v7, v7, v9
	v_add_u32_e32 v10, v10, v11
	v_and_b32_e32 v7, 1, v7
	ds_write2_b32 v8, v10, v7 offset0:6 offset1:7
.LBB78_114:
	s_or_b64 exec, exec, s[8:9]
	s_movk_i32 s6, 0x1ff
	v_cmp_gt_u32_e64 s[6:7], s6, v0
	s_waitcnt lgkmcnt(0)
	s_barrier
	s_and_saveexec_b64 s[8:9], s[6:7]
	s_cbranch_execz .LBB78_116
; %bb.115:
	v_lshl_add_u32 v6, v6, 3, s10
	ds_read_u8 v7, v6 offset:12
	v_add_u32_e32 v8, -8, v6
	ds_read_b32 v9, v8
	ds_read_b32 v10, v6 offset:8
	ds_read_u8 v8, v8 offset:4
	s_waitcnt lgkmcnt(3)
	v_and_b32_e32 v11, 1, v7
	v_cmp_eq_u32_e64 s[6:7], 1, v11
	s_waitcnt lgkmcnt(2)
	v_cndmask_b32_e64 v9, v9, 0, s[6:7]
	s_waitcnt lgkmcnt(0)
	v_or_b32_e32 v7, v8, v7
	v_add_u32_e32 v9, v9, v10
	v_and_b32_e32 v7, 1, v7
	ds_write2_b32 v6, v9, v7 offset0:2 offset1:3
.LBB78_116:
	s_or_b64 exec, exec, s[8:9]
	s_waitcnt lgkmcnt(0)
	s_barrier
	s_and_saveexec_b64 s[6:7], s[2:3]
	s_cbranch_execz .LBB78_118
; %bb.117:
	v_lshl_add_u32 v3, v3, 3, 1
	ds_read_u8 v6, v3 offset:2052
	ds_read_b32 v7, v5 offset:8
	v_add_u32_e32 v8, 0x800, v3
	ds_read_b32 v3, v3 offset:2048
	ds_read_u8 v9, v5 offset:12
	s_waitcnt lgkmcnt(3)
	v_and_b32_e32 v10, 1, v6
	v_cmp_eq_u32_e64 s[2:3], 1, v10
	s_waitcnt lgkmcnt(2)
	v_cndmask_b32_e64 v7, v7, 0, s[2:3]
	s_waitcnt lgkmcnt(0)
	v_or_b32_e32 v6, v9, v6
	v_add_u32_e32 v3, v7, v3
	v_and_b32_e32 v6, 1, v6
	ds_write2_b32 v8, v3, v6 offset1:1
.LBB78_118:
	s_or_b64 exec, exec, s[6:7]
	s_waitcnt lgkmcnt(0)
	s_barrier
	ds_read_b32 v3, v4 offset:2048
	ds_read_b32 v5, v5 offset:8
	v_mbcnt_lo_u32_b32 v8, -1, 0
	v_mbcnt_hi_u32_b32 v13, -1, v8
	v_and_b32_e32 v14, 63, v13
	v_or_b32_e32 v4, 1, v2
	v_cmp_gt_u32_e64 s[8:9], 32, v14
	v_cmp_gt_u32_e64 s[2:3], s16, v2
	v_cmp_gt_u32_e64 s[6:7], s16, v4
	v_cndmask_b32_e64 v8, 0, 1, s[8:9]
	s_waitcnt lgkmcnt(1)
	v_cndmask_b32_e64 v3, 0, v3, s[2:3]
	s_waitcnt lgkmcnt(0)
	v_cndmask_b32_e64 v5, 0, v5, s[6:7]
	v_lshlrev_b32_e32 v8, 5, v8
	v_cndmask_b32_e64 v6, 0, v2, s[2:3]
	v_max_u32_e32 v7, v5, v3
	v_add_lshl_u32 v8, v8, v13, 2
	v_cndmask_b32_e64 v9, 0, v4, s[6:7]
	v_cmp_gt_u32_e64 s[8:9], v5, v3
	ds_bpermute_b32 v10, v8, v7
	v_cndmask_b32_e64 v3, v6, v9, s[8:9]
	ds_bpermute_b32 v5, v8, v3
	v_cmp_gt_u32_e64 s[8:9], 48, v14
	v_cndmask_b32_e64 v9, 0, 1, s[8:9]
	v_lshlrev_b32_e32 v9, 4, v9
	s_waitcnt lgkmcnt(1)
	v_max_u32_e32 v6, v10, v7
	v_add_lshl_u32 v9, v9, v13, 2
	v_cmp_gt_u32_e64 s[8:9], v10, v7
	ds_bpermute_b32 v11, v9, v6
	s_waitcnt lgkmcnt(1)
	v_cndmask_b32_e64 v3, v3, v5, s[8:9]
	ds_bpermute_b32 v5, v9, v3
	v_cmp_gt_u32_e64 s[8:9], 56, v14
	v_cndmask_b32_e64 v10, 0, 1, s[8:9]
	v_lshlrev_b32_e32 v10, 3, v10
	s_waitcnt lgkmcnt(1)
	v_max_u32_e32 v7, v11, v6
	v_add_lshl_u32 v10, v10, v13, 2
	v_cmp_gt_u32_e64 s[8:9], v11, v6
	ds_bpermute_b32 v12, v10, v7
	s_waitcnt lgkmcnt(1)
	;; [unrolled: 11-line block ×4, first 2 shown]
	v_cndmask_b32_e64 v5, v3, v5, s[8:9]
	ds_bpermute_b32 v6, v12, v5
	s_waitcnt lgkmcnt(0)
	s_barrier
	v_cmp_gt_u32_e64 s[8:9], v16, v7
	v_max_u32_e32 v3, v16, v7
	v_cndmask_b32_e64 v5, v5, v6, s[8:9]
	v_cmp_ne_u32_e64 s[8:9], 63, v14
	v_addc_co_u32_e64 v6, s[8:9], 0, v13, s[8:9]
	v_lshlrev_b32_e32 v13, 2, v6
	ds_bpermute_b32 v6, v13, v5
	ds_bpermute_b32 v7, v13, v3
	v_cmp_eq_u32_e64 s[8:9], 0, v1
	s_waitcnt lgkmcnt(0)
	s_barrier
	s_and_saveexec_b64 s[12:13], s[8:9]
	s_cbranch_execz .LBB78_120
; %bb.119:
	v_lshrrev_b32_e32 v14, 3, v0
	v_add_u32_e32 v14, 1, v14
	v_cmp_gt_u32_e64 s[10:11], v7, v3
	v_add_u32_e32 v14, 0x800, v14
	v_cndmask_b32_e64 v5, v5, v6, s[10:11]
	v_max_u32_e32 v3, v7, v3
	ds_write2_b32 v14, v3, v5 offset1:1
.LBB78_120:
	s_or_b64 exec, exec, s[12:13]
	s_lshr_b32 s10, s22, 6
	v_cmp_gt_u32_e64 s[10:11], s10, v0
	v_lshl_add_u32 v14, v1, 3, 1
	v_mov_b32_e32 v3, 0
	v_mov_b32_e32 v5, 0
	s_waitcnt lgkmcnt(0)
	s_barrier
	s_and_saveexec_b64 s[12:13], s[10:11]
	s_cbranch_execnz .LBB78_143
; %bb.121:
	s_or_b64 exec, exec, s[12:13]
	s_and_saveexec_b64 s[12:13], s[10:11]
	s_cbranch_execnz .LBB78_144
.LBB78_122:
	s_or_b64 exec, exec, s[12:13]
	s_and_saveexec_b64 s[22:23], s[0:1]
	s_cbranch_execnz .LBB78_145
.LBB78_123:
	s_or_b64 exec, exec, s[22:23]
	s_and_saveexec_b64 s[12:13], vcc
	s_cbranch_execz .LBB78_125
.LBB78_124:
	s_waitcnt lgkmcnt(0)
	v_add_u32_e32 v3, 1, v3
	ds_read_u8 v3, v3
	v_mov_b32_e32 v5, 0
	s_waitcnt lgkmcnt(0)
	ds_write_b8 v5, v3
.LBB78_125:
	s_or_b64 exec, exec, s[12:13]
	s_mov_b32 s22, 0
	s_waitcnt lgkmcnt(0)
	v_mov_b32_e32 v3, 0
	s_mov_b32 s23, s22
	v_cmp_gt_i64_e64 s[12:13], s[16:17], v[2:3]
	v_pk_mov_b32 v[6:7], s[22:23], s[22:23] op_sel:[0,1]
	s_barrier
	s_and_saveexec_b64 s[22:23], s[12:13]
	s_cbranch_execz .LBB78_127
; %bb.126:
	v_add_u32_e32 v5, s19, v2
	global_load_ubyte v5, v5, s[20:21]
	ds_read_u8 v6, v3
	s_waitcnt vmcnt(0) lgkmcnt(0)
	v_cmp_eq_u16_e64 s[12:13], v5, v6
	v_cndmask_b32_e64 v2, 0, v2, s[12:13]
	v_pk_mov_b32 v[6:7], v[2:3], v[2:3] op_sel:[0,1]
.LBB78_127:
	s_or_b64 exec, exec, s[22:23]
	v_mov_b32_e32 v5, v3
	v_cmp_gt_i64_e64 s[12:13], s[16:17], v[4:5]
	s_and_saveexec_b64 s[16:17], s[12:13]
	s_cbranch_execz .LBB78_129
; %bb.128:
	v_add_u32_e32 v2, s19, v4
	global_load_ubyte v2, v2, s[20:21]
	v_mov_b32_e32 v3, 0
	ds_read_u8 v3, v3
	s_waitcnt vmcnt(0) lgkmcnt(0)
	v_cmp_eq_u16_e64 s[12:13], v2, v3
	v_cndmask_b32_e64 v7, 0, v4, s[12:13]
.LBB78_129:
	s_or_b64 exec, exec, s[16:17]
	v_cndmask_b32_e64 v2, 0, v6, s[2:3]
	v_cndmask_b32_e64 v3, 0, v7, s[6:7]
	v_max_u32_e32 v2, v3, v2
	ds_bpermute_b32 v3, v8, v2
	s_waitcnt lgkmcnt(0)
	s_barrier
	v_max_u32_e32 v2, v3, v2
	ds_bpermute_b32 v3, v9, v2
	s_waitcnt lgkmcnt(0)
	v_max_u32_e32 v2, v3, v2
	ds_bpermute_b32 v3, v10, v2
	s_waitcnt lgkmcnt(0)
	;; [unrolled: 3-line block ×4, first 2 shown]
	v_max_u32_e32 v2, v3, v2
	ds_bpermute_b32 v3, v13, v2
	s_and_saveexec_b64 s[2:3], s[8:9]
	s_cbranch_execz .LBB78_131
; %bb.130:
	v_lshrrev_b32_e32 v0, 4, v0
	v_add_u32_e32 v0, 1, v0
	s_waitcnt lgkmcnt(0)
	v_max_u32_e32 v2, v3, v2
	ds_write_b32 v0, v2
.LBB78_131:
	s_or_b64 exec, exec, s[2:3]
	v_mov_b32_e32 v0, 0
	s_waitcnt lgkmcnt(0)
	s_barrier
	s_and_saveexec_b64 s[2:3], s[10:11]
	s_cbranch_execnz .LBB78_146
; %bb.132:
	s_or_b64 exec, exec, s[2:3]
	s_and_saveexec_b64 s[2:3], s[0:1]
	s_cbranch_execnz .LBB78_147
.LBB78_133:
	s_or_b64 exec, exec, s[2:3]
	s_and_saveexec_b64 s[0:1], vcc
	s_cbranch_execnz .LBB78_148
.LBB78_134:
	s_endpgm
.LBB78_135:
	ds_read_u8 v5, v1 offset:2048
	s_andn2_b64 s[0:1], s[0:1], exec
	s_waitcnt lgkmcnt(0)
	v_and_b32_e32 v5, 1, v5
	v_cmp_eq_u32_e32 vcc, 1, v5
	s_xor_b64 s[8:9], vcc, -1
	s_and_b64 s[8:9], s[8:9], exec
	s_or_b64 s[0:1], s[0:1], s[8:9]
	s_or_b64 exec, exec, s[2:3]
	v_mov_b32_e32 v5, s6
	s_and_saveexec_b64 s[2:3], s[0:1]
	s_cbranch_execz .LBB78_25
.LBB78_136:
	ds_read_u8 v5, v1 offset:3072
	s_waitcnt lgkmcnt(0)
	v_xor_b32_e32 v5, 1, v5
	s_or_b64 exec, exec, s[2:3]
	v_cmp_eq_u32_e32 vcc, 0, v5
	s_and_saveexec_b64 s[0:1], vcc
	s_cbranch_execnz .LBB78_26
	s_branch .LBB78_27
.LBB78_137:
	ds_read_u8 v5, v1 offset:2048
	s_andn2_b64 s[0:1], s[0:1], exec
	s_waitcnt lgkmcnt(0)
	v_and_b32_e32 v5, 1, v5
	v_cmp_eq_u32_e32 vcc, 1, v5
	s_xor_b64 s[8:9], vcc, -1
	s_and_b64 s[8:9], s[8:9], exec
	s_or_b64 s[0:1], s[0:1], s[8:9]
	s_or_b64 exec, exec, s[2:3]
	v_mov_b32_e32 v5, s6
	s_and_saveexec_b64 s[2:3], s[0:1]
	s_cbranch_execz .LBB78_29
.LBB78_138:
	ds_read_u8 v5, v1 offset:2560
	s_waitcnt lgkmcnt(0)
	v_xor_b32_e32 v5, 1, v5
	s_or_b64 exec, exec, s[2:3]
	v_cmp_eq_u32_e32 vcc, 0, v5
	s_and_saveexec_b64 s[0:1], vcc
	s_cbranch_execnz .LBB78_30
	s_branch .LBB78_31
.LBB78_139:
	ds_read_u8 v5, v1 offset:2048
	s_andn2_b64 s[0:1], s[0:1], exec
	s_waitcnt lgkmcnt(0)
	v_and_b32_e32 v5, 1, v5
	v_cmp_eq_u32_e32 vcc, 1, v5
	s_xor_b64 s[8:9], vcc, -1
	s_and_b64 s[8:9], s[8:9], exec
	s_or_b64 s[0:1], s[0:1], s[8:9]
	s_or_b64 exec, exec, s[2:3]
	v_mov_b32_e32 v5, s6
	s_and_saveexec_b64 s[2:3], s[0:1]
	s_cbranch_execz .LBB78_33
.LBB78_140:
	ds_read_u8 v5, v1 offset:2304
	s_waitcnt lgkmcnt(0)
	v_xor_b32_e32 v5, 1, v5
	s_or_b64 exec, exec, s[2:3]
	v_cmp_eq_u32_e32 vcc, 0, v5
	s_and_saveexec_b64 s[0:1], vcc
	s_cbranch_execnz .LBB78_34
	s_branch .LBB78_35
.LBB78_141:
	ds_read_u8 v5, v1 offset:2048
	s_andn2_b64 s[0:1], s[0:1], exec
	s_waitcnt lgkmcnt(0)
	v_and_b32_e32 v5, 1, v5
	v_cmp_eq_u32_e32 vcc, 1, v5
	s_xor_b64 s[8:9], vcc, -1
	s_and_b64 s[8:9], s[8:9], exec
	s_or_b64 s[0:1], s[0:1], s[8:9]
	s_or_b64 exec, exec, s[2:3]
	v_mov_b32_e32 v5, s6
	s_and_saveexec_b64 s[2:3], s[0:1]
	s_cbranch_execz .LBB78_37
.LBB78_142:
	ds_read_u8 v5, v1 offset:2176
	s_waitcnt lgkmcnt(0)
	v_xor_b32_e32 v5, 1, v5
	s_or_b64 exec, exec, s[2:3]
	v_cmp_eq_u32_e32 vcc, 0, v5
	s_and_saveexec_b64 s[0:1], vcc
	s_cbranch_execnz .LBB78_38
	s_branch .LBB78_39
.LBB78_143:
	ds_read_b32 v5, v14 offset:2048
	s_or_b64 exec, exec, s[12:13]
	s_and_saveexec_b64 s[12:13], s[10:11]
	s_cbranch_execz .LBB78_122
.LBB78_144:
	ds_read_b32 v3, v14 offset:2052
	s_or_b64 exec, exec, s[12:13]
	s_and_saveexec_b64 s[22:23], s[0:1]
	s_cbranch_execz .LBB78_123
.LBB78_145:
	s_waitcnt lgkmcnt(0)
	ds_bpermute_b32 v6, v8, v5
	ds_bpermute_b32 v7, v8, v3
	s_waitcnt lgkmcnt(1)
	v_max_u32_e32 v15, v6, v5
	v_cmp_gt_u32_e64 s[12:13], v6, v5
	ds_bpermute_b32 v16, v9, v15
	s_waitcnt lgkmcnt(1)
	v_cndmask_b32_e64 v3, v3, v7, s[12:13]
	ds_bpermute_b32 v5, v9, v3
	s_waitcnt lgkmcnt(1)
	v_max_u32_e32 v6, v16, v15
	v_cmp_gt_u32_e64 s[12:13], v16, v15
	ds_bpermute_b32 v7, v10, v6
	s_waitcnt lgkmcnt(1)
	v_cndmask_b32_e64 v3, v3, v5, s[12:13]
	;; [unrolled: 7-line block ×4, first 2 shown]
	ds_bpermute_b32 v5, v12, v3
	s_waitcnt lgkmcnt(1)
	v_max_u32_e32 v15, v7, v6
	v_cmp_gt_u32_e64 s[12:13], v7, v6
	s_waitcnt lgkmcnt(0)
	v_cndmask_b32_e64 v3, v3, v5, s[12:13]
	ds_bpermute_b32 v5, v13, v15
	ds_bpermute_b32 v6, v13, v3
	s_waitcnt lgkmcnt(1)
	v_cmp_gt_u32_e64 s[12:13], v5, v15
	s_waitcnt lgkmcnt(0)
	v_cndmask_b32_e64 v3, v3, v6, s[12:13]
	s_or_b64 exec, exec, s[22:23]
	s_and_saveexec_b64 s[12:13], vcc
	s_cbranch_execnz .LBB78_124
	s_branch .LBB78_125
.LBB78_146:
	v_lshlrev_b32_e32 v0, 2, v1
	v_sub_u32_e32 v0, v14, v0
	ds_read_b32 v0, v0
	s_or_b64 exec, exec, s[2:3]
	s_and_saveexec_b64 s[2:3], s[0:1]
	s_cbranch_execz .LBB78_133
.LBB78_147:
	s_waitcnt lgkmcnt(0)
	ds_bpermute_b32 v1, v8, v0
	s_waitcnt lgkmcnt(0)
	v_max_u32_e32 v0, v1, v0
	ds_bpermute_b32 v1, v9, v0
	s_waitcnt lgkmcnt(0)
	v_max_u32_e32 v0, v1, v0
	;; [unrolled: 3-line block ×6, first 2 shown]
	s_or_b64 exec, exec, s[2:3]
	s_and_saveexec_b64 s[0:1], vcc
	s_cbranch_execz .LBB78_134
.LBB78_148:
	s_load_dword s2, s[4:5], 0xd8
	s_add_u32 s0, s4, 8
	s_addc_u32 s1, s5, 0
	s_mov_b32 s3, 0
	s_waitcnt lgkmcnt(0)
	s_cmp_lt_i32 s2, 2
	s_cbranch_scc1 .LBB78_151
; %bb.149:
	s_add_i32 s6, s2, 1
	s_add_i32 s2, s2, -1
	s_lshl_b64 s[4:5], s[2:3], 2
	s_add_u32 s2, s4, s0
	s_addc_u32 s5, s5, s1
	s_add_u32 s4, s2, 8
	s_addc_u32 s5, s5, 0
.LBB78_150:                             ; =>This Inner Loop Header: Depth=1
	s_load_dword s2, s[4:5], 0x0
	s_load_dword s8, s[4:5], 0x64
	s_mov_b32 s7, s18
	s_waitcnt lgkmcnt(0)
	v_cvt_f32_u32_e32 v1, s2
	s_sub_i32 s9, 0, s2
	v_rcp_iflag_f32_e32 v1, v1
	v_mul_f32_e32 v1, 0x4f7ffffe, v1
	v_cvt_u32_f32_e32 v1, v1
	v_readfirstlane_b32 s10, v1
	s_mul_i32 s9, s9, s10
	s_mul_hi_u32 s9, s10, s9
	s_add_i32 s10, s10, s9
	s_mul_hi_u32 s9, s18, s10
	s_mul_i32 s10, s9, s2
	s_sub_i32 s10, s18, s10
	s_add_i32 s11, s9, 1
	s_sub_i32 s12, s10, s2
	s_cmp_ge_u32 s10, s2
	s_cselect_b32 s9, s11, s9
	s_cselect_b32 s10, s12, s10
	s_add_i32 s11, s9, 1
	s_cmp_ge_u32 s10, s2
	s_cselect_b32 s18, s11, s9
	s_mul_i32 s2, s18, s2
	s_sub_i32 s2, s7, s2
	s_mul_i32 s2, s8, s2
	s_add_i32 s6, s6, -1
	s_add_i32 s3, s2, s3
	s_add_u32 s4, s4, -4
	s_addc_u32 s5, s5, -1
	s_cmp_gt_u32 s6, 2
	s_cbranch_scc1 .LBB78_150
.LBB78_151:
	s_load_dword s2, s[0:1], 0x6c
	v_mov_b32_e32 v1, 0
	s_load_dwordx2 s[0:1], s[0:1], 0x0
	ds_read_u8 v2, v1
	s_mov_b32 s5, 0
	s_waitcnt lgkmcnt(0)
	s_mul_i32 s2, s2, s18
	s_add_i32 s4, s2, s3
	v_mov_b32_e32 v3, s4
	global_store_byte v3, v2, s[0:1]
	s_lshl_b64 s[0:1], s[4:5], 3
	s_add_u32 s0, s14, s0
	s_addc_u32 s1, s15, s1
	global_store_dwordx2 v1, v[0:1], s[0:1]
	s_endpgm
	.section	.rodata,"a",@progbits
	.p2align	6, 0x0
	.amdhsa_kernel _ZN2at6native12compute_modeIaLj2048EEEvPKT_NS_4cuda6detail10TensorInfoIS2_jEENS7_IljEEll
		.amdhsa_group_segment_fixed_size 1
		.amdhsa_private_segment_fixed_size 0
		.amdhsa_kernarg_size 712
		.amdhsa_user_sgpr_count 6
		.amdhsa_user_sgpr_private_segment_buffer 1
		.amdhsa_user_sgpr_dispatch_ptr 0
		.amdhsa_user_sgpr_queue_ptr 0
		.amdhsa_user_sgpr_kernarg_segment_ptr 1
		.amdhsa_user_sgpr_dispatch_id 0
		.amdhsa_user_sgpr_flat_scratch_init 0
		.amdhsa_user_sgpr_kernarg_preload_length 0
		.amdhsa_user_sgpr_kernarg_preload_offset 0
		.amdhsa_user_sgpr_private_segment_size 0
		.amdhsa_uses_dynamic_stack 0
		.amdhsa_system_sgpr_private_segment_wavefront_offset 0
		.amdhsa_system_sgpr_workgroup_id_x 1
		.amdhsa_system_sgpr_workgroup_id_y 1
		.amdhsa_system_sgpr_workgroup_id_z 1
		.amdhsa_system_sgpr_workgroup_info 0
		.amdhsa_system_vgpr_workitem_id 0
		.amdhsa_next_free_vgpr 28
		.amdhsa_next_free_sgpr 24
		.amdhsa_accum_offset 28
		.amdhsa_reserve_vcc 1
		.amdhsa_reserve_flat_scratch 0
		.amdhsa_float_round_mode_32 0
		.amdhsa_float_round_mode_16_64 0
		.amdhsa_float_denorm_mode_32 3
		.amdhsa_float_denorm_mode_16_64 3
		.amdhsa_dx10_clamp 1
		.amdhsa_ieee_mode 1
		.amdhsa_fp16_overflow 0
		.amdhsa_tg_split 0
		.amdhsa_exception_fp_ieee_invalid_op 0
		.amdhsa_exception_fp_denorm_src 0
		.amdhsa_exception_fp_ieee_div_zero 0
		.amdhsa_exception_fp_ieee_overflow 0
		.amdhsa_exception_fp_ieee_underflow 0
		.amdhsa_exception_fp_ieee_inexact 0
		.amdhsa_exception_int_div_zero 0
	.end_amdhsa_kernel
	.section	.text._ZN2at6native12compute_modeIaLj2048EEEvPKT_NS_4cuda6detail10TensorInfoIS2_jEENS7_IljEEll,"axG",@progbits,_ZN2at6native12compute_modeIaLj2048EEEvPKT_NS_4cuda6detail10TensorInfoIS2_jEENS7_IljEEll,comdat
.Lfunc_end78:
	.size	_ZN2at6native12compute_modeIaLj2048EEEvPKT_NS_4cuda6detail10TensorInfoIS2_jEENS7_IljEEll, .Lfunc_end78-_ZN2at6native12compute_modeIaLj2048EEEvPKT_NS_4cuda6detail10TensorInfoIS2_jEENS7_IljEEll
                                        ; -- End function
	.section	.AMDGPU.csdata,"",@progbits
; Kernel info:
; codeLenInByte = 7980
; NumSgprs: 28
; NumVgprs: 28
; NumAgprs: 0
; TotalNumVgprs: 28
; ScratchSize: 0
; MemoryBound: 0
; FloatMode: 240
; IeeeMode: 1
; LDSByteSize: 1 bytes/workgroup (compile time only)
; SGPRBlocks: 3
; VGPRBlocks: 3
; NumSGPRsForWavesPerEU: 28
; NumVGPRsForWavesPerEU: 28
; AccumOffset: 28
; Occupancy: 8
; WaveLimiterHint : 1
; COMPUTE_PGM_RSRC2:SCRATCH_EN: 0
; COMPUTE_PGM_RSRC2:USER_SGPR: 6
; COMPUTE_PGM_RSRC2:TRAP_HANDLER: 0
; COMPUTE_PGM_RSRC2:TGID_X_EN: 1
; COMPUTE_PGM_RSRC2:TGID_Y_EN: 1
; COMPUTE_PGM_RSRC2:TGID_Z_EN: 1
; COMPUTE_PGM_RSRC2:TIDIG_COMP_CNT: 0
; COMPUTE_PGM_RSRC3_GFX90A:ACCUM_OFFSET: 6
; COMPUTE_PGM_RSRC3_GFX90A:TG_SPLIT: 0
	.section	.text._ZN2at6native12compute_modeIaLj1024EEEvPKT_NS_4cuda6detail10TensorInfoIS2_jEENS7_IljEEll,"axG",@progbits,_ZN2at6native12compute_modeIaLj1024EEEvPKT_NS_4cuda6detail10TensorInfoIS2_jEENS7_IljEEll,comdat
	.protected	_ZN2at6native12compute_modeIaLj1024EEEvPKT_NS_4cuda6detail10TensorInfoIS2_jEENS7_IljEEll ; -- Begin function _ZN2at6native12compute_modeIaLj1024EEEvPKT_NS_4cuda6detail10TensorInfoIS2_jEENS7_IljEEll
	.globl	_ZN2at6native12compute_modeIaLj1024EEEvPKT_NS_4cuda6detail10TensorInfoIS2_jEENS7_IljEEll
	.p2align	8
	.type	_ZN2at6native12compute_modeIaLj1024EEEvPKT_NS_4cuda6detail10TensorInfoIS2_jEENS7_IljEEll,@function
_ZN2at6native12compute_modeIaLj1024EEEvPKT_NS_4cuda6detail10TensorInfoIS2_jEENS7_IljEEll: ; @_ZN2at6native12compute_modeIaLj1024EEEvPKT_NS_4cuda6detail10TensorInfoIS2_jEENS7_IljEEll
; %bb.0:
	s_load_dwordx4 s[16:19], s[4:5], 0x1b8
	s_load_dwordx2 s[2:3], s[4:5], 0x1c8
	s_add_u32 s0, s4, 0x1c8
	s_addc_u32 s1, s5, 0
	s_mov_b32 s15, 0
	s_waitcnt lgkmcnt(0)
	v_mov_b32_e32 v2, s18
	s_mul_i32 s3, s3, s8
	s_add_i32 s3, s3, s7
	s_mul_i32 s2, s3, s2
	v_mov_b32_e32 v3, s19
	s_add_i32 s14, s2, s6
	v_cmp_ge_i64_e32 vcc, s[14:15], v[2:3]
	s_cbranch_vccnz .LBB79_308
; %bb.1:
	s_load_dwordx2 s[18:19], s[4:5], 0x0
	s_load_dword s2, s[0:1], 0xc
	v_mov_b32_e32 v3, 0
	v_mov_b32_e32 v1, v3
	s_mul_i32 s15, s14, s16
	v_cmp_gt_i64_e32 vcc, s[16:17], v[0:1]
	v_add_u32_e32 v1, 1, v0
	s_and_saveexec_b64 s[0:1], vcc
	s_cbranch_execz .LBB79_3
; %bb.2:
	v_add_u32_e32 v2, s15, v0
	s_waitcnt lgkmcnt(0)
	global_load_ubyte v2, v2, s[18:19]
	s_waitcnt vmcnt(0)
	ds_write_b8 v1, v2
.LBB79_3:
	s_or_b64 exec, exec, s[0:1]
	s_waitcnt lgkmcnt(0)
	s_and_b32 s20, 0xffff, s2
	v_add_u32_e32 v2, s20, v0
	v_cmp_gt_i64_e64 s[0:1], s[16:17], v[2:3]
	s_and_saveexec_b64 s[2:3], s[0:1]
	s_cbranch_execz .LBB79_5
; %bb.4:
	v_add_u32_e32 v3, s15, v2
	global_load_ubyte v3, v3, s[18:19]
	v_add_u32_e32 v2, 1, v2
	s_waitcnt vmcnt(0)
	ds_write_b8 v2, v3
.LBB79_5:
	s_or_b64 exec, exec, s[2:3]
	v_cndmask_b32_e64 v2, 0, 1, vcc
	ds_write_b8 v1, v2 offset:1024
	v_add_u32_e32 v2, s20, v1
	v_cndmask_b32_e64 v3, 0, 1, s[0:1]
	v_add_u32_e32 v1, v1, v0
	ds_write_b8 v2, v3 offset:1024
	s_waitcnt lgkmcnt(0)
	s_barrier
	s_barrier
	ds_read_i8 v4, v1
	ds_read_i8 v5, v1 offset:1
	s_mov_b32 s6, 1
	s_waitcnt lgkmcnt(0)
	v_cmp_ge_i16_e64 s[0:1], v4, v5
	v_cmp_lt_i16_e32 vcc, v4, v5
	s_and_saveexec_b64 s[2:3], vcc
	s_cbranch_execz .LBB79_7
; %bb.6:
	ds_read_u8 v2, v1 offset:1024
	s_andn2_b64 s[0:1], s[0:1], exec
	s_waitcnt lgkmcnt(0)
	v_and_b32_e32 v2, 1, v2
	v_cmp_eq_u32_e32 vcc, 1, v2
	s_xor_b64 s[8:9], vcc, -1
	s_and_b64 s[8:9], s[8:9], exec
	s_or_b64 s[0:1], s[0:1], s[8:9]
.LBB79_7:
	s_or_b64 exec, exec, s[2:3]
	v_lshlrev_b32_e32 v2, 1, v0
	v_mov_b32_e32 v7, s6
	v_add_u32_e32 v3, 1, v2
	s_and_saveexec_b64 s[2:3], s[0:1]
	s_cbranch_execz .LBB79_9
; %bb.8:
	ds_read_u8 v6, v3 offset:1025
	s_waitcnt lgkmcnt(0)
	v_xor_b32_e32 v7, 1, v6
.LBB79_9:
	s_or_b64 exec, exec, s[2:3]
	v_and_b32_e32 v6, 1, v0
	v_cmp_eq_u32_e32 vcc, v7, v6
	s_and_saveexec_b64 s[0:1], vcc
	s_cbranch_execz .LBB79_11
; %bb.10:
	ds_read_u8 v7, v3 offset:1025
	ds_read_u8 v8, v1 offset:1024
	ds_write_b8 v1, v5
	ds_write_b8 v1, v4 offset:1
	s_waitcnt lgkmcnt(3)
	ds_write_b8 v1, v7 offset:1024
	s_waitcnt lgkmcnt(3)
	ds_write_b8 v3, v8 offset:1025
.LBB79_11:
	s_or_b64 exec, exec, s[0:1]
	v_sub_u32_e32 v4, v2, v6
	v_add_u32_e32 v4, 1, v4
	s_waitcnt lgkmcnt(0)
	s_barrier
	ds_read_i8 v6, v4
	ds_read_i8 v7, v4 offset:2
	s_mov_b64 s[0:1], -1
                                        ; implicit-def: $sgpr6
	s_waitcnt lgkmcnt(0)
	v_cmp_lt_i16_e32 vcc, v6, v7
	s_and_saveexec_b64 s[2:3], vcc
	s_xor_b64 s[2:3], exec, s[2:3]
	s_cbranch_execz .LBB79_13
; %bb.12:
	ds_read_u8 v5, v4 offset:1024
	s_mov_b32 s6, 1
	s_waitcnt lgkmcnt(0)
	v_and_b32_e32 v5, 1, v5
	v_cmp_eq_u32_e32 vcc, 1, v5
	s_xor_b64 s[0:1], vcc, -1
	s_orn2_b64 s[0:1], s[0:1], exec
.LBB79_13:
	s_or_b64 exec, exec, s[2:3]
	v_mov_b32_e32 v8, s6
	s_and_saveexec_b64 s[2:3], s[0:1]
	s_cbranch_execz .LBB79_15
; %bb.14:
	ds_read_u8 v5, v4 offset:1026
	s_waitcnt lgkmcnt(0)
	v_xor_b32_e32 v8, 1, v5
.LBB79_15:
	s_or_b64 exec, exec, s[2:3]
	v_bfe_u32 v5, v0, 1, 1
	v_cmp_eq_u32_e32 vcc, v8, v5
	s_and_saveexec_b64 s[0:1], vcc
	s_cbranch_execz .LBB79_17
; %bb.16:
	ds_read_u8 v8, v4 offset:1026
	ds_read_u8 v9, v4 offset:1024
	ds_write_b8 v4, v7
	ds_write_b8 v4, v6 offset:2
	s_waitcnt lgkmcnt(3)
	ds_write_b8 v4, v8 offset:1024
	s_waitcnt lgkmcnt(3)
	ds_write_b8 v4, v9 offset:1026
.LBB79_17:
	s_or_b64 exec, exec, s[0:1]
	s_waitcnt lgkmcnt(0)
	s_barrier
	ds_read_i8 v6, v1
	ds_read_i8 v7, v1 offset:1
                                        ; implicit-def: $sgpr6
	s_waitcnt lgkmcnt(0)
	v_cmp_ge_i16_e64 s[0:1], v6, v7
	v_cmp_lt_i16_e32 vcc, v6, v7
	s_and_saveexec_b64 s[2:3], vcc
	s_cbranch_execnz .LBB79_309
; %bb.18:
	s_or_b64 exec, exec, s[2:3]
	v_mov_b32_e32 v8, s6
	s_and_saveexec_b64 s[2:3], s[0:1]
	s_cbranch_execnz .LBB79_310
.LBB79_19:
	s_or_b64 exec, exec, s[2:3]
	v_cmp_eq_u32_e32 vcc, v8, v5
	s_and_saveexec_b64 s[0:1], vcc
	s_cbranch_execz .LBB79_21
.LBB79_20:
	ds_read_u8 v5, v3 offset:1025
	ds_read_u8 v8, v1 offset:1024
	ds_write_b8 v1, v7
	ds_write_b8 v1, v6 offset:1
	s_waitcnt lgkmcnt(3)
	ds_write_b8 v1, v5 offset:1024
	s_waitcnt lgkmcnt(3)
	ds_write_b8 v3, v8 offset:1025
.LBB79_21:
	s_or_b64 exec, exec, s[0:1]
	v_and_b32_e32 v5, 3, v0
	v_sub_u32_e32 v5, v2, v5
	v_add_u32_e32 v5, 1, v5
	s_waitcnt lgkmcnt(0)
	s_barrier
	ds_read_i8 v7, v5
	ds_read_i8 v8, v5 offset:4
	s_mov_b32 s6, 1
	s_waitcnt lgkmcnt(0)
	v_cmp_ge_i16_e64 s[0:1], v7, v8
	v_cmp_lt_i16_e32 vcc, v7, v8
	s_and_saveexec_b64 s[2:3], vcc
	s_cbranch_execz .LBB79_23
; %bb.22:
	ds_read_u8 v6, v5 offset:1024
	s_andn2_b64 s[0:1], s[0:1], exec
	s_waitcnt lgkmcnt(0)
	v_and_b32_e32 v6, 1, v6
	v_cmp_eq_u32_e32 vcc, 1, v6
	s_xor_b64 s[8:9], vcc, -1
	s_and_b64 s[8:9], s[8:9], exec
	s_or_b64 s[0:1], s[0:1], s[8:9]
.LBB79_23:
	s_or_b64 exec, exec, s[2:3]
	v_mov_b32_e32 v9, s6
	s_and_saveexec_b64 s[2:3], s[0:1]
	s_cbranch_execz .LBB79_25
; %bb.24:
	ds_read_u8 v6, v5 offset:1028
	s_waitcnt lgkmcnt(0)
	v_xor_b32_e32 v9, 1, v6
.LBB79_25:
	s_or_b64 exec, exec, s[2:3]
	v_bfe_u32 v6, v0, 2, 1
	v_cmp_eq_u32_e32 vcc, v9, v6
	s_and_saveexec_b64 s[0:1], vcc
	s_cbranch_execz .LBB79_27
; %bb.26:
	ds_read_u8 v9, v5 offset:1028
	ds_read_u8 v10, v5 offset:1024
	ds_write_b8 v5, v8
	ds_write_b8 v5, v7 offset:4
	s_waitcnt lgkmcnt(3)
	ds_write_b8 v5, v9 offset:1024
	s_waitcnt lgkmcnt(3)
	ds_write_b8 v5, v10 offset:1028
.LBB79_27:
	s_or_b64 exec, exec, s[0:1]
	s_waitcnt lgkmcnt(0)
	s_barrier
	ds_read_i8 v7, v4
	ds_read_i8 v8, v4 offset:2
	s_waitcnt lgkmcnt(0)
	v_cmp_ge_i16_e64 s[0:1], v7, v8
	v_cmp_lt_i16_e32 vcc, v7, v8
	s_and_saveexec_b64 s[2:3], vcc
	s_cbranch_execnz .LBB79_311
; %bb.28:
	s_or_b64 exec, exec, s[2:3]
	v_mov_b32_e32 v9, s6
	s_and_saveexec_b64 s[2:3], s[0:1]
	s_cbranch_execnz .LBB79_312
.LBB79_29:
	s_or_b64 exec, exec, s[2:3]
	v_cmp_eq_u32_e32 vcc, v9, v6
	s_and_saveexec_b64 s[0:1], vcc
	s_cbranch_execz .LBB79_31
.LBB79_30:
	ds_read_u8 v9, v4 offset:1026
	ds_read_u8 v10, v4 offset:1024
	ds_write_b8 v4, v8
	ds_write_b8 v4, v7 offset:2
	s_waitcnt lgkmcnt(3)
	ds_write_b8 v4, v9 offset:1024
	s_waitcnt lgkmcnt(3)
	ds_write_b8 v4, v10 offset:1026
.LBB79_31:
	s_or_b64 exec, exec, s[0:1]
	s_waitcnt lgkmcnt(0)
	s_barrier
	ds_read_i8 v7, v1
	ds_read_i8 v8, v1 offset:1
                                        ; implicit-def: $sgpr6
	s_waitcnt lgkmcnt(0)
	v_cmp_ge_i16_e64 s[0:1], v7, v8
	v_cmp_lt_i16_e32 vcc, v7, v8
	s_and_saveexec_b64 s[2:3], vcc
	s_cbranch_execnz .LBB79_313
; %bb.32:
	s_or_b64 exec, exec, s[2:3]
	v_mov_b32_e32 v9, s6
	s_and_saveexec_b64 s[2:3], s[0:1]
	s_cbranch_execnz .LBB79_314
.LBB79_33:
	s_or_b64 exec, exec, s[2:3]
	v_cmp_eq_u32_e32 vcc, v9, v6
	s_and_saveexec_b64 s[0:1], vcc
	s_cbranch_execz .LBB79_35
.LBB79_34:
	ds_read_u8 v6, v3 offset:1025
	ds_read_u8 v9, v1 offset:1024
	ds_write_b8 v1, v8
	ds_write_b8 v1, v7 offset:1
	s_waitcnt lgkmcnt(3)
	ds_write_b8 v1, v6 offset:1024
	s_waitcnt lgkmcnt(3)
	ds_write_b8 v3, v9 offset:1025
.LBB79_35:
	s_or_b64 exec, exec, s[0:1]
	v_and_b32_e32 v6, 7, v0
	v_sub_u32_e32 v6, v2, v6
	v_add_u32_e32 v6, 1, v6
	s_waitcnt lgkmcnt(0)
	s_barrier
	ds_read_i8 v8, v6
	ds_read_i8 v9, v6 offset:8
	s_mov_b32 s6, 1
	s_waitcnt lgkmcnt(0)
	v_cmp_ge_i16_e64 s[0:1], v8, v9
	v_cmp_lt_i16_e32 vcc, v8, v9
	s_and_saveexec_b64 s[2:3], vcc
	s_cbranch_execz .LBB79_37
; %bb.36:
	ds_read_u8 v7, v6 offset:1024
	s_andn2_b64 s[0:1], s[0:1], exec
	s_waitcnt lgkmcnt(0)
	v_and_b32_e32 v7, 1, v7
	v_cmp_eq_u32_e32 vcc, 1, v7
	s_xor_b64 s[8:9], vcc, -1
	s_and_b64 s[8:9], s[8:9], exec
	s_or_b64 s[0:1], s[0:1], s[8:9]
.LBB79_37:
	s_or_b64 exec, exec, s[2:3]
	v_mov_b32_e32 v10, s6
	s_and_saveexec_b64 s[2:3], s[0:1]
	s_cbranch_execz .LBB79_39
; %bb.38:
	ds_read_u8 v7, v6 offset:1032
	s_waitcnt lgkmcnt(0)
	v_xor_b32_e32 v10, 1, v7
.LBB79_39:
	s_or_b64 exec, exec, s[2:3]
	v_bfe_u32 v7, v0, 3, 1
	v_cmp_eq_u32_e32 vcc, v10, v7
	s_and_saveexec_b64 s[0:1], vcc
	s_cbranch_execz .LBB79_41
; %bb.40:
	ds_read_u8 v10, v6 offset:1032
	ds_read_u8 v11, v6 offset:1024
	ds_write_b8 v6, v9
	ds_write_b8 v6, v8 offset:8
	s_waitcnt lgkmcnt(3)
	ds_write_b8 v6, v10 offset:1024
	s_waitcnt lgkmcnt(3)
	ds_write_b8 v6, v11 offset:1032
.LBB79_41:
	s_or_b64 exec, exec, s[0:1]
	s_waitcnt lgkmcnt(0)
	s_barrier
	ds_read_i8 v8, v5
	ds_read_i8 v9, v5 offset:4
	s_waitcnt lgkmcnt(0)
	v_cmp_ge_i16_e64 s[0:1], v8, v9
	v_cmp_lt_i16_e32 vcc, v8, v9
	s_and_saveexec_b64 s[2:3], vcc
	s_cbranch_execnz .LBB79_315
; %bb.42:
	s_or_b64 exec, exec, s[2:3]
	v_mov_b32_e32 v10, s6
	s_and_saveexec_b64 s[2:3], s[0:1]
	s_cbranch_execnz .LBB79_316
.LBB79_43:
	s_or_b64 exec, exec, s[2:3]
	v_cmp_eq_u32_e32 vcc, v10, v7
	s_and_saveexec_b64 s[0:1], vcc
	s_cbranch_execz .LBB79_45
.LBB79_44:
	ds_read_u8 v10, v5 offset:1028
	ds_read_u8 v11, v5 offset:1024
	ds_write_b8 v5, v9
	ds_write_b8 v5, v8 offset:4
	s_waitcnt lgkmcnt(3)
	ds_write_b8 v5, v10 offset:1024
	s_waitcnt lgkmcnt(3)
	ds_write_b8 v5, v11 offset:1028
.LBB79_45:
	s_or_b64 exec, exec, s[0:1]
	s_waitcnt lgkmcnt(0)
	s_barrier
	ds_read_i8 v8, v4
	ds_read_i8 v9, v4 offset:2
	s_waitcnt lgkmcnt(0)
	v_cmp_ge_i16_e64 s[0:1], v8, v9
	v_cmp_lt_i16_e32 vcc, v8, v9
	s_and_saveexec_b64 s[2:3], vcc
	s_cbranch_execnz .LBB79_317
; %bb.46:
	s_or_b64 exec, exec, s[2:3]
	v_mov_b32_e32 v10, s6
	s_and_saveexec_b64 s[2:3], s[0:1]
	s_cbranch_execnz .LBB79_318
.LBB79_47:
	s_or_b64 exec, exec, s[2:3]
	v_cmp_eq_u32_e32 vcc, v10, v7
	s_and_saveexec_b64 s[0:1], vcc
	s_cbranch_execz .LBB79_49
.LBB79_48:
	ds_read_u8 v10, v4 offset:1026
	ds_read_u8 v11, v4 offset:1024
	ds_write_b8 v4, v9
	ds_write_b8 v4, v8 offset:2
	s_waitcnt lgkmcnt(3)
	ds_write_b8 v4, v10 offset:1024
	s_waitcnt lgkmcnt(3)
	ds_write_b8 v4, v11 offset:1026
.LBB79_49:
	s_or_b64 exec, exec, s[0:1]
	s_waitcnt lgkmcnt(0)
	s_barrier
	ds_read_i8 v8, v1
	ds_read_i8 v9, v1 offset:1
                                        ; implicit-def: $sgpr6
	s_waitcnt lgkmcnt(0)
	v_cmp_ge_i16_e64 s[0:1], v8, v9
	v_cmp_lt_i16_e32 vcc, v8, v9
	s_and_saveexec_b64 s[2:3], vcc
	s_cbranch_execnz .LBB79_319
; %bb.50:
	s_or_b64 exec, exec, s[2:3]
	v_mov_b32_e32 v10, s6
	s_and_saveexec_b64 s[2:3], s[0:1]
	s_cbranch_execnz .LBB79_320
.LBB79_51:
	s_or_b64 exec, exec, s[2:3]
	v_cmp_eq_u32_e32 vcc, v10, v7
	s_and_saveexec_b64 s[0:1], vcc
	s_cbranch_execz .LBB79_53
.LBB79_52:
	ds_read_u8 v7, v3 offset:1025
	ds_read_u8 v10, v1 offset:1024
	ds_write_b8 v1, v9
	ds_write_b8 v1, v8 offset:1
	s_waitcnt lgkmcnt(3)
	ds_write_b8 v1, v7 offset:1024
	s_waitcnt lgkmcnt(3)
	ds_write_b8 v3, v10 offset:1025
.LBB79_53:
	s_or_b64 exec, exec, s[0:1]
	v_and_b32_e32 v7, 15, v0
	v_sub_u32_e32 v7, v2, v7
	v_add_u32_e32 v7, 1, v7
	s_waitcnt lgkmcnt(0)
	s_barrier
	ds_read_i8 v9, v7
	ds_read_i8 v10, v7 offset:16
	s_mov_b32 s6, 1
	s_waitcnt lgkmcnt(0)
	v_cmp_ge_i16_e64 s[0:1], v9, v10
	v_cmp_lt_i16_e32 vcc, v9, v10
	s_and_saveexec_b64 s[2:3], vcc
	s_cbranch_execz .LBB79_55
; %bb.54:
	ds_read_u8 v8, v7 offset:1024
	s_andn2_b64 s[0:1], s[0:1], exec
	s_waitcnt lgkmcnt(0)
	v_and_b32_e32 v8, 1, v8
	v_cmp_eq_u32_e32 vcc, 1, v8
	s_xor_b64 s[8:9], vcc, -1
	s_and_b64 s[8:9], s[8:9], exec
	s_or_b64 s[0:1], s[0:1], s[8:9]
.LBB79_55:
	s_or_b64 exec, exec, s[2:3]
	v_mov_b32_e32 v11, s6
	s_and_saveexec_b64 s[2:3], s[0:1]
	s_cbranch_execz .LBB79_57
; %bb.56:
	ds_read_u8 v8, v7 offset:1040
	s_waitcnt lgkmcnt(0)
	v_xor_b32_e32 v11, 1, v8
.LBB79_57:
	s_or_b64 exec, exec, s[2:3]
	v_bfe_u32 v8, v0, 4, 1
	v_cmp_eq_u32_e32 vcc, v11, v8
	s_and_saveexec_b64 s[0:1], vcc
	s_cbranch_execz .LBB79_59
; %bb.58:
	ds_read_u8 v11, v7 offset:1040
	ds_read_u8 v12, v7 offset:1024
	ds_write_b8 v7, v10
	ds_write_b8 v7, v9 offset:16
	s_waitcnt lgkmcnt(3)
	ds_write_b8 v7, v11 offset:1024
	s_waitcnt lgkmcnt(3)
	ds_write_b8 v7, v12 offset:1040
.LBB79_59:
	s_or_b64 exec, exec, s[0:1]
	s_waitcnt lgkmcnt(0)
	s_barrier
	ds_read_i8 v9, v6
	ds_read_i8 v10, v6 offset:8
	s_waitcnt lgkmcnt(0)
	v_cmp_ge_i16_e64 s[0:1], v9, v10
	v_cmp_lt_i16_e32 vcc, v9, v10
	s_and_saveexec_b64 s[2:3], vcc
	s_cbranch_execnz .LBB79_321
; %bb.60:
	s_or_b64 exec, exec, s[2:3]
	v_mov_b32_e32 v11, s6
	s_and_saveexec_b64 s[2:3], s[0:1]
	s_cbranch_execnz .LBB79_322
.LBB79_61:
	s_or_b64 exec, exec, s[2:3]
	v_cmp_eq_u32_e32 vcc, v11, v8
	s_and_saveexec_b64 s[0:1], vcc
	s_cbranch_execz .LBB79_63
.LBB79_62:
	ds_read_u8 v11, v6 offset:1032
	ds_read_u8 v12, v6 offset:1024
	ds_write_b8 v6, v10
	ds_write_b8 v6, v9 offset:8
	s_waitcnt lgkmcnt(3)
	ds_write_b8 v6, v11 offset:1024
	s_waitcnt lgkmcnt(3)
	ds_write_b8 v6, v12 offset:1032
.LBB79_63:
	s_or_b64 exec, exec, s[0:1]
	s_waitcnt lgkmcnt(0)
	s_barrier
	ds_read_i8 v9, v5
	ds_read_i8 v10, v5 offset:4
	s_waitcnt lgkmcnt(0)
	v_cmp_ge_i16_e64 s[0:1], v9, v10
	v_cmp_lt_i16_e32 vcc, v9, v10
	s_and_saveexec_b64 s[2:3], vcc
	s_cbranch_execnz .LBB79_323
; %bb.64:
	s_or_b64 exec, exec, s[2:3]
	v_mov_b32_e32 v11, s6
	s_and_saveexec_b64 s[2:3], s[0:1]
	s_cbranch_execnz .LBB79_324
.LBB79_65:
	s_or_b64 exec, exec, s[2:3]
	v_cmp_eq_u32_e32 vcc, v11, v8
	s_and_saveexec_b64 s[0:1], vcc
	s_cbranch_execz .LBB79_67
.LBB79_66:
	ds_read_u8 v11, v5 offset:1028
	ds_read_u8 v12, v5 offset:1024
	ds_write_b8 v5, v10
	ds_write_b8 v5, v9 offset:4
	s_waitcnt lgkmcnt(3)
	ds_write_b8 v5, v11 offset:1024
	s_waitcnt lgkmcnt(3)
	ds_write_b8 v5, v12 offset:1028
.LBB79_67:
	s_or_b64 exec, exec, s[0:1]
	s_waitcnt lgkmcnt(0)
	s_barrier
	ds_read_i8 v9, v4
	ds_read_i8 v10, v4 offset:2
	s_waitcnt lgkmcnt(0)
	v_cmp_ge_i16_e64 s[0:1], v9, v10
	v_cmp_lt_i16_e32 vcc, v9, v10
	s_and_saveexec_b64 s[2:3], vcc
	s_cbranch_execnz .LBB79_325
; %bb.68:
	s_or_b64 exec, exec, s[2:3]
	v_mov_b32_e32 v11, s6
	s_and_saveexec_b64 s[2:3], s[0:1]
	s_cbranch_execnz .LBB79_326
.LBB79_69:
	s_or_b64 exec, exec, s[2:3]
	v_cmp_eq_u32_e32 vcc, v11, v8
	s_and_saveexec_b64 s[0:1], vcc
	s_cbranch_execz .LBB79_71
.LBB79_70:
	ds_read_u8 v11, v4 offset:1026
	ds_read_u8 v12, v4 offset:1024
	ds_write_b8 v4, v10
	ds_write_b8 v4, v9 offset:2
	s_waitcnt lgkmcnt(3)
	ds_write_b8 v4, v11 offset:1024
	s_waitcnt lgkmcnt(3)
	ds_write_b8 v4, v12 offset:1026
.LBB79_71:
	s_or_b64 exec, exec, s[0:1]
	s_waitcnt lgkmcnt(0)
	s_barrier
	ds_read_i8 v9, v1
	ds_read_i8 v10, v1 offset:1
                                        ; implicit-def: $sgpr6
	s_waitcnt lgkmcnt(0)
	v_cmp_ge_i16_e64 s[0:1], v9, v10
	v_cmp_lt_i16_e32 vcc, v9, v10
	s_and_saveexec_b64 s[2:3], vcc
	s_cbranch_execnz .LBB79_327
; %bb.72:
	s_or_b64 exec, exec, s[2:3]
	v_mov_b32_e32 v11, s6
	s_and_saveexec_b64 s[2:3], s[0:1]
	s_cbranch_execnz .LBB79_328
.LBB79_73:
	s_or_b64 exec, exec, s[2:3]
	v_cmp_eq_u32_e32 vcc, v11, v8
	s_and_saveexec_b64 s[0:1], vcc
	s_cbranch_execz .LBB79_75
.LBB79_74:
	ds_read_u8 v8, v3 offset:1025
	ds_read_u8 v11, v1 offset:1024
	ds_write_b8 v1, v10
	ds_write_b8 v1, v9 offset:1
	s_waitcnt lgkmcnt(3)
	ds_write_b8 v1, v8 offset:1024
	s_waitcnt lgkmcnt(3)
	ds_write_b8 v3, v11 offset:1025
.LBB79_75:
	s_or_b64 exec, exec, s[0:1]
	v_and_b32_e32 v8, 31, v0
	v_sub_u32_e32 v8, v2, v8
	v_add_u32_e32 v9, 1, v8
	s_waitcnt lgkmcnt(0)
	s_barrier
	ds_read_i8 v10, v9
	ds_read_i8 v11, v9 offset:32
	s_mov_b32 s6, 1
	s_waitcnt lgkmcnt(0)
	v_cmp_ge_i16_e64 s[0:1], v10, v11
	v_cmp_lt_i16_e32 vcc, v10, v11
	s_and_saveexec_b64 s[2:3], vcc
	s_cbranch_execz .LBB79_77
; %bb.76:
	ds_read_u8 v8, v9 offset:1024
	s_andn2_b64 s[0:1], s[0:1], exec
	s_waitcnt lgkmcnt(0)
	v_and_b32_e32 v8, 1, v8
	v_cmp_eq_u32_e32 vcc, 1, v8
	s_xor_b64 s[8:9], vcc, -1
	s_and_b64 s[8:9], s[8:9], exec
	s_or_b64 s[0:1], s[0:1], s[8:9]
.LBB79_77:
	s_or_b64 exec, exec, s[2:3]
	v_mov_b32_e32 v12, s6
	s_and_saveexec_b64 s[2:3], s[0:1]
	s_cbranch_execz .LBB79_79
; %bb.78:
	ds_read_u8 v8, v9 offset:1056
	s_waitcnt lgkmcnt(0)
	v_xor_b32_e32 v12, 1, v8
.LBB79_79:
	s_or_b64 exec, exec, s[2:3]
	v_bfe_u32 v8, v0, 5, 1
	v_cmp_eq_u32_e32 vcc, v12, v8
	s_and_saveexec_b64 s[0:1], vcc
	s_cbranch_execz .LBB79_81
; %bb.80:
	ds_read_u8 v12, v9 offset:1056
	ds_read_u8 v13, v9 offset:1024
	ds_write_b8 v9, v11
	ds_write_b8 v9, v10 offset:32
	s_waitcnt lgkmcnt(3)
	ds_write_b8 v9, v12 offset:1024
	s_waitcnt lgkmcnt(3)
	ds_write_b8 v9, v13 offset:1056
.LBB79_81:
	s_or_b64 exec, exec, s[0:1]
	s_waitcnt lgkmcnt(0)
	s_barrier
	ds_read_i8 v10, v7
	ds_read_i8 v11, v7 offset:16
	s_waitcnt lgkmcnt(0)
	v_cmp_ge_i16_e64 s[0:1], v10, v11
	v_cmp_lt_i16_e32 vcc, v10, v11
	s_and_saveexec_b64 s[2:3], vcc
	s_cbranch_execnz .LBB79_329
; %bb.82:
	s_or_b64 exec, exec, s[2:3]
	v_mov_b32_e32 v12, s6
	s_and_saveexec_b64 s[2:3], s[0:1]
	s_cbranch_execnz .LBB79_330
.LBB79_83:
	s_or_b64 exec, exec, s[2:3]
	v_cmp_eq_u32_e32 vcc, v12, v8
	s_and_saveexec_b64 s[0:1], vcc
	s_cbranch_execz .LBB79_85
.LBB79_84:
	ds_read_u8 v12, v7 offset:1040
	ds_read_u8 v13, v7 offset:1024
	ds_write_b8 v7, v11
	ds_write_b8 v7, v10 offset:16
	s_waitcnt lgkmcnt(3)
	ds_write_b8 v7, v12 offset:1024
	s_waitcnt lgkmcnt(3)
	ds_write_b8 v7, v13 offset:1040
.LBB79_85:
	s_or_b64 exec, exec, s[0:1]
	s_waitcnt lgkmcnt(0)
	s_barrier
	ds_read_i8 v10, v6
	ds_read_i8 v11, v6 offset:8
	s_waitcnt lgkmcnt(0)
	v_cmp_ge_i16_e64 s[0:1], v10, v11
	v_cmp_lt_i16_e32 vcc, v10, v11
	s_and_saveexec_b64 s[2:3], vcc
	s_cbranch_execnz .LBB79_331
; %bb.86:
	s_or_b64 exec, exec, s[2:3]
	v_mov_b32_e32 v12, s6
	s_and_saveexec_b64 s[2:3], s[0:1]
	s_cbranch_execnz .LBB79_332
.LBB79_87:
	s_or_b64 exec, exec, s[2:3]
	v_cmp_eq_u32_e32 vcc, v12, v8
	s_and_saveexec_b64 s[0:1], vcc
	s_cbranch_execz .LBB79_89
.LBB79_88:
	ds_read_u8 v12, v6 offset:1032
	ds_read_u8 v13, v6 offset:1024
	ds_write_b8 v6, v11
	ds_write_b8 v6, v10 offset:8
	s_waitcnt lgkmcnt(3)
	ds_write_b8 v6, v12 offset:1024
	s_waitcnt lgkmcnt(3)
	ds_write_b8 v6, v13 offset:1032
.LBB79_89:
	s_or_b64 exec, exec, s[0:1]
	s_waitcnt lgkmcnt(0)
	s_barrier
	ds_read_i8 v10, v5
	ds_read_i8 v11, v5 offset:4
	s_waitcnt lgkmcnt(0)
	v_cmp_ge_i16_e64 s[0:1], v10, v11
	v_cmp_lt_i16_e32 vcc, v10, v11
	s_and_saveexec_b64 s[2:3], vcc
	s_cbranch_execnz .LBB79_333
; %bb.90:
	s_or_b64 exec, exec, s[2:3]
	v_mov_b32_e32 v12, s6
	s_and_saveexec_b64 s[2:3], s[0:1]
	s_cbranch_execnz .LBB79_334
.LBB79_91:
	s_or_b64 exec, exec, s[2:3]
	v_cmp_eq_u32_e32 vcc, v12, v8
	s_and_saveexec_b64 s[0:1], vcc
	s_cbranch_execz .LBB79_93
.LBB79_92:
	ds_read_u8 v12, v5 offset:1028
	ds_read_u8 v13, v5 offset:1024
	ds_write_b8 v5, v11
	ds_write_b8 v5, v10 offset:4
	s_waitcnt lgkmcnt(3)
	ds_write_b8 v5, v12 offset:1024
	s_waitcnt lgkmcnt(3)
	ds_write_b8 v5, v13 offset:1028
.LBB79_93:
	s_or_b64 exec, exec, s[0:1]
	s_waitcnt lgkmcnt(0)
	s_barrier
	ds_read_i8 v10, v4
	ds_read_i8 v11, v4 offset:2
	s_waitcnt lgkmcnt(0)
	v_cmp_ge_i16_e64 s[0:1], v10, v11
	v_cmp_lt_i16_e32 vcc, v10, v11
	s_and_saveexec_b64 s[2:3], vcc
	s_cbranch_execnz .LBB79_335
; %bb.94:
	s_or_b64 exec, exec, s[2:3]
	v_mov_b32_e32 v12, s6
	s_and_saveexec_b64 s[2:3], s[0:1]
	s_cbranch_execnz .LBB79_336
.LBB79_95:
	s_or_b64 exec, exec, s[2:3]
	v_cmp_eq_u32_e32 vcc, v12, v8
	s_and_saveexec_b64 s[0:1], vcc
	s_cbranch_execz .LBB79_97
.LBB79_96:
	ds_read_u8 v12, v4 offset:1026
	ds_read_u8 v13, v4 offset:1024
	ds_write_b8 v4, v11
	ds_write_b8 v4, v10 offset:2
	s_waitcnt lgkmcnt(3)
	ds_write_b8 v4, v12 offset:1024
	s_waitcnt lgkmcnt(3)
	ds_write_b8 v4, v13 offset:1026
.LBB79_97:
	s_or_b64 exec, exec, s[0:1]
	s_waitcnt lgkmcnt(0)
	s_barrier
	ds_read_i8 v10, v1
	ds_read_i8 v11, v1 offset:1
                                        ; implicit-def: $sgpr6
	s_waitcnt lgkmcnt(0)
	v_cmp_ge_i16_e64 s[0:1], v10, v11
	v_cmp_lt_i16_e32 vcc, v10, v11
	s_and_saveexec_b64 s[2:3], vcc
	s_cbranch_execnz .LBB79_337
; %bb.98:
	s_or_b64 exec, exec, s[2:3]
	v_mov_b32_e32 v12, s6
	s_and_saveexec_b64 s[2:3], s[0:1]
	s_cbranch_execnz .LBB79_338
.LBB79_99:
	s_or_b64 exec, exec, s[2:3]
	v_cmp_eq_u32_e32 vcc, v12, v8
	s_and_saveexec_b64 s[0:1], vcc
	s_cbranch_execz .LBB79_101
.LBB79_100:
	ds_read_u8 v8, v3 offset:1025
	ds_read_u8 v12, v1 offset:1024
	ds_write_b8 v1, v11
	ds_write_b8 v1, v10 offset:1
	s_waitcnt lgkmcnt(3)
	ds_write_b8 v1, v8 offset:1024
	s_waitcnt lgkmcnt(3)
	ds_write_b8 v3, v12 offset:1025
.LBB79_101:
	s_or_b64 exec, exec, s[0:1]
	v_and_b32_e32 v8, 63, v0
	v_sub_u32_e32 v10, v2, v8
	v_add_u32_e32 v10, 1, v10
	s_waitcnt lgkmcnt(0)
	s_barrier
	ds_read_i8 v12, v10
	ds_read_i8 v13, v10 offset:64
	s_mov_b32 s6, 1
	s_waitcnt lgkmcnt(0)
	v_cmp_ge_i16_e64 s[0:1], v12, v13
	v_cmp_lt_i16_e32 vcc, v12, v13
	s_and_saveexec_b64 s[2:3], vcc
	s_cbranch_execz .LBB79_103
; %bb.102:
	ds_read_u8 v11, v10 offset:1024
	s_andn2_b64 s[0:1], s[0:1], exec
	s_waitcnt lgkmcnt(0)
	v_and_b32_e32 v11, 1, v11
	v_cmp_eq_u32_e32 vcc, 1, v11
	s_xor_b64 s[8:9], vcc, -1
	s_and_b64 s[8:9], s[8:9], exec
	s_or_b64 s[0:1], s[0:1], s[8:9]
.LBB79_103:
	s_or_b64 exec, exec, s[2:3]
	v_mov_b32_e32 v14, s6
	s_and_saveexec_b64 s[2:3], s[0:1]
	s_cbranch_execz .LBB79_105
; %bb.104:
	ds_read_u8 v11, v10 offset:1088
	s_waitcnt lgkmcnt(0)
	v_xor_b32_e32 v14, 1, v11
.LBB79_105:
	s_or_b64 exec, exec, s[2:3]
	v_bfe_u32 v11, v0, 6, 1
	v_cmp_eq_u32_e32 vcc, v14, v11
	s_and_saveexec_b64 s[0:1], vcc
	s_cbranch_execz .LBB79_107
; %bb.106:
	ds_read_u8 v14, v10 offset:1088
	ds_read_u8 v15, v10 offset:1024
	ds_write_b8 v10, v13
	ds_write_b8 v10, v12 offset:64
	s_waitcnt lgkmcnt(3)
	ds_write_b8 v10, v14 offset:1024
	s_waitcnt lgkmcnt(3)
	ds_write_b8 v10, v15 offset:1088
.LBB79_107:
	s_or_b64 exec, exec, s[0:1]
	s_waitcnt lgkmcnt(0)
	s_barrier
	ds_read_i8 v12, v9
	ds_read_i8 v13, v9 offset:32
	s_waitcnt lgkmcnt(0)
	v_cmp_ge_i16_e64 s[0:1], v12, v13
	v_cmp_lt_i16_e32 vcc, v12, v13
	s_and_saveexec_b64 s[2:3], vcc
	s_cbranch_execnz .LBB79_339
; %bb.108:
	s_or_b64 exec, exec, s[2:3]
	v_mov_b32_e32 v14, s6
	s_and_saveexec_b64 s[2:3], s[0:1]
	s_cbranch_execnz .LBB79_340
.LBB79_109:
	s_or_b64 exec, exec, s[2:3]
	v_cmp_eq_u32_e32 vcc, v14, v11
	s_and_saveexec_b64 s[0:1], vcc
	s_cbranch_execz .LBB79_111
.LBB79_110:
	ds_read_u8 v14, v9 offset:1056
	ds_read_u8 v15, v9 offset:1024
	ds_write_b8 v9, v13
	ds_write_b8 v9, v12 offset:32
	s_waitcnt lgkmcnt(3)
	ds_write_b8 v9, v14 offset:1024
	s_waitcnt lgkmcnt(3)
	ds_write_b8 v9, v15 offset:1056
.LBB79_111:
	s_or_b64 exec, exec, s[0:1]
	s_waitcnt lgkmcnt(0)
	s_barrier
	ds_read_i8 v12, v7
	ds_read_i8 v13, v7 offset:16
	s_waitcnt lgkmcnt(0)
	v_cmp_ge_i16_e64 s[0:1], v12, v13
	v_cmp_lt_i16_e32 vcc, v12, v13
	s_and_saveexec_b64 s[2:3], vcc
	s_cbranch_execnz .LBB79_341
; %bb.112:
	s_or_b64 exec, exec, s[2:3]
	v_mov_b32_e32 v14, s6
	s_and_saveexec_b64 s[2:3], s[0:1]
	s_cbranch_execnz .LBB79_342
.LBB79_113:
	s_or_b64 exec, exec, s[2:3]
	v_cmp_eq_u32_e32 vcc, v14, v11
	s_and_saveexec_b64 s[0:1], vcc
	s_cbranch_execz .LBB79_115
.LBB79_114:
	ds_read_u8 v14, v7 offset:1040
	ds_read_u8 v15, v7 offset:1024
	ds_write_b8 v7, v13
	ds_write_b8 v7, v12 offset:16
	s_waitcnt lgkmcnt(3)
	ds_write_b8 v7, v14 offset:1024
	s_waitcnt lgkmcnt(3)
	ds_write_b8 v7, v15 offset:1040
.LBB79_115:
	s_or_b64 exec, exec, s[0:1]
	s_waitcnt lgkmcnt(0)
	s_barrier
	ds_read_i8 v12, v6
	ds_read_i8 v13, v6 offset:8
	s_waitcnt lgkmcnt(0)
	v_cmp_ge_i16_e64 s[0:1], v12, v13
	v_cmp_lt_i16_e32 vcc, v12, v13
	s_and_saveexec_b64 s[2:3], vcc
	s_cbranch_execnz .LBB79_343
; %bb.116:
	s_or_b64 exec, exec, s[2:3]
	v_mov_b32_e32 v14, s6
	s_and_saveexec_b64 s[2:3], s[0:1]
	s_cbranch_execnz .LBB79_344
.LBB79_117:
	s_or_b64 exec, exec, s[2:3]
	v_cmp_eq_u32_e32 vcc, v14, v11
	s_and_saveexec_b64 s[0:1], vcc
	s_cbranch_execz .LBB79_119
.LBB79_118:
	ds_read_u8 v14, v6 offset:1032
	ds_read_u8 v15, v6 offset:1024
	ds_write_b8 v6, v13
	ds_write_b8 v6, v12 offset:8
	s_waitcnt lgkmcnt(3)
	ds_write_b8 v6, v14 offset:1024
	s_waitcnt lgkmcnt(3)
	ds_write_b8 v6, v15 offset:1032
.LBB79_119:
	s_or_b64 exec, exec, s[0:1]
	s_waitcnt lgkmcnt(0)
	s_barrier
	ds_read_i8 v12, v5
	ds_read_i8 v13, v5 offset:4
	s_waitcnt lgkmcnt(0)
	v_cmp_ge_i16_e64 s[0:1], v12, v13
	v_cmp_lt_i16_e32 vcc, v12, v13
	s_and_saveexec_b64 s[2:3], vcc
	s_cbranch_execnz .LBB79_345
; %bb.120:
	s_or_b64 exec, exec, s[2:3]
	v_mov_b32_e32 v14, s6
	s_and_saveexec_b64 s[2:3], s[0:1]
	s_cbranch_execnz .LBB79_346
.LBB79_121:
	s_or_b64 exec, exec, s[2:3]
	v_cmp_eq_u32_e32 vcc, v14, v11
	s_and_saveexec_b64 s[0:1], vcc
	s_cbranch_execz .LBB79_123
.LBB79_122:
	ds_read_u8 v14, v5 offset:1028
	ds_read_u8 v15, v5 offset:1024
	ds_write_b8 v5, v13
	ds_write_b8 v5, v12 offset:4
	s_waitcnt lgkmcnt(3)
	ds_write_b8 v5, v14 offset:1024
	s_waitcnt lgkmcnt(3)
	ds_write_b8 v5, v15 offset:1028
.LBB79_123:
	s_or_b64 exec, exec, s[0:1]
	s_waitcnt lgkmcnt(0)
	s_barrier
	ds_read_i8 v12, v4
	ds_read_i8 v13, v4 offset:2
	s_waitcnt lgkmcnt(0)
	v_cmp_ge_i16_e64 s[0:1], v12, v13
	v_cmp_lt_i16_e32 vcc, v12, v13
	s_and_saveexec_b64 s[2:3], vcc
	s_cbranch_execnz .LBB79_347
; %bb.124:
	s_or_b64 exec, exec, s[2:3]
	v_mov_b32_e32 v14, s6
	s_and_saveexec_b64 s[2:3], s[0:1]
	s_cbranch_execnz .LBB79_348
.LBB79_125:
	s_or_b64 exec, exec, s[2:3]
	v_cmp_eq_u32_e32 vcc, v14, v11
	s_and_saveexec_b64 s[0:1], vcc
	s_cbranch_execz .LBB79_127
.LBB79_126:
	ds_read_u8 v14, v4 offset:1026
	ds_read_u8 v15, v4 offset:1024
	ds_write_b8 v4, v13
	ds_write_b8 v4, v12 offset:2
	s_waitcnt lgkmcnt(3)
	ds_write_b8 v4, v14 offset:1024
	s_waitcnt lgkmcnt(3)
	ds_write_b8 v4, v15 offset:1026
.LBB79_127:
	s_or_b64 exec, exec, s[0:1]
	s_waitcnt lgkmcnt(0)
	s_barrier
	ds_read_i8 v12, v1
	ds_read_i8 v13, v1 offset:1
                                        ; implicit-def: $sgpr6
	s_waitcnt lgkmcnt(0)
	v_cmp_ge_i16_e64 s[0:1], v12, v13
	v_cmp_lt_i16_e32 vcc, v12, v13
	s_and_saveexec_b64 s[2:3], vcc
	s_cbranch_execnz .LBB79_349
; %bb.128:
	s_or_b64 exec, exec, s[2:3]
	v_mov_b32_e32 v14, s6
	s_and_saveexec_b64 s[2:3], s[0:1]
	s_cbranch_execnz .LBB79_350
.LBB79_129:
	s_or_b64 exec, exec, s[2:3]
	v_cmp_eq_u32_e32 vcc, v14, v11
	s_and_saveexec_b64 s[0:1], vcc
	s_cbranch_execz .LBB79_131
.LBB79_130:
	ds_read_u8 v11, v3 offset:1025
	ds_read_u8 v14, v1 offset:1024
	ds_write_b8 v1, v13
	ds_write_b8 v1, v12 offset:1
	s_waitcnt lgkmcnt(3)
	ds_write_b8 v1, v11 offset:1024
	s_waitcnt lgkmcnt(3)
	ds_write_b8 v3, v14 offset:1025
.LBB79_131:
	s_or_b64 exec, exec, s[0:1]
	v_and_b32_e32 v11, 0x7f, v0
	v_sub_u32_e32 v11, v2, v11
	v_add_u32_e32 v11, 1, v11
	s_waitcnt lgkmcnt(0)
	s_barrier
	ds_read_i8 v13, v11
	ds_read_i8 v14, v11 offset:128
	s_mov_b32 s6, 1
	s_waitcnt lgkmcnt(0)
	v_cmp_ge_i16_e64 s[0:1], v13, v14
	v_cmp_lt_i16_e32 vcc, v13, v14
	s_and_saveexec_b64 s[2:3], vcc
	s_cbranch_execz .LBB79_133
; %bb.132:
	ds_read_u8 v12, v11 offset:1024
	s_andn2_b64 s[0:1], s[0:1], exec
	s_waitcnt lgkmcnt(0)
	v_and_b32_e32 v12, 1, v12
	v_cmp_eq_u32_e32 vcc, 1, v12
	s_xor_b64 s[8:9], vcc, -1
	s_and_b64 s[8:9], s[8:9], exec
	s_or_b64 s[0:1], s[0:1], s[8:9]
.LBB79_133:
	s_or_b64 exec, exec, s[2:3]
	v_mov_b32_e32 v15, s6
	s_and_saveexec_b64 s[2:3], s[0:1]
	s_cbranch_execz .LBB79_135
; %bb.134:
	ds_read_u8 v12, v11 offset:1152
	s_waitcnt lgkmcnt(0)
	v_xor_b32_e32 v15, 1, v12
.LBB79_135:
	s_or_b64 exec, exec, s[2:3]
	v_bfe_u32 v12, v0, 7, 1
	v_cmp_eq_u32_e32 vcc, v15, v12
	s_and_saveexec_b64 s[0:1], vcc
	s_cbranch_execz .LBB79_137
; %bb.136:
	ds_read_u8 v15, v11 offset:1152
	ds_read_u8 v16, v11 offset:1024
	ds_write_b8 v11, v14
	ds_write_b8 v11, v13 offset:128
	s_waitcnt lgkmcnt(3)
	ds_write_b8 v11, v15 offset:1024
	s_waitcnt lgkmcnt(3)
	ds_write_b8 v11, v16 offset:1152
.LBB79_137:
	s_or_b64 exec, exec, s[0:1]
	s_waitcnt lgkmcnt(0)
	s_barrier
	ds_read_i8 v13, v10
	ds_read_i8 v14, v10 offset:64
	s_waitcnt lgkmcnt(0)
	v_cmp_ge_i16_e64 s[0:1], v13, v14
	v_cmp_lt_i16_e32 vcc, v13, v14
	s_and_saveexec_b64 s[2:3], vcc
	s_cbranch_execnz .LBB79_351
; %bb.138:
	s_or_b64 exec, exec, s[2:3]
	v_mov_b32_e32 v15, s6
	s_and_saveexec_b64 s[2:3], s[0:1]
	s_cbranch_execnz .LBB79_352
.LBB79_139:
	s_or_b64 exec, exec, s[2:3]
	v_cmp_eq_u32_e32 vcc, v15, v12
	s_and_saveexec_b64 s[0:1], vcc
	s_cbranch_execz .LBB79_141
.LBB79_140:
	ds_read_u8 v15, v10 offset:1088
	ds_read_u8 v16, v10 offset:1024
	ds_write_b8 v10, v14
	ds_write_b8 v10, v13 offset:64
	s_waitcnt lgkmcnt(3)
	ds_write_b8 v10, v15 offset:1024
	s_waitcnt lgkmcnt(3)
	ds_write_b8 v10, v16 offset:1088
.LBB79_141:
	s_or_b64 exec, exec, s[0:1]
	s_waitcnt lgkmcnt(0)
	s_barrier
	ds_read_i8 v13, v9
	ds_read_i8 v14, v9 offset:32
	s_waitcnt lgkmcnt(0)
	v_cmp_ge_i16_e64 s[0:1], v13, v14
	v_cmp_lt_i16_e32 vcc, v13, v14
	s_and_saveexec_b64 s[2:3], vcc
	s_cbranch_execnz .LBB79_353
; %bb.142:
	s_or_b64 exec, exec, s[2:3]
	v_mov_b32_e32 v15, s6
	s_and_saveexec_b64 s[2:3], s[0:1]
	s_cbranch_execnz .LBB79_354
.LBB79_143:
	s_or_b64 exec, exec, s[2:3]
	v_cmp_eq_u32_e32 vcc, v15, v12
	s_and_saveexec_b64 s[0:1], vcc
	s_cbranch_execz .LBB79_145
.LBB79_144:
	ds_read_u8 v15, v9 offset:1056
	ds_read_u8 v16, v9 offset:1024
	ds_write_b8 v9, v14
	ds_write_b8 v9, v13 offset:32
	s_waitcnt lgkmcnt(3)
	ds_write_b8 v9, v15 offset:1024
	s_waitcnt lgkmcnt(3)
	ds_write_b8 v9, v16 offset:1056
.LBB79_145:
	s_or_b64 exec, exec, s[0:1]
	s_waitcnt lgkmcnt(0)
	s_barrier
	ds_read_i8 v13, v7
	ds_read_i8 v14, v7 offset:16
	s_waitcnt lgkmcnt(0)
	v_cmp_ge_i16_e64 s[0:1], v13, v14
	v_cmp_lt_i16_e32 vcc, v13, v14
	s_and_saveexec_b64 s[2:3], vcc
	s_cbranch_execnz .LBB79_355
; %bb.146:
	s_or_b64 exec, exec, s[2:3]
	v_mov_b32_e32 v15, s6
	s_and_saveexec_b64 s[2:3], s[0:1]
	s_cbranch_execnz .LBB79_356
.LBB79_147:
	s_or_b64 exec, exec, s[2:3]
	v_cmp_eq_u32_e32 vcc, v15, v12
	s_and_saveexec_b64 s[0:1], vcc
	s_cbranch_execz .LBB79_149
.LBB79_148:
	ds_read_u8 v15, v7 offset:1040
	ds_read_u8 v16, v7 offset:1024
	ds_write_b8 v7, v14
	ds_write_b8 v7, v13 offset:16
	s_waitcnt lgkmcnt(3)
	ds_write_b8 v7, v15 offset:1024
	s_waitcnt lgkmcnt(3)
	ds_write_b8 v7, v16 offset:1040
.LBB79_149:
	s_or_b64 exec, exec, s[0:1]
	s_waitcnt lgkmcnt(0)
	s_barrier
	ds_read_i8 v13, v6
	ds_read_i8 v14, v6 offset:8
	s_waitcnt lgkmcnt(0)
	v_cmp_ge_i16_e64 s[0:1], v13, v14
	v_cmp_lt_i16_e32 vcc, v13, v14
	s_and_saveexec_b64 s[2:3], vcc
	s_cbranch_execnz .LBB79_357
; %bb.150:
	s_or_b64 exec, exec, s[2:3]
	v_mov_b32_e32 v15, s6
	s_and_saveexec_b64 s[2:3], s[0:1]
	s_cbranch_execnz .LBB79_358
.LBB79_151:
	s_or_b64 exec, exec, s[2:3]
	v_cmp_eq_u32_e32 vcc, v15, v12
	s_and_saveexec_b64 s[0:1], vcc
	s_cbranch_execz .LBB79_153
.LBB79_152:
	ds_read_u8 v15, v6 offset:1032
	ds_read_u8 v16, v6 offset:1024
	ds_write_b8 v6, v14
	ds_write_b8 v6, v13 offset:8
	s_waitcnt lgkmcnt(3)
	ds_write_b8 v6, v15 offset:1024
	s_waitcnt lgkmcnt(3)
	ds_write_b8 v6, v16 offset:1032
.LBB79_153:
	s_or_b64 exec, exec, s[0:1]
	s_waitcnt lgkmcnt(0)
	s_barrier
	ds_read_i8 v13, v5
	ds_read_i8 v14, v5 offset:4
	s_waitcnt lgkmcnt(0)
	v_cmp_ge_i16_e64 s[0:1], v13, v14
	v_cmp_lt_i16_e32 vcc, v13, v14
	s_and_saveexec_b64 s[2:3], vcc
	s_cbranch_execnz .LBB79_359
; %bb.154:
	s_or_b64 exec, exec, s[2:3]
	v_mov_b32_e32 v15, s6
	s_and_saveexec_b64 s[2:3], s[0:1]
	s_cbranch_execnz .LBB79_360
.LBB79_155:
	s_or_b64 exec, exec, s[2:3]
	v_cmp_eq_u32_e32 vcc, v15, v12
	s_and_saveexec_b64 s[0:1], vcc
	s_cbranch_execz .LBB79_157
.LBB79_156:
	ds_read_u8 v15, v5 offset:1028
	ds_read_u8 v16, v5 offset:1024
	ds_write_b8 v5, v14
	ds_write_b8 v5, v13 offset:4
	s_waitcnt lgkmcnt(3)
	ds_write_b8 v5, v15 offset:1024
	s_waitcnt lgkmcnt(3)
	ds_write_b8 v5, v16 offset:1028
.LBB79_157:
	s_or_b64 exec, exec, s[0:1]
	s_waitcnt lgkmcnt(0)
	s_barrier
	ds_read_i8 v13, v4
	ds_read_i8 v14, v4 offset:2
	s_waitcnt lgkmcnt(0)
	v_cmp_ge_i16_e64 s[0:1], v13, v14
	v_cmp_lt_i16_e32 vcc, v13, v14
	s_and_saveexec_b64 s[2:3], vcc
	s_cbranch_execnz .LBB79_361
; %bb.158:
	s_or_b64 exec, exec, s[2:3]
	v_mov_b32_e32 v15, s6
	s_and_saveexec_b64 s[2:3], s[0:1]
	s_cbranch_execnz .LBB79_362
.LBB79_159:
	s_or_b64 exec, exec, s[2:3]
	v_cmp_eq_u32_e32 vcc, v15, v12
	s_and_saveexec_b64 s[0:1], vcc
	s_cbranch_execz .LBB79_161
.LBB79_160:
	ds_read_u8 v15, v4 offset:1026
	ds_read_u8 v16, v4 offset:1024
	ds_write_b8 v4, v14
	ds_write_b8 v4, v13 offset:2
	s_waitcnt lgkmcnt(3)
	ds_write_b8 v4, v15 offset:1024
	s_waitcnt lgkmcnt(3)
	ds_write_b8 v4, v16 offset:1026
.LBB79_161:
	s_or_b64 exec, exec, s[0:1]
	s_waitcnt lgkmcnt(0)
	s_barrier
	ds_read_i8 v13, v1
	ds_read_i8 v14, v1 offset:1
                                        ; implicit-def: $sgpr6
	s_waitcnt lgkmcnt(0)
	v_cmp_ge_i16_e64 s[0:1], v13, v14
	v_cmp_lt_i16_e32 vcc, v13, v14
	s_and_saveexec_b64 s[2:3], vcc
	s_cbranch_execnz .LBB79_363
; %bb.162:
	s_or_b64 exec, exec, s[2:3]
	v_mov_b32_e32 v15, s6
	s_and_saveexec_b64 s[2:3], s[0:1]
	s_cbranch_execnz .LBB79_364
.LBB79_163:
	s_or_b64 exec, exec, s[2:3]
	v_cmp_eq_u32_e32 vcc, v15, v12
	s_and_saveexec_b64 s[0:1], vcc
	s_cbranch_execz .LBB79_165
.LBB79_164:
	ds_read_u8 v12, v3 offset:1025
	ds_read_u8 v15, v1 offset:1024
	ds_write_b8 v1, v14
	ds_write_b8 v1, v13 offset:1
	s_waitcnt lgkmcnt(3)
	ds_write_b8 v1, v12 offset:1024
	s_waitcnt lgkmcnt(3)
	ds_write_b8 v3, v15 offset:1025
.LBB79_165:
	s_or_b64 exec, exec, s[0:1]
	v_sub_u32_sdwa v12, v2, v0 dst_sel:DWORD dst_unused:UNUSED_PAD src0_sel:DWORD src1_sel:BYTE_0
	v_add_u32_e32 v12, 1, v12
	s_waitcnt lgkmcnt(0)
	s_barrier
	ds_read_i8 v14, v12
	ds_read_i8 v15, v12 offset:256
	s_mov_b32 s6, 1
	s_waitcnt lgkmcnt(0)
	v_cmp_ge_i16_e64 s[0:1], v14, v15
	v_cmp_lt_i16_e32 vcc, v14, v15
	s_and_saveexec_b64 s[2:3], vcc
	s_cbranch_execz .LBB79_167
; %bb.166:
	ds_read_u8 v13, v12 offset:1024
	s_andn2_b64 s[0:1], s[0:1], exec
	s_waitcnt lgkmcnt(0)
	v_and_b32_e32 v13, 1, v13
	v_cmp_eq_u32_e32 vcc, 1, v13
	s_xor_b64 s[8:9], vcc, -1
	s_and_b64 s[8:9], s[8:9], exec
	s_or_b64 s[0:1], s[0:1], s[8:9]
.LBB79_167:
	s_or_b64 exec, exec, s[2:3]
	v_mov_b32_e32 v16, s6
	s_and_saveexec_b64 s[2:3], s[0:1]
	s_cbranch_execz .LBB79_169
; %bb.168:
	ds_read_u8 v13, v12 offset:1280
	s_waitcnt lgkmcnt(0)
	v_xor_b32_e32 v16, 1, v13
.LBB79_169:
	s_or_b64 exec, exec, s[2:3]
	v_bfe_u32 v13, v0, 8, 1
	v_cmp_eq_u32_e32 vcc, v16, v13
	s_and_saveexec_b64 s[0:1], vcc
	s_cbranch_execz .LBB79_171
; %bb.170:
	ds_read_u8 v16, v12 offset:1280
	ds_read_u8 v17, v12 offset:1024
	ds_write_b8 v12, v15
	ds_write_b8 v12, v14 offset:256
	s_waitcnt lgkmcnt(3)
	ds_write_b8 v12, v16 offset:1024
	s_waitcnt lgkmcnt(3)
	ds_write_b8 v12, v17 offset:1280
.LBB79_171:
	s_or_b64 exec, exec, s[0:1]
	s_waitcnt lgkmcnt(0)
	s_barrier
	ds_read_i8 v14, v11
	ds_read_i8 v15, v11 offset:128
	s_waitcnt lgkmcnt(0)
	v_cmp_ge_i16_e64 s[0:1], v14, v15
	v_cmp_lt_i16_e32 vcc, v14, v15
	s_and_saveexec_b64 s[2:3], vcc
	s_cbranch_execnz .LBB79_365
; %bb.172:
	s_or_b64 exec, exec, s[2:3]
	v_mov_b32_e32 v16, s6
	s_and_saveexec_b64 s[2:3], s[0:1]
	s_cbranch_execnz .LBB79_366
.LBB79_173:
	s_or_b64 exec, exec, s[2:3]
	v_cmp_eq_u32_e32 vcc, v16, v13
	s_and_saveexec_b64 s[0:1], vcc
	s_cbranch_execz .LBB79_175
.LBB79_174:
	ds_read_u8 v16, v11 offset:1152
	ds_read_u8 v17, v11 offset:1024
	ds_write_b8 v11, v15
	ds_write_b8 v11, v14 offset:128
	s_waitcnt lgkmcnt(3)
	ds_write_b8 v11, v16 offset:1024
	s_waitcnt lgkmcnt(3)
	ds_write_b8 v11, v17 offset:1152
.LBB79_175:
	s_or_b64 exec, exec, s[0:1]
	s_waitcnt lgkmcnt(0)
	s_barrier
	ds_read_i8 v14, v10
	ds_read_i8 v15, v10 offset:64
	s_waitcnt lgkmcnt(0)
	v_cmp_ge_i16_e64 s[0:1], v14, v15
	v_cmp_lt_i16_e32 vcc, v14, v15
	s_and_saveexec_b64 s[2:3], vcc
	s_cbranch_execnz .LBB79_367
; %bb.176:
	s_or_b64 exec, exec, s[2:3]
	v_mov_b32_e32 v16, s6
	s_and_saveexec_b64 s[2:3], s[0:1]
	s_cbranch_execnz .LBB79_368
.LBB79_177:
	s_or_b64 exec, exec, s[2:3]
	v_cmp_eq_u32_e32 vcc, v16, v13
	s_and_saveexec_b64 s[0:1], vcc
	s_cbranch_execz .LBB79_179
.LBB79_178:
	ds_read_u8 v16, v10 offset:1088
	ds_read_u8 v17, v10 offset:1024
	ds_write_b8 v10, v15
	ds_write_b8 v10, v14 offset:64
	s_waitcnt lgkmcnt(3)
	ds_write_b8 v10, v16 offset:1024
	s_waitcnt lgkmcnt(3)
	ds_write_b8 v10, v17 offset:1088
.LBB79_179:
	s_or_b64 exec, exec, s[0:1]
	s_waitcnt lgkmcnt(0)
	s_barrier
	ds_read_i8 v14, v9
	ds_read_i8 v15, v9 offset:32
	s_waitcnt lgkmcnt(0)
	v_cmp_ge_i16_e64 s[0:1], v14, v15
	v_cmp_lt_i16_e32 vcc, v14, v15
	s_and_saveexec_b64 s[2:3], vcc
	s_cbranch_execnz .LBB79_369
; %bb.180:
	s_or_b64 exec, exec, s[2:3]
	v_mov_b32_e32 v16, s6
	s_and_saveexec_b64 s[2:3], s[0:1]
	s_cbranch_execnz .LBB79_370
.LBB79_181:
	s_or_b64 exec, exec, s[2:3]
	v_cmp_eq_u32_e32 vcc, v16, v13
	s_and_saveexec_b64 s[0:1], vcc
	s_cbranch_execz .LBB79_183
.LBB79_182:
	ds_read_u8 v16, v9 offset:1056
	ds_read_u8 v17, v9 offset:1024
	ds_write_b8 v9, v15
	ds_write_b8 v9, v14 offset:32
	s_waitcnt lgkmcnt(3)
	ds_write_b8 v9, v16 offset:1024
	s_waitcnt lgkmcnt(3)
	ds_write_b8 v9, v17 offset:1056
.LBB79_183:
	s_or_b64 exec, exec, s[0:1]
	s_waitcnt lgkmcnt(0)
	s_barrier
	ds_read_i8 v14, v7
	ds_read_i8 v15, v7 offset:16
	s_waitcnt lgkmcnt(0)
	v_cmp_ge_i16_e64 s[0:1], v14, v15
	v_cmp_lt_i16_e32 vcc, v14, v15
	s_and_saveexec_b64 s[2:3], vcc
	s_cbranch_execnz .LBB79_371
; %bb.184:
	s_or_b64 exec, exec, s[2:3]
	v_mov_b32_e32 v16, s6
	s_and_saveexec_b64 s[2:3], s[0:1]
	s_cbranch_execnz .LBB79_372
.LBB79_185:
	s_or_b64 exec, exec, s[2:3]
	v_cmp_eq_u32_e32 vcc, v16, v13
	s_and_saveexec_b64 s[0:1], vcc
	s_cbranch_execz .LBB79_187
.LBB79_186:
	ds_read_u8 v16, v7 offset:1040
	ds_read_u8 v17, v7 offset:1024
	ds_write_b8 v7, v15
	ds_write_b8 v7, v14 offset:16
	s_waitcnt lgkmcnt(3)
	ds_write_b8 v7, v16 offset:1024
	s_waitcnt lgkmcnt(3)
	ds_write_b8 v7, v17 offset:1040
.LBB79_187:
	s_or_b64 exec, exec, s[0:1]
	s_waitcnt lgkmcnt(0)
	s_barrier
	ds_read_i8 v14, v6
	ds_read_i8 v15, v6 offset:8
	s_waitcnt lgkmcnt(0)
	v_cmp_ge_i16_e64 s[0:1], v14, v15
	v_cmp_lt_i16_e32 vcc, v14, v15
	s_and_saveexec_b64 s[2:3], vcc
	s_cbranch_execnz .LBB79_373
; %bb.188:
	s_or_b64 exec, exec, s[2:3]
	v_mov_b32_e32 v16, s6
	s_and_saveexec_b64 s[2:3], s[0:1]
	s_cbranch_execnz .LBB79_374
.LBB79_189:
	s_or_b64 exec, exec, s[2:3]
	v_cmp_eq_u32_e32 vcc, v16, v13
	s_and_saveexec_b64 s[0:1], vcc
	s_cbranch_execz .LBB79_191
.LBB79_190:
	ds_read_u8 v16, v6 offset:1032
	ds_read_u8 v17, v6 offset:1024
	ds_write_b8 v6, v15
	ds_write_b8 v6, v14 offset:8
	s_waitcnt lgkmcnt(3)
	ds_write_b8 v6, v16 offset:1024
	s_waitcnt lgkmcnt(3)
	ds_write_b8 v6, v17 offset:1032
.LBB79_191:
	s_or_b64 exec, exec, s[0:1]
	s_waitcnt lgkmcnt(0)
	s_barrier
	ds_read_i8 v14, v5
	ds_read_i8 v15, v5 offset:4
	s_waitcnt lgkmcnt(0)
	v_cmp_ge_i16_e64 s[0:1], v14, v15
	v_cmp_lt_i16_e32 vcc, v14, v15
	s_and_saveexec_b64 s[2:3], vcc
	s_cbranch_execnz .LBB79_375
; %bb.192:
	s_or_b64 exec, exec, s[2:3]
	v_mov_b32_e32 v16, s6
	s_and_saveexec_b64 s[2:3], s[0:1]
	s_cbranch_execnz .LBB79_376
.LBB79_193:
	s_or_b64 exec, exec, s[2:3]
	v_cmp_eq_u32_e32 vcc, v16, v13
	s_and_saveexec_b64 s[0:1], vcc
	s_cbranch_execz .LBB79_195
.LBB79_194:
	ds_read_u8 v16, v5 offset:1028
	ds_read_u8 v17, v5 offset:1024
	ds_write_b8 v5, v15
	ds_write_b8 v5, v14 offset:4
	s_waitcnt lgkmcnt(3)
	ds_write_b8 v5, v16 offset:1024
	s_waitcnt lgkmcnt(3)
	ds_write_b8 v5, v17 offset:1028
.LBB79_195:
	s_or_b64 exec, exec, s[0:1]
	s_waitcnt lgkmcnt(0)
	s_barrier
	ds_read_i8 v14, v4
	ds_read_i8 v15, v4 offset:2
	s_waitcnt lgkmcnt(0)
	v_cmp_ge_i16_e64 s[0:1], v14, v15
	v_cmp_lt_i16_e32 vcc, v14, v15
	s_and_saveexec_b64 s[2:3], vcc
	s_cbranch_execnz .LBB79_377
; %bb.196:
	s_or_b64 exec, exec, s[2:3]
	v_mov_b32_e32 v16, s6
	s_and_saveexec_b64 s[2:3], s[0:1]
	s_cbranch_execnz .LBB79_378
.LBB79_197:
	s_or_b64 exec, exec, s[2:3]
	v_cmp_eq_u32_e32 vcc, v16, v13
	s_and_saveexec_b64 s[0:1], vcc
	s_cbranch_execz .LBB79_199
.LBB79_198:
	ds_read_u8 v16, v4 offset:1026
	ds_read_u8 v17, v4 offset:1024
	ds_write_b8 v4, v15
	ds_write_b8 v4, v14 offset:2
	s_waitcnt lgkmcnt(3)
	ds_write_b8 v4, v16 offset:1024
	s_waitcnt lgkmcnt(3)
	ds_write_b8 v4, v17 offset:1026
.LBB79_199:
	s_or_b64 exec, exec, s[0:1]
	s_waitcnt lgkmcnt(0)
	s_barrier
	ds_read_i8 v14, v1
	ds_read_i8 v15, v1 offset:1
                                        ; implicit-def: $sgpr6
	s_waitcnt lgkmcnt(0)
	v_cmp_ge_i16_e64 s[0:1], v14, v15
	v_cmp_lt_i16_e32 vcc, v14, v15
	s_and_saveexec_b64 s[2:3], vcc
	s_cbranch_execnz .LBB79_379
; %bb.200:
	s_or_b64 exec, exec, s[2:3]
	v_mov_b32_e32 v16, s6
	s_and_saveexec_b64 s[2:3], s[0:1]
	s_cbranch_execnz .LBB79_380
.LBB79_201:
	s_or_b64 exec, exec, s[2:3]
	v_cmp_eq_u32_e32 vcc, v16, v13
	s_and_saveexec_b64 s[0:1], vcc
	s_cbranch_execz .LBB79_203
.LBB79_202:
	ds_read_u8 v13, v3 offset:1025
	ds_read_u8 v16, v1 offset:1024
	ds_write_b8 v1, v15
	ds_write_b8 v1, v14 offset:1
	s_waitcnt lgkmcnt(3)
	ds_write_b8 v1, v13 offset:1024
	s_waitcnt lgkmcnt(3)
	ds_write_b8 v3, v16 offset:1025
.LBB79_203:
	s_or_b64 exec, exec, s[0:1]
	v_and_b32_e32 v13, 0x1ff, v0
	v_sub_u32_e32 v13, v2, v13
	v_add_u32_e32 v13, 1, v13
	s_waitcnt lgkmcnt(0)
	s_barrier
	ds_read_i8 v14, v13
	ds_read_i8 v15, v13 offset:512
	s_mov_b32 s6, 1
	s_waitcnt lgkmcnt(0)
	v_cmp_ge_i16_e64 s[0:1], v14, v15
	v_cmp_lt_i16_e32 vcc, v14, v15
	s_and_saveexec_b64 s[2:3], vcc
	s_cbranch_execnz .LBB79_381
; %bb.204:
	s_or_b64 exec, exec, s[2:3]
	v_mov_b32_e32 v16, s6
	s_and_saveexec_b64 s[2:3], s[0:1]
	s_cbranch_execnz .LBB79_382
.LBB79_205:
	s_or_b64 exec, exec, s[2:3]
	v_cmp_eq_u32_e32 vcc, 0, v16
	s_and_saveexec_b64 s[0:1], vcc
	s_cbranch_execz .LBB79_207
.LBB79_206:
	ds_read_u8 v16, v13 offset:1536
	ds_read_u8 v17, v13 offset:1024
	ds_write_b8 v13, v15
	ds_write_b8 v13, v14 offset:512
	s_waitcnt lgkmcnt(3)
	ds_write_b8 v13, v16 offset:1024
	s_waitcnt lgkmcnt(3)
	ds_write_b8 v13, v17 offset:1536
.LBB79_207:
	s_or_b64 exec, exec, s[0:1]
	s_waitcnt lgkmcnt(0)
	s_barrier
	ds_read_i8 v13, v12
	ds_read_i8 v14, v12 offset:256
	s_waitcnt lgkmcnt(0)
	v_cmp_ge_i16_e64 s[0:1], v13, v14
	v_cmp_lt_i16_e32 vcc, v13, v14
	s_and_saveexec_b64 s[2:3], vcc
	s_cbranch_execnz .LBB79_383
; %bb.208:
	s_or_b64 exec, exec, s[2:3]
	v_mov_b32_e32 v15, s6
	s_and_saveexec_b64 s[2:3], s[0:1]
	s_cbranch_execnz .LBB79_384
.LBB79_209:
	s_or_b64 exec, exec, s[2:3]
	v_cmp_eq_u32_e32 vcc, 0, v15
	s_and_saveexec_b64 s[0:1], vcc
	s_cbranch_execz .LBB79_211
.LBB79_210:
	ds_read_u8 v15, v12 offset:1280
	ds_read_u8 v16, v12 offset:1024
	ds_write_b8 v12, v14
	ds_write_b8 v12, v13 offset:256
	s_waitcnt lgkmcnt(3)
	ds_write_b8 v12, v15 offset:1024
	s_waitcnt lgkmcnt(3)
	ds_write_b8 v12, v16 offset:1280
.LBB79_211:
	s_or_b64 exec, exec, s[0:1]
	s_waitcnt lgkmcnt(0)
	s_barrier
	ds_read_i8 v12, v11
	ds_read_i8 v13, v11 offset:128
	s_waitcnt lgkmcnt(0)
	v_cmp_ge_i16_e64 s[0:1], v12, v13
	v_cmp_lt_i16_e32 vcc, v12, v13
	s_and_saveexec_b64 s[2:3], vcc
	s_cbranch_execnz .LBB79_385
; %bb.212:
	s_or_b64 exec, exec, s[2:3]
	v_mov_b32_e32 v14, s6
	s_and_saveexec_b64 s[2:3], s[0:1]
	s_cbranch_execnz .LBB79_386
.LBB79_213:
	s_or_b64 exec, exec, s[2:3]
	v_cmp_eq_u32_e32 vcc, 0, v14
	s_and_saveexec_b64 s[0:1], vcc
	s_cbranch_execz .LBB79_215
.LBB79_214:
	ds_read_u8 v14, v11 offset:1152
	ds_read_u8 v15, v11 offset:1024
	ds_write_b8 v11, v13
	ds_write_b8 v11, v12 offset:128
	s_waitcnt lgkmcnt(3)
	ds_write_b8 v11, v14 offset:1024
	s_waitcnt lgkmcnt(3)
	ds_write_b8 v11, v15 offset:1152
.LBB79_215:
	s_or_b64 exec, exec, s[0:1]
	s_waitcnt lgkmcnt(0)
	s_barrier
	ds_read_i8 v11, v10
	ds_read_i8 v12, v10 offset:64
	s_waitcnt lgkmcnt(0)
	v_cmp_ge_i16_e64 s[2:3], v11, v12
	v_cmp_lt_i16_e32 vcc, v11, v12
	s_and_saveexec_b64 s[0:1], vcc
	s_cbranch_execz .LBB79_217
; %bb.216:
	ds_read_u8 v13, v10 offset:1024
	s_andn2_b64 s[2:3], s[2:3], exec
	s_waitcnt lgkmcnt(0)
	v_and_b32_e32 v13, 1, v13
	v_cmp_eq_u32_e32 vcc, 1, v13
	s_xor_b64 s[6:7], vcc, -1
	s_and_b64 s[6:7], s[6:7], exec
	s_or_b64 s[2:3], s[2:3], s[6:7]
.LBB79_217:
	s_or_b64 exec, exec, s[0:1]
	s_and_saveexec_b64 s[0:1], s[2:3]
	s_cbranch_execz .LBB79_220
; %bb.218:
	ds_read_u8 v13, v10 offset:1088
	s_waitcnt lgkmcnt(0)
	v_cmp_ne_u16_e32 vcc, 0, v13
	s_and_b64 exec, exec, vcc
	s_cbranch_execz .LBB79_220
; %bb.219:
	ds_read_u8 v14, v10 offset:1024
	ds_write_b8 v10, v12
	ds_write_b8 v10, v11 offset:64
	ds_write_b8 v10, v13 offset:1024
	s_waitcnt lgkmcnt(3)
	ds_write_b8 v10, v14 offset:1088
.LBB79_220:
	s_or_b64 exec, exec, s[0:1]
	s_waitcnt lgkmcnt(0)
	s_barrier
	ds_read_i8 v10, v9
	ds_read_i8 v11, v9 offset:32
	s_waitcnt lgkmcnt(0)
	v_cmp_ge_i16_e64 s[2:3], v10, v11
	v_cmp_lt_i16_e32 vcc, v10, v11
	s_and_saveexec_b64 s[0:1], vcc
	s_cbranch_execz .LBB79_222
; %bb.221:
	ds_read_u8 v12, v9 offset:1024
	s_andn2_b64 s[2:3], s[2:3], exec
	s_waitcnt lgkmcnt(0)
	v_and_b32_e32 v12, 1, v12
	v_cmp_eq_u32_e32 vcc, 1, v12
	s_xor_b64 s[6:7], vcc, -1
	s_and_b64 s[6:7], s[6:7], exec
	s_or_b64 s[2:3], s[2:3], s[6:7]
.LBB79_222:
	s_or_b64 exec, exec, s[0:1]
	s_and_saveexec_b64 s[0:1], s[2:3]
	s_cbranch_execz .LBB79_225
; %bb.223:
	ds_read_u8 v12, v9 offset:1056
	s_waitcnt lgkmcnt(0)
	v_cmp_ne_u16_e32 vcc, 0, v12
	s_and_b64 exec, exec, vcc
	s_cbranch_execz .LBB79_225
; %bb.224:
	ds_read_u8 v13, v9 offset:1024
	ds_write_b8 v9, v11
	ds_write_b8 v9, v10 offset:32
	ds_write_b8 v9, v12 offset:1024
	s_waitcnt lgkmcnt(3)
	ds_write_b8 v9, v13 offset:1056
.LBB79_225:
	;; [unrolled: 37-line block ×7, first 2 shown]
	s_or_b64 exec, exec, s[0:1]
	v_cmp_eq_u32_e32 vcc, 0, v0
	s_waitcnt lgkmcnt(0)
	s_barrier
	s_barrier
	s_and_saveexec_b64 s[0:1], vcc
	s_cbranch_execz .LBB79_252
; %bb.251:
	v_mov_b32_e32 v4, 1
	v_mov_b32_e32 v5, 0
	ds_write_b8 v4, v4 offset:1028
	ds_write_b32 v4, v5 offset:1024
.LBB79_252:
	s_or_b64 exec, exec, s[0:1]
	ds_read_u8 v5, v1
	ds_read_u8 v4, v1 offset:1
	s_add_i32 s10, 1, 0x400
	v_lshl_add_u32 v1, v2, 3, s10
	s_waitcnt lgkmcnt(0)
	v_cmp_ne_u16_e64 s[0:1], v5, v4
	v_cndmask_b32_e64 v6, 0, 1, s[0:1]
	v_cmp_eq_u16_e64 s[0:1], v5, v4
	v_cndmask_b32_e64 v5, 0, 1, s[0:1]
	s_movk_i32 s0, 0x1ff
	v_cmp_gt_u32_e64 s[2:3], s0, v0
	ds_write_b8 v1, v6 offset:12
	ds_write_b32 v1, v5 offset:8
	s_and_saveexec_b64 s[6:7], s[2:3]
	s_cbranch_execz .LBB79_254
; %bb.253:
	ds_read_u8 v3, v3 offset:2
	s_waitcnt lgkmcnt(0)
	v_cmp_ne_u16_e64 s[0:1], v4, v3
	v_cndmask_b32_e64 v5, 0, 1, s[0:1]
	v_cmp_eq_u16_e64 s[0:1], v4, v3
	v_cndmask_b32_e64 v3, 0, 1, s[0:1]
	ds_write_b8 v1, v5 offset:20
	ds_write_b32 v1, v3 offset:16
.LBB79_254:
	s_or_b64 exec, exec, s[6:7]
	s_movk_i32 s0, 0x200
	v_cmp_gt_u32_e64 s[0:1], s0, v0
	v_lshl_add_u32 v3, v2, 3, 1
	s_waitcnt lgkmcnt(0)
	s_barrier
	s_and_saveexec_b64 s[6:7], s[0:1]
	s_cbranch_execz .LBB79_256
; %bb.255:
	ds_read_u8 v4, v1 offset:12
	ds_read_b32 v5, v3 offset:1024
	ds_read_b32 v6, v1 offset:8
	ds_read_u8 v7, v3 offset:1028
	s_waitcnt lgkmcnt(3)
	v_and_b32_e32 v9, 1, v4
	v_cmp_eq_u32_e64 s[0:1], 1, v9
	s_waitcnt lgkmcnt(2)
	v_cndmask_b32_e64 v5, v5, 0, s[0:1]
	s_waitcnt lgkmcnt(0)
	v_or_b32_e32 v4, v7, v4
	v_add_u32_e32 v5, v5, v6
	v_and_b32_e32 v4, 1, v4
	ds_write2_b32 v1, v5, v4 offset0:2 offset1:3
.LBB79_256:
	s_or_b64 exec, exec, s[6:7]
	v_add_u32_e32 v14, 2, v2
	v_lshlrev_b32_e32 v4, 1, v14
	s_movk_i32 s0, 0x100
	v_add_u32_e32 v5, -1, v4
	v_cmp_gt_u32_e64 s[0:1], s0, v0
	s_waitcnt lgkmcnt(0)
	s_barrier
	s_and_saveexec_b64 s[6:7], s[0:1]
	s_cbranch_execz .LBB79_258
; %bb.257:
	v_lshl_add_u32 v6, v5, 3, 1
	ds_read_b32 v7, v6 offset:1024
	ds_read_u8 v9, v6 offset:1028
	v_lshl_add_u32 v10, v4, 3, 1
	ds_read_b32 v11, v10 offset:1000
	ds_read_u8 v10, v10 offset:1004
	v_add_u32_e32 v6, 0x400, v6
	s_waitcnt lgkmcnt(2)
	v_and_b32_e32 v12, 1, v9
	v_cmp_eq_u32_e64 s[0:1], 1, v12
	s_waitcnt lgkmcnt(1)
	v_cndmask_b32_e64 v11, v11, 0, s[0:1]
	s_waitcnt lgkmcnt(0)
	v_or_b32_e32 v9, v10, v9
	v_add_u32_e32 v7, v11, v7
	v_and_b32_e32 v9, 1, v9
	ds_write2_b32 v6, v7, v9 offset1:1
.LBB79_258:
	s_or_b64 exec, exec, s[6:7]
	s_movk_i32 s0, 0x80
	v_lshlrev_b32_e32 v6, 2, v14
	v_add_u32_e32 v5, v5, v4
	v_cmp_gt_u32_e64 s[0:1], s0, v0
	s_waitcnt lgkmcnt(0)
	s_barrier
	s_and_saveexec_b64 s[6:7], s[0:1]
	s_cbranch_execz .LBB79_260
; %bb.259:
	v_lshl_add_u32 v7, v5, 3, 1
	ds_read_b32 v9, v7 offset:1024
	ds_read_u8 v10, v7 offset:1028
	v_lshl_add_u32 v11, v6, 3, 1
	ds_read_b32 v12, v11 offset:984
	ds_read_u8 v11, v11 offset:988
	v_add_u32_e32 v7, 0x400, v7
	s_waitcnt lgkmcnt(2)
	v_and_b32_e32 v13, 1, v10
	v_cmp_eq_u32_e64 s[0:1], 1, v13
	s_waitcnt lgkmcnt(1)
	v_cndmask_b32_e64 v12, v12, 0, s[0:1]
	s_waitcnt lgkmcnt(0)
	v_or_b32_e32 v10, v11, v10
	v_add_u32_e32 v9, v12, v9
	v_and_b32_e32 v10, 1, v10
	ds_write2_b32 v7, v9, v10 offset1:1
.LBB79_260:
	s_or_b64 exec, exec, s[6:7]
	v_lshlrev_b32_e32 v9, 3, v14
	v_add_u32_e32 v7, v5, v6
	v_cmp_gt_u32_e64 s[0:1], 64, v0
	s_waitcnt lgkmcnt(0)
	s_barrier
	s_and_saveexec_b64 s[8:9], s[0:1]
	s_cbranch_execz .LBB79_262
; %bb.261:
	v_lshl_add_u32 v10, v7, 3, 1
	ds_read_b32 v11, v10 offset:1024
	ds_read_u8 v12, v10 offset:1028
	v_lshl_add_u32 v13, v9, 3, 1
	ds_read_b32 v15, v13 offset:952
	ds_read_u8 v13, v13 offset:956
	v_add_u32_e32 v10, 0x400, v10
	s_waitcnt lgkmcnt(2)
	v_and_b32_e32 v16, 1, v12
	v_cmp_eq_u32_e64 s[6:7], 1, v16
	s_waitcnt lgkmcnt(1)
	v_cndmask_b32_e64 v15, v15, 0, s[6:7]
	s_waitcnt lgkmcnt(0)
	v_or_b32_e32 v12, v13, v12
	v_add_u32_e32 v11, v15, v11
	v_and_b32_e32 v12, 1, v12
	ds_write2_b32 v10, v11, v12 offset1:1
.LBB79_262:
	s_or_b64 exec, exec, s[8:9]
	;; [unrolled: 27-line block ×5, first 2 shown]
	v_lshlrev_b32_e32 v18, 7, v14
	v_add_u32_e32 v17, v15, v16
	v_cmp_gt_u32_e64 s[6:7], 4, v0
	s_waitcnt lgkmcnt(0)
	s_barrier
	s_and_saveexec_b64 s[8:9], s[6:7]
	s_cbranch_execz .LBB79_270
; %bb.269:
	v_lshl_add_u32 v19, v17, 3, 1
	v_add_u32_e32 v20, 0x400, v19
	v_lshl_add_u32 v21, v18, 3, 1
	ds_read_b32 v22, v19 offset:1024
	ds_read_u8 v19, v19 offset:1028
	v_add_u32_e32 v23, -8, v21
	v_add_u32_e32 v21, -4, v21
	ds_read_b32 v23, v23
	ds_read_u8 v21, v21
	s_waitcnt lgkmcnt(2)
	v_and_b32_e32 v24, 1, v19
	v_cmp_eq_u32_e64 s[6:7], 1, v24
	s_waitcnt lgkmcnt(1)
	v_cndmask_b32_e64 v23, v23, 0, s[6:7]
	s_waitcnt lgkmcnt(0)
	v_or_b32_e32 v19, v21, v19
	v_add_u32_e32 v22, v23, v22
	v_and_b32_e32 v19, 1, v19
	ds_write2_b32 v20, v22, v19 offset1:1
.LBB79_270:
	s_or_b64 exec, exec, s[8:9]
	v_add_u32_e32 v19, v17, v18
	v_cmp_gt_u32_e64 s[6:7], 2, v0
	v_lshl_add_u32 v19, v19, 3, 1
	s_waitcnt lgkmcnt(0)
	s_barrier
	s_and_saveexec_b64 s[8:9], s[6:7]
	s_cbranch_execz .LBB79_272
; %bb.271:
	v_lshl_add_u32 v14, v14, 11, 1
	v_add_u32_e32 v21, 0xfffffbf8, v14
	ds_read_u8 v22, v19 offset:1028
	ds_read_b32 v21, v21
	v_add_u32_e32 v14, 0xfffffbfc, v14
	ds_read_b32 v23, v19 offset:1024
	ds_read_u8 v14, v14
	v_add_u32_e32 v20, 0x400, v19
	s_waitcnt lgkmcnt(3)
	v_and_b32_e32 v24, 1, v22
	v_cmp_eq_u32_e64 s[6:7], 1, v24
	s_waitcnt lgkmcnt(2)
	v_cndmask_b32_e64 v21, v21, 0, s[6:7]
	s_waitcnt lgkmcnt(0)
	v_or_b32_e32 v14, v14, v22
	v_add_u32_e32 v21, v21, v23
	v_and_b32_e32 v14, 1, v14
	ds_write2_b32 v20, v21, v14 offset1:1
.LBB79_272:
	s_or_b64 exec, exec, s[8:9]
	s_waitcnt lgkmcnt(0)
	s_barrier
	s_and_saveexec_b64 s[8:9], vcc
	s_cbranch_execz .LBB79_274
; %bb.273:
	v_mov_b32_e32 v14, 1
	s_movk_i32 s6, 0xf8
	ds_read_u8 v22, v14 offset:9212
	v_add_u32_e64 v20, s6, 1
	ds_read2st64_b32 v[20:21], v20 offset0:19 offset1:35
	ds_read_u8 v14, v14 offset:5116
	s_add_i32 s11, 1, 0x23f8
	s_waitcnt lgkmcnt(2)
	v_and_b32_e32 v23, 1, v22
	v_cmp_eq_u32_e64 s[6:7], 1, v23
	s_waitcnt lgkmcnt(1)
	v_cndmask_b32_e64 v20, v20, 0, s[6:7]
	s_waitcnt lgkmcnt(0)
	v_or_b32_e32 v14, v14, v22
	v_add_u32_e32 v20, v20, v21
	v_and_b32_e32 v14, 1, v14
	v_mov_b32_e32 v21, s11
	ds_write2_b32 v21, v20, v14 offset1:1
.LBB79_274:
	s_or_b64 exec, exec, s[8:9]
	s_waitcnt lgkmcnt(0)
	s_barrier
	s_and_saveexec_b64 s[8:9], vcc
	s_cbranch_execz .LBB79_276
; %bb.275:
	v_mov_b32_e32 v14, 1
	ds_read_u8 v20, v14 offset:7164
	ds_read_b32 v14, v14 offset:7160
	ds_read_b32 v21, v19 offset:1024
	ds_read_u8 v19, v19 offset:1028
	s_add_i32 s11, 1, 0x1bf8
	s_waitcnt lgkmcnt(3)
	v_and_b32_e32 v22, 1, v20
	v_cmp_eq_u32_e64 s[6:7], 1, v22
	s_waitcnt lgkmcnt(1)
	v_cndmask_b32_e64 v21, v21, 0, s[6:7]
	s_waitcnt lgkmcnt(0)
	v_or_b32_e32 v19, v19, v20
	v_add_u32_e32 v14, v21, v14
	v_and_b32_e32 v19, 1, v19
	v_mov_b32_e32 v20, s11
	ds_write2_b32 v20, v14, v19 offset1:1
.LBB79_276:
	s_or_b64 exec, exec, s[8:9]
	v_cmp_gt_u32_e64 s[6:7], 3, v0
	s_waitcnt lgkmcnt(0)
	s_barrier
	s_and_saveexec_b64 s[8:9], s[6:7]
	s_cbranch_execz .LBB79_278
; %bb.277:
	v_lshl_add_u32 v14, v18, 3, s10
	ds_read_u8 v18, v14 offset:1020
	v_lshl_add_u32 v17, v17, 3, s10
	ds_read_b32 v19, v17
	ds_read_b32 v20, v14 offset:1016
	ds_read_u8 v17, v17 offset:4
	s_waitcnt lgkmcnt(3)
	v_and_b32_e32 v21, 1, v18
	v_cmp_eq_u32_e64 s[6:7], 1, v21
	s_waitcnt lgkmcnt(2)
	v_cndmask_b32_e64 v19, v19, 0, s[6:7]
	s_waitcnt lgkmcnt(0)
	v_or_b32_e32 v17, v17, v18
	v_add_u32_e32 v19, v19, v20
	v_and_b32_e32 v17, 1, v17
	ds_write2_b32 v14, v19, v17 offset0:254 offset1:255
.LBB79_278:
	s_or_b64 exec, exec, s[8:9]
	v_cmp_gt_u32_e64 s[6:7], 7, v0
	s_waitcnt lgkmcnt(0)
	s_barrier
	s_and_saveexec_b64 s[8:9], s[6:7]
	s_cbranch_execz .LBB79_280
; %bb.279:
	v_lshl_add_u32 v14, v16, 3, s10
	ds_read_u8 v16, v14 offset:508
	v_lshl_add_u32 v15, v15, 3, s10
	ds_read_b32 v17, v15
	ds_read_b32 v18, v14 offset:504
	ds_read_u8 v15, v15 offset:4
	s_waitcnt lgkmcnt(3)
	v_and_b32_e32 v19, 1, v16
	v_cmp_eq_u32_e64 s[6:7], 1, v19
	s_waitcnt lgkmcnt(2)
	v_cndmask_b32_e64 v17, v17, 0, s[6:7]
	s_waitcnt lgkmcnt(0)
	v_or_b32_e32 v15, v15, v16
	v_add_u32_e32 v17, v17, v18
	v_and_b32_e32 v15, 1, v15
	ds_write2_b32 v14, v17, v15 offset0:126 offset1:127
.LBB79_280:
	;; [unrolled: 24-line block ×5, first 2 shown]
	s_or_b64 exec, exec, s[8:9]
	s_movk_i32 s6, 0x7f
	v_cmp_gt_u32_e64 s[6:7], s6, v0
	s_waitcnt lgkmcnt(0)
	s_barrier
	s_and_saveexec_b64 s[8:9], s[6:7]
	s_cbranch_execz .LBB79_288
; %bb.287:
	v_lshl_add_u32 v6, v6, 3, s10
	ds_read_u8 v7, v6 offset:28
	v_lshl_add_u32 v5, v5, 3, s10
	ds_read_b32 v9, v5
	ds_read_b32 v10, v6 offset:24
	ds_read_u8 v5, v5 offset:4
	s_waitcnt lgkmcnt(3)
	v_and_b32_e32 v11, 1, v7
	v_cmp_eq_u32_e64 s[6:7], 1, v11
	s_waitcnt lgkmcnt(2)
	v_cndmask_b32_e64 v9, v9, 0, s[6:7]
	s_waitcnt lgkmcnt(0)
	v_or_b32_e32 v5, v5, v7
	v_add_u32_e32 v9, v9, v10
	v_and_b32_e32 v5, 1, v5
	ds_write2_b32 v6, v9, v5 offset0:6 offset1:7
.LBB79_288:
	s_or_b64 exec, exec, s[8:9]
	s_movk_i32 s6, 0xff
	v_cmp_gt_u32_e64 s[6:7], s6, v0
	s_waitcnt lgkmcnt(0)
	s_barrier
	s_and_saveexec_b64 s[8:9], s[6:7]
	s_cbranch_execz .LBB79_290
; %bb.289:
	v_lshl_add_u32 v4, v4, 3, s10
	ds_read_u8 v5, v4 offset:12
	v_add_u32_e32 v6, -8, v4
	ds_read_b32 v7, v6
	ds_read_b32 v9, v4 offset:8
	ds_read_u8 v6, v6 offset:4
	s_waitcnt lgkmcnt(3)
	v_and_b32_e32 v10, 1, v5
	v_cmp_eq_u32_e64 s[6:7], 1, v10
	s_waitcnt lgkmcnt(2)
	v_cndmask_b32_e64 v7, v7, 0, s[6:7]
	s_waitcnt lgkmcnt(0)
	v_or_b32_e32 v5, v6, v5
	v_add_u32_e32 v7, v7, v9
	v_and_b32_e32 v5, 1, v5
	ds_write2_b32 v4, v7, v5 offset0:2 offset1:3
.LBB79_290:
	s_or_b64 exec, exec, s[8:9]
	s_waitcnt lgkmcnt(0)
	s_barrier
	s_and_saveexec_b64 s[6:7], s[2:3]
	s_cbranch_execz .LBB79_292
; %bb.291:
	ds_read_u8 v6, v1 offset:20
	ds_read_u8 v7, v1 offset:12
	ds_read2_b32 v[4:5], v1 offset0:2 offset1:4
	s_waitcnt lgkmcnt(2)
	v_and_b32_e32 v9, 1, v6
	v_cmp_eq_u32_e64 s[2:3], 1, v9
	s_waitcnt lgkmcnt(1)
	v_or_b32_e32 v6, v7, v6
	s_waitcnt lgkmcnt(0)
	v_cndmask_b32_e64 v4, v4, 0, s[2:3]
	v_add_u32_e32 v4, v4, v5
	v_and_b32_e32 v5, 1, v6
	ds_write2_b32 v1, v4, v5 offset0:4 offset1:5
.LBB79_292:
	s_or_b64 exec, exec, s[6:7]
	s_waitcnt lgkmcnt(0)
	s_barrier
	ds_read_b32 v3, v3 offset:1024
	ds_read_b32 v1, v1 offset:8
	v_or_b32_e32 v4, 1, v2
	v_cmp_gt_u32_e64 s[6:7], s16, v4
	v_cmp_gt_u32_e64 s[2:3], s16, v2
	s_waitcnt lgkmcnt(1)
	v_cndmask_b32_e64 v3, 0, v3, s[2:3]
	s_waitcnt lgkmcnt(0)
	v_cndmask_b32_e64 v6, 0, v1, s[6:7]
	v_mbcnt_lo_u32_b32 v1, -1, 0
	v_mbcnt_hi_u32_b32 v13, -1, v1
	v_and_b32_e32 v14, 63, v13
	v_cmp_gt_u32_e64 s[8:9], 32, v14
	v_cndmask_b32_e64 v1, 0, 1, s[8:9]
	v_lshlrev_b32_e32 v1, 5, v1
	v_cndmask_b32_e64 v5, 0, v2, s[2:3]
	v_max_u32_e32 v7, v6, v3
	v_add_lshl_u32 v1, v1, v13, 2
	v_cndmask_b32_e64 v9, 0, v4, s[6:7]
	v_cmp_gt_u32_e64 s[8:9], v6, v3
	ds_bpermute_b32 v10, v1, v7
	v_cndmask_b32_e64 v3, v5, v9, s[8:9]
	ds_bpermute_b32 v5, v1, v3
	v_cmp_gt_u32_e64 s[8:9], 48, v14
	v_cndmask_b32_e64 v9, 0, 1, s[8:9]
	v_lshlrev_b32_e32 v9, 4, v9
	s_waitcnt lgkmcnt(1)
	v_max_u32_e32 v6, v10, v7
	v_add_lshl_u32 v9, v9, v13, 2
	v_cmp_gt_u32_e64 s[8:9], v10, v7
	ds_bpermute_b32 v11, v9, v6
	s_waitcnt lgkmcnt(1)
	v_cndmask_b32_e64 v3, v3, v5, s[8:9]
	ds_bpermute_b32 v5, v9, v3
	v_cmp_gt_u32_e64 s[8:9], 56, v14
	v_cndmask_b32_e64 v10, 0, 1, s[8:9]
	v_lshlrev_b32_e32 v10, 3, v10
	s_waitcnt lgkmcnt(1)
	v_max_u32_e32 v7, v11, v6
	v_add_lshl_u32 v10, v10, v13, 2
	v_cmp_gt_u32_e64 s[8:9], v11, v6
	ds_bpermute_b32 v12, v10, v7
	s_waitcnt lgkmcnt(1)
	;; [unrolled: 11-line block ×4, first 2 shown]
	v_cndmask_b32_e64 v5, v3, v5, s[8:9]
	ds_bpermute_b32 v6, v12, v5
	s_waitcnt lgkmcnt(0)
	s_barrier
	v_cmp_gt_u32_e64 s[8:9], v16, v7
	v_max_u32_e32 v3, v16, v7
	v_cndmask_b32_e64 v5, v5, v6, s[8:9]
	v_cmp_ne_u32_e64 s[8:9], 63, v14
	v_addc_co_u32_e64 v6, s[8:9], 0, v13, s[8:9]
	v_lshlrev_b32_e32 v13, 2, v6
	ds_bpermute_b32 v6, v13, v5
	ds_bpermute_b32 v7, v13, v3
	v_cmp_eq_u32_e64 s[8:9], 0, v8
	s_waitcnt lgkmcnt(0)
	s_barrier
	s_and_saveexec_b64 s[12:13], s[8:9]
	s_cbranch_execz .LBB79_294
; %bb.293:
	v_lshrrev_b32_e32 v14, 3, v0
	v_add_u32_e32 v14, 1, v14
	v_cmp_gt_u32_e64 s[10:11], v7, v3
	v_add_u32_e32 v14, 0x400, v14
	v_cndmask_b32_e64 v5, v5, v6, s[10:11]
	v_max_u32_e32 v3, v7, v3
	ds_write2_b32 v14, v3, v5 offset1:1
.LBB79_294:
	s_or_b64 exec, exec, s[12:13]
	s_lshr_b32 s10, s20, 6
	v_cmp_gt_u32_e64 s[10:11], s10, v0
	v_lshl_add_u32 v14, v8, 3, 1
	v_mov_b32_e32 v3, 0
	v_mov_b32_e32 v5, 0
	s_waitcnt lgkmcnt(0)
	s_barrier
	s_and_saveexec_b64 s[12:13], s[10:11]
	s_cbranch_execnz .LBB79_387
; %bb.295:
	s_or_b64 exec, exec, s[12:13]
	s_and_saveexec_b64 s[12:13], s[10:11]
	s_cbranch_execnz .LBB79_388
.LBB79_296:
	s_or_b64 exec, exec, s[12:13]
	s_and_saveexec_b64 s[20:21], s[0:1]
	s_cbranch_execnz .LBB79_389
.LBB79_297:
	s_or_b64 exec, exec, s[20:21]
	s_and_saveexec_b64 s[12:13], vcc
	s_cbranch_execz .LBB79_299
.LBB79_298:
	s_waitcnt lgkmcnt(0)
	v_add_u32_e32 v3, 1, v3
	ds_read_u8 v3, v3
	v_mov_b32_e32 v5, 0
	s_waitcnt lgkmcnt(0)
	ds_write_b8 v5, v3
.LBB79_299:
	s_or_b64 exec, exec, s[12:13]
	s_mov_b32 s20, 0
	s_waitcnt lgkmcnt(0)
	v_mov_b32_e32 v3, 0
	s_mov_b32 s21, s20
	v_cmp_gt_i64_e64 s[12:13], s[16:17], v[2:3]
	v_pk_mov_b32 v[6:7], s[20:21], s[20:21] op_sel:[0,1]
	s_barrier
	s_and_saveexec_b64 s[20:21], s[12:13]
	s_cbranch_execz .LBB79_301
; %bb.300:
	v_add_u32_e32 v5, s15, v2
	global_load_ubyte v5, v5, s[18:19]
	ds_read_u8 v6, v3
	s_waitcnt vmcnt(0) lgkmcnt(0)
	v_cmp_eq_u16_e64 s[12:13], v5, v6
	v_cndmask_b32_e64 v2, 0, v2, s[12:13]
	v_pk_mov_b32 v[6:7], v[2:3], v[2:3] op_sel:[0,1]
.LBB79_301:
	s_or_b64 exec, exec, s[20:21]
	v_mov_b32_e32 v5, v3
	v_cmp_gt_i64_e64 s[12:13], s[16:17], v[4:5]
	s_and_saveexec_b64 s[16:17], s[12:13]
	s_cbranch_execz .LBB79_303
; %bb.302:
	v_add_u32_e32 v2, s15, v4
	global_load_ubyte v2, v2, s[18:19]
	v_mov_b32_e32 v3, 0
	ds_read_u8 v3, v3
	s_waitcnt vmcnt(0) lgkmcnt(0)
	v_cmp_eq_u16_e64 s[12:13], v2, v3
	v_cndmask_b32_e64 v7, 0, v4, s[12:13]
.LBB79_303:
	s_or_b64 exec, exec, s[16:17]
	v_cndmask_b32_e64 v2, 0, v6, s[2:3]
	v_cndmask_b32_e64 v3, 0, v7, s[6:7]
	v_max_u32_e32 v2, v3, v2
	ds_bpermute_b32 v3, v1, v2
	s_waitcnt lgkmcnt(0)
	s_barrier
	v_max_u32_e32 v2, v3, v2
	ds_bpermute_b32 v3, v9, v2
	s_waitcnt lgkmcnt(0)
	v_max_u32_e32 v2, v3, v2
	ds_bpermute_b32 v3, v10, v2
	s_waitcnt lgkmcnt(0)
	;; [unrolled: 3-line block ×4, first 2 shown]
	v_max_u32_e32 v2, v3, v2
	ds_bpermute_b32 v3, v13, v2
	s_and_saveexec_b64 s[2:3], s[8:9]
	s_cbranch_execz .LBB79_305
; %bb.304:
	v_lshrrev_b32_e32 v0, 4, v0
	v_add_u32_e32 v0, 1, v0
	s_waitcnt lgkmcnt(0)
	v_max_u32_e32 v2, v3, v2
	ds_write_b32 v0, v2
.LBB79_305:
	s_or_b64 exec, exec, s[2:3]
	v_mov_b32_e32 v0, 0
	s_waitcnt lgkmcnt(0)
	s_barrier
	s_and_saveexec_b64 s[2:3], s[10:11]
	s_cbranch_execnz .LBB79_390
; %bb.306:
	s_or_b64 exec, exec, s[2:3]
	s_and_saveexec_b64 s[2:3], s[0:1]
	s_cbranch_execnz .LBB79_391
.LBB79_307:
	s_or_b64 exec, exec, s[2:3]
	s_and_saveexec_b64 s[0:1], vcc
	s_cbranch_execnz .LBB79_392
.LBB79_308:
	s_endpgm
.LBB79_309:
	ds_read_u8 v8, v1 offset:1024
	s_andn2_b64 s[0:1], s[0:1], exec
	s_mov_b32 s6, 1
	s_waitcnt lgkmcnt(0)
	v_and_b32_e32 v8, 1, v8
	v_cmp_eq_u32_e32 vcc, 1, v8
	s_xor_b64 s[8:9], vcc, -1
	s_and_b64 s[8:9], s[8:9], exec
	s_or_b64 s[0:1], s[0:1], s[8:9]
	s_or_b64 exec, exec, s[2:3]
	v_mov_b32_e32 v8, s6
	s_and_saveexec_b64 s[2:3], s[0:1]
	s_cbranch_execz .LBB79_19
.LBB79_310:
	ds_read_u8 v8, v3 offset:1025
	s_waitcnt lgkmcnt(0)
	v_xor_b32_e32 v8, 1, v8
	s_or_b64 exec, exec, s[2:3]
	v_cmp_eq_u32_e32 vcc, v8, v5
	s_and_saveexec_b64 s[0:1], vcc
	s_cbranch_execnz .LBB79_20
	s_branch .LBB79_21
.LBB79_311:
	ds_read_u8 v9, v4 offset:1024
	s_andn2_b64 s[0:1], s[0:1], exec
	s_waitcnt lgkmcnt(0)
	v_and_b32_e32 v9, 1, v9
	v_cmp_eq_u32_e32 vcc, 1, v9
	s_xor_b64 s[8:9], vcc, -1
	s_and_b64 s[8:9], s[8:9], exec
	s_or_b64 s[0:1], s[0:1], s[8:9]
	s_or_b64 exec, exec, s[2:3]
	v_mov_b32_e32 v9, s6
	s_and_saveexec_b64 s[2:3], s[0:1]
	s_cbranch_execz .LBB79_29
.LBB79_312:
	ds_read_u8 v9, v4 offset:1026
	s_waitcnt lgkmcnt(0)
	v_xor_b32_e32 v9, 1, v9
	s_or_b64 exec, exec, s[2:3]
	v_cmp_eq_u32_e32 vcc, v9, v6
	s_and_saveexec_b64 s[0:1], vcc
	s_cbranch_execnz .LBB79_30
	s_branch .LBB79_31
.LBB79_313:
	ds_read_u8 v9, v1 offset:1024
	s_andn2_b64 s[0:1], s[0:1], exec
	s_mov_b32 s6, 1
	s_waitcnt lgkmcnt(0)
	v_and_b32_e32 v9, 1, v9
	v_cmp_eq_u32_e32 vcc, 1, v9
	s_xor_b64 s[8:9], vcc, -1
	s_and_b64 s[8:9], s[8:9], exec
	s_or_b64 s[0:1], s[0:1], s[8:9]
	s_or_b64 exec, exec, s[2:3]
	v_mov_b32_e32 v9, s6
	s_and_saveexec_b64 s[2:3], s[0:1]
	s_cbranch_execz .LBB79_33
.LBB79_314:
	ds_read_u8 v9, v3 offset:1025
	s_waitcnt lgkmcnt(0)
	v_xor_b32_e32 v9, 1, v9
	s_or_b64 exec, exec, s[2:3]
	v_cmp_eq_u32_e32 vcc, v9, v6
	s_and_saveexec_b64 s[0:1], vcc
	s_cbranch_execnz .LBB79_34
	s_branch .LBB79_35
.LBB79_315:
	ds_read_u8 v10, v5 offset:1024
	s_andn2_b64 s[0:1], s[0:1], exec
	s_waitcnt lgkmcnt(0)
	v_and_b32_e32 v10, 1, v10
	v_cmp_eq_u32_e32 vcc, 1, v10
	s_xor_b64 s[8:9], vcc, -1
	s_and_b64 s[8:9], s[8:9], exec
	s_or_b64 s[0:1], s[0:1], s[8:9]
	s_or_b64 exec, exec, s[2:3]
	v_mov_b32_e32 v10, s6
	s_and_saveexec_b64 s[2:3], s[0:1]
	s_cbranch_execz .LBB79_43
.LBB79_316:
	ds_read_u8 v10, v5 offset:1028
	s_waitcnt lgkmcnt(0)
	v_xor_b32_e32 v10, 1, v10
	s_or_b64 exec, exec, s[2:3]
	v_cmp_eq_u32_e32 vcc, v10, v7
	s_and_saveexec_b64 s[0:1], vcc
	s_cbranch_execnz .LBB79_44
	s_branch .LBB79_45
.LBB79_317:
	ds_read_u8 v10, v4 offset:1024
	s_andn2_b64 s[0:1], s[0:1], exec
	s_waitcnt lgkmcnt(0)
	v_and_b32_e32 v10, 1, v10
	v_cmp_eq_u32_e32 vcc, 1, v10
	s_xor_b64 s[8:9], vcc, -1
	s_and_b64 s[8:9], s[8:9], exec
	s_or_b64 s[0:1], s[0:1], s[8:9]
	s_or_b64 exec, exec, s[2:3]
	v_mov_b32_e32 v10, s6
	s_and_saveexec_b64 s[2:3], s[0:1]
	s_cbranch_execz .LBB79_47
.LBB79_318:
	ds_read_u8 v10, v4 offset:1026
	s_waitcnt lgkmcnt(0)
	v_xor_b32_e32 v10, 1, v10
	s_or_b64 exec, exec, s[2:3]
	v_cmp_eq_u32_e32 vcc, v10, v7
	s_and_saveexec_b64 s[0:1], vcc
	s_cbranch_execnz .LBB79_48
	s_branch .LBB79_49
.LBB79_319:
	ds_read_u8 v10, v1 offset:1024
	s_andn2_b64 s[0:1], s[0:1], exec
	s_mov_b32 s6, 1
	s_waitcnt lgkmcnt(0)
	v_and_b32_e32 v10, 1, v10
	v_cmp_eq_u32_e32 vcc, 1, v10
	s_xor_b64 s[8:9], vcc, -1
	s_and_b64 s[8:9], s[8:9], exec
	s_or_b64 s[0:1], s[0:1], s[8:9]
	s_or_b64 exec, exec, s[2:3]
	v_mov_b32_e32 v10, s6
	s_and_saveexec_b64 s[2:3], s[0:1]
	s_cbranch_execz .LBB79_51
.LBB79_320:
	ds_read_u8 v10, v3 offset:1025
	s_waitcnt lgkmcnt(0)
	v_xor_b32_e32 v10, 1, v10
	s_or_b64 exec, exec, s[2:3]
	v_cmp_eq_u32_e32 vcc, v10, v7
	s_and_saveexec_b64 s[0:1], vcc
	s_cbranch_execnz .LBB79_52
	s_branch .LBB79_53
.LBB79_321:
	ds_read_u8 v11, v6 offset:1024
	s_andn2_b64 s[0:1], s[0:1], exec
	s_waitcnt lgkmcnt(0)
	v_and_b32_e32 v11, 1, v11
	v_cmp_eq_u32_e32 vcc, 1, v11
	s_xor_b64 s[8:9], vcc, -1
	s_and_b64 s[8:9], s[8:9], exec
	s_or_b64 s[0:1], s[0:1], s[8:9]
	s_or_b64 exec, exec, s[2:3]
	v_mov_b32_e32 v11, s6
	s_and_saveexec_b64 s[2:3], s[0:1]
	s_cbranch_execz .LBB79_61
.LBB79_322:
	ds_read_u8 v11, v6 offset:1032
	s_waitcnt lgkmcnt(0)
	v_xor_b32_e32 v11, 1, v11
	s_or_b64 exec, exec, s[2:3]
	v_cmp_eq_u32_e32 vcc, v11, v8
	s_and_saveexec_b64 s[0:1], vcc
	s_cbranch_execnz .LBB79_62
	s_branch .LBB79_63
.LBB79_323:
	ds_read_u8 v11, v5 offset:1024
	s_andn2_b64 s[0:1], s[0:1], exec
	s_waitcnt lgkmcnt(0)
	v_and_b32_e32 v11, 1, v11
	v_cmp_eq_u32_e32 vcc, 1, v11
	s_xor_b64 s[8:9], vcc, -1
	s_and_b64 s[8:9], s[8:9], exec
	s_or_b64 s[0:1], s[0:1], s[8:9]
	s_or_b64 exec, exec, s[2:3]
	v_mov_b32_e32 v11, s6
	s_and_saveexec_b64 s[2:3], s[0:1]
	s_cbranch_execz .LBB79_65
.LBB79_324:
	ds_read_u8 v11, v5 offset:1028
	s_waitcnt lgkmcnt(0)
	v_xor_b32_e32 v11, 1, v11
	s_or_b64 exec, exec, s[2:3]
	v_cmp_eq_u32_e32 vcc, v11, v8
	s_and_saveexec_b64 s[0:1], vcc
	s_cbranch_execnz .LBB79_66
	s_branch .LBB79_67
.LBB79_325:
	ds_read_u8 v11, v4 offset:1024
	s_andn2_b64 s[0:1], s[0:1], exec
	s_waitcnt lgkmcnt(0)
	v_and_b32_e32 v11, 1, v11
	v_cmp_eq_u32_e32 vcc, 1, v11
	s_xor_b64 s[8:9], vcc, -1
	s_and_b64 s[8:9], s[8:9], exec
	s_or_b64 s[0:1], s[0:1], s[8:9]
	s_or_b64 exec, exec, s[2:3]
	v_mov_b32_e32 v11, s6
	s_and_saveexec_b64 s[2:3], s[0:1]
	s_cbranch_execz .LBB79_69
.LBB79_326:
	ds_read_u8 v11, v4 offset:1026
	s_waitcnt lgkmcnt(0)
	v_xor_b32_e32 v11, 1, v11
	s_or_b64 exec, exec, s[2:3]
	v_cmp_eq_u32_e32 vcc, v11, v8
	s_and_saveexec_b64 s[0:1], vcc
	s_cbranch_execnz .LBB79_70
	s_branch .LBB79_71
.LBB79_327:
	ds_read_u8 v11, v1 offset:1024
	s_andn2_b64 s[0:1], s[0:1], exec
	s_mov_b32 s6, 1
	s_waitcnt lgkmcnt(0)
	v_and_b32_e32 v11, 1, v11
	v_cmp_eq_u32_e32 vcc, 1, v11
	s_xor_b64 s[8:9], vcc, -1
	s_and_b64 s[8:9], s[8:9], exec
	s_or_b64 s[0:1], s[0:1], s[8:9]
	s_or_b64 exec, exec, s[2:3]
	v_mov_b32_e32 v11, s6
	s_and_saveexec_b64 s[2:3], s[0:1]
	s_cbranch_execz .LBB79_73
.LBB79_328:
	ds_read_u8 v11, v3 offset:1025
	s_waitcnt lgkmcnt(0)
	v_xor_b32_e32 v11, 1, v11
	s_or_b64 exec, exec, s[2:3]
	v_cmp_eq_u32_e32 vcc, v11, v8
	s_and_saveexec_b64 s[0:1], vcc
	s_cbranch_execnz .LBB79_74
	s_branch .LBB79_75
.LBB79_329:
	ds_read_u8 v12, v7 offset:1024
	s_andn2_b64 s[0:1], s[0:1], exec
	s_waitcnt lgkmcnt(0)
	v_and_b32_e32 v12, 1, v12
	v_cmp_eq_u32_e32 vcc, 1, v12
	s_xor_b64 s[8:9], vcc, -1
	s_and_b64 s[8:9], s[8:9], exec
	s_or_b64 s[0:1], s[0:1], s[8:9]
	s_or_b64 exec, exec, s[2:3]
	v_mov_b32_e32 v12, s6
	s_and_saveexec_b64 s[2:3], s[0:1]
	s_cbranch_execz .LBB79_83
.LBB79_330:
	ds_read_u8 v12, v7 offset:1040
	s_waitcnt lgkmcnt(0)
	v_xor_b32_e32 v12, 1, v12
	s_or_b64 exec, exec, s[2:3]
	v_cmp_eq_u32_e32 vcc, v12, v8
	s_and_saveexec_b64 s[0:1], vcc
	s_cbranch_execnz .LBB79_84
	s_branch .LBB79_85
.LBB79_331:
	ds_read_u8 v12, v6 offset:1024
	s_andn2_b64 s[0:1], s[0:1], exec
	s_waitcnt lgkmcnt(0)
	v_and_b32_e32 v12, 1, v12
	v_cmp_eq_u32_e32 vcc, 1, v12
	s_xor_b64 s[8:9], vcc, -1
	s_and_b64 s[8:9], s[8:9], exec
	s_or_b64 s[0:1], s[0:1], s[8:9]
	s_or_b64 exec, exec, s[2:3]
	v_mov_b32_e32 v12, s6
	s_and_saveexec_b64 s[2:3], s[0:1]
	s_cbranch_execz .LBB79_87
.LBB79_332:
	ds_read_u8 v12, v6 offset:1032
	s_waitcnt lgkmcnt(0)
	v_xor_b32_e32 v12, 1, v12
	s_or_b64 exec, exec, s[2:3]
	v_cmp_eq_u32_e32 vcc, v12, v8
	s_and_saveexec_b64 s[0:1], vcc
	s_cbranch_execnz .LBB79_88
	s_branch .LBB79_89
.LBB79_333:
	ds_read_u8 v12, v5 offset:1024
	s_andn2_b64 s[0:1], s[0:1], exec
	s_waitcnt lgkmcnt(0)
	v_and_b32_e32 v12, 1, v12
	v_cmp_eq_u32_e32 vcc, 1, v12
	s_xor_b64 s[8:9], vcc, -1
	s_and_b64 s[8:9], s[8:9], exec
	s_or_b64 s[0:1], s[0:1], s[8:9]
	s_or_b64 exec, exec, s[2:3]
	v_mov_b32_e32 v12, s6
	s_and_saveexec_b64 s[2:3], s[0:1]
	s_cbranch_execz .LBB79_91
.LBB79_334:
	ds_read_u8 v12, v5 offset:1028
	s_waitcnt lgkmcnt(0)
	v_xor_b32_e32 v12, 1, v12
	s_or_b64 exec, exec, s[2:3]
	v_cmp_eq_u32_e32 vcc, v12, v8
	s_and_saveexec_b64 s[0:1], vcc
	s_cbranch_execnz .LBB79_92
	s_branch .LBB79_93
.LBB79_335:
	ds_read_u8 v12, v4 offset:1024
	s_andn2_b64 s[0:1], s[0:1], exec
	s_waitcnt lgkmcnt(0)
	v_and_b32_e32 v12, 1, v12
	v_cmp_eq_u32_e32 vcc, 1, v12
	s_xor_b64 s[8:9], vcc, -1
	s_and_b64 s[8:9], s[8:9], exec
	s_or_b64 s[0:1], s[0:1], s[8:9]
	s_or_b64 exec, exec, s[2:3]
	v_mov_b32_e32 v12, s6
	s_and_saveexec_b64 s[2:3], s[0:1]
	s_cbranch_execz .LBB79_95
.LBB79_336:
	ds_read_u8 v12, v4 offset:1026
	s_waitcnt lgkmcnt(0)
	v_xor_b32_e32 v12, 1, v12
	s_or_b64 exec, exec, s[2:3]
	v_cmp_eq_u32_e32 vcc, v12, v8
	s_and_saveexec_b64 s[0:1], vcc
	s_cbranch_execnz .LBB79_96
	s_branch .LBB79_97
.LBB79_337:
	ds_read_u8 v12, v1 offset:1024
	s_andn2_b64 s[0:1], s[0:1], exec
	s_mov_b32 s6, 1
	s_waitcnt lgkmcnt(0)
	v_and_b32_e32 v12, 1, v12
	v_cmp_eq_u32_e32 vcc, 1, v12
	s_xor_b64 s[8:9], vcc, -1
	s_and_b64 s[8:9], s[8:9], exec
	s_or_b64 s[0:1], s[0:1], s[8:9]
	s_or_b64 exec, exec, s[2:3]
	v_mov_b32_e32 v12, s6
	s_and_saveexec_b64 s[2:3], s[0:1]
	s_cbranch_execz .LBB79_99
.LBB79_338:
	ds_read_u8 v12, v3 offset:1025
	s_waitcnt lgkmcnt(0)
	v_xor_b32_e32 v12, 1, v12
	s_or_b64 exec, exec, s[2:3]
	v_cmp_eq_u32_e32 vcc, v12, v8
	s_and_saveexec_b64 s[0:1], vcc
	s_cbranch_execnz .LBB79_100
	s_branch .LBB79_101
.LBB79_339:
	ds_read_u8 v14, v9 offset:1024
	s_andn2_b64 s[0:1], s[0:1], exec
	s_waitcnt lgkmcnt(0)
	v_and_b32_e32 v14, 1, v14
	v_cmp_eq_u32_e32 vcc, 1, v14
	s_xor_b64 s[8:9], vcc, -1
	s_and_b64 s[8:9], s[8:9], exec
	s_or_b64 s[0:1], s[0:1], s[8:9]
	s_or_b64 exec, exec, s[2:3]
	v_mov_b32_e32 v14, s6
	s_and_saveexec_b64 s[2:3], s[0:1]
	s_cbranch_execz .LBB79_109
.LBB79_340:
	ds_read_u8 v14, v9 offset:1056
	s_waitcnt lgkmcnt(0)
	v_xor_b32_e32 v14, 1, v14
	s_or_b64 exec, exec, s[2:3]
	v_cmp_eq_u32_e32 vcc, v14, v11
	s_and_saveexec_b64 s[0:1], vcc
	s_cbranch_execnz .LBB79_110
	s_branch .LBB79_111
.LBB79_341:
	ds_read_u8 v14, v7 offset:1024
	s_andn2_b64 s[0:1], s[0:1], exec
	s_waitcnt lgkmcnt(0)
	v_and_b32_e32 v14, 1, v14
	v_cmp_eq_u32_e32 vcc, 1, v14
	s_xor_b64 s[8:9], vcc, -1
	s_and_b64 s[8:9], s[8:9], exec
	s_or_b64 s[0:1], s[0:1], s[8:9]
	s_or_b64 exec, exec, s[2:3]
	v_mov_b32_e32 v14, s6
	s_and_saveexec_b64 s[2:3], s[0:1]
	s_cbranch_execz .LBB79_113
.LBB79_342:
	ds_read_u8 v14, v7 offset:1040
	s_waitcnt lgkmcnt(0)
	v_xor_b32_e32 v14, 1, v14
	s_or_b64 exec, exec, s[2:3]
	v_cmp_eq_u32_e32 vcc, v14, v11
	s_and_saveexec_b64 s[0:1], vcc
	s_cbranch_execnz .LBB79_114
	s_branch .LBB79_115
.LBB79_343:
	ds_read_u8 v14, v6 offset:1024
	s_andn2_b64 s[0:1], s[0:1], exec
	s_waitcnt lgkmcnt(0)
	v_and_b32_e32 v14, 1, v14
	v_cmp_eq_u32_e32 vcc, 1, v14
	s_xor_b64 s[8:9], vcc, -1
	s_and_b64 s[8:9], s[8:9], exec
	s_or_b64 s[0:1], s[0:1], s[8:9]
	s_or_b64 exec, exec, s[2:3]
	v_mov_b32_e32 v14, s6
	s_and_saveexec_b64 s[2:3], s[0:1]
	s_cbranch_execz .LBB79_117
.LBB79_344:
	ds_read_u8 v14, v6 offset:1032
	s_waitcnt lgkmcnt(0)
	v_xor_b32_e32 v14, 1, v14
	s_or_b64 exec, exec, s[2:3]
	v_cmp_eq_u32_e32 vcc, v14, v11
	s_and_saveexec_b64 s[0:1], vcc
	s_cbranch_execnz .LBB79_118
	s_branch .LBB79_119
.LBB79_345:
	ds_read_u8 v14, v5 offset:1024
	s_andn2_b64 s[0:1], s[0:1], exec
	s_waitcnt lgkmcnt(0)
	v_and_b32_e32 v14, 1, v14
	v_cmp_eq_u32_e32 vcc, 1, v14
	s_xor_b64 s[8:9], vcc, -1
	s_and_b64 s[8:9], s[8:9], exec
	s_or_b64 s[0:1], s[0:1], s[8:9]
	s_or_b64 exec, exec, s[2:3]
	v_mov_b32_e32 v14, s6
	s_and_saveexec_b64 s[2:3], s[0:1]
	s_cbranch_execz .LBB79_121
.LBB79_346:
	ds_read_u8 v14, v5 offset:1028
	s_waitcnt lgkmcnt(0)
	v_xor_b32_e32 v14, 1, v14
	s_or_b64 exec, exec, s[2:3]
	v_cmp_eq_u32_e32 vcc, v14, v11
	s_and_saveexec_b64 s[0:1], vcc
	s_cbranch_execnz .LBB79_122
	s_branch .LBB79_123
.LBB79_347:
	ds_read_u8 v14, v4 offset:1024
	s_andn2_b64 s[0:1], s[0:1], exec
	s_waitcnt lgkmcnt(0)
	v_and_b32_e32 v14, 1, v14
	v_cmp_eq_u32_e32 vcc, 1, v14
	s_xor_b64 s[8:9], vcc, -1
	s_and_b64 s[8:9], s[8:9], exec
	s_or_b64 s[0:1], s[0:1], s[8:9]
	s_or_b64 exec, exec, s[2:3]
	v_mov_b32_e32 v14, s6
	s_and_saveexec_b64 s[2:3], s[0:1]
	s_cbranch_execz .LBB79_125
.LBB79_348:
	ds_read_u8 v14, v4 offset:1026
	s_waitcnt lgkmcnt(0)
	v_xor_b32_e32 v14, 1, v14
	s_or_b64 exec, exec, s[2:3]
	v_cmp_eq_u32_e32 vcc, v14, v11
	s_and_saveexec_b64 s[0:1], vcc
	s_cbranch_execnz .LBB79_126
	s_branch .LBB79_127
.LBB79_349:
	ds_read_u8 v14, v1 offset:1024
	s_andn2_b64 s[0:1], s[0:1], exec
	s_mov_b32 s6, 1
	s_waitcnt lgkmcnt(0)
	v_and_b32_e32 v14, 1, v14
	v_cmp_eq_u32_e32 vcc, 1, v14
	s_xor_b64 s[8:9], vcc, -1
	s_and_b64 s[8:9], s[8:9], exec
	s_or_b64 s[0:1], s[0:1], s[8:9]
	s_or_b64 exec, exec, s[2:3]
	v_mov_b32_e32 v14, s6
	s_and_saveexec_b64 s[2:3], s[0:1]
	s_cbranch_execz .LBB79_129
.LBB79_350:
	ds_read_u8 v14, v3 offset:1025
	s_waitcnt lgkmcnt(0)
	v_xor_b32_e32 v14, 1, v14
	s_or_b64 exec, exec, s[2:3]
	v_cmp_eq_u32_e32 vcc, v14, v11
	s_and_saveexec_b64 s[0:1], vcc
	s_cbranch_execnz .LBB79_130
	s_branch .LBB79_131
.LBB79_351:
	ds_read_u8 v15, v10 offset:1024
	s_andn2_b64 s[0:1], s[0:1], exec
	s_waitcnt lgkmcnt(0)
	v_and_b32_e32 v15, 1, v15
	v_cmp_eq_u32_e32 vcc, 1, v15
	s_xor_b64 s[8:9], vcc, -1
	s_and_b64 s[8:9], s[8:9], exec
	s_or_b64 s[0:1], s[0:1], s[8:9]
	s_or_b64 exec, exec, s[2:3]
	v_mov_b32_e32 v15, s6
	s_and_saveexec_b64 s[2:3], s[0:1]
	s_cbranch_execz .LBB79_139
.LBB79_352:
	ds_read_u8 v15, v10 offset:1088
	s_waitcnt lgkmcnt(0)
	v_xor_b32_e32 v15, 1, v15
	s_or_b64 exec, exec, s[2:3]
	v_cmp_eq_u32_e32 vcc, v15, v12
	s_and_saveexec_b64 s[0:1], vcc
	s_cbranch_execnz .LBB79_140
	s_branch .LBB79_141
.LBB79_353:
	ds_read_u8 v15, v9 offset:1024
	s_andn2_b64 s[0:1], s[0:1], exec
	s_waitcnt lgkmcnt(0)
	v_and_b32_e32 v15, 1, v15
	v_cmp_eq_u32_e32 vcc, 1, v15
	s_xor_b64 s[8:9], vcc, -1
	s_and_b64 s[8:9], s[8:9], exec
	s_or_b64 s[0:1], s[0:1], s[8:9]
	s_or_b64 exec, exec, s[2:3]
	v_mov_b32_e32 v15, s6
	s_and_saveexec_b64 s[2:3], s[0:1]
	s_cbranch_execz .LBB79_143
.LBB79_354:
	ds_read_u8 v15, v9 offset:1056
	s_waitcnt lgkmcnt(0)
	v_xor_b32_e32 v15, 1, v15
	s_or_b64 exec, exec, s[2:3]
	v_cmp_eq_u32_e32 vcc, v15, v12
	s_and_saveexec_b64 s[0:1], vcc
	s_cbranch_execnz .LBB79_144
	s_branch .LBB79_145
.LBB79_355:
	ds_read_u8 v15, v7 offset:1024
	s_andn2_b64 s[0:1], s[0:1], exec
	s_waitcnt lgkmcnt(0)
	v_and_b32_e32 v15, 1, v15
	v_cmp_eq_u32_e32 vcc, 1, v15
	s_xor_b64 s[8:9], vcc, -1
	s_and_b64 s[8:9], s[8:9], exec
	s_or_b64 s[0:1], s[0:1], s[8:9]
	s_or_b64 exec, exec, s[2:3]
	v_mov_b32_e32 v15, s6
	s_and_saveexec_b64 s[2:3], s[0:1]
	s_cbranch_execz .LBB79_147
.LBB79_356:
	ds_read_u8 v15, v7 offset:1040
	s_waitcnt lgkmcnt(0)
	v_xor_b32_e32 v15, 1, v15
	s_or_b64 exec, exec, s[2:3]
	v_cmp_eq_u32_e32 vcc, v15, v12
	s_and_saveexec_b64 s[0:1], vcc
	s_cbranch_execnz .LBB79_148
	s_branch .LBB79_149
.LBB79_357:
	ds_read_u8 v15, v6 offset:1024
	s_andn2_b64 s[0:1], s[0:1], exec
	s_waitcnt lgkmcnt(0)
	v_and_b32_e32 v15, 1, v15
	v_cmp_eq_u32_e32 vcc, 1, v15
	s_xor_b64 s[8:9], vcc, -1
	s_and_b64 s[8:9], s[8:9], exec
	s_or_b64 s[0:1], s[0:1], s[8:9]
	s_or_b64 exec, exec, s[2:3]
	v_mov_b32_e32 v15, s6
	s_and_saveexec_b64 s[2:3], s[0:1]
	s_cbranch_execz .LBB79_151
.LBB79_358:
	ds_read_u8 v15, v6 offset:1032
	s_waitcnt lgkmcnt(0)
	v_xor_b32_e32 v15, 1, v15
	s_or_b64 exec, exec, s[2:3]
	v_cmp_eq_u32_e32 vcc, v15, v12
	s_and_saveexec_b64 s[0:1], vcc
	s_cbranch_execnz .LBB79_152
	s_branch .LBB79_153
.LBB79_359:
	ds_read_u8 v15, v5 offset:1024
	s_andn2_b64 s[0:1], s[0:1], exec
	s_waitcnt lgkmcnt(0)
	v_and_b32_e32 v15, 1, v15
	v_cmp_eq_u32_e32 vcc, 1, v15
	s_xor_b64 s[8:9], vcc, -1
	s_and_b64 s[8:9], s[8:9], exec
	s_or_b64 s[0:1], s[0:1], s[8:9]
	s_or_b64 exec, exec, s[2:3]
	v_mov_b32_e32 v15, s6
	s_and_saveexec_b64 s[2:3], s[0:1]
	s_cbranch_execz .LBB79_155
.LBB79_360:
	ds_read_u8 v15, v5 offset:1028
	s_waitcnt lgkmcnt(0)
	v_xor_b32_e32 v15, 1, v15
	s_or_b64 exec, exec, s[2:3]
	v_cmp_eq_u32_e32 vcc, v15, v12
	s_and_saveexec_b64 s[0:1], vcc
	s_cbranch_execnz .LBB79_156
	s_branch .LBB79_157
.LBB79_361:
	ds_read_u8 v15, v4 offset:1024
	s_andn2_b64 s[0:1], s[0:1], exec
	s_waitcnt lgkmcnt(0)
	v_and_b32_e32 v15, 1, v15
	v_cmp_eq_u32_e32 vcc, 1, v15
	s_xor_b64 s[8:9], vcc, -1
	s_and_b64 s[8:9], s[8:9], exec
	s_or_b64 s[0:1], s[0:1], s[8:9]
	s_or_b64 exec, exec, s[2:3]
	v_mov_b32_e32 v15, s6
	s_and_saveexec_b64 s[2:3], s[0:1]
	s_cbranch_execz .LBB79_159
.LBB79_362:
	ds_read_u8 v15, v4 offset:1026
	s_waitcnt lgkmcnt(0)
	v_xor_b32_e32 v15, 1, v15
	s_or_b64 exec, exec, s[2:3]
	v_cmp_eq_u32_e32 vcc, v15, v12
	s_and_saveexec_b64 s[0:1], vcc
	s_cbranch_execnz .LBB79_160
	s_branch .LBB79_161
.LBB79_363:
	ds_read_u8 v15, v1 offset:1024
	s_andn2_b64 s[0:1], s[0:1], exec
	s_mov_b32 s6, 1
	s_waitcnt lgkmcnt(0)
	v_and_b32_e32 v15, 1, v15
	v_cmp_eq_u32_e32 vcc, 1, v15
	s_xor_b64 s[8:9], vcc, -1
	s_and_b64 s[8:9], s[8:9], exec
	s_or_b64 s[0:1], s[0:1], s[8:9]
	s_or_b64 exec, exec, s[2:3]
	v_mov_b32_e32 v15, s6
	s_and_saveexec_b64 s[2:3], s[0:1]
	s_cbranch_execz .LBB79_163
.LBB79_364:
	ds_read_u8 v15, v3 offset:1025
	s_waitcnt lgkmcnt(0)
	v_xor_b32_e32 v15, 1, v15
	s_or_b64 exec, exec, s[2:3]
	v_cmp_eq_u32_e32 vcc, v15, v12
	s_and_saveexec_b64 s[0:1], vcc
	s_cbranch_execnz .LBB79_164
	s_branch .LBB79_165
.LBB79_365:
	ds_read_u8 v16, v11 offset:1024
	s_andn2_b64 s[0:1], s[0:1], exec
	s_waitcnt lgkmcnt(0)
	v_and_b32_e32 v16, 1, v16
	v_cmp_eq_u32_e32 vcc, 1, v16
	s_xor_b64 s[8:9], vcc, -1
	s_and_b64 s[8:9], s[8:9], exec
	s_or_b64 s[0:1], s[0:1], s[8:9]
	s_or_b64 exec, exec, s[2:3]
	v_mov_b32_e32 v16, s6
	s_and_saveexec_b64 s[2:3], s[0:1]
	s_cbranch_execz .LBB79_173
.LBB79_366:
	ds_read_u8 v16, v11 offset:1152
	s_waitcnt lgkmcnt(0)
	v_xor_b32_e32 v16, 1, v16
	s_or_b64 exec, exec, s[2:3]
	v_cmp_eq_u32_e32 vcc, v16, v13
	s_and_saveexec_b64 s[0:1], vcc
	s_cbranch_execnz .LBB79_174
	s_branch .LBB79_175
.LBB79_367:
	ds_read_u8 v16, v10 offset:1024
	s_andn2_b64 s[0:1], s[0:1], exec
	s_waitcnt lgkmcnt(0)
	v_and_b32_e32 v16, 1, v16
	v_cmp_eq_u32_e32 vcc, 1, v16
	s_xor_b64 s[8:9], vcc, -1
	s_and_b64 s[8:9], s[8:9], exec
	s_or_b64 s[0:1], s[0:1], s[8:9]
	s_or_b64 exec, exec, s[2:3]
	v_mov_b32_e32 v16, s6
	s_and_saveexec_b64 s[2:3], s[0:1]
	s_cbranch_execz .LBB79_177
.LBB79_368:
	ds_read_u8 v16, v10 offset:1088
	s_waitcnt lgkmcnt(0)
	v_xor_b32_e32 v16, 1, v16
	s_or_b64 exec, exec, s[2:3]
	v_cmp_eq_u32_e32 vcc, v16, v13
	s_and_saveexec_b64 s[0:1], vcc
	s_cbranch_execnz .LBB79_178
	s_branch .LBB79_179
.LBB79_369:
	ds_read_u8 v16, v9 offset:1024
	s_andn2_b64 s[0:1], s[0:1], exec
	s_waitcnt lgkmcnt(0)
	v_and_b32_e32 v16, 1, v16
	v_cmp_eq_u32_e32 vcc, 1, v16
	s_xor_b64 s[8:9], vcc, -1
	s_and_b64 s[8:9], s[8:9], exec
	s_or_b64 s[0:1], s[0:1], s[8:9]
	s_or_b64 exec, exec, s[2:3]
	v_mov_b32_e32 v16, s6
	s_and_saveexec_b64 s[2:3], s[0:1]
	s_cbranch_execz .LBB79_181
.LBB79_370:
	ds_read_u8 v16, v9 offset:1056
	s_waitcnt lgkmcnt(0)
	v_xor_b32_e32 v16, 1, v16
	s_or_b64 exec, exec, s[2:3]
	v_cmp_eq_u32_e32 vcc, v16, v13
	s_and_saveexec_b64 s[0:1], vcc
	s_cbranch_execnz .LBB79_182
	s_branch .LBB79_183
.LBB79_371:
	ds_read_u8 v16, v7 offset:1024
	s_andn2_b64 s[0:1], s[0:1], exec
	s_waitcnt lgkmcnt(0)
	v_and_b32_e32 v16, 1, v16
	v_cmp_eq_u32_e32 vcc, 1, v16
	s_xor_b64 s[8:9], vcc, -1
	s_and_b64 s[8:9], s[8:9], exec
	s_or_b64 s[0:1], s[0:1], s[8:9]
	s_or_b64 exec, exec, s[2:3]
	v_mov_b32_e32 v16, s6
	s_and_saveexec_b64 s[2:3], s[0:1]
	s_cbranch_execz .LBB79_185
.LBB79_372:
	ds_read_u8 v16, v7 offset:1040
	s_waitcnt lgkmcnt(0)
	v_xor_b32_e32 v16, 1, v16
	s_or_b64 exec, exec, s[2:3]
	v_cmp_eq_u32_e32 vcc, v16, v13
	s_and_saveexec_b64 s[0:1], vcc
	s_cbranch_execnz .LBB79_186
	s_branch .LBB79_187
.LBB79_373:
	ds_read_u8 v16, v6 offset:1024
	s_andn2_b64 s[0:1], s[0:1], exec
	s_waitcnt lgkmcnt(0)
	v_and_b32_e32 v16, 1, v16
	v_cmp_eq_u32_e32 vcc, 1, v16
	s_xor_b64 s[8:9], vcc, -1
	s_and_b64 s[8:9], s[8:9], exec
	s_or_b64 s[0:1], s[0:1], s[8:9]
	s_or_b64 exec, exec, s[2:3]
	v_mov_b32_e32 v16, s6
	s_and_saveexec_b64 s[2:3], s[0:1]
	s_cbranch_execz .LBB79_189
.LBB79_374:
	ds_read_u8 v16, v6 offset:1032
	s_waitcnt lgkmcnt(0)
	v_xor_b32_e32 v16, 1, v16
	s_or_b64 exec, exec, s[2:3]
	v_cmp_eq_u32_e32 vcc, v16, v13
	s_and_saveexec_b64 s[0:1], vcc
	s_cbranch_execnz .LBB79_190
	s_branch .LBB79_191
.LBB79_375:
	ds_read_u8 v16, v5 offset:1024
	s_andn2_b64 s[0:1], s[0:1], exec
	s_waitcnt lgkmcnt(0)
	v_and_b32_e32 v16, 1, v16
	v_cmp_eq_u32_e32 vcc, 1, v16
	s_xor_b64 s[8:9], vcc, -1
	s_and_b64 s[8:9], s[8:9], exec
	s_or_b64 s[0:1], s[0:1], s[8:9]
	s_or_b64 exec, exec, s[2:3]
	v_mov_b32_e32 v16, s6
	s_and_saveexec_b64 s[2:3], s[0:1]
	s_cbranch_execz .LBB79_193
.LBB79_376:
	ds_read_u8 v16, v5 offset:1028
	s_waitcnt lgkmcnt(0)
	v_xor_b32_e32 v16, 1, v16
	s_or_b64 exec, exec, s[2:3]
	v_cmp_eq_u32_e32 vcc, v16, v13
	s_and_saveexec_b64 s[0:1], vcc
	s_cbranch_execnz .LBB79_194
	s_branch .LBB79_195
.LBB79_377:
	ds_read_u8 v16, v4 offset:1024
	s_andn2_b64 s[0:1], s[0:1], exec
	s_waitcnt lgkmcnt(0)
	v_and_b32_e32 v16, 1, v16
	v_cmp_eq_u32_e32 vcc, 1, v16
	s_xor_b64 s[8:9], vcc, -1
	s_and_b64 s[8:9], s[8:9], exec
	s_or_b64 s[0:1], s[0:1], s[8:9]
	s_or_b64 exec, exec, s[2:3]
	v_mov_b32_e32 v16, s6
	s_and_saveexec_b64 s[2:3], s[0:1]
	s_cbranch_execz .LBB79_197
.LBB79_378:
	ds_read_u8 v16, v4 offset:1026
	s_waitcnt lgkmcnt(0)
	v_xor_b32_e32 v16, 1, v16
	s_or_b64 exec, exec, s[2:3]
	v_cmp_eq_u32_e32 vcc, v16, v13
	s_and_saveexec_b64 s[0:1], vcc
	s_cbranch_execnz .LBB79_198
	s_branch .LBB79_199
.LBB79_379:
	ds_read_u8 v16, v1 offset:1024
	s_andn2_b64 s[0:1], s[0:1], exec
	s_mov_b32 s6, 1
	s_waitcnt lgkmcnt(0)
	v_and_b32_e32 v16, 1, v16
	v_cmp_eq_u32_e32 vcc, 1, v16
	s_xor_b64 s[8:9], vcc, -1
	s_and_b64 s[8:9], s[8:9], exec
	s_or_b64 s[0:1], s[0:1], s[8:9]
	s_or_b64 exec, exec, s[2:3]
	v_mov_b32_e32 v16, s6
	s_and_saveexec_b64 s[2:3], s[0:1]
	s_cbranch_execz .LBB79_201
.LBB79_380:
	ds_read_u8 v16, v3 offset:1025
	s_waitcnt lgkmcnt(0)
	v_xor_b32_e32 v16, 1, v16
	s_or_b64 exec, exec, s[2:3]
	v_cmp_eq_u32_e32 vcc, v16, v13
	s_and_saveexec_b64 s[0:1], vcc
	s_cbranch_execnz .LBB79_202
	s_branch .LBB79_203
.LBB79_381:
	ds_read_u8 v16, v13 offset:1024
	s_andn2_b64 s[0:1], s[0:1], exec
	s_waitcnt lgkmcnt(0)
	v_and_b32_e32 v16, 1, v16
	v_cmp_eq_u32_e32 vcc, 1, v16
	s_xor_b64 s[8:9], vcc, -1
	s_and_b64 s[8:9], s[8:9], exec
	s_or_b64 s[0:1], s[0:1], s[8:9]
	s_or_b64 exec, exec, s[2:3]
	v_mov_b32_e32 v16, s6
	s_and_saveexec_b64 s[2:3], s[0:1]
	s_cbranch_execz .LBB79_205
.LBB79_382:
	ds_read_u8 v16, v13 offset:1536
	s_waitcnt lgkmcnt(0)
	v_xor_b32_e32 v16, 1, v16
	s_or_b64 exec, exec, s[2:3]
	v_cmp_eq_u32_e32 vcc, 0, v16
	s_and_saveexec_b64 s[0:1], vcc
	s_cbranch_execnz .LBB79_206
	s_branch .LBB79_207
.LBB79_383:
	ds_read_u8 v15, v12 offset:1024
	s_andn2_b64 s[0:1], s[0:1], exec
	s_waitcnt lgkmcnt(0)
	v_and_b32_e32 v15, 1, v15
	v_cmp_eq_u32_e32 vcc, 1, v15
	s_xor_b64 s[8:9], vcc, -1
	s_and_b64 s[8:9], s[8:9], exec
	s_or_b64 s[0:1], s[0:1], s[8:9]
	s_or_b64 exec, exec, s[2:3]
	v_mov_b32_e32 v15, s6
	s_and_saveexec_b64 s[2:3], s[0:1]
	s_cbranch_execz .LBB79_209
.LBB79_384:
	ds_read_u8 v15, v12 offset:1280
	s_waitcnt lgkmcnt(0)
	v_xor_b32_e32 v15, 1, v15
	s_or_b64 exec, exec, s[2:3]
	v_cmp_eq_u32_e32 vcc, 0, v15
	s_and_saveexec_b64 s[0:1], vcc
	s_cbranch_execnz .LBB79_210
	s_branch .LBB79_211
.LBB79_385:
	ds_read_u8 v14, v11 offset:1024
	s_andn2_b64 s[0:1], s[0:1], exec
	s_waitcnt lgkmcnt(0)
	v_and_b32_e32 v14, 1, v14
	v_cmp_eq_u32_e32 vcc, 1, v14
	s_xor_b64 s[8:9], vcc, -1
	s_and_b64 s[8:9], s[8:9], exec
	s_or_b64 s[0:1], s[0:1], s[8:9]
	s_or_b64 exec, exec, s[2:3]
	v_mov_b32_e32 v14, s6
	s_and_saveexec_b64 s[2:3], s[0:1]
	s_cbranch_execz .LBB79_213
.LBB79_386:
	ds_read_u8 v14, v11 offset:1152
	s_waitcnt lgkmcnt(0)
	v_xor_b32_e32 v14, 1, v14
	s_or_b64 exec, exec, s[2:3]
	v_cmp_eq_u32_e32 vcc, 0, v14
	s_and_saveexec_b64 s[0:1], vcc
	s_cbranch_execnz .LBB79_214
	s_branch .LBB79_215
.LBB79_387:
	ds_read_b32 v5, v14 offset:1024
	s_or_b64 exec, exec, s[12:13]
	s_and_saveexec_b64 s[12:13], s[10:11]
	s_cbranch_execz .LBB79_296
.LBB79_388:
	ds_read_b32 v3, v14 offset:1028
	s_or_b64 exec, exec, s[12:13]
	s_and_saveexec_b64 s[20:21], s[0:1]
	s_cbranch_execz .LBB79_297
.LBB79_389:
	s_waitcnt lgkmcnt(0)
	ds_bpermute_b32 v6, v1, v5
	ds_bpermute_b32 v7, v1, v3
	s_waitcnt lgkmcnt(1)
	v_max_u32_e32 v15, v6, v5
	v_cmp_gt_u32_e64 s[12:13], v6, v5
	ds_bpermute_b32 v16, v9, v15
	s_waitcnt lgkmcnt(1)
	v_cndmask_b32_e64 v3, v3, v7, s[12:13]
	ds_bpermute_b32 v5, v9, v3
	s_waitcnt lgkmcnt(1)
	v_max_u32_e32 v6, v16, v15
	v_cmp_gt_u32_e64 s[12:13], v16, v15
	ds_bpermute_b32 v7, v10, v6
	s_waitcnt lgkmcnt(1)
	v_cndmask_b32_e64 v3, v3, v5, s[12:13]
	ds_bpermute_b32 v5, v10, v3
	s_waitcnt lgkmcnt(1)
	v_max_u32_e32 v15, v7, v6
	v_cmp_gt_u32_e64 s[12:13], v7, v6
	ds_bpermute_b32 v16, v11, v15
	s_waitcnt lgkmcnt(1)
	v_cndmask_b32_e64 v3, v3, v5, s[12:13]
	ds_bpermute_b32 v5, v11, v3
	s_waitcnt lgkmcnt(1)
	v_max_u32_e32 v6, v16, v15
	v_cmp_gt_u32_e64 s[12:13], v16, v15
	ds_bpermute_b32 v7, v12, v6
	s_waitcnt lgkmcnt(1)
	v_cndmask_b32_e64 v3, v3, v5, s[12:13]
	ds_bpermute_b32 v5, v12, v3
	s_waitcnt lgkmcnt(1)
	v_max_u32_e32 v15, v7, v6
	v_cmp_gt_u32_e64 s[12:13], v7, v6
	s_waitcnt lgkmcnt(0)
	v_cndmask_b32_e64 v3, v3, v5, s[12:13]
	ds_bpermute_b32 v5, v13, v15
	ds_bpermute_b32 v6, v13, v3
	s_waitcnt lgkmcnt(1)
	v_cmp_gt_u32_e64 s[12:13], v5, v15
	s_waitcnt lgkmcnt(0)
	v_cndmask_b32_e64 v3, v3, v6, s[12:13]
	s_or_b64 exec, exec, s[20:21]
	s_and_saveexec_b64 s[12:13], vcc
	s_cbranch_execnz .LBB79_298
	s_branch .LBB79_299
.LBB79_390:
	v_lshlrev_b32_e32 v0, 2, v8
	v_sub_u32_e32 v0, v14, v0
	ds_read_b32 v0, v0
	s_or_b64 exec, exec, s[2:3]
	s_and_saveexec_b64 s[2:3], s[0:1]
	s_cbranch_execz .LBB79_307
.LBB79_391:
	s_waitcnt lgkmcnt(0)
	ds_bpermute_b32 v1, v1, v0
	s_waitcnt lgkmcnt(0)
	v_max_u32_e32 v0, v1, v0
	ds_bpermute_b32 v1, v9, v0
	s_waitcnt lgkmcnt(0)
	v_max_u32_e32 v0, v1, v0
	;; [unrolled: 3-line block ×6, first 2 shown]
	s_or_b64 exec, exec, s[2:3]
	s_and_saveexec_b64 s[0:1], vcc
	s_cbranch_execz .LBB79_308
.LBB79_392:
	s_load_dword s6, s[4:5], 0xd8
	s_load_dwordx2 s[0:1], s[4:5], 0xe0
	s_add_u32 s2, s4, 8
	s_addc_u32 s3, s5, 0
	s_mov_b32 s5, 0
	s_waitcnt lgkmcnt(0)
	s_cmp_lt_i32 s6, 2
	s_cbranch_scc1 .LBB79_395
; %bb.393:
	s_add_i32 s4, s6, -1
	s_add_i32 s8, s6, 1
	s_lshl_b64 s[6:7], s[4:5], 2
	s_add_u32 s4, s6, s2
	s_addc_u32 s7, s7, s3
	s_add_u32 s6, s4, 8
	s_addc_u32 s7, s7, 0
.LBB79_394:                             ; =>This Inner Loop Header: Depth=1
	s_load_dword s4, s[6:7], 0x0
	s_load_dword s10, s[6:7], 0x64
	s_mov_b32 s9, s14
	s_waitcnt lgkmcnt(0)
	v_cvt_f32_u32_e32 v1, s4
	s_sub_i32 s11, 0, s4
	v_rcp_iflag_f32_e32 v1, v1
	v_mul_f32_e32 v1, 0x4f7ffffe, v1
	v_cvt_u32_f32_e32 v1, v1
	v_readfirstlane_b32 s12, v1
	s_mul_i32 s11, s11, s12
	s_mul_hi_u32 s11, s12, s11
	s_add_i32 s12, s12, s11
	s_mul_hi_u32 s11, s14, s12
	s_mul_i32 s12, s11, s4
	s_sub_i32 s12, s14, s12
	s_add_i32 s13, s11, 1
	s_sub_i32 s14, s12, s4
	s_cmp_ge_u32 s12, s4
	s_cselect_b32 s11, s13, s11
	s_cselect_b32 s12, s14, s12
	s_add_i32 s13, s11, 1
	s_cmp_ge_u32 s12, s4
	s_cselect_b32 s14, s13, s11
	s_mul_i32 s4, s14, s4
	s_sub_i32 s4, s9, s4
	s_mul_i32 s4, s10, s4
	s_add_i32 s8, s8, -1
	s_add_i32 s5, s4, s5
	s_add_u32 s6, s6, -4
	s_addc_u32 s7, s7, -1
	s_cmp_gt_u32 s8, 2
	s_cbranch_scc1 .LBB79_394
.LBB79_395:
	s_load_dword s4, s[2:3], 0x6c
	v_mov_b32_e32 v1, 0
	s_load_dwordx2 s[2:3], s[2:3], 0x0
	ds_read_u8 v2, v1
	s_mov_b32 s7, 0
	s_waitcnt lgkmcnt(0)
	s_mul_i32 s4, s4, s14
	s_add_i32 s6, s4, s5
	v_mov_b32_e32 v3, s6
	global_store_byte v3, v2, s[2:3]
	s_lshl_b64 s[2:3], s[6:7], 3
	s_add_u32 s0, s0, s2
	s_addc_u32 s1, s1, s3
	global_store_dwordx2 v1, v[0:1], s[0:1]
	s_endpgm
	.section	.rodata,"a",@progbits
	.p2align	6, 0x0
	.amdhsa_kernel _ZN2at6native12compute_modeIaLj1024EEEvPKT_NS_4cuda6detail10TensorInfoIS2_jEENS7_IljEEll
		.amdhsa_group_segment_fixed_size 1
		.amdhsa_private_segment_fixed_size 0
		.amdhsa_kernarg_size 712
		.amdhsa_user_sgpr_count 6
		.amdhsa_user_sgpr_private_segment_buffer 1
		.amdhsa_user_sgpr_dispatch_ptr 0
		.amdhsa_user_sgpr_queue_ptr 0
		.amdhsa_user_sgpr_kernarg_segment_ptr 1
		.amdhsa_user_sgpr_dispatch_id 0
		.amdhsa_user_sgpr_flat_scratch_init 0
		.amdhsa_user_sgpr_kernarg_preload_length 0
		.amdhsa_user_sgpr_kernarg_preload_offset 0
		.amdhsa_user_sgpr_private_segment_size 0
		.amdhsa_uses_dynamic_stack 0
		.amdhsa_system_sgpr_private_segment_wavefront_offset 0
		.amdhsa_system_sgpr_workgroup_id_x 1
		.amdhsa_system_sgpr_workgroup_id_y 1
		.amdhsa_system_sgpr_workgroup_id_z 1
		.amdhsa_system_sgpr_workgroup_info 0
		.amdhsa_system_vgpr_workitem_id 0
		.amdhsa_next_free_vgpr 25
		.amdhsa_next_free_sgpr 22
		.amdhsa_accum_offset 28
		.amdhsa_reserve_vcc 1
		.amdhsa_reserve_flat_scratch 0
		.amdhsa_float_round_mode_32 0
		.amdhsa_float_round_mode_16_64 0
		.amdhsa_float_denorm_mode_32 3
		.amdhsa_float_denorm_mode_16_64 3
		.amdhsa_dx10_clamp 1
		.amdhsa_ieee_mode 1
		.amdhsa_fp16_overflow 0
		.amdhsa_tg_split 0
		.amdhsa_exception_fp_ieee_invalid_op 0
		.amdhsa_exception_fp_denorm_src 0
		.amdhsa_exception_fp_ieee_div_zero 0
		.amdhsa_exception_fp_ieee_overflow 0
		.amdhsa_exception_fp_ieee_underflow 0
		.amdhsa_exception_fp_ieee_inexact 0
		.amdhsa_exception_int_div_zero 0
	.end_amdhsa_kernel
	.section	.text._ZN2at6native12compute_modeIaLj1024EEEvPKT_NS_4cuda6detail10TensorInfoIS2_jEENS7_IljEEll,"axG",@progbits,_ZN2at6native12compute_modeIaLj1024EEEvPKT_NS_4cuda6detail10TensorInfoIS2_jEENS7_IljEEll,comdat
.Lfunc_end79:
	.size	_ZN2at6native12compute_modeIaLj1024EEEvPKT_NS_4cuda6detail10TensorInfoIS2_jEENS7_IljEEll, .Lfunc_end79-_ZN2at6native12compute_modeIaLj1024EEEvPKT_NS_4cuda6detail10TensorInfoIS2_jEENS7_IljEEll
                                        ; -- End function
	.section	.AMDGPU.csdata,"",@progbits
; Kernel info:
; codeLenInByte = 16888
; NumSgprs: 26
; NumVgprs: 25
; NumAgprs: 0
; TotalNumVgprs: 25
; ScratchSize: 0
; MemoryBound: 0
; FloatMode: 240
; IeeeMode: 1
; LDSByteSize: 1 bytes/workgroup (compile time only)
; SGPRBlocks: 3
; VGPRBlocks: 3
; NumSGPRsForWavesPerEU: 26
; NumVGPRsForWavesPerEU: 25
; AccumOffset: 28
; Occupancy: 8
; WaveLimiterHint : 1
; COMPUTE_PGM_RSRC2:SCRATCH_EN: 0
; COMPUTE_PGM_RSRC2:USER_SGPR: 6
; COMPUTE_PGM_RSRC2:TRAP_HANDLER: 0
; COMPUTE_PGM_RSRC2:TGID_X_EN: 1
; COMPUTE_PGM_RSRC2:TGID_Y_EN: 1
; COMPUTE_PGM_RSRC2:TGID_Z_EN: 1
; COMPUTE_PGM_RSRC2:TIDIG_COMP_CNT: 0
; COMPUTE_PGM_RSRC3_GFX90A:ACCUM_OFFSET: 6
; COMPUTE_PGM_RSRC3_GFX90A:TG_SPLIT: 0
	.section	.text._ZN2at6native12compute_modeIaLj128EEEvPKT_NS_4cuda6detail10TensorInfoIS2_jEENS7_IljEEll,"axG",@progbits,_ZN2at6native12compute_modeIaLj128EEEvPKT_NS_4cuda6detail10TensorInfoIS2_jEENS7_IljEEll,comdat
	.protected	_ZN2at6native12compute_modeIaLj128EEEvPKT_NS_4cuda6detail10TensorInfoIS2_jEENS7_IljEEll ; -- Begin function _ZN2at6native12compute_modeIaLj128EEEvPKT_NS_4cuda6detail10TensorInfoIS2_jEENS7_IljEEll
	.globl	_ZN2at6native12compute_modeIaLj128EEEvPKT_NS_4cuda6detail10TensorInfoIS2_jEENS7_IljEEll
	.p2align	8
	.type	_ZN2at6native12compute_modeIaLj128EEEvPKT_NS_4cuda6detail10TensorInfoIS2_jEENS7_IljEEll,@function
_ZN2at6native12compute_modeIaLj128EEEvPKT_NS_4cuda6detail10TensorInfoIS2_jEENS7_IljEEll: ; @_ZN2at6native12compute_modeIaLj128EEEvPKT_NS_4cuda6detail10TensorInfoIS2_jEENS7_IljEEll
; %bb.0:
	s_load_dwordx4 s[16:19], s[4:5], 0x1b8
	s_load_dwordx2 s[2:3], s[4:5], 0x1c8
	s_add_u32 s0, s4, 0x1c8
	s_addc_u32 s1, s5, 0
	s_mov_b32 s15, 0
	s_waitcnt lgkmcnt(0)
	v_mov_b32_e32 v2, s18
	s_mul_i32 s3, s3, s8
	s_add_i32 s3, s3, s7
	s_mul_i32 s2, s3, s2
	v_mov_b32_e32 v3, s19
	s_add_i32 s14, s2, s6
	v_cmp_ge_i64_e32 vcc, s[14:15], v[2:3]
	s_cbranch_vccnz .LBB80_182
; %bb.1:
	s_load_dwordx2 s[18:19], s[4:5], 0x0
	s_load_dword s2, s[0:1], 0xc
	v_mov_b32_e32 v3, 0
	v_mov_b32_e32 v1, v3
	s_mul_i32 s15, s14, s16
	v_cmp_gt_i64_e32 vcc, s[16:17], v[0:1]
	v_add_u32_e32 v1, 1, v0
	s_and_saveexec_b64 s[0:1], vcc
	s_cbranch_execz .LBB80_3
; %bb.2:
	v_add_u32_e32 v2, s15, v0
	s_waitcnt lgkmcnt(0)
	global_load_ubyte v2, v2, s[18:19]
	s_waitcnt vmcnt(0)
	ds_write_b8 v1, v2
.LBB80_3:
	s_or_b64 exec, exec, s[0:1]
	s_waitcnt lgkmcnt(0)
	s_and_b32 s20, 0xffff, s2
	v_add_u32_e32 v2, s20, v0
	v_cmp_gt_i64_e64 s[0:1], s[16:17], v[2:3]
	s_and_saveexec_b64 s[2:3], s[0:1]
	s_cbranch_execz .LBB80_5
; %bb.4:
	v_add_u32_e32 v3, s15, v2
	global_load_ubyte v3, v3, s[18:19]
	v_add_u32_e32 v2, 1, v2
	s_waitcnt vmcnt(0)
	ds_write_b8 v2, v3
.LBB80_5:
	s_or_b64 exec, exec, s[2:3]
	v_cndmask_b32_e64 v2, 0, 1, vcc
	ds_write_b8 v1, v2 offset:128
	v_add_u32_e32 v2, s20, v1
	v_cndmask_b32_e64 v3, 0, 1, s[0:1]
	v_add_u32_e32 v1, v1, v0
	ds_write_b8 v2, v3 offset:128
	s_waitcnt lgkmcnt(0)
	s_barrier
	s_barrier
	ds_read_i8 v4, v1
	ds_read_i8 v5, v1 offset:1
	s_mov_b32 s6, 1
	s_waitcnt lgkmcnt(0)
	v_cmp_ge_i16_e64 s[0:1], v4, v5
	v_cmp_lt_i16_e32 vcc, v4, v5
	s_and_saveexec_b64 s[2:3], vcc
	s_cbranch_execz .LBB80_7
; %bb.6:
	ds_read_u8 v2, v1 offset:128
	s_andn2_b64 s[0:1], s[0:1], exec
	s_waitcnt lgkmcnt(0)
	v_and_b32_e32 v2, 1, v2
	v_cmp_eq_u32_e32 vcc, 1, v2
	s_xor_b64 s[8:9], vcc, -1
	s_and_b64 s[8:9], s[8:9], exec
	s_or_b64 s[0:1], s[0:1], s[8:9]
.LBB80_7:
	s_or_b64 exec, exec, s[2:3]
	v_lshlrev_b32_e32 v2, 1, v0
	v_mov_b32_e32 v7, s6
	v_add_u32_e32 v3, 1, v2
	s_and_saveexec_b64 s[2:3], s[0:1]
	s_cbranch_execz .LBB80_9
; %bb.8:
	ds_read_u8 v6, v3 offset:129
	s_waitcnt lgkmcnt(0)
	v_xor_b32_e32 v7, 1, v6
.LBB80_9:
	s_or_b64 exec, exec, s[2:3]
	v_and_b32_e32 v6, 1, v0
	v_cmp_eq_u32_e32 vcc, v7, v6
	s_and_saveexec_b64 s[0:1], vcc
	s_cbranch_execz .LBB80_11
; %bb.10:
	ds_read_u8 v7, v3 offset:129
	ds_read_u8 v8, v1 offset:128
	ds_write_b8 v1, v5
	ds_write_b8 v1, v4 offset:1
	s_waitcnt lgkmcnt(3)
	ds_write_b8 v1, v7 offset:128
	s_waitcnt lgkmcnt(3)
	ds_write_b8 v3, v8 offset:129
.LBB80_11:
	s_or_b64 exec, exec, s[0:1]
	v_sub_u32_e32 v4, v2, v6
	v_add_u32_e32 v4, 1, v4
	s_waitcnt lgkmcnt(0)
	s_barrier
	ds_read_i8 v6, v4
	ds_read_i8 v7, v4 offset:2
	s_mov_b64 s[0:1], -1
                                        ; implicit-def: $sgpr6
	s_waitcnt lgkmcnt(0)
	v_cmp_lt_i16_e32 vcc, v6, v7
	s_and_saveexec_b64 s[2:3], vcc
	s_xor_b64 s[2:3], exec, s[2:3]
	s_cbranch_execz .LBB80_13
; %bb.12:
	ds_read_u8 v5, v4 offset:128
	s_mov_b32 s6, 1
	s_waitcnt lgkmcnt(0)
	v_and_b32_e32 v5, 1, v5
	v_cmp_eq_u32_e32 vcc, 1, v5
	s_xor_b64 s[0:1], vcc, -1
	s_orn2_b64 s[0:1], s[0:1], exec
.LBB80_13:
	s_or_b64 exec, exec, s[2:3]
	v_mov_b32_e32 v8, s6
	s_and_saveexec_b64 s[2:3], s[0:1]
	s_cbranch_execz .LBB80_15
; %bb.14:
	ds_read_u8 v5, v4 offset:130
	s_waitcnt lgkmcnt(0)
	v_xor_b32_e32 v8, 1, v5
.LBB80_15:
	s_or_b64 exec, exec, s[2:3]
	v_bfe_u32 v5, v0, 1, 1
	v_cmp_eq_u32_e32 vcc, v8, v5
	s_and_saveexec_b64 s[0:1], vcc
	s_cbranch_execz .LBB80_17
; %bb.16:
	ds_read_u8 v8, v4 offset:130
	ds_read_u8 v9, v4 offset:128
	ds_write_b8 v4, v7
	ds_write_b8 v4, v6 offset:2
	s_waitcnt lgkmcnt(3)
	ds_write_b8 v4, v8 offset:128
	s_waitcnt lgkmcnt(3)
	ds_write_b8 v4, v9 offset:130
.LBB80_17:
	s_or_b64 exec, exec, s[0:1]
	s_waitcnt lgkmcnt(0)
	s_barrier
	ds_read_i8 v6, v1
	ds_read_i8 v7, v1 offset:1
                                        ; implicit-def: $sgpr6
	s_waitcnt lgkmcnt(0)
	v_cmp_ge_i16_e64 s[0:1], v6, v7
	v_cmp_lt_i16_e32 vcc, v6, v7
	s_and_saveexec_b64 s[2:3], vcc
	s_cbranch_execnz .LBB80_183
; %bb.18:
	s_or_b64 exec, exec, s[2:3]
	v_mov_b32_e32 v8, s6
	s_and_saveexec_b64 s[2:3], s[0:1]
	s_cbranch_execnz .LBB80_184
.LBB80_19:
	s_or_b64 exec, exec, s[2:3]
	v_cmp_eq_u32_e32 vcc, v8, v5
	s_and_saveexec_b64 s[0:1], vcc
	s_cbranch_execz .LBB80_21
.LBB80_20:
	ds_read_u8 v5, v3 offset:129
	ds_read_u8 v8, v1 offset:128
	ds_write_b8 v1, v7
	ds_write_b8 v1, v6 offset:1
	s_waitcnt lgkmcnt(3)
	ds_write_b8 v1, v5 offset:128
	s_waitcnt lgkmcnt(3)
	ds_write_b8 v3, v8 offset:129
.LBB80_21:
	s_or_b64 exec, exec, s[0:1]
	v_and_b32_e32 v5, 3, v0
	v_sub_u32_e32 v5, v2, v5
	v_add_u32_e32 v5, 1, v5
	s_waitcnt lgkmcnt(0)
	s_barrier
	ds_read_i8 v7, v5
	ds_read_i8 v8, v5 offset:4
	s_mov_b32 s6, 1
	s_waitcnt lgkmcnt(0)
	v_cmp_ge_i16_e64 s[0:1], v7, v8
	v_cmp_lt_i16_e32 vcc, v7, v8
	s_and_saveexec_b64 s[2:3], vcc
	s_cbranch_execz .LBB80_23
; %bb.22:
	ds_read_u8 v6, v5 offset:128
	s_andn2_b64 s[0:1], s[0:1], exec
	s_waitcnt lgkmcnt(0)
	v_and_b32_e32 v6, 1, v6
	v_cmp_eq_u32_e32 vcc, 1, v6
	s_xor_b64 s[8:9], vcc, -1
	s_and_b64 s[8:9], s[8:9], exec
	s_or_b64 s[0:1], s[0:1], s[8:9]
.LBB80_23:
	s_or_b64 exec, exec, s[2:3]
	v_mov_b32_e32 v9, s6
	s_and_saveexec_b64 s[2:3], s[0:1]
	s_cbranch_execz .LBB80_25
; %bb.24:
	ds_read_u8 v6, v5 offset:132
	s_waitcnt lgkmcnt(0)
	v_xor_b32_e32 v9, 1, v6
.LBB80_25:
	s_or_b64 exec, exec, s[2:3]
	v_bfe_u32 v6, v0, 2, 1
	v_cmp_eq_u32_e32 vcc, v9, v6
	s_and_saveexec_b64 s[0:1], vcc
	s_cbranch_execz .LBB80_27
; %bb.26:
	ds_read_u8 v9, v5 offset:132
	ds_read_u8 v10, v5 offset:128
	ds_write_b8 v5, v8
	ds_write_b8 v5, v7 offset:4
	s_waitcnt lgkmcnt(3)
	ds_write_b8 v5, v9 offset:128
	s_waitcnt lgkmcnt(3)
	ds_write_b8 v5, v10 offset:132
.LBB80_27:
	s_or_b64 exec, exec, s[0:1]
	s_waitcnt lgkmcnt(0)
	s_barrier
	ds_read_i8 v7, v4
	ds_read_i8 v8, v4 offset:2
	s_waitcnt lgkmcnt(0)
	v_cmp_ge_i16_e64 s[0:1], v7, v8
	v_cmp_lt_i16_e32 vcc, v7, v8
	s_and_saveexec_b64 s[2:3], vcc
	s_cbranch_execnz .LBB80_185
; %bb.28:
	s_or_b64 exec, exec, s[2:3]
	v_mov_b32_e32 v9, s6
	s_and_saveexec_b64 s[2:3], s[0:1]
	s_cbranch_execnz .LBB80_186
.LBB80_29:
	s_or_b64 exec, exec, s[2:3]
	v_cmp_eq_u32_e32 vcc, v9, v6
	s_and_saveexec_b64 s[0:1], vcc
	s_cbranch_execz .LBB80_31
.LBB80_30:
	ds_read_u8 v9, v4 offset:130
	ds_read_u8 v10, v4 offset:128
	ds_write_b8 v4, v8
	ds_write_b8 v4, v7 offset:2
	s_waitcnt lgkmcnt(3)
	ds_write_b8 v4, v9 offset:128
	s_waitcnt lgkmcnt(3)
	ds_write_b8 v4, v10 offset:130
.LBB80_31:
	s_or_b64 exec, exec, s[0:1]
	s_waitcnt lgkmcnt(0)
	s_barrier
	ds_read_i8 v7, v1
	ds_read_i8 v8, v1 offset:1
                                        ; implicit-def: $sgpr6
	s_waitcnt lgkmcnt(0)
	v_cmp_ge_i16_e64 s[0:1], v7, v8
	v_cmp_lt_i16_e32 vcc, v7, v8
	s_and_saveexec_b64 s[2:3], vcc
	s_cbranch_execnz .LBB80_187
; %bb.32:
	s_or_b64 exec, exec, s[2:3]
	v_mov_b32_e32 v9, s6
	s_and_saveexec_b64 s[2:3], s[0:1]
	s_cbranch_execnz .LBB80_188
.LBB80_33:
	s_or_b64 exec, exec, s[2:3]
	v_cmp_eq_u32_e32 vcc, v9, v6
	s_and_saveexec_b64 s[0:1], vcc
	s_cbranch_execz .LBB80_35
.LBB80_34:
	ds_read_u8 v6, v3 offset:129
	ds_read_u8 v9, v1 offset:128
	ds_write_b8 v1, v8
	ds_write_b8 v1, v7 offset:1
	s_waitcnt lgkmcnt(3)
	ds_write_b8 v1, v6 offset:128
	s_waitcnt lgkmcnt(3)
	ds_write_b8 v3, v9 offset:129
.LBB80_35:
	s_or_b64 exec, exec, s[0:1]
	v_and_b32_e32 v6, 7, v0
	v_sub_u32_e32 v6, v2, v6
	v_add_u32_e32 v6, 1, v6
	s_waitcnt lgkmcnt(0)
	s_barrier
	ds_read_i8 v8, v6
	ds_read_i8 v9, v6 offset:8
	s_mov_b32 s6, 1
	s_waitcnt lgkmcnt(0)
	v_cmp_ge_i16_e64 s[0:1], v8, v9
	v_cmp_lt_i16_e32 vcc, v8, v9
	s_and_saveexec_b64 s[2:3], vcc
	s_cbranch_execz .LBB80_37
; %bb.36:
	ds_read_u8 v7, v6 offset:128
	s_andn2_b64 s[0:1], s[0:1], exec
	s_waitcnt lgkmcnt(0)
	v_and_b32_e32 v7, 1, v7
	v_cmp_eq_u32_e32 vcc, 1, v7
	s_xor_b64 s[8:9], vcc, -1
	s_and_b64 s[8:9], s[8:9], exec
	s_or_b64 s[0:1], s[0:1], s[8:9]
.LBB80_37:
	s_or_b64 exec, exec, s[2:3]
	v_mov_b32_e32 v10, s6
	s_and_saveexec_b64 s[2:3], s[0:1]
	s_cbranch_execz .LBB80_39
; %bb.38:
	ds_read_u8 v7, v6 offset:136
	s_waitcnt lgkmcnt(0)
	v_xor_b32_e32 v10, 1, v7
.LBB80_39:
	s_or_b64 exec, exec, s[2:3]
	v_bfe_u32 v7, v0, 3, 1
	v_cmp_eq_u32_e32 vcc, v10, v7
	s_and_saveexec_b64 s[0:1], vcc
	s_cbranch_execz .LBB80_41
; %bb.40:
	ds_read_u8 v10, v6 offset:136
	ds_read_u8 v11, v6 offset:128
	ds_write_b8 v6, v9
	ds_write_b8 v6, v8 offset:8
	s_waitcnt lgkmcnt(3)
	ds_write_b8 v6, v10 offset:128
	s_waitcnt lgkmcnt(3)
	ds_write_b8 v6, v11 offset:136
.LBB80_41:
	s_or_b64 exec, exec, s[0:1]
	s_waitcnt lgkmcnt(0)
	s_barrier
	ds_read_i8 v8, v5
	ds_read_i8 v9, v5 offset:4
	s_waitcnt lgkmcnt(0)
	v_cmp_ge_i16_e64 s[0:1], v8, v9
	v_cmp_lt_i16_e32 vcc, v8, v9
	s_and_saveexec_b64 s[2:3], vcc
	s_cbranch_execnz .LBB80_189
; %bb.42:
	s_or_b64 exec, exec, s[2:3]
	v_mov_b32_e32 v10, s6
	s_and_saveexec_b64 s[2:3], s[0:1]
	s_cbranch_execnz .LBB80_190
.LBB80_43:
	s_or_b64 exec, exec, s[2:3]
	v_cmp_eq_u32_e32 vcc, v10, v7
	s_and_saveexec_b64 s[0:1], vcc
	s_cbranch_execz .LBB80_45
.LBB80_44:
	ds_read_u8 v10, v5 offset:132
	ds_read_u8 v11, v5 offset:128
	ds_write_b8 v5, v9
	ds_write_b8 v5, v8 offset:4
	s_waitcnt lgkmcnt(3)
	ds_write_b8 v5, v10 offset:128
	s_waitcnt lgkmcnt(3)
	ds_write_b8 v5, v11 offset:132
.LBB80_45:
	s_or_b64 exec, exec, s[0:1]
	s_waitcnt lgkmcnt(0)
	s_barrier
	ds_read_i8 v8, v4
	ds_read_i8 v9, v4 offset:2
	s_waitcnt lgkmcnt(0)
	v_cmp_ge_i16_e64 s[0:1], v8, v9
	v_cmp_lt_i16_e32 vcc, v8, v9
	s_and_saveexec_b64 s[2:3], vcc
	s_cbranch_execnz .LBB80_191
; %bb.46:
	s_or_b64 exec, exec, s[2:3]
	v_mov_b32_e32 v10, s6
	s_and_saveexec_b64 s[2:3], s[0:1]
	s_cbranch_execnz .LBB80_192
.LBB80_47:
	s_or_b64 exec, exec, s[2:3]
	v_cmp_eq_u32_e32 vcc, v10, v7
	s_and_saveexec_b64 s[0:1], vcc
	s_cbranch_execz .LBB80_49
.LBB80_48:
	ds_read_u8 v10, v4 offset:130
	ds_read_u8 v11, v4 offset:128
	ds_write_b8 v4, v9
	ds_write_b8 v4, v8 offset:2
	s_waitcnt lgkmcnt(3)
	ds_write_b8 v4, v10 offset:128
	s_waitcnt lgkmcnt(3)
	ds_write_b8 v4, v11 offset:130
.LBB80_49:
	s_or_b64 exec, exec, s[0:1]
	s_waitcnt lgkmcnt(0)
	s_barrier
	ds_read_i8 v8, v1
	ds_read_i8 v9, v1 offset:1
                                        ; implicit-def: $sgpr6
	s_waitcnt lgkmcnt(0)
	v_cmp_ge_i16_e64 s[0:1], v8, v9
	v_cmp_lt_i16_e32 vcc, v8, v9
	s_and_saveexec_b64 s[2:3], vcc
	s_cbranch_execnz .LBB80_193
; %bb.50:
	s_or_b64 exec, exec, s[2:3]
	v_mov_b32_e32 v10, s6
	s_and_saveexec_b64 s[2:3], s[0:1]
	s_cbranch_execnz .LBB80_194
.LBB80_51:
	s_or_b64 exec, exec, s[2:3]
	v_cmp_eq_u32_e32 vcc, v10, v7
	s_and_saveexec_b64 s[0:1], vcc
	s_cbranch_execz .LBB80_53
.LBB80_52:
	ds_read_u8 v7, v3 offset:129
	ds_read_u8 v10, v1 offset:128
	ds_write_b8 v1, v9
	ds_write_b8 v1, v8 offset:1
	s_waitcnt lgkmcnt(3)
	ds_write_b8 v1, v7 offset:128
	s_waitcnt lgkmcnt(3)
	ds_write_b8 v3, v10 offset:129
.LBB80_53:
	s_or_b64 exec, exec, s[0:1]
	v_and_b32_e32 v7, 15, v0
	v_sub_u32_e32 v7, v2, v7
	v_add_u32_e32 v7, 1, v7
	s_waitcnt lgkmcnt(0)
	s_barrier
	ds_read_i8 v9, v7
	ds_read_i8 v10, v7 offset:16
	s_mov_b32 s6, 1
	s_waitcnt lgkmcnt(0)
	v_cmp_ge_i16_e64 s[0:1], v9, v10
	v_cmp_lt_i16_e32 vcc, v9, v10
	s_and_saveexec_b64 s[2:3], vcc
	s_cbranch_execz .LBB80_55
; %bb.54:
	ds_read_u8 v8, v7 offset:128
	s_andn2_b64 s[0:1], s[0:1], exec
	s_waitcnt lgkmcnt(0)
	v_and_b32_e32 v8, 1, v8
	v_cmp_eq_u32_e32 vcc, 1, v8
	s_xor_b64 s[8:9], vcc, -1
	s_and_b64 s[8:9], s[8:9], exec
	s_or_b64 s[0:1], s[0:1], s[8:9]
.LBB80_55:
	s_or_b64 exec, exec, s[2:3]
	v_mov_b32_e32 v11, s6
	s_and_saveexec_b64 s[2:3], s[0:1]
	s_cbranch_execz .LBB80_57
; %bb.56:
	ds_read_u8 v8, v7 offset:144
	s_waitcnt lgkmcnt(0)
	v_xor_b32_e32 v11, 1, v8
.LBB80_57:
	s_or_b64 exec, exec, s[2:3]
	v_bfe_u32 v8, v0, 4, 1
	v_cmp_eq_u32_e32 vcc, v11, v8
	s_and_saveexec_b64 s[0:1], vcc
	s_cbranch_execz .LBB80_59
; %bb.58:
	ds_read_u8 v11, v7 offset:144
	ds_read_u8 v12, v7 offset:128
	ds_write_b8 v7, v10
	ds_write_b8 v7, v9 offset:16
	s_waitcnt lgkmcnt(3)
	ds_write_b8 v7, v11 offset:128
	s_waitcnt lgkmcnt(3)
	ds_write_b8 v7, v12 offset:144
.LBB80_59:
	s_or_b64 exec, exec, s[0:1]
	s_waitcnt lgkmcnt(0)
	s_barrier
	ds_read_i8 v9, v6
	ds_read_i8 v10, v6 offset:8
	s_waitcnt lgkmcnt(0)
	v_cmp_ge_i16_e64 s[0:1], v9, v10
	v_cmp_lt_i16_e32 vcc, v9, v10
	s_and_saveexec_b64 s[2:3], vcc
	s_cbranch_execnz .LBB80_195
; %bb.60:
	s_or_b64 exec, exec, s[2:3]
	v_mov_b32_e32 v11, s6
	s_and_saveexec_b64 s[2:3], s[0:1]
	s_cbranch_execnz .LBB80_196
.LBB80_61:
	s_or_b64 exec, exec, s[2:3]
	v_cmp_eq_u32_e32 vcc, v11, v8
	s_and_saveexec_b64 s[0:1], vcc
	s_cbranch_execz .LBB80_63
.LBB80_62:
	ds_read_u8 v11, v6 offset:136
	ds_read_u8 v12, v6 offset:128
	ds_write_b8 v6, v10
	ds_write_b8 v6, v9 offset:8
	s_waitcnt lgkmcnt(3)
	ds_write_b8 v6, v11 offset:128
	s_waitcnt lgkmcnt(3)
	ds_write_b8 v6, v12 offset:136
.LBB80_63:
	s_or_b64 exec, exec, s[0:1]
	s_waitcnt lgkmcnt(0)
	s_barrier
	ds_read_i8 v9, v5
	ds_read_i8 v10, v5 offset:4
	s_waitcnt lgkmcnt(0)
	v_cmp_ge_i16_e64 s[0:1], v9, v10
	v_cmp_lt_i16_e32 vcc, v9, v10
	s_and_saveexec_b64 s[2:3], vcc
	s_cbranch_execnz .LBB80_197
; %bb.64:
	s_or_b64 exec, exec, s[2:3]
	v_mov_b32_e32 v11, s6
	s_and_saveexec_b64 s[2:3], s[0:1]
	s_cbranch_execnz .LBB80_198
.LBB80_65:
	s_or_b64 exec, exec, s[2:3]
	v_cmp_eq_u32_e32 vcc, v11, v8
	s_and_saveexec_b64 s[0:1], vcc
	s_cbranch_execz .LBB80_67
.LBB80_66:
	ds_read_u8 v11, v5 offset:132
	ds_read_u8 v12, v5 offset:128
	ds_write_b8 v5, v10
	ds_write_b8 v5, v9 offset:4
	s_waitcnt lgkmcnt(3)
	ds_write_b8 v5, v11 offset:128
	s_waitcnt lgkmcnt(3)
	ds_write_b8 v5, v12 offset:132
.LBB80_67:
	s_or_b64 exec, exec, s[0:1]
	s_waitcnt lgkmcnt(0)
	s_barrier
	ds_read_i8 v9, v4
	ds_read_i8 v10, v4 offset:2
	s_waitcnt lgkmcnt(0)
	v_cmp_ge_i16_e64 s[0:1], v9, v10
	v_cmp_lt_i16_e32 vcc, v9, v10
	s_and_saveexec_b64 s[2:3], vcc
	s_cbranch_execnz .LBB80_199
; %bb.68:
	s_or_b64 exec, exec, s[2:3]
	v_mov_b32_e32 v11, s6
	s_and_saveexec_b64 s[2:3], s[0:1]
	s_cbranch_execnz .LBB80_200
.LBB80_69:
	s_or_b64 exec, exec, s[2:3]
	v_cmp_eq_u32_e32 vcc, v11, v8
	s_and_saveexec_b64 s[0:1], vcc
	s_cbranch_execz .LBB80_71
.LBB80_70:
	ds_read_u8 v11, v4 offset:130
	ds_read_u8 v12, v4 offset:128
	ds_write_b8 v4, v10
	ds_write_b8 v4, v9 offset:2
	s_waitcnt lgkmcnt(3)
	ds_write_b8 v4, v11 offset:128
	s_waitcnt lgkmcnt(3)
	ds_write_b8 v4, v12 offset:130
.LBB80_71:
	s_or_b64 exec, exec, s[0:1]
	s_waitcnt lgkmcnt(0)
	s_barrier
	ds_read_i8 v9, v1
	ds_read_i8 v10, v1 offset:1
                                        ; implicit-def: $sgpr6
	s_waitcnt lgkmcnt(0)
	v_cmp_ge_i16_e64 s[0:1], v9, v10
	v_cmp_lt_i16_e32 vcc, v9, v10
	s_and_saveexec_b64 s[2:3], vcc
	s_cbranch_execnz .LBB80_201
; %bb.72:
	s_or_b64 exec, exec, s[2:3]
	v_mov_b32_e32 v11, s6
	s_and_saveexec_b64 s[2:3], s[0:1]
	s_cbranch_execnz .LBB80_202
.LBB80_73:
	s_or_b64 exec, exec, s[2:3]
	v_cmp_eq_u32_e32 vcc, v11, v8
	s_and_saveexec_b64 s[0:1], vcc
	s_cbranch_execz .LBB80_75
.LBB80_74:
	ds_read_u8 v8, v3 offset:129
	ds_read_u8 v11, v1 offset:128
	ds_write_b8 v1, v10
	ds_write_b8 v1, v9 offset:1
	s_waitcnt lgkmcnt(3)
	ds_write_b8 v1, v8 offset:128
	s_waitcnt lgkmcnt(3)
	ds_write_b8 v3, v11 offset:129
.LBB80_75:
	s_or_b64 exec, exec, s[0:1]
	v_and_b32_e32 v8, 31, v0
	v_sub_u32_e32 v8, v2, v8
	v_add_u32_e32 v9, 1, v8
	s_waitcnt lgkmcnt(0)
	s_barrier
	ds_read_i8 v10, v9
	ds_read_i8 v11, v9 offset:32
	s_mov_b32 s6, 1
	s_waitcnt lgkmcnt(0)
	v_cmp_ge_i16_e64 s[0:1], v10, v11
	v_cmp_lt_i16_e32 vcc, v10, v11
	s_and_saveexec_b64 s[2:3], vcc
	s_cbranch_execz .LBB80_77
; %bb.76:
	ds_read_u8 v8, v9 offset:128
	s_andn2_b64 s[0:1], s[0:1], exec
	s_waitcnt lgkmcnt(0)
	v_and_b32_e32 v8, 1, v8
	v_cmp_eq_u32_e32 vcc, 1, v8
	s_xor_b64 s[8:9], vcc, -1
	s_and_b64 s[8:9], s[8:9], exec
	s_or_b64 s[0:1], s[0:1], s[8:9]
.LBB80_77:
	s_or_b64 exec, exec, s[2:3]
	v_mov_b32_e32 v12, s6
	s_and_saveexec_b64 s[2:3], s[0:1]
	s_cbranch_execz .LBB80_79
; %bb.78:
	ds_read_u8 v8, v9 offset:160
	s_waitcnt lgkmcnt(0)
	v_xor_b32_e32 v12, 1, v8
.LBB80_79:
	s_or_b64 exec, exec, s[2:3]
	v_bfe_u32 v8, v0, 5, 1
	v_cmp_eq_u32_e32 vcc, v12, v8
	s_and_saveexec_b64 s[0:1], vcc
	s_cbranch_execz .LBB80_81
; %bb.80:
	ds_read_u8 v12, v9 offset:160
	ds_read_u8 v13, v9 offset:128
	ds_write_b8 v9, v11
	ds_write_b8 v9, v10 offset:32
	s_waitcnt lgkmcnt(3)
	ds_write_b8 v9, v12 offset:128
	s_waitcnt lgkmcnt(3)
	ds_write_b8 v9, v13 offset:160
.LBB80_81:
	s_or_b64 exec, exec, s[0:1]
	s_waitcnt lgkmcnt(0)
	s_barrier
	ds_read_i8 v10, v7
	ds_read_i8 v11, v7 offset:16
	s_waitcnt lgkmcnt(0)
	v_cmp_ge_i16_e64 s[0:1], v10, v11
	v_cmp_lt_i16_e32 vcc, v10, v11
	s_and_saveexec_b64 s[2:3], vcc
	s_cbranch_execnz .LBB80_203
; %bb.82:
	s_or_b64 exec, exec, s[2:3]
	v_mov_b32_e32 v12, s6
	s_and_saveexec_b64 s[2:3], s[0:1]
	s_cbranch_execnz .LBB80_204
.LBB80_83:
	s_or_b64 exec, exec, s[2:3]
	v_cmp_eq_u32_e32 vcc, v12, v8
	s_and_saveexec_b64 s[0:1], vcc
	s_cbranch_execz .LBB80_85
.LBB80_84:
	ds_read_u8 v12, v7 offset:144
	ds_read_u8 v13, v7 offset:128
	ds_write_b8 v7, v11
	ds_write_b8 v7, v10 offset:16
	s_waitcnt lgkmcnt(3)
	ds_write_b8 v7, v12 offset:128
	s_waitcnt lgkmcnt(3)
	ds_write_b8 v7, v13 offset:144
.LBB80_85:
	s_or_b64 exec, exec, s[0:1]
	s_waitcnt lgkmcnt(0)
	s_barrier
	ds_read_i8 v10, v6
	ds_read_i8 v11, v6 offset:8
	s_waitcnt lgkmcnt(0)
	v_cmp_ge_i16_e64 s[0:1], v10, v11
	v_cmp_lt_i16_e32 vcc, v10, v11
	s_and_saveexec_b64 s[2:3], vcc
	s_cbranch_execnz .LBB80_205
; %bb.86:
	s_or_b64 exec, exec, s[2:3]
	v_mov_b32_e32 v12, s6
	s_and_saveexec_b64 s[2:3], s[0:1]
	s_cbranch_execnz .LBB80_206
.LBB80_87:
	s_or_b64 exec, exec, s[2:3]
	v_cmp_eq_u32_e32 vcc, v12, v8
	s_and_saveexec_b64 s[0:1], vcc
	s_cbranch_execz .LBB80_89
.LBB80_88:
	ds_read_u8 v12, v6 offset:136
	ds_read_u8 v13, v6 offset:128
	ds_write_b8 v6, v11
	ds_write_b8 v6, v10 offset:8
	s_waitcnt lgkmcnt(3)
	ds_write_b8 v6, v12 offset:128
	s_waitcnt lgkmcnt(3)
	ds_write_b8 v6, v13 offset:136
.LBB80_89:
	s_or_b64 exec, exec, s[0:1]
	s_waitcnt lgkmcnt(0)
	s_barrier
	ds_read_i8 v10, v5
	ds_read_i8 v11, v5 offset:4
	s_waitcnt lgkmcnt(0)
	v_cmp_ge_i16_e64 s[0:1], v10, v11
	v_cmp_lt_i16_e32 vcc, v10, v11
	s_and_saveexec_b64 s[2:3], vcc
	s_cbranch_execnz .LBB80_207
; %bb.90:
	s_or_b64 exec, exec, s[2:3]
	v_mov_b32_e32 v12, s6
	s_and_saveexec_b64 s[2:3], s[0:1]
	s_cbranch_execnz .LBB80_208
.LBB80_91:
	s_or_b64 exec, exec, s[2:3]
	v_cmp_eq_u32_e32 vcc, v12, v8
	s_and_saveexec_b64 s[0:1], vcc
	s_cbranch_execz .LBB80_93
.LBB80_92:
	ds_read_u8 v12, v5 offset:132
	ds_read_u8 v13, v5 offset:128
	ds_write_b8 v5, v11
	ds_write_b8 v5, v10 offset:4
	s_waitcnt lgkmcnt(3)
	ds_write_b8 v5, v12 offset:128
	s_waitcnt lgkmcnt(3)
	ds_write_b8 v5, v13 offset:132
.LBB80_93:
	s_or_b64 exec, exec, s[0:1]
	s_waitcnt lgkmcnt(0)
	s_barrier
	ds_read_i8 v10, v4
	ds_read_i8 v11, v4 offset:2
	s_waitcnt lgkmcnt(0)
	v_cmp_ge_i16_e64 s[0:1], v10, v11
	v_cmp_lt_i16_e32 vcc, v10, v11
	s_and_saveexec_b64 s[2:3], vcc
	s_cbranch_execnz .LBB80_209
; %bb.94:
	s_or_b64 exec, exec, s[2:3]
	v_mov_b32_e32 v12, s6
	s_and_saveexec_b64 s[2:3], s[0:1]
	s_cbranch_execnz .LBB80_210
.LBB80_95:
	s_or_b64 exec, exec, s[2:3]
	v_cmp_eq_u32_e32 vcc, v12, v8
	s_and_saveexec_b64 s[0:1], vcc
	s_cbranch_execz .LBB80_97
.LBB80_96:
	ds_read_u8 v12, v4 offset:130
	ds_read_u8 v13, v4 offset:128
	ds_write_b8 v4, v11
	ds_write_b8 v4, v10 offset:2
	s_waitcnt lgkmcnt(3)
	ds_write_b8 v4, v12 offset:128
	s_waitcnt lgkmcnt(3)
	ds_write_b8 v4, v13 offset:130
.LBB80_97:
	s_or_b64 exec, exec, s[0:1]
	s_waitcnt lgkmcnt(0)
	s_barrier
	ds_read_i8 v10, v1
	ds_read_i8 v11, v1 offset:1
                                        ; implicit-def: $sgpr6
	s_waitcnt lgkmcnt(0)
	v_cmp_ge_i16_e64 s[0:1], v10, v11
	v_cmp_lt_i16_e32 vcc, v10, v11
	s_and_saveexec_b64 s[2:3], vcc
	s_cbranch_execnz .LBB80_211
; %bb.98:
	s_or_b64 exec, exec, s[2:3]
	v_mov_b32_e32 v12, s6
	s_and_saveexec_b64 s[2:3], s[0:1]
	s_cbranch_execnz .LBB80_212
.LBB80_99:
	s_or_b64 exec, exec, s[2:3]
	v_cmp_eq_u32_e32 vcc, v12, v8
	s_and_saveexec_b64 s[0:1], vcc
	s_cbranch_execz .LBB80_101
.LBB80_100:
	ds_read_u8 v8, v3 offset:129
	ds_read_u8 v12, v1 offset:128
	ds_write_b8 v1, v11
	ds_write_b8 v1, v10 offset:1
	s_waitcnt lgkmcnt(3)
	ds_write_b8 v1, v8 offset:128
	s_waitcnt lgkmcnt(3)
	ds_write_b8 v3, v12 offset:129
.LBB80_101:
	s_or_b64 exec, exec, s[0:1]
	v_and_b32_e32 v8, 63, v0
	v_sub_u32_e32 v10, v2, v8
	v_add_u32_e32 v10, 1, v10
	s_waitcnt lgkmcnt(0)
	s_barrier
	ds_read_i8 v11, v10
	ds_read_i8 v12, v10 offset:64
	s_waitcnt lgkmcnt(0)
	v_cmp_ge_i16_e64 s[2:3], v11, v12
	v_cmp_lt_i16_e32 vcc, v11, v12
	s_and_saveexec_b64 s[0:1], vcc
	s_cbranch_execz .LBB80_103
; %bb.102:
	ds_read_u8 v13, v10 offset:128
	s_andn2_b64 s[2:3], s[2:3], exec
	s_waitcnt lgkmcnt(0)
	v_and_b32_e32 v13, 1, v13
	v_cmp_eq_u32_e32 vcc, 1, v13
	s_xor_b64 s[6:7], vcc, -1
	s_and_b64 s[6:7], s[6:7], exec
	s_or_b64 s[2:3], s[2:3], s[6:7]
.LBB80_103:
	s_or_b64 exec, exec, s[0:1]
	s_and_saveexec_b64 s[0:1], s[2:3]
	s_cbranch_execz .LBB80_106
; %bb.104:
	ds_read_u8 v13, v10 offset:192
	s_waitcnt lgkmcnt(0)
	v_cmp_ne_u16_e32 vcc, 0, v13
	s_and_b64 exec, exec, vcc
	s_cbranch_execz .LBB80_106
; %bb.105:
	ds_read_u8 v14, v10 offset:128
	ds_write_b8 v10, v12
	ds_write_b8 v10, v11 offset:64
	ds_write_b8 v10, v13 offset:128
	s_waitcnt lgkmcnt(3)
	ds_write_b8 v10, v14 offset:192
.LBB80_106:
	s_or_b64 exec, exec, s[0:1]
	s_waitcnt lgkmcnt(0)
	s_barrier
	ds_read_i8 v10, v9
	ds_read_i8 v11, v9 offset:32
	s_waitcnt lgkmcnt(0)
	v_cmp_ge_i16_e64 s[2:3], v10, v11
	v_cmp_lt_i16_e32 vcc, v10, v11
	s_and_saveexec_b64 s[0:1], vcc
	s_cbranch_execz .LBB80_108
; %bb.107:
	ds_read_u8 v12, v9 offset:128
	s_andn2_b64 s[2:3], s[2:3], exec
	s_waitcnt lgkmcnt(0)
	v_and_b32_e32 v12, 1, v12
	v_cmp_eq_u32_e32 vcc, 1, v12
	s_xor_b64 s[6:7], vcc, -1
	s_and_b64 s[6:7], s[6:7], exec
	s_or_b64 s[2:3], s[2:3], s[6:7]
.LBB80_108:
	s_or_b64 exec, exec, s[0:1]
	s_and_saveexec_b64 s[0:1], s[2:3]
	s_cbranch_execz .LBB80_111
; %bb.109:
	ds_read_u8 v12, v9 offset:160
	s_waitcnt lgkmcnt(0)
	v_cmp_ne_u16_e32 vcc, 0, v12
	s_and_b64 exec, exec, vcc
	s_cbranch_execz .LBB80_111
; %bb.110:
	ds_read_u8 v13, v9 offset:128
	ds_write_b8 v9, v11
	ds_write_b8 v9, v10 offset:32
	ds_write_b8 v9, v12 offset:128
	s_waitcnt lgkmcnt(3)
	ds_write_b8 v9, v13 offset:160
.LBB80_111:
	s_or_b64 exec, exec, s[0:1]
	;; [unrolled: 37-line block ×7, first 2 shown]
	v_cmp_eq_u32_e32 vcc, 0, v0
	s_waitcnt lgkmcnt(0)
	s_barrier
	s_barrier
	s_and_saveexec_b64 s[0:1], vcc
	s_cbranch_execz .LBB80_138
; %bb.137:
	v_mov_b32_e32 v4, 1
	v_mov_b32_e32 v5, 0
	ds_write_b8 v4, v4 offset:132
	ds_write_b32 v4, v5 offset:128
.LBB80_138:
	s_or_b64 exec, exec, s[0:1]
	ds_read_u8 v5, v1
	ds_read_u8 v4, v1 offset:1
	s_add_i32 s10, 1, 0x80
	v_lshl_add_u32 v1, v2, 3, s10
	v_cmp_gt_u32_e64 s[2:3], 63, v0
	s_waitcnt lgkmcnt(0)
	v_cmp_ne_u16_e64 s[0:1], v5, v4
	v_cndmask_b32_e64 v6, 0, 1, s[0:1]
	v_cmp_eq_u16_e64 s[0:1], v5, v4
	v_cndmask_b32_e64 v5, 0, 1, s[0:1]
	ds_write_b8 v1, v6 offset:12
	ds_write_b32 v1, v5 offset:8
	s_and_saveexec_b64 s[6:7], s[2:3]
	s_cbranch_execz .LBB80_140
; %bb.139:
	ds_read_u8 v3, v3 offset:2
	s_waitcnt lgkmcnt(0)
	v_cmp_ne_u16_e64 s[0:1], v4, v3
	v_cndmask_b32_e64 v5, 0, 1, s[0:1]
	v_cmp_eq_u16_e64 s[0:1], v4, v3
	v_cndmask_b32_e64 v3, 0, 1, s[0:1]
	ds_write_b8 v1, v5 offset:20
	ds_write_b32 v1, v3 offset:16
.LBB80_140:
	s_or_b64 exec, exec, s[6:7]
	v_cmp_gt_u32_e64 s[0:1], 64, v0
	v_lshl_add_u32 v3, v2, 3, 1
	s_waitcnt lgkmcnt(0)
	s_barrier
	s_and_saveexec_b64 s[8:9], s[0:1]
	s_cbranch_execz .LBB80_142
; %bb.141:
	ds_read_u8 v4, v1 offset:12
	ds_read_b32 v5, v3 offset:128
	ds_read_b32 v6, v1 offset:8
	ds_read_u8 v7, v3 offset:132
	s_waitcnt lgkmcnt(3)
	v_and_b32_e32 v9, 1, v4
	v_cmp_eq_u32_e64 s[6:7], 1, v9
	s_waitcnt lgkmcnt(2)
	v_cndmask_b32_e64 v5, v5, 0, s[6:7]
	s_waitcnt lgkmcnt(0)
	v_or_b32_e32 v4, v7, v4
	v_add_u32_e32 v5, v5, v6
	v_and_b32_e32 v4, 1, v4
	ds_write2_b32 v1, v5, v4 offset0:2 offset1:3
.LBB80_142:
	s_or_b64 exec, exec, s[8:9]
	v_add_u32_e32 v10, 2, v2
	v_lshlrev_b32_e32 v4, 1, v10
	v_add_u32_e32 v5, -1, v4
	v_cmp_gt_u32_e64 s[6:7], 32, v0
	s_waitcnt lgkmcnt(0)
	s_barrier
	s_and_saveexec_b64 s[8:9], s[6:7]
	s_cbranch_execz .LBB80_144
; %bb.143:
	v_lshl_add_u32 v6, v5, 3, 1
	ds_read_u8 v7, v6 offset:132
	v_lshl_add_u32 v9, v4, 3, 1
	ds_read_b32 v11, v9 offset:104
	ds_read_b32 v12, v6 offset:128
	ds_read_u8 v9, v9 offset:108
	s_waitcnt lgkmcnt(3)
	v_and_b32_e32 v13, 1, v7
	v_cmp_eq_u32_e64 s[6:7], 1, v13
	s_waitcnt lgkmcnt(2)
	v_cndmask_b32_e64 v11, v11, 0, s[6:7]
	s_waitcnt lgkmcnt(0)
	v_or_b32_e32 v7, v9, v7
	v_add_u32_e32 v11, v11, v12
	v_and_b32_e32 v7, 1, v7
	ds_write2_b32 v6, v11, v7 offset0:32 offset1:33
.LBB80_144:
	s_or_b64 exec, exec, s[8:9]
	v_lshlrev_b32_e32 v6, 2, v10
	v_add_u32_e32 v5, v5, v4
	v_cmp_gt_u32_e64 s[6:7], 16, v0
	s_waitcnt lgkmcnt(0)
	s_barrier
	s_and_saveexec_b64 s[8:9], s[6:7]
	s_cbranch_execz .LBB80_146
; %bb.145:
	v_lshl_add_u32 v7, v5, 3, 1
	ds_read_u8 v9, v7 offset:132
	v_lshl_add_u32 v11, v6, 3, 1
	ds_read_b32 v12, v11 offset:88
	ds_read_b32 v13, v7 offset:128
	ds_read_u8 v11, v11 offset:92
	s_waitcnt lgkmcnt(3)
	v_and_b32_e32 v14, 1, v9
	v_cmp_eq_u32_e64 s[6:7], 1, v14
	s_waitcnt lgkmcnt(2)
	v_cndmask_b32_e64 v12, v12, 0, s[6:7]
	s_waitcnt lgkmcnt(0)
	v_or_b32_e32 v9, v11, v9
	v_add_u32_e32 v12, v12, v13
	v_and_b32_e32 v9, 1, v9
	ds_write2_b32 v7, v12, v9 offset0:32 offset1:33
.LBB80_146:
	s_or_b64 exec, exec, s[8:9]
	v_lshlrev_b32_e32 v9, 3, v10
	v_add_u32_e32 v7, v5, v6
	;; [unrolled: 26-line block ×3, first 2 shown]
	v_cmp_gt_u32_e64 s[6:7], 4, v0
	s_waitcnt lgkmcnt(0)
	s_barrier
	s_and_saveexec_b64 s[8:9], s[6:7]
	s_cbranch_execz .LBB80_150
; %bb.149:
	v_lshl_add_u32 v13, v11, 3, 1
	v_lshl_add_u32 v14, v12, 3, 1
	ds_read_b32 v15, v13 offset:128
	ds_read_u8 v16, v13 offset:132
	v_add_u32_e32 v17, -8, v14
	v_add_u32_e32 v14, -4, v14
	ds_read_b32 v17, v17
	ds_read_u8 v14, v14
	s_waitcnt lgkmcnt(2)
	v_and_b32_e32 v18, 1, v16
	v_cmp_eq_u32_e64 s[6:7], 1, v18
	s_waitcnt lgkmcnt(1)
	v_cndmask_b32_e64 v17, v17, 0, s[6:7]
	s_waitcnt lgkmcnt(0)
	v_or_b32_e32 v14, v14, v16
	v_add_u32_e32 v15, v17, v15
	v_and_b32_e32 v14, 1, v14
	ds_write2_b32 v13, v15, v14 offset0:32 offset1:33
.LBB80_150:
	s_or_b64 exec, exec, s[8:9]
	v_add_u32_e32 v13, v11, v12
	v_cmp_gt_u32_e64 s[6:7], 2, v0
	v_lshl_add_u32 v13, v13, 3, 1
	s_waitcnt lgkmcnt(0)
	s_barrier
	s_and_saveexec_b64 s[8:9], s[6:7]
	s_cbranch_execz .LBB80_152
; %bb.151:
	v_lshl_add_u32 v10, v10, 8, 1
	v_add_u32_e32 v14, 0xffffff78, v10
	ds_read_u8 v15, v13 offset:132
	ds_read_b32 v14, v14
	v_add_u32_e32 v10, 0xffffff7c, v10
	ds_read_b32 v16, v13 offset:128
	ds_read_u8 v10, v10
	s_waitcnt lgkmcnt(3)
	v_and_b32_e32 v17, 1, v15
	v_cmp_eq_u32_e64 s[6:7], 1, v17
	s_waitcnt lgkmcnt(2)
	v_cndmask_b32_e64 v14, v14, 0, s[6:7]
	s_waitcnt lgkmcnt(0)
	v_or_b32_e32 v10, v10, v15
	v_add_u32_e32 v14, v14, v16
	v_and_b32_e32 v10, 1, v10
	ds_write2_b32 v13, v14, v10 offset0:32 offset1:33
.LBB80_152:
	s_or_b64 exec, exec, s[8:9]
	s_waitcnt lgkmcnt(0)
	s_barrier
	s_and_saveexec_b64 s[8:9], vcc
	s_cbranch_execz .LBB80_154
; %bb.153:
	v_mov_b32_e32 v10, 1
	s_movk_i32 s6, 0x78
	ds_read_u8 v16, v10 offset:1148
	v_add_u32_e64 v14, s6, 1
	ds_read2st64_b32 v[14:15], v14 offset0:2 offset1:4
	ds_read_u8 v10, v10 offset:636
	s_add_i32 s11, 1, 0x478
	s_waitcnt lgkmcnt(2)
	v_and_b32_e32 v17, 1, v16
	v_cmp_eq_u32_e64 s[6:7], 1, v17
	s_waitcnt lgkmcnt(1)
	v_cndmask_b32_e64 v14, v14, 0, s[6:7]
	s_waitcnt lgkmcnt(0)
	v_or_b32_e32 v10, v10, v16
	v_add_u32_e32 v14, v14, v15
	v_and_b32_e32 v10, 1, v10
	v_mov_b32_e32 v15, s11
	ds_write2_b32 v15, v14, v10 offset1:1
.LBB80_154:
	s_or_b64 exec, exec, s[8:9]
	s_waitcnt lgkmcnt(0)
	s_barrier
	s_and_saveexec_b64 s[8:9], vcc
	s_cbranch_execz .LBB80_156
; %bb.155:
	v_mov_b32_e32 v10, 1
	ds_read_u8 v14, v10 offset:892
	ds_read_b32 v15, v13 offset:128
	ds_read_b32 v16, v10 offset:888
	ds_read_u8 v13, v13 offset:132
	s_waitcnt lgkmcnt(3)
	v_and_b32_e32 v17, 1, v14
	v_cmp_eq_u32_e64 s[6:7], 1, v17
	s_waitcnt lgkmcnt(2)
	v_cndmask_b32_e64 v15, v15, 0, s[6:7]
	s_waitcnt lgkmcnt(0)
	v_or_b32_e32 v13, v13, v14
	v_add_u32_e32 v15, v15, v16
	v_and_b32_e32 v13, 1, v13
	ds_write2_b32 v10, v15, v13 offset0:222 offset1:223
.LBB80_156:
	s_or_b64 exec, exec, s[8:9]
	v_cmp_gt_u32_e64 s[6:7], 3, v0
	s_waitcnt lgkmcnt(0)
	s_barrier
	s_and_saveexec_b64 s[8:9], s[6:7]
	s_cbranch_execz .LBB80_158
; %bb.157:
	v_lshl_add_u32 v10, v12, 3, s10
	ds_read_u8 v12, v10 offset:124
	v_lshl_add_u32 v11, v11, 3, s10
	ds_read_b32 v13, v11
	ds_read_b32 v14, v10 offset:120
	ds_read_u8 v11, v11 offset:4
	s_waitcnt lgkmcnt(3)
	v_and_b32_e32 v15, 1, v12
	v_cmp_eq_u32_e64 s[6:7], 1, v15
	s_waitcnt lgkmcnt(2)
	v_cndmask_b32_e64 v13, v13, 0, s[6:7]
	s_waitcnt lgkmcnt(0)
	v_or_b32_e32 v11, v11, v12
	v_add_u32_e32 v13, v13, v14
	v_and_b32_e32 v11, 1, v11
	ds_write2_b32 v10, v13, v11 offset0:30 offset1:31
.LBB80_158:
	s_or_b64 exec, exec, s[8:9]
	v_cmp_gt_u32_e64 s[6:7], 7, v0
	s_waitcnt lgkmcnt(0)
	s_barrier
	s_and_saveexec_b64 s[8:9], s[6:7]
	s_cbranch_execz .LBB80_160
; %bb.159:
	v_lshl_add_u32 v9, v9, 3, s10
	ds_read_u8 v10, v9 offset:60
	v_lshl_add_u32 v7, v7, 3, s10
	ds_read_b32 v11, v7
	ds_read_b32 v12, v9 offset:56
	ds_read_u8 v7, v7 offset:4
	s_waitcnt lgkmcnt(3)
	v_and_b32_e32 v13, 1, v10
	v_cmp_eq_u32_e64 s[6:7], 1, v13
	s_waitcnt lgkmcnt(2)
	v_cndmask_b32_e64 v11, v11, 0, s[6:7]
	s_waitcnt lgkmcnt(0)
	v_or_b32_e32 v7, v7, v10
	v_add_u32_e32 v11, v11, v12
	v_and_b32_e32 v7, 1, v7
	ds_write2_b32 v9, v11, v7 offset0:14 offset1:15
.LBB80_160:
	;; [unrolled: 24-line block ×3, first 2 shown]
	s_or_b64 exec, exec, s[8:9]
	v_cmp_gt_u32_e64 s[6:7], 31, v0
	s_waitcnt lgkmcnt(0)
	s_barrier
	s_and_saveexec_b64 s[8:9], s[6:7]
	s_cbranch_execz .LBB80_164
; %bb.163:
	v_lshl_add_u32 v4, v4, 3, s10
	ds_read_u8 v5, v4 offset:12
	v_add_u32_e32 v6, -8, v4
	ds_read_b32 v7, v6
	ds_read_b32 v9, v4 offset:8
	ds_read_u8 v6, v6 offset:4
	s_waitcnt lgkmcnt(3)
	v_and_b32_e32 v10, 1, v5
	v_cmp_eq_u32_e64 s[6:7], 1, v10
	s_waitcnt lgkmcnt(2)
	v_cndmask_b32_e64 v7, v7, 0, s[6:7]
	s_waitcnt lgkmcnt(0)
	v_or_b32_e32 v5, v6, v5
	v_add_u32_e32 v7, v7, v9
	v_and_b32_e32 v5, 1, v5
	ds_write2_b32 v4, v7, v5 offset0:2 offset1:3
.LBB80_164:
	s_or_b64 exec, exec, s[8:9]
	s_waitcnt lgkmcnt(0)
	s_barrier
	s_and_saveexec_b64 s[6:7], s[2:3]
	s_cbranch_execz .LBB80_166
; %bb.165:
	ds_read_u8 v6, v1 offset:20
	ds_read_u8 v7, v1 offset:12
	ds_read2_b32 v[4:5], v1 offset0:2 offset1:4
	s_waitcnt lgkmcnt(2)
	v_and_b32_e32 v9, 1, v6
	v_cmp_eq_u32_e64 s[2:3], 1, v9
	s_waitcnt lgkmcnt(1)
	v_or_b32_e32 v6, v7, v6
	s_waitcnt lgkmcnt(0)
	v_cndmask_b32_e64 v4, v4, 0, s[2:3]
	v_add_u32_e32 v4, v4, v5
	v_and_b32_e32 v5, 1, v6
	ds_write2_b32 v1, v4, v5 offset0:4 offset1:5
.LBB80_166:
	s_or_b64 exec, exec, s[6:7]
	s_waitcnt lgkmcnt(0)
	s_barrier
	ds_read_b32 v3, v3 offset:128
	ds_read_b32 v1, v1 offset:8
	v_or_b32_e32 v4, 1, v2
	v_cmp_gt_u32_e64 s[6:7], s16, v4
	v_cmp_gt_u32_e64 s[2:3], s16, v2
	s_waitcnt lgkmcnt(1)
	v_cndmask_b32_e64 v3, 0, v3, s[2:3]
	s_waitcnt lgkmcnt(0)
	v_cndmask_b32_e64 v6, 0, v1, s[6:7]
	v_mbcnt_lo_u32_b32 v1, -1, 0
	v_mbcnt_hi_u32_b32 v13, -1, v1
	v_and_b32_e32 v14, 63, v13
	v_cmp_gt_u32_e64 s[8:9], 32, v14
	v_cndmask_b32_e64 v1, 0, 1, s[8:9]
	v_lshlrev_b32_e32 v1, 5, v1
	v_cndmask_b32_e64 v5, 0, v2, s[2:3]
	v_max_u32_e32 v7, v6, v3
	v_add_lshl_u32 v1, v1, v13, 2
	v_cndmask_b32_e64 v9, 0, v4, s[6:7]
	v_cmp_gt_u32_e64 s[8:9], v6, v3
	ds_bpermute_b32 v10, v1, v7
	v_cndmask_b32_e64 v3, v5, v9, s[8:9]
	ds_bpermute_b32 v5, v1, v3
	v_cmp_gt_u32_e64 s[8:9], 48, v14
	v_cndmask_b32_e64 v9, 0, 1, s[8:9]
	v_lshlrev_b32_e32 v9, 4, v9
	s_waitcnt lgkmcnt(1)
	v_max_u32_e32 v6, v10, v7
	v_add_lshl_u32 v9, v9, v13, 2
	v_cmp_gt_u32_e64 s[8:9], v10, v7
	ds_bpermute_b32 v11, v9, v6
	s_waitcnt lgkmcnt(1)
	v_cndmask_b32_e64 v3, v3, v5, s[8:9]
	ds_bpermute_b32 v5, v9, v3
	v_cmp_gt_u32_e64 s[8:9], 56, v14
	v_cndmask_b32_e64 v10, 0, 1, s[8:9]
	v_lshlrev_b32_e32 v10, 3, v10
	s_waitcnt lgkmcnt(1)
	v_max_u32_e32 v7, v11, v6
	v_add_lshl_u32 v10, v10, v13, 2
	v_cmp_gt_u32_e64 s[8:9], v11, v6
	ds_bpermute_b32 v12, v10, v7
	s_waitcnt lgkmcnt(1)
	;; [unrolled: 11-line block ×4, first 2 shown]
	v_cndmask_b32_e64 v5, v3, v5, s[8:9]
	ds_bpermute_b32 v6, v12, v5
	s_waitcnt lgkmcnt(0)
	s_barrier
	v_cmp_gt_u32_e64 s[8:9], v16, v7
	v_max_u32_e32 v3, v16, v7
	v_cndmask_b32_e64 v5, v5, v6, s[8:9]
	v_cmp_ne_u32_e64 s[8:9], 63, v14
	v_addc_co_u32_e64 v6, s[8:9], 0, v13, s[8:9]
	v_lshlrev_b32_e32 v13, 2, v6
	ds_bpermute_b32 v6, v13, v5
	ds_bpermute_b32 v7, v13, v3
	v_cmp_eq_u32_e64 s[8:9], 0, v8
	s_waitcnt lgkmcnt(0)
	s_barrier
	s_and_saveexec_b64 s[12:13], s[8:9]
	s_cbranch_execz .LBB80_168
; %bb.167:
	v_lshrrev_b32_e32 v14, 3, v0
	v_cmp_gt_u32_e64 s[10:11], v7, v3
	v_add_u32_e32 v14, 1, v14
	v_cndmask_b32_e64 v5, v5, v6, s[10:11]
	v_max_u32_e32 v3, v7, v3
	ds_write2_b32 v14, v3, v5 offset0:32 offset1:33
.LBB80_168:
	s_or_b64 exec, exec, s[12:13]
	s_lshr_b32 s10, s20, 6
	v_cmp_gt_u32_e64 s[10:11], s10, v0
	v_lshl_add_u32 v14, v8, 3, 1
	v_mov_b32_e32 v3, 0
	v_mov_b32_e32 v5, 0
	s_waitcnt lgkmcnt(0)
	s_barrier
	s_and_saveexec_b64 s[12:13], s[10:11]
	s_cbranch_execnz .LBB80_213
; %bb.169:
	s_or_b64 exec, exec, s[12:13]
	s_and_saveexec_b64 s[12:13], s[10:11]
	s_cbranch_execnz .LBB80_214
.LBB80_170:
	s_or_b64 exec, exec, s[12:13]
	s_and_saveexec_b64 s[20:21], s[0:1]
	s_cbranch_execnz .LBB80_215
.LBB80_171:
	s_or_b64 exec, exec, s[20:21]
	s_and_saveexec_b64 s[12:13], vcc
	s_cbranch_execz .LBB80_173
.LBB80_172:
	s_waitcnt lgkmcnt(0)
	v_add_u32_e32 v3, 1, v3
	ds_read_u8 v3, v3
	v_mov_b32_e32 v5, 0
	s_waitcnt lgkmcnt(0)
	ds_write_b8 v5, v3
.LBB80_173:
	s_or_b64 exec, exec, s[12:13]
	s_mov_b32 s20, 0
	s_waitcnt lgkmcnt(0)
	v_mov_b32_e32 v3, 0
	s_mov_b32 s21, s20
	v_cmp_gt_i64_e64 s[12:13], s[16:17], v[2:3]
	v_pk_mov_b32 v[6:7], s[20:21], s[20:21] op_sel:[0,1]
	s_barrier
	s_and_saveexec_b64 s[20:21], s[12:13]
	s_cbranch_execz .LBB80_175
; %bb.174:
	v_add_u32_e32 v5, s15, v2
	global_load_ubyte v5, v5, s[18:19]
	ds_read_u8 v6, v3
	s_waitcnt vmcnt(0) lgkmcnt(0)
	v_cmp_eq_u16_e64 s[12:13], v5, v6
	v_cndmask_b32_e64 v2, 0, v2, s[12:13]
	v_pk_mov_b32 v[6:7], v[2:3], v[2:3] op_sel:[0,1]
.LBB80_175:
	s_or_b64 exec, exec, s[20:21]
	v_mov_b32_e32 v5, v3
	v_cmp_gt_i64_e64 s[12:13], s[16:17], v[4:5]
	s_and_saveexec_b64 s[16:17], s[12:13]
	s_cbranch_execz .LBB80_177
; %bb.176:
	v_add_u32_e32 v2, s15, v4
	global_load_ubyte v2, v2, s[18:19]
	v_mov_b32_e32 v3, 0
	ds_read_u8 v3, v3
	s_waitcnt vmcnt(0) lgkmcnt(0)
	v_cmp_eq_u16_e64 s[12:13], v2, v3
	v_cndmask_b32_e64 v7, 0, v4, s[12:13]
.LBB80_177:
	s_or_b64 exec, exec, s[16:17]
	v_cndmask_b32_e64 v2, 0, v6, s[2:3]
	v_cndmask_b32_e64 v3, 0, v7, s[6:7]
	v_max_u32_e32 v2, v3, v2
	ds_bpermute_b32 v3, v1, v2
	s_waitcnt lgkmcnt(0)
	s_barrier
	v_max_u32_e32 v2, v3, v2
	ds_bpermute_b32 v3, v9, v2
	s_waitcnt lgkmcnt(0)
	v_max_u32_e32 v2, v3, v2
	ds_bpermute_b32 v3, v10, v2
	s_waitcnt lgkmcnt(0)
	;; [unrolled: 3-line block ×4, first 2 shown]
	v_max_u32_e32 v2, v3, v2
	ds_bpermute_b32 v3, v13, v2
	s_and_saveexec_b64 s[2:3], s[8:9]
	s_cbranch_execz .LBB80_179
; %bb.178:
	v_lshrrev_b32_e32 v0, 4, v0
	v_add_u32_e32 v0, 1, v0
	s_waitcnt lgkmcnt(0)
	v_max_u32_e32 v2, v3, v2
	ds_write_b32 v0, v2
.LBB80_179:
	s_or_b64 exec, exec, s[2:3]
	v_mov_b32_e32 v0, 0
	s_waitcnt lgkmcnt(0)
	s_barrier
	s_and_saveexec_b64 s[2:3], s[10:11]
	s_cbranch_execnz .LBB80_216
; %bb.180:
	s_or_b64 exec, exec, s[2:3]
	s_and_saveexec_b64 s[2:3], s[0:1]
	s_cbranch_execnz .LBB80_217
.LBB80_181:
	s_or_b64 exec, exec, s[2:3]
	s_and_saveexec_b64 s[0:1], vcc
	s_cbranch_execnz .LBB80_218
.LBB80_182:
	s_endpgm
.LBB80_183:
	ds_read_u8 v8, v1 offset:128
	s_andn2_b64 s[0:1], s[0:1], exec
	s_mov_b32 s6, 1
	s_waitcnt lgkmcnt(0)
	v_and_b32_e32 v8, 1, v8
	v_cmp_eq_u32_e32 vcc, 1, v8
	s_xor_b64 s[8:9], vcc, -1
	s_and_b64 s[8:9], s[8:9], exec
	s_or_b64 s[0:1], s[0:1], s[8:9]
	s_or_b64 exec, exec, s[2:3]
	v_mov_b32_e32 v8, s6
	s_and_saveexec_b64 s[2:3], s[0:1]
	s_cbranch_execz .LBB80_19
.LBB80_184:
	ds_read_u8 v8, v3 offset:129
	s_waitcnt lgkmcnt(0)
	v_xor_b32_e32 v8, 1, v8
	s_or_b64 exec, exec, s[2:3]
	v_cmp_eq_u32_e32 vcc, v8, v5
	s_and_saveexec_b64 s[0:1], vcc
	s_cbranch_execnz .LBB80_20
	s_branch .LBB80_21
.LBB80_185:
	ds_read_u8 v9, v4 offset:128
	s_andn2_b64 s[0:1], s[0:1], exec
	s_waitcnt lgkmcnt(0)
	v_and_b32_e32 v9, 1, v9
	v_cmp_eq_u32_e32 vcc, 1, v9
	s_xor_b64 s[8:9], vcc, -1
	s_and_b64 s[8:9], s[8:9], exec
	s_or_b64 s[0:1], s[0:1], s[8:9]
	s_or_b64 exec, exec, s[2:3]
	v_mov_b32_e32 v9, s6
	s_and_saveexec_b64 s[2:3], s[0:1]
	s_cbranch_execz .LBB80_29
.LBB80_186:
	ds_read_u8 v9, v4 offset:130
	s_waitcnt lgkmcnt(0)
	v_xor_b32_e32 v9, 1, v9
	s_or_b64 exec, exec, s[2:3]
	v_cmp_eq_u32_e32 vcc, v9, v6
	s_and_saveexec_b64 s[0:1], vcc
	s_cbranch_execnz .LBB80_30
	s_branch .LBB80_31
.LBB80_187:
	ds_read_u8 v9, v1 offset:128
	s_andn2_b64 s[0:1], s[0:1], exec
	s_mov_b32 s6, 1
	s_waitcnt lgkmcnt(0)
	v_and_b32_e32 v9, 1, v9
	v_cmp_eq_u32_e32 vcc, 1, v9
	s_xor_b64 s[8:9], vcc, -1
	s_and_b64 s[8:9], s[8:9], exec
	s_or_b64 s[0:1], s[0:1], s[8:9]
	s_or_b64 exec, exec, s[2:3]
	v_mov_b32_e32 v9, s6
	s_and_saveexec_b64 s[2:3], s[0:1]
	s_cbranch_execz .LBB80_33
.LBB80_188:
	ds_read_u8 v9, v3 offset:129
	s_waitcnt lgkmcnt(0)
	v_xor_b32_e32 v9, 1, v9
	s_or_b64 exec, exec, s[2:3]
	v_cmp_eq_u32_e32 vcc, v9, v6
	s_and_saveexec_b64 s[0:1], vcc
	s_cbranch_execnz .LBB80_34
	s_branch .LBB80_35
.LBB80_189:
	ds_read_u8 v10, v5 offset:128
	s_andn2_b64 s[0:1], s[0:1], exec
	s_waitcnt lgkmcnt(0)
	v_and_b32_e32 v10, 1, v10
	v_cmp_eq_u32_e32 vcc, 1, v10
	s_xor_b64 s[8:9], vcc, -1
	s_and_b64 s[8:9], s[8:9], exec
	s_or_b64 s[0:1], s[0:1], s[8:9]
	s_or_b64 exec, exec, s[2:3]
	v_mov_b32_e32 v10, s6
	s_and_saveexec_b64 s[2:3], s[0:1]
	s_cbranch_execz .LBB80_43
.LBB80_190:
	ds_read_u8 v10, v5 offset:132
	s_waitcnt lgkmcnt(0)
	v_xor_b32_e32 v10, 1, v10
	s_or_b64 exec, exec, s[2:3]
	v_cmp_eq_u32_e32 vcc, v10, v7
	s_and_saveexec_b64 s[0:1], vcc
	s_cbranch_execnz .LBB80_44
	s_branch .LBB80_45
.LBB80_191:
	ds_read_u8 v10, v4 offset:128
	s_andn2_b64 s[0:1], s[0:1], exec
	s_waitcnt lgkmcnt(0)
	v_and_b32_e32 v10, 1, v10
	v_cmp_eq_u32_e32 vcc, 1, v10
	s_xor_b64 s[8:9], vcc, -1
	s_and_b64 s[8:9], s[8:9], exec
	s_or_b64 s[0:1], s[0:1], s[8:9]
	s_or_b64 exec, exec, s[2:3]
	v_mov_b32_e32 v10, s6
	s_and_saveexec_b64 s[2:3], s[0:1]
	s_cbranch_execz .LBB80_47
.LBB80_192:
	ds_read_u8 v10, v4 offset:130
	s_waitcnt lgkmcnt(0)
	v_xor_b32_e32 v10, 1, v10
	s_or_b64 exec, exec, s[2:3]
	v_cmp_eq_u32_e32 vcc, v10, v7
	s_and_saveexec_b64 s[0:1], vcc
	s_cbranch_execnz .LBB80_48
	s_branch .LBB80_49
.LBB80_193:
	ds_read_u8 v10, v1 offset:128
	s_andn2_b64 s[0:1], s[0:1], exec
	s_mov_b32 s6, 1
	s_waitcnt lgkmcnt(0)
	v_and_b32_e32 v10, 1, v10
	v_cmp_eq_u32_e32 vcc, 1, v10
	s_xor_b64 s[8:9], vcc, -1
	s_and_b64 s[8:9], s[8:9], exec
	s_or_b64 s[0:1], s[0:1], s[8:9]
	s_or_b64 exec, exec, s[2:3]
	v_mov_b32_e32 v10, s6
	s_and_saveexec_b64 s[2:3], s[0:1]
	s_cbranch_execz .LBB80_51
.LBB80_194:
	ds_read_u8 v10, v3 offset:129
	s_waitcnt lgkmcnt(0)
	v_xor_b32_e32 v10, 1, v10
	s_or_b64 exec, exec, s[2:3]
	v_cmp_eq_u32_e32 vcc, v10, v7
	s_and_saveexec_b64 s[0:1], vcc
	s_cbranch_execnz .LBB80_52
	s_branch .LBB80_53
.LBB80_195:
	ds_read_u8 v11, v6 offset:128
	s_andn2_b64 s[0:1], s[0:1], exec
	s_waitcnt lgkmcnt(0)
	v_and_b32_e32 v11, 1, v11
	v_cmp_eq_u32_e32 vcc, 1, v11
	s_xor_b64 s[8:9], vcc, -1
	s_and_b64 s[8:9], s[8:9], exec
	s_or_b64 s[0:1], s[0:1], s[8:9]
	s_or_b64 exec, exec, s[2:3]
	v_mov_b32_e32 v11, s6
	s_and_saveexec_b64 s[2:3], s[0:1]
	s_cbranch_execz .LBB80_61
.LBB80_196:
	ds_read_u8 v11, v6 offset:136
	s_waitcnt lgkmcnt(0)
	v_xor_b32_e32 v11, 1, v11
	s_or_b64 exec, exec, s[2:3]
	v_cmp_eq_u32_e32 vcc, v11, v8
	s_and_saveexec_b64 s[0:1], vcc
	s_cbranch_execnz .LBB80_62
	s_branch .LBB80_63
.LBB80_197:
	ds_read_u8 v11, v5 offset:128
	s_andn2_b64 s[0:1], s[0:1], exec
	s_waitcnt lgkmcnt(0)
	v_and_b32_e32 v11, 1, v11
	v_cmp_eq_u32_e32 vcc, 1, v11
	s_xor_b64 s[8:9], vcc, -1
	s_and_b64 s[8:9], s[8:9], exec
	s_or_b64 s[0:1], s[0:1], s[8:9]
	s_or_b64 exec, exec, s[2:3]
	v_mov_b32_e32 v11, s6
	s_and_saveexec_b64 s[2:3], s[0:1]
	s_cbranch_execz .LBB80_65
.LBB80_198:
	ds_read_u8 v11, v5 offset:132
	s_waitcnt lgkmcnt(0)
	v_xor_b32_e32 v11, 1, v11
	s_or_b64 exec, exec, s[2:3]
	v_cmp_eq_u32_e32 vcc, v11, v8
	s_and_saveexec_b64 s[0:1], vcc
	s_cbranch_execnz .LBB80_66
	s_branch .LBB80_67
.LBB80_199:
	ds_read_u8 v11, v4 offset:128
	s_andn2_b64 s[0:1], s[0:1], exec
	s_waitcnt lgkmcnt(0)
	v_and_b32_e32 v11, 1, v11
	v_cmp_eq_u32_e32 vcc, 1, v11
	s_xor_b64 s[8:9], vcc, -1
	s_and_b64 s[8:9], s[8:9], exec
	s_or_b64 s[0:1], s[0:1], s[8:9]
	s_or_b64 exec, exec, s[2:3]
	v_mov_b32_e32 v11, s6
	s_and_saveexec_b64 s[2:3], s[0:1]
	s_cbranch_execz .LBB80_69
.LBB80_200:
	ds_read_u8 v11, v4 offset:130
	s_waitcnt lgkmcnt(0)
	v_xor_b32_e32 v11, 1, v11
	s_or_b64 exec, exec, s[2:3]
	v_cmp_eq_u32_e32 vcc, v11, v8
	s_and_saveexec_b64 s[0:1], vcc
	s_cbranch_execnz .LBB80_70
	s_branch .LBB80_71
.LBB80_201:
	ds_read_u8 v11, v1 offset:128
	s_andn2_b64 s[0:1], s[0:1], exec
	s_mov_b32 s6, 1
	s_waitcnt lgkmcnt(0)
	v_and_b32_e32 v11, 1, v11
	v_cmp_eq_u32_e32 vcc, 1, v11
	s_xor_b64 s[8:9], vcc, -1
	s_and_b64 s[8:9], s[8:9], exec
	s_or_b64 s[0:1], s[0:1], s[8:9]
	s_or_b64 exec, exec, s[2:3]
	v_mov_b32_e32 v11, s6
	s_and_saveexec_b64 s[2:3], s[0:1]
	s_cbranch_execz .LBB80_73
.LBB80_202:
	ds_read_u8 v11, v3 offset:129
	s_waitcnt lgkmcnt(0)
	v_xor_b32_e32 v11, 1, v11
	s_or_b64 exec, exec, s[2:3]
	v_cmp_eq_u32_e32 vcc, v11, v8
	s_and_saveexec_b64 s[0:1], vcc
	s_cbranch_execnz .LBB80_74
	s_branch .LBB80_75
.LBB80_203:
	ds_read_u8 v12, v7 offset:128
	s_andn2_b64 s[0:1], s[0:1], exec
	s_waitcnt lgkmcnt(0)
	v_and_b32_e32 v12, 1, v12
	v_cmp_eq_u32_e32 vcc, 1, v12
	s_xor_b64 s[8:9], vcc, -1
	s_and_b64 s[8:9], s[8:9], exec
	s_or_b64 s[0:1], s[0:1], s[8:9]
	s_or_b64 exec, exec, s[2:3]
	v_mov_b32_e32 v12, s6
	s_and_saveexec_b64 s[2:3], s[0:1]
	s_cbranch_execz .LBB80_83
.LBB80_204:
	ds_read_u8 v12, v7 offset:144
	s_waitcnt lgkmcnt(0)
	v_xor_b32_e32 v12, 1, v12
	s_or_b64 exec, exec, s[2:3]
	v_cmp_eq_u32_e32 vcc, v12, v8
	s_and_saveexec_b64 s[0:1], vcc
	s_cbranch_execnz .LBB80_84
	s_branch .LBB80_85
.LBB80_205:
	ds_read_u8 v12, v6 offset:128
	s_andn2_b64 s[0:1], s[0:1], exec
	s_waitcnt lgkmcnt(0)
	v_and_b32_e32 v12, 1, v12
	v_cmp_eq_u32_e32 vcc, 1, v12
	s_xor_b64 s[8:9], vcc, -1
	s_and_b64 s[8:9], s[8:9], exec
	s_or_b64 s[0:1], s[0:1], s[8:9]
	s_or_b64 exec, exec, s[2:3]
	v_mov_b32_e32 v12, s6
	s_and_saveexec_b64 s[2:3], s[0:1]
	s_cbranch_execz .LBB80_87
.LBB80_206:
	ds_read_u8 v12, v6 offset:136
	s_waitcnt lgkmcnt(0)
	v_xor_b32_e32 v12, 1, v12
	s_or_b64 exec, exec, s[2:3]
	v_cmp_eq_u32_e32 vcc, v12, v8
	s_and_saveexec_b64 s[0:1], vcc
	s_cbranch_execnz .LBB80_88
	s_branch .LBB80_89
.LBB80_207:
	ds_read_u8 v12, v5 offset:128
	s_andn2_b64 s[0:1], s[0:1], exec
	s_waitcnt lgkmcnt(0)
	v_and_b32_e32 v12, 1, v12
	v_cmp_eq_u32_e32 vcc, 1, v12
	s_xor_b64 s[8:9], vcc, -1
	s_and_b64 s[8:9], s[8:9], exec
	s_or_b64 s[0:1], s[0:1], s[8:9]
	s_or_b64 exec, exec, s[2:3]
	v_mov_b32_e32 v12, s6
	s_and_saveexec_b64 s[2:3], s[0:1]
	s_cbranch_execz .LBB80_91
.LBB80_208:
	ds_read_u8 v12, v5 offset:132
	s_waitcnt lgkmcnt(0)
	v_xor_b32_e32 v12, 1, v12
	s_or_b64 exec, exec, s[2:3]
	v_cmp_eq_u32_e32 vcc, v12, v8
	s_and_saveexec_b64 s[0:1], vcc
	s_cbranch_execnz .LBB80_92
	s_branch .LBB80_93
.LBB80_209:
	ds_read_u8 v12, v4 offset:128
	s_andn2_b64 s[0:1], s[0:1], exec
	s_waitcnt lgkmcnt(0)
	v_and_b32_e32 v12, 1, v12
	v_cmp_eq_u32_e32 vcc, 1, v12
	s_xor_b64 s[8:9], vcc, -1
	s_and_b64 s[8:9], s[8:9], exec
	s_or_b64 s[0:1], s[0:1], s[8:9]
	s_or_b64 exec, exec, s[2:3]
	v_mov_b32_e32 v12, s6
	s_and_saveexec_b64 s[2:3], s[0:1]
	s_cbranch_execz .LBB80_95
.LBB80_210:
	ds_read_u8 v12, v4 offset:130
	s_waitcnt lgkmcnt(0)
	v_xor_b32_e32 v12, 1, v12
	s_or_b64 exec, exec, s[2:3]
	v_cmp_eq_u32_e32 vcc, v12, v8
	s_and_saveexec_b64 s[0:1], vcc
	s_cbranch_execnz .LBB80_96
	s_branch .LBB80_97
.LBB80_211:
	ds_read_u8 v12, v1 offset:128
	s_andn2_b64 s[0:1], s[0:1], exec
	s_mov_b32 s6, 1
	s_waitcnt lgkmcnt(0)
	v_and_b32_e32 v12, 1, v12
	v_cmp_eq_u32_e32 vcc, 1, v12
	s_xor_b64 s[8:9], vcc, -1
	s_and_b64 s[8:9], s[8:9], exec
	s_or_b64 s[0:1], s[0:1], s[8:9]
	s_or_b64 exec, exec, s[2:3]
	v_mov_b32_e32 v12, s6
	s_and_saveexec_b64 s[2:3], s[0:1]
	s_cbranch_execz .LBB80_99
.LBB80_212:
	ds_read_u8 v12, v3 offset:129
	s_waitcnt lgkmcnt(0)
	v_xor_b32_e32 v12, 1, v12
	s_or_b64 exec, exec, s[2:3]
	v_cmp_eq_u32_e32 vcc, v12, v8
	s_and_saveexec_b64 s[0:1], vcc
	s_cbranch_execnz .LBB80_100
	s_branch .LBB80_101
.LBB80_213:
	ds_read_b32 v5, v14 offset:128
	s_or_b64 exec, exec, s[12:13]
	s_and_saveexec_b64 s[12:13], s[10:11]
	s_cbranch_execz .LBB80_170
.LBB80_214:
	ds_read_b32 v3, v14 offset:132
	s_or_b64 exec, exec, s[12:13]
	s_and_saveexec_b64 s[20:21], s[0:1]
	s_cbranch_execz .LBB80_171
.LBB80_215:
	s_waitcnt lgkmcnt(0)
	ds_bpermute_b32 v6, v1, v5
	ds_bpermute_b32 v7, v1, v3
	s_waitcnt lgkmcnt(1)
	v_max_u32_e32 v15, v6, v5
	v_cmp_gt_u32_e64 s[12:13], v6, v5
	ds_bpermute_b32 v16, v9, v15
	s_waitcnt lgkmcnt(1)
	v_cndmask_b32_e64 v3, v3, v7, s[12:13]
	ds_bpermute_b32 v5, v9, v3
	s_waitcnt lgkmcnt(1)
	v_max_u32_e32 v6, v16, v15
	v_cmp_gt_u32_e64 s[12:13], v16, v15
	ds_bpermute_b32 v7, v10, v6
	s_waitcnt lgkmcnt(1)
	v_cndmask_b32_e64 v3, v3, v5, s[12:13]
	;; [unrolled: 7-line block ×4, first 2 shown]
	ds_bpermute_b32 v5, v12, v3
	s_waitcnt lgkmcnt(1)
	v_max_u32_e32 v15, v7, v6
	v_cmp_gt_u32_e64 s[12:13], v7, v6
	s_waitcnt lgkmcnt(0)
	v_cndmask_b32_e64 v3, v3, v5, s[12:13]
	ds_bpermute_b32 v5, v13, v15
	ds_bpermute_b32 v6, v13, v3
	s_waitcnt lgkmcnt(1)
	v_cmp_gt_u32_e64 s[12:13], v5, v15
	s_waitcnt lgkmcnt(0)
	v_cndmask_b32_e64 v3, v3, v6, s[12:13]
	s_or_b64 exec, exec, s[20:21]
	s_and_saveexec_b64 s[12:13], vcc
	s_cbranch_execnz .LBB80_172
	s_branch .LBB80_173
.LBB80_216:
	v_lshlrev_b32_e32 v0, 2, v8
	v_sub_u32_e32 v0, v14, v0
	ds_read_b32 v0, v0
	s_or_b64 exec, exec, s[2:3]
	s_and_saveexec_b64 s[2:3], s[0:1]
	s_cbranch_execz .LBB80_181
.LBB80_217:
	s_waitcnt lgkmcnt(0)
	ds_bpermute_b32 v1, v1, v0
	s_waitcnt lgkmcnt(0)
	v_max_u32_e32 v0, v1, v0
	ds_bpermute_b32 v1, v9, v0
	s_waitcnt lgkmcnt(0)
	v_max_u32_e32 v0, v1, v0
	;; [unrolled: 3-line block ×6, first 2 shown]
	s_or_b64 exec, exec, s[2:3]
	s_and_saveexec_b64 s[0:1], vcc
	s_cbranch_execz .LBB80_182
.LBB80_218:
	s_load_dword s6, s[4:5], 0xd8
	s_load_dwordx2 s[0:1], s[4:5], 0xe0
	s_add_u32 s2, s4, 8
	s_addc_u32 s3, s5, 0
	s_mov_b32 s5, 0
	s_waitcnt lgkmcnt(0)
	s_cmp_lt_i32 s6, 2
	s_cbranch_scc1 .LBB80_221
; %bb.219:
	s_add_i32 s4, s6, -1
	s_add_i32 s8, s6, 1
	s_lshl_b64 s[6:7], s[4:5], 2
	s_add_u32 s4, s6, s2
	s_addc_u32 s7, s7, s3
	s_add_u32 s6, s4, 8
	s_addc_u32 s7, s7, 0
.LBB80_220:                             ; =>This Inner Loop Header: Depth=1
	s_load_dword s4, s[6:7], 0x0
	s_load_dword s10, s[6:7], 0x64
	s_mov_b32 s9, s14
	s_waitcnt lgkmcnt(0)
	v_cvt_f32_u32_e32 v1, s4
	s_sub_i32 s11, 0, s4
	v_rcp_iflag_f32_e32 v1, v1
	v_mul_f32_e32 v1, 0x4f7ffffe, v1
	v_cvt_u32_f32_e32 v1, v1
	v_readfirstlane_b32 s12, v1
	s_mul_i32 s11, s11, s12
	s_mul_hi_u32 s11, s12, s11
	s_add_i32 s12, s12, s11
	s_mul_hi_u32 s11, s14, s12
	s_mul_i32 s12, s11, s4
	s_sub_i32 s12, s14, s12
	s_add_i32 s13, s11, 1
	s_sub_i32 s14, s12, s4
	s_cmp_ge_u32 s12, s4
	s_cselect_b32 s11, s13, s11
	s_cselect_b32 s12, s14, s12
	s_add_i32 s13, s11, 1
	s_cmp_ge_u32 s12, s4
	s_cselect_b32 s14, s13, s11
	s_mul_i32 s4, s14, s4
	s_sub_i32 s4, s9, s4
	s_mul_i32 s4, s10, s4
	s_add_i32 s8, s8, -1
	s_add_i32 s5, s4, s5
	s_add_u32 s6, s6, -4
	s_addc_u32 s7, s7, -1
	s_cmp_gt_u32 s8, 2
	s_cbranch_scc1 .LBB80_220
.LBB80_221:
	s_load_dword s4, s[2:3], 0x6c
	v_mov_b32_e32 v1, 0
	s_load_dwordx2 s[2:3], s[2:3], 0x0
	ds_read_u8 v2, v1
	s_mov_b32 s7, 0
	s_waitcnt lgkmcnt(0)
	s_mul_i32 s4, s4, s14
	s_add_i32 s6, s4, s5
	v_mov_b32_e32 v3, s6
	global_store_byte v3, v2, s[2:3]
	s_lshl_b64 s[2:3], s[6:7], 3
	s_add_u32 s0, s0, s2
	s_addc_u32 s1, s1, s3
	global_store_dwordx2 v1, v[0:1], s[0:1]
	s_endpgm
	.section	.rodata,"a",@progbits
	.p2align	6, 0x0
	.amdhsa_kernel _ZN2at6native12compute_modeIaLj128EEEvPKT_NS_4cuda6detail10TensorInfoIS2_jEENS7_IljEEll
		.amdhsa_group_segment_fixed_size 1
		.amdhsa_private_segment_fixed_size 0
		.amdhsa_kernarg_size 712
		.amdhsa_user_sgpr_count 6
		.amdhsa_user_sgpr_private_segment_buffer 1
		.amdhsa_user_sgpr_dispatch_ptr 0
		.amdhsa_user_sgpr_queue_ptr 0
		.amdhsa_user_sgpr_kernarg_segment_ptr 1
		.amdhsa_user_sgpr_dispatch_id 0
		.amdhsa_user_sgpr_flat_scratch_init 0
		.amdhsa_user_sgpr_kernarg_preload_length 0
		.amdhsa_user_sgpr_kernarg_preload_offset 0
		.amdhsa_user_sgpr_private_segment_size 0
		.amdhsa_uses_dynamic_stack 0
		.amdhsa_system_sgpr_private_segment_wavefront_offset 0
		.amdhsa_system_sgpr_workgroup_id_x 1
		.amdhsa_system_sgpr_workgroup_id_y 1
		.amdhsa_system_sgpr_workgroup_id_z 1
		.amdhsa_system_sgpr_workgroup_info 0
		.amdhsa_system_vgpr_workitem_id 0
		.amdhsa_next_free_vgpr 19
		.amdhsa_next_free_sgpr 22
		.amdhsa_accum_offset 20
		.amdhsa_reserve_vcc 1
		.amdhsa_reserve_flat_scratch 0
		.amdhsa_float_round_mode_32 0
		.amdhsa_float_round_mode_16_64 0
		.amdhsa_float_denorm_mode_32 3
		.amdhsa_float_denorm_mode_16_64 3
		.amdhsa_dx10_clamp 1
		.amdhsa_ieee_mode 1
		.amdhsa_fp16_overflow 0
		.amdhsa_tg_split 0
		.amdhsa_exception_fp_ieee_invalid_op 0
		.amdhsa_exception_fp_denorm_src 0
		.amdhsa_exception_fp_ieee_div_zero 0
		.amdhsa_exception_fp_ieee_overflow 0
		.amdhsa_exception_fp_ieee_underflow 0
		.amdhsa_exception_fp_ieee_inexact 0
		.amdhsa_exception_int_div_zero 0
	.end_amdhsa_kernel
	.section	.text._ZN2at6native12compute_modeIaLj128EEEvPKT_NS_4cuda6detail10TensorInfoIS2_jEENS7_IljEEll,"axG",@progbits,_ZN2at6native12compute_modeIaLj128EEEvPKT_NS_4cuda6detail10TensorInfoIS2_jEENS7_IljEEll,comdat
.Lfunc_end80:
	.size	_ZN2at6native12compute_modeIaLj128EEEvPKT_NS_4cuda6detail10TensorInfoIS2_jEENS7_IljEEll, .Lfunc_end80-_ZN2at6native12compute_modeIaLj128EEEvPKT_NS_4cuda6detail10TensorInfoIS2_jEENS7_IljEEll
                                        ; -- End function
	.section	.AMDGPU.csdata,"",@progbits
; Kernel info:
; codeLenInByte = 9844
; NumSgprs: 26
; NumVgprs: 19
; NumAgprs: 0
; TotalNumVgprs: 19
; ScratchSize: 0
; MemoryBound: 0
; FloatMode: 240
; IeeeMode: 1
; LDSByteSize: 1 bytes/workgroup (compile time only)
; SGPRBlocks: 3
; VGPRBlocks: 2
; NumSGPRsForWavesPerEU: 26
; NumVGPRsForWavesPerEU: 19
; AccumOffset: 20
; Occupancy: 8
; WaveLimiterHint : 1
; COMPUTE_PGM_RSRC2:SCRATCH_EN: 0
; COMPUTE_PGM_RSRC2:USER_SGPR: 6
; COMPUTE_PGM_RSRC2:TRAP_HANDLER: 0
; COMPUTE_PGM_RSRC2:TGID_X_EN: 1
; COMPUTE_PGM_RSRC2:TGID_Y_EN: 1
; COMPUTE_PGM_RSRC2:TGID_Z_EN: 1
; COMPUTE_PGM_RSRC2:TIDIG_COMP_CNT: 0
; COMPUTE_PGM_RSRC3_GFX90A:ACCUM_OFFSET: 4
; COMPUTE_PGM_RSRC3_GFX90A:TG_SPLIT: 0
	.section	.text._ZN2at6native12compute_modeIiLj2048EEEvPKT_NS_4cuda6detail10TensorInfoIS2_jEENS7_IljEEll,"axG",@progbits,_ZN2at6native12compute_modeIiLj2048EEEvPKT_NS_4cuda6detail10TensorInfoIS2_jEENS7_IljEEll,comdat
	.protected	_ZN2at6native12compute_modeIiLj2048EEEvPKT_NS_4cuda6detail10TensorInfoIS2_jEENS7_IljEEll ; -- Begin function _ZN2at6native12compute_modeIiLj2048EEEvPKT_NS_4cuda6detail10TensorInfoIS2_jEENS7_IljEEll
	.globl	_ZN2at6native12compute_modeIiLj2048EEEvPKT_NS_4cuda6detail10TensorInfoIS2_jEENS7_IljEEll
	.p2align	8
	.type	_ZN2at6native12compute_modeIiLj2048EEEvPKT_NS_4cuda6detail10TensorInfoIS2_jEENS7_IljEEll,@function
_ZN2at6native12compute_modeIiLj2048EEEvPKT_NS_4cuda6detail10TensorInfoIS2_jEENS7_IljEEll: ; @_ZN2at6native12compute_modeIiLj2048EEEvPKT_NS_4cuda6detail10TensorInfoIS2_jEENS7_IljEEll
; %bb.0:
	s_load_dwordx4 s[16:19], s[4:5], 0x1b8
	s_load_dwordx2 s[2:3], s[4:5], 0x1c8
	s_add_u32 s0, s4, 0x1c8
	s_addc_u32 s1, s5, 0
	s_waitcnt lgkmcnt(0)
	v_mov_b32_e32 v2, s18
	s_mul_i32 s3, s3, s8
	s_add_i32 s3, s3, s7
	s_mul_i32 s2, s3, s2
	v_mov_b32_e32 v3, s19
	s_add_i32 s18, s2, s6
	s_mov_b32 s19, 0
	v_cmp_ge_i64_e32 vcc, s[18:19], v[2:3]
	s_cbranch_vccnz .LBB81_134
; %bb.1:
	s_load_dwordx2 s[20:21], s[4:5], 0x0
	s_load_dword s6, s[0:1], 0xc
	v_mov_b32_e32 v3, 0
	v_mov_b32_e32 v1, v3
	s_mul_i32 s19, s18, s16
	v_cmp_gt_i64_e32 vcc, s[16:17], v[0:1]
	s_and_saveexec_b64 s[2:3], vcc
	s_cbranch_execz .LBB81_3
; %bb.2:
	v_add_u32_e32 v2, s19, v0
	v_lshlrev_b64 v[4:5], 2, v[2:3]
	s_waitcnt lgkmcnt(0)
	v_mov_b32_e32 v1, s21
	v_add_co_u32_e64 v4, s[0:1], s20, v4
	v_addc_co_u32_e64 v5, s[0:1], v1, v5, s[0:1]
	global_load_dword v1, v[4:5], off
	v_lshl_add_u32 v2, v0, 2, 4
	s_waitcnt vmcnt(0)
	ds_write_b32 v2, v1
.LBB81_3:
	s_or_b64 exec, exec, s[2:3]
	s_load_dwordx2 s[14:15], s[4:5], 0xe0
	s_waitcnt lgkmcnt(0)
	s_and_b32 s22, 0xffff, s6
	v_add_u32_e32 v2, s22, v0
	v_cmp_gt_i64_e64 s[0:1], s[16:17], v[2:3]
	s_and_saveexec_b64 s[6:7], s[0:1]
	s_cbranch_execz .LBB81_5
; %bb.4:
	v_add_u32_e32 v4, s19, v2
	v_mov_b32_e32 v5, 0
	v_lshlrev_b64 v[4:5], 2, v[4:5]
	v_mov_b32_e32 v1, s21
	v_add_co_u32_e64 v4, s[2:3], s20, v4
	v_addc_co_u32_e64 v5, s[2:3], v1, v5, s[2:3]
	global_load_dword v1, v[4:5], off
	v_lshl_add_u32 v2, v2, 2, 4
	s_waitcnt vmcnt(0)
	ds_write_b32 v2, v1
.LBB81_5:
	s_or_b64 exec, exec, s[6:7]
	v_add_u32_e32 v1, 4, v0
	v_cndmask_b32_e64 v2, 0, 1, vcc
	ds_write_b8 v1, v2 offset:8192
	v_add_u32_e32 v2, s22, v1
	v_cndmask_b32_e64 v3, 0, 1, s[0:1]
	ds_write_b8 v2, v3 offset:8192
	v_lshlrev_b32_e32 v2, 1, v0
	s_mov_b32 s6, 2
	s_waitcnt lgkmcnt(0)
	s_barrier
	s_branch .LBB81_7
.LBB81_6:                               ;   in Loop: Header=BB81_7 Depth=1
	s_lshl_b32 s0, s6, 2
	s_cmpk_gt_u32 s6, 0x1ff
	s_mov_b32 s6, s0
	s_cbranch_scc1 .LBB81_23
.LBB81_7:                               ; =>This Loop Header: Depth=1
                                        ;     Child Loop BB81_9 Depth 2
                                        ;     Child Loop BB81_17 Depth 2
	s_lshr_b32 s7, s6, 1
	v_and_b32_e32 v3, s7, v0
	v_cmp_ne_u32_e32 vcc, 0, v3
	v_cndmask_b32_e64 v3, 0, 1, vcc
	s_branch .LBB81_9
.LBB81_8:                               ;   in Loop: Header=BB81_9 Depth=2
	s_or_b64 exec, exec, s[0:1]
	s_lshr_b32 s0, s7, 1
	s_cmp_lt_u32 s7, 2
	s_mov_b32 s7, s0
	s_cbranch_scc1 .LBB81_15
.LBB81_9:                               ;   Parent Loop BB81_7 Depth=1
                                        ; =>  This Inner Loop Header: Depth=2
	s_add_i32 s0, s7, -1
	v_and_b32_e32 v4, s0, v0
	v_sub_u32_e32 v7, v2, v4
	v_lshl_add_u32 v4, v7, 2, 4
	s_barrier
	v_lshl_add_u32 v5, s7, 2, v4
	ds_read_b32 v6, v4
	ds_read_b32 v8, v5
	v_add_u32_e32 v7, 4, v7
                                        ; implicit-def: $sgpr8
	s_waitcnt lgkmcnt(0)
	v_cmp_ge_i32_e64 s[0:1], v6, v8
	v_cmp_lt_i32_e32 vcc, v6, v8
	s_and_saveexec_b64 s[2:3], vcc
	s_cbranch_execz .LBB81_11
; %bb.10:                               ;   in Loop: Header=BB81_9 Depth=2
	ds_read_u8 v9, v7 offset:8192
	s_andn2_b64 s[0:1], s[0:1], exec
	s_mov_b32 s8, 1
	s_waitcnt lgkmcnt(0)
	v_and_b32_e32 v9, 1, v9
	v_cmp_eq_u32_e32 vcc, 1, v9
	s_xor_b64 s[10:11], vcc, -1
	s_and_b64 s[10:11], s[10:11], exec
	s_or_b64 s[0:1], s[0:1], s[10:11]
.LBB81_11:                              ;   in Loop: Header=BB81_9 Depth=2
	s_or_b64 exec, exec, s[2:3]
	v_mov_b32_e32 v10, s8
	v_add_u32_e32 v9, s7, v7
	s_and_saveexec_b64 s[2:3], s[0:1]
	s_cbranch_execz .LBB81_13
; %bb.12:                               ;   in Loop: Header=BB81_9 Depth=2
	ds_read_u8 v10, v9 offset:8192
	s_waitcnt lgkmcnt(0)
	v_xor_b32_e32 v10, 1, v10
.LBB81_13:                              ;   in Loop: Header=BB81_9 Depth=2
	s_or_b64 exec, exec, s[2:3]
	v_cmp_eq_u32_e32 vcc, v10, v3
	s_and_saveexec_b64 s[0:1], vcc
	s_cbranch_execz .LBB81_8
; %bb.14:                               ;   in Loop: Header=BB81_9 Depth=2
	ds_read_u8 v10, v9 offset:8192
	ds_read_u8 v11, v7 offset:8192
	ds_write_b32 v4, v8
	ds_write_b32 v5, v6
	s_waitcnt lgkmcnt(3)
	ds_write_b8 v7, v10 offset:8192
	s_waitcnt lgkmcnt(3)
	ds_write_b8 v9, v11 offset:8192
	s_branch .LBB81_8
.LBB81_15:                              ;   in Loop: Header=BB81_7 Depth=1
	v_and_b32_e32 v3, s6, v0
	v_cmp_ne_u32_e32 vcc, 0, v3
	v_cndmask_b32_e64 v3, 0, 1, vcc
	s_mov_b32 s7, s6
	s_branch .LBB81_17
.LBB81_16:                              ;   in Loop: Header=BB81_17 Depth=2
	s_or_b64 exec, exec, s[0:1]
	s_lshr_b32 s0, s7, 1
	s_cmp_gt_u32 s7, 1
	s_mov_b32 s7, s0
	s_cbranch_scc0 .LBB81_6
.LBB81_17:                              ;   Parent Loop BB81_7 Depth=1
                                        ; =>  This Inner Loop Header: Depth=2
	s_add_i32 s0, s7, -1
	v_and_b32_e32 v4, s0, v0
	v_sub_u32_e32 v7, v2, v4
	v_lshl_add_u32 v4, v7, 2, 4
	s_waitcnt lgkmcnt(0)
	s_barrier
	v_lshl_add_u32 v5, s7, 2, v4
	ds_read_b32 v6, v4
	ds_read_b32 v8, v5
	v_add_u32_e32 v7, 4, v7
                                        ; implicit-def: $sgpr8
	s_waitcnt lgkmcnt(0)
	v_cmp_ge_i32_e64 s[0:1], v6, v8
	v_cmp_lt_i32_e32 vcc, v6, v8
	s_and_saveexec_b64 s[2:3], vcc
	s_cbranch_execz .LBB81_19
; %bb.18:                               ;   in Loop: Header=BB81_17 Depth=2
	ds_read_u8 v9, v7 offset:8192
	s_andn2_b64 s[0:1], s[0:1], exec
	s_mov_b32 s8, 1
	s_waitcnt lgkmcnt(0)
	v_and_b32_e32 v9, 1, v9
	v_cmp_eq_u32_e32 vcc, 1, v9
	s_xor_b64 s[10:11], vcc, -1
	s_and_b64 s[10:11], s[10:11], exec
	s_or_b64 s[0:1], s[0:1], s[10:11]
.LBB81_19:                              ;   in Loop: Header=BB81_17 Depth=2
	s_or_b64 exec, exec, s[2:3]
	v_mov_b32_e32 v10, s8
	v_add_u32_e32 v9, s7, v7
	s_and_saveexec_b64 s[2:3], s[0:1]
	s_cbranch_execz .LBB81_21
; %bb.20:                               ;   in Loop: Header=BB81_17 Depth=2
	ds_read_u8 v10, v9 offset:8192
	s_waitcnt lgkmcnt(0)
	v_xor_b32_e32 v10, 1, v10
.LBB81_21:                              ;   in Loop: Header=BB81_17 Depth=2
	s_or_b64 exec, exec, s[2:3]
	v_cmp_eq_u32_e32 vcc, v10, v3
	s_and_saveexec_b64 s[0:1], vcc
	s_cbranch_execz .LBB81_16
; %bb.22:                               ;   in Loop: Header=BB81_17 Depth=2
	ds_read_u8 v10, v9 offset:8192
	ds_read_u8 v11, v7 offset:8192
	ds_write_b32 v4, v8
	ds_write_b32 v5, v6
	s_waitcnt lgkmcnt(3)
	ds_write_b8 v7, v10 offset:8192
	s_waitcnt lgkmcnt(3)
	ds_write_b8 v9, v11 offset:8192
	s_branch .LBB81_16
.LBB81_23:
	v_mad_u32_u24 v3, v0, 3, v1
	s_waitcnt lgkmcnt(0)
	s_barrier
	ds_read2st64_b32 v[4:5], v3 offset1:16
                                        ; implicit-def: $sgpr6
	s_waitcnt lgkmcnt(0)
	v_cmp_ge_i32_e64 s[0:1], v4, v5
	v_cmp_lt_i32_e32 vcc, v4, v5
	s_and_saveexec_b64 s[2:3], vcc
	s_cbranch_execnz .LBB81_135
; %bb.24:
	s_or_b64 exec, exec, s[2:3]
	v_mov_b32_e32 v3, s6
	s_and_saveexec_b64 s[2:3], s[0:1]
	s_cbranch_execnz .LBB81_136
.LBB81_25:
	s_or_b64 exec, exec, s[2:3]
	v_cmp_eq_u32_e32 vcc, 0, v3
	s_and_saveexec_b64 s[0:1], vcc
	s_cbranch_execz .LBB81_27
.LBB81_26:
	ds_read_u8 v3, v1 offset:9216
	ds_read_u8 v6, v1 offset:8192
	v_mul_u32_u24_e32 v7, 3, v0
	v_add_u32_e32 v7, v1, v7
	ds_write2st64_b32 v7, v5, v4 offset1:16
	s_waitcnt lgkmcnt(2)
	ds_write_b8 v1, v3 offset:8192
	s_waitcnt lgkmcnt(2)
	ds_write_b8 v1, v6 offset:9216
.LBB81_27:
	s_or_b64 exec, exec, s[0:1]
	v_and_b32_e32 v1, 0x1ff, v0
	v_sub_u32_e32 v3, v2, v1
	v_add_u32_e32 v1, 4, v3
	v_lshl_add_u32 v4, v3, 2, 4
	v_mad_i32_i24 v6, v3, 3, v1
	s_waitcnt lgkmcnt(0)
	s_barrier
	ds_read_b32 v5, v4
	ds_read_b32 v6, v6 offset:2048
                                        ; implicit-def: $sgpr6
	s_waitcnt lgkmcnt(0)
	v_cmp_ge_i32_e64 s[0:1], v5, v6
	v_cmp_lt_i32_e32 vcc, v5, v6
	s_and_saveexec_b64 s[2:3], vcc
	s_cbranch_execnz .LBB81_137
; %bb.28:
	s_or_b64 exec, exec, s[2:3]
	v_mov_b32_e32 v7, s6
	s_and_saveexec_b64 s[2:3], s[0:1]
	s_cbranch_execnz .LBB81_138
.LBB81_29:
	s_or_b64 exec, exec, s[2:3]
	v_cmp_eq_u32_e32 vcc, 0, v7
	s_and_saveexec_b64 s[0:1], vcc
	s_cbranch_execz .LBB81_31
.LBB81_30:
	ds_read_u8 v7, v1 offset:8192
	ds_read_u8 v8, v1 offset:8704
	v_mul_i32_i24_e32 v3, 3, v3
	v_add_u32_e32 v3, v1, v3
	ds_write_b32 v4, v6
	ds_write_b32 v3, v5 offset:2048
	s_waitcnt lgkmcnt(2)
	ds_write_b8 v1, v8 offset:8192
	ds_write_b8 v1, v7 offset:8704
.LBB81_31:
	s_or_b64 exec, exec, s[0:1]
	v_sub_u32_sdwa v3, v2, v0 dst_sel:DWORD dst_unused:UNUSED_PAD src0_sel:DWORD src1_sel:BYTE_0
	v_add_u32_e32 v1, 4, v3
	v_lshl_add_u32 v4, v3, 2, 4
	v_mad_i32_i24 v6, v3, 3, v1
	s_waitcnt lgkmcnt(0)
	s_barrier
	ds_read_b32 v5, v4
	ds_read_b32 v6, v6 offset:1024
                                        ; implicit-def: $sgpr6
	s_waitcnt lgkmcnt(0)
	v_cmp_ge_i32_e64 s[0:1], v5, v6
	v_cmp_lt_i32_e32 vcc, v5, v6
	s_and_saveexec_b64 s[2:3], vcc
	s_cbranch_execnz .LBB81_139
; %bb.32:
	s_or_b64 exec, exec, s[2:3]
	v_mov_b32_e32 v7, s6
	s_and_saveexec_b64 s[2:3], s[0:1]
	s_cbranch_execnz .LBB81_140
.LBB81_33:
	s_or_b64 exec, exec, s[2:3]
	v_cmp_eq_u32_e32 vcc, 0, v7
	s_and_saveexec_b64 s[0:1], vcc
	s_cbranch_execz .LBB81_35
.LBB81_34:
	ds_read_u8 v7, v1 offset:8192
	ds_read_u8 v8, v1 offset:8448
	v_mul_i32_i24_e32 v3, 3, v3
	v_add_u32_e32 v3, v1, v3
	ds_write_b32 v4, v6
	ds_write_b32 v3, v5 offset:1024
	s_waitcnt lgkmcnt(2)
	ds_write_b8 v1, v8 offset:8192
	ds_write_b8 v1, v7 offset:8448
.LBB81_35:
	s_or_b64 exec, exec, s[0:1]
	v_and_b32_e32 v1, 0x7f, v0
	v_sub_u32_e32 v3, v2, v1
	v_add_u32_e32 v1, 4, v3
	v_lshl_add_u32 v4, v3, 2, 4
	v_mad_i32_i24 v6, v3, 3, v1
	s_waitcnt lgkmcnt(0)
	s_barrier
	ds_read_b32 v5, v4
	ds_read_b32 v6, v6 offset:512
                                        ; implicit-def: $sgpr6
	s_waitcnt lgkmcnt(0)
	v_cmp_ge_i32_e64 s[0:1], v5, v6
	v_cmp_lt_i32_e32 vcc, v5, v6
	s_and_saveexec_b64 s[2:3], vcc
	s_cbranch_execnz .LBB81_141
; %bb.36:
	s_or_b64 exec, exec, s[2:3]
	v_mov_b32_e32 v7, s6
	s_and_saveexec_b64 s[2:3], s[0:1]
	s_cbranch_execnz .LBB81_142
.LBB81_37:
	s_or_b64 exec, exec, s[2:3]
	v_cmp_eq_u32_e32 vcc, 0, v7
	s_and_saveexec_b64 s[0:1], vcc
	s_cbranch_execz .LBB81_39
.LBB81_38:
	ds_read_u8 v7, v1 offset:8192
	ds_read_u8 v8, v1 offset:8320
	v_mul_i32_i24_e32 v3, 3, v3
	v_add_u32_e32 v3, v1, v3
	ds_write_b32 v4, v6
	ds_write_b32 v3, v5 offset:512
	s_waitcnt lgkmcnt(2)
	ds_write_b8 v1, v8 offset:8192
	ds_write_b8 v1, v7 offset:8320
.LBB81_39:
	s_or_b64 exec, exec, s[0:1]
	v_and_b32_e32 v1, 63, v0
	v_sub_u32_e32 v6, v2, v1
	v_add_u32_e32 v3, 4, v6
	v_lshl_add_u32 v4, v6, 2, 4
	v_mad_i32_i24 v7, v6, 3, v3
	s_waitcnt lgkmcnt(0)
	s_barrier
	ds_read_b32 v5, v4
	ds_read_b32 v7, v7 offset:256
	s_waitcnt lgkmcnt(0)
	v_cmp_ge_i32_e64 s[2:3], v5, v7
	v_cmp_lt_i32_e32 vcc, v5, v7
	s_and_saveexec_b64 s[0:1], vcc
	s_cbranch_execz .LBB81_41
; %bb.40:
	ds_read_u8 v8, v3 offset:8192
	s_andn2_b64 s[2:3], s[2:3], exec
	s_waitcnt lgkmcnt(0)
	v_and_b32_e32 v8, 1, v8
	v_cmp_eq_u32_e32 vcc, 1, v8
	s_xor_b64 s[6:7], vcc, -1
	s_and_b64 s[6:7], s[6:7], exec
	s_or_b64 s[2:3], s[2:3], s[6:7]
.LBB81_41:
	s_or_b64 exec, exec, s[0:1]
	s_and_saveexec_b64 s[0:1], s[2:3]
	s_cbranch_execz .LBB81_44
; %bb.42:
	ds_read_u8 v8, v3 offset:8256
	s_waitcnt lgkmcnt(0)
	v_cmp_ne_u16_e32 vcc, 0, v8
	s_and_b64 exec, exec, vcc
	s_cbranch_execz .LBB81_44
; %bb.43:
	ds_read_u8 v9, v3 offset:8192
	v_mul_i32_i24_e32 v6, 3, v6
	ds_write_b32 v4, v7
	v_add_u32_e32 v4, v3, v6
	ds_write_b32 v4, v5 offset:256
	ds_write_b8 v3, v8 offset:8192
	s_waitcnt lgkmcnt(3)
	ds_write_b8 v3, v9 offset:8256
.LBB81_44:
	s_or_b64 exec, exec, s[0:1]
	v_and_b32_e32 v3, 31, v0
	v_sub_u32_e32 v6, v2, v3
	v_add_u32_e32 v3, 4, v6
	v_lshl_add_u32 v4, v6, 2, 4
	v_mad_i32_i24 v7, v6, 3, v3
	s_waitcnt lgkmcnt(0)
	s_barrier
	ds_read_b32 v5, v4
	ds_read_b32 v7, v7 offset:128
	s_waitcnt lgkmcnt(0)
	v_cmp_ge_i32_e64 s[2:3], v5, v7
	v_cmp_lt_i32_e32 vcc, v5, v7
	s_and_saveexec_b64 s[0:1], vcc
	s_cbranch_execz .LBB81_46
; %bb.45:
	ds_read_u8 v8, v3 offset:8192
	s_andn2_b64 s[2:3], s[2:3], exec
	s_waitcnt lgkmcnt(0)
	v_and_b32_e32 v8, 1, v8
	v_cmp_eq_u32_e32 vcc, 1, v8
	s_xor_b64 s[6:7], vcc, -1
	s_and_b64 s[6:7], s[6:7], exec
	s_or_b64 s[2:3], s[2:3], s[6:7]
.LBB81_46:
	s_or_b64 exec, exec, s[0:1]
	s_and_saveexec_b64 s[0:1], s[2:3]
	s_cbranch_execz .LBB81_49
; %bb.47:
	ds_read_u8 v8, v3 offset:8224
	s_waitcnt lgkmcnt(0)
	v_cmp_ne_u16_e32 vcc, 0, v8
	s_and_b64 exec, exec, vcc
	s_cbranch_execz .LBB81_49
; %bb.48:
	ds_read_u8 v9, v3 offset:8192
	v_mul_i32_i24_e32 v6, 3, v6
	ds_write_b32 v4, v7
	v_add_u32_e32 v4, v3, v6
	ds_write_b32 v4, v5 offset:128
	ds_write_b8 v3, v8 offset:8192
	s_waitcnt lgkmcnt(3)
	ds_write_b8 v3, v9 offset:8224
.LBB81_49:
	;; [unrolled: 44-line block ×6, first 2 shown]
	s_or_b64 exec, exec, s[0:1]
	v_lshl_add_u32 v7, v2, 2, 4
	s_waitcnt lgkmcnt(0)
	s_barrier
	ds_read2_b32 v[4:5], v7 offset1:1
	v_mad_i32_i24 v6, v0, -6, v7
	s_add_i32 s10, 4, 0x2000
	s_waitcnt lgkmcnt(0)
	v_cmp_ge_i32_e64 s[2:3], v4, v5
	v_cmp_lt_i32_e32 vcc, v4, v5
	s_and_saveexec_b64 s[0:1], vcc
	s_cbranch_execz .LBB81_71
; %bb.70:
	ds_read_u8 v3, v6 offset:8192
	s_andn2_b64 s[2:3], s[2:3], exec
	s_waitcnt lgkmcnt(0)
	v_and_b32_e32 v3, 1, v3
	v_cmp_eq_u32_e32 vcc, 1, v3
	s_xor_b64 s[6:7], vcc, -1
	s_and_b64 s[6:7], s[6:7], exec
	s_or_b64 s[2:3], s[2:3], s[6:7]
.LBB81_71:
	s_or_b64 exec, exec, s[0:1]
	v_add_u32_e32 v8, s10, v2
	s_and_saveexec_b64 s[0:1], s[2:3]
	s_cbranch_execz .LBB81_74
; %bb.72:
	ds_read_u8 v3, v8 offset:1
	s_waitcnt lgkmcnt(0)
	v_cmp_ne_u16_e32 vcc, 0, v3
	s_and_b64 exec, exec, vcc
	s_cbranch_execz .LBB81_74
; %bb.73:
	ds_read_u8 v9, v6 offset:8192
	ds_write2_b32 v7, v5, v4 offset1:1
	ds_write_b8 v6, v3 offset:8192
	s_waitcnt lgkmcnt(2)
	ds_write_b8 v8, v9 offset:1
.LBB81_74:
	s_or_b64 exec, exec, s[0:1]
	v_cmp_eq_u32_e32 vcc, 0, v0
	s_waitcnt lgkmcnt(0)
	s_barrier
	s_barrier
	s_and_saveexec_b64 s[0:1], vcc
	s_cbranch_execz .LBB81_76
; %bb.75:
	v_mov_b32_e32 v3, 4
	v_mov_b32_e32 v4, 1
	ds_write_b8 v3, v4 offset:8196
	v_mov_b32_e32 v4, 0
	ds_write_b32 v3, v4 offset:8192
.LBB81_76:
	s_or_b64 exec, exec, s[0:1]
	ds_read2_b32 v[4:5], v7 offset1:1
	v_mad_u32_u24 v3, v0, 14, v8
	v_mul_u32_u24_e32 v9, 14, v0
	s_waitcnt lgkmcnt(0)
	v_cmp_ne_u32_e64 s[0:1], v4, v5
	v_cndmask_b32_e64 v10, 0, 1, s[0:1]
	v_cmp_eq_u32_e64 s[0:1], v4, v5
	v_cndmask_b32_e64 v4, 0, 1, s[0:1]
	s_movk_i32 s0, 0x3ff
	ds_write_b8 v3, v10 offset:12
	ds_write_b32 v3, v4 offset:8
	v_cmp_ne_u32_e64 s[2:3], s0, v0
	v_mov_b32_e32 v3, 0x800
	s_and_saveexec_b64 s[6:7], s[2:3]
	s_cbranch_execz .LBB81_78
; %bb.77:
	ds_read_b32 v4, v7 offset:8
	v_add_u32_e32 v3, 2, v2
	v_lshl_add_u32 v7, v2, 3, s10
	s_waitcnt lgkmcnt(0)
	v_cmp_ne_u32_e64 s[0:1], v5, v4
	v_cndmask_b32_e64 v10, 0, 1, s[0:1]
	v_cmp_eq_u32_e64 s[0:1], v5, v4
	v_cndmask_b32_e64 v4, 0, 1, s[0:1]
	ds_write_b8 v7, v10 offset:20
	ds_write_b32 v7, v4 offset:16
.LBB81_78:
	s_or_b64 exec, exec, s[6:7]
	v_add_u32_e32 v5, v8, v9
	s_waitcnt lgkmcnt(0)
	s_barrier
	ds_read_u8 v7, v5 offset:12
	v_add_u32_e32 v4, v6, v9
	ds_read_b32 v6, v4 offset:8192
	ds_read_b32 v8, v5 offset:8
	ds_read_u8 v9, v4 offset:8196
	s_waitcnt lgkmcnt(3)
	v_and_b32_e32 v10, 1, v7
	v_cmp_eq_u32_e64 s[0:1], 1, v10
	s_waitcnt lgkmcnt(2)
	v_cndmask_b32_e64 v6, v6, 0, s[0:1]
	s_waitcnt lgkmcnt(0)
	v_or_b32_e32 v7, v9, v7
	v_add_u32_e32 v6, v6, v8
	v_and_b32_e32 v7, 1, v7
	ds_write2_b32 v5, v6, v7 offset0:2 offset1:3
	v_lshlrev_b32_e32 v6, 1, v3
	s_movk_i32 s0, 0x200
	v_add_u32_e32 v7, -1, v6
	v_cmp_gt_u32_e64 s[0:1], s0, v0
	s_waitcnt lgkmcnt(0)
	s_barrier
	s_and_saveexec_b64 s[6:7], s[0:1]
	s_cbranch_execz .LBB81_80
; %bb.79:
	v_lshl_add_u32 v8, v7, 3, 4
	ds_read_b32 v9, v8 offset:8192
	ds_read_u8 v10, v8 offset:8196
	v_lshl_add_u32 v11, v6, 3, 4
	ds_read_b32 v12, v11 offset:8168
	ds_read_u8 v11, v11 offset:8172
	v_add_u32_e32 v8, 0x2000, v8
	s_waitcnt lgkmcnt(2)
	v_and_b32_e32 v13, 1, v10
	v_cmp_eq_u32_e64 s[0:1], 1, v13
	s_waitcnt lgkmcnt(1)
	v_cndmask_b32_e64 v12, v12, 0, s[0:1]
	s_waitcnt lgkmcnt(0)
	v_or_b32_e32 v10, v11, v10
	v_add_u32_e32 v9, v12, v9
	v_and_b32_e32 v10, 1, v10
	ds_write2_b32 v8, v9, v10 offset1:1
.LBB81_80:
	s_or_b64 exec, exec, s[6:7]
	s_movk_i32 s0, 0x100
	v_lshlrev_b32_e32 v8, 2, v3
	v_add_u32_e32 v7, v7, v6
	v_cmp_gt_u32_e64 s[0:1], s0, v0
	s_waitcnt lgkmcnt(0)
	s_barrier
	s_and_saveexec_b64 s[6:7], s[0:1]
	s_cbranch_execz .LBB81_82
; %bb.81:
	v_lshl_add_u32 v9, v7, 3, 4
	ds_read_b32 v10, v9 offset:8192
	ds_read_u8 v11, v9 offset:8196
	v_lshl_add_u32 v12, v8, 3, 4
	ds_read_b32 v13, v12 offset:8152
	ds_read_u8 v12, v12 offset:8156
	v_add_u32_e32 v9, 0x2000, v9
	s_waitcnt lgkmcnt(2)
	v_and_b32_e32 v14, 1, v11
	v_cmp_eq_u32_e64 s[0:1], 1, v14
	s_waitcnt lgkmcnt(1)
	v_cndmask_b32_e64 v13, v13, 0, s[0:1]
	s_waitcnt lgkmcnt(0)
	v_or_b32_e32 v11, v12, v11
	v_add_u32_e32 v10, v13, v10
	v_and_b32_e32 v11, 1, v11
	ds_write2_b32 v9, v10, v11 offset1:1
.LBB81_82:
	s_or_b64 exec, exec, s[6:7]
	s_movk_i32 s0, 0x80
	v_lshlrev_b32_e32 v10, 3, v3
	v_add_u32_e32 v9, v7, v8
	v_cmp_gt_u32_e64 s[0:1], s0, v0
	s_waitcnt lgkmcnt(0)
	s_barrier
	s_and_saveexec_b64 s[6:7], s[0:1]
	s_cbranch_execz .LBB81_84
; %bb.83:
	v_lshl_add_u32 v11, v9, 3, 4
	ds_read_b32 v12, v11 offset:8192
	ds_read_u8 v13, v11 offset:8196
	v_lshl_add_u32 v14, v10, 3, 4
	ds_read_b32 v15, v14 offset:8120
	ds_read_u8 v14, v14 offset:8124
	v_add_u32_e32 v11, 0x2000, v11
	s_waitcnt lgkmcnt(2)
	v_and_b32_e32 v16, 1, v13
	v_cmp_eq_u32_e64 s[0:1], 1, v16
	s_waitcnt lgkmcnt(1)
	v_cndmask_b32_e64 v15, v15, 0, s[0:1]
	s_waitcnt lgkmcnt(0)
	v_or_b32_e32 v13, v14, v13
	v_add_u32_e32 v12, v15, v12
	v_and_b32_e32 v13, 1, v13
	ds_write2_b32 v11, v12, v13 offset1:1
.LBB81_84:
	s_or_b64 exec, exec, s[6:7]
	v_lshlrev_b32_e32 v12, 4, v3
	v_add_u32_e32 v11, v9, v10
	v_cmp_gt_u32_e64 s[0:1], 64, v0
	s_waitcnt lgkmcnt(0)
	s_barrier
	s_and_saveexec_b64 s[8:9], s[0:1]
	s_cbranch_execz .LBB81_86
; %bb.85:
	v_lshl_add_u32 v13, v11, 3, 4
	ds_read_b32 v14, v13 offset:8192
	ds_read_u8 v15, v13 offset:8196
	v_lshl_add_u32 v16, v12, 3, 4
	ds_read_b32 v17, v16 offset:8056
	ds_read_u8 v16, v16 offset:8060
	v_add_u32_e32 v13, 0x2000, v13
	s_waitcnt lgkmcnt(2)
	v_and_b32_e32 v18, 1, v15
	v_cmp_eq_u32_e64 s[6:7], 1, v18
	s_waitcnt lgkmcnt(1)
	v_cndmask_b32_e64 v17, v17, 0, s[6:7]
	s_waitcnt lgkmcnt(0)
	v_or_b32_e32 v15, v16, v15
	v_add_u32_e32 v14, v17, v14
	v_and_b32_e32 v15, 1, v15
	ds_write2_b32 v13, v14, v15 offset1:1
.LBB81_86:
	s_or_b64 exec, exec, s[8:9]
	;; [unrolled: 27-line block ×6, first 2 shown]
	v_add_u32_e32 v21, v19, v20
	v_cmp_gt_u32_e64 s[6:7], 2, v0
	v_lshl_add_u32 v21, v21, 3, 4
	s_waitcnt lgkmcnt(0)
	s_barrier
	s_and_saveexec_b64 s[8:9], s[6:7]
	s_cbranch_execz .LBB81_96
; %bb.95:
	ds_read_u8 v23, v21 offset:8196
	v_lshl_add_u32 v24, v3, 12, 4
	ds_read_b32 v25, v24 offset:4088
	ds_read_b32 v26, v21 offset:8192
	ds_read_u8 v24, v24 offset:4092
	v_add_u32_e32 v22, 0x2000, v21
	s_waitcnt lgkmcnt(3)
	v_and_b32_e32 v27, 1, v23
	v_cmp_eq_u32_e64 s[6:7], 1, v27
	s_waitcnt lgkmcnt(2)
	v_cndmask_b32_e64 v25, v25, 0, s[6:7]
	s_waitcnt lgkmcnt(0)
	v_or_b32_e32 v23, v24, v23
	v_add_u32_e32 v25, v25, v26
	v_and_b32_e32 v23, 1, v23
	ds_write2_b32 v22, v25, v23 offset1:1
.LBB81_96:
	s_or_b64 exec, exec, s[8:9]
	s_waitcnt lgkmcnt(0)
	s_barrier
	s_and_saveexec_b64 s[8:9], vcc
	s_cbranch_execz .LBB81_98
; %bb.97:
	v_mov_b32_e32 v24, 4
	s_movk_i32 s6, 0xf8
	ds_read_u8 v25, v24 offset:24572
	v_add_u32_e64 v22, s6, 4
	ds_read2st64_b32 v[22:23], v22 offset0:63 offset1:95
	ds_read_u8 v24, v24 offset:16380
	s_add_i32 s11, 4, 0x5ff8
	s_waitcnt lgkmcnt(2)
	v_and_b32_e32 v26, 1, v25
	v_cmp_eq_u32_e64 s[6:7], 1, v26
	s_waitcnt lgkmcnt(1)
	v_cndmask_b32_e64 v22, v22, 0, s[6:7]
	v_add_u32_e32 v22, v22, v23
	s_waitcnt lgkmcnt(0)
	v_or_b32_e32 v23, v24, v25
	v_and_b32_e32 v23, 1, v23
	v_mov_b32_e32 v24, s11
	ds_write2_b32 v24, v22, v23 offset1:1
.LBB81_98:
	s_or_b64 exec, exec, s[8:9]
	s_waitcnt lgkmcnt(0)
	s_barrier
	s_and_saveexec_b64 s[8:9], vcc
	s_cbranch_execz .LBB81_100
; %bb.99:
	v_mov_b32_e32 v22, 4
	ds_read_u8 v23, v22 offset:20476
	ds_read_b32 v22, v22 offset:20472
	ds_read_b32 v24, v21 offset:8192
	ds_read_u8 v21, v21 offset:8196
	s_add_i32 s11, 4, 0x4ff8
	s_waitcnt lgkmcnt(3)
	v_and_b32_e32 v25, 1, v23
	v_cmp_eq_u32_e64 s[6:7], 1, v25
	s_waitcnt lgkmcnt(1)
	v_cndmask_b32_e64 v24, v24, 0, s[6:7]
	s_waitcnt lgkmcnt(0)
	v_or_b32_e32 v21, v21, v23
	v_add_u32_e32 v22, v24, v22
	v_and_b32_e32 v21, 1, v21
	v_mov_b32_e32 v23, s11
	ds_write2_b32 v23, v22, v21 offset1:1
.LBB81_100:
	s_or_b64 exec, exec, s[8:9]
	v_cmp_gt_u32_e64 s[6:7], 3, v0
	s_waitcnt lgkmcnt(0)
	s_barrier
	s_and_saveexec_b64 s[8:9], s[6:7]
	s_cbranch_execz .LBB81_102
; %bb.101:
	v_lshl_add_u32 v20, v20, 3, s10
	ds_read_b32 v21, v20 offset:2040
	ds_read_u8 v22, v20 offset:2044
	v_lshl_add_u32 v19, v19, 3, s10
	ds_read_b32 v23, v19
	ds_read_u8 v19, v19 offset:4
	v_add_u32_e32 v20, 0x7f8, v20
	s_waitcnt lgkmcnt(2)
	v_and_b32_e32 v24, 1, v22
	v_cmp_eq_u32_e64 s[6:7], 1, v24
	s_waitcnt lgkmcnt(1)
	v_cndmask_b32_e64 v23, v23, 0, s[6:7]
	s_waitcnt lgkmcnt(0)
	v_or_b32_e32 v19, v19, v22
	v_add_u32_e32 v21, v23, v21
	v_and_b32_e32 v19, 1, v19
	ds_write2_b32 v20, v21, v19 offset1:1
.LBB81_102:
	s_or_b64 exec, exec, s[8:9]
	v_cmp_gt_u32_e64 s[6:7], 7, v0
	s_waitcnt lgkmcnt(0)
	s_barrier
	s_and_saveexec_b64 s[8:9], s[6:7]
	s_cbranch_execz .LBB81_104
; %bb.103:
	v_lshl_add_u32 v18, v18, 3, s10
	ds_read_u8 v19, v18 offset:1020
	v_lshl_add_u32 v17, v17, 3, s10
	ds_read_b32 v20, v17
	ds_read_b32 v21, v18 offset:1016
	ds_read_u8 v17, v17 offset:4
	s_waitcnt lgkmcnt(3)
	v_and_b32_e32 v22, 1, v19
	v_cmp_eq_u32_e64 s[6:7], 1, v22
	s_waitcnt lgkmcnt(2)
	v_cndmask_b32_e64 v20, v20, 0, s[6:7]
	s_waitcnt lgkmcnt(0)
	v_or_b32_e32 v17, v17, v19
	v_add_u32_e32 v20, v20, v21
	v_and_b32_e32 v17, 1, v17
	ds_write2_b32 v18, v20, v17 offset0:254 offset1:255
.LBB81_104:
	s_or_b64 exec, exec, s[8:9]
	v_cmp_gt_u32_e64 s[6:7], 15, v0
	s_waitcnt lgkmcnt(0)
	s_barrier
	s_and_saveexec_b64 s[8:9], s[6:7]
	s_cbranch_execz .LBB81_106
; %bb.105:
	v_lshl_add_u32 v16, v16, 3, s10
	ds_read_u8 v17, v16 offset:508
	v_lshl_add_u32 v15, v15, 3, s10
	ds_read_b32 v18, v15
	ds_read_b32 v19, v16 offset:504
	ds_read_u8 v15, v15 offset:4
	s_waitcnt lgkmcnt(3)
	v_and_b32_e32 v20, 1, v17
	v_cmp_eq_u32_e64 s[6:7], 1, v20
	s_waitcnt lgkmcnt(2)
	v_cndmask_b32_e64 v18, v18, 0, s[6:7]
	s_waitcnt lgkmcnt(0)
	v_or_b32_e32 v15, v15, v17
	v_add_u32_e32 v18, v18, v19
	v_and_b32_e32 v15, 1, v15
	ds_write2_b32 v16, v18, v15 offset0:126 offset1:127
.LBB81_106:
	;; [unrolled: 24-line block ×4, first 2 shown]
	s_or_b64 exec, exec, s[8:9]
	s_movk_i32 s6, 0x7f
	v_cmp_gt_u32_e64 s[6:7], s6, v0
	s_waitcnt lgkmcnt(0)
	s_barrier
	s_and_saveexec_b64 s[8:9], s[6:7]
	s_cbranch_execz .LBB81_112
; %bb.111:
	v_lshl_add_u32 v10, v10, 3, s10
	ds_read_u8 v11, v10 offset:60
	v_lshl_add_u32 v9, v9, 3, s10
	ds_read_b32 v12, v9
	ds_read_b32 v13, v10 offset:56
	ds_read_u8 v9, v9 offset:4
	s_waitcnt lgkmcnt(3)
	v_and_b32_e32 v14, 1, v11
	v_cmp_eq_u32_e64 s[6:7], 1, v14
	s_waitcnt lgkmcnt(2)
	v_cndmask_b32_e64 v12, v12, 0, s[6:7]
	s_waitcnt lgkmcnt(0)
	v_or_b32_e32 v9, v9, v11
	v_add_u32_e32 v12, v12, v13
	v_and_b32_e32 v9, 1, v9
	ds_write2_b32 v10, v12, v9 offset0:14 offset1:15
.LBB81_112:
	s_or_b64 exec, exec, s[8:9]
	s_movk_i32 s6, 0xff
	v_cmp_gt_u32_e64 s[6:7], s6, v0
	s_waitcnt lgkmcnt(0)
	s_barrier
	s_and_saveexec_b64 s[8:9], s[6:7]
	s_cbranch_execz .LBB81_114
; %bb.113:
	v_lshl_add_u32 v8, v8, 3, s10
	ds_read_u8 v9, v8 offset:28
	v_lshl_add_u32 v7, v7, 3, s10
	ds_read_b32 v10, v7
	ds_read_b32 v11, v8 offset:24
	ds_read_u8 v7, v7 offset:4
	s_waitcnt lgkmcnt(3)
	v_and_b32_e32 v12, 1, v9
	v_cmp_eq_u32_e64 s[6:7], 1, v12
	s_waitcnt lgkmcnt(2)
	v_cndmask_b32_e64 v10, v10, 0, s[6:7]
	s_waitcnt lgkmcnt(0)
	v_or_b32_e32 v7, v7, v9
	v_add_u32_e32 v10, v10, v11
	v_and_b32_e32 v7, 1, v7
	ds_write2_b32 v8, v10, v7 offset0:6 offset1:7
.LBB81_114:
	s_or_b64 exec, exec, s[8:9]
	s_movk_i32 s6, 0x1ff
	v_cmp_gt_u32_e64 s[6:7], s6, v0
	s_waitcnt lgkmcnt(0)
	s_barrier
	s_and_saveexec_b64 s[8:9], s[6:7]
	s_cbranch_execz .LBB81_116
; %bb.115:
	v_lshl_add_u32 v6, v6, 3, s10
	ds_read_u8 v7, v6 offset:12
	v_add_u32_e32 v8, -8, v6
	ds_read_b32 v9, v8
	ds_read_b32 v10, v6 offset:8
	ds_read_u8 v8, v8 offset:4
	s_waitcnt lgkmcnt(3)
	v_and_b32_e32 v11, 1, v7
	v_cmp_eq_u32_e64 s[6:7], 1, v11
	s_waitcnt lgkmcnt(2)
	v_cndmask_b32_e64 v9, v9, 0, s[6:7]
	s_waitcnt lgkmcnt(0)
	v_or_b32_e32 v7, v8, v7
	v_add_u32_e32 v9, v9, v10
	v_and_b32_e32 v7, 1, v7
	ds_write2_b32 v6, v9, v7 offset0:2 offset1:3
.LBB81_116:
	s_or_b64 exec, exec, s[8:9]
	s_waitcnt lgkmcnt(0)
	s_barrier
	s_and_saveexec_b64 s[6:7], s[2:3]
	s_cbranch_execz .LBB81_118
; %bb.117:
	v_lshl_add_u32 v3, v3, 3, 4
	ds_read_u8 v6, v3 offset:8196
	ds_read_b32 v7, v5 offset:8
	v_add_u32_e32 v8, 0x2000, v3
	ds_read_b32 v3, v3 offset:8192
	ds_read_u8 v9, v5 offset:12
	s_waitcnt lgkmcnt(3)
	v_and_b32_e32 v10, 1, v6
	v_cmp_eq_u32_e64 s[2:3], 1, v10
	s_waitcnt lgkmcnt(2)
	v_cndmask_b32_e64 v7, v7, 0, s[2:3]
	s_waitcnt lgkmcnt(0)
	v_or_b32_e32 v6, v9, v6
	v_add_u32_e32 v3, v7, v3
	v_and_b32_e32 v6, 1, v6
	ds_write2_b32 v8, v3, v6 offset1:1
.LBB81_118:
	s_or_b64 exec, exec, s[6:7]
	s_waitcnt lgkmcnt(0)
	s_barrier
	ds_read_b32 v3, v4 offset:8192
	ds_read_b32 v5, v5 offset:8
	v_mbcnt_lo_u32_b32 v8, -1, 0
	v_mbcnt_hi_u32_b32 v13, -1, v8
	v_and_b32_e32 v14, 63, v13
	v_or_b32_e32 v4, 1, v2
	v_cmp_gt_u32_e64 s[8:9], 32, v14
	v_cmp_gt_u32_e64 s[2:3], s16, v2
	;; [unrolled: 1-line block ×3, first 2 shown]
	v_cndmask_b32_e64 v8, 0, 1, s[8:9]
	s_waitcnt lgkmcnt(1)
	v_cndmask_b32_e64 v3, 0, v3, s[2:3]
	s_waitcnt lgkmcnt(0)
	v_cndmask_b32_e64 v5, 0, v5, s[6:7]
	v_lshlrev_b32_e32 v8, 5, v8
	v_cndmask_b32_e64 v6, 0, v2, s[2:3]
	v_max_u32_e32 v7, v5, v3
	v_add_lshl_u32 v8, v8, v13, 2
	v_cndmask_b32_e64 v9, 0, v4, s[6:7]
	v_cmp_gt_u32_e64 s[8:9], v5, v3
	ds_bpermute_b32 v10, v8, v7
	v_cndmask_b32_e64 v3, v6, v9, s[8:9]
	ds_bpermute_b32 v5, v8, v3
	v_cmp_gt_u32_e64 s[8:9], 48, v14
	v_cndmask_b32_e64 v9, 0, 1, s[8:9]
	v_lshlrev_b32_e32 v9, 4, v9
	s_waitcnt lgkmcnt(1)
	v_max_u32_e32 v6, v10, v7
	v_add_lshl_u32 v9, v9, v13, 2
	v_cmp_gt_u32_e64 s[8:9], v10, v7
	ds_bpermute_b32 v11, v9, v6
	s_waitcnt lgkmcnt(1)
	v_cndmask_b32_e64 v3, v3, v5, s[8:9]
	ds_bpermute_b32 v5, v9, v3
	v_cmp_gt_u32_e64 s[8:9], 56, v14
	v_cndmask_b32_e64 v10, 0, 1, s[8:9]
	v_lshlrev_b32_e32 v10, 3, v10
	s_waitcnt lgkmcnt(1)
	v_max_u32_e32 v7, v11, v6
	v_add_lshl_u32 v10, v10, v13, 2
	v_cmp_gt_u32_e64 s[8:9], v11, v6
	ds_bpermute_b32 v12, v10, v7
	s_waitcnt lgkmcnt(1)
	;; [unrolled: 11-line block ×4, first 2 shown]
	v_cndmask_b32_e64 v5, v3, v5, s[8:9]
	ds_bpermute_b32 v6, v12, v5
	s_waitcnt lgkmcnt(0)
	s_barrier
	v_cmp_gt_u32_e64 s[8:9], v16, v7
	v_max_u32_e32 v3, v16, v7
	v_cndmask_b32_e64 v5, v5, v6, s[8:9]
	v_cmp_ne_u32_e64 s[8:9], 63, v14
	v_addc_co_u32_e64 v6, s[8:9], 0, v13, s[8:9]
	v_lshlrev_b32_e32 v13, 2, v6
	ds_bpermute_b32 v6, v13, v5
	ds_bpermute_b32 v7, v13, v3
	v_cmp_eq_u32_e64 s[8:9], 0, v1
	s_waitcnt lgkmcnt(0)
	s_barrier
	s_and_saveexec_b64 s[12:13], s[8:9]
	s_cbranch_execz .LBB81_120
; %bb.119:
	v_lshrrev_b32_e32 v14, 3, v0
	v_add_u32_e32 v14, 4, v14
	v_cmp_gt_u32_e64 s[10:11], v7, v3
	v_add_u32_e32 v14, 0x2000, v14
	v_cndmask_b32_e64 v5, v5, v6, s[10:11]
	v_max_u32_e32 v3, v7, v3
	ds_write2_b32 v14, v3, v5 offset1:1
.LBB81_120:
	s_or_b64 exec, exec, s[12:13]
	s_lshr_b32 s10, s22, 6
	v_cmp_gt_u32_e64 s[10:11], s10, v0
	v_lshl_add_u32 v14, v1, 3, 4
	v_mov_b32_e32 v3, 0
	v_mov_b32_e32 v5, 0
	s_waitcnt lgkmcnt(0)
	s_barrier
	s_and_saveexec_b64 s[12:13], s[10:11]
	s_cbranch_execnz .LBB81_143
; %bb.121:
	s_or_b64 exec, exec, s[12:13]
	s_and_saveexec_b64 s[12:13], s[10:11]
	s_cbranch_execnz .LBB81_144
.LBB81_122:
	s_or_b64 exec, exec, s[12:13]
	s_and_saveexec_b64 s[22:23], s[0:1]
	s_cbranch_execnz .LBB81_145
.LBB81_123:
	s_or_b64 exec, exec, s[22:23]
	s_and_saveexec_b64 s[12:13], vcc
	s_cbranch_execz .LBB81_125
.LBB81_124:
	s_waitcnt lgkmcnt(0)
	v_lshl_add_u32 v3, v3, 2, 4
	ds_read_b32 v3, v3
	v_mov_b32_e32 v5, 0
	s_waitcnt lgkmcnt(0)
	ds_write_b32 v5, v3
.LBB81_125:
	s_or_b64 exec, exec, s[12:13]
	s_mov_b32 s22, 0
	s_waitcnt lgkmcnt(0)
	v_mov_b32_e32 v3, 0
	s_mov_b32 s23, s22
	v_cmp_gt_i64_e64 s[12:13], s[16:17], v[2:3]
	v_pk_mov_b32 v[6:7], s[22:23], s[22:23] op_sel:[0,1]
	s_barrier
	s_and_saveexec_b64 s[22:23], s[12:13]
	s_cbranch_execz .LBB81_127
; %bb.126:
	v_add_u32_e32 v6, s19, v2
	v_mov_b32_e32 v7, v3
	v_lshlrev_b64 v[6:7], 2, v[6:7]
	v_mov_b32_e32 v5, s21
	v_add_co_u32_e64 v6, s[12:13], s20, v6
	v_addc_co_u32_e64 v7, s[12:13], v5, v7, s[12:13]
	global_load_dword v5, v[6:7], off
	ds_read_b32 v6, v3
	s_waitcnt vmcnt(0) lgkmcnt(0)
	v_cmp_eq_u32_e64 s[12:13], v5, v6
	v_cndmask_b32_e64 v2, 0, v2, s[12:13]
	v_pk_mov_b32 v[6:7], v[2:3], v[2:3] op_sel:[0,1]
.LBB81_127:
	s_or_b64 exec, exec, s[22:23]
	v_mov_b32_e32 v5, v3
	v_cmp_gt_i64_e64 s[12:13], s[16:17], v[4:5]
	s_and_saveexec_b64 s[16:17], s[12:13]
	s_cbranch_execz .LBB81_129
; %bb.128:
	v_add_u32_e32 v2, s19, v4
	v_mov_b32_e32 v3, 0
	v_lshlrev_b64 v[16:17], 2, v[2:3]
	v_mov_b32_e32 v2, s21
	v_add_co_u32_e64 v16, s[12:13], s20, v16
	v_addc_co_u32_e64 v17, s[12:13], v2, v17, s[12:13]
	global_load_dword v2, v[16:17], off
	ds_read_b32 v3, v3
	s_waitcnt vmcnt(0) lgkmcnt(0)
	v_cmp_eq_u32_e64 s[12:13], v2, v3
	v_cndmask_b32_e64 v7, 0, v4, s[12:13]
.LBB81_129:
	s_or_b64 exec, exec, s[16:17]
	v_cndmask_b32_e64 v2, 0, v6, s[2:3]
	v_cndmask_b32_e64 v3, 0, v7, s[6:7]
	v_max_u32_e32 v2, v3, v2
	ds_bpermute_b32 v3, v8, v2
	s_waitcnt lgkmcnt(0)
	s_barrier
	v_max_u32_e32 v2, v3, v2
	ds_bpermute_b32 v3, v9, v2
	s_waitcnt lgkmcnt(0)
	v_max_u32_e32 v2, v3, v2
	ds_bpermute_b32 v3, v10, v2
	s_waitcnt lgkmcnt(0)
	;; [unrolled: 3-line block ×4, first 2 shown]
	v_max_u32_e32 v2, v3, v2
	ds_bpermute_b32 v3, v13, v2
	s_and_saveexec_b64 s[2:3], s[8:9]
	s_cbranch_execz .LBB81_131
; %bb.130:
	v_lshrrev_b32_e32 v0, 4, v0
	v_add_u32_e32 v0, 4, v0
	s_waitcnt lgkmcnt(0)
	v_max_u32_e32 v2, v3, v2
	ds_write_b32 v0, v2
.LBB81_131:
	s_or_b64 exec, exec, s[2:3]
	v_mov_b32_e32 v0, 0
	s_waitcnt lgkmcnt(0)
	s_barrier
	s_and_saveexec_b64 s[2:3], s[10:11]
	s_cbranch_execnz .LBB81_146
; %bb.132:
	s_or_b64 exec, exec, s[2:3]
	s_and_saveexec_b64 s[2:3], s[0:1]
	s_cbranch_execnz .LBB81_147
.LBB81_133:
	s_or_b64 exec, exec, s[2:3]
	s_and_saveexec_b64 s[0:1], vcc
	s_cbranch_execnz .LBB81_148
.LBB81_134:
	s_endpgm
.LBB81_135:
	ds_read_u8 v3, v1 offset:8192
	s_andn2_b64 s[0:1], s[0:1], exec
	s_mov_b32 s6, 1
	s_waitcnt lgkmcnt(0)
	v_and_b32_e32 v3, 1, v3
	v_cmp_eq_u32_e32 vcc, 1, v3
	s_xor_b64 s[8:9], vcc, -1
	s_and_b64 s[8:9], s[8:9], exec
	s_or_b64 s[0:1], s[0:1], s[8:9]
	s_or_b64 exec, exec, s[2:3]
	v_mov_b32_e32 v3, s6
	s_and_saveexec_b64 s[2:3], s[0:1]
	s_cbranch_execz .LBB81_25
.LBB81_136:
	ds_read_u8 v3, v1 offset:9216
	s_waitcnt lgkmcnt(0)
	v_xor_b32_e32 v3, 1, v3
	s_or_b64 exec, exec, s[2:3]
	v_cmp_eq_u32_e32 vcc, 0, v3
	s_and_saveexec_b64 s[0:1], vcc
	s_cbranch_execnz .LBB81_26
	s_branch .LBB81_27
.LBB81_137:
	ds_read_u8 v7, v1 offset:8192
	s_andn2_b64 s[0:1], s[0:1], exec
	s_mov_b32 s6, 1
	s_waitcnt lgkmcnt(0)
	v_and_b32_e32 v7, 1, v7
	v_cmp_eq_u32_e32 vcc, 1, v7
	s_xor_b64 s[8:9], vcc, -1
	s_and_b64 s[8:9], s[8:9], exec
	s_or_b64 s[0:1], s[0:1], s[8:9]
	s_or_b64 exec, exec, s[2:3]
	v_mov_b32_e32 v7, s6
	s_and_saveexec_b64 s[2:3], s[0:1]
	s_cbranch_execz .LBB81_29
.LBB81_138:
	ds_read_u8 v7, v1 offset:8704
	s_waitcnt lgkmcnt(0)
	v_xor_b32_e32 v7, 1, v7
	s_or_b64 exec, exec, s[2:3]
	v_cmp_eq_u32_e32 vcc, 0, v7
	s_and_saveexec_b64 s[0:1], vcc
	s_cbranch_execnz .LBB81_30
	s_branch .LBB81_31
.LBB81_139:
	ds_read_u8 v7, v1 offset:8192
	s_andn2_b64 s[0:1], s[0:1], exec
	s_mov_b32 s6, 1
	s_waitcnt lgkmcnt(0)
	v_and_b32_e32 v7, 1, v7
	v_cmp_eq_u32_e32 vcc, 1, v7
	s_xor_b64 s[8:9], vcc, -1
	s_and_b64 s[8:9], s[8:9], exec
	s_or_b64 s[0:1], s[0:1], s[8:9]
	s_or_b64 exec, exec, s[2:3]
	v_mov_b32_e32 v7, s6
	s_and_saveexec_b64 s[2:3], s[0:1]
	s_cbranch_execz .LBB81_33
.LBB81_140:
	ds_read_u8 v7, v1 offset:8448
	s_waitcnt lgkmcnt(0)
	v_xor_b32_e32 v7, 1, v7
	s_or_b64 exec, exec, s[2:3]
	v_cmp_eq_u32_e32 vcc, 0, v7
	s_and_saveexec_b64 s[0:1], vcc
	s_cbranch_execnz .LBB81_34
	s_branch .LBB81_35
.LBB81_141:
	ds_read_u8 v7, v1 offset:8192
	s_andn2_b64 s[0:1], s[0:1], exec
	s_mov_b32 s6, 1
	s_waitcnt lgkmcnt(0)
	v_and_b32_e32 v7, 1, v7
	v_cmp_eq_u32_e32 vcc, 1, v7
	s_xor_b64 s[8:9], vcc, -1
	s_and_b64 s[8:9], s[8:9], exec
	s_or_b64 s[0:1], s[0:1], s[8:9]
	s_or_b64 exec, exec, s[2:3]
	v_mov_b32_e32 v7, s6
	s_and_saveexec_b64 s[2:3], s[0:1]
	s_cbranch_execz .LBB81_37
.LBB81_142:
	ds_read_u8 v7, v1 offset:8320
	s_waitcnt lgkmcnt(0)
	v_xor_b32_e32 v7, 1, v7
	s_or_b64 exec, exec, s[2:3]
	v_cmp_eq_u32_e32 vcc, 0, v7
	s_and_saveexec_b64 s[0:1], vcc
	s_cbranch_execnz .LBB81_38
	s_branch .LBB81_39
.LBB81_143:
	ds_read_b32 v5, v14 offset:8192
	s_or_b64 exec, exec, s[12:13]
	s_and_saveexec_b64 s[12:13], s[10:11]
	s_cbranch_execz .LBB81_122
.LBB81_144:
	ds_read_b32 v3, v14 offset:8196
	s_or_b64 exec, exec, s[12:13]
	s_and_saveexec_b64 s[22:23], s[0:1]
	s_cbranch_execz .LBB81_123
.LBB81_145:
	s_waitcnt lgkmcnt(0)
	ds_bpermute_b32 v6, v8, v5
	ds_bpermute_b32 v7, v8, v3
	s_waitcnt lgkmcnt(1)
	v_max_u32_e32 v15, v6, v5
	v_cmp_gt_u32_e64 s[12:13], v6, v5
	ds_bpermute_b32 v16, v9, v15
	s_waitcnt lgkmcnt(1)
	v_cndmask_b32_e64 v3, v3, v7, s[12:13]
	ds_bpermute_b32 v5, v9, v3
	s_waitcnt lgkmcnt(1)
	v_max_u32_e32 v6, v16, v15
	v_cmp_gt_u32_e64 s[12:13], v16, v15
	ds_bpermute_b32 v7, v10, v6
	s_waitcnt lgkmcnt(1)
	v_cndmask_b32_e64 v3, v3, v5, s[12:13]
	;; [unrolled: 7-line block ×4, first 2 shown]
	ds_bpermute_b32 v5, v12, v3
	s_waitcnt lgkmcnt(1)
	v_max_u32_e32 v15, v7, v6
	v_cmp_gt_u32_e64 s[12:13], v7, v6
	s_waitcnt lgkmcnt(0)
	v_cndmask_b32_e64 v3, v3, v5, s[12:13]
	ds_bpermute_b32 v5, v13, v15
	ds_bpermute_b32 v6, v13, v3
	s_waitcnt lgkmcnt(1)
	v_cmp_gt_u32_e64 s[12:13], v5, v15
	s_waitcnt lgkmcnt(0)
	v_cndmask_b32_e64 v3, v3, v6, s[12:13]
	s_or_b64 exec, exec, s[22:23]
	s_and_saveexec_b64 s[12:13], vcc
	s_cbranch_execnz .LBB81_124
	s_branch .LBB81_125
.LBB81_146:
	v_lshlrev_b32_e32 v0, 2, v1
	v_sub_u32_e32 v0, v14, v0
	ds_read_b32 v0, v0
	s_or_b64 exec, exec, s[2:3]
	s_and_saveexec_b64 s[2:3], s[0:1]
	s_cbranch_execz .LBB81_133
.LBB81_147:
	s_waitcnt lgkmcnt(0)
	ds_bpermute_b32 v1, v8, v0
	s_waitcnt lgkmcnt(0)
	v_max_u32_e32 v0, v1, v0
	ds_bpermute_b32 v1, v9, v0
	s_waitcnt lgkmcnt(0)
	v_max_u32_e32 v0, v1, v0
	;; [unrolled: 3-line block ×6, first 2 shown]
	s_or_b64 exec, exec, s[2:3]
	s_and_saveexec_b64 s[0:1], vcc
	s_cbranch_execz .LBB81_134
.LBB81_148:
	s_load_dword s2, s[4:5], 0xd8
	s_add_u32 s0, s4, 8
	s_addc_u32 s1, s5, 0
	s_mov_b32 s3, 0
	s_waitcnt lgkmcnt(0)
	s_cmp_lt_i32 s2, 2
	s_cbranch_scc1 .LBB81_151
; %bb.149:
	s_add_i32 s6, s2, 1
	s_add_i32 s2, s2, -1
	s_lshl_b64 s[4:5], s[2:3], 2
	s_add_u32 s2, s4, s0
	s_addc_u32 s5, s5, s1
	s_add_u32 s4, s2, 8
	s_addc_u32 s5, s5, 0
.LBB81_150:                             ; =>This Inner Loop Header: Depth=1
	s_load_dword s2, s[4:5], 0x0
	s_load_dword s8, s[4:5], 0x64
	s_mov_b32 s7, s18
	s_waitcnt lgkmcnt(0)
	v_cvt_f32_u32_e32 v1, s2
	s_sub_i32 s9, 0, s2
	v_rcp_iflag_f32_e32 v1, v1
	v_mul_f32_e32 v1, 0x4f7ffffe, v1
	v_cvt_u32_f32_e32 v1, v1
	v_readfirstlane_b32 s10, v1
	s_mul_i32 s9, s9, s10
	s_mul_hi_u32 s9, s10, s9
	s_add_i32 s10, s10, s9
	s_mul_hi_u32 s9, s18, s10
	s_mul_i32 s10, s9, s2
	s_sub_i32 s10, s18, s10
	s_add_i32 s11, s9, 1
	s_sub_i32 s12, s10, s2
	s_cmp_ge_u32 s10, s2
	s_cselect_b32 s9, s11, s9
	s_cselect_b32 s10, s12, s10
	s_add_i32 s11, s9, 1
	s_cmp_ge_u32 s10, s2
	s_cselect_b32 s18, s11, s9
	s_mul_i32 s2, s18, s2
	s_sub_i32 s2, s7, s2
	s_mul_i32 s2, s8, s2
	s_add_i32 s6, s6, -1
	s_add_i32 s3, s2, s3
	s_add_u32 s4, s4, -4
	s_addc_u32 s5, s5, -1
	s_cmp_gt_u32 s6, 2
	s_cbranch_scc1 .LBB81_150
.LBB81_151:
	s_load_dword s2, s[0:1], 0x6c
	v_mov_b32_e32 v1, 0
	s_load_dwordx2 s[0:1], s[0:1], 0x0
	ds_read_b32 v2, v1
	s_mov_b32 s5, 0
	s_waitcnt lgkmcnt(0)
	s_mul_i32 s2, s2, s18
	s_add_i32 s4, s2, s3
	s_lshl_b64 s[2:3], s[4:5], 2
	s_add_u32 s0, s0, s2
	s_addc_u32 s1, s1, s3
	global_store_dword v1, v2, s[0:1]
	s_lshl_b64 s[0:1], s[4:5], 3
	s_add_u32 s0, s14, s0
	s_addc_u32 s1, s15, s1
	global_store_dwordx2 v1, v[0:1], s[0:1]
	s_endpgm
	.section	.rodata,"a",@progbits
	.p2align	6, 0x0
	.amdhsa_kernel _ZN2at6native12compute_modeIiLj2048EEEvPKT_NS_4cuda6detail10TensorInfoIS2_jEENS7_IljEEll
		.amdhsa_group_segment_fixed_size 4
		.amdhsa_private_segment_fixed_size 0
		.amdhsa_kernarg_size 712
		.amdhsa_user_sgpr_count 6
		.amdhsa_user_sgpr_private_segment_buffer 1
		.amdhsa_user_sgpr_dispatch_ptr 0
		.amdhsa_user_sgpr_queue_ptr 0
		.amdhsa_user_sgpr_kernarg_segment_ptr 1
		.amdhsa_user_sgpr_dispatch_id 0
		.amdhsa_user_sgpr_flat_scratch_init 0
		.amdhsa_user_sgpr_kernarg_preload_length 0
		.amdhsa_user_sgpr_kernarg_preload_offset 0
		.amdhsa_user_sgpr_private_segment_size 0
		.amdhsa_uses_dynamic_stack 0
		.amdhsa_system_sgpr_private_segment_wavefront_offset 0
		.amdhsa_system_sgpr_workgroup_id_x 1
		.amdhsa_system_sgpr_workgroup_id_y 1
		.amdhsa_system_sgpr_workgroup_id_z 1
		.amdhsa_system_sgpr_workgroup_info 0
		.amdhsa_system_vgpr_workitem_id 0
		.amdhsa_next_free_vgpr 28
		.amdhsa_next_free_sgpr 24
		.amdhsa_accum_offset 28
		.amdhsa_reserve_vcc 1
		.amdhsa_reserve_flat_scratch 0
		.amdhsa_float_round_mode_32 0
		.amdhsa_float_round_mode_16_64 0
		.amdhsa_float_denorm_mode_32 3
		.amdhsa_float_denorm_mode_16_64 3
		.amdhsa_dx10_clamp 1
		.amdhsa_ieee_mode 1
		.amdhsa_fp16_overflow 0
		.amdhsa_tg_split 0
		.amdhsa_exception_fp_ieee_invalid_op 0
		.amdhsa_exception_fp_denorm_src 0
		.amdhsa_exception_fp_ieee_div_zero 0
		.amdhsa_exception_fp_ieee_overflow 0
		.amdhsa_exception_fp_ieee_underflow 0
		.amdhsa_exception_fp_ieee_inexact 0
		.amdhsa_exception_int_div_zero 0
	.end_amdhsa_kernel
	.section	.text._ZN2at6native12compute_modeIiLj2048EEEvPKT_NS_4cuda6detail10TensorInfoIS2_jEENS7_IljEEll,"axG",@progbits,_ZN2at6native12compute_modeIiLj2048EEEvPKT_NS_4cuda6detail10TensorInfoIS2_jEENS7_IljEEll,comdat
.Lfunc_end81:
	.size	_ZN2at6native12compute_modeIiLj2048EEEvPKT_NS_4cuda6detail10TensorInfoIS2_jEENS7_IljEEll, .Lfunc_end81-_ZN2at6native12compute_modeIiLj2048EEEvPKT_NS_4cuda6detail10TensorInfoIS2_jEENS7_IljEEll
                                        ; -- End function
	.section	.AMDGPU.csdata,"",@progbits
; Kernel info:
; codeLenInByte = 8268
; NumSgprs: 28
; NumVgprs: 28
; NumAgprs: 0
; TotalNumVgprs: 28
; ScratchSize: 0
; MemoryBound: 0
; FloatMode: 240
; IeeeMode: 1
; LDSByteSize: 4 bytes/workgroup (compile time only)
; SGPRBlocks: 3
; VGPRBlocks: 3
; NumSGPRsForWavesPerEU: 28
; NumVGPRsForWavesPerEU: 28
; AccumOffset: 28
; Occupancy: 8
; WaveLimiterHint : 1
; COMPUTE_PGM_RSRC2:SCRATCH_EN: 0
; COMPUTE_PGM_RSRC2:USER_SGPR: 6
; COMPUTE_PGM_RSRC2:TRAP_HANDLER: 0
; COMPUTE_PGM_RSRC2:TGID_X_EN: 1
; COMPUTE_PGM_RSRC2:TGID_Y_EN: 1
; COMPUTE_PGM_RSRC2:TGID_Z_EN: 1
; COMPUTE_PGM_RSRC2:TIDIG_COMP_CNT: 0
; COMPUTE_PGM_RSRC3_GFX90A:ACCUM_OFFSET: 6
; COMPUTE_PGM_RSRC3_GFX90A:TG_SPLIT: 0
	.section	.text._ZN2at6native12compute_modeIiLj1024EEEvPKT_NS_4cuda6detail10TensorInfoIS2_jEENS7_IljEEll,"axG",@progbits,_ZN2at6native12compute_modeIiLj1024EEEvPKT_NS_4cuda6detail10TensorInfoIS2_jEENS7_IljEEll,comdat
	.protected	_ZN2at6native12compute_modeIiLj1024EEEvPKT_NS_4cuda6detail10TensorInfoIS2_jEENS7_IljEEll ; -- Begin function _ZN2at6native12compute_modeIiLj1024EEEvPKT_NS_4cuda6detail10TensorInfoIS2_jEENS7_IljEEll
	.globl	_ZN2at6native12compute_modeIiLj1024EEEvPKT_NS_4cuda6detail10TensorInfoIS2_jEENS7_IljEEll
	.p2align	8
	.type	_ZN2at6native12compute_modeIiLj1024EEEvPKT_NS_4cuda6detail10TensorInfoIS2_jEENS7_IljEEll,@function
_ZN2at6native12compute_modeIiLj1024EEEvPKT_NS_4cuda6detail10TensorInfoIS2_jEENS7_IljEEll: ; @_ZN2at6native12compute_modeIiLj1024EEEvPKT_NS_4cuda6detail10TensorInfoIS2_jEENS7_IljEEll
; %bb.0:
	s_load_dwordx4 s[16:19], s[4:5], 0x1b8
	s_load_dwordx2 s[2:3], s[4:5], 0x1c8
	s_add_u32 s0, s4, 0x1c8
	s_addc_u32 s1, s5, 0
	s_mov_b32 s15, 0
	s_waitcnt lgkmcnt(0)
	v_mov_b32_e32 v2, s18
	s_mul_i32 s3, s3, s8
	s_add_i32 s3, s3, s7
	s_mul_i32 s2, s3, s2
	v_mov_b32_e32 v3, s19
	s_add_i32 s14, s2, s6
	v_cmp_ge_i64_e32 vcc, s[14:15], v[2:3]
	s_cbranch_vccnz .LBB82_308
; %bb.1:
	s_load_dwordx2 s[18:19], s[4:5], 0x0
	s_load_dword s6, s[0:1], 0xc
	v_mov_b32_e32 v3, 0
	v_mov_b32_e32 v1, v3
	s_mul_i32 s15, s14, s16
	v_cmp_gt_i64_e32 vcc, s[16:17], v[0:1]
	s_and_saveexec_b64 s[2:3], vcc
	s_cbranch_execz .LBB82_3
; %bb.2:
	v_add_u32_e32 v2, s15, v0
	v_lshlrev_b64 v[4:5], 2, v[2:3]
	s_waitcnt lgkmcnt(0)
	v_mov_b32_e32 v1, s19
	v_add_co_u32_e64 v4, s[0:1], s18, v4
	v_addc_co_u32_e64 v5, s[0:1], v1, v5, s[0:1]
	global_load_dword v1, v[4:5], off
	v_lshl_add_u32 v2, v0, 2, 4
	s_waitcnt vmcnt(0)
	ds_write_b32 v2, v1
.LBB82_3:
	s_or_b64 exec, exec, s[2:3]
	s_waitcnt lgkmcnt(0)
	s_and_b32 s20, 0xffff, s6
	v_add_u32_e32 v2, s20, v0
	v_cmp_gt_i64_e64 s[0:1], s[16:17], v[2:3]
	s_and_saveexec_b64 s[6:7], s[0:1]
	s_cbranch_execz .LBB82_5
; %bb.4:
	v_add_u32_e32 v4, s15, v2
	v_mov_b32_e32 v5, 0
	v_lshlrev_b64 v[4:5], 2, v[4:5]
	v_mov_b32_e32 v1, s19
	v_add_co_u32_e64 v4, s[2:3], s18, v4
	v_addc_co_u32_e64 v5, s[2:3], v1, v5, s[2:3]
	global_load_dword v1, v[4:5], off
	v_lshl_add_u32 v2, v2, 2, 4
	s_waitcnt vmcnt(0)
	ds_write_b32 v2, v1
.LBB82_5:
	s_or_b64 exec, exec, s[6:7]
	v_add_u32_e32 v1, 4, v0
	v_cndmask_b32_e64 v2, 0, 1, vcc
	ds_write_b8 v1, v2 offset:4096
	v_add_u32_e32 v2, s20, v1
	v_cndmask_b32_e64 v3, 0, 1, s[0:1]
	v_mad_u32_u24 v1, v0, 7, v1
	ds_write_b8 v2, v3 offset:4096
	s_waitcnt lgkmcnt(0)
	s_barrier
	s_barrier
	ds_read2_b32 v[4:5], v1 offset1:1
	s_mov_b32 s6, 1
	v_mul_i32_i24_e32 v3, -6, v0
	s_waitcnt lgkmcnt(0)
	v_cmp_ge_i32_e64 s[0:1], v4, v5
	v_cmp_lt_i32_e32 vcc, v4, v5
	s_and_saveexec_b64 s[2:3], vcc
	s_cbranch_execz .LBB82_7
; %bb.6:
	v_add_u32_e32 v2, v1, v3
	ds_read_u8 v2, v2 offset:4096
	s_andn2_b64 s[0:1], s[0:1], exec
	s_waitcnt lgkmcnt(0)
	v_and_b32_e32 v2, 1, v2
	v_cmp_eq_u32_e32 vcc, 1, v2
	s_xor_b64 s[8:9], vcc, -1
	s_and_b64 s[8:9], s[8:9], exec
	s_or_b64 s[0:1], s[0:1], s[8:9]
.LBB82_7:
	s_or_b64 exec, exec, s[2:3]
	v_lshlrev_b32_e32 v2, 1, v0
	v_mov_b32_e32 v8, s6
	v_add_u32_e32 v6, 4, v2
	s_and_saveexec_b64 s[2:3], s[0:1]
	s_cbranch_execz .LBB82_9
; %bb.8:
	ds_read_u8 v7, v6 offset:4097
	s_waitcnt lgkmcnt(0)
	v_xor_b32_e32 v8, 1, v7
.LBB82_9:
	s_or_b64 exec, exec, s[2:3]
	v_and_b32_e32 v7, 1, v0
	v_cmp_eq_u32_e32 vcc, v8, v7
	s_and_saveexec_b64 s[0:1], vcc
	s_cbranch_execz .LBB82_11
; %bb.10:
	v_add_u32_e32 v9, v1, v3
	ds_read_u8 v10, v6 offset:4097
	ds_read_u8 v11, v9 offset:4096
	ds_write2_b32 v1, v5, v4 offset1:1
	s_waitcnt lgkmcnt(2)
	ds_write_b8 v9, v10 offset:4096
	s_waitcnt lgkmcnt(2)
	ds_write_b8 v6, v11 offset:4097
.LBB82_11:
	s_or_b64 exec, exec, s[0:1]
	v_sub_u32_e32 v9, v2, v7
	v_add_u32_e32 v7, 4, v9
	v_lshl_add_u32 v8, v9, 2, 4
	v_mad_i32_i24 v5, v9, 3, v7
	s_waitcnt lgkmcnt(0)
	s_barrier
	ds_read_b32 v4, v8
	ds_read_b32 v5, v5 offset:8
	s_mov_b64 s[0:1], -1
                                        ; implicit-def: $sgpr6
	s_waitcnt lgkmcnt(0)
	v_cmp_lt_i32_e32 vcc, v4, v5
	s_and_saveexec_b64 s[2:3], vcc
	s_xor_b64 s[2:3], exec, s[2:3]
	s_cbranch_execz .LBB82_13
; %bb.12:
	ds_read_u8 v10, v7 offset:4096
	s_mov_b32 s6, 1
	s_waitcnt lgkmcnt(0)
	v_and_b32_e32 v10, 1, v10
	v_cmp_eq_u32_e32 vcc, 1, v10
	s_xor_b64 s[0:1], vcc, -1
	s_orn2_b64 s[0:1], s[0:1], exec
.LBB82_13:
	s_or_b64 exec, exec, s[2:3]
	v_mul_i32_i24_e32 v9, 3, v9
	v_mov_b32_e32 v11, s6
	s_and_saveexec_b64 s[2:3], s[0:1]
	s_cbranch_execz .LBB82_15
; %bb.14:
	ds_read_u8 v10, v7 offset:4098
	s_waitcnt lgkmcnt(0)
	v_xor_b32_e32 v11, 1, v10
.LBB82_15:
	s_or_b64 exec, exec, s[2:3]
	v_bfe_u32 v10, v0, 1, 1
	v_cmp_eq_u32_e32 vcc, v11, v10
	v_add_u32_e32 v9, v7, v9
	s_and_saveexec_b64 s[0:1], vcc
	s_cbranch_execz .LBB82_17
; %bb.16:
	ds_read_u8 v11, v7 offset:4098
	ds_read_u8 v12, v7 offset:4096
	ds_write_b32 v8, v5
	ds_write_b32 v9, v4 offset:8
	s_waitcnt lgkmcnt(3)
	ds_write_b8 v7, v11 offset:4096
	s_waitcnt lgkmcnt(3)
	ds_write_b8 v7, v12 offset:4098
.LBB82_17:
	s_or_b64 exec, exec, s[0:1]
	s_waitcnt lgkmcnt(0)
	s_barrier
	ds_read2_b32 v[4:5], v1 offset1:1
                                        ; implicit-def: $sgpr6
	s_waitcnt lgkmcnt(0)
	v_cmp_ge_i32_e64 s[0:1], v4, v5
	v_cmp_lt_i32_e32 vcc, v4, v5
	s_and_saveexec_b64 s[2:3], vcc
	s_cbranch_execnz .LBB82_309
; %bb.18:
	s_or_b64 exec, exec, s[2:3]
	v_mov_b32_e32 v11, s6
	s_and_saveexec_b64 s[2:3], s[0:1]
	s_cbranch_execnz .LBB82_310
.LBB82_19:
	s_or_b64 exec, exec, s[2:3]
	v_cmp_eq_u32_e32 vcc, v11, v10
	s_and_saveexec_b64 s[0:1], vcc
	s_cbranch_execz .LBB82_21
.LBB82_20:
	v_add_u32_e32 v11, v1, v3
	ds_read_u8 v12, v6 offset:4097
	ds_read_u8 v13, v11 offset:4096
	ds_write2_b32 v1, v5, v4 offset1:1
	s_waitcnt lgkmcnt(2)
	ds_write_b8 v11, v12 offset:4096
	s_waitcnt lgkmcnt(2)
	ds_write_b8 v6, v13 offset:4097
.LBB82_21:
	s_or_b64 exec, exec, s[0:1]
	v_and_b32_e32 v4, 3, v0
	v_sub_u32_e32 v12, v2, v4
	v_add_u32_e32 v10, 4, v12
	v_lshl_add_u32 v11, v12, 2, 4
	v_mad_i32_i24 v5, v12, 3, v10
	s_waitcnt lgkmcnt(0)
	s_barrier
	ds_read_b32 v4, v11
	ds_read_b32 v5, v5 offset:16
                                        ; implicit-def: $sgpr6
	s_waitcnt lgkmcnt(0)
	v_cmp_ge_i32_e64 s[0:1], v4, v5
	v_cmp_lt_i32_e32 vcc, v4, v5
	s_and_saveexec_b64 s[2:3], vcc
	s_cbranch_execz .LBB82_23
; %bb.22:
	ds_read_u8 v13, v10 offset:4096
	s_andn2_b64 s[0:1], s[0:1], exec
	s_mov_b32 s6, 1
	s_waitcnt lgkmcnt(0)
	v_and_b32_e32 v13, 1, v13
	v_cmp_eq_u32_e32 vcc, 1, v13
	s_xor_b64 s[8:9], vcc, -1
	s_and_b64 s[8:9], s[8:9], exec
	s_or_b64 s[0:1], s[0:1], s[8:9]
.LBB82_23:
	s_or_b64 exec, exec, s[2:3]
	v_mul_i32_i24_e32 v12, 3, v12
	v_mov_b32_e32 v14, s6
	s_and_saveexec_b64 s[2:3], s[0:1]
	s_cbranch_execz .LBB82_25
; %bb.24:
	ds_read_u8 v13, v10 offset:4100
	s_waitcnt lgkmcnt(0)
	v_xor_b32_e32 v14, 1, v13
.LBB82_25:
	s_or_b64 exec, exec, s[2:3]
	v_bfe_u32 v13, v0, 2, 1
	v_cmp_eq_u32_e32 vcc, v14, v13
	v_add_u32_e32 v12, v10, v12
	s_and_saveexec_b64 s[0:1], vcc
	s_cbranch_execz .LBB82_27
; %bb.26:
	ds_read_u8 v14, v10 offset:4100
	ds_read_u8 v15, v10 offset:4096
	ds_write_b32 v11, v5
	ds_write_b32 v12, v4 offset:16
	s_waitcnt lgkmcnt(3)
	ds_write_b8 v10, v14 offset:4096
	s_waitcnt lgkmcnt(3)
	ds_write_b8 v10, v15 offset:4100
.LBB82_27:
	s_or_b64 exec, exec, s[0:1]
	s_waitcnt lgkmcnt(0)
	s_barrier
	ds_read_b32 v4, v8
	ds_read_b32 v5, v9 offset:8
                                        ; implicit-def: $sgpr6
	s_waitcnt lgkmcnt(0)
	v_cmp_ge_i32_e64 s[0:1], v4, v5
	v_cmp_lt_i32_e32 vcc, v4, v5
	s_and_saveexec_b64 s[2:3], vcc
	s_cbranch_execnz .LBB82_311
; %bb.28:
	s_or_b64 exec, exec, s[2:3]
	v_mov_b32_e32 v14, s6
	s_and_saveexec_b64 s[2:3], s[0:1]
	s_cbranch_execnz .LBB82_312
.LBB82_29:
	s_or_b64 exec, exec, s[2:3]
	v_cmp_eq_u32_e32 vcc, v14, v13
	s_and_saveexec_b64 s[0:1], vcc
	s_cbranch_execz .LBB82_31
.LBB82_30:
	ds_read_u8 v14, v7 offset:4098
	ds_read_u8 v15, v7 offset:4096
	ds_write_b32 v8, v5
	ds_write_b32 v9, v4 offset:8
	s_waitcnt lgkmcnt(3)
	ds_write_b8 v7, v14 offset:4096
	s_waitcnt lgkmcnt(3)
	ds_write_b8 v7, v15 offset:4098
.LBB82_31:
	s_or_b64 exec, exec, s[0:1]
	s_waitcnt lgkmcnt(0)
	s_barrier
	ds_read2_b32 v[4:5], v1 offset1:1
                                        ; implicit-def: $sgpr6
	s_waitcnt lgkmcnt(0)
	v_cmp_ge_i32_e64 s[0:1], v4, v5
	v_cmp_lt_i32_e32 vcc, v4, v5
	s_and_saveexec_b64 s[2:3], vcc
	s_cbranch_execnz .LBB82_313
; %bb.32:
	s_or_b64 exec, exec, s[2:3]
	v_mov_b32_e32 v14, s6
	s_and_saveexec_b64 s[2:3], s[0:1]
	s_cbranch_execnz .LBB82_314
.LBB82_33:
	s_or_b64 exec, exec, s[2:3]
	v_cmp_eq_u32_e32 vcc, v14, v13
	s_and_saveexec_b64 s[0:1], vcc
	s_cbranch_execz .LBB82_35
.LBB82_34:
	v_add_u32_e32 v13, v1, v3
	ds_read_u8 v15, v6 offset:4097
	ds_read_u8 v16, v13 offset:4096
	ds_write2_b32 v1, v5, v4 offset1:1
	s_waitcnt lgkmcnt(2)
	ds_write_b8 v13, v15 offset:4096
	s_waitcnt lgkmcnt(2)
	ds_write_b8 v6, v16 offset:4097
.LBB82_35:
	s_or_b64 exec, exec, s[0:1]
	v_and_b32_e32 v4, 7, v0
	v_sub_u32_e32 v13, v2, v4
	v_add_u32_e32 v14, 4, v13
	v_lshl_add_u32 v15, v13, 2, 4
	v_mad_i32_i24 v5, v13, 3, v14
	s_waitcnt lgkmcnt(0)
	s_barrier
	ds_read_b32 v4, v15
	ds_read_b32 v5, v5 offset:32
                                        ; implicit-def: $sgpr6
	s_waitcnt lgkmcnt(0)
	v_cmp_ge_i32_e64 s[0:1], v4, v5
	v_cmp_lt_i32_e32 vcc, v4, v5
	s_and_saveexec_b64 s[2:3], vcc
	s_cbranch_execz .LBB82_37
; %bb.36:
	ds_read_u8 v16, v14 offset:4096
	s_andn2_b64 s[0:1], s[0:1], exec
	s_mov_b32 s6, 1
	s_waitcnt lgkmcnt(0)
	v_and_b32_e32 v16, 1, v16
	v_cmp_eq_u32_e32 vcc, 1, v16
	s_xor_b64 s[8:9], vcc, -1
	s_and_b64 s[8:9], s[8:9], exec
	s_or_b64 s[0:1], s[0:1], s[8:9]
.LBB82_37:
	s_or_b64 exec, exec, s[2:3]
	v_mul_i32_i24_e32 v16, 3, v13
	v_mov_b32_e32 v17, s6
	s_and_saveexec_b64 s[2:3], s[0:1]
	s_cbranch_execz .LBB82_39
; %bb.38:
	ds_read_u8 v13, v14 offset:4104
	s_waitcnt lgkmcnt(0)
	v_xor_b32_e32 v17, 1, v13
.LBB82_39:
	s_or_b64 exec, exec, s[2:3]
	v_bfe_u32 v13, v0, 3, 1
	v_cmp_eq_u32_e32 vcc, v17, v13
	v_add_u32_e32 v16, v14, v16
	s_and_saveexec_b64 s[0:1], vcc
	s_cbranch_execz .LBB82_41
; %bb.40:
	ds_read_u8 v17, v14 offset:4104
	ds_read_u8 v18, v14 offset:4096
	ds_write_b32 v15, v5
	ds_write_b32 v16, v4 offset:32
	s_waitcnt lgkmcnt(3)
	ds_write_b8 v14, v17 offset:4096
	s_waitcnt lgkmcnt(3)
	ds_write_b8 v14, v18 offset:4104
.LBB82_41:
	s_or_b64 exec, exec, s[0:1]
	s_waitcnt lgkmcnt(0)
	s_barrier
	ds_read_b32 v4, v11
	ds_read_b32 v5, v12 offset:16
                                        ; implicit-def: $sgpr6
	s_waitcnt lgkmcnt(0)
	v_cmp_ge_i32_e64 s[0:1], v4, v5
	v_cmp_lt_i32_e32 vcc, v4, v5
	s_and_saveexec_b64 s[2:3], vcc
	s_cbranch_execnz .LBB82_315
; %bb.42:
	s_or_b64 exec, exec, s[2:3]
	v_mov_b32_e32 v17, s6
	s_and_saveexec_b64 s[2:3], s[0:1]
	s_cbranch_execnz .LBB82_316
.LBB82_43:
	s_or_b64 exec, exec, s[2:3]
	v_cmp_eq_u32_e32 vcc, v17, v13
	s_and_saveexec_b64 s[0:1], vcc
	s_cbranch_execz .LBB82_45
.LBB82_44:
	ds_read_u8 v17, v10 offset:4100
	ds_read_u8 v18, v10 offset:4096
	ds_write_b32 v11, v5
	ds_write_b32 v12, v4 offset:16
	s_waitcnt lgkmcnt(3)
	ds_write_b8 v10, v17 offset:4096
	s_waitcnt lgkmcnt(3)
	ds_write_b8 v10, v18 offset:4100
.LBB82_45:
	s_or_b64 exec, exec, s[0:1]
	s_waitcnt lgkmcnt(0)
	s_barrier
	ds_read_b32 v4, v8
	ds_read_b32 v5, v9 offset:8
                                        ; implicit-def: $sgpr6
	s_waitcnt lgkmcnt(0)
	v_cmp_ge_i32_e64 s[0:1], v4, v5
	v_cmp_lt_i32_e32 vcc, v4, v5
	s_and_saveexec_b64 s[2:3], vcc
	s_cbranch_execnz .LBB82_317
; %bb.46:
	s_or_b64 exec, exec, s[2:3]
	v_mov_b32_e32 v17, s6
	s_and_saveexec_b64 s[2:3], s[0:1]
	s_cbranch_execnz .LBB82_318
.LBB82_47:
	s_or_b64 exec, exec, s[2:3]
	v_cmp_eq_u32_e32 vcc, v17, v13
	s_and_saveexec_b64 s[0:1], vcc
	s_cbranch_execz .LBB82_49
.LBB82_48:
	ds_read_u8 v17, v7 offset:4098
	ds_read_u8 v18, v7 offset:4096
	ds_write_b32 v8, v5
	ds_write_b32 v9, v4 offset:8
	s_waitcnt lgkmcnt(3)
	ds_write_b8 v7, v17 offset:4096
	s_waitcnt lgkmcnt(3)
	ds_write_b8 v7, v18 offset:4098
.LBB82_49:
	s_or_b64 exec, exec, s[0:1]
	s_waitcnt lgkmcnt(0)
	s_barrier
	ds_read2_b32 v[4:5], v1 offset1:1
                                        ; implicit-def: $sgpr6
	s_waitcnt lgkmcnt(0)
	v_cmp_ge_i32_e64 s[0:1], v4, v5
	v_cmp_lt_i32_e32 vcc, v4, v5
	s_and_saveexec_b64 s[2:3], vcc
	s_cbranch_execnz .LBB82_319
; %bb.50:
	s_or_b64 exec, exec, s[2:3]
	v_mov_b32_e32 v17, s6
	s_and_saveexec_b64 s[2:3], s[0:1]
	s_cbranch_execnz .LBB82_320
.LBB82_51:
	s_or_b64 exec, exec, s[2:3]
	v_cmp_eq_u32_e32 vcc, v17, v13
	s_and_saveexec_b64 s[0:1], vcc
	s_cbranch_execz .LBB82_53
.LBB82_52:
	v_add_u32_e32 v13, v1, v3
	ds_read_u8 v17, v6 offset:4097
	ds_read_u8 v19, v13 offset:4096
	ds_write2_b32 v1, v5, v4 offset1:1
	s_waitcnt lgkmcnt(2)
	ds_write_b8 v13, v17 offset:4096
	s_waitcnt lgkmcnt(2)
	ds_write_b8 v6, v19 offset:4097
.LBB82_53:
	s_or_b64 exec, exec, s[0:1]
	v_and_b32_e32 v4, 15, v0
	v_sub_u32_e32 v13, v2, v4
	v_add_u32_e32 v17, 4, v13
	v_lshl_add_u32 v18, v13, 2, 4
	v_mad_i32_i24 v5, v13, 3, v17
	s_waitcnt lgkmcnt(0)
	s_barrier
	ds_read_b32 v4, v18
	ds_read_b32 v5, v5 offset:64
                                        ; implicit-def: $sgpr6
	s_waitcnt lgkmcnt(0)
	v_cmp_ge_i32_e64 s[0:1], v4, v5
	v_cmp_lt_i32_e32 vcc, v4, v5
	s_and_saveexec_b64 s[2:3], vcc
	s_cbranch_execz .LBB82_55
; %bb.54:
	ds_read_u8 v19, v17 offset:4096
	s_andn2_b64 s[0:1], s[0:1], exec
	s_mov_b32 s6, 1
	s_waitcnt lgkmcnt(0)
	v_and_b32_e32 v19, 1, v19
	v_cmp_eq_u32_e32 vcc, 1, v19
	s_xor_b64 s[8:9], vcc, -1
	s_and_b64 s[8:9], s[8:9], exec
	s_or_b64 s[0:1], s[0:1], s[8:9]
.LBB82_55:
	s_or_b64 exec, exec, s[2:3]
	v_mul_i32_i24_e32 v19, 3, v13
	v_mov_b32_e32 v20, s6
	s_and_saveexec_b64 s[2:3], s[0:1]
	s_cbranch_execz .LBB82_57
; %bb.56:
	ds_read_u8 v13, v17 offset:4112
	s_waitcnt lgkmcnt(0)
	v_xor_b32_e32 v20, 1, v13
.LBB82_57:
	s_or_b64 exec, exec, s[2:3]
	v_bfe_u32 v13, v0, 4, 1
	v_cmp_eq_u32_e32 vcc, v20, v13
	v_add_u32_e32 v19, v17, v19
	s_and_saveexec_b64 s[0:1], vcc
	s_cbranch_execz .LBB82_59
; %bb.58:
	ds_read_u8 v20, v17 offset:4112
	ds_read_u8 v21, v17 offset:4096
	ds_write_b32 v18, v5
	ds_write_b32 v19, v4 offset:64
	s_waitcnt lgkmcnt(3)
	ds_write_b8 v17, v20 offset:4096
	s_waitcnt lgkmcnt(3)
	ds_write_b8 v17, v21 offset:4112
.LBB82_59:
	s_or_b64 exec, exec, s[0:1]
	s_waitcnt lgkmcnt(0)
	s_barrier
	ds_read_b32 v4, v15
	ds_read_b32 v5, v16 offset:32
                                        ; implicit-def: $sgpr6
	s_waitcnt lgkmcnt(0)
	v_cmp_ge_i32_e64 s[0:1], v4, v5
	v_cmp_lt_i32_e32 vcc, v4, v5
	s_and_saveexec_b64 s[2:3], vcc
	s_cbranch_execnz .LBB82_321
; %bb.60:
	s_or_b64 exec, exec, s[2:3]
	v_mov_b32_e32 v20, s6
	s_and_saveexec_b64 s[2:3], s[0:1]
	s_cbranch_execnz .LBB82_322
.LBB82_61:
	s_or_b64 exec, exec, s[2:3]
	v_cmp_eq_u32_e32 vcc, v20, v13
	s_and_saveexec_b64 s[0:1], vcc
	s_cbranch_execz .LBB82_63
.LBB82_62:
	ds_read_u8 v20, v14 offset:4104
	ds_read_u8 v21, v14 offset:4096
	ds_write_b32 v15, v5
	ds_write_b32 v16, v4 offset:32
	s_waitcnt lgkmcnt(3)
	ds_write_b8 v14, v20 offset:4096
	s_waitcnt lgkmcnt(3)
	ds_write_b8 v14, v21 offset:4104
.LBB82_63:
	s_or_b64 exec, exec, s[0:1]
	s_waitcnt lgkmcnt(0)
	s_barrier
	ds_read_b32 v4, v11
	ds_read_b32 v5, v12 offset:16
                                        ; implicit-def: $sgpr6
	s_waitcnt lgkmcnt(0)
	v_cmp_ge_i32_e64 s[0:1], v4, v5
	v_cmp_lt_i32_e32 vcc, v4, v5
	s_and_saveexec_b64 s[2:3], vcc
	s_cbranch_execnz .LBB82_323
; %bb.64:
	s_or_b64 exec, exec, s[2:3]
	v_mov_b32_e32 v20, s6
	s_and_saveexec_b64 s[2:3], s[0:1]
	s_cbranch_execnz .LBB82_324
.LBB82_65:
	s_or_b64 exec, exec, s[2:3]
	v_cmp_eq_u32_e32 vcc, v20, v13
	s_and_saveexec_b64 s[0:1], vcc
	s_cbranch_execz .LBB82_67
.LBB82_66:
	ds_read_u8 v20, v10 offset:4100
	ds_read_u8 v21, v10 offset:4096
	ds_write_b32 v11, v5
	ds_write_b32 v12, v4 offset:16
	s_waitcnt lgkmcnt(3)
	ds_write_b8 v10, v20 offset:4096
	s_waitcnt lgkmcnt(3)
	ds_write_b8 v10, v21 offset:4100
.LBB82_67:
	s_or_b64 exec, exec, s[0:1]
	s_waitcnt lgkmcnt(0)
	s_barrier
	ds_read_b32 v4, v8
	ds_read_b32 v5, v9 offset:8
                                        ; implicit-def: $sgpr6
	s_waitcnt lgkmcnt(0)
	v_cmp_ge_i32_e64 s[0:1], v4, v5
	v_cmp_lt_i32_e32 vcc, v4, v5
	s_and_saveexec_b64 s[2:3], vcc
	s_cbranch_execnz .LBB82_325
; %bb.68:
	s_or_b64 exec, exec, s[2:3]
	v_mov_b32_e32 v20, s6
	s_and_saveexec_b64 s[2:3], s[0:1]
	s_cbranch_execnz .LBB82_326
.LBB82_69:
	s_or_b64 exec, exec, s[2:3]
	v_cmp_eq_u32_e32 vcc, v20, v13
	s_and_saveexec_b64 s[0:1], vcc
	s_cbranch_execz .LBB82_71
.LBB82_70:
	ds_read_u8 v20, v7 offset:4098
	ds_read_u8 v21, v7 offset:4096
	ds_write_b32 v8, v5
	ds_write_b32 v9, v4 offset:8
	s_waitcnt lgkmcnt(3)
	ds_write_b8 v7, v20 offset:4096
	s_waitcnt lgkmcnt(3)
	ds_write_b8 v7, v21 offset:4098
.LBB82_71:
	s_or_b64 exec, exec, s[0:1]
	s_waitcnt lgkmcnt(0)
	s_barrier
	ds_read2_b32 v[4:5], v1 offset1:1
                                        ; implicit-def: $sgpr6
	s_waitcnt lgkmcnt(0)
	v_cmp_ge_i32_e64 s[0:1], v4, v5
	v_cmp_lt_i32_e32 vcc, v4, v5
	s_and_saveexec_b64 s[2:3], vcc
	s_cbranch_execnz .LBB82_327
; %bb.72:
	s_or_b64 exec, exec, s[2:3]
	v_mov_b32_e32 v20, s6
	s_and_saveexec_b64 s[2:3], s[0:1]
	s_cbranch_execnz .LBB82_328
.LBB82_73:
	s_or_b64 exec, exec, s[2:3]
	v_cmp_eq_u32_e32 vcc, v20, v13
	s_and_saveexec_b64 s[0:1], vcc
	s_cbranch_execz .LBB82_75
.LBB82_74:
	v_add_u32_e32 v13, v1, v3
	ds_read_u8 v21, v6 offset:4097
	ds_read_u8 v22, v13 offset:4096
	ds_write2_b32 v1, v5, v4 offset1:1
	s_waitcnt lgkmcnt(2)
	ds_write_b8 v13, v21 offset:4096
	s_waitcnt lgkmcnt(2)
	ds_write_b8 v6, v22 offset:4097
.LBB82_75:
	s_or_b64 exec, exec, s[0:1]
	v_and_b32_e32 v4, 31, v0
	v_sub_u32_e32 v13, v2, v4
	v_add_u32_e32 v20, 4, v13
	v_lshl_add_u32 v21, v13, 2, 4
	v_mad_i32_i24 v5, v13, 3, v20
	s_waitcnt lgkmcnt(0)
	s_barrier
	ds_read_b32 v4, v21
	ds_read_b32 v5, v5 offset:128
                                        ; implicit-def: $sgpr6
	s_waitcnt lgkmcnt(0)
	v_cmp_ge_i32_e64 s[0:1], v4, v5
	v_cmp_lt_i32_e32 vcc, v4, v5
	s_and_saveexec_b64 s[2:3], vcc
	s_cbranch_execz .LBB82_77
; %bb.76:
	ds_read_u8 v22, v20 offset:4096
	s_andn2_b64 s[0:1], s[0:1], exec
	s_mov_b32 s6, 1
	s_waitcnt lgkmcnt(0)
	v_and_b32_e32 v22, 1, v22
	v_cmp_eq_u32_e32 vcc, 1, v22
	s_xor_b64 s[8:9], vcc, -1
	s_and_b64 s[8:9], s[8:9], exec
	s_or_b64 s[0:1], s[0:1], s[8:9]
.LBB82_77:
	s_or_b64 exec, exec, s[2:3]
	v_mul_i32_i24_e32 v22, 3, v13
	v_mov_b32_e32 v23, s6
	s_and_saveexec_b64 s[2:3], s[0:1]
	s_cbranch_execz .LBB82_79
; %bb.78:
	ds_read_u8 v13, v20 offset:4128
	s_waitcnt lgkmcnt(0)
	v_xor_b32_e32 v23, 1, v13
.LBB82_79:
	s_or_b64 exec, exec, s[2:3]
	v_bfe_u32 v13, v0, 5, 1
	v_cmp_eq_u32_e32 vcc, v23, v13
	v_add_u32_e32 v22, v20, v22
	s_and_saveexec_b64 s[0:1], vcc
	s_cbranch_execz .LBB82_81
; %bb.80:
	ds_read_u8 v23, v20 offset:4128
	ds_read_u8 v24, v20 offset:4096
	ds_write_b32 v21, v5
	ds_write_b32 v22, v4 offset:128
	s_waitcnt lgkmcnt(3)
	ds_write_b8 v20, v23 offset:4096
	s_waitcnt lgkmcnt(3)
	ds_write_b8 v20, v24 offset:4128
.LBB82_81:
	s_or_b64 exec, exec, s[0:1]
	s_waitcnt lgkmcnt(0)
	s_barrier
	ds_read_b32 v4, v18
	ds_read_b32 v5, v19 offset:64
                                        ; implicit-def: $sgpr6
	s_waitcnt lgkmcnt(0)
	v_cmp_ge_i32_e64 s[0:1], v4, v5
	v_cmp_lt_i32_e32 vcc, v4, v5
	s_and_saveexec_b64 s[2:3], vcc
	s_cbranch_execnz .LBB82_329
; %bb.82:
	s_or_b64 exec, exec, s[2:3]
	v_mov_b32_e32 v23, s6
	s_and_saveexec_b64 s[2:3], s[0:1]
	s_cbranch_execnz .LBB82_330
.LBB82_83:
	s_or_b64 exec, exec, s[2:3]
	v_cmp_eq_u32_e32 vcc, v23, v13
	s_and_saveexec_b64 s[0:1], vcc
	s_cbranch_execz .LBB82_85
.LBB82_84:
	ds_read_u8 v23, v17 offset:4112
	ds_read_u8 v24, v17 offset:4096
	ds_write_b32 v18, v5
	ds_write_b32 v19, v4 offset:64
	s_waitcnt lgkmcnt(3)
	ds_write_b8 v17, v23 offset:4096
	s_waitcnt lgkmcnt(3)
	ds_write_b8 v17, v24 offset:4112
.LBB82_85:
	s_or_b64 exec, exec, s[0:1]
	s_waitcnt lgkmcnt(0)
	s_barrier
	ds_read_b32 v4, v15
	ds_read_b32 v5, v16 offset:32
                                        ; implicit-def: $sgpr6
	s_waitcnt lgkmcnt(0)
	v_cmp_ge_i32_e64 s[0:1], v4, v5
	v_cmp_lt_i32_e32 vcc, v4, v5
	s_and_saveexec_b64 s[2:3], vcc
	s_cbranch_execnz .LBB82_331
; %bb.86:
	s_or_b64 exec, exec, s[2:3]
	v_mov_b32_e32 v23, s6
	s_and_saveexec_b64 s[2:3], s[0:1]
	s_cbranch_execnz .LBB82_332
.LBB82_87:
	s_or_b64 exec, exec, s[2:3]
	v_cmp_eq_u32_e32 vcc, v23, v13
	s_and_saveexec_b64 s[0:1], vcc
	s_cbranch_execz .LBB82_89
.LBB82_88:
	ds_read_u8 v23, v14 offset:4104
	ds_read_u8 v24, v14 offset:4096
	ds_write_b32 v15, v5
	ds_write_b32 v16, v4 offset:32
	s_waitcnt lgkmcnt(3)
	ds_write_b8 v14, v23 offset:4096
	s_waitcnt lgkmcnt(3)
	ds_write_b8 v14, v24 offset:4104
.LBB82_89:
	s_or_b64 exec, exec, s[0:1]
	s_waitcnt lgkmcnt(0)
	s_barrier
	ds_read_b32 v4, v11
	ds_read_b32 v5, v12 offset:16
                                        ; implicit-def: $sgpr6
	s_waitcnt lgkmcnt(0)
	v_cmp_ge_i32_e64 s[0:1], v4, v5
	v_cmp_lt_i32_e32 vcc, v4, v5
	s_and_saveexec_b64 s[2:3], vcc
	s_cbranch_execnz .LBB82_333
; %bb.90:
	s_or_b64 exec, exec, s[2:3]
	v_mov_b32_e32 v23, s6
	s_and_saveexec_b64 s[2:3], s[0:1]
	s_cbranch_execnz .LBB82_334
.LBB82_91:
	s_or_b64 exec, exec, s[2:3]
	v_cmp_eq_u32_e32 vcc, v23, v13
	s_and_saveexec_b64 s[0:1], vcc
	s_cbranch_execz .LBB82_93
.LBB82_92:
	ds_read_u8 v23, v10 offset:4100
	ds_read_u8 v24, v10 offset:4096
	ds_write_b32 v11, v5
	ds_write_b32 v12, v4 offset:16
	s_waitcnt lgkmcnt(3)
	ds_write_b8 v10, v23 offset:4096
	s_waitcnt lgkmcnt(3)
	ds_write_b8 v10, v24 offset:4100
.LBB82_93:
	s_or_b64 exec, exec, s[0:1]
	s_waitcnt lgkmcnt(0)
	s_barrier
	ds_read_b32 v4, v8
	ds_read_b32 v5, v9 offset:8
                                        ; implicit-def: $sgpr6
	s_waitcnt lgkmcnt(0)
	v_cmp_ge_i32_e64 s[0:1], v4, v5
	v_cmp_lt_i32_e32 vcc, v4, v5
	s_and_saveexec_b64 s[2:3], vcc
	s_cbranch_execnz .LBB82_335
; %bb.94:
	s_or_b64 exec, exec, s[2:3]
	v_mov_b32_e32 v23, s6
	s_and_saveexec_b64 s[2:3], s[0:1]
	s_cbranch_execnz .LBB82_336
.LBB82_95:
	s_or_b64 exec, exec, s[2:3]
	v_cmp_eq_u32_e32 vcc, v23, v13
	s_and_saveexec_b64 s[0:1], vcc
	s_cbranch_execz .LBB82_97
.LBB82_96:
	ds_read_u8 v23, v7 offset:4098
	ds_read_u8 v24, v7 offset:4096
	ds_write_b32 v8, v5
	ds_write_b32 v9, v4 offset:8
	s_waitcnt lgkmcnt(3)
	ds_write_b8 v7, v23 offset:4096
	s_waitcnt lgkmcnt(3)
	ds_write_b8 v7, v24 offset:4098
.LBB82_97:
	s_or_b64 exec, exec, s[0:1]
	s_waitcnt lgkmcnt(0)
	s_barrier
	ds_read2_b32 v[4:5], v1 offset1:1
                                        ; implicit-def: $sgpr6
	s_waitcnt lgkmcnt(0)
	v_cmp_ge_i32_e64 s[0:1], v4, v5
	v_cmp_lt_i32_e32 vcc, v4, v5
	s_and_saveexec_b64 s[2:3], vcc
	s_cbranch_execnz .LBB82_337
; %bb.98:
	s_or_b64 exec, exec, s[2:3]
	v_mov_b32_e32 v23, s6
	s_and_saveexec_b64 s[2:3], s[0:1]
	s_cbranch_execnz .LBB82_338
.LBB82_99:
	s_or_b64 exec, exec, s[2:3]
	v_cmp_eq_u32_e32 vcc, v23, v13
	s_and_saveexec_b64 s[0:1], vcc
	s_cbranch_execz .LBB82_101
.LBB82_100:
	v_add_u32_e32 v13, v1, v3
	ds_read_u8 v23, v6 offset:4097
	ds_read_u8 v25, v13 offset:4096
	ds_write2_b32 v1, v5, v4 offset1:1
	s_waitcnt lgkmcnt(2)
	ds_write_b8 v13, v23 offset:4096
	s_waitcnt lgkmcnt(2)
	ds_write_b8 v6, v25 offset:4097
.LBB82_101:
	s_or_b64 exec, exec, s[0:1]
	v_and_b32_e32 v13, 63, v0
	v_sub_u32_e32 v25, v2, v13
	v_add_u32_e32 v23, 4, v25
	v_lshl_add_u32 v24, v25, 2, 4
	v_mad_i32_i24 v5, v25, 3, v23
	s_waitcnt lgkmcnt(0)
	s_barrier
	ds_read_b32 v4, v24
	ds_read_b32 v5, v5 offset:256
                                        ; implicit-def: $sgpr6
	s_waitcnt lgkmcnt(0)
	v_cmp_ge_i32_e64 s[0:1], v4, v5
	v_cmp_lt_i32_e32 vcc, v4, v5
	s_and_saveexec_b64 s[2:3], vcc
	s_cbranch_execz .LBB82_103
; %bb.102:
	ds_read_u8 v26, v23 offset:4096
	s_andn2_b64 s[0:1], s[0:1], exec
	s_mov_b32 s6, 1
	s_waitcnt lgkmcnt(0)
	v_and_b32_e32 v26, 1, v26
	v_cmp_eq_u32_e32 vcc, 1, v26
	s_xor_b64 s[8:9], vcc, -1
	s_and_b64 s[8:9], s[8:9], exec
	s_or_b64 s[0:1], s[0:1], s[8:9]
.LBB82_103:
	s_or_b64 exec, exec, s[2:3]
	v_mul_i32_i24_e32 v25, 3, v25
	v_mov_b32_e32 v27, s6
	s_and_saveexec_b64 s[2:3], s[0:1]
	s_cbranch_execz .LBB82_105
; %bb.104:
	ds_read_u8 v26, v23 offset:4160
	s_waitcnt lgkmcnt(0)
	v_xor_b32_e32 v27, 1, v26
.LBB82_105:
	s_or_b64 exec, exec, s[2:3]
	v_bfe_u32 v26, v0, 6, 1
	v_cmp_eq_u32_e32 vcc, v27, v26
	v_add_u32_e32 v25, v23, v25
	s_and_saveexec_b64 s[0:1], vcc
	s_cbranch_execz .LBB82_107
; %bb.106:
	ds_read_u8 v27, v23 offset:4160
	ds_read_u8 v28, v23 offset:4096
	ds_write_b32 v24, v5
	ds_write_b32 v25, v4 offset:256
	s_waitcnt lgkmcnt(3)
	ds_write_b8 v23, v27 offset:4096
	s_waitcnt lgkmcnt(3)
	ds_write_b8 v23, v28 offset:4160
.LBB82_107:
	s_or_b64 exec, exec, s[0:1]
	s_waitcnt lgkmcnt(0)
	s_barrier
	ds_read_b32 v4, v21
	ds_read_b32 v5, v22 offset:128
                                        ; implicit-def: $sgpr6
	s_waitcnt lgkmcnt(0)
	v_cmp_ge_i32_e64 s[0:1], v4, v5
	v_cmp_lt_i32_e32 vcc, v4, v5
	s_and_saveexec_b64 s[2:3], vcc
	s_cbranch_execnz .LBB82_339
; %bb.108:
	s_or_b64 exec, exec, s[2:3]
	v_mov_b32_e32 v27, s6
	s_and_saveexec_b64 s[2:3], s[0:1]
	s_cbranch_execnz .LBB82_340
.LBB82_109:
	s_or_b64 exec, exec, s[2:3]
	v_cmp_eq_u32_e32 vcc, v27, v26
	s_and_saveexec_b64 s[0:1], vcc
	s_cbranch_execz .LBB82_111
.LBB82_110:
	ds_read_u8 v27, v20 offset:4128
	ds_read_u8 v28, v20 offset:4096
	ds_write_b32 v21, v5
	ds_write_b32 v22, v4 offset:128
	s_waitcnt lgkmcnt(3)
	ds_write_b8 v20, v27 offset:4096
	s_waitcnt lgkmcnt(3)
	ds_write_b8 v20, v28 offset:4128
.LBB82_111:
	s_or_b64 exec, exec, s[0:1]
	s_waitcnt lgkmcnt(0)
	s_barrier
	ds_read_b32 v4, v18
	ds_read_b32 v5, v19 offset:64
                                        ; implicit-def: $sgpr6
	s_waitcnt lgkmcnt(0)
	v_cmp_ge_i32_e64 s[0:1], v4, v5
	v_cmp_lt_i32_e32 vcc, v4, v5
	s_and_saveexec_b64 s[2:3], vcc
	s_cbranch_execnz .LBB82_341
; %bb.112:
	s_or_b64 exec, exec, s[2:3]
	v_mov_b32_e32 v27, s6
	s_and_saveexec_b64 s[2:3], s[0:1]
	s_cbranch_execnz .LBB82_342
.LBB82_113:
	s_or_b64 exec, exec, s[2:3]
	v_cmp_eq_u32_e32 vcc, v27, v26
	s_and_saveexec_b64 s[0:1], vcc
	s_cbranch_execz .LBB82_115
.LBB82_114:
	ds_read_u8 v27, v17 offset:4112
	ds_read_u8 v28, v17 offset:4096
	ds_write_b32 v18, v5
	ds_write_b32 v19, v4 offset:64
	s_waitcnt lgkmcnt(3)
	ds_write_b8 v17, v27 offset:4096
	s_waitcnt lgkmcnt(3)
	ds_write_b8 v17, v28 offset:4112
.LBB82_115:
	s_or_b64 exec, exec, s[0:1]
	s_waitcnt lgkmcnt(0)
	s_barrier
	ds_read_b32 v4, v15
	ds_read_b32 v5, v16 offset:32
                                        ; implicit-def: $sgpr6
	s_waitcnt lgkmcnt(0)
	v_cmp_ge_i32_e64 s[0:1], v4, v5
	v_cmp_lt_i32_e32 vcc, v4, v5
	s_and_saveexec_b64 s[2:3], vcc
	s_cbranch_execnz .LBB82_343
; %bb.116:
	s_or_b64 exec, exec, s[2:3]
	v_mov_b32_e32 v27, s6
	s_and_saveexec_b64 s[2:3], s[0:1]
	s_cbranch_execnz .LBB82_344
.LBB82_117:
	s_or_b64 exec, exec, s[2:3]
	v_cmp_eq_u32_e32 vcc, v27, v26
	s_and_saveexec_b64 s[0:1], vcc
	s_cbranch_execz .LBB82_119
.LBB82_118:
	ds_read_u8 v27, v14 offset:4104
	ds_read_u8 v28, v14 offset:4096
	ds_write_b32 v15, v5
	ds_write_b32 v16, v4 offset:32
	s_waitcnt lgkmcnt(3)
	ds_write_b8 v14, v27 offset:4096
	s_waitcnt lgkmcnt(3)
	ds_write_b8 v14, v28 offset:4104
.LBB82_119:
	s_or_b64 exec, exec, s[0:1]
	s_waitcnt lgkmcnt(0)
	s_barrier
	ds_read_b32 v4, v11
	ds_read_b32 v5, v12 offset:16
                                        ; implicit-def: $sgpr6
	s_waitcnt lgkmcnt(0)
	v_cmp_ge_i32_e64 s[0:1], v4, v5
	v_cmp_lt_i32_e32 vcc, v4, v5
	s_and_saveexec_b64 s[2:3], vcc
	s_cbranch_execnz .LBB82_345
; %bb.120:
	s_or_b64 exec, exec, s[2:3]
	v_mov_b32_e32 v27, s6
	s_and_saveexec_b64 s[2:3], s[0:1]
	s_cbranch_execnz .LBB82_346
.LBB82_121:
	s_or_b64 exec, exec, s[2:3]
	v_cmp_eq_u32_e32 vcc, v27, v26
	s_and_saveexec_b64 s[0:1], vcc
	s_cbranch_execz .LBB82_123
.LBB82_122:
	ds_read_u8 v27, v10 offset:4100
	ds_read_u8 v28, v10 offset:4096
	ds_write_b32 v11, v5
	ds_write_b32 v12, v4 offset:16
	s_waitcnt lgkmcnt(3)
	ds_write_b8 v10, v27 offset:4096
	s_waitcnt lgkmcnt(3)
	ds_write_b8 v10, v28 offset:4100
.LBB82_123:
	s_or_b64 exec, exec, s[0:1]
	s_waitcnt lgkmcnt(0)
	s_barrier
	ds_read_b32 v4, v8
	ds_read_b32 v5, v9 offset:8
                                        ; implicit-def: $sgpr6
	s_waitcnt lgkmcnt(0)
	v_cmp_ge_i32_e64 s[0:1], v4, v5
	v_cmp_lt_i32_e32 vcc, v4, v5
	s_and_saveexec_b64 s[2:3], vcc
	s_cbranch_execnz .LBB82_347
; %bb.124:
	s_or_b64 exec, exec, s[2:3]
	v_mov_b32_e32 v27, s6
	s_and_saveexec_b64 s[2:3], s[0:1]
	s_cbranch_execnz .LBB82_348
.LBB82_125:
	s_or_b64 exec, exec, s[2:3]
	v_cmp_eq_u32_e32 vcc, v27, v26
	s_and_saveexec_b64 s[0:1], vcc
	s_cbranch_execz .LBB82_127
.LBB82_126:
	ds_read_u8 v27, v7 offset:4098
	ds_read_u8 v28, v7 offset:4096
	ds_write_b32 v8, v5
	ds_write_b32 v9, v4 offset:8
	s_waitcnt lgkmcnt(3)
	ds_write_b8 v7, v27 offset:4096
	s_waitcnt lgkmcnt(3)
	ds_write_b8 v7, v28 offset:4098
.LBB82_127:
	s_or_b64 exec, exec, s[0:1]
	s_waitcnt lgkmcnt(0)
	s_barrier
	ds_read2_b32 v[4:5], v1 offset1:1
                                        ; implicit-def: $sgpr6
	s_waitcnt lgkmcnt(0)
	v_cmp_ge_i32_e64 s[0:1], v4, v5
	v_cmp_lt_i32_e32 vcc, v4, v5
	s_and_saveexec_b64 s[2:3], vcc
	s_cbranch_execnz .LBB82_349
; %bb.128:
	s_or_b64 exec, exec, s[2:3]
	v_mov_b32_e32 v27, s6
	s_and_saveexec_b64 s[2:3], s[0:1]
	s_cbranch_execnz .LBB82_350
.LBB82_129:
	s_or_b64 exec, exec, s[2:3]
	v_cmp_eq_u32_e32 vcc, v27, v26
	s_and_saveexec_b64 s[0:1], vcc
	s_cbranch_execz .LBB82_131
.LBB82_130:
	v_add_u32_e32 v27, v1, v3
	ds_read_u8 v28, v6 offset:4097
	ds_read_u8 v29, v27 offset:4096
	ds_write2_b32 v1, v5, v4 offset1:1
	s_waitcnt lgkmcnt(2)
	ds_write_b8 v27, v28 offset:4096
	s_waitcnt lgkmcnt(2)
	ds_write_b8 v6, v29 offset:4097
.LBB82_131:
	s_or_b64 exec, exec, s[0:1]
	v_and_b32_e32 v4, 0x7f, v0
	v_sub_u32_e32 v28, v2, v4
	v_add_u32_e32 v26, 4, v28
	v_lshl_add_u32 v27, v28, 2, 4
	v_mad_i32_i24 v5, v28, 3, v26
	s_waitcnt lgkmcnt(0)
	s_barrier
	ds_read_b32 v4, v27
	ds_read_b32 v5, v5 offset:512
                                        ; implicit-def: $sgpr6
	s_waitcnt lgkmcnt(0)
	v_cmp_ge_i32_e64 s[0:1], v4, v5
	v_cmp_lt_i32_e32 vcc, v4, v5
	s_and_saveexec_b64 s[2:3], vcc
	s_cbranch_execz .LBB82_133
; %bb.132:
	ds_read_u8 v29, v26 offset:4096
	s_andn2_b64 s[0:1], s[0:1], exec
	s_mov_b32 s6, 1
	s_waitcnt lgkmcnt(0)
	v_and_b32_e32 v29, 1, v29
	v_cmp_eq_u32_e32 vcc, 1, v29
	s_xor_b64 s[8:9], vcc, -1
	s_and_b64 s[8:9], s[8:9], exec
	s_or_b64 s[0:1], s[0:1], s[8:9]
.LBB82_133:
	s_or_b64 exec, exec, s[2:3]
	v_mul_i32_i24_e32 v28, 3, v28
	v_mov_b32_e32 v30, s6
	s_and_saveexec_b64 s[2:3], s[0:1]
	s_cbranch_execz .LBB82_135
; %bb.134:
	ds_read_u8 v29, v26 offset:4224
	s_waitcnt lgkmcnt(0)
	v_xor_b32_e32 v30, 1, v29
.LBB82_135:
	s_or_b64 exec, exec, s[2:3]
	v_bfe_u32 v29, v0, 7, 1
	v_cmp_eq_u32_e32 vcc, v30, v29
	v_add_u32_e32 v28, v26, v28
	s_and_saveexec_b64 s[0:1], vcc
	s_cbranch_execz .LBB82_137
; %bb.136:
	ds_read_u8 v30, v26 offset:4224
	ds_read_u8 v31, v26 offset:4096
	ds_write_b32 v27, v5
	ds_write_b32 v28, v4 offset:512
	s_waitcnt lgkmcnt(3)
	ds_write_b8 v26, v30 offset:4096
	s_waitcnt lgkmcnt(3)
	ds_write_b8 v26, v31 offset:4224
.LBB82_137:
	s_or_b64 exec, exec, s[0:1]
	s_waitcnt lgkmcnt(0)
	s_barrier
	ds_read_b32 v4, v24
	ds_read_b32 v5, v25 offset:256
                                        ; implicit-def: $sgpr6
	s_waitcnt lgkmcnt(0)
	v_cmp_ge_i32_e64 s[0:1], v4, v5
	v_cmp_lt_i32_e32 vcc, v4, v5
	s_and_saveexec_b64 s[2:3], vcc
	s_cbranch_execnz .LBB82_351
; %bb.138:
	s_or_b64 exec, exec, s[2:3]
	v_mov_b32_e32 v30, s6
	s_and_saveexec_b64 s[2:3], s[0:1]
	s_cbranch_execnz .LBB82_352
.LBB82_139:
	s_or_b64 exec, exec, s[2:3]
	v_cmp_eq_u32_e32 vcc, v30, v29
	s_and_saveexec_b64 s[0:1], vcc
	s_cbranch_execz .LBB82_141
.LBB82_140:
	ds_read_u8 v30, v23 offset:4160
	ds_read_u8 v31, v23 offset:4096
	ds_write_b32 v24, v5
	ds_write_b32 v25, v4 offset:256
	s_waitcnt lgkmcnt(3)
	ds_write_b8 v23, v30 offset:4096
	s_waitcnt lgkmcnt(3)
	ds_write_b8 v23, v31 offset:4160
.LBB82_141:
	s_or_b64 exec, exec, s[0:1]
	s_waitcnt lgkmcnt(0)
	s_barrier
	ds_read_b32 v4, v21
	ds_read_b32 v5, v22 offset:128
                                        ; implicit-def: $sgpr6
	s_waitcnt lgkmcnt(0)
	v_cmp_ge_i32_e64 s[0:1], v4, v5
	v_cmp_lt_i32_e32 vcc, v4, v5
	s_and_saveexec_b64 s[2:3], vcc
	s_cbranch_execnz .LBB82_353
; %bb.142:
	s_or_b64 exec, exec, s[2:3]
	v_mov_b32_e32 v30, s6
	s_and_saveexec_b64 s[2:3], s[0:1]
	s_cbranch_execnz .LBB82_354
.LBB82_143:
	s_or_b64 exec, exec, s[2:3]
	v_cmp_eq_u32_e32 vcc, v30, v29
	s_and_saveexec_b64 s[0:1], vcc
	s_cbranch_execz .LBB82_145
.LBB82_144:
	ds_read_u8 v30, v20 offset:4128
	ds_read_u8 v31, v20 offset:4096
	ds_write_b32 v21, v5
	ds_write_b32 v22, v4 offset:128
	s_waitcnt lgkmcnt(3)
	ds_write_b8 v20, v30 offset:4096
	s_waitcnt lgkmcnt(3)
	ds_write_b8 v20, v31 offset:4128
.LBB82_145:
	s_or_b64 exec, exec, s[0:1]
	s_waitcnt lgkmcnt(0)
	s_barrier
	ds_read_b32 v4, v18
	ds_read_b32 v5, v19 offset:64
                                        ; implicit-def: $sgpr6
	s_waitcnt lgkmcnt(0)
	v_cmp_ge_i32_e64 s[0:1], v4, v5
	v_cmp_lt_i32_e32 vcc, v4, v5
	s_and_saveexec_b64 s[2:3], vcc
	s_cbranch_execnz .LBB82_355
; %bb.146:
	s_or_b64 exec, exec, s[2:3]
	v_mov_b32_e32 v30, s6
	s_and_saveexec_b64 s[2:3], s[0:1]
	s_cbranch_execnz .LBB82_356
.LBB82_147:
	s_or_b64 exec, exec, s[2:3]
	v_cmp_eq_u32_e32 vcc, v30, v29
	s_and_saveexec_b64 s[0:1], vcc
	s_cbranch_execz .LBB82_149
.LBB82_148:
	ds_read_u8 v30, v17 offset:4112
	ds_read_u8 v31, v17 offset:4096
	ds_write_b32 v18, v5
	ds_write_b32 v19, v4 offset:64
	s_waitcnt lgkmcnt(3)
	ds_write_b8 v17, v30 offset:4096
	s_waitcnt lgkmcnt(3)
	ds_write_b8 v17, v31 offset:4112
.LBB82_149:
	s_or_b64 exec, exec, s[0:1]
	s_waitcnt lgkmcnt(0)
	s_barrier
	ds_read_b32 v4, v15
	ds_read_b32 v5, v16 offset:32
                                        ; implicit-def: $sgpr6
	s_waitcnt lgkmcnt(0)
	v_cmp_ge_i32_e64 s[0:1], v4, v5
	v_cmp_lt_i32_e32 vcc, v4, v5
	s_and_saveexec_b64 s[2:3], vcc
	s_cbranch_execnz .LBB82_357
; %bb.150:
	s_or_b64 exec, exec, s[2:3]
	v_mov_b32_e32 v30, s6
	s_and_saveexec_b64 s[2:3], s[0:1]
	s_cbranch_execnz .LBB82_358
.LBB82_151:
	s_or_b64 exec, exec, s[2:3]
	v_cmp_eq_u32_e32 vcc, v30, v29
	s_and_saveexec_b64 s[0:1], vcc
	s_cbranch_execz .LBB82_153
.LBB82_152:
	ds_read_u8 v30, v14 offset:4104
	ds_read_u8 v31, v14 offset:4096
	ds_write_b32 v15, v5
	ds_write_b32 v16, v4 offset:32
	s_waitcnt lgkmcnt(3)
	ds_write_b8 v14, v30 offset:4096
	s_waitcnt lgkmcnt(3)
	ds_write_b8 v14, v31 offset:4104
.LBB82_153:
	s_or_b64 exec, exec, s[0:1]
	s_waitcnt lgkmcnt(0)
	s_barrier
	ds_read_b32 v4, v11
	ds_read_b32 v5, v12 offset:16
                                        ; implicit-def: $sgpr6
	s_waitcnt lgkmcnt(0)
	v_cmp_ge_i32_e64 s[0:1], v4, v5
	v_cmp_lt_i32_e32 vcc, v4, v5
	s_and_saveexec_b64 s[2:3], vcc
	s_cbranch_execnz .LBB82_359
; %bb.154:
	s_or_b64 exec, exec, s[2:3]
	v_mov_b32_e32 v30, s6
	s_and_saveexec_b64 s[2:3], s[0:1]
	s_cbranch_execnz .LBB82_360
.LBB82_155:
	s_or_b64 exec, exec, s[2:3]
	v_cmp_eq_u32_e32 vcc, v30, v29
	s_and_saveexec_b64 s[0:1], vcc
	s_cbranch_execz .LBB82_157
.LBB82_156:
	ds_read_u8 v30, v10 offset:4100
	ds_read_u8 v31, v10 offset:4096
	ds_write_b32 v11, v5
	ds_write_b32 v12, v4 offset:16
	s_waitcnt lgkmcnt(3)
	ds_write_b8 v10, v30 offset:4096
	s_waitcnt lgkmcnt(3)
	ds_write_b8 v10, v31 offset:4100
.LBB82_157:
	s_or_b64 exec, exec, s[0:1]
	s_waitcnt lgkmcnt(0)
	s_barrier
	ds_read_b32 v4, v8
	ds_read_b32 v5, v9 offset:8
                                        ; implicit-def: $sgpr6
	s_waitcnt lgkmcnt(0)
	v_cmp_ge_i32_e64 s[0:1], v4, v5
	v_cmp_lt_i32_e32 vcc, v4, v5
	s_and_saveexec_b64 s[2:3], vcc
	s_cbranch_execnz .LBB82_361
; %bb.158:
	s_or_b64 exec, exec, s[2:3]
	v_mov_b32_e32 v30, s6
	s_and_saveexec_b64 s[2:3], s[0:1]
	s_cbranch_execnz .LBB82_362
.LBB82_159:
	s_or_b64 exec, exec, s[2:3]
	v_cmp_eq_u32_e32 vcc, v30, v29
	s_and_saveexec_b64 s[0:1], vcc
	s_cbranch_execz .LBB82_161
.LBB82_160:
	ds_read_u8 v30, v7 offset:4098
	ds_read_u8 v31, v7 offset:4096
	ds_write_b32 v8, v5
	ds_write_b32 v9, v4 offset:8
	s_waitcnt lgkmcnt(3)
	ds_write_b8 v7, v30 offset:4096
	s_waitcnt lgkmcnt(3)
	ds_write_b8 v7, v31 offset:4098
.LBB82_161:
	s_or_b64 exec, exec, s[0:1]
	s_waitcnt lgkmcnt(0)
	s_barrier
	ds_read2_b32 v[4:5], v1 offset1:1
                                        ; implicit-def: $sgpr6
	s_waitcnt lgkmcnt(0)
	v_cmp_ge_i32_e64 s[0:1], v4, v5
	v_cmp_lt_i32_e32 vcc, v4, v5
	s_and_saveexec_b64 s[2:3], vcc
	s_cbranch_execnz .LBB82_363
; %bb.162:
	s_or_b64 exec, exec, s[2:3]
	v_mov_b32_e32 v30, s6
	s_and_saveexec_b64 s[2:3], s[0:1]
	s_cbranch_execnz .LBB82_364
.LBB82_163:
	s_or_b64 exec, exec, s[2:3]
	v_cmp_eq_u32_e32 vcc, v30, v29
	s_and_saveexec_b64 s[0:1], vcc
	s_cbranch_execz .LBB82_165
.LBB82_164:
	v_add_u32_e32 v29, v1, v3
	ds_read_u8 v31, v6 offset:4097
	ds_read_u8 v32, v29 offset:4096
	ds_write2_b32 v1, v5, v4 offset1:1
	s_waitcnt lgkmcnt(2)
	ds_write_b8 v29, v31 offset:4096
	s_waitcnt lgkmcnt(2)
	ds_write_b8 v6, v32 offset:4097
.LBB82_165:
	s_or_b64 exec, exec, s[0:1]
	v_sub_u32_sdwa v31, v2, v0 dst_sel:DWORD dst_unused:UNUSED_PAD src0_sel:DWORD src1_sel:BYTE_0
	v_add_u32_e32 v29, 4, v31
	v_lshl_add_u32 v30, v31, 2, 4
	v_mad_i32_i24 v5, v31, 3, v29
	s_waitcnt lgkmcnt(0)
	s_barrier
	ds_read_b32 v4, v30
	ds_read_b32 v5, v5 offset:1024
                                        ; implicit-def: $sgpr6
	s_waitcnt lgkmcnt(0)
	v_cmp_ge_i32_e64 s[0:1], v4, v5
	v_cmp_lt_i32_e32 vcc, v4, v5
	s_and_saveexec_b64 s[2:3], vcc
	s_cbranch_execz .LBB82_167
; %bb.166:
	ds_read_u8 v32, v29 offset:4096
	s_andn2_b64 s[0:1], s[0:1], exec
	s_mov_b32 s6, 1
	s_waitcnt lgkmcnt(0)
	v_and_b32_e32 v32, 1, v32
	v_cmp_eq_u32_e32 vcc, 1, v32
	s_xor_b64 s[8:9], vcc, -1
	s_and_b64 s[8:9], s[8:9], exec
	s_or_b64 s[0:1], s[0:1], s[8:9]
.LBB82_167:
	s_or_b64 exec, exec, s[2:3]
	v_mul_i32_i24_e32 v31, 3, v31
	v_mov_b32_e32 v33, s6
	s_and_saveexec_b64 s[2:3], s[0:1]
	s_cbranch_execz .LBB82_169
; %bb.168:
	ds_read_u8 v32, v29 offset:4352
	s_waitcnt lgkmcnt(0)
	v_xor_b32_e32 v33, 1, v32
.LBB82_169:
	s_or_b64 exec, exec, s[2:3]
	v_bfe_u32 v32, v0, 8, 1
	v_cmp_eq_u32_e32 vcc, v33, v32
	v_add_u32_e32 v31, v29, v31
	s_and_saveexec_b64 s[0:1], vcc
	s_cbranch_execz .LBB82_171
; %bb.170:
	ds_read_u8 v33, v29 offset:4352
	ds_read_u8 v34, v29 offset:4096
	ds_write_b32 v30, v5
	ds_write_b32 v31, v4 offset:1024
	s_waitcnt lgkmcnt(3)
	ds_write_b8 v29, v33 offset:4096
	s_waitcnt lgkmcnt(3)
	ds_write_b8 v29, v34 offset:4352
.LBB82_171:
	s_or_b64 exec, exec, s[0:1]
	s_waitcnt lgkmcnt(0)
	s_barrier
	ds_read_b32 v4, v27
	ds_read_b32 v5, v28 offset:512
                                        ; implicit-def: $sgpr6
	s_waitcnt lgkmcnt(0)
	v_cmp_ge_i32_e64 s[0:1], v4, v5
	v_cmp_lt_i32_e32 vcc, v4, v5
	s_and_saveexec_b64 s[2:3], vcc
	s_cbranch_execnz .LBB82_365
; %bb.172:
	s_or_b64 exec, exec, s[2:3]
	v_mov_b32_e32 v33, s6
	s_and_saveexec_b64 s[2:3], s[0:1]
	s_cbranch_execnz .LBB82_366
.LBB82_173:
	s_or_b64 exec, exec, s[2:3]
	v_cmp_eq_u32_e32 vcc, v33, v32
	s_and_saveexec_b64 s[0:1], vcc
	s_cbranch_execz .LBB82_175
.LBB82_174:
	ds_read_u8 v33, v26 offset:4224
	ds_read_u8 v34, v26 offset:4096
	ds_write_b32 v27, v5
	ds_write_b32 v28, v4 offset:512
	s_waitcnt lgkmcnt(3)
	ds_write_b8 v26, v33 offset:4096
	s_waitcnt lgkmcnt(3)
	ds_write_b8 v26, v34 offset:4224
.LBB82_175:
	s_or_b64 exec, exec, s[0:1]
	s_waitcnt lgkmcnt(0)
	s_barrier
	ds_read_b32 v4, v24
	ds_read_b32 v5, v25 offset:256
                                        ; implicit-def: $sgpr6
	s_waitcnt lgkmcnt(0)
	v_cmp_ge_i32_e64 s[0:1], v4, v5
	v_cmp_lt_i32_e32 vcc, v4, v5
	s_and_saveexec_b64 s[2:3], vcc
	s_cbranch_execnz .LBB82_367
; %bb.176:
	s_or_b64 exec, exec, s[2:3]
	v_mov_b32_e32 v33, s6
	s_and_saveexec_b64 s[2:3], s[0:1]
	s_cbranch_execnz .LBB82_368
.LBB82_177:
	s_or_b64 exec, exec, s[2:3]
	v_cmp_eq_u32_e32 vcc, v33, v32
	s_and_saveexec_b64 s[0:1], vcc
	s_cbranch_execz .LBB82_179
.LBB82_178:
	ds_read_u8 v33, v23 offset:4160
	ds_read_u8 v34, v23 offset:4096
	ds_write_b32 v24, v5
	ds_write_b32 v25, v4 offset:256
	s_waitcnt lgkmcnt(3)
	ds_write_b8 v23, v33 offset:4096
	s_waitcnt lgkmcnt(3)
	ds_write_b8 v23, v34 offset:4160
.LBB82_179:
	s_or_b64 exec, exec, s[0:1]
	s_waitcnt lgkmcnt(0)
	s_barrier
	ds_read_b32 v4, v21
	ds_read_b32 v5, v22 offset:128
                                        ; implicit-def: $sgpr6
	s_waitcnt lgkmcnt(0)
	v_cmp_ge_i32_e64 s[0:1], v4, v5
	v_cmp_lt_i32_e32 vcc, v4, v5
	s_and_saveexec_b64 s[2:3], vcc
	s_cbranch_execnz .LBB82_369
; %bb.180:
	s_or_b64 exec, exec, s[2:3]
	v_mov_b32_e32 v33, s6
	s_and_saveexec_b64 s[2:3], s[0:1]
	s_cbranch_execnz .LBB82_370
.LBB82_181:
	s_or_b64 exec, exec, s[2:3]
	v_cmp_eq_u32_e32 vcc, v33, v32
	s_and_saveexec_b64 s[0:1], vcc
	s_cbranch_execz .LBB82_183
.LBB82_182:
	ds_read_u8 v33, v20 offset:4128
	ds_read_u8 v34, v20 offset:4096
	ds_write_b32 v21, v5
	ds_write_b32 v22, v4 offset:128
	s_waitcnt lgkmcnt(3)
	ds_write_b8 v20, v33 offset:4096
	s_waitcnt lgkmcnt(3)
	ds_write_b8 v20, v34 offset:4128
.LBB82_183:
	s_or_b64 exec, exec, s[0:1]
	s_waitcnt lgkmcnt(0)
	s_barrier
	ds_read_b32 v4, v18
	ds_read_b32 v5, v19 offset:64
                                        ; implicit-def: $sgpr6
	s_waitcnt lgkmcnt(0)
	v_cmp_ge_i32_e64 s[0:1], v4, v5
	v_cmp_lt_i32_e32 vcc, v4, v5
	s_and_saveexec_b64 s[2:3], vcc
	s_cbranch_execnz .LBB82_371
; %bb.184:
	s_or_b64 exec, exec, s[2:3]
	v_mov_b32_e32 v33, s6
	s_and_saveexec_b64 s[2:3], s[0:1]
	s_cbranch_execnz .LBB82_372
.LBB82_185:
	s_or_b64 exec, exec, s[2:3]
	v_cmp_eq_u32_e32 vcc, v33, v32
	s_and_saveexec_b64 s[0:1], vcc
	s_cbranch_execz .LBB82_187
.LBB82_186:
	ds_read_u8 v33, v17 offset:4112
	ds_read_u8 v34, v17 offset:4096
	ds_write_b32 v18, v5
	ds_write_b32 v19, v4 offset:64
	s_waitcnt lgkmcnt(3)
	ds_write_b8 v17, v33 offset:4096
	s_waitcnt lgkmcnt(3)
	ds_write_b8 v17, v34 offset:4112
.LBB82_187:
	s_or_b64 exec, exec, s[0:1]
	s_waitcnt lgkmcnt(0)
	s_barrier
	ds_read_b32 v4, v15
	ds_read_b32 v5, v16 offset:32
                                        ; implicit-def: $sgpr6
	s_waitcnt lgkmcnt(0)
	v_cmp_ge_i32_e64 s[0:1], v4, v5
	v_cmp_lt_i32_e32 vcc, v4, v5
	s_and_saveexec_b64 s[2:3], vcc
	s_cbranch_execnz .LBB82_373
; %bb.188:
	s_or_b64 exec, exec, s[2:3]
	v_mov_b32_e32 v33, s6
	s_and_saveexec_b64 s[2:3], s[0:1]
	s_cbranch_execnz .LBB82_374
.LBB82_189:
	s_or_b64 exec, exec, s[2:3]
	v_cmp_eq_u32_e32 vcc, v33, v32
	s_and_saveexec_b64 s[0:1], vcc
	s_cbranch_execz .LBB82_191
.LBB82_190:
	ds_read_u8 v33, v14 offset:4104
	ds_read_u8 v34, v14 offset:4096
	ds_write_b32 v15, v5
	ds_write_b32 v16, v4 offset:32
	s_waitcnt lgkmcnt(3)
	ds_write_b8 v14, v33 offset:4096
	s_waitcnt lgkmcnt(3)
	ds_write_b8 v14, v34 offset:4104
.LBB82_191:
	s_or_b64 exec, exec, s[0:1]
	s_waitcnt lgkmcnt(0)
	s_barrier
	ds_read_b32 v4, v11
	ds_read_b32 v5, v12 offset:16
                                        ; implicit-def: $sgpr6
	s_waitcnt lgkmcnt(0)
	v_cmp_ge_i32_e64 s[0:1], v4, v5
	v_cmp_lt_i32_e32 vcc, v4, v5
	s_and_saveexec_b64 s[2:3], vcc
	s_cbranch_execnz .LBB82_375
; %bb.192:
	s_or_b64 exec, exec, s[2:3]
	v_mov_b32_e32 v33, s6
	s_and_saveexec_b64 s[2:3], s[0:1]
	s_cbranch_execnz .LBB82_376
.LBB82_193:
	s_or_b64 exec, exec, s[2:3]
	v_cmp_eq_u32_e32 vcc, v33, v32
	s_and_saveexec_b64 s[0:1], vcc
	s_cbranch_execz .LBB82_195
.LBB82_194:
	ds_read_u8 v33, v10 offset:4100
	ds_read_u8 v34, v10 offset:4096
	ds_write_b32 v11, v5
	ds_write_b32 v12, v4 offset:16
	s_waitcnt lgkmcnt(3)
	ds_write_b8 v10, v33 offset:4096
	s_waitcnt lgkmcnt(3)
	ds_write_b8 v10, v34 offset:4100
.LBB82_195:
	s_or_b64 exec, exec, s[0:1]
	s_waitcnt lgkmcnt(0)
	s_barrier
	ds_read_b32 v4, v8
	ds_read_b32 v5, v9 offset:8
                                        ; implicit-def: $sgpr6
	s_waitcnt lgkmcnt(0)
	v_cmp_ge_i32_e64 s[0:1], v4, v5
	v_cmp_lt_i32_e32 vcc, v4, v5
	s_and_saveexec_b64 s[2:3], vcc
	s_cbranch_execnz .LBB82_377
; %bb.196:
	s_or_b64 exec, exec, s[2:3]
	v_mov_b32_e32 v33, s6
	s_and_saveexec_b64 s[2:3], s[0:1]
	s_cbranch_execnz .LBB82_378
.LBB82_197:
	s_or_b64 exec, exec, s[2:3]
	v_cmp_eq_u32_e32 vcc, v33, v32
	s_and_saveexec_b64 s[0:1], vcc
	s_cbranch_execz .LBB82_199
.LBB82_198:
	ds_read_u8 v33, v7 offset:4098
	ds_read_u8 v34, v7 offset:4096
	ds_write_b32 v8, v5
	ds_write_b32 v9, v4 offset:8
	s_waitcnt lgkmcnt(3)
	ds_write_b8 v7, v33 offset:4096
	s_waitcnt lgkmcnt(3)
	ds_write_b8 v7, v34 offset:4098
.LBB82_199:
	s_or_b64 exec, exec, s[0:1]
	s_waitcnt lgkmcnt(0)
	s_barrier
	ds_read2_b32 v[4:5], v1 offset1:1
                                        ; implicit-def: $sgpr6
	s_waitcnt lgkmcnt(0)
	v_cmp_ge_i32_e64 s[0:1], v4, v5
	v_cmp_lt_i32_e32 vcc, v4, v5
	s_and_saveexec_b64 s[2:3], vcc
	s_cbranch_execnz .LBB82_379
; %bb.200:
	s_or_b64 exec, exec, s[2:3]
	v_mov_b32_e32 v33, s6
	s_and_saveexec_b64 s[2:3], s[0:1]
	s_cbranch_execnz .LBB82_380
.LBB82_201:
	s_or_b64 exec, exec, s[2:3]
	v_cmp_eq_u32_e32 vcc, v33, v32
	s_and_saveexec_b64 s[0:1], vcc
	s_cbranch_execz .LBB82_203
.LBB82_202:
	v_add_u32_e32 v33, v1, v3
	ds_read_u8 v34, v6 offset:4097
	ds_read_u8 v35, v33 offset:4096
	ds_write2_b32 v1, v5, v4 offset1:1
	s_waitcnt lgkmcnt(2)
	ds_write_b8 v33, v34 offset:4096
	s_waitcnt lgkmcnt(2)
	ds_write_b8 v6, v35 offset:4097
.LBB82_203:
	s_or_b64 exec, exec, s[0:1]
	v_and_b32_e32 v4, 0x1ff, v0
	v_sub_u32_e32 v5, v2, v4
	v_add_u32_e32 v4, 4, v5
	v_lshl_add_u32 v32, v5, 2, 4
	v_mad_i32_i24 v34, v5, 3, v4
	s_waitcnt lgkmcnt(0)
	s_barrier
	ds_read_b32 v33, v32
	ds_read_b32 v34, v34 offset:2048
                                        ; implicit-def: $sgpr6
	s_waitcnt lgkmcnt(0)
	v_cmp_ge_i32_e64 s[0:1], v33, v34
	v_cmp_lt_i32_e32 vcc, v33, v34
	s_and_saveexec_b64 s[2:3], vcc
	s_cbranch_execnz .LBB82_381
; %bb.204:
	s_or_b64 exec, exec, s[2:3]
	v_mov_b32_e32 v35, s6
	s_and_saveexec_b64 s[2:3], s[0:1]
	s_cbranch_execnz .LBB82_382
.LBB82_205:
	s_or_b64 exec, exec, s[2:3]
	v_cmp_eq_u32_e32 vcc, 0, v35
	s_and_saveexec_b64 s[0:1], vcc
	s_cbranch_execz .LBB82_207
.LBB82_206:
	ds_read_u8 v35, v4 offset:4096
	ds_read_u8 v36, v4 offset:4608
	v_mul_i32_i24_e32 v5, 3, v5
	v_add_u32_e32 v5, v4, v5
	ds_write_b32 v32, v34
	ds_write_b32 v5, v33 offset:2048
	s_waitcnt lgkmcnt(2)
	ds_write_b8 v4, v36 offset:4096
	ds_write_b8 v4, v35 offset:4608
.LBB82_207:
	s_or_b64 exec, exec, s[0:1]
	s_waitcnt lgkmcnt(0)
	s_barrier
	ds_read_b32 v4, v30
	ds_read_b32 v5, v31 offset:1024
                                        ; implicit-def: $sgpr6
	s_waitcnt lgkmcnt(0)
	v_cmp_ge_i32_e64 s[0:1], v4, v5
	v_cmp_lt_i32_e32 vcc, v4, v5
	s_and_saveexec_b64 s[2:3], vcc
	s_cbranch_execnz .LBB82_383
; %bb.208:
	s_or_b64 exec, exec, s[2:3]
	v_mov_b32_e32 v32, s6
	s_and_saveexec_b64 s[2:3], s[0:1]
	s_cbranch_execnz .LBB82_384
.LBB82_209:
	s_or_b64 exec, exec, s[2:3]
	v_cmp_eq_u32_e32 vcc, 0, v32
	s_and_saveexec_b64 s[0:1], vcc
	s_cbranch_execz .LBB82_211
.LBB82_210:
	ds_read_u8 v32, v29 offset:4352
	ds_read_u8 v33, v29 offset:4096
	ds_write_b32 v30, v5
	ds_write_b32 v31, v4 offset:1024
	s_waitcnt lgkmcnt(3)
	ds_write_b8 v29, v32 offset:4096
	s_waitcnt lgkmcnt(3)
	ds_write_b8 v29, v33 offset:4352
.LBB82_211:
	s_or_b64 exec, exec, s[0:1]
	s_waitcnt lgkmcnt(0)
	s_barrier
	ds_read_b32 v4, v27
	ds_read_b32 v5, v28 offset:512
                                        ; implicit-def: $sgpr6
	s_waitcnt lgkmcnt(0)
	v_cmp_ge_i32_e64 s[0:1], v4, v5
	v_cmp_lt_i32_e32 vcc, v4, v5
	s_and_saveexec_b64 s[2:3], vcc
	s_cbranch_execnz .LBB82_385
; %bb.212:
	s_or_b64 exec, exec, s[2:3]
	v_mov_b32_e32 v29, s6
	s_and_saveexec_b64 s[2:3], s[0:1]
	s_cbranch_execnz .LBB82_386
.LBB82_213:
	s_or_b64 exec, exec, s[2:3]
	v_cmp_eq_u32_e32 vcc, 0, v29
	s_and_saveexec_b64 s[0:1], vcc
	s_cbranch_execz .LBB82_215
.LBB82_214:
	ds_read_u8 v29, v26 offset:4224
	ds_read_u8 v30, v26 offset:4096
	ds_write_b32 v27, v5
	ds_write_b32 v28, v4 offset:512
	s_waitcnt lgkmcnt(3)
	ds_write_b8 v26, v29 offset:4096
	s_waitcnt lgkmcnt(3)
	ds_write_b8 v26, v30 offset:4224
.LBB82_215:
	s_or_b64 exec, exec, s[0:1]
	s_waitcnt lgkmcnt(0)
	s_barrier
	ds_read_b32 v4, v24
	ds_read_b32 v5, v25 offset:256
	s_waitcnt lgkmcnt(0)
	v_cmp_ge_i32_e64 s[2:3], v4, v5
	v_cmp_lt_i32_e32 vcc, v4, v5
	s_and_saveexec_b64 s[0:1], vcc
	s_cbranch_execz .LBB82_217
; %bb.216:
	ds_read_u8 v26, v23 offset:4096
	s_andn2_b64 s[2:3], s[2:3], exec
	s_waitcnt lgkmcnt(0)
	v_and_b32_e32 v26, 1, v26
	v_cmp_eq_u32_e32 vcc, 1, v26
	s_xor_b64 s[6:7], vcc, -1
	s_and_b64 s[6:7], s[6:7], exec
	s_or_b64 s[2:3], s[2:3], s[6:7]
.LBB82_217:
	s_or_b64 exec, exec, s[0:1]
	s_and_saveexec_b64 s[0:1], s[2:3]
	s_cbranch_execz .LBB82_220
; %bb.218:
	ds_read_u8 v26, v23 offset:4160
	s_waitcnt lgkmcnt(0)
	v_cmp_ne_u16_e32 vcc, 0, v26
	s_and_b64 exec, exec, vcc
	s_cbranch_execz .LBB82_220
; %bb.219:
	ds_read_u8 v27, v23 offset:4096
	ds_write_b32 v24, v5
	ds_write_b32 v25, v4 offset:256
	ds_write_b8 v23, v26 offset:4096
	s_waitcnt lgkmcnt(3)
	ds_write_b8 v23, v27 offset:4160
.LBB82_220:
	s_or_b64 exec, exec, s[0:1]
	s_waitcnt lgkmcnt(0)
	s_barrier
	ds_read_b32 v4, v21
	ds_read_b32 v5, v22 offset:128
	s_waitcnt lgkmcnt(0)
	v_cmp_ge_i32_e64 s[2:3], v4, v5
	v_cmp_lt_i32_e32 vcc, v4, v5
	s_and_saveexec_b64 s[0:1], vcc
	s_cbranch_execz .LBB82_222
; %bb.221:
	ds_read_u8 v23, v20 offset:4096
	s_andn2_b64 s[2:3], s[2:3], exec
	s_waitcnt lgkmcnt(0)
	v_and_b32_e32 v23, 1, v23
	v_cmp_eq_u32_e32 vcc, 1, v23
	s_xor_b64 s[6:7], vcc, -1
	s_and_b64 s[6:7], s[6:7], exec
	s_or_b64 s[2:3], s[2:3], s[6:7]
.LBB82_222:
	s_or_b64 exec, exec, s[0:1]
	s_and_saveexec_b64 s[0:1], s[2:3]
	s_cbranch_execz .LBB82_225
; %bb.223:
	ds_read_u8 v23, v20 offset:4128
	s_waitcnt lgkmcnt(0)
	v_cmp_ne_u16_e32 vcc, 0, v23
	s_and_b64 exec, exec, vcc
	s_cbranch_execz .LBB82_225
; %bb.224:
	ds_read_u8 v24, v20 offset:4096
	ds_write_b32 v21, v5
	ds_write_b32 v22, v4 offset:128
	ds_write_b8 v20, v23 offset:4096
	s_waitcnt lgkmcnt(3)
	ds_write_b8 v20, v24 offset:4128
.LBB82_225:
	;; [unrolled: 37-line block ×6, first 2 shown]
	s_or_b64 exec, exec, s[0:1]
	s_waitcnt lgkmcnt(0)
	s_barrier
	ds_read2_b32 v[4:5], v1 offset1:1
	s_waitcnt lgkmcnt(0)
	v_cmp_ge_i32_e64 s[2:3], v4, v5
	v_cmp_lt_i32_e32 vcc, v4, v5
	s_and_saveexec_b64 s[0:1], vcc
	s_cbranch_execz .LBB82_247
; %bb.246:
	v_add_u32_e32 v7, v1, v3
	ds_read_u8 v7, v7 offset:4096
	s_andn2_b64 s[2:3], s[2:3], exec
	s_waitcnt lgkmcnt(0)
	v_and_b32_e32 v7, 1, v7
	v_cmp_eq_u32_e32 vcc, 1, v7
	s_xor_b64 s[6:7], vcc, -1
	s_and_b64 s[6:7], s[6:7], exec
	s_or_b64 s[2:3], s[2:3], s[6:7]
.LBB82_247:
	s_or_b64 exec, exec, s[0:1]
	s_and_saveexec_b64 s[0:1], s[2:3]
	s_cbranch_execz .LBB82_250
; %bb.248:
	ds_read_u8 v7, v6 offset:4097
	s_waitcnt lgkmcnt(0)
	v_cmp_ne_u16_e32 vcc, 0, v7
	s_and_b64 exec, exec, vcc
	s_cbranch_execz .LBB82_250
; %bb.249:
	v_add_u32_e32 v9, v1, v3
	ds_read_u8 v10, v9 offset:4096
	v_mov_b32_e32 v3, v4
	ds_write2_b32 v1, v5, v4 offset1:1
	ds_write_b8 v9, v7 offset:4096
	s_waitcnt lgkmcnt(2)
	ds_write_b8 v6, v10 offset:4097
.LBB82_250:
	s_or_b64 exec, exec, s[0:1]
	v_cmp_eq_u32_e32 vcc, 0, v0
	s_waitcnt lgkmcnt(0)
	s_barrier
	s_barrier
	s_and_saveexec_b64 s[0:1], vcc
	s_cbranch_execz .LBB82_252
; %bb.251:
	v_mov_b32_e32 v3, 4
	v_mov_b32_e32 v4, 1
	ds_write_b8 v3, v4 offset:4100
	v_mov_b32_e32 v4, 0
	ds_write_b32 v3, v4 offset:4096
.LBB82_252:
	s_or_b64 exec, exec, s[0:1]
	ds_read2_b32 v[4:5], v1 offset1:1
	s_add_i32 s10, 4, 0x1000
	v_lshl_add_u32 v1, v2, 3, s10
	s_waitcnt lgkmcnt(0)
	v_cmp_ne_u32_e64 s[0:1], v4, v5
	v_cndmask_b32_e64 v3, 0, 1, s[0:1]
	v_cmp_eq_u32_e64 s[0:1], v4, v5
	ds_write_b8 v1, v3 offset:12
	v_cndmask_b32_e64 v3, 0, 1, s[0:1]
	s_movk_i32 s0, 0x1ff
	v_cmp_gt_u32_e64 s[2:3], s0, v0
	ds_write_b32 v1, v3 offset:8
	s_and_saveexec_b64 s[6:7], s[2:3]
	s_cbranch_execz .LBB82_254
; %bb.253:
	v_lshl_add_u32 v3, v2, 2, 4
	ds_read_b32 v3, v3 offset:8
	s_waitcnt lgkmcnt(0)
	v_cmp_ne_u32_e64 s[0:1], v5, v3
	v_cndmask_b32_e64 v4, 0, 1, s[0:1]
	v_cmp_eq_u32_e64 s[0:1], v5, v3
	v_cndmask_b32_e64 v3, 0, 1, s[0:1]
	ds_write_b8 v1, v4 offset:20
	ds_write_b32 v1, v3 offset:16
.LBB82_254:
	s_or_b64 exec, exec, s[6:7]
	s_movk_i32 s0, 0x200
	v_cmp_gt_u32_e64 s[0:1], s0, v0
	v_lshl_add_u32 v3, v2, 3, 4
	s_waitcnt lgkmcnt(0)
	s_barrier
	s_and_saveexec_b64 s[6:7], s[0:1]
	s_cbranch_execz .LBB82_256
; %bb.255:
	ds_read_u8 v4, v1 offset:12
	ds_read_b32 v5, v3 offset:4096
	ds_read_b32 v6, v1 offset:8
	ds_read_u8 v7, v3 offset:4100
	s_waitcnt lgkmcnt(3)
	v_and_b32_e32 v8, 1, v4
	v_cmp_eq_u32_e64 s[0:1], 1, v8
	s_waitcnt lgkmcnt(2)
	v_cndmask_b32_e64 v5, v5, 0, s[0:1]
	s_waitcnt lgkmcnt(0)
	v_or_b32_e32 v4, v7, v4
	v_add_u32_e32 v5, v5, v6
	v_and_b32_e32 v4, 1, v4
	ds_write2_b32 v1, v5, v4 offset0:2 offset1:3
.LBB82_256:
	s_or_b64 exec, exec, s[6:7]
	v_add_u32_e32 v14, 2, v2
	v_lshlrev_b32_e32 v4, 1, v14
	s_movk_i32 s0, 0x100
	v_add_u32_e32 v5, -1, v4
	v_cmp_gt_u32_e64 s[0:1], s0, v0
	s_waitcnt lgkmcnt(0)
	s_barrier
	s_and_saveexec_b64 s[6:7], s[0:1]
	s_cbranch_execz .LBB82_258
; %bb.257:
	v_lshl_add_u32 v6, v5, 3, 4
	ds_read_b32 v7, v6 offset:4096
	ds_read_u8 v8, v6 offset:4100
	v_lshl_add_u32 v9, v4, 3, 4
	ds_read_b32 v10, v9 offset:4072
	ds_read_u8 v9, v9 offset:4076
	v_add_u32_e32 v6, 0x1000, v6
	s_waitcnt lgkmcnt(2)
	v_and_b32_e32 v11, 1, v8
	v_cmp_eq_u32_e64 s[0:1], 1, v11
	s_waitcnt lgkmcnt(1)
	v_cndmask_b32_e64 v10, v10, 0, s[0:1]
	s_waitcnt lgkmcnt(0)
	v_or_b32_e32 v8, v9, v8
	v_add_u32_e32 v7, v10, v7
	v_and_b32_e32 v8, 1, v8
	ds_write2_b32 v6, v7, v8 offset1:1
.LBB82_258:
	s_or_b64 exec, exec, s[6:7]
	s_movk_i32 s0, 0x80
	v_lshlrev_b32_e32 v6, 2, v14
	v_add_u32_e32 v5, v5, v4
	v_cmp_gt_u32_e64 s[0:1], s0, v0
	s_waitcnt lgkmcnt(0)
	s_barrier
	s_and_saveexec_b64 s[6:7], s[0:1]
	s_cbranch_execz .LBB82_260
; %bb.259:
	v_lshl_add_u32 v7, v5, 3, 4
	ds_read_b32 v8, v7 offset:4096
	ds_read_u8 v9, v7 offset:4100
	v_lshl_add_u32 v10, v6, 3, 4
	ds_read_b32 v11, v10 offset:4056
	ds_read_u8 v10, v10 offset:4060
	v_add_u32_e32 v7, 0x1000, v7
	s_waitcnt lgkmcnt(2)
	v_and_b32_e32 v12, 1, v9
	v_cmp_eq_u32_e64 s[0:1], 1, v12
	s_waitcnt lgkmcnt(1)
	v_cndmask_b32_e64 v11, v11, 0, s[0:1]
	s_waitcnt lgkmcnt(0)
	v_or_b32_e32 v9, v10, v9
	v_add_u32_e32 v8, v11, v8
	v_and_b32_e32 v9, 1, v9
	ds_write2_b32 v7, v8, v9 offset1:1
.LBB82_260:
	s_or_b64 exec, exec, s[6:7]
	v_lshlrev_b32_e32 v8, 3, v14
	v_add_u32_e32 v7, v5, v6
	v_cmp_gt_u32_e64 s[0:1], 64, v0
	s_waitcnt lgkmcnt(0)
	s_barrier
	s_and_saveexec_b64 s[8:9], s[0:1]
	s_cbranch_execz .LBB82_262
; %bb.261:
	v_lshl_add_u32 v9, v7, 3, 4
	ds_read_b32 v10, v9 offset:4096
	ds_read_u8 v11, v9 offset:4100
	v_lshl_add_u32 v12, v8, 3, 4
	ds_read_b32 v15, v12 offset:4024
	ds_read_u8 v12, v12 offset:4028
	v_add_u32_e32 v9, 0x1000, v9
	s_waitcnt lgkmcnt(2)
	v_and_b32_e32 v16, 1, v11
	v_cmp_eq_u32_e64 s[6:7], 1, v16
	s_waitcnt lgkmcnt(1)
	v_cndmask_b32_e64 v15, v15, 0, s[6:7]
	s_waitcnt lgkmcnt(0)
	v_or_b32_e32 v11, v12, v11
	v_add_u32_e32 v10, v15, v10
	v_and_b32_e32 v11, 1, v11
	ds_write2_b32 v9, v10, v11 offset1:1
.LBB82_262:
	s_or_b64 exec, exec, s[8:9]
	v_lshlrev_b32_e32 v10, 4, v14
	v_add_u32_e32 v9, v7, v8
	v_cmp_gt_u32_e64 s[6:7], 32, v0
	s_waitcnt lgkmcnt(0)
	s_barrier
	s_and_saveexec_b64 s[8:9], s[6:7]
	s_cbranch_execz .LBB82_264
; %bb.263:
	v_lshl_add_u32 v11, v9, 3, 4
	ds_read_b32 v12, v11 offset:4096
	ds_read_u8 v15, v11 offset:4100
	v_lshl_add_u32 v16, v10, 3, 4
	ds_read_b32 v17, v16 offset:3960
	ds_read_u8 v16, v16 offset:3964
	v_add_u32_e32 v11, 0x1000, v11
	s_waitcnt lgkmcnt(2)
	v_and_b32_e32 v18, 1, v15
	v_cmp_eq_u32_e64 s[6:7], 1, v18
	s_waitcnt lgkmcnt(1)
	v_cndmask_b32_e64 v17, v17, 0, s[6:7]
	s_waitcnt lgkmcnt(0)
	v_or_b32_e32 v15, v16, v15
	v_add_u32_e32 v12, v17, v12
	v_and_b32_e32 v15, 1, v15
	ds_write2_b32 v11, v12, v15 offset1:1
.LBB82_264:
	s_or_b64 exec, exec, s[8:9]
	v_lshlrev_b32_e32 v12, 5, v14
	v_add_u32_e32 v11, v9, v10
	v_cmp_gt_u32_e64 s[6:7], 16, v0
	s_waitcnt lgkmcnt(0)
	s_barrier
	s_and_saveexec_b64 s[8:9], s[6:7]
	s_cbranch_execz .LBB82_266
; %bb.265:
	v_lshl_add_u32 v15, v11, 3, 4
	ds_read_b32 v16, v15 offset:4096
	ds_read_u8 v17, v15 offset:4100
	v_lshl_add_u32 v18, v12, 3, 4
	ds_read_b32 v19, v18 offset:3832
	ds_read_u8 v18, v18 offset:3836
	v_add_u32_e32 v15, 0x1000, v15
	s_waitcnt lgkmcnt(2)
	v_and_b32_e32 v20, 1, v17
	v_cmp_eq_u32_e64 s[6:7], 1, v20
	s_waitcnt lgkmcnt(1)
	v_cndmask_b32_e64 v19, v19, 0, s[6:7]
	s_waitcnt lgkmcnt(0)
	v_or_b32_e32 v17, v18, v17
	v_add_u32_e32 v16, v19, v16
	v_and_b32_e32 v17, 1, v17
	ds_write2_b32 v15, v16, v17 offset1:1
.LBB82_266:
	s_or_b64 exec, exec, s[8:9]
	v_lshlrev_b32_e32 v16, 6, v14
	v_add_u32_e32 v15, v11, v12
	v_cmp_gt_u32_e64 s[6:7], 8, v0
	s_waitcnt lgkmcnt(0)
	s_barrier
	s_and_saveexec_b64 s[8:9], s[6:7]
	s_cbranch_execz .LBB82_268
; %bb.267:
	v_lshl_add_u32 v17, v15, 3, 4
	ds_read_b32 v18, v17 offset:4096
	ds_read_u8 v19, v17 offset:4100
	v_lshl_add_u32 v20, v16, 3, 4
	ds_read_b32 v21, v20 offset:3576
	ds_read_u8 v20, v20 offset:3580
	v_add_u32_e32 v17, 0x1000, v17
	s_waitcnt lgkmcnt(2)
	v_and_b32_e32 v22, 1, v19
	v_cmp_eq_u32_e64 s[6:7], 1, v22
	s_waitcnt lgkmcnt(1)
	v_cndmask_b32_e64 v21, v21, 0, s[6:7]
	s_waitcnt lgkmcnt(0)
	v_or_b32_e32 v19, v20, v19
	v_add_u32_e32 v18, v21, v18
	v_and_b32_e32 v19, 1, v19
	ds_write2_b32 v17, v18, v19 offset1:1
.LBB82_268:
	s_or_b64 exec, exec, s[8:9]
	v_lshlrev_b32_e32 v18, 7, v14
	v_add_u32_e32 v17, v15, v16
	v_cmp_gt_u32_e64 s[6:7], 4, v0
	s_waitcnt lgkmcnt(0)
	s_barrier
	s_and_saveexec_b64 s[8:9], s[6:7]
	s_cbranch_execz .LBB82_270
; %bb.269:
	v_lshl_add_u32 v19, v17, 3, 4
	ds_read_b32 v20, v19 offset:4096
	ds_read_u8 v21, v19 offset:4100
	v_lshl_add_u32 v22, v18, 3, 4
	ds_read_b32 v23, v22 offset:3064
	ds_read_u8 v22, v22 offset:3068
	v_add_u32_e32 v19, 0x1000, v19
	s_waitcnt lgkmcnt(2)
	v_and_b32_e32 v24, 1, v21
	v_cmp_eq_u32_e64 s[6:7], 1, v24
	s_waitcnt lgkmcnt(1)
	v_cndmask_b32_e64 v23, v23, 0, s[6:7]
	s_waitcnt lgkmcnt(0)
	v_or_b32_e32 v21, v22, v21
	v_add_u32_e32 v20, v23, v20
	v_and_b32_e32 v21, 1, v21
	ds_write2_b32 v19, v20, v21 offset1:1
.LBB82_270:
	s_or_b64 exec, exec, s[8:9]
	v_add_u32_e32 v19, v17, v18
	v_cmp_gt_u32_e64 s[6:7], 2, v0
	v_lshl_add_u32 v19, v19, 3, 4
	s_waitcnt lgkmcnt(0)
	s_barrier
	s_and_saveexec_b64 s[8:9], s[6:7]
	s_cbranch_execz .LBB82_272
; %bb.271:
	ds_read_u8 v21, v19 offset:4100
	v_lshl_add_u32 v14, v14, 11, 4
	ds_read_b32 v22, v14 offset:2040
	ds_read_b32 v23, v19 offset:4096
	ds_read_u8 v14, v14 offset:2044
	v_add_u32_e32 v20, 0x1000, v19
	s_waitcnt lgkmcnt(3)
	v_and_b32_e32 v24, 1, v21
	v_cmp_eq_u32_e64 s[6:7], 1, v24
	s_waitcnt lgkmcnt(2)
	v_cndmask_b32_e64 v22, v22, 0, s[6:7]
	s_waitcnt lgkmcnt(0)
	v_or_b32_e32 v14, v14, v21
	v_add_u32_e32 v22, v22, v23
	v_and_b32_e32 v14, 1, v14
	ds_write2_b32 v20, v22, v14 offset1:1
.LBB82_272:
	s_or_b64 exec, exec, s[8:9]
	s_waitcnt lgkmcnt(0)
	s_barrier
	s_and_saveexec_b64 s[8:9], vcc
	s_cbranch_execz .LBB82_274
; %bb.273:
	v_mov_b32_e32 v14, 4
	s_movk_i32 s6, 0xf8
	ds_read_u8 v22, v14 offset:12284
	v_add_u32_e64 v20, s6, 4
	ds_read2st64_b32 v[20:21], v20 offset0:31 offset1:47
	ds_read_u8 v14, v14 offset:8188
	s_add_i32 s11, 4, 0x2ff8
	s_waitcnt lgkmcnt(2)
	v_and_b32_e32 v23, 1, v22
	v_cmp_eq_u32_e64 s[6:7], 1, v23
	s_waitcnt lgkmcnt(1)
	v_cndmask_b32_e64 v20, v20, 0, s[6:7]
	s_waitcnt lgkmcnt(0)
	v_or_b32_e32 v14, v14, v22
	v_add_u32_e32 v20, v20, v21
	v_and_b32_e32 v14, 1, v14
	v_mov_b32_e32 v21, s11
	ds_write2_b32 v21, v20, v14 offset1:1
.LBB82_274:
	s_or_b64 exec, exec, s[8:9]
	s_waitcnt lgkmcnt(0)
	s_barrier
	s_and_saveexec_b64 s[8:9], vcc
	s_cbranch_execz .LBB82_276
; %bb.275:
	v_mov_b32_e32 v14, 4
	ds_read_u8 v20, v14 offset:10236
	ds_read_b32 v14, v14 offset:10232
	ds_read_b32 v21, v19 offset:4096
	ds_read_u8 v19, v19 offset:4100
	s_add_i32 s11, 4, 0x27f8
	s_waitcnt lgkmcnt(3)
	v_and_b32_e32 v22, 1, v20
	v_cmp_eq_u32_e64 s[6:7], 1, v22
	s_waitcnt lgkmcnt(1)
	v_cndmask_b32_e64 v21, v21, 0, s[6:7]
	s_waitcnt lgkmcnt(0)
	v_or_b32_e32 v19, v19, v20
	v_add_u32_e32 v14, v21, v14
	v_and_b32_e32 v19, 1, v19
	v_mov_b32_e32 v20, s11
	ds_write2_b32 v20, v14, v19 offset1:1
.LBB82_276:
	s_or_b64 exec, exec, s[8:9]
	v_cmp_gt_u32_e64 s[6:7], 3, v0
	s_waitcnt lgkmcnt(0)
	s_barrier
	s_and_saveexec_b64 s[8:9], s[6:7]
	s_cbranch_execz .LBB82_278
; %bb.277:
	v_lshl_add_u32 v14, v18, 3, s10
	ds_read_u8 v18, v14 offset:1020
	v_lshl_add_u32 v17, v17, 3, s10
	ds_read_b32 v19, v17
	ds_read_b32 v20, v14 offset:1016
	ds_read_u8 v17, v17 offset:4
	s_waitcnt lgkmcnt(3)
	v_and_b32_e32 v21, 1, v18
	v_cmp_eq_u32_e64 s[6:7], 1, v21
	s_waitcnt lgkmcnt(2)
	v_cndmask_b32_e64 v19, v19, 0, s[6:7]
	s_waitcnt lgkmcnt(0)
	v_or_b32_e32 v17, v17, v18
	v_add_u32_e32 v19, v19, v20
	v_and_b32_e32 v17, 1, v17
	ds_write2_b32 v14, v19, v17 offset0:254 offset1:255
.LBB82_278:
	s_or_b64 exec, exec, s[8:9]
	v_cmp_gt_u32_e64 s[6:7], 7, v0
	s_waitcnt lgkmcnt(0)
	s_barrier
	s_and_saveexec_b64 s[8:9], s[6:7]
	s_cbranch_execz .LBB82_280
; %bb.279:
	v_lshl_add_u32 v14, v16, 3, s10
	ds_read_u8 v16, v14 offset:508
	v_lshl_add_u32 v15, v15, 3, s10
	ds_read_b32 v17, v15
	ds_read_b32 v18, v14 offset:504
	ds_read_u8 v15, v15 offset:4
	s_waitcnt lgkmcnt(3)
	v_and_b32_e32 v19, 1, v16
	v_cmp_eq_u32_e64 s[6:7], 1, v19
	s_waitcnt lgkmcnt(2)
	v_cndmask_b32_e64 v17, v17, 0, s[6:7]
	s_waitcnt lgkmcnt(0)
	v_or_b32_e32 v15, v15, v16
	v_add_u32_e32 v17, v17, v18
	v_and_b32_e32 v15, 1, v15
	ds_write2_b32 v14, v17, v15 offset0:126 offset1:127
.LBB82_280:
	;; [unrolled: 24-line block ×5, first 2 shown]
	s_or_b64 exec, exec, s[8:9]
	s_movk_i32 s6, 0x7f
	v_cmp_gt_u32_e64 s[6:7], s6, v0
	s_waitcnt lgkmcnt(0)
	s_barrier
	s_and_saveexec_b64 s[8:9], s[6:7]
	s_cbranch_execz .LBB82_288
; %bb.287:
	v_lshl_add_u32 v6, v6, 3, s10
	ds_read_u8 v7, v6 offset:28
	v_lshl_add_u32 v5, v5, 3, s10
	ds_read_b32 v8, v5
	ds_read_b32 v9, v6 offset:24
	ds_read_u8 v5, v5 offset:4
	s_waitcnt lgkmcnt(3)
	v_and_b32_e32 v10, 1, v7
	v_cmp_eq_u32_e64 s[6:7], 1, v10
	s_waitcnt lgkmcnt(2)
	v_cndmask_b32_e64 v8, v8, 0, s[6:7]
	s_waitcnt lgkmcnt(0)
	v_or_b32_e32 v5, v5, v7
	v_add_u32_e32 v8, v8, v9
	v_and_b32_e32 v5, 1, v5
	ds_write2_b32 v6, v8, v5 offset0:6 offset1:7
.LBB82_288:
	s_or_b64 exec, exec, s[8:9]
	s_movk_i32 s6, 0xff
	v_cmp_gt_u32_e64 s[6:7], s6, v0
	s_waitcnt lgkmcnt(0)
	s_barrier
	s_and_saveexec_b64 s[8:9], s[6:7]
	s_cbranch_execz .LBB82_290
; %bb.289:
	v_lshl_add_u32 v4, v4, 3, s10
	ds_read_u8 v5, v4 offset:12
	v_add_u32_e32 v6, -8, v4
	ds_read_b32 v7, v6
	ds_read_b32 v8, v4 offset:8
	ds_read_u8 v6, v6 offset:4
	s_waitcnt lgkmcnt(3)
	v_and_b32_e32 v9, 1, v5
	v_cmp_eq_u32_e64 s[6:7], 1, v9
	s_waitcnt lgkmcnt(2)
	v_cndmask_b32_e64 v7, v7, 0, s[6:7]
	s_waitcnt lgkmcnt(0)
	v_or_b32_e32 v5, v6, v5
	v_add_u32_e32 v7, v7, v8
	v_and_b32_e32 v5, 1, v5
	ds_write2_b32 v4, v7, v5 offset0:2 offset1:3
.LBB82_290:
	s_or_b64 exec, exec, s[8:9]
	s_waitcnt lgkmcnt(0)
	s_barrier
	s_and_saveexec_b64 s[6:7], s[2:3]
	s_cbranch_execz .LBB82_292
; %bb.291:
	ds_read_u8 v6, v1 offset:20
	ds_read_u8 v7, v1 offset:12
	ds_read2_b32 v[4:5], v1 offset0:2 offset1:4
	s_waitcnt lgkmcnt(2)
	v_and_b32_e32 v8, 1, v6
	v_cmp_eq_u32_e64 s[2:3], 1, v8
	s_waitcnt lgkmcnt(1)
	v_or_b32_e32 v6, v7, v6
	s_waitcnt lgkmcnt(0)
	v_cndmask_b32_e64 v4, v4, 0, s[2:3]
	v_add_u32_e32 v4, v4, v5
	v_and_b32_e32 v5, 1, v6
	ds_write2_b32 v1, v4, v5 offset0:4 offset1:5
.LBB82_292:
	s_or_b64 exec, exec, s[6:7]
	s_waitcnt lgkmcnt(0)
	s_barrier
	ds_read_b32 v3, v3 offset:4096
	ds_read_b32 v1, v1 offset:8
	v_or_b32_e32 v4, 1, v2
	v_cmp_gt_u32_e64 s[6:7], s16, v4
	v_cmp_gt_u32_e64 s[2:3], s16, v2
	s_waitcnt lgkmcnt(1)
	v_cndmask_b32_e64 v3, 0, v3, s[2:3]
	s_waitcnt lgkmcnt(0)
	v_cndmask_b32_e64 v6, 0, v1, s[6:7]
	v_mbcnt_lo_u32_b32 v1, -1, 0
	v_mbcnt_hi_u32_b32 v12, -1, v1
	v_and_b32_e32 v14, 63, v12
	v_cmp_gt_u32_e64 s[8:9], 32, v14
	v_cndmask_b32_e64 v1, 0, 1, s[8:9]
	v_lshlrev_b32_e32 v1, 5, v1
	v_cndmask_b32_e64 v5, 0, v2, s[2:3]
	v_max_u32_e32 v7, v6, v3
	v_add_lshl_u32 v1, v1, v12, 2
	v_cndmask_b32_e64 v8, 0, v4, s[6:7]
	v_cmp_gt_u32_e64 s[8:9], v6, v3
	ds_bpermute_b32 v9, v1, v7
	v_cndmask_b32_e64 v3, v5, v8, s[8:9]
	ds_bpermute_b32 v5, v1, v3
	v_cmp_gt_u32_e64 s[8:9], 48, v14
	v_cndmask_b32_e64 v8, 0, 1, s[8:9]
	v_lshlrev_b32_e32 v8, 4, v8
	s_waitcnt lgkmcnt(1)
	v_max_u32_e32 v6, v9, v7
	v_add_lshl_u32 v8, v8, v12, 2
	v_cmp_gt_u32_e64 s[8:9], v9, v7
	ds_bpermute_b32 v10, v8, v6
	s_waitcnt lgkmcnt(1)
	v_cndmask_b32_e64 v3, v3, v5, s[8:9]
	ds_bpermute_b32 v5, v8, v3
	v_cmp_gt_u32_e64 s[8:9], 56, v14
	v_cndmask_b32_e64 v9, 0, 1, s[8:9]
	v_lshlrev_b32_e32 v9, 3, v9
	s_waitcnt lgkmcnt(1)
	v_max_u32_e32 v7, v10, v6
	v_add_lshl_u32 v9, v9, v12, 2
	v_cmp_gt_u32_e64 s[8:9], v10, v6
	ds_bpermute_b32 v11, v9, v7
	s_waitcnt lgkmcnt(1)
	;; [unrolled: 11-line block ×4, first 2 shown]
	v_cndmask_b32_e64 v5, v3, v5, s[8:9]
	ds_bpermute_b32 v6, v11, v5
	s_waitcnt lgkmcnt(0)
	s_barrier
	v_cmp_gt_u32_e64 s[8:9], v16, v7
	v_max_u32_e32 v3, v16, v7
	v_cndmask_b32_e64 v5, v5, v6, s[8:9]
	v_cmp_ne_u32_e64 s[8:9], 63, v14
	v_addc_co_u32_e64 v6, s[8:9], 0, v12, s[8:9]
	v_lshlrev_b32_e32 v12, 2, v6
	ds_bpermute_b32 v6, v12, v5
	ds_bpermute_b32 v7, v12, v3
	v_cmp_eq_u32_e64 s[8:9], 0, v13
	s_waitcnt lgkmcnt(0)
	s_barrier
	s_and_saveexec_b64 s[12:13], s[8:9]
	s_cbranch_execz .LBB82_294
; %bb.293:
	v_lshrrev_b32_e32 v14, 3, v0
	v_add_u32_e32 v14, 4, v14
	v_cmp_gt_u32_e64 s[10:11], v7, v3
	v_add_u32_e32 v14, 0x1000, v14
	v_cndmask_b32_e64 v5, v5, v6, s[10:11]
	v_max_u32_e32 v3, v7, v3
	ds_write2_b32 v14, v3, v5 offset1:1
.LBB82_294:
	s_or_b64 exec, exec, s[12:13]
	s_lshr_b32 s10, s20, 6
	v_cmp_gt_u32_e64 s[10:11], s10, v0
	v_lshl_add_u32 v14, v13, 3, 4
	v_mov_b32_e32 v3, 0
	v_mov_b32_e32 v5, 0
	s_waitcnt lgkmcnt(0)
	s_barrier
	s_and_saveexec_b64 s[12:13], s[10:11]
	s_cbranch_execnz .LBB82_387
; %bb.295:
	s_or_b64 exec, exec, s[12:13]
	s_and_saveexec_b64 s[12:13], s[10:11]
	s_cbranch_execnz .LBB82_388
.LBB82_296:
	s_or_b64 exec, exec, s[12:13]
	s_and_saveexec_b64 s[20:21], s[0:1]
	s_cbranch_execnz .LBB82_389
.LBB82_297:
	s_or_b64 exec, exec, s[20:21]
	s_and_saveexec_b64 s[12:13], vcc
	s_cbranch_execz .LBB82_299
.LBB82_298:
	s_waitcnt lgkmcnt(0)
	v_lshl_add_u32 v3, v3, 2, 4
	ds_read_b32 v3, v3
	v_mov_b32_e32 v5, 0
	s_waitcnt lgkmcnt(0)
	ds_write_b32 v5, v3
.LBB82_299:
	s_or_b64 exec, exec, s[12:13]
	s_mov_b32 s20, 0
	s_waitcnt lgkmcnt(0)
	v_mov_b32_e32 v3, 0
	s_mov_b32 s21, s20
	v_cmp_gt_i64_e64 s[12:13], s[16:17], v[2:3]
	v_pk_mov_b32 v[6:7], s[20:21], s[20:21] op_sel:[0,1]
	s_barrier
	s_and_saveexec_b64 s[20:21], s[12:13]
	s_cbranch_execz .LBB82_301
; %bb.300:
	v_add_u32_e32 v6, s15, v2
	v_mov_b32_e32 v7, v3
	v_lshlrev_b64 v[6:7], 2, v[6:7]
	v_mov_b32_e32 v5, s19
	v_add_co_u32_e64 v6, s[12:13], s18, v6
	v_addc_co_u32_e64 v7, s[12:13], v5, v7, s[12:13]
	global_load_dword v5, v[6:7], off
	ds_read_b32 v6, v3
	s_waitcnt vmcnt(0) lgkmcnt(0)
	v_cmp_eq_u32_e64 s[12:13], v5, v6
	v_cndmask_b32_e64 v2, 0, v2, s[12:13]
	v_pk_mov_b32 v[6:7], v[2:3], v[2:3] op_sel:[0,1]
.LBB82_301:
	s_or_b64 exec, exec, s[20:21]
	v_mov_b32_e32 v5, v3
	v_cmp_gt_i64_e64 s[12:13], s[16:17], v[4:5]
	s_and_saveexec_b64 s[16:17], s[12:13]
	s_cbranch_execz .LBB82_303
; %bb.302:
	v_add_u32_e32 v2, s15, v4
	v_mov_b32_e32 v3, 0
	v_lshlrev_b64 v[16:17], 2, v[2:3]
	v_mov_b32_e32 v2, s19
	v_add_co_u32_e64 v16, s[12:13], s18, v16
	v_addc_co_u32_e64 v17, s[12:13], v2, v17, s[12:13]
	global_load_dword v2, v[16:17], off
	ds_read_b32 v3, v3
	s_waitcnt vmcnt(0) lgkmcnt(0)
	v_cmp_eq_u32_e64 s[12:13], v2, v3
	v_cndmask_b32_e64 v7, 0, v4, s[12:13]
.LBB82_303:
	s_or_b64 exec, exec, s[16:17]
	v_cndmask_b32_e64 v2, 0, v6, s[2:3]
	v_cndmask_b32_e64 v3, 0, v7, s[6:7]
	v_max_u32_e32 v2, v3, v2
	ds_bpermute_b32 v3, v1, v2
	s_waitcnt lgkmcnt(0)
	s_barrier
	v_max_u32_e32 v2, v3, v2
	ds_bpermute_b32 v3, v8, v2
	s_waitcnt lgkmcnt(0)
	v_max_u32_e32 v2, v3, v2
	ds_bpermute_b32 v3, v9, v2
	s_waitcnt lgkmcnt(0)
	;; [unrolled: 3-line block ×4, first 2 shown]
	v_max_u32_e32 v2, v3, v2
	ds_bpermute_b32 v3, v12, v2
	s_and_saveexec_b64 s[2:3], s[8:9]
	s_cbranch_execz .LBB82_305
; %bb.304:
	v_lshrrev_b32_e32 v0, 4, v0
	v_add_u32_e32 v0, 4, v0
	s_waitcnt lgkmcnt(0)
	v_max_u32_e32 v2, v3, v2
	ds_write_b32 v0, v2
.LBB82_305:
	s_or_b64 exec, exec, s[2:3]
	v_mov_b32_e32 v0, 0
	s_waitcnt lgkmcnt(0)
	s_barrier
	s_and_saveexec_b64 s[2:3], s[10:11]
	s_cbranch_execnz .LBB82_390
; %bb.306:
	s_or_b64 exec, exec, s[2:3]
	s_and_saveexec_b64 s[2:3], s[0:1]
	s_cbranch_execnz .LBB82_391
.LBB82_307:
	s_or_b64 exec, exec, s[2:3]
	s_and_saveexec_b64 s[0:1], vcc
	s_cbranch_execnz .LBB82_392
.LBB82_308:
	s_endpgm
.LBB82_309:
	v_add_u32_e32 v11, v1, v3
	ds_read_u8 v11, v11 offset:4096
	s_andn2_b64 s[0:1], s[0:1], exec
	s_mov_b32 s6, 1
	s_waitcnt lgkmcnt(0)
	v_and_b32_e32 v11, 1, v11
	v_cmp_eq_u32_e32 vcc, 1, v11
	s_xor_b64 s[8:9], vcc, -1
	s_and_b64 s[8:9], s[8:9], exec
	s_or_b64 s[0:1], s[0:1], s[8:9]
	s_or_b64 exec, exec, s[2:3]
	v_mov_b32_e32 v11, s6
	s_and_saveexec_b64 s[2:3], s[0:1]
	s_cbranch_execz .LBB82_19
.LBB82_310:
	ds_read_u8 v11, v6 offset:4097
	s_waitcnt lgkmcnt(0)
	v_xor_b32_e32 v11, 1, v11
	s_or_b64 exec, exec, s[2:3]
	v_cmp_eq_u32_e32 vcc, v11, v10
	s_and_saveexec_b64 s[0:1], vcc
	s_cbranch_execnz .LBB82_20
	s_branch .LBB82_21
.LBB82_311:
	ds_read_u8 v14, v7 offset:4096
	s_andn2_b64 s[0:1], s[0:1], exec
	s_mov_b32 s6, 1
	s_waitcnt lgkmcnt(0)
	v_and_b32_e32 v14, 1, v14
	v_cmp_eq_u32_e32 vcc, 1, v14
	s_xor_b64 s[8:9], vcc, -1
	s_and_b64 s[8:9], s[8:9], exec
	s_or_b64 s[0:1], s[0:1], s[8:9]
	s_or_b64 exec, exec, s[2:3]
	v_mov_b32_e32 v14, s6
	s_and_saveexec_b64 s[2:3], s[0:1]
	s_cbranch_execz .LBB82_29
.LBB82_312:
	ds_read_u8 v14, v7 offset:4098
	s_waitcnt lgkmcnt(0)
	v_xor_b32_e32 v14, 1, v14
	s_or_b64 exec, exec, s[2:3]
	v_cmp_eq_u32_e32 vcc, v14, v13
	s_and_saveexec_b64 s[0:1], vcc
	s_cbranch_execnz .LBB82_30
	s_branch .LBB82_31
.LBB82_313:
	v_add_u32_e32 v14, v1, v3
	ds_read_u8 v14, v14 offset:4096
	s_andn2_b64 s[0:1], s[0:1], exec
	s_mov_b32 s6, 1
	s_waitcnt lgkmcnt(0)
	v_and_b32_e32 v14, 1, v14
	v_cmp_eq_u32_e32 vcc, 1, v14
	s_xor_b64 s[8:9], vcc, -1
	s_and_b64 s[8:9], s[8:9], exec
	s_or_b64 s[0:1], s[0:1], s[8:9]
	s_or_b64 exec, exec, s[2:3]
	v_mov_b32_e32 v14, s6
	s_and_saveexec_b64 s[2:3], s[0:1]
	s_cbranch_execz .LBB82_33
.LBB82_314:
	ds_read_u8 v14, v6 offset:4097
	s_waitcnt lgkmcnt(0)
	v_xor_b32_e32 v14, 1, v14
	s_or_b64 exec, exec, s[2:3]
	v_cmp_eq_u32_e32 vcc, v14, v13
	s_and_saveexec_b64 s[0:1], vcc
	s_cbranch_execnz .LBB82_34
	s_branch .LBB82_35
.LBB82_315:
	ds_read_u8 v17, v10 offset:4096
	s_andn2_b64 s[0:1], s[0:1], exec
	s_mov_b32 s6, 1
	s_waitcnt lgkmcnt(0)
	v_and_b32_e32 v17, 1, v17
	v_cmp_eq_u32_e32 vcc, 1, v17
	s_xor_b64 s[8:9], vcc, -1
	s_and_b64 s[8:9], s[8:9], exec
	s_or_b64 s[0:1], s[0:1], s[8:9]
	s_or_b64 exec, exec, s[2:3]
	v_mov_b32_e32 v17, s6
	s_and_saveexec_b64 s[2:3], s[0:1]
	s_cbranch_execz .LBB82_43
.LBB82_316:
	ds_read_u8 v17, v10 offset:4100
	s_waitcnt lgkmcnt(0)
	v_xor_b32_e32 v17, 1, v17
	s_or_b64 exec, exec, s[2:3]
	v_cmp_eq_u32_e32 vcc, v17, v13
	s_and_saveexec_b64 s[0:1], vcc
	s_cbranch_execnz .LBB82_44
	s_branch .LBB82_45
.LBB82_317:
	ds_read_u8 v17, v7 offset:4096
	s_andn2_b64 s[0:1], s[0:1], exec
	s_mov_b32 s6, 1
	s_waitcnt lgkmcnt(0)
	v_and_b32_e32 v17, 1, v17
	v_cmp_eq_u32_e32 vcc, 1, v17
	s_xor_b64 s[8:9], vcc, -1
	s_and_b64 s[8:9], s[8:9], exec
	s_or_b64 s[0:1], s[0:1], s[8:9]
	s_or_b64 exec, exec, s[2:3]
	v_mov_b32_e32 v17, s6
	s_and_saveexec_b64 s[2:3], s[0:1]
	s_cbranch_execz .LBB82_47
.LBB82_318:
	ds_read_u8 v17, v7 offset:4098
	s_waitcnt lgkmcnt(0)
	v_xor_b32_e32 v17, 1, v17
	s_or_b64 exec, exec, s[2:3]
	v_cmp_eq_u32_e32 vcc, v17, v13
	s_and_saveexec_b64 s[0:1], vcc
	s_cbranch_execnz .LBB82_48
	s_branch .LBB82_49
.LBB82_319:
	v_add_u32_e32 v17, v1, v3
	ds_read_u8 v17, v17 offset:4096
	s_andn2_b64 s[0:1], s[0:1], exec
	s_mov_b32 s6, 1
	s_waitcnt lgkmcnt(0)
	v_and_b32_e32 v17, 1, v17
	v_cmp_eq_u32_e32 vcc, 1, v17
	s_xor_b64 s[8:9], vcc, -1
	s_and_b64 s[8:9], s[8:9], exec
	s_or_b64 s[0:1], s[0:1], s[8:9]
	s_or_b64 exec, exec, s[2:3]
	v_mov_b32_e32 v17, s6
	s_and_saveexec_b64 s[2:3], s[0:1]
	s_cbranch_execz .LBB82_51
.LBB82_320:
	ds_read_u8 v17, v6 offset:4097
	s_waitcnt lgkmcnt(0)
	v_xor_b32_e32 v17, 1, v17
	s_or_b64 exec, exec, s[2:3]
	v_cmp_eq_u32_e32 vcc, v17, v13
	s_and_saveexec_b64 s[0:1], vcc
	s_cbranch_execnz .LBB82_52
	s_branch .LBB82_53
.LBB82_321:
	ds_read_u8 v20, v14 offset:4096
	s_andn2_b64 s[0:1], s[0:1], exec
	s_mov_b32 s6, 1
	s_waitcnt lgkmcnt(0)
	v_and_b32_e32 v20, 1, v20
	v_cmp_eq_u32_e32 vcc, 1, v20
	s_xor_b64 s[8:9], vcc, -1
	s_and_b64 s[8:9], s[8:9], exec
	s_or_b64 s[0:1], s[0:1], s[8:9]
	s_or_b64 exec, exec, s[2:3]
	v_mov_b32_e32 v20, s6
	s_and_saveexec_b64 s[2:3], s[0:1]
	s_cbranch_execz .LBB82_61
.LBB82_322:
	ds_read_u8 v20, v14 offset:4104
	s_waitcnt lgkmcnt(0)
	v_xor_b32_e32 v20, 1, v20
	s_or_b64 exec, exec, s[2:3]
	v_cmp_eq_u32_e32 vcc, v20, v13
	s_and_saveexec_b64 s[0:1], vcc
	s_cbranch_execnz .LBB82_62
	s_branch .LBB82_63
.LBB82_323:
	ds_read_u8 v20, v10 offset:4096
	s_andn2_b64 s[0:1], s[0:1], exec
	s_mov_b32 s6, 1
	s_waitcnt lgkmcnt(0)
	v_and_b32_e32 v20, 1, v20
	v_cmp_eq_u32_e32 vcc, 1, v20
	s_xor_b64 s[8:9], vcc, -1
	s_and_b64 s[8:9], s[8:9], exec
	s_or_b64 s[0:1], s[0:1], s[8:9]
	s_or_b64 exec, exec, s[2:3]
	v_mov_b32_e32 v20, s6
	s_and_saveexec_b64 s[2:3], s[0:1]
	s_cbranch_execz .LBB82_65
.LBB82_324:
	ds_read_u8 v20, v10 offset:4100
	s_waitcnt lgkmcnt(0)
	v_xor_b32_e32 v20, 1, v20
	s_or_b64 exec, exec, s[2:3]
	v_cmp_eq_u32_e32 vcc, v20, v13
	s_and_saveexec_b64 s[0:1], vcc
	s_cbranch_execnz .LBB82_66
	s_branch .LBB82_67
.LBB82_325:
	ds_read_u8 v20, v7 offset:4096
	s_andn2_b64 s[0:1], s[0:1], exec
	s_mov_b32 s6, 1
	s_waitcnt lgkmcnt(0)
	v_and_b32_e32 v20, 1, v20
	v_cmp_eq_u32_e32 vcc, 1, v20
	s_xor_b64 s[8:9], vcc, -1
	s_and_b64 s[8:9], s[8:9], exec
	s_or_b64 s[0:1], s[0:1], s[8:9]
	s_or_b64 exec, exec, s[2:3]
	v_mov_b32_e32 v20, s6
	s_and_saveexec_b64 s[2:3], s[0:1]
	s_cbranch_execz .LBB82_69
.LBB82_326:
	ds_read_u8 v20, v7 offset:4098
	s_waitcnt lgkmcnt(0)
	v_xor_b32_e32 v20, 1, v20
	s_or_b64 exec, exec, s[2:3]
	v_cmp_eq_u32_e32 vcc, v20, v13
	s_and_saveexec_b64 s[0:1], vcc
	s_cbranch_execnz .LBB82_70
	s_branch .LBB82_71
.LBB82_327:
	v_add_u32_e32 v20, v1, v3
	ds_read_u8 v20, v20 offset:4096
	s_andn2_b64 s[0:1], s[0:1], exec
	s_mov_b32 s6, 1
	s_waitcnt lgkmcnt(0)
	v_and_b32_e32 v20, 1, v20
	v_cmp_eq_u32_e32 vcc, 1, v20
	s_xor_b64 s[8:9], vcc, -1
	s_and_b64 s[8:9], s[8:9], exec
	s_or_b64 s[0:1], s[0:1], s[8:9]
	s_or_b64 exec, exec, s[2:3]
	v_mov_b32_e32 v20, s6
	s_and_saveexec_b64 s[2:3], s[0:1]
	s_cbranch_execz .LBB82_73
.LBB82_328:
	ds_read_u8 v20, v6 offset:4097
	s_waitcnt lgkmcnt(0)
	v_xor_b32_e32 v20, 1, v20
	s_or_b64 exec, exec, s[2:3]
	v_cmp_eq_u32_e32 vcc, v20, v13
	s_and_saveexec_b64 s[0:1], vcc
	s_cbranch_execnz .LBB82_74
	s_branch .LBB82_75
.LBB82_329:
	ds_read_u8 v23, v17 offset:4096
	s_andn2_b64 s[0:1], s[0:1], exec
	s_mov_b32 s6, 1
	s_waitcnt lgkmcnt(0)
	v_and_b32_e32 v23, 1, v23
	v_cmp_eq_u32_e32 vcc, 1, v23
	s_xor_b64 s[8:9], vcc, -1
	s_and_b64 s[8:9], s[8:9], exec
	s_or_b64 s[0:1], s[0:1], s[8:9]
	s_or_b64 exec, exec, s[2:3]
	v_mov_b32_e32 v23, s6
	s_and_saveexec_b64 s[2:3], s[0:1]
	s_cbranch_execz .LBB82_83
.LBB82_330:
	ds_read_u8 v23, v17 offset:4112
	s_waitcnt lgkmcnt(0)
	v_xor_b32_e32 v23, 1, v23
	s_or_b64 exec, exec, s[2:3]
	v_cmp_eq_u32_e32 vcc, v23, v13
	s_and_saveexec_b64 s[0:1], vcc
	s_cbranch_execnz .LBB82_84
	s_branch .LBB82_85
.LBB82_331:
	ds_read_u8 v23, v14 offset:4096
	s_andn2_b64 s[0:1], s[0:1], exec
	s_mov_b32 s6, 1
	s_waitcnt lgkmcnt(0)
	v_and_b32_e32 v23, 1, v23
	v_cmp_eq_u32_e32 vcc, 1, v23
	s_xor_b64 s[8:9], vcc, -1
	s_and_b64 s[8:9], s[8:9], exec
	s_or_b64 s[0:1], s[0:1], s[8:9]
	s_or_b64 exec, exec, s[2:3]
	v_mov_b32_e32 v23, s6
	s_and_saveexec_b64 s[2:3], s[0:1]
	s_cbranch_execz .LBB82_87
.LBB82_332:
	ds_read_u8 v23, v14 offset:4104
	s_waitcnt lgkmcnt(0)
	v_xor_b32_e32 v23, 1, v23
	s_or_b64 exec, exec, s[2:3]
	v_cmp_eq_u32_e32 vcc, v23, v13
	s_and_saveexec_b64 s[0:1], vcc
	s_cbranch_execnz .LBB82_88
	s_branch .LBB82_89
.LBB82_333:
	ds_read_u8 v23, v10 offset:4096
	s_andn2_b64 s[0:1], s[0:1], exec
	s_mov_b32 s6, 1
	s_waitcnt lgkmcnt(0)
	v_and_b32_e32 v23, 1, v23
	v_cmp_eq_u32_e32 vcc, 1, v23
	s_xor_b64 s[8:9], vcc, -1
	s_and_b64 s[8:9], s[8:9], exec
	s_or_b64 s[0:1], s[0:1], s[8:9]
	s_or_b64 exec, exec, s[2:3]
	v_mov_b32_e32 v23, s6
	s_and_saveexec_b64 s[2:3], s[0:1]
	s_cbranch_execz .LBB82_91
.LBB82_334:
	ds_read_u8 v23, v10 offset:4100
	s_waitcnt lgkmcnt(0)
	v_xor_b32_e32 v23, 1, v23
	s_or_b64 exec, exec, s[2:3]
	v_cmp_eq_u32_e32 vcc, v23, v13
	s_and_saveexec_b64 s[0:1], vcc
	s_cbranch_execnz .LBB82_92
	s_branch .LBB82_93
.LBB82_335:
	ds_read_u8 v23, v7 offset:4096
	s_andn2_b64 s[0:1], s[0:1], exec
	s_mov_b32 s6, 1
	s_waitcnt lgkmcnt(0)
	v_and_b32_e32 v23, 1, v23
	v_cmp_eq_u32_e32 vcc, 1, v23
	s_xor_b64 s[8:9], vcc, -1
	s_and_b64 s[8:9], s[8:9], exec
	s_or_b64 s[0:1], s[0:1], s[8:9]
	s_or_b64 exec, exec, s[2:3]
	v_mov_b32_e32 v23, s6
	s_and_saveexec_b64 s[2:3], s[0:1]
	s_cbranch_execz .LBB82_95
.LBB82_336:
	ds_read_u8 v23, v7 offset:4098
	s_waitcnt lgkmcnt(0)
	v_xor_b32_e32 v23, 1, v23
	s_or_b64 exec, exec, s[2:3]
	v_cmp_eq_u32_e32 vcc, v23, v13
	s_and_saveexec_b64 s[0:1], vcc
	s_cbranch_execnz .LBB82_96
	s_branch .LBB82_97
.LBB82_337:
	v_add_u32_e32 v23, v1, v3
	ds_read_u8 v23, v23 offset:4096
	s_andn2_b64 s[0:1], s[0:1], exec
	s_mov_b32 s6, 1
	s_waitcnt lgkmcnt(0)
	v_and_b32_e32 v23, 1, v23
	v_cmp_eq_u32_e32 vcc, 1, v23
	s_xor_b64 s[8:9], vcc, -1
	s_and_b64 s[8:9], s[8:9], exec
	s_or_b64 s[0:1], s[0:1], s[8:9]
	s_or_b64 exec, exec, s[2:3]
	v_mov_b32_e32 v23, s6
	s_and_saveexec_b64 s[2:3], s[0:1]
	s_cbranch_execz .LBB82_99
.LBB82_338:
	ds_read_u8 v23, v6 offset:4097
	s_waitcnt lgkmcnt(0)
	v_xor_b32_e32 v23, 1, v23
	s_or_b64 exec, exec, s[2:3]
	v_cmp_eq_u32_e32 vcc, v23, v13
	s_and_saveexec_b64 s[0:1], vcc
	s_cbranch_execnz .LBB82_100
	s_branch .LBB82_101
.LBB82_339:
	ds_read_u8 v27, v20 offset:4096
	s_andn2_b64 s[0:1], s[0:1], exec
	s_mov_b32 s6, 1
	s_waitcnt lgkmcnt(0)
	v_and_b32_e32 v27, 1, v27
	v_cmp_eq_u32_e32 vcc, 1, v27
	s_xor_b64 s[8:9], vcc, -1
	s_and_b64 s[8:9], s[8:9], exec
	s_or_b64 s[0:1], s[0:1], s[8:9]
	s_or_b64 exec, exec, s[2:3]
	v_mov_b32_e32 v27, s6
	s_and_saveexec_b64 s[2:3], s[0:1]
	s_cbranch_execz .LBB82_109
.LBB82_340:
	ds_read_u8 v27, v20 offset:4128
	s_waitcnt lgkmcnt(0)
	v_xor_b32_e32 v27, 1, v27
	s_or_b64 exec, exec, s[2:3]
	v_cmp_eq_u32_e32 vcc, v27, v26
	s_and_saveexec_b64 s[0:1], vcc
	s_cbranch_execnz .LBB82_110
	s_branch .LBB82_111
.LBB82_341:
	ds_read_u8 v27, v17 offset:4096
	s_andn2_b64 s[0:1], s[0:1], exec
	s_mov_b32 s6, 1
	s_waitcnt lgkmcnt(0)
	v_and_b32_e32 v27, 1, v27
	v_cmp_eq_u32_e32 vcc, 1, v27
	s_xor_b64 s[8:9], vcc, -1
	s_and_b64 s[8:9], s[8:9], exec
	s_or_b64 s[0:1], s[0:1], s[8:9]
	s_or_b64 exec, exec, s[2:3]
	v_mov_b32_e32 v27, s6
	s_and_saveexec_b64 s[2:3], s[0:1]
	s_cbranch_execz .LBB82_113
.LBB82_342:
	ds_read_u8 v27, v17 offset:4112
	s_waitcnt lgkmcnt(0)
	v_xor_b32_e32 v27, 1, v27
	s_or_b64 exec, exec, s[2:3]
	v_cmp_eq_u32_e32 vcc, v27, v26
	s_and_saveexec_b64 s[0:1], vcc
	s_cbranch_execnz .LBB82_114
	s_branch .LBB82_115
.LBB82_343:
	ds_read_u8 v27, v14 offset:4096
	s_andn2_b64 s[0:1], s[0:1], exec
	s_mov_b32 s6, 1
	s_waitcnt lgkmcnt(0)
	v_and_b32_e32 v27, 1, v27
	v_cmp_eq_u32_e32 vcc, 1, v27
	s_xor_b64 s[8:9], vcc, -1
	s_and_b64 s[8:9], s[8:9], exec
	s_or_b64 s[0:1], s[0:1], s[8:9]
	s_or_b64 exec, exec, s[2:3]
	v_mov_b32_e32 v27, s6
	s_and_saveexec_b64 s[2:3], s[0:1]
	s_cbranch_execz .LBB82_117
.LBB82_344:
	ds_read_u8 v27, v14 offset:4104
	s_waitcnt lgkmcnt(0)
	v_xor_b32_e32 v27, 1, v27
	s_or_b64 exec, exec, s[2:3]
	v_cmp_eq_u32_e32 vcc, v27, v26
	s_and_saveexec_b64 s[0:1], vcc
	s_cbranch_execnz .LBB82_118
	s_branch .LBB82_119
.LBB82_345:
	ds_read_u8 v27, v10 offset:4096
	s_andn2_b64 s[0:1], s[0:1], exec
	s_mov_b32 s6, 1
	s_waitcnt lgkmcnt(0)
	v_and_b32_e32 v27, 1, v27
	v_cmp_eq_u32_e32 vcc, 1, v27
	s_xor_b64 s[8:9], vcc, -1
	s_and_b64 s[8:9], s[8:9], exec
	s_or_b64 s[0:1], s[0:1], s[8:9]
	s_or_b64 exec, exec, s[2:3]
	v_mov_b32_e32 v27, s6
	s_and_saveexec_b64 s[2:3], s[0:1]
	s_cbranch_execz .LBB82_121
.LBB82_346:
	ds_read_u8 v27, v10 offset:4100
	s_waitcnt lgkmcnt(0)
	v_xor_b32_e32 v27, 1, v27
	s_or_b64 exec, exec, s[2:3]
	v_cmp_eq_u32_e32 vcc, v27, v26
	s_and_saveexec_b64 s[0:1], vcc
	s_cbranch_execnz .LBB82_122
	s_branch .LBB82_123
.LBB82_347:
	ds_read_u8 v27, v7 offset:4096
	s_andn2_b64 s[0:1], s[0:1], exec
	s_mov_b32 s6, 1
	s_waitcnt lgkmcnt(0)
	v_and_b32_e32 v27, 1, v27
	v_cmp_eq_u32_e32 vcc, 1, v27
	s_xor_b64 s[8:9], vcc, -1
	s_and_b64 s[8:9], s[8:9], exec
	s_or_b64 s[0:1], s[0:1], s[8:9]
	s_or_b64 exec, exec, s[2:3]
	v_mov_b32_e32 v27, s6
	s_and_saveexec_b64 s[2:3], s[0:1]
	s_cbranch_execz .LBB82_125
.LBB82_348:
	ds_read_u8 v27, v7 offset:4098
	s_waitcnt lgkmcnt(0)
	v_xor_b32_e32 v27, 1, v27
	s_or_b64 exec, exec, s[2:3]
	v_cmp_eq_u32_e32 vcc, v27, v26
	s_and_saveexec_b64 s[0:1], vcc
	s_cbranch_execnz .LBB82_126
	s_branch .LBB82_127
.LBB82_349:
	v_add_u32_e32 v27, v1, v3
	ds_read_u8 v27, v27 offset:4096
	s_andn2_b64 s[0:1], s[0:1], exec
	s_mov_b32 s6, 1
	s_waitcnt lgkmcnt(0)
	v_and_b32_e32 v27, 1, v27
	v_cmp_eq_u32_e32 vcc, 1, v27
	s_xor_b64 s[8:9], vcc, -1
	s_and_b64 s[8:9], s[8:9], exec
	s_or_b64 s[0:1], s[0:1], s[8:9]
	s_or_b64 exec, exec, s[2:3]
	v_mov_b32_e32 v27, s6
	s_and_saveexec_b64 s[2:3], s[0:1]
	s_cbranch_execz .LBB82_129
.LBB82_350:
	ds_read_u8 v27, v6 offset:4097
	s_waitcnt lgkmcnt(0)
	v_xor_b32_e32 v27, 1, v27
	s_or_b64 exec, exec, s[2:3]
	v_cmp_eq_u32_e32 vcc, v27, v26
	s_and_saveexec_b64 s[0:1], vcc
	s_cbranch_execnz .LBB82_130
	s_branch .LBB82_131
.LBB82_351:
	ds_read_u8 v30, v23 offset:4096
	s_andn2_b64 s[0:1], s[0:1], exec
	s_mov_b32 s6, 1
	s_waitcnt lgkmcnt(0)
	v_and_b32_e32 v30, 1, v30
	v_cmp_eq_u32_e32 vcc, 1, v30
	s_xor_b64 s[8:9], vcc, -1
	s_and_b64 s[8:9], s[8:9], exec
	s_or_b64 s[0:1], s[0:1], s[8:9]
	s_or_b64 exec, exec, s[2:3]
	v_mov_b32_e32 v30, s6
	s_and_saveexec_b64 s[2:3], s[0:1]
	s_cbranch_execz .LBB82_139
.LBB82_352:
	ds_read_u8 v30, v23 offset:4160
	s_waitcnt lgkmcnt(0)
	v_xor_b32_e32 v30, 1, v30
	s_or_b64 exec, exec, s[2:3]
	v_cmp_eq_u32_e32 vcc, v30, v29
	s_and_saveexec_b64 s[0:1], vcc
	s_cbranch_execnz .LBB82_140
	s_branch .LBB82_141
.LBB82_353:
	ds_read_u8 v30, v20 offset:4096
	s_andn2_b64 s[0:1], s[0:1], exec
	s_mov_b32 s6, 1
	s_waitcnt lgkmcnt(0)
	v_and_b32_e32 v30, 1, v30
	v_cmp_eq_u32_e32 vcc, 1, v30
	s_xor_b64 s[8:9], vcc, -1
	s_and_b64 s[8:9], s[8:9], exec
	s_or_b64 s[0:1], s[0:1], s[8:9]
	s_or_b64 exec, exec, s[2:3]
	v_mov_b32_e32 v30, s6
	s_and_saveexec_b64 s[2:3], s[0:1]
	s_cbranch_execz .LBB82_143
.LBB82_354:
	ds_read_u8 v30, v20 offset:4128
	s_waitcnt lgkmcnt(0)
	v_xor_b32_e32 v30, 1, v30
	s_or_b64 exec, exec, s[2:3]
	v_cmp_eq_u32_e32 vcc, v30, v29
	s_and_saveexec_b64 s[0:1], vcc
	s_cbranch_execnz .LBB82_144
	s_branch .LBB82_145
.LBB82_355:
	ds_read_u8 v30, v17 offset:4096
	s_andn2_b64 s[0:1], s[0:1], exec
	s_mov_b32 s6, 1
	s_waitcnt lgkmcnt(0)
	v_and_b32_e32 v30, 1, v30
	v_cmp_eq_u32_e32 vcc, 1, v30
	s_xor_b64 s[8:9], vcc, -1
	s_and_b64 s[8:9], s[8:9], exec
	s_or_b64 s[0:1], s[0:1], s[8:9]
	s_or_b64 exec, exec, s[2:3]
	v_mov_b32_e32 v30, s6
	s_and_saveexec_b64 s[2:3], s[0:1]
	s_cbranch_execz .LBB82_147
.LBB82_356:
	ds_read_u8 v30, v17 offset:4112
	s_waitcnt lgkmcnt(0)
	v_xor_b32_e32 v30, 1, v30
	s_or_b64 exec, exec, s[2:3]
	v_cmp_eq_u32_e32 vcc, v30, v29
	s_and_saveexec_b64 s[0:1], vcc
	s_cbranch_execnz .LBB82_148
	s_branch .LBB82_149
.LBB82_357:
	ds_read_u8 v30, v14 offset:4096
	s_andn2_b64 s[0:1], s[0:1], exec
	s_mov_b32 s6, 1
	s_waitcnt lgkmcnt(0)
	v_and_b32_e32 v30, 1, v30
	v_cmp_eq_u32_e32 vcc, 1, v30
	s_xor_b64 s[8:9], vcc, -1
	s_and_b64 s[8:9], s[8:9], exec
	s_or_b64 s[0:1], s[0:1], s[8:9]
	s_or_b64 exec, exec, s[2:3]
	v_mov_b32_e32 v30, s6
	s_and_saveexec_b64 s[2:3], s[0:1]
	s_cbranch_execz .LBB82_151
.LBB82_358:
	ds_read_u8 v30, v14 offset:4104
	s_waitcnt lgkmcnt(0)
	v_xor_b32_e32 v30, 1, v30
	s_or_b64 exec, exec, s[2:3]
	v_cmp_eq_u32_e32 vcc, v30, v29
	s_and_saveexec_b64 s[0:1], vcc
	s_cbranch_execnz .LBB82_152
	s_branch .LBB82_153
.LBB82_359:
	ds_read_u8 v30, v10 offset:4096
	s_andn2_b64 s[0:1], s[0:1], exec
	s_mov_b32 s6, 1
	s_waitcnt lgkmcnt(0)
	v_and_b32_e32 v30, 1, v30
	v_cmp_eq_u32_e32 vcc, 1, v30
	s_xor_b64 s[8:9], vcc, -1
	s_and_b64 s[8:9], s[8:9], exec
	s_or_b64 s[0:1], s[0:1], s[8:9]
	s_or_b64 exec, exec, s[2:3]
	v_mov_b32_e32 v30, s6
	s_and_saveexec_b64 s[2:3], s[0:1]
	s_cbranch_execz .LBB82_155
.LBB82_360:
	ds_read_u8 v30, v10 offset:4100
	s_waitcnt lgkmcnt(0)
	v_xor_b32_e32 v30, 1, v30
	s_or_b64 exec, exec, s[2:3]
	v_cmp_eq_u32_e32 vcc, v30, v29
	s_and_saveexec_b64 s[0:1], vcc
	s_cbranch_execnz .LBB82_156
	s_branch .LBB82_157
.LBB82_361:
	ds_read_u8 v30, v7 offset:4096
	s_andn2_b64 s[0:1], s[0:1], exec
	s_mov_b32 s6, 1
	s_waitcnt lgkmcnt(0)
	v_and_b32_e32 v30, 1, v30
	v_cmp_eq_u32_e32 vcc, 1, v30
	s_xor_b64 s[8:9], vcc, -1
	s_and_b64 s[8:9], s[8:9], exec
	s_or_b64 s[0:1], s[0:1], s[8:9]
	s_or_b64 exec, exec, s[2:3]
	v_mov_b32_e32 v30, s6
	s_and_saveexec_b64 s[2:3], s[0:1]
	s_cbranch_execz .LBB82_159
.LBB82_362:
	ds_read_u8 v30, v7 offset:4098
	s_waitcnt lgkmcnt(0)
	v_xor_b32_e32 v30, 1, v30
	s_or_b64 exec, exec, s[2:3]
	v_cmp_eq_u32_e32 vcc, v30, v29
	s_and_saveexec_b64 s[0:1], vcc
	s_cbranch_execnz .LBB82_160
	s_branch .LBB82_161
.LBB82_363:
	v_add_u32_e32 v30, v1, v3
	ds_read_u8 v30, v30 offset:4096
	s_andn2_b64 s[0:1], s[0:1], exec
	s_mov_b32 s6, 1
	s_waitcnt lgkmcnt(0)
	v_and_b32_e32 v30, 1, v30
	v_cmp_eq_u32_e32 vcc, 1, v30
	s_xor_b64 s[8:9], vcc, -1
	s_and_b64 s[8:9], s[8:9], exec
	s_or_b64 s[0:1], s[0:1], s[8:9]
	s_or_b64 exec, exec, s[2:3]
	v_mov_b32_e32 v30, s6
	s_and_saveexec_b64 s[2:3], s[0:1]
	s_cbranch_execz .LBB82_163
.LBB82_364:
	ds_read_u8 v30, v6 offset:4097
	s_waitcnt lgkmcnt(0)
	v_xor_b32_e32 v30, 1, v30
	s_or_b64 exec, exec, s[2:3]
	v_cmp_eq_u32_e32 vcc, v30, v29
	s_and_saveexec_b64 s[0:1], vcc
	s_cbranch_execnz .LBB82_164
	s_branch .LBB82_165
.LBB82_365:
	ds_read_u8 v33, v26 offset:4096
	s_andn2_b64 s[0:1], s[0:1], exec
	s_mov_b32 s6, 1
	s_waitcnt lgkmcnt(0)
	v_and_b32_e32 v33, 1, v33
	v_cmp_eq_u32_e32 vcc, 1, v33
	s_xor_b64 s[8:9], vcc, -1
	s_and_b64 s[8:9], s[8:9], exec
	s_or_b64 s[0:1], s[0:1], s[8:9]
	s_or_b64 exec, exec, s[2:3]
	v_mov_b32_e32 v33, s6
	s_and_saveexec_b64 s[2:3], s[0:1]
	s_cbranch_execz .LBB82_173
.LBB82_366:
	ds_read_u8 v33, v26 offset:4224
	s_waitcnt lgkmcnt(0)
	v_xor_b32_e32 v33, 1, v33
	s_or_b64 exec, exec, s[2:3]
	v_cmp_eq_u32_e32 vcc, v33, v32
	s_and_saveexec_b64 s[0:1], vcc
	s_cbranch_execnz .LBB82_174
	s_branch .LBB82_175
.LBB82_367:
	ds_read_u8 v33, v23 offset:4096
	s_andn2_b64 s[0:1], s[0:1], exec
	s_mov_b32 s6, 1
	s_waitcnt lgkmcnt(0)
	v_and_b32_e32 v33, 1, v33
	v_cmp_eq_u32_e32 vcc, 1, v33
	s_xor_b64 s[8:9], vcc, -1
	s_and_b64 s[8:9], s[8:9], exec
	s_or_b64 s[0:1], s[0:1], s[8:9]
	s_or_b64 exec, exec, s[2:3]
	v_mov_b32_e32 v33, s6
	s_and_saveexec_b64 s[2:3], s[0:1]
	s_cbranch_execz .LBB82_177
.LBB82_368:
	ds_read_u8 v33, v23 offset:4160
	s_waitcnt lgkmcnt(0)
	v_xor_b32_e32 v33, 1, v33
	s_or_b64 exec, exec, s[2:3]
	v_cmp_eq_u32_e32 vcc, v33, v32
	s_and_saveexec_b64 s[0:1], vcc
	s_cbranch_execnz .LBB82_178
	s_branch .LBB82_179
.LBB82_369:
	ds_read_u8 v33, v20 offset:4096
	s_andn2_b64 s[0:1], s[0:1], exec
	s_mov_b32 s6, 1
	s_waitcnt lgkmcnt(0)
	v_and_b32_e32 v33, 1, v33
	v_cmp_eq_u32_e32 vcc, 1, v33
	s_xor_b64 s[8:9], vcc, -1
	s_and_b64 s[8:9], s[8:9], exec
	s_or_b64 s[0:1], s[0:1], s[8:9]
	s_or_b64 exec, exec, s[2:3]
	v_mov_b32_e32 v33, s6
	s_and_saveexec_b64 s[2:3], s[0:1]
	s_cbranch_execz .LBB82_181
.LBB82_370:
	ds_read_u8 v33, v20 offset:4128
	s_waitcnt lgkmcnt(0)
	v_xor_b32_e32 v33, 1, v33
	s_or_b64 exec, exec, s[2:3]
	v_cmp_eq_u32_e32 vcc, v33, v32
	s_and_saveexec_b64 s[0:1], vcc
	s_cbranch_execnz .LBB82_182
	s_branch .LBB82_183
.LBB82_371:
	ds_read_u8 v33, v17 offset:4096
	s_andn2_b64 s[0:1], s[0:1], exec
	s_mov_b32 s6, 1
	s_waitcnt lgkmcnt(0)
	v_and_b32_e32 v33, 1, v33
	v_cmp_eq_u32_e32 vcc, 1, v33
	s_xor_b64 s[8:9], vcc, -1
	s_and_b64 s[8:9], s[8:9], exec
	s_or_b64 s[0:1], s[0:1], s[8:9]
	s_or_b64 exec, exec, s[2:3]
	v_mov_b32_e32 v33, s6
	s_and_saveexec_b64 s[2:3], s[0:1]
	s_cbranch_execz .LBB82_185
.LBB82_372:
	ds_read_u8 v33, v17 offset:4112
	s_waitcnt lgkmcnt(0)
	v_xor_b32_e32 v33, 1, v33
	s_or_b64 exec, exec, s[2:3]
	v_cmp_eq_u32_e32 vcc, v33, v32
	s_and_saveexec_b64 s[0:1], vcc
	s_cbranch_execnz .LBB82_186
	s_branch .LBB82_187
.LBB82_373:
	ds_read_u8 v33, v14 offset:4096
	s_andn2_b64 s[0:1], s[0:1], exec
	s_mov_b32 s6, 1
	s_waitcnt lgkmcnt(0)
	v_and_b32_e32 v33, 1, v33
	v_cmp_eq_u32_e32 vcc, 1, v33
	s_xor_b64 s[8:9], vcc, -1
	s_and_b64 s[8:9], s[8:9], exec
	s_or_b64 s[0:1], s[0:1], s[8:9]
	s_or_b64 exec, exec, s[2:3]
	v_mov_b32_e32 v33, s6
	s_and_saveexec_b64 s[2:3], s[0:1]
	s_cbranch_execz .LBB82_189
.LBB82_374:
	ds_read_u8 v33, v14 offset:4104
	s_waitcnt lgkmcnt(0)
	v_xor_b32_e32 v33, 1, v33
	s_or_b64 exec, exec, s[2:3]
	v_cmp_eq_u32_e32 vcc, v33, v32
	s_and_saveexec_b64 s[0:1], vcc
	s_cbranch_execnz .LBB82_190
	s_branch .LBB82_191
.LBB82_375:
	ds_read_u8 v33, v10 offset:4096
	s_andn2_b64 s[0:1], s[0:1], exec
	s_mov_b32 s6, 1
	s_waitcnt lgkmcnt(0)
	v_and_b32_e32 v33, 1, v33
	v_cmp_eq_u32_e32 vcc, 1, v33
	s_xor_b64 s[8:9], vcc, -1
	s_and_b64 s[8:9], s[8:9], exec
	s_or_b64 s[0:1], s[0:1], s[8:9]
	s_or_b64 exec, exec, s[2:3]
	v_mov_b32_e32 v33, s6
	s_and_saveexec_b64 s[2:3], s[0:1]
	s_cbranch_execz .LBB82_193
.LBB82_376:
	ds_read_u8 v33, v10 offset:4100
	s_waitcnt lgkmcnt(0)
	v_xor_b32_e32 v33, 1, v33
	s_or_b64 exec, exec, s[2:3]
	v_cmp_eq_u32_e32 vcc, v33, v32
	s_and_saveexec_b64 s[0:1], vcc
	s_cbranch_execnz .LBB82_194
	s_branch .LBB82_195
.LBB82_377:
	ds_read_u8 v33, v7 offset:4096
	s_andn2_b64 s[0:1], s[0:1], exec
	s_mov_b32 s6, 1
	s_waitcnt lgkmcnt(0)
	v_and_b32_e32 v33, 1, v33
	v_cmp_eq_u32_e32 vcc, 1, v33
	s_xor_b64 s[8:9], vcc, -1
	s_and_b64 s[8:9], s[8:9], exec
	s_or_b64 s[0:1], s[0:1], s[8:9]
	s_or_b64 exec, exec, s[2:3]
	v_mov_b32_e32 v33, s6
	s_and_saveexec_b64 s[2:3], s[0:1]
	s_cbranch_execz .LBB82_197
.LBB82_378:
	ds_read_u8 v33, v7 offset:4098
	s_waitcnt lgkmcnt(0)
	v_xor_b32_e32 v33, 1, v33
	s_or_b64 exec, exec, s[2:3]
	v_cmp_eq_u32_e32 vcc, v33, v32
	s_and_saveexec_b64 s[0:1], vcc
	s_cbranch_execnz .LBB82_198
	s_branch .LBB82_199
.LBB82_379:
	v_add_u32_e32 v33, v1, v3
	ds_read_u8 v33, v33 offset:4096
	s_andn2_b64 s[0:1], s[0:1], exec
	s_mov_b32 s6, 1
	s_waitcnt lgkmcnt(0)
	v_and_b32_e32 v33, 1, v33
	v_cmp_eq_u32_e32 vcc, 1, v33
	s_xor_b64 s[8:9], vcc, -1
	s_and_b64 s[8:9], s[8:9], exec
	s_or_b64 s[0:1], s[0:1], s[8:9]
	s_or_b64 exec, exec, s[2:3]
	v_mov_b32_e32 v33, s6
	s_and_saveexec_b64 s[2:3], s[0:1]
	s_cbranch_execz .LBB82_201
.LBB82_380:
	ds_read_u8 v33, v6 offset:4097
	s_waitcnt lgkmcnt(0)
	v_xor_b32_e32 v33, 1, v33
	s_or_b64 exec, exec, s[2:3]
	v_cmp_eq_u32_e32 vcc, v33, v32
	s_and_saveexec_b64 s[0:1], vcc
	s_cbranch_execnz .LBB82_202
	s_branch .LBB82_203
.LBB82_381:
	ds_read_u8 v35, v4 offset:4096
	s_andn2_b64 s[0:1], s[0:1], exec
	s_mov_b32 s6, 1
	s_waitcnt lgkmcnt(0)
	v_and_b32_e32 v35, 1, v35
	v_cmp_eq_u32_e32 vcc, 1, v35
	s_xor_b64 s[8:9], vcc, -1
	s_and_b64 s[8:9], s[8:9], exec
	s_or_b64 s[0:1], s[0:1], s[8:9]
	s_or_b64 exec, exec, s[2:3]
	v_mov_b32_e32 v35, s6
	s_and_saveexec_b64 s[2:3], s[0:1]
	s_cbranch_execz .LBB82_205
.LBB82_382:
	ds_read_u8 v35, v4 offset:4608
	s_waitcnt lgkmcnt(0)
	v_xor_b32_e32 v35, 1, v35
	s_or_b64 exec, exec, s[2:3]
	v_cmp_eq_u32_e32 vcc, 0, v35
	s_and_saveexec_b64 s[0:1], vcc
	s_cbranch_execnz .LBB82_206
	s_branch .LBB82_207
.LBB82_383:
	ds_read_u8 v32, v29 offset:4096
	s_andn2_b64 s[0:1], s[0:1], exec
	s_mov_b32 s6, 1
	s_waitcnt lgkmcnt(0)
	v_and_b32_e32 v32, 1, v32
	v_cmp_eq_u32_e32 vcc, 1, v32
	s_xor_b64 s[8:9], vcc, -1
	s_and_b64 s[8:9], s[8:9], exec
	s_or_b64 s[0:1], s[0:1], s[8:9]
	s_or_b64 exec, exec, s[2:3]
	v_mov_b32_e32 v32, s6
	s_and_saveexec_b64 s[2:3], s[0:1]
	s_cbranch_execz .LBB82_209
.LBB82_384:
	ds_read_u8 v32, v29 offset:4352
	s_waitcnt lgkmcnt(0)
	v_xor_b32_e32 v32, 1, v32
	s_or_b64 exec, exec, s[2:3]
	v_cmp_eq_u32_e32 vcc, 0, v32
	s_and_saveexec_b64 s[0:1], vcc
	s_cbranch_execnz .LBB82_210
	s_branch .LBB82_211
.LBB82_385:
	ds_read_u8 v29, v26 offset:4096
	s_andn2_b64 s[0:1], s[0:1], exec
	s_mov_b32 s6, 1
	s_waitcnt lgkmcnt(0)
	v_and_b32_e32 v29, 1, v29
	v_cmp_eq_u32_e32 vcc, 1, v29
	s_xor_b64 s[8:9], vcc, -1
	s_and_b64 s[8:9], s[8:9], exec
	s_or_b64 s[0:1], s[0:1], s[8:9]
	s_or_b64 exec, exec, s[2:3]
	v_mov_b32_e32 v29, s6
	s_and_saveexec_b64 s[2:3], s[0:1]
	s_cbranch_execz .LBB82_213
.LBB82_386:
	ds_read_u8 v29, v26 offset:4224
	s_waitcnt lgkmcnt(0)
	v_xor_b32_e32 v29, 1, v29
	s_or_b64 exec, exec, s[2:3]
	v_cmp_eq_u32_e32 vcc, 0, v29
	s_and_saveexec_b64 s[0:1], vcc
	s_cbranch_execnz .LBB82_214
	s_branch .LBB82_215
.LBB82_387:
	ds_read_b32 v5, v14 offset:4096
	s_or_b64 exec, exec, s[12:13]
	s_and_saveexec_b64 s[12:13], s[10:11]
	s_cbranch_execz .LBB82_296
.LBB82_388:
	ds_read_b32 v3, v14 offset:4100
	s_or_b64 exec, exec, s[12:13]
	s_and_saveexec_b64 s[20:21], s[0:1]
	s_cbranch_execz .LBB82_297
.LBB82_389:
	s_waitcnt lgkmcnt(0)
	ds_bpermute_b32 v6, v1, v5
	ds_bpermute_b32 v7, v1, v3
	s_waitcnt lgkmcnt(1)
	v_max_u32_e32 v15, v6, v5
	v_cmp_gt_u32_e64 s[12:13], v6, v5
	ds_bpermute_b32 v16, v8, v15
	s_waitcnt lgkmcnt(1)
	v_cndmask_b32_e64 v3, v3, v7, s[12:13]
	ds_bpermute_b32 v5, v8, v3
	s_waitcnt lgkmcnt(1)
	v_max_u32_e32 v6, v16, v15
	v_cmp_gt_u32_e64 s[12:13], v16, v15
	ds_bpermute_b32 v7, v9, v6
	s_waitcnt lgkmcnt(1)
	v_cndmask_b32_e64 v3, v3, v5, s[12:13]
	;; [unrolled: 7-line block ×4, first 2 shown]
	ds_bpermute_b32 v5, v11, v3
	s_waitcnt lgkmcnt(1)
	v_max_u32_e32 v15, v7, v6
	v_cmp_gt_u32_e64 s[12:13], v7, v6
	s_waitcnt lgkmcnt(0)
	v_cndmask_b32_e64 v3, v3, v5, s[12:13]
	ds_bpermute_b32 v5, v12, v15
	ds_bpermute_b32 v6, v12, v3
	s_waitcnt lgkmcnt(1)
	v_cmp_gt_u32_e64 s[12:13], v5, v15
	s_waitcnt lgkmcnt(0)
	v_cndmask_b32_e64 v3, v3, v6, s[12:13]
	s_or_b64 exec, exec, s[20:21]
	s_and_saveexec_b64 s[12:13], vcc
	s_cbranch_execnz .LBB82_298
	s_branch .LBB82_299
.LBB82_390:
	v_lshlrev_b32_e32 v0, 2, v13
	v_sub_u32_e32 v0, v14, v0
	ds_read_b32 v0, v0
	s_or_b64 exec, exec, s[2:3]
	s_and_saveexec_b64 s[2:3], s[0:1]
	s_cbranch_execz .LBB82_307
.LBB82_391:
	s_waitcnt lgkmcnt(0)
	ds_bpermute_b32 v1, v1, v0
	s_waitcnt lgkmcnt(0)
	v_max_u32_e32 v0, v1, v0
	ds_bpermute_b32 v1, v8, v0
	s_waitcnt lgkmcnt(0)
	v_max_u32_e32 v0, v1, v0
	;; [unrolled: 3-line block ×6, first 2 shown]
	s_or_b64 exec, exec, s[2:3]
	s_and_saveexec_b64 s[0:1], vcc
	s_cbranch_execz .LBB82_308
.LBB82_392:
	s_load_dword s6, s[4:5], 0xd8
	s_load_dwordx2 s[0:1], s[4:5], 0xe0
	s_add_u32 s2, s4, 8
	s_addc_u32 s3, s5, 0
	s_mov_b32 s5, 0
	s_waitcnt lgkmcnt(0)
	s_cmp_lt_i32 s6, 2
	s_cbranch_scc1 .LBB82_395
; %bb.393:
	s_add_i32 s4, s6, -1
	s_add_i32 s8, s6, 1
	s_lshl_b64 s[6:7], s[4:5], 2
	s_add_u32 s4, s6, s2
	s_addc_u32 s7, s7, s3
	s_add_u32 s6, s4, 8
	s_addc_u32 s7, s7, 0
.LBB82_394:                             ; =>This Inner Loop Header: Depth=1
	s_load_dword s4, s[6:7], 0x0
	s_load_dword s10, s[6:7], 0x64
	s_mov_b32 s9, s14
	s_waitcnt lgkmcnt(0)
	v_cvt_f32_u32_e32 v1, s4
	s_sub_i32 s11, 0, s4
	v_rcp_iflag_f32_e32 v1, v1
	v_mul_f32_e32 v1, 0x4f7ffffe, v1
	v_cvt_u32_f32_e32 v1, v1
	v_readfirstlane_b32 s12, v1
	s_mul_i32 s11, s11, s12
	s_mul_hi_u32 s11, s12, s11
	s_add_i32 s12, s12, s11
	s_mul_hi_u32 s11, s14, s12
	s_mul_i32 s12, s11, s4
	s_sub_i32 s12, s14, s12
	s_add_i32 s13, s11, 1
	s_sub_i32 s14, s12, s4
	s_cmp_ge_u32 s12, s4
	s_cselect_b32 s11, s13, s11
	s_cselect_b32 s12, s14, s12
	s_add_i32 s13, s11, 1
	s_cmp_ge_u32 s12, s4
	s_cselect_b32 s14, s13, s11
	s_mul_i32 s4, s14, s4
	s_sub_i32 s4, s9, s4
	s_mul_i32 s4, s10, s4
	s_add_i32 s8, s8, -1
	s_add_i32 s5, s4, s5
	s_add_u32 s6, s6, -4
	s_addc_u32 s7, s7, -1
	s_cmp_gt_u32 s8, 2
	s_cbranch_scc1 .LBB82_394
.LBB82_395:
	s_load_dword s4, s[2:3], 0x6c
	v_mov_b32_e32 v1, 0
	s_load_dwordx2 s[2:3], s[2:3], 0x0
	ds_read_b32 v2, v1
	s_mov_b32 s7, 0
	s_waitcnt lgkmcnt(0)
	s_mul_i32 s4, s4, s14
	s_add_i32 s6, s4, s5
	s_lshl_b64 s[4:5], s[6:7], 2
	s_add_u32 s2, s2, s4
	s_addc_u32 s3, s3, s5
	global_store_dword v1, v2, s[2:3]
	s_lshl_b64 s[2:3], s[6:7], 3
	s_add_u32 s0, s0, s2
	s_addc_u32 s1, s1, s3
	global_store_dwordx2 v1, v[0:1], s[0:1]
	s_endpgm
	.section	.rodata,"a",@progbits
	.p2align	6, 0x0
	.amdhsa_kernel _ZN2at6native12compute_modeIiLj1024EEEvPKT_NS_4cuda6detail10TensorInfoIS2_jEENS7_IljEEll
		.amdhsa_group_segment_fixed_size 4
		.amdhsa_private_segment_fixed_size 0
		.amdhsa_kernarg_size 712
		.amdhsa_user_sgpr_count 6
		.amdhsa_user_sgpr_private_segment_buffer 1
		.amdhsa_user_sgpr_dispatch_ptr 0
		.amdhsa_user_sgpr_queue_ptr 0
		.amdhsa_user_sgpr_kernarg_segment_ptr 1
		.amdhsa_user_sgpr_dispatch_id 0
		.amdhsa_user_sgpr_flat_scratch_init 0
		.amdhsa_user_sgpr_kernarg_preload_length 0
		.amdhsa_user_sgpr_kernarg_preload_offset 0
		.amdhsa_user_sgpr_private_segment_size 0
		.amdhsa_uses_dynamic_stack 0
		.amdhsa_system_sgpr_private_segment_wavefront_offset 0
		.amdhsa_system_sgpr_workgroup_id_x 1
		.amdhsa_system_sgpr_workgroup_id_y 1
		.amdhsa_system_sgpr_workgroup_id_z 1
		.amdhsa_system_sgpr_workgroup_info 0
		.amdhsa_system_vgpr_workitem_id 0
		.amdhsa_next_free_vgpr 37
		.amdhsa_next_free_sgpr 22
		.amdhsa_accum_offset 40
		.amdhsa_reserve_vcc 1
		.amdhsa_reserve_flat_scratch 0
		.amdhsa_float_round_mode_32 0
		.amdhsa_float_round_mode_16_64 0
		.amdhsa_float_denorm_mode_32 3
		.amdhsa_float_denorm_mode_16_64 3
		.amdhsa_dx10_clamp 1
		.amdhsa_ieee_mode 1
		.amdhsa_fp16_overflow 0
		.amdhsa_tg_split 0
		.amdhsa_exception_fp_ieee_invalid_op 0
		.amdhsa_exception_fp_denorm_src 0
		.amdhsa_exception_fp_ieee_div_zero 0
		.amdhsa_exception_fp_ieee_overflow 0
		.amdhsa_exception_fp_ieee_underflow 0
		.amdhsa_exception_fp_ieee_inexact 0
		.amdhsa_exception_int_div_zero 0
	.end_amdhsa_kernel
	.section	.text._ZN2at6native12compute_modeIiLj1024EEEvPKT_NS_4cuda6detail10TensorInfoIS2_jEENS7_IljEEll,"axG",@progbits,_ZN2at6native12compute_modeIiLj1024EEEvPKT_NS_4cuda6detail10TensorInfoIS2_jEENS7_IljEEll,comdat
.Lfunc_end82:
	.size	_ZN2at6native12compute_modeIiLj1024EEEvPKT_NS_4cuda6detail10TensorInfoIS2_jEENS7_IljEEll, .Lfunc_end82-_ZN2at6native12compute_modeIiLj1024EEEvPKT_NS_4cuda6detail10TensorInfoIS2_jEENS7_IljEEll
                                        ; -- End function
	.section	.AMDGPU.csdata,"",@progbits
; Kernel info:
; codeLenInByte = 17276
; NumSgprs: 26
; NumVgprs: 37
; NumAgprs: 0
; TotalNumVgprs: 37
; ScratchSize: 0
; MemoryBound: 0
; FloatMode: 240
; IeeeMode: 1
; LDSByteSize: 4 bytes/workgroup (compile time only)
; SGPRBlocks: 3
; VGPRBlocks: 4
; NumSGPRsForWavesPerEU: 26
; NumVGPRsForWavesPerEU: 37
; AccumOffset: 40
; Occupancy: 8
; WaveLimiterHint : 1
; COMPUTE_PGM_RSRC2:SCRATCH_EN: 0
; COMPUTE_PGM_RSRC2:USER_SGPR: 6
; COMPUTE_PGM_RSRC2:TRAP_HANDLER: 0
; COMPUTE_PGM_RSRC2:TGID_X_EN: 1
; COMPUTE_PGM_RSRC2:TGID_Y_EN: 1
; COMPUTE_PGM_RSRC2:TGID_Z_EN: 1
; COMPUTE_PGM_RSRC2:TIDIG_COMP_CNT: 0
; COMPUTE_PGM_RSRC3_GFX90A:ACCUM_OFFSET: 9
; COMPUTE_PGM_RSRC3_GFX90A:TG_SPLIT: 0
	.section	.text._ZN2at6native12compute_modeIiLj128EEEvPKT_NS_4cuda6detail10TensorInfoIS2_jEENS7_IljEEll,"axG",@progbits,_ZN2at6native12compute_modeIiLj128EEEvPKT_NS_4cuda6detail10TensorInfoIS2_jEENS7_IljEEll,comdat
	.protected	_ZN2at6native12compute_modeIiLj128EEEvPKT_NS_4cuda6detail10TensorInfoIS2_jEENS7_IljEEll ; -- Begin function _ZN2at6native12compute_modeIiLj128EEEvPKT_NS_4cuda6detail10TensorInfoIS2_jEENS7_IljEEll
	.globl	_ZN2at6native12compute_modeIiLj128EEEvPKT_NS_4cuda6detail10TensorInfoIS2_jEENS7_IljEEll
	.p2align	8
	.type	_ZN2at6native12compute_modeIiLj128EEEvPKT_NS_4cuda6detail10TensorInfoIS2_jEENS7_IljEEll,@function
_ZN2at6native12compute_modeIiLj128EEEvPKT_NS_4cuda6detail10TensorInfoIS2_jEENS7_IljEEll: ; @_ZN2at6native12compute_modeIiLj128EEEvPKT_NS_4cuda6detail10TensorInfoIS2_jEENS7_IljEEll
; %bb.0:
	s_load_dwordx4 s[16:19], s[4:5], 0x1b8
	s_load_dwordx2 s[2:3], s[4:5], 0x1c8
	s_add_u32 s0, s4, 0x1c8
	s_addc_u32 s1, s5, 0
	s_mov_b32 s15, 0
	s_waitcnt lgkmcnt(0)
	v_mov_b32_e32 v2, s18
	s_mul_i32 s3, s3, s8
	s_add_i32 s3, s3, s7
	s_mul_i32 s2, s3, s2
	v_mov_b32_e32 v3, s19
	s_add_i32 s14, s2, s6
	v_cmp_ge_i64_e32 vcc, s[14:15], v[2:3]
	s_cbranch_vccnz .LBB83_182
; %bb.1:
	s_load_dwordx2 s[18:19], s[4:5], 0x0
	s_load_dword s6, s[0:1], 0xc
	v_mov_b32_e32 v3, 0
	v_mov_b32_e32 v1, v3
	s_mul_i32 s15, s14, s16
	v_cmp_gt_i64_e32 vcc, s[16:17], v[0:1]
	s_and_saveexec_b64 s[2:3], vcc
	s_cbranch_execz .LBB83_3
; %bb.2:
	v_add_u32_e32 v2, s15, v0
	v_lshlrev_b64 v[4:5], 2, v[2:3]
	s_waitcnt lgkmcnt(0)
	v_mov_b32_e32 v1, s19
	v_add_co_u32_e64 v4, s[0:1], s18, v4
	v_addc_co_u32_e64 v5, s[0:1], v1, v5, s[0:1]
	global_load_dword v1, v[4:5], off
	v_lshl_add_u32 v2, v0, 2, 4
	s_waitcnt vmcnt(0)
	ds_write_b32 v2, v1
.LBB83_3:
	s_or_b64 exec, exec, s[2:3]
	s_waitcnt lgkmcnt(0)
	s_and_b32 s20, 0xffff, s6
	v_add_u32_e32 v2, s20, v0
	v_cmp_gt_i64_e64 s[0:1], s[16:17], v[2:3]
	s_and_saveexec_b64 s[6:7], s[0:1]
	s_cbranch_execz .LBB83_5
; %bb.4:
	v_add_u32_e32 v4, s15, v2
	v_mov_b32_e32 v5, 0
	v_lshlrev_b64 v[4:5], 2, v[4:5]
	v_mov_b32_e32 v1, s19
	v_add_co_u32_e64 v4, s[2:3], s18, v4
	v_addc_co_u32_e64 v5, s[2:3], v1, v5, s[2:3]
	global_load_dword v1, v[4:5], off
	v_lshl_add_u32 v2, v2, 2, 4
	s_waitcnt vmcnt(0)
	ds_write_b32 v2, v1
.LBB83_5:
	s_or_b64 exec, exec, s[6:7]
	v_add_u32_e32 v1, 4, v0
	v_cndmask_b32_e64 v2, 0, 1, vcc
	ds_write_b8 v1, v2 offset:512
	v_add_u32_e32 v2, s20, v1
	v_cndmask_b32_e64 v3, 0, 1, s[0:1]
	v_mad_u32_u24 v1, v0, 7, v1
	ds_write_b8 v2, v3 offset:512
	s_waitcnt lgkmcnt(0)
	s_barrier
	s_barrier
	ds_read2_b32 v[4:5], v1 offset1:1
	s_mov_b32 s6, 1
	v_mul_i32_i24_e32 v3, -6, v0
	s_waitcnt lgkmcnt(0)
	v_cmp_ge_i32_e64 s[0:1], v4, v5
	v_cmp_lt_i32_e32 vcc, v4, v5
	s_and_saveexec_b64 s[2:3], vcc
	s_cbranch_execz .LBB83_7
; %bb.6:
	v_add_u32_e32 v2, v1, v3
	ds_read_u8 v2, v2 offset:512
	s_andn2_b64 s[0:1], s[0:1], exec
	s_waitcnt lgkmcnt(0)
	v_and_b32_e32 v2, 1, v2
	v_cmp_eq_u32_e32 vcc, 1, v2
	s_xor_b64 s[8:9], vcc, -1
	s_and_b64 s[8:9], s[8:9], exec
	s_or_b64 s[0:1], s[0:1], s[8:9]
.LBB83_7:
	s_or_b64 exec, exec, s[2:3]
	v_lshlrev_b32_e32 v2, 1, v0
	v_mov_b32_e32 v8, s6
	v_add_u32_e32 v6, 4, v2
	s_and_saveexec_b64 s[2:3], s[0:1]
	s_cbranch_execz .LBB83_9
; %bb.8:
	ds_read_u8 v7, v6 offset:513
	s_waitcnt lgkmcnt(0)
	v_xor_b32_e32 v8, 1, v7
.LBB83_9:
	s_or_b64 exec, exec, s[2:3]
	v_and_b32_e32 v7, 1, v0
	v_cmp_eq_u32_e32 vcc, v8, v7
	s_and_saveexec_b64 s[0:1], vcc
	s_cbranch_execz .LBB83_11
; %bb.10:
	v_add_u32_e32 v9, v1, v3
	ds_read_u8 v10, v6 offset:513
	ds_read_u8 v11, v9 offset:512
	ds_write2_b32 v1, v5, v4 offset1:1
	s_waitcnt lgkmcnt(2)
	ds_write_b8 v9, v10 offset:512
	s_waitcnt lgkmcnt(2)
	ds_write_b8 v6, v11 offset:513
.LBB83_11:
	s_or_b64 exec, exec, s[0:1]
	v_sub_u32_e32 v9, v2, v7
	v_add_u32_e32 v7, 4, v9
	v_lshl_add_u32 v8, v9, 2, 4
	v_mad_i32_i24 v5, v9, 3, v7
	s_waitcnt lgkmcnt(0)
	s_barrier
	ds_read_b32 v4, v8
	ds_read_b32 v5, v5 offset:8
	s_mov_b64 s[0:1], -1
                                        ; implicit-def: $sgpr6
	s_waitcnt lgkmcnt(0)
	v_cmp_lt_i32_e32 vcc, v4, v5
	s_and_saveexec_b64 s[2:3], vcc
	s_xor_b64 s[2:3], exec, s[2:3]
	s_cbranch_execz .LBB83_13
; %bb.12:
	ds_read_u8 v10, v7 offset:512
	s_mov_b32 s6, 1
	s_waitcnt lgkmcnt(0)
	v_and_b32_e32 v10, 1, v10
	v_cmp_eq_u32_e32 vcc, 1, v10
	s_xor_b64 s[0:1], vcc, -1
	s_orn2_b64 s[0:1], s[0:1], exec
.LBB83_13:
	s_or_b64 exec, exec, s[2:3]
	v_mul_i32_i24_e32 v9, 3, v9
	v_mov_b32_e32 v11, s6
	s_and_saveexec_b64 s[2:3], s[0:1]
	s_cbranch_execz .LBB83_15
; %bb.14:
	ds_read_u8 v10, v7 offset:514
	s_waitcnt lgkmcnt(0)
	v_xor_b32_e32 v11, 1, v10
.LBB83_15:
	s_or_b64 exec, exec, s[2:3]
	v_bfe_u32 v10, v0, 1, 1
	v_cmp_eq_u32_e32 vcc, v11, v10
	v_add_u32_e32 v9, v7, v9
	s_and_saveexec_b64 s[0:1], vcc
	s_cbranch_execz .LBB83_17
; %bb.16:
	ds_read_u8 v11, v7 offset:514
	ds_read_u8 v12, v7 offset:512
	ds_write_b32 v8, v5
	ds_write_b32 v9, v4 offset:8
	s_waitcnt lgkmcnt(3)
	ds_write_b8 v7, v11 offset:512
	s_waitcnt lgkmcnt(3)
	ds_write_b8 v7, v12 offset:514
.LBB83_17:
	s_or_b64 exec, exec, s[0:1]
	s_waitcnt lgkmcnt(0)
	s_barrier
	ds_read2_b32 v[4:5], v1 offset1:1
                                        ; implicit-def: $sgpr6
	s_waitcnt lgkmcnt(0)
	v_cmp_ge_i32_e64 s[0:1], v4, v5
	v_cmp_lt_i32_e32 vcc, v4, v5
	s_and_saveexec_b64 s[2:3], vcc
	s_cbranch_execnz .LBB83_183
; %bb.18:
	s_or_b64 exec, exec, s[2:3]
	v_mov_b32_e32 v11, s6
	s_and_saveexec_b64 s[2:3], s[0:1]
	s_cbranch_execnz .LBB83_184
.LBB83_19:
	s_or_b64 exec, exec, s[2:3]
	v_cmp_eq_u32_e32 vcc, v11, v10
	s_and_saveexec_b64 s[0:1], vcc
	s_cbranch_execz .LBB83_21
.LBB83_20:
	v_add_u32_e32 v11, v1, v3
	ds_read_u8 v12, v6 offset:513
	ds_read_u8 v13, v11 offset:512
	ds_write2_b32 v1, v5, v4 offset1:1
	s_waitcnt lgkmcnt(2)
	ds_write_b8 v11, v12 offset:512
	s_waitcnt lgkmcnt(2)
	ds_write_b8 v6, v13 offset:513
.LBB83_21:
	s_or_b64 exec, exec, s[0:1]
	v_and_b32_e32 v4, 3, v0
	v_sub_u32_e32 v12, v2, v4
	v_add_u32_e32 v10, 4, v12
	v_lshl_add_u32 v11, v12, 2, 4
	v_mad_i32_i24 v5, v12, 3, v10
	s_waitcnt lgkmcnt(0)
	s_barrier
	ds_read_b32 v4, v11
	ds_read_b32 v5, v5 offset:16
                                        ; implicit-def: $sgpr6
	s_waitcnt lgkmcnt(0)
	v_cmp_ge_i32_e64 s[0:1], v4, v5
	v_cmp_lt_i32_e32 vcc, v4, v5
	s_and_saveexec_b64 s[2:3], vcc
	s_cbranch_execz .LBB83_23
; %bb.22:
	ds_read_u8 v13, v10 offset:512
	s_andn2_b64 s[0:1], s[0:1], exec
	s_mov_b32 s6, 1
	s_waitcnt lgkmcnt(0)
	v_and_b32_e32 v13, 1, v13
	v_cmp_eq_u32_e32 vcc, 1, v13
	s_xor_b64 s[8:9], vcc, -1
	s_and_b64 s[8:9], s[8:9], exec
	s_or_b64 s[0:1], s[0:1], s[8:9]
.LBB83_23:
	s_or_b64 exec, exec, s[2:3]
	v_mul_i32_i24_e32 v12, 3, v12
	v_mov_b32_e32 v14, s6
	s_and_saveexec_b64 s[2:3], s[0:1]
	s_cbranch_execz .LBB83_25
; %bb.24:
	ds_read_u8 v13, v10 offset:516
	s_waitcnt lgkmcnt(0)
	v_xor_b32_e32 v14, 1, v13
.LBB83_25:
	s_or_b64 exec, exec, s[2:3]
	v_bfe_u32 v13, v0, 2, 1
	v_cmp_eq_u32_e32 vcc, v14, v13
	v_add_u32_e32 v12, v10, v12
	s_and_saveexec_b64 s[0:1], vcc
	s_cbranch_execz .LBB83_27
; %bb.26:
	ds_read_u8 v14, v10 offset:516
	ds_read_u8 v15, v10 offset:512
	ds_write_b32 v11, v5
	ds_write_b32 v12, v4 offset:16
	s_waitcnt lgkmcnt(3)
	ds_write_b8 v10, v14 offset:512
	s_waitcnt lgkmcnt(3)
	ds_write_b8 v10, v15 offset:516
.LBB83_27:
	s_or_b64 exec, exec, s[0:1]
	s_waitcnt lgkmcnt(0)
	s_barrier
	ds_read_b32 v4, v8
	ds_read_b32 v5, v9 offset:8
                                        ; implicit-def: $sgpr6
	s_waitcnt lgkmcnt(0)
	v_cmp_ge_i32_e64 s[0:1], v4, v5
	v_cmp_lt_i32_e32 vcc, v4, v5
	s_and_saveexec_b64 s[2:3], vcc
	s_cbranch_execnz .LBB83_185
; %bb.28:
	s_or_b64 exec, exec, s[2:3]
	v_mov_b32_e32 v14, s6
	s_and_saveexec_b64 s[2:3], s[0:1]
	s_cbranch_execnz .LBB83_186
.LBB83_29:
	s_or_b64 exec, exec, s[2:3]
	v_cmp_eq_u32_e32 vcc, v14, v13
	s_and_saveexec_b64 s[0:1], vcc
	s_cbranch_execz .LBB83_31
.LBB83_30:
	ds_read_u8 v14, v7 offset:514
	ds_read_u8 v15, v7 offset:512
	ds_write_b32 v8, v5
	ds_write_b32 v9, v4 offset:8
	s_waitcnt lgkmcnt(3)
	ds_write_b8 v7, v14 offset:512
	s_waitcnt lgkmcnt(3)
	ds_write_b8 v7, v15 offset:514
.LBB83_31:
	s_or_b64 exec, exec, s[0:1]
	s_waitcnt lgkmcnt(0)
	s_barrier
	ds_read2_b32 v[4:5], v1 offset1:1
                                        ; implicit-def: $sgpr6
	s_waitcnt lgkmcnt(0)
	v_cmp_ge_i32_e64 s[0:1], v4, v5
	v_cmp_lt_i32_e32 vcc, v4, v5
	s_and_saveexec_b64 s[2:3], vcc
	s_cbranch_execnz .LBB83_187
; %bb.32:
	s_or_b64 exec, exec, s[2:3]
	v_mov_b32_e32 v14, s6
	s_and_saveexec_b64 s[2:3], s[0:1]
	s_cbranch_execnz .LBB83_188
.LBB83_33:
	s_or_b64 exec, exec, s[2:3]
	v_cmp_eq_u32_e32 vcc, v14, v13
	s_and_saveexec_b64 s[0:1], vcc
	s_cbranch_execz .LBB83_35
.LBB83_34:
	v_add_u32_e32 v13, v1, v3
	ds_read_u8 v15, v6 offset:513
	ds_read_u8 v16, v13 offset:512
	ds_write2_b32 v1, v5, v4 offset1:1
	s_waitcnt lgkmcnt(2)
	ds_write_b8 v13, v15 offset:512
	s_waitcnt lgkmcnt(2)
	ds_write_b8 v6, v16 offset:513
.LBB83_35:
	s_or_b64 exec, exec, s[0:1]
	v_and_b32_e32 v4, 7, v0
	v_sub_u32_e32 v15, v2, v4
	v_add_u32_e32 v13, 4, v15
	v_lshl_add_u32 v14, v15, 2, 4
	v_mad_i32_i24 v5, v15, 3, v13
	s_waitcnt lgkmcnt(0)
	s_barrier
	ds_read_b32 v4, v14
	ds_read_b32 v5, v5 offset:32
                                        ; implicit-def: $sgpr6
	s_waitcnt lgkmcnt(0)
	v_cmp_ge_i32_e64 s[0:1], v4, v5
	v_cmp_lt_i32_e32 vcc, v4, v5
	s_and_saveexec_b64 s[2:3], vcc
	s_cbranch_execz .LBB83_37
; %bb.36:
	ds_read_u8 v16, v13 offset:512
	s_andn2_b64 s[0:1], s[0:1], exec
	s_mov_b32 s6, 1
	s_waitcnt lgkmcnt(0)
	v_and_b32_e32 v16, 1, v16
	v_cmp_eq_u32_e32 vcc, 1, v16
	s_xor_b64 s[8:9], vcc, -1
	s_and_b64 s[8:9], s[8:9], exec
	s_or_b64 s[0:1], s[0:1], s[8:9]
.LBB83_37:
	s_or_b64 exec, exec, s[2:3]
	v_mul_i32_i24_e32 v15, 3, v15
	v_mov_b32_e32 v17, s6
	s_and_saveexec_b64 s[2:3], s[0:1]
	s_cbranch_execz .LBB83_39
; %bb.38:
	ds_read_u8 v16, v13 offset:520
	s_waitcnt lgkmcnt(0)
	v_xor_b32_e32 v17, 1, v16
.LBB83_39:
	s_or_b64 exec, exec, s[2:3]
	v_bfe_u32 v16, v0, 3, 1
	v_cmp_eq_u32_e32 vcc, v17, v16
	v_add_u32_e32 v15, v13, v15
	s_and_saveexec_b64 s[0:1], vcc
	s_cbranch_execz .LBB83_41
; %bb.40:
	ds_read_u8 v17, v13 offset:520
	ds_read_u8 v18, v13 offset:512
	ds_write_b32 v14, v5
	ds_write_b32 v15, v4 offset:32
	s_waitcnt lgkmcnt(3)
	ds_write_b8 v13, v17 offset:512
	s_waitcnt lgkmcnt(3)
	ds_write_b8 v13, v18 offset:520
.LBB83_41:
	s_or_b64 exec, exec, s[0:1]
	s_waitcnt lgkmcnt(0)
	s_barrier
	ds_read_b32 v4, v11
	ds_read_b32 v5, v12 offset:16
                                        ; implicit-def: $sgpr6
	s_waitcnt lgkmcnt(0)
	v_cmp_ge_i32_e64 s[0:1], v4, v5
	v_cmp_lt_i32_e32 vcc, v4, v5
	s_and_saveexec_b64 s[2:3], vcc
	s_cbranch_execnz .LBB83_189
; %bb.42:
	s_or_b64 exec, exec, s[2:3]
	v_mov_b32_e32 v17, s6
	s_and_saveexec_b64 s[2:3], s[0:1]
	s_cbranch_execnz .LBB83_190
.LBB83_43:
	s_or_b64 exec, exec, s[2:3]
	v_cmp_eq_u32_e32 vcc, v17, v16
	s_and_saveexec_b64 s[0:1], vcc
	s_cbranch_execz .LBB83_45
.LBB83_44:
	ds_read_u8 v17, v10 offset:516
	ds_read_u8 v18, v10 offset:512
	ds_write_b32 v11, v5
	ds_write_b32 v12, v4 offset:16
	s_waitcnt lgkmcnt(3)
	ds_write_b8 v10, v17 offset:512
	s_waitcnt lgkmcnt(3)
	ds_write_b8 v10, v18 offset:516
.LBB83_45:
	s_or_b64 exec, exec, s[0:1]
	s_waitcnt lgkmcnt(0)
	s_barrier
	ds_read_b32 v4, v8
	ds_read_b32 v5, v9 offset:8
                                        ; implicit-def: $sgpr6
	s_waitcnt lgkmcnt(0)
	v_cmp_ge_i32_e64 s[0:1], v4, v5
	v_cmp_lt_i32_e32 vcc, v4, v5
	s_and_saveexec_b64 s[2:3], vcc
	s_cbranch_execnz .LBB83_191
; %bb.46:
	s_or_b64 exec, exec, s[2:3]
	v_mov_b32_e32 v17, s6
	s_and_saveexec_b64 s[2:3], s[0:1]
	s_cbranch_execnz .LBB83_192
.LBB83_47:
	s_or_b64 exec, exec, s[2:3]
	v_cmp_eq_u32_e32 vcc, v17, v16
	s_and_saveexec_b64 s[0:1], vcc
	s_cbranch_execz .LBB83_49
.LBB83_48:
	ds_read_u8 v17, v7 offset:514
	ds_read_u8 v18, v7 offset:512
	ds_write_b32 v8, v5
	ds_write_b32 v9, v4 offset:8
	s_waitcnt lgkmcnt(3)
	ds_write_b8 v7, v17 offset:512
	s_waitcnt lgkmcnt(3)
	ds_write_b8 v7, v18 offset:514
.LBB83_49:
	s_or_b64 exec, exec, s[0:1]
	s_waitcnt lgkmcnt(0)
	s_barrier
	ds_read2_b32 v[4:5], v1 offset1:1
                                        ; implicit-def: $sgpr6
	s_waitcnt lgkmcnt(0)
	v_cmp_ge_i32_e64 s[0:1], v4, v5
	v_cmp_lt_i32_e32 vcc, v4, v5
	s_and_saveexec_b64 s[2:3], vcc
	s_cbranch_execnz .LBB83_193
; %bb.50:
	s_or_b64 exec, exec, s[2:3]
	v_mov_b32_e32 v17, s6
	s_and_saveexec_b64 s[2:3], s[0:1]
	s_cbranch_execnz .LBB83_194
.LBB83_51:
	s_or_b64 exec, exec, s[2:3]
	v_cmp_eq_u32_e32 vcc, v17, v16
	s_and_saveexec_b64 s[0:1], vcc
	s_cbranch_execz .LBB83_53
.LBB83_52:
	v_add_u32_e32 v17, v1, v3
	ds_read_u8 v18, v6 offset:513
	ds_read_u8 v19, v17 offset:512
	ds_write2_b32 v1, v5, v4 offset1:1
	s_waitcnt lgkmcnt(2)
	ds_write_b8 v17, v18 offset:512
	s_waitcnt lgkmcnt(2)
	ds_write_b8 v6, v19 offset:513
.LBB83_53:
	s_or_b64 exec, exec, s[0:1]
	v_and_b32_e32 v4, 15, v0
	v_sub_u32_e32 v16, v2, v4
	v_add_u32_e32 v17, 4, v16
	v_lshl_add_u32 v18, v16, 2, 4
	v_mad_i32_i24 v5, v16, 3, v17
	s_waitcnt lgkmcnt(0)
	s_barrier
	ds_read_b32 v4, v18
	ds_read_b32 v5, v5 offset:64
                                        ; implicit-def: $sgpr6
	s_waitcnt lgkmcnt(0)
	v_cmp_ge_i32_e64 s[0:1], v4, v5
	v_cmp_lt_i32_e32 vcc, v4, v5
	s_and_saveexec_b64 s[2:3], vcc
	s_cbranch_execz .LBB83_55
; %bb.54:
	ds_read_u8 v19, v17 offset:512
	s_andn2_b64 s[0:1], s[0:1], exec
	s_mov_b32 s6, 1
	s_waitcnt lgkmcnt(0)
	v_and_b32_e32 v19, 1, v19
	v_cmp_eq_u32_e32 vcc, 1, v19
	s_xor_b64 s[8:9], vcc, -1
	s_and_b64 s[8:9], s[8:9], exec
	s_or_b64 s[0:1], s[0:1], s[8:9]
.LBB83_55:
	s_or_b64 exec, exec, s[2:3]
	v_mul_i32_i24_e32 v19, 3, v16
	v_mov_b32_e32 v20, s6
	s_and_saveexec_b64 s[2:3], s[0:1]
	s_cbranch_execz .LBB83_57
; %bb.56:
	ds_read_u8 v16, v17 offset:528
	s_waitcnt lgkmcnt(0)
	v_xor_b32_e32 v20, 1, v16
.LBB83_57:
	s_or_b64 exec, exec, s[2:3]
	v_bfe_u32 v16, v0, 4, 1
	v_cmp_eq_u32_e32 vcc, v20, v16
	v_add_u32_e32 v19, v17, v19
	s_and_saveexec_b64 s[0:1], vcc
	s_cbranch_execz .LBB83_59
; %bb.58:
	ds_read_u8 v20, v17 offset:528
	ds_read_u8 v21, v17 offset:512
	ds_write_b32 v18, v5
	ds_write_b32 v19, v4 offset:64
	s_waitcnt lgkmcnt(3)
	ds_write_b8 v17, v20 offset:512
	s_waitcnt lgkmcnt(3)
	ds_write_b8 v17, v21 offset:528
.LBB83_59:
	s_or_b64 exec, exec, s[0:1]
	s_waitcnt lgkmcnt(0)
	s_barrier
	ds_read_b32 v4, v14
	ds_read_b32 v5, v15 offset:32
                                        ; implicit-def: $sgpr6
	s_waitcnt lgkmcnt(0)
	v_cmp_ge_i32_e64 s[0:1], v4, v5
	v_cmp_lt_i32_e32 vcc, v4, v5
	s_and_saveexec_b64 s[2:3], vcc
	s_cbranch_execnz .LBB83_195
; %bb.60:
	s_or_b64 exec, exec, s[2:3]
	v_mov_b32_e32 v20, s6
	s_and_saveexec_b64 s[2:3], s[0:1]
	s_cbranch_execnz .LBB83_196
.LBB83_61:
	s_or_b64 exec, exec, s[2:3]
	v_cmp_eq_u32_e32 vcc, v20, v16
	s_and_saveexec_b64 s[0:1], vcc
	s_cbranch_execz .LBB83_63
.LBB83_62:
	ds_read_u8 v20, v13 offset:520
	ds_read_u8 v21, v13 offset:512
	ds_write_b32 v14, v5
	ds_write_b32 v15, v4 offset:32
	s_waitcnt lgkmcnt(3)
	ds_write_b8 v13, v20 offset:512
	s_waitcnt lgkmcnt(3)
	ds_write_b8 v13, v21 offset:520
.LBB83_63:
	s_or_b64 exec, exec, s[0:1]
	s_waitcnt lgkmcnt(0)
	s_barrier
	ds_read_b32 v4, v11
	ds_read_b32 v5, v12 offset:16
                                        ; implicit-def: $sgpr6
	s_waitcnt lgkmcnt(0)
	v_cmp_ge_i32_e64 s[0:1], v4, v5
	v_cmp_lt_i32_e32 vcc, v4, v5
	s_and_saveexec_b64 s[2:3], vcc
	s_cbranch_execnz .LBB83_197
; %bb.64:
	s_or_b64 exec, exec, s[2:3]
	v_mov_b32_e32 v20, s6
	s_and_saveexec_b64 s[2:3], s[0:1]
	s_cbranch_execnz .LBB83_198
.LBB83_65:
	s_or_b64 exec, exec, s[2:3]
	v_cmp_eq_u32_e32 vcc, v20, v16
	s_and_saveexec_b64 s[0:1], vcc
	s_cbranch_execz .LBB83_67
.LBB83_66:
	ds_read_u8 v20, v10 offset:516
	ds_read_u8 v21, v10 offset:512
	ds_write_b32 v11, v5
	ds_write_b32 v12, v4 offset:16
	s_waitcnt lgkmcnt(3)
	ds_write_b8 v10, v20 offset:512
	s_waitcnt lgkmcnt(3)
	ds_write_b8 v10, v21 offset:516
.LBB83_67:
	s_or_b64 exec, exec, s[0:1]
	s_waitcnt lgkmcnt(0)
	s_barrier
	ds_read_b32 v4, v8
	ds_read_b32 v5, v9 offset:8
                                        ; implicit-def: $sgpr6
	s_waitcnt lgkmcnt(0)
	v_cmp_ge_i32_e64 s[0:1], v4, v5
	v_cmp_lt_i32_e32 vcc, v4, v5
	s_and_saveexec_b64 s[2:3], vcc
	s_cbranch_execnz .LBB83_199
; %bb.68:
	s_or_b64 exec, exec, s[2:3]
	v_mov_b32_e32 v20, s6
	s_and_saveexec_b64 s[2:3], s[0:1]
	s_cbranch_execnz .LBB83_200
.LBB83_69:
	s_or_b64 exec, exec, s[2:3]
	v_cmp_eq_u32_e32 vcc, v20, v16
	s_and_saveexec_b64 s[0:1], vcc
	s_cbranch_execz .LBB83_71
.LBB83_70:
	ds_read_u8 v20, v7 offset:514
	ds_read_u8 v21, v7 offset:512
	ds_write_b32 v8, v5
	ds_write_b32 v9, v4 offset:8
	s_waitcnt lgkmcnt(3)
	ds_write_b8 v7, v20 offset:512
	s_waitcnt lgkmcnt(3)
	ds_write_b8 v7, v21 offset:514
.LBB83_71:
	s_or_b64 exec, exec, s[0:1]
	s_waitcnt lgkmcnt(0)
	s_barrier
	ds_read2_b32 v[4:5], v1 offset1:1
                                        ; implicit-def: $sgpr6
	s_waitcnt lgkmcnt(0)
	v_cmp_ge_i32_e64 s[0:1], v4, v5
	v_cmp_lt_i32_e32 vcc, v4, v5
	s_and_saveexec_b64 s[2:3], vcc
	s_cbranch_execnz .LBB83_201
; %bb.72:
	s_or_b64 exec, exec, s[2:3]
	v_mov_b32_e32 v20, s6
	s_and_saveexec_b64 s[2:3], s[0:1]
	s_cbranch_execnz .LBB83_202
.LBB83_73:
	s_or_b64 exec, exec, s[2:3]
	v_cmp_eq_u32_e32 vcc, v20, v16
	s_and_saveexec_b64 s[0:1], vcc
	s_cbranch_execz .LBB83_75
.LBB83_74:
	v_add_u32_e32 v20, v1, v3
	ds_read_u8 v21, v6 offset:513
	ds_read_u8 v22, v20 offset:512
	ds_write2_b32 v1, v5, v4 offset1:1
	s_waitcnt lgkmcnt(2)
	ds_write_b8 v20, v21 offset:512
	s_waitcnt lgkmcnt(2)
	ds_write_b8 v6, v22 offset:513
.LBB83_75:
	s_or_b64 exec, exec, s[0:1]
	v_and_b32_e32 v4, 31, v0
	v_sub_u32_e32 v16, v2, v4
	v_add_u32_e32 v20, 4, v16
	v_lshl_add_u32 v21, v16, 2, 4
	v_mad_i32_i24 v5, v16, 3, v20
	s_waitcnt lgkmcnt(0)
	s_barrier
	ds_read_b32 v4, v21
	ds_read_b32 v5, v5 offset:128
                                        ; implicit-def: $sgpr6
	s_waitcnt lgkmcnt(0)
	v_cmp_ge_i32_e64 s[0:1], v4, v5
	v_cmp_lt_i32_e32 vcc, v4, v5
	s_and_saveexec_b64 s[2:3], vcc
	s_cbranch_execz .LBB83_77
; %bb.76:
	ds_read_u8 v22, v20 offset:512
	s_andn2_b64 s[0:1], s[0:1], exec
	s_mov_b32 s6, 1
	s_waitcnt lgkmcnt(0)
	v_and_b32_e32 v22, 1, v22
	v_cmp_eq_u32_e32 vcc, 1, v22
	s_xor_b64 s[8:9], vcc, -1
	s_and_b64 s[8:9], s[8:9], exec
	s_or_b64 s[0:1], s[0:1], s[8:9]
.LBB83_77:
	s_or_b64 exec, exec, s[2:3]
	v_mul_i32_i24_e32 v22, 3, v16
	v_mov_b32_e32 v23, s6
	s_and_saveexec_b64 s[2:3], s[0:1]
	s_cbranch_execz .LBB83_79
; %bb.78:
	ds_read_u8 v16, v20 offset:544
	s_waitcnt lgkmcnt(0)
	v_xor_b32_e32 v23, 1, v16
.LBB83_79:
	s_or_b64 exec, exec, s[2:3]
	v_bfe_u32 v16, v0, 5, 1
	v_cmp_eq_u32_e32 vcc, v23, v16
	v_add_u32_e32 v22, v20, v22
	s_and_saveexec_b64 s[0:1], vcc
	s_cbranch_execz .LBB83_81
; %bb.80:
	ds_read_u8 v23, v20 offset:544
	ds_read_u8 v24, v20 offset:512
	ds_write_b32 v21, v5
	ds_write_b32 v22, v4 offset:128
	s_waitcnt lgkmcnt(3)
	ds_write_b8 v20, v23 offset:512
	s_waitcnt lgkmcnt(3)
	ds_write_b8 v20, v24 offset:544
.LBB83_81:
	s_or_b64 exec, exec, s[0:1]
	s_waitcnt lgkmcnt(0)
	s_barrier
	ds_read_b32 v4, v18
	ds_read_b32 v5, v19 offset:64
                                        ; implicit-def: $sgpr6
	s_waitcnt lgkmcnt(0)
	v_cmp_ge_i32_e64 s[0:1], v4, v5
	v_cmp_lt_i32_e32 vcc, v4, v5
	s_and_saveexec_b64 s[2:3], vcc
	s_cbranch_execnz .LBB83_203
; %bb.82:
	s_or_b64 exec, exec, s[2:3]
	v_mov_b32_e32 v23, s6
	s_and_saveexec_b64 s[2:3], s[0:1]
	s_cbranch_execnz .LBB83_204
.LBB83_83:
	s_or_b64 exec, exec, s[2:3]
	v_cmp_eq_u32_e32 vcc, v23, v16
	s_and_saveexec_b64 s[0:1], vcc
	s_cbranch_execz .LBB83_85
.LBB83_84:
	ds_read_u8 v23, v17 offset:528
	ds_read_u8 v24, v17 offset:512
	ds_write_b32 v18, v5
	ds_write_b32 v19, v4 offset:64
	s_waitcnt lgkmcnt(3)
	ds_write_b8 v17, v23 offset:512
	s_waitcnt lgkmcnt(3)
	ds_write_b8 v17, v24 offset:528
.LBB83_85:
	s_or_b64 exec, exec, s[0:1]
	s_waitcnt lgkmcnt(0)
	s_barrier
	ds_read_b32 v4, v14
	ds_read_b32 v5, v15 offset:32
                                        ; implicit-def: $sgpr6
	s_waitcnt lgkmcnt(0)
	v_cmp_ge_i32_e64 s[0:1], v4, v5
	v_cmp_lt_i32_e32 vcc, v4, v5
	s_and_saveexec_b64 s[2:3], vcc
	s_cbranch_execnz .LBB83_205
; %bb.86:
	s_or_b64 exec, exec, s[2:3]
	v_mov_b32_e32 v23, s6
	s_and_saveexec_b64 s[2:3], s[0:1]
	s_cbranch_execnz .LBB83_206
.LBB83_87:
	s_or_b64 exec, exec, s[2:3]
	v_cmp_eq_u32_e32 vcc, v23, v16
	s_and_saveexec_b64 s[0:1], vcc
	s_cbranch_execz .LBB83_89
.LBB83_88:
	ds_read_u8 v23, v13 offset:520
	ds_read_u8 v24, v13 offset:512
	ds_write_b32 v14, v5
	ds_write_b32 v15, v4 offset:32
	s_waitcnt lgkmcnt(3)
	ds_write_b8 v13, v23 offset:512
	s_waitcnt lgkmcnt(3)
	ds_write_b8 v13, v24 offset:520
.LBB83_89:
	s_or_b64 exec, exec, s[0:1]
	s_waitcnt lgkmcnt(0)
	s_barrier
	ds_read_b32 v4, v11
	ds_read_b32 v5, v12 offset:16
                                        ; implicit-def: $sgpr6
	s_waitcnt lgkmcnt(0)
	v_cmp_ge_i32_e64 s[0:1], v4, v5
	v_cmp_lt_i32_e32 vcc, v4, v5
	s_and_saveexec_b64 s[2:3], vcc
	s_cbranch_execnz .LBB83_207
; %bb.90:
	s_or_b64 exec, exec, s[2:3]
	v_mov_b32_e32 v23, s6
	s_and_saveexec_b64 s[2:3], s[0:1]
	s_cbranch_execnz .LBB83_208
.LBB83_91:
	s_or_b64 exec, exec, s[2:3]
	v_cmp_eq_u32_e32 vcc, v23, v16
	s_and_saveexec_b64 s[0:1], vcc
	s_cbranch_execz .LBB83_93
.LBB83_92:
	ds_read_u8 v23, v10 offset:516
	ds_read_u8 v24, v10 offset:512
	ds_write_b32 v11, v5
	ds_write_b32 v12, v4 offset:16
	s_waitcnt lgkmcnt(3)
	ds_write_b8 v10, v23 offset:512
	s_waitcnt lgkmcnt(3)
	ds_write_b8 v10, v24 offset:516
.LBB83_93:
	s_or_b64 exec, exec, s[0:1]
	s_waitcnt lgkmcnt(0)
	s_barrier
	ds_read_b32 v4, v8
	ds_read_b32 v5, v9 offset:8
                                        ; implicit-def: $sgpr6
	s_waitcnt lgkmcnt(0)
	v_cmp_ge_i32_e64 s[0:1], v4, v5
	v_cmp_lt_i32_e32 vcc, v4, v5
	s_and_saveexec_b64 s[2:3], vcc
	s_cbranch_execnz .LBB83_209
; %bb.94:
	s_or_b64 exec, exec, s[2:3]
	v_mov_b32_e32 v23, s6
	s_and_saveexec_b64 s[2:3], s[0:1]
	s_cbranch_execnz .LBB83_210
.LBB83_95:
	s_or_b64 exec, exec, s[2:3]
	v_cmp_eq_u32_e32 vcc, v23, v16
	s_and_saveexec_b64 s[0:1], vcc
	s_cbranch_execz .LBB83_97
.LBB83_96:
	ds_read_u8 v23, v7 offset:514
	ds_read_u8 v24, v7 offset:512
	ds_write_b32 v8, v5
	ds_write_b32 v9, v4 offset:8
	s_waitcnt lgkmcnt(3)
	ds_write_b8 v7, v23 offset:512
	s_waitcnt lgkmcnt(3)
	ds_write_b8 v7, v24 offset:514
.LBB83_97:
	s_or_b64 exec, exec, s[0:1]
	s_waitcnt lgkmcnt(0)
	s_barrier
	ds_read2_b32 v[4:5], v1 offset1:1
                                        ; implicit-def: $sgpr6
	s_waitcnt lgkmcnt(0)
	v_cmp_ge_i32_e64 s[0:1], v4, v5
	v_cmp_lt_i32_e32 vcc, v4, v5
	s_and_saveexec_b64 s[2:3], vcc
	s_cbranch_execnz .LBB83_211
; %bb.98:
	s_or_b64 exec, exec, s[2:3]
	v_mov_b32_e32 v23, s6
	s_and_saveexec_b64 s[2:3], s[0:1]
	s_cbranch_execnz .LBB83_212
.LBB83_99:
	s_or_b64 exec, exec, s[2:3]
	v_cmp_eq_u32_e32 vcc, v23, v16
	s_and_saveexec_b64 s[0:1], vcc
	s_cbranch_execz .LBB83_101
.LBB83_100:
	v_add_u32_e32 v23, v1, v3
	ds_read_u8 v24, v6 offset:513
	ds_read_u8 v25, v23 offset:512
	ds_write2_b32 v1, v5, v4 offset1:1
	s_waitcnt lgkmcnt(2)
	ds_write_b8 v23, v24 offset:512
	s_waitcnt lgkmcnt(2)
	ds_write_b8 v6, v25 offset:513
.LBB83_101:
	s_or_b64 exec, exec, s[0:1]
	v_and_b32_e32 v16, 63, v0
	v_sub_u32_e32 v24, v2, v16
	v_add_u32_e32 v4, 4, v24
	v_lshl_add_u32 v5, v24, 2, 4
	v_mad_i32_i24 v25, v24, 3, v4
	s_waitcnt lgkmcnt(0)
	s_barrier
	ds_read_b32 v23, v5
	ds_read_b32 v25, v25 offset:256
	s_waitcnt lgkmcnt(0)
	v_cmp_ge_i32_e64 s[2:3], v23, v25
	v_cmp_lt_i32_e32 vcc, v23, v25
	s_and_saveexec_b64 s[0:1], vcc
	s_cbranch_execz .LBB83_103
; %bb.102:
	ds_read_u8 v26, v4 offset:512
	s_andn2_b64 s[2:3], s[2:3], exec
	s_waitcnt lgkmcnt(0)
	v_and_b32_e32 v26, 1, v26
	v_cmp_eq_u32_e32 vcc, 1, v26
	s_xor_b64 s[6:7], vcc, -1
	s_and_b64 s[6:7], s[6:7], exec
	s_or_b64 s[2:3], s[2:3], s[6:7]
.LBB83_103:
	s_or_b64 exec, exec, s[0:1]
	s_and_saveexec_b64 s[0:1], s[2:3]
	s_cbranch_execz .LBB83_106
; %bb.104:
	ds_read_u8 v26, v4 offset:576
	s_waitcnt lgkmcnt(0)
	v_cmp_ne_u16_e32 vcc, 0, v26
	s_and_b64 exec, exec, vcc
	s_cbranch_execz .LBB83_106
; %bb.105:
	ds_read_u8 v27, v4 offset:512
	v_mul_i32_i24_e32 v24, 3, v24
	ds_write_b32 v5, v25
	v_add_u32_e32 v5, v4, v24
	ds_write_b32 v5, v23 offset:256
	ds_write_b8 v4, v26 offset:512
	s_waitcnt lgkmcnt(3)
	ds_write_b8 v4, v27 offset:576
.LBB83_106:
	s_or_b64 exec, exec, s[0:1]
	s_waitcnt lgkmcnt(0)
	s_barrier
	ds_read_b32 v4, v21
	ds_read_b32 v5, v22 offset:128
	s_waitcnt lgkmcnt(0)
	v_cmp_ge_i32_e64 s[2:3], v4, v5
	v_cmp_lt_i32_e32 vcc, v4, v5
	s_and_saveexec_b64 s[0:1], vcc
	s_cbranch_execz .LBB83_108
; %bb.107:
	ds_read_u8 v23, v20 offset:512
	s_andn2_b64 s[2:3], s[2:3], exec
	s_waitcnt lgkmcnt(0)
	v_and_b32_e32 v23, 1, v23
	v_cmp_eq_u32_e32 vcc, 1, v23
	s_xor_b64 s[6:7], vcc, -1
	s_and_b64 s[6:7], s[6:7], exec
	s_or_b64 s[2:3], s[2:3], s[6:7]
.LBB83_108:
	s_or_b64 exec, exec, s[0:1]
	s_and_saveexec_b64 s[0:1], s[2:3]
	s_cbranch_execz .LBB83_111
; %bb.109:
	ds_read_u8 v23, v20 offset:544
	s_waitcnt lgkmcnt(0)
	v_cmp_ne_u16_e32 vcc, 0, v23
	s_and_b64 exec, exec, vcc
	s_cbranch_execz .LBB83_111
; %bb.110:
	ds_read_u8 v24, v20 offset:512
	ds_write_b32 v21, v5
	ds_write_b32 v22, v4 offset:128
	ds_write_b8 v20, v23 offset:512
	s_waitcnt lgkmcnt(3)
	ds_write_b8 v20, v24 offset:544
.LBB83_111:
	s_or_b64 exec, exec, s[0:1]
	s_waitcnt lgkmcnt(0)
	s_barrier
	ds_read_b32 v4, v18
	ds_read_b32 v5, v19 offset:64
	s_waitcnt lgkmcnt(0)
	v_cmp_ge_i32_e64 s[2:3], v4, v5
	v_cmp_lt_i32_e32 vcc, v4, v5
	s_and_saveexec_b64 s[0:1], vcc
	s_cbranch_execz .LBB83_113
; %bb.112:
	ds_read_u8 v20, v17 offset:512
	s_andn2_b64 s[2:3], s[2:3], exec
	s_waitcnt lgkmcnt(0)
	v_and_b32_e32 v20, 1, v20
	v_cmp_eq_u32_e32 vcc, 1, v20
	s_xor_b64 s[6:7], vcc, -1
	s_and_b64 s[6:7], s[6:7], exec
	s_or_b64 s[2:3], s[2:3], s[6:7]
.LBB83_113:
	s_or_b64 exec, exec, s[0:1]
	s_and_saveexec_b64 s[0:1], s[2:3]
	s_cbranch_execz .LBB83_116
; %bb.114:
	ds_read_u8 v20, v17 offset:528
	s_waitcnt lgkmcnt(0)
	v_cmp_ne_u16_e32 vcc, 0, v20
	s_and_b64 exec, exec, vcc
	s_cbranch_execz .LBB83_116
; %bb.115:
	ds_read_u8 v21, v17 offset:512
	ds_write_b32 v18, v5
	ds_write_b32 v19, v4 offset:64
	ds_write_b8 v17, v20 offset:512
	s_waitcnt lgkmcnt(3)
	ds_write_b8 v17, v21 offset:528
.LBB83_116:
	;; [unrolled: 37-line block ×5, first 2 shown]
	s_or_b64 exec, exec, s[0:1]
	s_waitcnt lgkmcnt(0)
	s_barrier
	ds_read2_b32 v[4:5], v1 offset1:1
	s_waitcnt lgkmcnt(0)
	v_cmp_ge_i32_e64 s[2:3], v4, v5
	v_cmp_lt_i32_e32 vcc, v4, v5
	s_and_saveexec_b64 s[0:1], vcc
	s_cbranch_execz .LBB83_133
; %bb.132:
	v_add_u32_e32 v7, v1, v3
	ds_read_u8 v7, v7 offset:512
	s_andn2_b64 s[2:3], s[2:3], exec
	s_waitcnt lgkmcnt(0)
	v_and_b32_e32 v7, 1, v7
	v_cmp_eq_u32_e32 vcc, 1, v7
	s_xor_b64 s[6:7], vcc, -1
	s_and_b64 s[6:7], s[6:7], exec
	s_or_b64 s[2:3], s[2:3], s[6:7]
.LBB83_133:
	s_or_b64 exec, exec, s[0:1]
	s_and_saveexec_b64 s[0:1], s[2:3]
	s_cbranch_execz .LBB83_136
; %bb.134:
	ds_read_u8 v7, v6 offset:513
	s_waitcnt lgkmcnt(0)
	v_cmp_ne_u16_e32 vcc, 0, v7
	s_and_b64 exec, exec, vcc
	s_cbranch_execz .LBB83_136
; %bb.135:
	v_add_u32_e32 v9, v1, v3
	ds_read_u8 v10, v9 offset:512
	v_mov_b32_e32 v3, v4
	ds_write2_b32 v1, v5, v4 offset1:1
	ds_write_b8 v9, v7 offset:512
	s_waitcnt lgkmcnt(2)
	ds_write_b8 v6, v10 offset:513
.LBB83_136:
	s_or_b64 exec, exec, s[0:1]
	v_cmp_eq_u32_e32 vcc, 0, v0
	s_waitcnt lgkmcnt(0)
	s_barrier
	s_barrier
	s_and_saveexec_b64 s[0:1], vcc
	s_cbranch_execz .LBB83_138
; %bb.137:
	v_mov_b32_e32 v3, 4
	v_mov_b32_e32 v4, 1
	ds_write_b8 v3, v4 offset:516
	v_mov_b32_e32 v4, 0
	ds_write_b32 v3, v4 offset:512
.LBB83_138:
	s_or_b64 exec, exec, s[0:1]
	ds_read2_b32 v[4:5], v1 offset1:1
	s_add_i32 s10, 4, 0x200
	v_lshl_add_u32 v1, v2, 3, s10
	v_cmp_gt_u32_e64 s[2:3], 63, v0
	s_waitcnt lgkmcnt(0)
	v_cmp_ne_u32_e64 s[0:1], v4, v5
	v_cndmask_b32_e64 v3, 0, 1, s[0:1]
	v_cmp_eq_u32_e64 s[0:1], v4, v5
	ds_write_b8 v1, v3 offset:12
	v_cndmask_b32_e64 v3, 0, 1, s[0:1]
	ds_write_b32 v1, v3 offset:8
	s_and_saveexec_b64 s[6:7], s[2:3]
	s_cbranch_execz .LBB83_140
; %bb.139:
	v_lshl_add_u32 v3, v2, 2, 4
	ds_read_b32 v3, v3 offset:8
	s_waitcnt lgkmcnt(0)
	v_cmp_ne_u32_e64 s[0:1], v5, v3
	v_cndmask_b32_e64 v4, 0, 1, s[0:1]
	v_cmp_eq_u32_e64 s[0:1], v5, v3
	v_cndmask_b32_e64 v3, 0, 1, s[0:1]
	ds_write_b8 v1, v4 offset:20
	ds_write_b32 v1, v3 offset:16
.LBB83_140:
	s_or_b64 exec, exec, s[6:7]
	v_cmp_gt_u32_e64 s[0:1], 64, v0
	v_lshl_add_u32 v3, v2, 3, 4
	s_waitcnt lgkmcnt(0)
	s_barrier
	s_and_saveexec_b64 s[8:9], s[0:1]
	s_cbranch_execz .LBB83_142
; %bb.141:
	ds_read_u8 v4, v1 offset:12
	ds_read_b32 v5, v3 offset:512
	ds_read_b32 v6, v1 offset:8
	ds_read_u8 v7, v3 offset:516
	s_waitcnt lgkmcnt(3)
	v_and_b32_e32 v8, 1, v4
	v_cmp_eq_u32_e64 s[6:7], 1, v8
	s_waitcnt lgkmcnt(2)
	v_cndmask_b32_e64 v5, v5, 0, s[6:7]
	s_waitcnt lgkmcnt(0)
	v_or_b32_e32 v4, v7, v4
	v_add_u32_e32 v5, v5, v6
	v_and_b32_e32 v4, 1, v4
	ds_write2_b32 v1, v5, v4 offset0:2 offset1:3
.LBB83_142:
	s_or_b64 exec, exec, s[8:9]
	v_add_u32_e32 v9, 2, v2
	v_lshlrev_b32_e32 v4, 1, v9
	v_add_u32_e32 v5, -1, v4
	v_cmp_gt_u32_e64 s[6:7], 32, v0
	s_waitcnt lgkmcnt(0)
	s_barrier
	s_and_saveexec_b64 s[8:9], s[6:7]
	s_cbranch_execz .LBB83_144
; %bb.143:
	v_lshl_add_u32 v6, v5, 3, 4
	ds_read_u8 v7, v6 offset:516
	v_lshl_add_u32 v8, v4, 3, 4
	ds_read_b32 v10, v8 offset:488
	ds_read_b32 v11, v6 offset:512
	ds_read_u8 v8, v8 offset:492
	s_waitcnt lgkmcnt(3)
	v_and_b32_e32 v12, 1, v7
	v_cmp_eq_u32_e64 s[6:7], 1, v12
	s_waitcnt lgkmcnt(2)
	v_cndmask_b32_e64 v10, v10, 0, s[6:7]
	s_waitcnt lgkmcnt(0)
	v_or_b32_e32 v7, v8, v7
	v_add_u32_e32 v10, v10, v11
	v_and_b32_e32 v7, 1, v7
	ds_write2_b32 v6, v10, v7 offset0:128 offset1:129
.LBB83_144:
	s_or_b64 exec, exec, s[8:9]
	v_lshlrev_b32_e32 v6, 2, v9
	v_add_u32_e32 v5, v5, v4
	v_cmp_gt_u32_e64 s[6:7], 16, v0
	s_waitcnt lgkmcnt(0)
	s_barrier
	s_and_saveexec_b64 s[8:9], s[6:7]
	s_cbranch_execz .LBB83_146
; %bb.145:
	v_lshl_add_u32 v7, v5, 3, 4
	ds_read_u8 v8, v7 offset:516
	v_lshl_add_u32 v10, v6, 3, 4
	ds_read_b32 v11, v10 offset:472
	ds_read_b32 v12, v7 offset:512
	ds_read_u8 v10, v10 offset:476
	s_waitcnt lgkmcnt(3)
	v_and_b32_e32 v13, 1, v8
	v_cmp_eq_u32_e64 s[6:7], 1, v13
	s_waitcnt lgkmcnt(2)
	v_cndmask_b32_e64 v11, v11, 0, s[6:7]
	s_waitcnt lgkmcnt(0)
	v_or_b32_e32 v8, v10, v8
	v_add_u32_e32 v11, v11, v12
	v_and_b32_e32 v8, 1, v8
	ds_write2_b32 v7, v11, v8 offset0:128 offset1:129
.LBB83_146:
	s_or_b64 exec, exec, s[8:9]
	v_lshlrev_b32_e32 v8, 3, v9
	v_add_u32_e32 v7, v5, v6
	;; [unrolled: 26-line block ×3, first 2 shown]
	v_cmp_gt_u32_e64 s[6:7], 4, v0
	s_waitcnt lgkmcnt(0)
	s_barrier
	s_and_saveexec_b64 s[8:9], s[6:7]
	s_cbranch_execz .LBB83_150
; %bb.149:
	v_lshl_add_u32 v12, v10, 3, 4
	ds_read_u8 v13, v12 offset:516
	v_lshl_add_u32 v14, v11, 3, 4
	ds_read_b32 v15, v14 offset:376
	ds_read_b32 v17, v12 offset:512
	ds_read_u8 v14, v14 offset:380
	s_waitcnt lgkmcnt(3)
	v_and_b32_e32 v18, 1, v13
	v_cmp_eq_u32_e64 s[6:7], 1, v18
	s_waitcnt lgkmcnt(2)
	v_cndmask_b32_e64 v15, v15, 0, s[6:7]
	s_waitcnt lgkmcnt(0)
	v_or_b32_e32 v13, v14, v13
	v_add_u32_e32 v15, v15, v17
	v_and_b32_e32 v13, 1, v13
	ds_write2_b32 v12, v15, v13 offset0:128 offset1:129
.LBB83_150:
	s_or_b64 exec, exec, s[8:9]
	v_add_u32_e32 v12, v10, v11
	v_cmp_gt_u32_e64 s[6:7], 2, v0
	v_lshl_add_u32 v12, v12, 3, 4
	s_waitcnt lgkmcnt(0)
	s_barrier
	s_and_saveexec_b64 s[8:9], s[6:7]
	s_cbranch_execz .LBB83_152
; %bb.151:
	ds_read_u8 v13, v12 offset:516
	v_lshl_add_u32 v9, v9, 8, 4
	ds_read_b32 v14, v9 offset:248
	ds_read_b32 v15, v12 offset:512
	ds_read_u8 v9, v9 offset:252
	s_waitcnt lgkmcnt(3)
	v_and_b32_e32 v17, 1, v13
	v_cmp_eq_u32_e64 s[6:7], 1, v17
	s_waitcnt lgkmcnt(2)
	v_cndmask_b32_e64 v14, v14, 0, s[6:7]
	s_waitcnt lgkmcnt(0)
	v_or_b32_e32 v9, v9, v13
	v_add_u32_e32 v14, v14, v15
	v_and_b32_e32 v9, 1, v9
	ds_write2_b32 v12, v14, v9 offset0:128 offset1:129
.LBB83_152:
	s_or_b64 exec, exec, s[8:9]
	s_waitcnt lgkmcnt(0)
	s_barrier
	s_and_saveexec_b64 s[8:9], vcc
	s_cbranch_execz .LBB83_154
; %bb.153:
	v_mov_b32_e32 v9, 4
	s_movk_i32 s6, 0xf8
	ds_read_u8 v13, v9 offset:1532
	v_add_u32_e64 v14, s6, 4
	ds_read2st64_b32 v[14:15], v14 offset0:3 offset1:5
	ds_read_u8 v9, v9 offset:1020
	s_add_i32 s11, 4, 0x5f8
	s_waitcnt lgkmcnt(2)
	v_and_b32_e32 v17, 1, v13
	v_cmp_eq_u32_e64 s[6:7], 1, v17
	s_waitcnt lgkmcnt(1)
	v_cndmask_b32_e64 v14, v14, 0, s[6:7]
	s_waitcnt lgkmcnt(0)
	v_or_b32_e32 v9, v9, v13
	v_add_u32_e32 v14, v14, v15
	v_and_b32_e32 v9, 1, v9
	v_mov_b32_e32 v13, s11
	ds_write2_b32 v13, v14, v9 offset1:1
.LBB83_154:
	s_or_b64 exec, exec, s[8:9]
	s_waitcnt lgkmcnt(0)
	s_barrier
	s_and_saveexec_b64 s[8:9], vcc
	s_cbranch_execz .LBB83_156
; %bb.155:
	v_mov_b32_e32 v9, 4
	ds_read_u8 v13, v9 offset:1276
	ds_read_b32 v9, v9 offset:1272
	ds_read_b32 v14, v12 offset:512
	ds_read_u8 v12, v12 offset:516
	s_add_i32 s11, 4, 0x4f8
	s_waitcnt lgkmcnt(3)
	v_and_b32_e32 v15, 1, v13
	v_cmp_eq_u32_e64 s[6:7], 1, v15
	s_waitcnt lgkmcnt(1)
	v_cndmask_b32_e64 v14, v14, 0, s[6:7]
	s_waitcnt lgkmcnt(0)
	v_or_b32_e32 v12, v12, v13
	v_add_u32_e32 v9, v14, v9
	v_and_b32_e32 v12, 1, v12
	v_mov_b32_e32 v13, s11
	ds_write2_b32 v13, v9, v12 offset1:1
.LBB83_156:
	s_or_b64 exec, exec, s[8:9]
	v_cmp_gt_u32_e64 s[6:7], 3, v0
	s_waitcnt lgkmcnt(0)
	s_barrier
	s_and_saveexec_b64 s[8:9], s[6:7]
	s_cbranch_execz .LBB83_158
; %bb.157:
	v_lshl_add_u32 v9, v11, 3, s10
	ds_read_u8 v11, v9 offset:124
	v_lshl_add_u32 v10, v10, 3, s10
	ds_read_b32 v12, v10
	ds_read_b32 v13, v9 offset:120
	ds_read_u8 v10, v10 offset:4
	s_waitcnt lgkmcnt(3)
	v_and_b32_e32 v14, 1, v11
	v_cmp_eq_u32_e64 s[6:7], 1, v14
	s_waitcnt lgkmcnt(2)
	v_cndmask_b32_e64 v12, v12, 0, s[6:7]
	s_waitcnt lgkmcnt(0)
	v_or_b32_e32 v10, v10, v11
	v_add_u32_e32 v12, v12, v13
	v_and_b32_e32 v10, 1, v10
	ds_write2_b32 v9, v12, v10 offset0:30 offset1:31
.LBB83_158:
	s_or_b64 exec, exec, s[8:9]
	v_cmp_gt_u32_e64 s[6:7], 7, v0
	s_waitcnt lgkmcnt(0)
	s_barrier
	s_and_saveexec_b64 s[8:9], s[6:7]
	s_cbranch_execz .LBB83_160
; %bb.159:
	v_lshl_add_u32 v8, v8, 3, s10
	ds_read_u8 v9, v8 offset:60
	v_lshl_add_u32 v7, v7, 3, s10
	ds_read_b32 v10, v7
	ds_read_b32 v11, v8 offset:56
	ds_read_u8 v7, v7 offset:4
	s_waitcnt lgkmcnt(3)
	v_and_b32_e32 v12, 1, v9
	v_cmp_eq_u32_e64 s[6:7], 1, v12
	s_waitcnt lgkmcnt(2)
	v_cndmask_b32_e64 v10, v10, 0, s[6:7]
	s_waitcnt lgkmcnt(0)
	v_or_b32_e32 v7, v7, v9
	v_add_u32_e32 v10, v10, v11
	v_and_b32_e32 v7, 1, v7
	ds_write2_b32 v8, v10, v7 offset0:14 offset1:15
.LBB83_160:
	;; [unrolled: 24-line block ×3, first 2 shown]
	s_or_b64 exec, exec, s[8:9]
	v_cmp_gt_u32_e64 s[6:7], 31, v0
	s_waitcnt lgkmcnt(0)
	s_barrier
	s_and_saveexec_b64 s[8:9], s[6:7]
	s_cbranch_execz .LBB83_164
; %bb.163:
	v_lshl_add_u32 v4, v4, 3, s10
	ds_read_u8 v5, v4 offset:12
	v_add_u32_e32 v6, -8, v4
	ds_read_b32 v7, v6
	ds_read_b32 v8, v4 offset:8
	ds_read_u8 v6, v6 offset:4
	s_waitcnt lgkmcnt(3)
	v_and_b32_e32 v9, 1, v5
	v_cmp_eq_u32_e64 s[6:7], 1, v9
	s_waitcnt lgkmcnt(2)
	v_cndmask_b32_e64 v7, v7, 0, s[6:7]
	s_waitcnt lgkmcnt(0)
	v_or_b32_e32 v5, v6, v5
	v_add_u32_e32 v7, v7, v8
	v_and_b32_e32 v5, 1, v5
	ds_write2_b32 v4, v7, v5 offset0:2 offset1:3
.LBB83_164:
	s_or_b64 exec, exec, s[8:9]
	s_waitcnt lgkmcnt(0)
	s_barrier
	s_and_saveexec_b64 s[6:7], s[2:3]
	s_cbranch_execz .LBB83_166
; %bb.165:
	ds_read_u8 v6, v1 offset:20
	ds_read_u8 v7, v1 offset:12
	ds_read2_b32 v[4:5], v1 offset0:2 offset1:4
	s_waitcnt lgkmcnt(2)
	v_and_b32_e32 v8, 1, v6
	v_cmp_eq_u32_e64 s[2:3], 1, v8
	s_waitcnt lgkmcnt(1)
	v_or_b32_e32 v6, v7, v6
	s_waitcnt lgkmcnt(0)
	v_cndmask_b32_e64 v4, v4, 0, s[2:3]
	v_add_u32_e32 v4, v4, v5
	v_and_b32_e32 v5, 1, v6
	ds_write2_b32 v1, v4, v5 offset0:4 offset1:5
.LBB83_166:
	s_or_b64 exec, exec, s[6:7]
	s_waitcnt lgkmcnt(0)
	s_barrier
	ds_read_b32 v3, v3 offset:512
	ds_read_b32 v1, v1 offset:8
	v_or_b32_e32 v4, 1, v2
	v_cmp_gt_u32_e64 s[6:7], s16, v4
	v_cmp_gt_u32_e64 s[2:3], s16, v2
	s_waitcnt lgkmcnt(1)
	v_cndmask_b32_e64 v3, 0, v3, s[2:3]
	s_waitcnt lgkmcnt(0)
	v_cndmask_b32_e64 v6, 0, v1, s[6:7]
	v_mbcnt_lo_u32_b32 v1, -1, 0
	v_mbcnt_hi_u32_b32 v12, -1, v1
	v_and_b32_e32 v13, 63, v12
	v_cmp_gt_u32_e64 s[8:9], 32, v13
	v_cndmask_b32_e64 v1, 0, 1, s[8:9]
	v_lshlrev_b32_e32 v1, 5, v1
	v_cndmask_b32_e64 v5, 0, v2, s[2:3]
	v_max_u32_e32 v7, v6, v3
	v_add_lshl_u32 v1, v1, v12, 2
	v_cndmask_b32_e64 v8, 0, v4, s[6:7]
	v_cmp_gt_u32_e64 s[8:9], v6, v3
	ds_bpermute_b32 v9, v1, v7
	v_cndmask_b32_e64 v3, v5, v8, s[8:9]
	ds_bpermute_b32 v5, v1, v3
	v_cmp_gt_u32_e64 s[8:9], 48, v13
	v_cndmask_b32_e64 v8, 0, 1, s[8:9]
	v_lshlrev_b32_e32 v8, 4, v8
	s_waitcnt lgkmcnt(1)
	v_max_u32_e32 v6, v9, v7
	v_add_lshl_u32 v8, v8, v12, 2
	v_cmp_gt_u32_e64 s[8:9], v9, v7
	ds_bpermute_b32 v10, v8, v6
	s_waitcnt lgkmcnt(1)
	v_cndmask_b32_e64 v3, v3, v5, s[8:9]
	ds_bpermute_b32 v5, v8, v3
	v_cmp_gt_u32_e64 s[8:9], 56, v13
	v_cndmask_b32_e64 v9, 0, 1, s[8:9]
	v_lshlrev_b32_e32 v9, 3, v9
	s_waitcnt lgkmcnt(1)
	v_max_u32_e32 v7, v10, v6
	v_add_lshl_u32 v9, v9, v12, 2
	v_cmp_gt_u32_e64 s[8:9], v10, v6
	ds_bpermute_b32 v11, v9, v7
	s_waitcnt lgkmcnt(1)
	;; [unrolled: 11-line block ×4, first 2 shown]
	v_cndmask_b32_e64 v5, v3, v5, s[8:9]
	ds_bpermute_b32 v6, v11, v5
	s_waitcnt lgkmcnt(0)
	s_barrier
	v_cmp_gt_u32_e64 s[8:9], v15, v7
	v_max_u32_e32 v3, v15, v7
	v_cndmask_b32_e64 v5, v5, v6, s[8:9]
	v_cmp_ne_u32_e64 s[8:9], 63, v13
	v_addc_co_u32_e64 v6, s[8:9], 0, v12, s[8:9]
	v_lshlrev_b32_e32 v12, 2, v6
	ds_bpermute_b32 v6, v12, v5
	ds_bpermute_b32 v7, v12, v3
	v_cmp_eq_u32_e64 s[8:9], 0, v16
	s_waitcnt lgkmcnt(0)
	s_barrier
	s_and_saveexec_b64 s[12:13], s[8:9]
	s_cbranch_execz .LBB83_168
; %bb.167:
	v_lshrrev_b32_e32 v13, 3, v0
	v_cmp_gt_u32_e64 s[10:11], v7, v3
	v_add_u32_e32 v13, 4, v13
	v_cndmask_b32_e64 v5, v5, v6, s[10:11]
	v_max_u32_e32 v3, v7, v3
	ds_write2_b32 v13, v3, v5 offset0:128 offset1:129
.LBB83_168:
	s_or_b64 exec, exec, s[12:13]
	s_lshr_b32 s10, s20, 6
	v_cmp_gt_u32_e64 s[10:11], s10, v0
	v_lshl_add_u32 v13, v16, 3, 4
	v_mov_b32_e32 v3, 0
	v_mov_b32_e32 v5, 0
	s_waitcnt lgkmcnt(0)
	s_barrier
	s_and_saveexec_b64 s[12:13], s[10:11]
	s_cbranch_execnz .LBB83_213
; %bb.169:
	s_or_b64 exec, exec, s[12:13]
	s_and_saveexec_b64 s[12:13], s[10:11]
	s_cbranch_execnz .LBB83_214
.LBB83_170:
	s_or_b64 exec, exec, s[12:13]
	s_and_saveexec_b64 s[20:21], s[0:1]
	s_cbranch_execnz .LBB83_215
.LBB83_171:
	s_or_b64 exec, exec, s[20:21]
	s_and_saveexec_b64 s[12:13], vcc
	s_cbranch_execz .LBB83_173
.LBB83_172:
	s_waitcnt lgkmcnt(0)
	v_lshl_add_u32 v3, v3, 2, 4
	ds_read_b32 v3, v3
	v_mov_b32_e32 v5, 0
	s_waitcnt lgkmcnt(0)
	ds_write_b32 v5, v3
.LBB83_173:
	s_or_b64 exec, exec, s[12:13]
	s_mov_b32 s20, 0
	s_waitcnt lgkmcnt(0)
	v_mov_b32_e32 v3, 0
	s_mov_b32 s21, s20
	v_cmp_gt_i64_e64 s[12:13], s[16:17], v[2:3]
	v_pk_mov_b32 v[6:7], s[20:21], s[20:21] op_sel:[0,1]
	s_barrier
	s_and_saveexec_b64 s[20:21], s[12:13]
	s_cbranch_execz .LBB83_175
; %bb.174:
	v_add_u32_e32 v6, s15, v2
	v_mov_b32_e32 v7, v3
	v_lshlrev_b64 v[6:7], 2, v[6:7]
	v_mov_b32_e32 v5, s19
	v_add_co_u32_e64 v6, s[12:13], s18, v6
	v_addc_co_u32_e64 v7, s[12:13], v5, v7, s[12:13]
	global_load_dword v5, v[6:7], off
	ds_read_b32 v6, v3
	s_waitcnt vmcnt(0) lgkmcnt(0)
	v_cmp_eq_u32_e64 s[12:13], v5, v6
	v_cndmask_b32_e64 v2, 0, v2, s[12:13]
	v_pk_mov_b32 v[6:7], v[2:3], v[2:3] op_sel:[0,1]
.LBB83_175:
	s_or_b64 exec, exec, s[20:21]
	v_mov_b32_e32 v5, v3
	v_cmp_gt_i64_e64 s[12:13], s[16:17], v[4:5]
	s_and_saveexec_b64 s[16:17], s[12:13]
	s_cbranch_execz .LBB83_177
; %bb.176:
	v_add_u32_e32 v2, s15, v4
	v_mov_b32_e32 v3, 0
	v_lshlrev_b64 v[14:15], 2, v[2:3]
	v_mov_b32_e32 v2, s19
	v_add_co_u32_e64 v14, s[12:13], s18, v14
	v_addc_co_u32_e64 v15, s[12:13], v2, v15, s[12:13]
	global_load_dword v2, v[14:15], off
	ds_read_b32 v3, v3
	s_waitcnt vmcnt(0) lgkmcnt(0)
	v_cmp_eq_u32_e64 s[12:13], v2, v3
	v_cndmask_b32_e64 v7, 0, v4, s[12:13]
.LBB83_177:
	s_or_b64 exec, exec, s[16:17]
	v_cndmask_b32_e64 v2, 0, v6, s[2:3]
	v_cndmask_b32_e64 v3, 0, v7, s[6:7]
	v_max_u32_e32 v2, v3, v2
	ds_bpermute_b32 v3, v1, v2
	s_waitcnt lgkmcnt(0)
	s_barrier
	v_max_u32_e32 v2, v3, v2
	ds_bpermute_b32 v3, v8, v2
	s_waitcnt lgkmcnt(0)
	v_max_u32_e32 v2, v3, v2
	ds_bpermute_b32 v3, v9, v2
	s_waitcnt lgkmcnt(0)
	;; [unrolled: 3-line block ×4, first 2 shown]
	v_max_u32_e32 v2, v3, v2
	ds_bpermute_b32 v3, v12, v2
	s_and_saveexec_b64 s[2:3], s[8:9]
	s_cbranch_execz .LBB83_179
; %bb.178:
	v_lshrrev_b32_e32 v0, 4, v0
	v_add_u32_e32 v0, 4, v0
	s_waitcnt lgkmcnt(0)
	v_max_u32_e32 v2, v3, v2
	ds_write_b32 v0, v2
.LBB83_179:
	s_or_b64 exec, exec, s[2:3]
	v_mov_b32_e32 v0, 0
	s_waitcnt lgkmcnt(0)
	s_barrier
	s_and_saveexec_b64 s[2:3], s[10:11]
	s_cbranch_execnz .LBB83_216
; %bb.180:
	s_or_b64 exec, exec, s[2:3]
	s_and_saveexec_b64 s[2:3], s[0:1]
	s_cbranch_execnz .LBB83_217
.LBB83_181:
	s_or_b64 exec, exec, s[2:3]
	s_and_saveexec_b64 s[0:1], vcc
	s_cbranch_execnz .LBB83_218
.LBB83_182:
	s_endpgm
.LBB83_183:
	v_add_u32_e32 v11, v1, v3
	ds_read_u8 v11, v11 offset:512
	s_andn2_b64 s[0:1], s[0:1], exec
	s_mov_b32 s6, 1
	s_waitcnt lgkmcnt(0)
	v_and_b32_e32 v11, 1, v11
	v_cmp_eq_u32_e32 vcc, 1, v11
	s_xor_b64 s[8:9], vcc, -1
	s_and_b64 s[8:9], s[8:9], exec
	s_or_b64 s[0:1], s[0:1], s[8:9]
	s_or_b64 exec, exec, s[2:3]
	v_mov_b32_e32 v11, s6
	s_and_saveexec_b64 s[2:3], s[0:1]
	s_cbranch_execz .LBB83_19
.LBB83_184:
	ds_read_u8 v11, v6 offset:513
	s_waitcnt lgkmcnt(0)
	v_xor_b32_e32 v11, 1, v11
	s_or_b64 exec, exec, s[2:3]
	v_cmp_eq_u32_e32 vcc, v11, v10
	s_and_saveexec_b64 s[0:1], vcc
	s_cbranch_execnz .LBB83_20
	s_branch .LBB83_21
.LBB83_185:
	ds_read_u8 v14, v7 offset:512
	s_andn2_b64 s[0:1], s[0:1], exec
	s_mov_b32 s6, 1
	s_waitcnt lgkmcnt(0)
	v_and_b32_e32 v14, 1, v14
	v_cmp_eq_u32_e32 vcc, 1, v14
	s_xor_b64 s[8:9], vcc, -1
	s_and_b64 s[8:9], s[8:9], exec
	s_or_b64 s[0:1], s[0:1], s[8:9]
	s_or_b64 exec, exec, s[2:3]
	v_mov_b32_e32 v14, s6
	s_and_saveexec_b64 s[2:3], s[0:1]
	s_cbranch_execz .LBB83_29
.LBB83_186:
	ds_read_u8 v14, v7 offset:514
	s_waitcnt lgkmcnt(0)
	v_xor_b32_e32 v14, 1, v14
	s_or_b64 exec, exec, s[2:3]
	v_cmp_eq_u32_e32 vcc, v14, v13
	s_and_saveexec_b64 s[0:1], vcc
	s_cbranch_execnz .LBB83_30
	s_branch .LBB83_31
.LBB83_187:
	v_add_u32_e32 v14, v1, v3
	ds_read_u8 v14, v14 offset:512
	s_andn2_b64 s[0:1], s[0:1], exec
	s_mov_b32 s6, 1
	s_waitcnt lgkmcnt(0)
	v_and_b32_e32 v14, 1, v14
	v_cmp_eq_u32_e32 vcc, 1, v14
	s_xor_b64 s[8:9], vcc, -1
	s_and_b64 s[8:9], s[8:9], exec
	s_or_b64 s[0:1], s[0:1], s[8:9]
	s_or_b64 exec, exec, s[2:3]
	v_mov_b32_e32 v14, s6
	s_and_saveexec_b64 s[2:3], s[0:1]
	s_cbranch_execz .LBB83_33
.LBB83_188:
	ds_read_u8 v14, v6 offset:513
	s_waitcnt lgkmcnt(0)
	v_xor_b32_e32 v14, 1, v14
	s_or_b64 exec, exec, s[2:3]
	v_cmp_eq_u32_e32 vcc, v14, v13
	s_and_saveexec_b64 s[0:1], vcc
	s_cbranch_execnz .LBB83_34
	s_branch .LBB83_35
.LBB83_189:
	ds_read_u8 v17, v10 offset:512
	s_andn2_b64 s[0:1], s[0:1], exec
	s_mov_b32 s6, 1
	s_waitcnt lgkmcnt(0)
	v_and_b32_e32 v17, 1, v17
	v_cmp_eq_u32_e32 vcc, 1, v17
	s_xor_b64 s[8:9], vcc, -1
	s_and_b64 s[8:9], s[8:9], exec
	s_or_b64 s[0:1], s[0:1], s[8:9]
	s_or_b64 exec, exec, s[2:3]
	v_mov_b32_e32 v17, s6
	s_and_saveexec_b64 s[2:3], s[0:1]
	s_cbranch_execz .LBB83_43
.LBB83_190:
	ds_read_u8 v17, v10 offset:516
	s_waitcnt lgkmcnt(0)
	v_xor_b32_e32 v17, 1, v17
	s_or_b64 exec, exec, s[2:3]
	v_cmp_eq_u32_e32 vcc, v17, v16
	s_and_saveexec_b64 s[0:1], vcc
	s_cbranch_execnz .LBB83_44
	s_branch .LBB83_45
.LBB83_191:
	ds_read_u8 v17, v7 offset:512
	s_andn2_b64 s[0:1], s[0:1], exec
	s_mov_b32 s6, 1
	s_waitcnt lgkmcnt(0)
	v_and_b32_e32 v17, 1, v17
	v_cmp_eq_u32_e32 vcc, 1, v17
	s_xor_b64 s[8:9], vcc, -1
	s_and_b64 s[8:9], s[8:9], exec
	s_or_b64 s[0:1], s[0:1], s[8:9]
	s_or_b64 exec, exec, s[2:3]
	v_mov_b32_e32 v17, s6
	s_and_saveexec_b64 s[2:3], s[0:1]
	s_cbranch_execz .LBB83_47
.LBB83_192:
	ds_read_u8 v17, v7 offset:514
	s_waitcnt lgkmcnt(0)
	v_xor_b32_e32 v17, 1, v17
	s_or_b64 exec, exec, s[2:3]
	v_cmp_eq_u32_e32 vcc, v17, v16
	s_and_saveexec_b64 s[0:1], vcc
	s_cbranch_execnz .LBB83_48
	s_branch .LBB83_49
.LBB83_193:
	v_add_u32_e32 v17, v1, v3
	ds_read_u8 v17, v17 offset:512
	s_andn2_b64 s[0:1], s[0:1], exec
	s_mov_b32 s6, 1
	s_waitcnt lgkmcnt(0)
	v_and_b32_e32 v17, 1, v17
	v_cmp_eq_u32_e32 vcc, 1, v17
	s_xor_b64 s[8:9], vcc, -1
	s_and_b64 s[8:9], s[8:9], exec
	s_or_b64 s[0:1], s[0:1], s[8:9]
	s_or_b64 exec, exec, s[2:3]
	v_mov_b32_e32 v17, s6
	s_and_saveexec_b64 s[2:3], s[0:1]
	s_cbranch_execz .LBB83_51
.LBB83_194:
	ds_read_u8 v17, v6 offset:513
	s_waitcnt lgkmcnt(0)
	v_xor_b32_e32 v17, 1, v17
	s_or_b64 exec, exec, s[2:3]
	v_cmp_eq_u32_e32 vcc, v17, v16
	s_and_saveexec_b64 s[0:1], vcc
	s_cbranch_execnz .LBB83_52
	s_branch .LBB83_53
.LBB83_195:
	ds_read_u8 v20, v13 offset:512
	s_andn2_b64 s[0:1], s[0:1], exec
	s_mov_b32 s6, 1
	s_waitcnt lgkmcnt(0)
	v_and_b32_e32 v20, 1, v20
	v_cmp_eq_u32_e32 vcc, 1, v20
	s_xor_b64 s[8:9], vcc, -1
	s_and_b64 s[8:9], s[8:9], exec
	s_or_b64 s[0:1], s[0:1], s[8:9]
	s_or_b64 exec, exec, s[2:3]
	v_mov_b32_e32 v20, s6
	s_and_saveexec_b64 s[2:3], s[0:1]
	s_cbranch_execz .LBB83_61
.LBB83_196:
	ds_read_u8 v20, v13 offset:520
	s_waitcnt lgkmcnt(0)
	v_xor_b32_e32 v20, 1, v20
	s_or_b64 exec, exec, s[2:3]
	v_cmp_eq_u32_e32 vcc, v20, v16
	s_and_saveexec_b64 s[0:1], vcc
	s_cbranch_execnz .LBB83_62
	s_branch .LBB83_63
.LBB83_197:
	ds_read_u8 v20, v10 offset:512
	s_andn2_b64 s[0:1], s[0:1], exec
	s_mov_b32 s6, 1
	s_waitcnt lgkmcnt(0)
	v_and_b32_e32 v20, 1, v20
	v_cmp_eq_u32_e32 vcc, 1, v20
	s_xor_b64 s[8:9], vcc, -1
	s_and_b64 s[8:9], s[8:9], exec
	s_or_b64 s[0:1], s[0:1], s[8:9]
	s_or_b64 exec, exec, s[2:3]
	v_mov_b32_e32 v20, s6
	s_and_saveexec_b64 s[2:3], s[0:1]
	s_cbranch_execz .LBB83_65
.LBB83_198:
	ds_read_u8 v20, v10 offset:516
	s_waitcnt lgkmcnt(0)
	v_xor_b32_e32 v20, 1, v20
	s_or_b64 exec, exec, s[2:3]
	v_cmp_eq_u32_e32 vcc, v20, v16
	s_and_saveexec_b64 s[0:1], vcc
	s_cbranch_execnz .LBB83_66
	s_branch .LBB83_67
.LBB83_199:
	ds_read_u8 v20, v7 offset:512
	s_andn2_b64 s[0:1], s[0:1], exec
	s_mov_b32 s6, 1
	s_waitcnt lgkmcnt(0)
	v_and_b32_e32 v20, 1, v20
	v_cmp_eq_u32_e32 vcc, 1, v20
	s_xor_b64 s[8:9], vcc, -1
	s_and_b64 s[8:9], s[8:9], exec
	s_or_b64 s[0:1], s[0:1], s[8:9]
	s_or_b64 exec, exec, s[2:3]
	v_mov_b32_e32 v20, s6
	s_and_saveexec_b64 s[2:3], s[0:1]
	s_cbranch_execz .LBB83_69
.LBB83_200:
	ds_read_u8 v20, v7 offset:514
	s_waitcnt lgkmcnt(0)
	v_xor_b32_e32 v20, 1, v20
	s_or_b64 exec, exec, s[2:3]
	v_cmp_eq_u32_e32 vcc, v20, v16
	s_and_saveexec_b64 s[0:1], vcc
	s_cbranch_execnz .LBB83_70
	s_branch .LBB83_71
.LBB83_201:
	v_add_u32_e32 v20, v1, v3
	ds_read_u8 v20, v20 offset:512
	s_andn2_b64 s[0:1], s[0:1], exec
	s_mov_b32 s6, 1
	s_waitcnt lgkmcnt(0)
	v_and_b32_e32 v20, 1, v20
	v_cmp_eq_u32_e32 vcc, 1, v20
	s_xor_b64 s[8:9], vcc, -1
	s_and_b64 s[8:9], s[8:9], exec
	s_or_b64 s[0:1], s[0:1], s[8:9]
	s_or_b64 exec, exec, s[2:3]
	v_mov_b32_e32 v20, s6
	s_and_saveexec_b64 s[2:3], s[0:1]
	s_cbranch_execz .LBB83_73
.LBB83_202:
	ds_read_u8 v20, v6 offset:513
	s_waitcnt lgkmcnt(0)
	v_xor_b32_e32 v20, 1, v20
	s_or_b64 exec, exec, s[2:3]
	v_cmp_eq_u32_e32 vcc, v20, v16
	s_and_saveexec_b64 s[0:1], vcc
	s_cbranch_execnz .LBB83_74
	s_branch .LBB83_75
.LBB83_203:
	ds_read_u8 v23, v17 offset:512
	s_andn2_b64 s[0:1], s[0:1], exec
	s_mov_b32 s6, 1
	s_waitcnt lgkmcnt(0)
	v_and_b32_e32 v23, 1, v23
	v_cmp_eq_u32_e32 vcc, 1, v23
	s_xor_b64 s[8:9], vcc, -1
	s_and_b64 s[8:9], s[8:9], exec
	s_or_b64 s[0:1], s[0:1], s[8:9]
	s_or_b64 exec, exec, s[2:3]
	v_mov_b32_e32 v23, s6
	s_and_saveexec_b64 s[2:3], s[0:1]
	s_cbranch_execz .LBB83_83
.LBB83_204:
	ds_read_u8 v23, v17 offset:528
	s_waitcnt lgkmcnt(0)
	v_xor_b32_e32 v23, 1, v23
	s_or_b64 exec, exec, s[2:3]
	v_cmp_eq_u32_e32 vcc, v23, v16
	s_and_saveexec_b64 s[0:1], vcc
	s_cbranch_execnz .LBB83_84
	s_branch .LBB83_85
.LBB83_205:
	ds_read_u8 v23, v13 offset:512
	s_andn2_b64 s[0:1], s[0:1], exec
	s_mov_b32 s6, 1
	s_waitcnt lgkmcnt(0)
	v_and_b32_e32 v23, 1, v23
	v_cmp_eq_u32_e32 vcc, 1, v23
	s_xor_b64 s[8:9], vcc, -1
	s_and_b64 s[8:9], s[8:9], exec
	s_or_b64 s[0:1], s[0:1], s[8:9]
	s_or_b64 exec, exec, s[2:3]
	v_mov_b32_e32 v23, s6
	s_and_saveexec_b64 s[2:3], s[0:1]
	s_cbranch_execz .LBB83_87
.LBB83_206:
	ds_read_u8 v23, v13 offset:520
	s_waitcnt lgkmcnt(0)
	v_xor_b32_e32 v23, 1, v23
	s_or_b64 exec, exec, s[2:3]
	v_cmp_eq_u32_e32 vcc, v23, v16
	s_and_saveexec_b64 s[0:1], vcc
	s_cbranch_execnz .LBB83_88
	s_branch .LBB83_89
.LBB83_207:
	ds_read_u8 v23, v10 offset:512
	s_andn2_b64 s[0:1], s[0:1], exec
	s_mov_b32 s6, 1
	s_waitcnt lgkmcnt(0)
	v_and_b32_e32 v23, 1, v23
	v_cmp_eq_u32_e32 vcc, 1, v23
	s_xor_b64 s[8:9], vcc, -1
	s_and_b64 s[8:9], s[8:9], exec
	s_or_b64 s[0:1], s[0:1], s[8:9]
	s_or_b64 exec, exec, s[2:3]
	v_mov_b32_e32 v23, s6
	s_and_saveexec_b64 s[2:3], s[0:1]
	s_cbranch_execz .LBB83_91
.LBB83_208:
	ds_read_u8 v23, v10 offset:516
	s_waitcnt lgkmcnt(0)
	v_xor_b32_e32 v23, 1, v23
	s_or_b64 exec, exec, s[2:3]
	v_cmp_eq_u32_e32 vcc, v23, v16
	s_and_saveexec_b64 s[0:1], vcc
	s_cbranch_execnz .LBB83_92
	s_branch .LBB83_93
.LBB83_209:
	ds_read_u8 v23, v7 offset:512
	s_andn2_b64 s[0:1], s[0:1], exec
	s_mov_b32 s6, 1
	s_waitcnt lgkmcnt(0)
	v_and_b32_e32 v23, 1, v23
	v_cmp_eq_u32_e32 vcc, 1, v23
	s_xor_b64 s[8:9], vcc, -1
	s_and_b64 s[8:9], s[8:9], exec
	s_or_b64 s[0:1], s[0:1], s[8:9]
	s_or_b64 exec, exec, s[2:3]
	v_mov_b32_e32 v23, s6
	s_and_saveexec_b64 s[2:3], s[0:1]
	s_cbranch_execz .LBB83_95
.LBB83_210:
	ds_read_u8 v23, v7 offset:514
	s_waitcnt lgkmcnt(0)
	v_xor_b32_e32 v23, 1, v23
	s_or_b64 exec, exec, s[2:3]
	v_cmp_eq_u32_e32 vcc, v23, v16
	s_and_saveexec_b64 s[0:1], vcc
	s_cbranch_execnz .LBB83_96
	s_branch .LBB83_97
.LBB83_211:
	v_add_u32_e32 v23, v1, v3
	ds_read_u8 v23, v23 offset:512
	s_andn2_b64 s[0:1], s[0:1], exec
	s_mov_b32 s6, 1
	s_waitcnt lgkmcnt(0)
	v_and_b32_e32 v23, 1, v23
	v_cmp_eq_u32_e32 vcc, 1, v23
	s_xor_b64 s[8:9], vcc, -1
	s_and_b64 s[8:9], s[8:9], exec
	s_or_b64 s[0:1], s[0:1], s[8:9]
	s_or_b64 exec, exec, s[2:3]
	v_mov_b32_e32 v23, s6
	s_and_saveexec_b64 s[2:3], s[0:1]
	s_cbranch_execz .LBB83_99
.LBB83_212:
	ds_read_u8 v23, v6 offset:513
	s_waitcnt lgkmcnt(0)
	v_xor_b32_e32 v23, 1, v23
	s_or_b64 exec, exec, s[2:3]
	v_cmp_eq_u32_e32 vcc, v23, v16
	s_and_saveexec_b64 s[0:1], vcc
	s_cbranch_execnz .LBB83_100
	s_branch .LBB83_101
.LBB83_213:
	ds_read_b32 v5, v13 offset:512
	s_or_b64 exec, exec, s[12:13]
	s_and_saveexec_b64 s[12:13], s[10:11]
	s_cbranch_execz .LBB83_170
.LBB83_214:
	ds_read_b32 v3, v13 offset:516
	s_or_b64 exec, exec, s[12:13]
	s_and_saveexec_b64 s[20:21], s[0:1]
	s_cbranch_execz .LBB83_171
.LBB83_215:
	s_waitcnt lgkmcnt(0)
	ds_bpermute_b32 v6, v1, v5
	ds_bpermute_b32 v7, v1, v3
	s_waitcnt lgkmcnt(1)
	v_max_u32_e32 v14, v6, v5
	v_cmp_gt_u32_e64 s[12:13], v6, v5
	ds_bpermute_b32 v15, v8, v14
	s_waitcnt lgkmcnt(1)
	v_cndmask_b32_e64 v3, v3, v7, s[12:13]
	ds_bpermute_b32 v5, v8, v3
	s_waitcnt lgkmcnt(1)
	v_max_u32_e32 v6, v15, v14
	v_cmp_gt_u32_e64 s[12:13], v15, v14
	ds_bpermute_b32 v7, v9, v6
	s_waitcnt lgkmcnt(1)
	v_cndmask_b32_e64 v3, v3, v5, s[12:13]
	ds_bpermute_b32 v5, v9, v3
	s_waitcnt lgkmcnt(1)
	v_max_u32_e32 v14, v7, v6
	v_cmp_gt_u32_e64 s[12:13], v7, v6
	ds_bpermute_b32 v15, v10, v14
	s_waitcnt lgkmcnt(1)
	v_cndmask_b32_e64 v3, v3, v5, s[12:13]
	ds_bpermute_b32 v5, v10, v3
	s_waitcnt lgkmcnt(1)
	v_max_u32_e32 v6, v15, v14
	v_cmp_gt_u32_e64 s[12:13], v15, v14
	ds_bpermute_b32 v7, v11, v6
	s_waitcnt lgkmcnt(1)
	v_cndmask_b32_e64 v3, v3, v5, s[12:13]
	ds_bpermute_b32 v5, v11, v3
	s_waitcnt lgkmcnt(1)
	v_max_u32_e32 v14, v7, v6
	v_cmp_gt_u32_e64 s[12:13], v7, v6
	s_waitcnt lgkmcnt(0)
	v_cndmask_b32_e64 v3, v3, v5, s[12:13]
	ds_bpermute_b32 v5, v12, v14
	ds_bpermute_b32 v6, v12, v3
	s_waitcnt lgkmcnt(1)
	v_cmp_gt_u32_e64 s[12:13], v5, v14
	s_waitcnt lgkmcnt(0)
	v_cndmask_b32_e64 v3, v3, v6, s[12:13]
	s_or_b64 exec, exec, s[20:21]
	s_and_saveexec_b64 s[12:13], vcc
	s_cbranch_execnz .LBB83_172
	s_branch .LBB83_173
.LBB83_216:
	v_lshlrev_b32_e32 v0, 2, v16
	v_sub_u32_e32 v0, v13, v0
	ds_read_b32 v0, v0
	s_or_b64 exec, exec, s[2:3]
	s_and_saveexec_b64 s[2:3], s[0:1]
	s_cbranch_execz .LBB83_181
.LBB83_217:
	s_waitcnt lgkmcnt(0)
	ds_bpermute_b32 v1, v1, v0
	s_waitcnt lgkmcnt(0)
	v_max_u32_e32 v0, v1, v0
	ds_bpermute_b32 v1, v8, v0
	s_waitcnt lgkmcnt(0)
	v_max_u32_e32 v0, v1, v0
	;; [unrolled: 3-line block ×6, first 2 shown]
	s_or_b64 exec, exec, s[2:3]
	s_and_saveexec_b64 s[0:1], vcc
	s_cbranch_execz .LBB83_182
.LBB83_218:
	s_load_dword s6, s[4:5], 0xd8
	s_load_dwordx2 s[0:1], s[4:5], 0xe0
	s_add_u32 s2, s4, 8
	s_addc_u32 s3, s5, 0
	s_mov_b32 s5, 0
	s_waitcnt lgkmcnt(0)
	s_cmp_lt_i32 s6, 2
	s_cbranch_scc1 .LBB83_221
; %bb.219:
	s_add_i32 s4, s6, -1
	s_add_i32 s8, s6, 1
	s_lshl_b64 s[6:7], s[4:5], 2
	s_add_u32 s4, s6, s2
	s_addc_u32 s7, s7, s3
	s_add_u32 s6, s4, 8
	s_addc_u32 s7, s7, 0
.LBB83_220:                             ; =>This Inner Loop Header: Depth=1
	s_load_dword s4, s[6:7], 0x0
	s_load_dword s10, s[6:7], 0x64
	s_mov_b32 s9, s14
	s_waitcnt lgkmcnt(0)
	v_cvt_f32_u32_e32 v1, s4
	s_sub_i32 s11, 0, s4
	v_rcp_iflag_f32_e32 v1, v1
	v_mul_f32_e32 v1, 0x4f7ffffe, v1
	v_cvt_u32_f32_e32 v1, v1
	v_readfirstlane_b32 s12, v1
	s_mul_i32 s11, s11, s12
	s_mul_hi_u32 s11, s12, s11
	s_add_i32 s12, s12, s11
	s_mul_hi_u32 s11, s14, s12
	s_mul_i32 s12, s11, s4
	s_sub_i32 s12, s14, s12
	s_add_i32 s13, s11, 1
	s_sub_i32 s14, s12, s4
	s_cmp_ge_u32 s12, s4
	s_cselect_b32 s11, s13, s11
	s_cselect_b32 s12, s14, s12
	s_add_i32 s13, s11, 1
	s_cmp_ge_u32 s12, s4
	s_cselect_b32 s14, s13, s11
	s_mul_i32 s4, s14, s4
	s_sub_i32 s4, s9, s4
	s_mul_i32 s4, s10, s4
	s_add_i32 s8, s8, -1
	s_add_i32 s5, s4, s5
	s_add_u32 s6, s6, -4
	s_addc_u32 s7, s7, -1
	s_cmp_gt_u32 s8, 2
	s_cbranch_scc1 .LBB83_220
.LBB83_221:
	s_load_dword s4, s[2:3], 0x6c
	v_mov_b32_e32 v1, 0
	s_load_dwordx2 s[2:3], s[2:3], 0x0
	ds_read_b32 v2, v1
	s_mov_b32 s7, 0
	s_waitcnt lgkmcnt(0)
	s_mul_i32 s4, s4, s14
	s_add_i32 s6, s4, s5
	s_lshl_b64 s[4:5], s[6:7], 2
	s_add_u32 s2, s2, s4
	s_addc_u32 s3, s3, s5
	global_store_dword v1, v2, s[2:3]
	s_lshl_b64 s[2:3], s[6:7], 3
	s_add_u32 s0, s0, s2
	s_addc_u32 s1, s1, s3
	global_store_dwordx2 v1, v[0:1], s[0:1]
	s_endpgm
	.section	.rodata,"a",@progbits
	.p2align	6, 0x0
	.amdhsa_kernel _ZN2at6native12compute_modeIiLj128EEEvPKT_NS_4cuda6detail10TensorInfoIS2_jEENS7_IljEEll
		.amdhsa_group_segment_fixed_size 4
		.amdhsa_private_segment_fixed_size 0
		.amdhsa_kernarg_size 712
		.amdhsa_user_sgpr_count 6
		.amdhsa_user_sgpr_private_segment_buffer 1
		.amdhsa_user_sgpr_dispatch_ptr 0
		.amdhsa_user_sgpr_queue_ptr 0
		.amdhsa_user_sgpr_kernarg_segment_ptr 1
		.amdhsa_user_sgpr_dispatch_id 0
		.amdhsa_user_sgpr_flat_scratch_init 0
		.amdhsa_user_sgpr_kernarg_preload_length 0
		.amdhsa_user_sgpr_kernarg_preload_offset 0
		.amdhsa_user_sgpr_private_segment_size 0
		.amdhsa_uses_dynamic_stack 0
		.amdhsa_system_sgpr_private_segment_wavefront_offset 0
		.amdhsa_system_sgpr_workgroup_id_x 1
		.amdhsa_system_sgpr_workgroup_id_y 1
		.amdhsa_system_sgpr_workgroup_id_z 1
		.amdhsa_system_sgpr_workgroup_info 0
		.amdhsa_system_vgpr_workitem_id 0
		.amdhsa_next_free_vgpr 28
		.amdhsa_next_free_sgpr 22
		.amdhsa_accum_offset 28
		.amdhsa_reserve_vcc 1
		.amdhsa_reserve_flat_scratch 0
		.amdhsa_float_round_mode_32 0
		.amdhsa_float_round_mode_16_64 0
		.amdhsa_float_denorm_mode_32 3
		.amdhsa_float_denorm_mode_16_64 3
		.amdhsa_dx10_clamp 1
		.amdhsa_ieee_mode 1
		.amdhsa_fp16_overflow 0
		.amdhsa_tg_split 0
		.amdhsa_exception_fp_ieee_invalid_op 0
		.amdhsa_exception_fp_denorm_src 0
		.amdhsa_exception_fp_ieee_div_zero 0
		.amdhsa_exception_fp_ieee_overflow 0
		.amdhsa_exception_fp_ieee_underflow 0
		.amdhsa_exception_fp_ieee_inexact 0
		.amdhsa_exception_int_div_zero 0
	.end_amdhsa_kernel
	.section	.text._ZN2at6native12compute_modeIiLj128EEEvPKT_NS_4cuda6detail10TensorInfoIS2_jEENS7_IljEEll,"axG",@progbits,_ZN2at6native12compute_modeIiLj128EEEvPKT_NS_4cuda6detail10TensorInfoIS2_jEENS7_IljEEll,comdat
.Lfunc_end83:
	.size	_ZN2at6native12compute_modeIiLj128EEEvPKT_NS_4cuda6detail10TensorInfoIS2_jEENS7_IljEEll, .Lfunc_end83-_ZN2at6native12compute_modeIiLj128EEEvPKT_NS_4cuda6detail10TensorInfoIS2_jEENS7_IljEEll
                                        ; -- End function
	.section	.AMDGPU.csdata,"",@progbits
; Kernel info:
; codeLenInByte = 10120
; NumSgprs: 26
; NumVgprs: 28
; NumAgprs: 0
; TotalNumVgprs: 28
; ScratchSize: 0
; MemoryBound: 0
; FloatMode: 240
; IeeeMode: 1
; LDSByteSize: 4 bytes/workgroup (compile time only)
; SGPRBlocks: 3
; VGPRBlocks: 3
; NumSGPRsForWavesPerEU: 26
; NumVGPRsForWavesPerEU: 28
; AccumOffset: 28
; Occupancy: 8
; WaveLimiterHint : 1
; COMPUTE_PGM_RSRC2:SCRATCH_EN: 0
; COMPUTE_PGM_RSRC2:USER_SGPR: 6
; COMPUTE_PGM_RSRC2:TRAP_HANDLER: 0
; COMPUTE_PGM_RSRC2:TGID_X_EN: 1
; COMPUTE_PGM_RSRC2:TGID_Y_EN: 1
; COMPUTE_PGM_RSRC2:TGID_Z_EN: 1
; COMPUTE_PGM_RSRC2:TIDIG_COMP_CNT: 0
; COMPUTE_PGM_RSRC3_GFX90A:ACCUM_OFFSET: 6
; COMPUTE_PGM_RSRC3_GFX90A:TG_SPLIT: 0
	.section	.text._ZN2at6native12compute_modeIlLj2048EEEvPKT_NS_4cuda6detail10TensorInfoIS2_jEENS7_IljEEll,"axG",@progbits,_ZN2at6native12compute_modeIlLj2048EEEvPKT_NS_4cuda6detail10TensorInfoIS2_jEENS7_IljEEll,comdat
	.protected	_ZN2at6native12compute_modeIlLj2048EEEvPKT_NS_4cuda6detail10TensorInfoIS2_jEENS7_IljEEll ; -- Begin function _ZN2at6native12compute_modeIlLj2048EEEvPKT_NS_4cuda6detail10TensorInfoIS2_jEENS7_IljEEll
	.globl	_ZN2at6native12compute_modeIlLj2048EEEvPKT_NS_4cuda6detail10TensorInfoIS2_jEENS7_IljEEll
	.p2align	8
	.type	_ZN2at6native12compute_modeIlLj2048EEEvPKT_NS_4cuda6detail10TensorInfoIS2_jEENS7_IljEEll,@function
_ZN2at6native12compute_modeIlLj2048EEEvPKT_NS_4cuda6detail10TensorInfoIS2_jEENS7_IljEEll: ; @_ZN2at6native12compute_modeIlLj2048EEEvPKT_NS_4cuda6detail10TensorInfoIS2_jEENS7_IljEEll
; %bb.0:
	s_load_dwordx4 s[16:19], s[4:5], 0x1b8
	s_load_dwordx2 s[2:3], s[4:5], 0x1c8
	s_add_u32 s0, s4, 0x1c8
	s_addc_u32 s1, s5, 0
	s_waitcnt lgkmcnt(0)
	v_mov_b32_e32 v2, s18
	s_mul_i32 s3, s3, s8
	s_add_i32 s3, s3, s7
	s_mul_i32 s2, s3, s2
	v_mov_b32_e32 v3, s19
	s_add_i32 s18, s2, s6
	s_mov_b32 s19, 0
	v_cmp_ge_i64_e32 vcc, s[18:19], v[2:3]
	s_cbranch_vccnz .LBB84_134
; %bb.1:
	s_load_dwordx2 s[20:21], s[4:5], 0x0
	s_load_dword s6, s[0:1], 0xc
	v_mov_b32_e32 v3, 0
	v_mov_b32_e32 v1, v3
	s_mul_i32 s19, s18, s16
	v_cmp_gt_i64_e32 vcc, s[16:17], v[0:1]
	s_and_saveexec_b64 s[2:3], vcc
	s_cbranch_execz .LBB84_3
; %bb.2:
	v_add_u32_e32 v2, s19, v0
	v_lshlrev_b64 v[4:5], 3, v[2:3]
	s_waitcnt lgkmcnt(0)
	v_mov_b32_e32 v1, s21
	v_add_co_u32_e64 v4, s[0:1], s20, v4
	v_addc_co_u32_e64 v5, s[0:1], v1, v5, s[0:1]
	global_load_dwordx2 v[4:5], v[4:5], off
	v_lshl_add_u32 v1, v0, 3, 8
	s_waitcnt vmcnt(0)
	ds_write_b64 v1, v[4:5]
.LBB84_3:
	s_or_b64 exec, exec, s[2:3]
	s_load_dwordx2 s[14:15], s[4:5], 0xe0
	s_waitcnt lgkmcnt(0)
	s_and_b32 s22, 0xffff, s6
	v_add_u32_e32 v2, s22, v0
	v_cmp_gt_i64_e64 s[0:1], s[16:17], v[2:3]
	s_and_saveexec_b64 s[6:7], s[0:1]
	s_cbranch_execz .LBB84_5
; %bb.4:
	v_add_u32_e32 v4, s19, v2
	v_mov_b32_e32 v5, 0
	v_lshlrev_b64 v[4:5], 3, v[4:5]
	v_mov_b32_e32 v1, s21
	v_add_co_u32_e64 v4, s[2:3], s20, v4
	v_addc_co_u32_e64 v5, s[2:3], v1, v5, s[2:3]
	global_load_dwordx2 v[4:5], v[4:5], off
	v_lshl_add_u32 v1, v2, 3, 8
	s_waitcnt vmcnt(0)
	ds_write_b64 v1, v[4:5]
.LBB84_5:
	s_or_b64 exec, exec, s[6:7]
	v_add_u32_e32 v1, 8, v0
	v_cndmask_b32_e64 v2, 0, 1, vcc
	ds_write_b8 v1, v2 offset:16384
	v_add_u32_e32 v2, s22, v1
	v_cndmask_b32_e64 v3, 0, 1, s[0:1]
	v_lshlrev_b32_e32 v6, 1, v0
	s_mov_b32 s6, 2
	ds_write_b8 v2, v3 offset:16384
	s_waitcnt lgkmcnt(0)
	s_barrier
	s_branch .LBB84_7
.LBB84_6:                               ;   in Loop: Header=BB84_7 Depth=1
	s_lshl_b32 s0, s6, 2
	s_cmpk_gt_u32 s6, 0x1ff
	s_mov_b32 s6, s0
	s_cbranch_scc1 .LBB84_23
.LBB84_7:                               ; =>This Loop Header: Depth=1
                                        ;     Child Loop BB84_9 Depth 2
                                        ;     Child Loop BB84_17 Depth 2
	s_lshr_b32 s7, s6, 1
	v_and_b32_e32 v2, s7, v0
	v_cmp_ne_u32_e32 vcc, 0, v2
	v_cndmask_b32_e64 v7, 0, 1, vcc
	s_branch .LBB84_9
.LBB84_8:                               ;   in Loop: Header=BB84_9 Depth=2
	s_or_b64 exec, exec, s[0:1]
	s_lshr_b32 s0, s7, 1
	s_cmp_lt_u32 s7, 2
	s_mov_b32 s7, s0
	s_cbranch_scc1 .LBB84_15
.LBB84_9:                               ;   Parent Loop BB84_7 Depth=1
                                        ; =>  This Inner Loop Header: Depth=2
	s_add_i32 s0, s7, -1
	v_and_b32_e32 v2, s0, v0
	v_sub_u32_e32 v10, v6, v2
	v_lshl_add_u32 v8, v10, 3, 8
	s_barrier
	v_lshl_add_u32 v9, s7, 3, v8
	ds_read_b64 v[2:3], v8
	ds_read_b64 v[4:5], v9
	v_add_u32_e32 v10, 8, v10
                                        ; implicit-def: $sgpr8
	s_waitcnt lgkmcnt(0)
	v_cmp_ge_i64_e64 s[0:1], v[2:3], v[4:5]
	v_cmp_lt_i64_e32 vcc, v[2:3], v[4:5]
	s_and_saveexec_b64 s[2:3], vcc
	s_cbranch_execz .LBB84_11
; %bb.10:                               ;   in Loop: Header=BB84_9 Depth=2
	ds_read_u8 v11, v10 offset:16384
	s_andn2_b64 s[0:1], s[0:1], exec
	s_mov_b32 s8, 1
	s_waitcnt lgkmcnt(0)
	v_and_b32_e32 v11, 1, v11
	v_cmp_eq_u32_e32 vcc, 1, v11
	s_xor_b64 s[10:11], vcc, -1
	s_and_b64 s[10:11], s[10:11], exec
	s_or_b64 s[0:1], s[0:1], s[10:11]
.LBB84_11:                              ;   in Loop: Header=BB84_9 Depth=2
	s_or_b64 exec, exec, s[2:3]
	v_mov_b32_e32 v12, s8
	v_add_u32_e32 v11, s7, v10
	s_and_saveexec_b64 s[2:3], s[0:1]
	s_cbranch_execz .LBB84_13
; %bb.12:                               ;   in Loop: Header=BB84_9 Depth=2
	ds_read_u8 v12, v11 offset:16384
	s_waitcnt lgkmcnt(0)
	v_xor_b32_e32 v12, 1, v12
.LBB84_13:                              ;   in Loop: Header=BB84_9 Depth=2
	s_or_b64 exec, exec, s[2:3]
	v_cmp_eq_u32_e32 vcc, v12, v7
	s_and_saveexec_b64 s[0:1], vcc
	s_cbranch_execz .LBB84_8
; %bb.14:                               ;   in Loop: Header=BB84_9 Depth=2
	ds_read_u8 v12, v11 offset:16384
	ds_read_u8 v13, v10 offset:16384
	ds_write_b64 v8, v[4:5]
	ds_write_b64 v9, v[2:3]
	s_waitcnt lgkmcnt(3)
	ds_write_b8 v10, v12 offset:16384
	s_waitcnt lgkmcnt(3)
	ds_write_b8 v11, v13 offset:16384
	s_branch .LBB84_8
.LBB84_15:                              ;   in Loop: Header=BB84_7 Depth=1
	v_and_b32_e32 v2, s6, v0
	v_cmp_ne_u32_e32 vcc, 0, v2
	v_cndmask_b32_e64 v7, 0, 1, vcc
	s_mov_b32 s7, s6
	s_branch .LBB84_17
.LBB84_16:                              ;   in Loop: Header=BB84_17 Depth=2
	s_or_b64 exec, exec, s[0:1]
	s_lshr_b32 s0, s7, 1
	s_cmp_gt_u32 s7, 1
	s_mov_b32 s7, s0
	s_cbranch_scc0 .LBB84_6
.LBB84_17:                              ;   Parent Loop BB84_7 Depth=1
                                        ; =>  This Inner Loop Header: Depth=2
	s_add_i32 s0, s7, -1
	v_and_b32_e32 v2, s0, v0
	v_sub_u32_e32 v10, v6, v2
	v_lshl_add_u32 v8, v10, 3, 8
	s_waitcnt lgkmcnt(0)
	s_barrier
	v_lshl_add_u32 v9, s7, 3, v8
	ds_read_b64 v[2:3], v8
	ds_read_b64 v[4:5], v9
	v_add_u32_e32 v10, 8, v10
                                        ; implicit-def: $sgpr8
	s_waitcnt lgkmcnt(0)
	v_cmp_ge_i64_e64 s[0:1], v[2:3], v[4:5]
	v_cmp_lt_i64_e32 vcc, v[2:3], v[4:5]
	s_and_saveexec_b64 s[2:3], vcc
	s_cbranch_execz .LBB84_19
; %bb.18:                               ;   in Loop: Header=BB84_17 Depth=2
	ds_read_u8 v11, v10 offset:16384
	s_andn2_b64 s[0:1], s[0:1], exec
	s_mov_b32 s8, 1
	s_waitcnt lgkmcnt(0)
	v_and_b32_e32 v11, 1, v11
	v_cmp_eq_u32_e32 vcc, 1, v11
	s_xor_b64 s[10:11], vcc, -1
	s_and_b64 s[10:11], s[10:11], exec
	s_or_b64 s[0:1], s[0:1], s[10:11]
.LBB84_19:                              ;   in Loop: Header=BB84_17 Depth=2
	s_or_b64 exec, exec, s[2:3]
	v_mov_b32_e32 v12, s8
	v_add_u32_e32 v11, s7, v10
	s_and_saveexec_b64 s[2:3], s[0:1]
	s_cbranch_execz .LBB84_21
; %bb.20:                               ;   in Loop: Header=BB84_17 Depth=2
	ds_read_u8 v12, v11 offset:16384
	s_waitcnt lgkmcnt(0)
	v_xor_b32_e32 v12, 1, v12
.LBB84_21:                              ;   in Loop: Header=BB84_17 Depth=2
	s_or_b64 exec, exec, s[2:3]
	v_cmp_eq_u32_e32 vcc, v12, v7
	s_and_saveexec_b64 s[0:1], vcc
	s_cbranch_execz .LBB84_16
; %bb.22:                               ;   in Loop: Header=BB84_17 Depth=2
	ds_read_u8 v12, v11 offset:16384
	ds_read_u8 v13, v10 offset:16384
	ds_write_b64 v8, v[4:5]
	ds_write_b64 v9, v[2:3]
	s_waitcnt lgkmcnt(3)
	ds_write_b8 v10, v12 offset:16384
	s_waitcnt lgkmcnt(3)
	ds_write_b8 v11, v13 offset:16384
	s_branch .LBB84_16
.LBB84_23:
	v_mad_u32_u24 v2, v0, 7, v1
	s_waitcnt lgkmcnt(0)
	s_barrier
	ds_read2st64_b64 v[2:5], v2 offset1:16
                                        ; implicit-def: $sgpr6
	s_waitcnt lgkmcnt(0)
	v_cmp_ge_i64_e64 s[0:1], v[2:3], v[4:5]
	v_cmp_lt_i64_e32 vcc, v[2:3], v[4:5]
	s_and_saveexec_b64 s[2:3], vcc
	s_cbranch_execnz .LBB84_135
; %bb.24:
	s_or_b64 exec, exec, s[2:3]
	v_mov_b32_e32 v7, s6
	s_and_saveexec_b64 s[2:3], s[0:1]
	s_cbranch_execnz .LBB84_136
.LBB84_25:
	s_or_b64 exec, exec, s[2:3]
	v_cmp_eq_u32_e32 vcc, 0, v7
	s_and_saveexec_b64 s[0:1], vcc
	s_cbranch_execz .LBB84_27
.LBB84_26:
	ds_read_u8 v7, v1 offset:17408
	ds_read_u8 v8, v1 offset:16384
	v_mul_u32_u24_e32 v9, 7, v0
	v_add_u32_e32 v9, v1, v9
	ds_write2st64_b64 v9, v[4:5], v[2:3] offset1:16
	s_waitcnt lgkmcnt(2)
	ds_write_b8 v1, v7 offset:16384
	s_waitcnt lgkmcnt(2)
	ds_write_b8 v1, v8 offset:17408
.LBB84_27:
	s_or_b64 exec, exec, s[0:1]
	v_and_b32_e32 v1, 0x1ff, v0
	v_sub_u32_e32 v7, v6, v1
	v_add_u32_e32 v1, 8, v7
	v_lshl_add_u32 v8, v7, 3, 8
	v_mad_i32_i24 v4, v7, 7, v1
	s_waitcnt lgkmcnt(0)
	s_barrier
	ds_read_b64 v[2:3], v8
	ds_read_b64 v[4:5], v4 offset:4096
                                        ; implicit-def: $sgpr6
	s_waitcnt lgkmcnt(0)
	v_cmp_ge_i64_e64 s[0:1], v[2:3], v[4:5]
	v_cmp_lt_i64_e32 vcc, v[2:3], v[4:5]
	s_and_saveexec_b64 s[2:3], vcc
	s_cbranch_execnz .LBB84_137
; %bb.28:
	s_or_b64 exec, exec, s[2:3]
	v_mov_b32_e32 v9, s6
	s_and_saveexec_b64 s[2:3], s[0:1]
	s_cbranch_execnz .LBB84_138
.LBB84_29:
	s_or_b64 exec, exec, s[2:3]
	v_cmp_eq_u32_e32 vcc, 0, v9
	s_and_saveexec_b64 s[0:1], vcc
	s_cbranch_execz .LBB84_31
.LBB84_30:
	ds_read_u8 v9, v1 offset:16384
	ds_read_u8 v10, v1 offset:16896
	v_mul_i32_i24_e32 v7, 7, v7
	ds_write_b64 v8, v[4:5]
	v_add_u32_e32 v4, v1, v7
	ds_write_b64 v4, v[2:3] offset:4096
	s_waitcnt lgkmcnt(2)
	ds_write_b8 v1, v10 offset:16384
	ds_write_b8 v1, v9 offset:16896
.LBB84_31:
	s_or_b64 exec, exec, s[0:1]
	v_sub_u32_sdwa v7, v6, v0 dst_sel:DWORD dst_unused:UNUSED_PAD src0_sel:DWORD src1_sel:BYTE_0
	v_add_u32_e32 v1, 8, v7
	v_lshl_add_u32 v8, v7, 3, 8
	v_mad_i32_i24 v4, v7, 7, v1
	s_waitcnt lgkmcnt(0)
	s_barrier
	ds_read_b64 v[2:3], v8
	ds_read_b64 v[4:5], v4 offset:2048
                                        ; implicit-def: $sgpr6
	s_waitcnt lgkmcnt(0)
	v_cmp_ge_i64_e64 s[0:1], v[2:3], v[4:5]
	v_cmp_lt_i64_e32 vcc, v[2:3], v[4:5]
	s_and_saveexec_b64 s[2:3], vcc
	s_cbranch_execnz .LBB84_139
; %bb.32:
	s_or_b64 exec, exec, s[2:3]
	v_mov_b32_e32 v9, s6
	s_and_saveexec_b64 s[2:3], s[0:1]
	s_cbranch_execnz .LBB84_140
.LBB84_33:
	s_or_b64 exec, exec, s[2:3]
	v_cmp_eq_u32_e32 vcc, 0, v9
	s_and_saveexec_b64 s[0:1], vcc
	s_cbranch_execz .LBB84_35
.LBB84_34:
	ds_read_u8 v9, v1 offset:16384
	ds_read_u8 v10, v1 offset:16640
	v_mul_i32_i24_e32 v7, 7, v7
	ds_write_b64 v8, v[4:5]
	v_add_u32_e32 v4, v1, v7
	ds_write_b64 v4, v[2:3] offset:2048
	s_waitcnt lgkmcnt(2)
	ds_write_b8 v1, v10 offset:16384
	ds_write_b8 v1, v9 offset:16640
.LBB84_35:
	s_or_b64 exec, exec, s[0:1]
	v_and_b32_e32 v1, 0x7f, v0
	v_sub_u32_e32 v7, v6, v1
	v_add_u32_e32 v1, 8, v7
	v_lshl_add_u32 v8, v7, 3, 8
	v_mad_i32_i24 v4, v7, 7, v1
	s_waitcnt lgkmcnt(0)
	s_barrier
	ds_read_b64 v[2:3], v8
	ds_read_b64 v[4:5], v4 offset:1024
                                        ; implicit-def: $sgpr6
	s_waitcnt lgkmcnt(0)
	v_cmp_ge_i64_e64 s[0:1], v[2:3], v[4:5]
	v_cmp_lt_i64_e32 vcc, v[2:3], v[4:5]
	s_and_saveexec_b64 s[2:3], vcc
	s_cbranch_execnz .LBB84_141
; %bb.36:
	s_or_b64 exec, exec, s[2:3]
	v_mov_b32_e32 v9, s6
	s_and_saveexec_b64 s[2:3], s[0:1]
	s_cbranch_execnz .LBB84_142
.LBB84_37:
	s_or_b64 exec, exec, s[2:3]
	v_cmp_eq_u32_e32 vcc, 0, v9
	s_and_saveexec_b64 s[0:1], vcc
	s_cbranch_execz .LBB84_39
.LBB84_38:
	ds_read_u8 v9, v1 offset:16384
	ds_read_u8 v10, v1 offset:16512
	v_mul_i32_i24_e32 v7, 7, v7
	ds_write_b64 v8, v[4:5]
	v_add_u32_e32 v4, v1, v7
	ds_write_b64 v4, v[2:3] offset:1024
	s_waitcnt lgkmcnt(2)
	ds_write_b8 v1, v10 offset:16384
	ds_write_b8 v1, v9 offset:16512
.LBB84_39:
	s_or_b64 exec, exec, s[0:1]
	v_and_b32_e32 v1, 63, v0
	v_sub_u32_e32 v9, v6, v1
	v_add_u32_e32 v7, 8, v9
	v_lshl_add_u32 v8, v9, 3, 8
	v_mad_i32_i24 v4, v9, 7, v7
	s_waitcnt lgkmcnt(0)
	s_barrier
	ds_read_b64 v[2:3], v8
	ds_read_b64 v[4:5], v4 offset:512
	s_waitcnt lgkmcnt(0)
	v_cmp_ge_i64_e64 s[2:3], v[2:3], v[4:5]
	v_cmp_lt_i64_e32 vcc, v[2:3], v[4:5]
	s_and_saveexec_b64 s[0:1], vcc
	s_cbranch_execz .LBB84_41
; %bb.40:
	ds_read_u8 v10, v7 offset:16384
	s_andn2_b64 s[2:3], s[2:3], exec
	s_waitcnt lgkmcnt(0)
	v_and_b32_e32 v10, 1, v10
	v_cmp_eq_u32_e32 vcc, 1, v10
	s_xor_b64 s[6:7], vcc, -1
	s_and_b64 s[6:7], s[6:7], exec
	s_or_b64 s[2:3], s[2:3], s[6:7]
.LBB84_41:
	s_or_b64 exec, exec, s[0:1]
	s_and_saveexec_b64 s[0:1], s[2:3]
	s_cbranch_execz .LBB84_44
; %bb.42:
	ds_read_u8 v10, v7 offset:16448
	s_waitcnt lgkmcnt(0)
	v_cmp_ne_u16_e32 vcc, 0, v10
	s_and_b64 exec, exec, vcc
	s_cbranch_execz .LBB84_44
; %bb.43:
	ds_read_u8 v11, v7 offset:16384
	v_mul_i32_i24_e32 v9, 7, v9
	ds_write_b64 v8, v[4:5]
	v_add_u32_e32 v4, v7, v9
	ds_write_b64 v4, v[2:3] offset:512
	ds_write_b8 v7, v10 offset:16384
	s_waitcnt lgkmcnt(3)
	ds_write_b8 v7, v11 offset:16448
.LBB84_44:
	s_or_b64 exec, exec, s[0:1]
	v_and_b32_e32 v2, 31, v0
	v_sub_u32_e32 v9, v6, v2
	v_add_u32_e32 v7, 8, v9
	v_lshl_add_u32 v8, v9, 3, 8
	v_mad_i32_i24 v4, v9, 7, v7
	s_waitcnt lgkmcnt(0)
	s_barrier
	ds_read_b64 v[2:3], v8
	ds_read_b64 v[4:5], v4 offset:256
	s_waitcnt lgkmcnt(0)
	v_cmp_ge_i64_e64 s[2:3], v[2:3], v[4:5]
	v_cmp_lt_i64_e32 vcc, v[2:3], v[4:5]
	s_and_saveexec_b64 s[0:1], vcc
	s_cbranch_execz .LBB84_46
; %bb.45:
	ds_read_u8 v10, v7 offset:16384
	s_andn2_b64 s[2:3], s[2:3], exec
	s_waitcnt lgkmcnt(0)
	v_and_b32_e32 v10, 1, v10
	v_cmp_eq_u32_e32 vcc, 1, v10
	s_xor_b64 s[6:7], vcc, -1
	s_and_b64 s[6:7], s[6:7], exec
	s_or_b64 s[2:3], s[2:3], s[6:7]
.LBB84_46:
	s_or_b64 exec, exec, s[0:1]
	s_and_saveexec_b64 s[0:1], s[2:3]
	s_cbranch_execz .LBB84_49
; %bb.47:
	ds_read_u8 v10, v7 offset:16416
	s_waitcnt lgkmcnt(0)
	v_cmp_ne_u16_e32 vcc, 0, v10
	s_and_b64 exec, exec, vcc
	s_cbranch_execz .LBB84_49
; %bb.48:
	ds_read_u8 v11, v7 offset:16384
	v_mul_i32_i24_e32 v9, 7, v9
	ds_write_b64 v8, v[4:5]
	v_add_u32_e32 v4, v7, v9
	ds_write_b64 v4, v[2:3] offset:256
	ds_write_b8 v7, v10 offset:16384
	s_waitcnt lgkmcnt(3)
	ds_write_b8 v7, v11 offset:16416
.LBB84_49:
	;; [unrolled: 44-line block ×6, first 2 shown]
	s_or_b64 exec, exec, s[0:1]
	v_lshl_add_u32 v9, v6, 3, 8
	s_waitcnt lgkmcnt(0)
	s_barrier
	ds_read2_b64 v[2:5], v9 offset1:1
	v_mad_i32_i24 v8, v0, -14, v9
	s_add_i32 s10, 8, 0x4000
	s_waitcnt lgkmcnt(0)
	v_cmp_ge_i64_e64 s[2:3], v[2:3], v[4:5]
	v_cmp_lt_i64_e32 vcc, v[2:3], v[4:5]
	s_and_saveexec_b64 s[0:1], vcc
	s_cbranch_execz .LBB84_71
; %bb.70:
	ds_read_u8 v7, v8 offset:16384
	s_andn2_b64 s[2:3], s[2:3], exec
	s_waitcnt lgkmcnt(0)
	v_and_b32_e32 v7, 1, v7
	v_cmp_eq_u32_e32 vcc, 1, v7
	s_xor_b64 s[6:7], vcc, -1
	s_and_b64 s[6:7], s[6:7], exec
	s_or_b64 s[2:3], s[2:3], s[6:7]
.LBB84_71:
	s_or_b64 exec, exec, s[0:1]
	v_mul_u32_u24_e32 v10, 14, v0
	v_add_u32_e32 v7, s10, v6
	s_and_saveexec_b64 s[0:1], s[2:3]
	s_cbranch_execz .LBB84_74
; %bb.72:
	ds_read_u8 v11, v7 offset:1
	s_waitcnt lgkmcnt(0)
	v_cmp_ne_u16_e32 vcc, 0, v11
	s_and_b64 exec, exec, vcc
	s_cbranch_execz .LBB84_74
; %bb.73:
	ds_read_u8 v12, v8 offset:16384
	ds_write_b64 v9, v[4:5]
	v_add_u32_e32 v4, v8, v10
	ds_write_b64 v4, v[2:3] offset:8
	ds_write_b8 v8, v11 offset:16384
	s_waitcnt lgkmcnt(3)
	ds_write_b8 v7, v12 offset:1
.LBB84_74:
	s_or_b64 exec, exec, s[0:1]
	v_cmp_eq_u32_e32 vcc, 0, v0
	s_waitcnt lgkmcnt(0)
	s_barrier
	s_barrier
	s_and_saveexec_b64 s[0:1], vcc
	s_cbranch_execz .LBB84_76
; %bb.75:
	v_mov_b32_e32 v2, 8
	v_mov_b32_e32 v3, 1
	ds_write_b8 v2, v3 offset:16388
	v_mov_b32_e32 v3, 0
	ds_write_b32 v2, v3 offset:16384
.LBB84_76:
	s_or_b64 exec, exec, s[0:1]
	ds_read2_b64 v[2:5], v9 offset1:1
	v_add_u32_e32 v7, v7, v10
	s_waitcnt lgkmcnt(0)
	v_cmp_ne_u64_e64 s[0:1], v[2:3], v[4:5]
	v_cndmask_b32_e64 v11, 0, 1, s[0:1]
	v_cmp_eq_u64_e64 s[0:1], v[2:3], v[4:5]
	v_cndmask_b32_e64 v2, 0, 1, s[0:1]
	s_movk_i32 s0, 0x3ff
	ds_write_b8 v7, v11 offset:12
	ds_write_b32 v7, v2 offset:8
	v_cmp_ne_u32_e64 s[2:3], s0, v0
	v_mov_b32_e32 v2, 0x800
	s_and_saveexec_b64 s[6:7], s[2:3]
	s_cbranch_execz .LBB84_78
; %bb.77:
	ds_read_b64 v[12:13], v9 offset:16
	v_add_u32_e32 v2, 2, v6
	v_lshl_add_u32 v3, v6, 3, s10
	s_waitcnt lgkmcnt(0)
	v_cmp_ne_u64_e64 s[0:1], v[4:5], v[12:13]
	v_cndmask_b32_e64 v9, 0, 1, s[0:1]
	v_cmp_eq_u64_e64 s[0:1], v[4:5], v[12:13]
	v_cndmask_b32_e64 v4, 0, 1, s[0:1]
	ds_write_b8 v3, v9 offset:20
	ds_write_b32 v3, v4 offset:16
.LBB84_78:
	s_or_b64 exec, exec, s[6:7]
	s_waitcnt lgkmcnt(0)
	s_barrier
	ds_read_u8 v4, v7 offset:12
	v_add_u32_e32 v3, v8, v10
	ds_read_b32 v5, v3 offset:16384
	ds_read_b32 v8, v7 offset:8
	ds_read_u8 v9, v3 offset:16388
	s_waitcnt lgkmcnt(3)
	v_and_b32_e32 v10, 1, v4
	v_cmp_eq_u32_e64 s[0:1], 1, v10
	s_waitcnt lgkmcnt(2)
	v_cndmask_b32_e64 v5, v5, 0, s[0:1]
	s_waitcnt lgkmcnt(0)
	v_or_b32_e32 v4, v9, v4
	v_add_u32_e32 v5, v5, v8
	v_and_b32_e32 v4, 1, v4
	ds_write2_b32 v7, v5, v4 offset0:2 offset1:3
	v_lshlrev_b32_e32 v4, 1, v2
	s_movk_i32 s0, 0x200
	v_add_u32_e32 v5, -1, v4
	v_cmp_gt_u32_e64 s[0:1], s0, v0
	s_waitcnt lgkmcnt(0)
	s_barrier
	s_and_saveexec_b64 s[6:7], s[0:1]
	s_cbranch_execz .LBB84_80
; %bb.79:
	v_lshl_add_u32 v8, v5, 3, 8
	ds_read_b32 v9, v8 offset:16384
	ds_read_u8 v10, v8 offset:16388
	v_lshl_add_u32 v11, v4, 3, 8
	ds_read_b32 v12, v11 offset:16360
	ds_read_u8 v11, v11 offset:16364
	v_add_u32_e32 v8, 0x4000, v8
	s_waitcnt lgkmcnt(2)
	v_and_b32_e32 v13, 1, v10
	v_cmp_eq_u32_e64 s[0:1], 1, v13
	s_waitcnt lgkmcnt(1)
	v_cndmask_b32_e64 v12, v12, 0, s[0:1]
	s_waitcnt lgkmcnt(0)
	v_or_b32_e32 v10, v11, v10
	v_add_u32_e32 v9, v12, v9
	v_and_b32_e32 v10, 1, v10
	ds_write2_b32 v8, v9, v10 offset1:1
.LBB84_80:
	s_or_b64 exec, exec, s[6:7]
	s_movk_i32 s0, 0x100
	v_lshlrev_b32_e32 v8, 2, v2
	v_add_u32_e32 v5, v5, v4
	v_cmp_gt_u32_e64 s[0:1], s0, v0
	s_waitcnt lgkmcnt(0)
	s_barrier
	s_and_saveexec_b64 s[6:7], s[0:1]
	s_cbranch_execz .LBB84_82
; %bb.81:
	v_lshl_add_u32 v9, v5, 3, 8
	ds_read_b32 v10, v9 offset:16384
	ds_read_u8 v11, v9 offset:16388
	v_lshl_add_u32 v12, v8, 3, 8
	ds_read_b32 v13, v12 offset:16344
	ds_read_u8 v12, v12 offset:16348
	v_add_u32_e32 v9, 0x4000, v9
	s_waitcnt lgkmcnt(2)
	v_and_b32_e32 v14, 1, v11
	v_cmp_eq_u32_e64 s[0:1], 1, v14
	s_waitcnt lgkmcnt(1)
	v_cndmask_b32_e64 v13, v13, 0, s[0:1]
	s_waitcnt lgkmcnt(0)
	v_or_b32_e32 v11, v12, v11
	v_add_u32_e32 v10, v13, v10
	v_and_b32_e32 v11, 1, v11
	ds_write2_b32 v9, v10, v11 offset1:1
.LBB84_82:
	s_or_b64 exec, exec, s[6:7]
	s_movk_i32 s0, 0x80
	v_lshlrev_b32_e32 v10, 3, v2
	v_add_u32_e32 v9, v5, v8
	v_cmp_gt_u32_e64 s[0:1], s0, v0
	s_waitcnt lgkmcnt(0)
	s_barrier
	s_and_saveexec_b64 s[6:7], s[0:1]
	s_cbranch_execz .LBB84_84
; %bb.83:
	v_lshl_add_u32 v11, v9, 3, 8
	ds_read_b32 v12, v11 offset:16384
	ds_read_u8 v13, v11 offset:16388
	v_lshl_add_u32 v14, v10, 3, 8
	ds_read_b32 v15, v14 offset:16312
	ds_read_u8 v14, v14 offset:16316
	v_add_u32_e32 v11, 0x4000, v11
	s_waitcnt lgkmcnt(2)
	v_and_b32_e32 v16, 1, v13
	v_cmp_eq_u32_e64 s[0:1], 1, v16
	s_waitcnt lgkmcnt(1)
	v_cndmask_b32_e64 v15, v15, 0, s[0:1]
	s_waitcnt lgkmcnt(0)
	v_or_b32_e32 v13, v14, v13
	v_add_u32_e32 v12, v15, v12
	v_and_b32_e32 v13, 1, v13
	ds_write2_b32 v11, v12, v13 offset1:1
.LBB84_84:
	s_or_b64 exec, exec, s[6:7]
	v_lshlrev_b32_e32 v12, 4, v2
	v_add_u32_e32 v11, v9, v10
	v_cmp_gt_u32_e64 s[0:1], 64, v0
	s_waitcnt lgkmcnt(0)
	s_barrier
	s_and_saveexec_b64 s[8:9], s[0:1]
	s_cbranch_execz .LBB84_86
; %bb.85:
	v_lshl_add_u32 v13, v11, 3, 8
	ds_read_b32 v14, v13 offset:16384
	ds_read_u8 v15, v13 offset:16388
	v_lshl_add_u32 v16, v12, 3, 8
	ds_read_b32 v17, v16 offset:16248
	ds_read_u8 v16, v16 offset:16252
	v_add_u32_e32 v13, 0x4000, v13
	s_waitcnt lgkmcnt(2)
	v_and_b32_e32 v18, 1, v15
	v_cmp_eq_u32_e64 s[6:7], 1, v18
	s_waitcnt lgkmcnt(1)
	v_cndmask_b32_e64 v17, v17, 0, s[6:7]
	s_waitcnt lgkmcnt(0)
	v_or_b32_e32 v15, v16, v15
	v_add_u32_e32 v14, v17, v14
	v_and_b32_e32 v15, 1, v15
	ds_write2_b32 v13, v14, v15 offset1:1
.LBB84_86:
	s_or_b64 exec, exec, s[8:9]
	;; [unrolled: 27-line block ×6, first 2 shown]
	v_add_u32_e32 v21, v19, v20
	v_cmp_gt_u32_e64 s[6:7], 2, v0
	v_lshl_add_u32 v21, v21, 3, 8
	s_waitcnt lgkmcnt(0)
	s_barrier
	s_and_saveexec_b64 s[8:9], s[6:7]
	s_cbranch_execz .LBB84_96
; %bb.95:
	ds_read_u8 v23, v21 offset:16388
	v_lshl_add_u32 v24, v2, 12, 8
	ds_read_b32 v25, v24 offset:12280
	ds_read_b32 v26, v21 offset:16384
	ds_read_u8 v24, v24 offset:12284
	v_add_u32_e32 v22, 0x4000, v21
	s_waitcnt lgkmcnt(3)
	v_and_b32_e32 v27, 1, v23
	v_cmp_eq_u32_e64 s[6:7], 1, v27
	s_waitcnt lgkmcnt(2)
	v_cndmask_b32_e64 v25, v25, 0, s[6:7]
	s_waitcnt lgkmcnt(0)
	v_or_b32_e32 v23, v24, v23
	v_add_u32_e32 v25, v25, v26
	v_and_b32_e32 v23, 1, v23
	ds_write2_b32 v22, v25, v23 offset1:1
.LBB84_96:
	s_or_b64 exec, exec, s[8:9]
	s_waitcnt lgkmcnt(0)
	s_barrier
	s_and_saveexec_b64 s[8:9], vcc
	s_cbranch_execz .LBB84_98
; %bb.97:
	v_mov_b32_e32 v24, 8
	s_movk_i32 s6, 0xf8
	ds_read_u8 v25, v24 offset:32764
	v_add_u32_e64 v22, s6, 8
	ds_read2st64_b32 v[22:23], v22 offset0:95 offset1:127
	ds_read_u8 v24, v24 offset:24572
	s_add_i32 s11, 8, 0x7ff8
	s_waitcnt lgkmcnt(2)
	v_and_b32_e32 v26, 1, v25
	v_cmp_eq_u32_e64 s[6:7], 1, v26
	s_waitcnt lgkmcnt(1)
	v_cndmask_b32_e64 v22, v22, 0, s[6:7]
	v_add_u32_e32 v22, v22, v23
	s_waitcnt lgkmcnt(0)
	v_or_b32_e32 v23, v24, v25
	v_and_b32_e32 v23, 1, v23
	v_mov_b32_e32 v24, s11
	ds_write2_b32 v24, v22, v23 offset1:1
.LBB84_98:
	s_or_b64 exec, exec, s[8:9]
	s_waitcnt lgkmcnt(0)
	s_barrier
	s_and_saveexec_b64 s[8:9], vcc
	s_cbranch_execz .LBB84_100
; %bb.99:
	v_mov_b32_e32 v22, 8
	ds_read_u8 v23, v22 offset:28668
	ds_read_b32 v22, v22 offset:28664
	ds_read_b32 v24, v21 offset:16384
	ds_read_u8 v21, v21 offset:16388
	s_add_i32 s11, 8, 0x6ff8
	s_waitcnt lgkmcnt(3)
	v_and_b32_e32 v25, 1, v23
	v_cmp_eq_u32_e64 s[6:7], 1, v25
	s_waitcnt lgkmcnt(1)
	v_cndmask_b32_e64 v24, v24, 0, s[6:7]
	s_waitcnt lgkmcnt(0)
	v_or_b32_e32 v21, v21, v23
	v_add_u32_e32 v22, v24, v22
	v_and_b32_e32 v21, 1, v21
	v_mov_b32_e32 v23, s11
	ds_write2_b32 v23, v22, v21 offset1:1
.LBB84_100:
	s_or_b64 exec, exec, s[8:9]
	v_cmp_gt_u32_e64 s[6:7], 3, v0
	s_waitcnt lgkmcnt(0)
	s_barrier
	s_and_saveexec_b64 s[8:9], s[6:7]
	s_cbranch_execz .LBB84_102
; %bb.101:
	v_lshl_add_u32 v20, v20, 3, s10
	ds_read_b32 v21, v20 offset:2040
	ds_read_u8 v22, v20 offset:2044
	v_lshl_add_u32 v19, v19, 3, s10
	ds_read_b32 v23, v19
	ds_read_u8 v19, v19 offset:4
	v_add_u32_e32 v20, 0x7f8, v20
	s_waitcnt lgkmcnt(2)
	v_and_b32_e32 v24, 1, v22
	v_cmp_eq_u32_e64 s[6:7], 1, v24
	s_waitcnt lgkmcnt(1)
	v_cndmask_b32_e64 v23, v23, 0, s[6:7]
	s_waitcnt lgkmcnt(0)
	v_or_b32_e32 v19, v19, v22
	v_add_u32_e32 v21, v23, v21
	v_and_b32_e32 v19, 1, v19
	ds_write2_b32 v20, v21, v19 offset1:1
.LBB84_102:
	s_or_b64 exec, exec, s[8:9]
	v_cmp_gt_u32_e64 s[6:7], 7, v0
	s_waitcnt lgkmcnt(0)
	s_barrier
	s_and_saveexec_b64 s[8:9], s[6:7]
	s_cbranch_execz .LBB84_104
; %bb.103:
	v_lshl_add_u32 v18, v18, 3, s10
	ds_read_u8 v19, v18 offset:1020
	v_lshl_add_u32 v17, v17, 3, s10
	ds_read_b32 v20, v17
	ds_read_b32 v21, v18 offset:1016
	ds_read_u8 v17, v17 offset:4
	s_waitcnt lgkmcnt(3)
	v_and_b32_e32 v22, 1, v19
	v_cmp_eq_u32_e64 s[6:7], 1, v22
	s_waitcnt lgkmcnt(2)
	v_cndmask_b32_e64 v20, v20, 0, s[6:7]
	s_waitcnt lgkmcnt(0)
	v_or_b32_e32 v17, v17, v19
	v_add_u32_e32 v20, v20, v21
	v_and_b32_e32 v17, 1, v17
	ds_write2_b32 v18, v20, v17 offset0:254 offset1:255
.LBB84_104:
	s_or_b64 exec, exec, s[8:9]
	v_cmp_gt_u32_e64 s[6:7], 15, v0
	s_waitcnt lgkmcnt(0)
	s_barrier
	s_and_saveexec_b64 s[8:9], s[6:7]
	s_cbranch_execz .LBB84_106
; %bb.105:
	v_lshl_add_u32 v16, v16, 3, s10
	ds_read_u8 v17, v16 offset:508
	v_lshl_add_u32 v15, v15, 3, s10
	ds_read_b32 v18, v15
	ds_read_b32 v19, v16 offset:504
	ds_read_u8 v15, v15 offset:4
	s_waitcnt lgkmcnt(3)
	v_and_b32_e32 v20, 1, v17
	v_cmp_eq_u32_e64 s[6:7], 1, v20
	s_waitcnt lgkmcnt(2)
	v_cndmask_b32_e64 v18, v18, 0, s[6:7]
	s_waitcnt lgkmcnt(0)
	v_or_b32_e32 v15, v15, v17
	v_add_u32_e32 v18, v18, v19
	v_and_b32_e32 v15, 1, v15
	ds_write2_b32 v16, v18, v15 offset0:126 offset1:127
.LBB84_106:
	s_or_b64 exec, exec, s[8:9]
	v_cmp_gt_u32_e64 s[6:7], 31, v0
	s_waitcnt lgkmcnt(0)
	s_barrier
	s_and_saveexec_b64 s[8:9], s[6:7]
	s_cbranch_execz .LBB84_108
; %bb.107:
	v_lshl_add_u32 v14, v14, 3, s10
	ds_read_u8 v15, v14 offset:252
	v_lshl_add_u32 v13, v13, 3, s10
	ds_read_b32 v16, v13
	ds_read_b32 v17, v14 offset:248
	ds_read_u8 v13, v13 offset:4
	s_waitcnt lgkmcnt(3)
	v_and_b32_e32 v18, 1, v15
	v_cmp_eq_u32_e64 s[6:7], 1, v18
	s_waitcnt lgkmcnt(2)
	v_cndmask_b32_e64 v16, v16, 0, s[6:7]
	s_waitcnt lgkmcnt(0)
	v_or_b32_e32 v13, v13, v15
	v_add_u32_e32 v16, v16, v17
	v_and_b32_e32 v13, 1, v13
	ds_write2_b32 v14, v16, v13 offset0:62 offset1:63
.LBB84_108:
	s_or_b64 exec, exec, s[8:9]
	v_cmp_gt_u32_e64 s[6:7], 63, v0
	s_waitcnt lgkmcnt(0)
	s_barrier
	s_and_saveexec_b64 s[8:9], s[6:7]
	s_cbranch_execz .LBB84_110
; %bb.109:
	v_lshl_add_u32 v12, v12, 3, s10
	ds_read_u8 v13, v12 offset:124
	v_lshl_add_u32 v11, v11, 3, s10
	ds_read_b32 v14, v11
	ds_read_b32 v15, v12 offset:120
	ds_read_u8 v11, v11 offset:4
	s_waitcnt lgkmcnt(3)
	v_and_b32_e32 v16, 1, v13
	v_cmp_eq_u32_e64 s[6:7], 1, v16
	s_waitcnt lgkmcnt(2)
	v_cndmask_b32_e64 v14, v14, 0, s[6:7]
	s_waitcnt lgkmcnt(0)
	v_or_b32_e32 v11, v11, v13
	v_add_u32_e32 v14, v14, v15
	v_and_b32_e32 v11, 1, v11
	ds_write2_b32 v12, v14, v11 offset0:30 offset1:31
.LBB84_110:
	s_or_b64 exec, exec, s[8:9]
	s_movk_i32 s6, 0x7f
	v_cmp_gt_u32_e64 s[6:7], s6, v0
	s_waitcnt lgkmcnt(0)
	s_barrier
	s_and_saveexec_b64 s[8:9], s[6:7]
	s_cbranch_execz .LBB84_112
; %bb.111:
	v_lshl_add_u32 v10, v10, 3, s10
	ds_read_u8 v11, v10 offset:60
	v_lshl_add_u32 v9, v9, 3, s10
	ds_read_b32 v12, v9
	ds_read_b32 v13, v10 offset:56
	ds_read_u8 v9, v9 offset:4
	s_waitcnt lgkmcnt(3)
	v_and_b32_e32 v14, 1, v11
	v_cmp_eq_u32_e64 s[6:7], 1, v14
	s_waitcnt lgkmcnt(2)
	v_cndmask_b32_e64 v12, v12, 0, s[6:7]
	s_waitcnt lgkmcnt(0)
	v_or_b32_e32 v9, v9, v11
	v_add_u32_e32 v12, v12, v13
	v_and_b32_e32 v9, 1, v9
	ds_write2_b32 v10, v12, v9 offset0:14 offset1:15
.LBB84_112:
	s_or_b64 exec, exec, s[8:9]
	s_movk_i32 s6, 0xff
	v_cmp_gt_u32_e64 s[6:7], s6, v0
	s_waitcnt lgkmcnt(0)
	s_barrier
	s_and_saveexec_b64 s[8:9], s[6:7]
	s_cbranch_execz .LBB84_114
; %bb.113:
	v_lshl_add_u32 v8, v8, 3, s10
	ds_read_u8 v9, v8 offset:28
	v_lshl_add_u32 v5, v5, 3, s10
	ds_read_b32 v10, v5
	ds_read_b32 v11, v8 offset:24
	ds_read_u8 v5, v5 offset:4
	s_waitcnt lgkmcnt(3)
	v_and_b32_e32 v12, 1, v9
	v_cmp_eq_u32_e64 s[6:7], 1, v12
	s_waitcnt lgkmcnt(2)
	v_cndmask_b32_e64 v10, v10, 0, s[6:7]
	s_waitcnt lgkmcnt(0)
	v_or_b32_e32 v5, v5, v9
	v_add_u32_e32 v10, v10, v11
	v_and_b32_e32 v5, 1, v5
	ds_write2_b32 v8, v10, v5 offset0:6 offset1:7
.LBB84_114:
	s_or_b64 exec, exec, s[8:9]
	s_movk_i32 s6, 0x1ff
	v_cmp_gt_u32_e64 s[6:7], s6, v0
	s_waitcnt lgkmcnt(0)
	s_barrier
	s_and_saveexec_b64 s[8:9], s[6:7]
	s_cbranch_execz .LBB84_116
; %bb.115:
	v_lshl_add_u32 v4, v4, 3, s10
	ds_read_u8 v5, v4 offset:12
	v_add_u32_e32 v8, -8, v4
	ds_read_b32 v9, v8
	ds_read_b32 v10, v4 offset:8
	ds_read_u8 v8, v8 offset:4
	s_waitcnt lgkmcnt(3)
	v_and_b32_e32 v11, 1, v5
	v_cmp_eq_u32_e64 s[6:7], 1, v11
	s_waitcnt lgkmcnt(2)
	v_cndmask_b32_e64 v9, v9, 0, s[6:7]
	s_waitcnt lgkmcnt(0)
	v_or_b32_e32 v5, v8, v5
	v_add_u32_e32 v9, v9, v10
	v_and_b32_e32 v5, 1, v5
	ds_write2_b32 v4, v9, v5 offset0:2 offset1:3
.LBB84_116:
	s_or_b64 exec, exec, s[8:9]
	s_waitcnt lgkmcnt(0)
	s_barrier
	s_and_saveexec_b64 s[6:7], s[2:3]
	s_cbranch_execz .LBB84_118
; %bb.117:
	v_lshl_add_u32 v2, v2, 3, 8
	ds_read_u8 v4, v2 offset:16388
	ds_read_b32 v5, v7 offset:8
	v_add_u32_e32 v8, 0x4000, v2
	ds_read_b32 v2, v2 offset:16384
	ds_read_u8 v9, v7 offset:12
	s_waitcnt lgkmcnt(3)
	v_and_b32_e32 v10, 1, v4
	v_cmp_eq_u32_e64 s[2:3], 1, v10
	s_waitcnt lgkmcnt(2)
	v_cndmask_b32_e64 v5, v5, 0, s[2:3]
	s_waitcnt lgkmcnt(0)
	v_or_b32_e32 v4, v9, v4
	v_add_u32_e32 v2, v5, v2
	v_and_b32_e32 v4, 1, v4
	ds_write2_b32 v8, v2, v4 offset1:1
.LBB84_118:
	s_or_b64 exec, exec, s[6:7]
	s_waitcnt lgkmcnt(0)
	s_barrier
	ds_read_b32 v3, v3 offset:16384
	ds_read_b32 v4, v7 offset:8
	v_mbcnt_lo_u32_b32 v8, -1, 0
	v_mbcnt_hi_u32_b32 v13, -1, v8
	v_and_b32_e32 v14, 63, v13
	v_or_b32_e32 v2, 1, v6
	v_cmp_gt_u32_e64 s[8:9], 32, v14
	v_cmp_gt_u32_e64 s[2:3], s16, v6
	;; [unrolled: 1-line block ×3, first 2 shown]
	v_cndmask_b32_e64 v8, 0, 1, s[8:9]
	s_waitcnt lgkmcnt(1)
	v_cndmask_b32_e64 v3, 0, v3, s[2:3]
	s_waitcnt lgkmcnt(0)
	v_cndmask_b32_e64 v4, 0, v4, s[6:7]
	v_lshlrev_b32_e32 v8, 5, v8
	v_cndmask_b32_e64 v5, 0, v6, s[2:3]
	v_max_u32_e32 v7, v4, v3
	v_add_lshl_u32 v8, v8, v13, 2
	v_cndmask_b32_e64 v9, 0, v2, s[6:7]
	v_cmp_gt_u32_e64 s[8:9], v4, v3
	ds_bpermute_b32 v10, v8, v7
	v_cndmask_b32_e64 v3, v5, v9, s[8:9]
	ds_bpermute_b32 v4, v8, v3
	v_cmp_gt_u32_e64 s[8:9], 48, v14
	v_cndmask_b32_e64 v9, 0, 1, s[8:9]
	v_lshlrev_b32_e32 v9, 4, v9
	s_waitcnt lgkmcnt(1)
	v_max_u32_e32 v5, v10, v7
	v_add_lshl_u32 v9, v9, v13, 2
	v_cmp_gt_u32_e64 s[8:9], v10, v7
	ds_bpermute_b32 v11, v9, v5
	s_waitcnt lgkmcnt(1)
	v_cndmask_b32_e64 v3, v3, v4, s[8:9]
	ds_bpermute_b32 v4, v9, v3
	v_cmp_gt_u32_e64 s[8:9], 56, v14
	v_cndmask_b32_e64 v10, 0, 1, s[8:9]
	v_lshlrev_b32_e32 v10, 3, v10
	s_waitcnt lgkmcnt(1)
	v_max_u32_e32 v7, v11, v5
	v_add_lshl_u32 v10, v10, v13, 2
	v_cmp_gt_u32_e64 s[8:9], v11, v5
	ds_bpermute_b32 v12, v10, v7
	s_waitcnt lgkmcnt(1)
	;; [unrolled: 11-line block ×4, first 2 shown]
	v_cndmask_b32_e64 v4, v3, v4, s[8:9]
	ds_bpermute_b32 v5, v12, v4
	s_waitcnt lgkmcnt(0)
	s_barrier
	v_cmp_gt_u32_e64 s[8:9], v16, v7
	v_max_u32_e32 v3, v16, v7
	v_cndmask_b32_e64 v4, v4, v5, s[8:9]
	v_cmp_ne_u32_e64 s[8:9], 63, v14
	v_addc_co_u32_e64 v5, s[8:9], 0, v13, s[8:9]
	v_lshlrev_b32_e32 v13, 2, v5
	ds_bpermute_b32 v5, v13, v4
	ds_bpermute_b32 v7, v13, v3
	v_cmp_eq_u32_e64 s[8:9], 0, v1
	s_waitcnt lgkmcnt(0)
	s_barrier
	s_and_saveexec_b64 s[12:13], s[8:9]
	s_cbranch_execz .LBB84_120
; %bb.119:
	v_lshrrev_b32_e32 v14, 3, v0
	v_add_u32_e32 v14, 8, v14
	v_cmp_gt_u32_e64 s[10:11], v7, v3
	v_add_u32_e32 v14, 0x4000, v14
	v_cndmask_b32_e64 v4, v4, v5, s[10:11]
	v_max_u32_e32 v3, v7, v3
	ds_write2_b32 v14, v3, v4 offset1:1
.LBB84_120:
	s_or_b64 exec, exec, s[12:13]
	s_lshr_b32 s10, s22, 6
	v_cmp_gt_u32_e64 s[10:11], s10, v0
	v_lshl_add_u32 v14, v1, 3, 8
	v_mov_b32_e32 v3, 0
	v_mov_b32_e32 v4, 0
	s_waitcnt lgkmcnt(0)
	s_barrier
	s_and_saveexec_b64 s[12:13], s[10:11]
	s_cbranch_execnz .LBB84_143
; %bb.121:
	s_or_b64 exec, exec, s[12:13]
	s_and_saveexec_b64 s[12:13], s[10:11]
	s_cbranch_execnz .LBB84_144
.LBB84_122:
	s_or_b64 exec, exec, s[12:13]
	s_and_saveexec_b64 s[22:23], s[0:1]
	s_cbranch_execnz .LBB84_145
.LBB84_123:
	s_or_b64 exec, exec, s[22:23]
	s_and_saveexec_b64 s[12:13], vcc
	s_cbranch_execz .LBB84_125
.LBB84_124:
	s_waitcnt lgkmcnt(0)
	v_lshl_add_u32 v3, v3, 3, 8
	ds_read_b64 v[4:5], v3
	v_mov_b32_e32 v3, 0
	s_waitcnt lgkmcnt(0)
	ds_write_b64 v3, v[4:5]
.LBB84_125:
	s_or_b64 exec, exec, s[12:13]
	s_mov_b32 s22, 0
	v_mov_b32_e32 v7, 0
	s_mov_b32 s23, s22
	v_cmp_gt_i64_e64 s[12:13], s[16:17], v[6:7]
	s_waitcnt lgkmcnt(0)
	v_pk_mov_b32 v[4:5], s[22:23], s[22:23] op_sel:[0,1]
	s_barrier
	s_and_saveexec_b64 s[22:23], s[12:13]
	s_cbranch_execz .LBB84_127
; %bb.126:
	v_add_u32_e32 v4, s19, v6
	v_mov_b32_e32 v5, v7
	v_lshlrev_b64 v[4:5], 3, v[4:5]
	v_mov_b32_e32 v3, s21
	v_add_co_u32_e64 v4, s[12:13], s20, v4
	v_addc_co_u32_e64 v5, s[12:13], v3, v5, s[12:13]
	global_load_dwordx2 v[4:5], v[4:5], off
	ds_read_b64 v[16:17], v7
	s_waitcnt vmcnt(0) lgkmcnt(0)
	v_cmp_eq_u64_e64 s[12:13], v[4:5], v[16:17]
	v_cndmask_b32_e64 v6, 0, v6, s[12:13]
	v_pk_mov_b32 v[4:5], v[6:7], v[6:7] op_sel:[0,1]
.LBB84_127:
	s_or_b64 exec, exec, s[22:23]
	v_mov_b32_e32 v3, v7
	v_cmp_gt_i64_e64 s[12:13], s[16:17], v[2:3]
	s_and_saveexec_b64 s[16:17], s[12:13]
	s_cbranch_execz .LBB84_129
; %bb.128:
	v_add_u32_e32 v6, s19, v2
	v_mov_b32_e32 v7, 0
	v_lshlrev_b64 v[16:17], 3, v[6:7]
	v_mov_b32_e32 v3, s21
	v_add_co_u32_e64 v16, s[12:13], s20, v16
	v_addc_co_u32_e64 v17, s[12:13], v3, v17, s[12:13]
	global_load_dwordx2 v[16:17], v[16:17], off
	ds_read_b64 v[6:7], v7
	s_waitcnt vmcnt(0) lgkmcnt(0)
	v_cmp_eq_u64_e64 s[12:13], v[16:17], v[6:7]
	v_cndmask_b32_e64 v5, 0, v2, s[12:13]
.LBB84_129:
	s_or_b64 exec, exec, s[16:17]
	v_cndmask_b32_e64 v2, 0, v4, s[2:3]
	v_cndmask_b32_e64 v3, 0, v5, s[6:7]
	v_max_u32_e32 v2, v3, v2
	ds_bpermute_b32 v3, v8, v2
	s_waitcnt lgkmcnt(0)
	s_barrier
	v_max_u32_e32 v2, v3, v2
	ds_bpermute_b32 v3, v9, v2
	s_waitcnt lgkmcnt(0)
	v_max_u32_e32 v2, v3, v2
	ds_bpermute_b32 v3, v10, v2
	s_waitcnt lgkmcnt(0)
	;; [unrolled: 3-line block ×4, first 2 shown]
	v_max_u32_e32 v2, v3, v2
	ds_bpermute_b32 v3, v13, v2
	s_and_saveexec_b64 s[2:3], s[8:9]
	s_cbranch_execz .LBB84_131
; %bb.130:
	v_lshrrev_b32_e32 v0, 4, v0
	v_add_u32_e32 v0, 8, v0
	s_waitcnt lgkmcnt(0)
	v_max_u32_e32 v2, v3, v2
	ds_write_b32 v0, v2
.LBB84_131:
	s_or_b64 exec, exec, s[2:3]
	v_mov_b32_e32 v0, 0
	s_waitcnt lgkmcnt(0)
	s_barrier
	s_and_saveexec_b64 s[2:3], s[10:11]
	s_cbranch_execnz .LBB84_146
; %bb.132:
	s_or_b64 exec, exec, s[2:3]
	s_and_saveexec_b64 s[2:3], s[0:1]
	s_cbranch_execnz .LBB84_147
.LBB84_133:
	s_or_b64 exec, exec, s[2:3]
	s_and_saveexec_b64 s[0:1], vcc
	s_cbranch_execnz .LBB84_148
.LBB84_134:
	s_endpgm
.LBB84_135:
	ds_read_u8 v7, v1 offset:16384
	s_andn2_b64 s[0:1], s[0:1], exec
	s_mov_b32 s6, 1
	s_waitcnt lgkmcnt(0)
	v_and_b32_e32 v7, 1, v7
	v_cmp_eq_u32_e32 vcc, 1, v7
	s_xor_b64 s[8:9], vcc, -1
	s_and_b64 s[8:9], s[8:9], exec
	s_or_b64 s[0:1], s[0:1], s[8:9]
	s_or_b64 exec, exec, s[2:3]
	v_mov_b32_e32 v7, s6
	s_and_saveexec_b64 s[2:3], s[0:1]
	s_cbranch_execz .LBB84_25
.LBB84_136:
	ds_read_u8 v7, v1 offset:17408
	s_waitcnt lgkmcnt(0)
	v_xor_b32_e32 v7, 1, v7
	s_or_b64 exec, exec, s[2:3]
	v_cmp_eq_u32_e32 vcc, 0, v7
	s_and_saveexec_b64 s[0:1], vcc
	s_cbranch_execnz .LBB84_26
	s_branch .LBB84_27
.LBB84_137:
	ds_read_u8 v9, v1 offset:16384
	s_andn2_b64 s[0:1], s[0:1], exec
	s_mov_b32 s6, 1
	s_waitcnt lgkmcnt(0)
	v_and_b32_e32 v9, 1, v9
	v_cmp_eq_u32_e32 vcc, 1, v9
	s_xor_b64 s[8:9], vcc, -1
	s_and_b64 s[8:9], s[8:9], exec
	s_or_b64 s[0:1], s[0:1], s[8:9]
	s_or_b64 exec, exec, s[2:3]
	v_mov_b32_e32 v9, s6
	s_and_saveexec_b64 s[2:3], s[0:1]
	s_cbranch_execz .LBB84_29
.LBB84_138:
	ds_read_u8 v9, v1 offset:16896
	s_waitcnt lgkmcnt(0)
	v_xor_b32_e32 v9, 1, v9
	s_or_b64 exec, exec, s[2:3]
	v_cmp_eq_u32_e32 vcc, 0, v9
	s_and_saveexec_b64 s[0:1], vcc
	s_cbranch_execnz .LBB84_30
	s_branch .LBB84_31
.LBB84_139:
	ds_read_u8 v9, v1 offset:16384
	s_andn2_b64 s[0:1], s[0:1], exec
	s_mov_b32 s6, 1
	s_waitcnt lgkmcnt(0)
	v_and_b32_e32 v9, 1, v9
	v_cmp_eq_u32_e32 vcc, 1, v9
	s_xor_b64 s[8:9], vcc, -1
	s_and_b64 s[8:9], s[8:9], exec
	s_or_b64 s[0:1], s[0:1], s[8:9]
	s_or_b64 exec, exec, s[2:3]
	v_mov_b32_e32 v9, s6
	s_and_saveexec_b64 s[2:3], s[0:1]
	s_cbranch_execz .LBB84_33
.LBB84_140:
	ds_read_u8 v9, v1 offset:16640
	s_waitcnt lgkmcnt(0)
	v_xor_b32_e32 v9, 1, v9
	s_or_b64 exec, exec, s[2:3]
	v_cmp_eq_u32_e32 vcc, 0, v9
	s_and_saveexec_b64 s[0:1], vcc
	s_cbranch_execnz .LBB84_34
	s_branch .LBB84_35
.LBB84_141:
	ds_read_u8 v9, v1 offset:16384
	s_andn2_b64 s[0:1], s[0:1], exec
	s_mov_b32 s6, 1
	s_waitcnt lgkmcnt(0)
	v_and_b32_e32 v9, 1, v9
	v_cmp_eq_u32_e32 vcc, 1, v9
	s_xor_b64 s[8:9], vcc, -1
	s_and_b64 s[8:9], s[8:9], exec
	s_or_b64 s[0:1], s[0:1], s[8:9]
	s_or_b64 exec, exec, s[2:3]
	v_mov_b32_e32 v9, s6
	s_and_saveexec_b64 s[2:3], s[0:1]
	s_cbranch_execz .LBB84_37
.LBB84_142:
	ds_read_u8 v9, v1 offset:16512
	s_waitcnt lgkmcnt(0)
	v_xor_b32_e32 v9, 1, v9
	s_or_b64 exec, exec, s[2:3]
	v_cmp_eq_u32_e32 vcc, 0, v9
	s_and_saveexec_b64 s[0:1], vcc
	s_cbranch_execnz .LBB84_38
	s_branch .LBB84_39
.LBB84_143:
	ds_read_b32 v4, v14 offset:16384
	s_or_b64 exec, exec, s[12:13]
	s_and_saveexec_b64 s[12:13], s[10:11]
	s_cbranch_execz .LBB84_122
.LBB84_144:
	ds_read_b32 v3, v14 offset:16388
	s_or_b64 exec, exec, s[12:13]
	s_and_saveexec_b64 s[22:23], s[0:1]
	s_cbranch_execz .LBB84_123
.LBB84_145:
	s_waitcnt lgkmcnt(0)
	ds_bpermute_b32 v5, v8, v4
	ds_bpermute_b32 v7, v8, v3
	s_waitcnt lgkmcnt(1)
	v_max_u32_e32 v15, v5, v4
	v_cmp_gt_u32_e64 s[12:13], v5, v4
	ds_bpermute_b32 v16, v9, v15
	s_waitcnt lgkmcnt(1)
	v_cndmask_b32_e64 v3, v3, v7, s[12:13]
	ds_bpermute_b32 v4, v9, v3
	s_waitcnt lgkmcnt(1)
	v_max_u32_e32 v5, v16, v15
	v_cmp_gt_u32_e64 s[12:13], v16, v15
	ds_bpermute_b32 v7, v10, v5
	s_waitcnt lgkmcnt(1)
	v_cndmask_b32_e64 v3, v3, v4, s[12:13]
	;; [unrolled: 7-line block ×4, first 2 shown]
	ds_bpermute_b32 v4, v12, v3
	s_waitcnt lgkmcnt(1)
	v_max_u32_e32 v15, v7, v5
	v_cmp_gt_u32_e64 s[12:13], v7, v5
	s_waitcnt lgkmcnt(0)
	v_cndmask_b32_e64 v3, v3, v4, s[12:13]
	ds_bpermute_b32 v4, v13, v15
	ds_bpermute_b32 v5, v13, v3
	s_waitcnt lgkmcnt(1)
	v_cmp_gt_u32_e64 s[12:13], v4, v15
	s_waitcnt lgkmcnt(0)
	v_cndmask_b32_e64 v3, v3, v5, s[12:13]
	s_or_b64 exec, exec, s[22:23]
	s_and_saveexec_b64 s[12:13], vcc
	s_cbranch_execnz .LBB84_124
	s_branch .LBB84_125
.LBB84_146:
	v_lshlrev_b32_e32 v0, 2, v1
	v_sub_u32_e32 v0, v14, v0
	ds_read_b32 v0, v0
	s_or_b64 exec, exec, s[2:3]
	s_and_saveexec_b64 s[2:3], s[0:1]
	s_cbranch_execz .LBB84_133
.LBB84_147:
	s_waitcnt lgkmcnt(0)
	ds_bpermute_b32 v1, v8, v0
	s_waitcnt lgkmcnt(0)
	v_max_u32_e32 v0, v1, v0
	ds_bpermute_b32 v1, v9, v0
	s_waitcnt lgkmcnt(0)
	v_max_u32_e32 v0, v1, v0
	;; [unrolled: 3-line block ×6, first 2 shown]
	s_or_b64 exec, exec, s[2:3]
	s_and_saveexec_b64 s[0:1], vcc
	s_cbranch_execz .LBB84_134
.LBB84_148:
	s_load_dword s2, s[4:5], 0xd8
	s_add_u32 s0, s4, 8
	s_addc_u32 s1, s5, 0
	s_mov_b32 s3, 0
	s_waitcnt lgkmcnt(0)
	s_cmp_lt_i32 s2, 2
	s_cbranch_scc1 .LBB84_151
; %bb.149:
	s_add_i32 s6, s2, 1
	s_add_i32 s2, s2, -1
	s_lshl_b64 s[4:5], s[2:3], 2
	s_add_u32 s2, s4, s0
	s_addc_u32 s5, s5, s1
	s_add_u32 s4, s2, 8
	s_addc_u32 s5, s5, 0
.LBB84_150:                             ; =>This Inner Loop Header: Depth=1
	s_load_dword s2, s[4:5], 0x0
	s_load_dword s8, s[4:5], 0x64
	s_mov_b32 s7, s18
	s_waitcnt lgkmcnt(0)
	v_cvt_f32_u32_e32 v1, s2
	s_sub_i32 s9, 0, s2
	v_rcp_iflag_f32_e32 v1, v1
	v_mul_f32_e32 v1, 0x4f7ffffe, v1
	v_cvt_u32_f32_e32 v1, v1
	v_readfirstlane_b32 s10, v1
	s_mul_i32 s9, s9, s10
	s_mul_hi_u32 s9, s10, s9
	s_add_i32 s10, s10, s9
	s_mul_hi_u32 s9, s18, s10
	s_mul_i32 s10, s9, s2
	s_sub_i32 s10, s18, s10
	s_add_i32 s11, s9, 1
	s_sub_i32 s12, s10, s2
	s_cmp_ge_u32 s10, s2
	s_cselect_b32 s9, s11, s9
	s_cselect_b32 s10, s12, s10
	s_add_i32 s11, s9, 1
	s_cmp_ge_u32 s10, s2
	s_cselect_b32 s18, s11, s9
	s_mul_i32 s2, s18, s2
	s_sub_i32 s2, s7, s2
	s_mul_i32 s2, s8, s2
	s_add_i32 s6, s6, -1
	s_add_i32 s3, s2, s3
	s_add_u32 s4, s4, -4
	s_addc_u32 s5, s5, -1
	s_cmp_gt_u32 s6, 2
	s_cbranch_scc1 .LBB84_150
.LBB84_151:
	s_load_dword s2, s[0:1], 0x6c
	v_mov_b32_e32 v1, 0
	s_load_dwordx2 s[0:1], s[0:1], 0x0
	ds_read_b64 v[2:3], v1
	s_mov_b32 s5, 0
	s_waitcnt lgkmcnt(0)
	s_mul_i32 s2, s2, s18
	s_add_i32 s4, s2, s3
	s_lshl_b64 s[2:3], s[4:5], 3
	s_add_u32 s0, s0, s2
	s_addc_u32 s1, s1, s3
	global_store_dwordx2 v1, v[2:3], s[0:1]
	s_add_u32 s0, s14, s2
	s_addc_u32 s1, s15, s3
	global_store_dwordx2 v1, v[0:1], s[0:1]
	s_endpgm
	.section	.rodata,"a",@progbits
	.p2align	6, 0x0
	.amdhsa_kernel _ZN2at6native12compute_modeIlLj2048EEEvPKT_NS_4cuda6detail10TensorInfoIS2_jEENS7_IljEEll
		.amdhsa_group_segment_fixed_size 8
		.amdhsa_private_segment_fixed_size 0
		.amdhsa_kernarg_size 712
		.amdhsa_user_sgpr_count 6
		.amdhsa_user_sgpr_private_segment_buffer 1
		.amdhsa_user_sgpr_dispatch_ptr 0
		.amdhsa_user_sgpr_queue_ptr 0
		.amdhsa_user_sgpr_kernarg_segment_ptr 1
		.amdhsa_user_sgpr_dispatch_id 0
		.amdhsa_user_sgpr_flat_scratch_init 0
		.amdhsa_user_sgpr_kernarg_preload_length 0
		.amdhsa_user_sgpr_kernarg_preload_offset 0
		.amdhsa_user_sgpr_private_segment_size 0
		.amdhsa_uses_dynamic_stack 0
		.amdhsa_system_sgpr_private_segment_wavefront_offset 0
		.amdhsa_system_sgpr_workgroup_id_x 1
		.amdhsa_system_sgpr_workgroup_id_y 1
		.amdhsa_system_sgpr_workgroup_id_z 1
		.amdhsa_system_sgpr_workgroup_info 0
		.amdhsa_system_vgpr_workitem_id 0
		.amdhsa_next_free_vgpr 28
		.amdhsa_next_free_sgpr 24
		.amdhsa_accum_offset 28
		.amdhsa_reserve_vcc 1
		.amdhsa_reserve_flat_scratch 0
		.amdhsa_float_round_mode_32 0
		.amdhsa_float_round_mode_16_64 0
		.amdhsa_float_denorm_mode_32 3
		.amdhsa_float_denorm_mode_16_64 3
		.amdhsa_dx10_clamp 1
		.amdhsa_ieee_mode 1
		.amdhsa_fp16_overflow 0
		.amdhsa_tg_split 0
		.amdhsa_exception_fp_ieee_invalid_op 0
		.amdhsa_exception_fp_denorm_src 0
		.amdhsa_exception_fp_ieee_div_zero 0
		.amdhsa_exception_fp_ieee_overflow 0
		.amdhsa_exception_fp_ieee_underflow 0
		.amdhsa_exception_fp_ieee_inexact 0
		.amdhsa_exception_int_div_zero 0
	.end_amdhsa_kernel
	.section	.text._ZN2at6native12compute_modeIlLj2048EEEvPKT_NS_4cuda6detail10TensorInfoIS2_jEENS7_IljEEll,"axG",@progbits,_ZN2at6native12compute_modeIlLj2048EEEvPKT_NS_4cuda6detail10TensorInfoIS2_jEENS7_IljEEll,comdat
.Lfunc_end84:
	.size	_ZN2at6native12compute_modeIlLj2048EEEvPKT_NS_4cuda6detail10TensorInfoIS2_jEENS7_IljEEll, .Lfunc_end84-_ZN2at6native12compute_modeIlLj2048EEEvPKT_NS_4cuda6detail10TensorInfoIS2_jEENS7_IljEEll
                                        ; -- End function
	.section	.AMDGPU.csdata,"",@progbits
; Kernel info:
; codeLenInByte = 8268
; NumSgprs: 28
; NumVgprs: 28
; NumAgprs: 0
; TotalNumVgprs: 28
; ScratchSize: 0
; MemoryBound: 0
; FloatMode: 240
; IeeeMode: 1
; LDSByteSize: 8 bytes/workgroup (compile time only)
; SGPRBlocks: 3
; VGPRBlocks: 3
; NumSGPRsForWavesPerEU: 28
; NumVGPRsForWavesPerEU: 28
; AccumOffset: 28
; Occupancy: 8
; WaveLimiterHint : 1
; COMPUTE_PGM_RSRC2:SCRATCH_EN: 0
; COMPUTE_PGM_RSRC2:USER_SGPR: 6
; COMPUTE_PGM_RSRC2:TRAP_HANDLER: 0
; COMPUTE_PGM_RSRC2:TGID_X_EN: 1
; COMPUTE_PGM_RSRC2:TGID_Y_EN: 1
; COMPUTE_PGM_RSRC2:TGID_Z_EN: 1
; COMPUTE_PGM_RSRC2:TIDIG_COMP_CNT: 0
; COMPUTE_PGM_RSRC3_GFX90A:ACCUM_OFFSET: 6
; COMPUTE_PGM_RSRC3_GFX90A:TG_SPLIT: 0
	.section	.text._ZN2at6native12compute_modeIlLj1024EEEvPKT_NS_4cuda6detail10TensorInfoIS2_jEENS7_IljEEll,"axG",@progbits,_ZN2at6native12compute_modeIlLj1024EEEvPKT_NS_4cuda6detail10TensorInfoIS2_jEENS7_IljEEll,comdat
	.protected	_ZN2at6native12compute_modeIlLj1024EEEvPKT_NS_4cuda6detail10TensorInfoIS2_jEENS7_IljEEll ; -- Begin function _ZN2at6native12compute_modeIlLj1024EEEvPKT_NS_4cuda6detail10TensorInfoIS2_jEENS7_IljEEll
	.globl	_ZN2at6native12compute_modeIlLj1024EEEvPKT_NS_4cuda6detail10TensorInfoIS2_jEENS7_IljEEll
	.p2align	8
	.type	_ZN2at6native12compute_modeIlLj1024EEEvPKT_NS_4cuda6detail10TensorInfoIS2_jEENS7_IljEEll,@function
_ZN2at6native12compute_modeIlLj1024EEEvPKT_NS_4cuda6detail10TensorInfoIS2_jEENS7_IljEEll: ; @_ZN2at6native12compute_modeIlLj1024EEEvPKT_NS_4cuda6detail10TensorInfoIS2_jEENS7_IljEEll
; %bb.0:
	s_load_dwordx4 s[16:19], s[4:5], 0x1b8
	s_load_dwordx2 s[2:3], s[4:5], 0x1c8
	s_add_u32 s0, s4, 0x1c8
	s_addc_u32 s1, s5, 0
	s_mov_b32 s15, 0
	s_waitcnt lgkmcnt(0)
	v_mov_b32_e32 v2, s18
	s_mul_i32 s3, s3, s8
	s_add_i32 s3, s3, s7
	s_mul_i32 s2, s3, s2
	v_mov_b32_e32 v3, s19
	s_add_i32 s14, s2, s6
	v_cmp_ge_i64_e32 vcc, s[14:15], v[2:3]
	s_cbranch_vccnz .LBB85_308
; %bb.1:
	s_load_dwordx2 s[18:19], s[4:5], 0x0
	s_load_dword s6, s[0:1], 0xc
	v_mov_b32_e32 v3, 0
	v_mov_b32_e32 v1, v3
	s_mul_i32 s15, s14, s16
	v_cmp_gt_i64_e32 vcc, s[16:17], v[0:1]
	s_and_saveexec_b64 s[2:3], vcc
	s_cbranch_execz .LBB85_3
; %bb.2:
	v_add_u32_e32 v2, s15, v0
	v_lshlrev_b64 v[4:5], 3, v[2:3]
	s_waitcnt lgkmcnt(0)
	v_mov_b32_e32 v1, s19
	v_add_co_u32_e64 v4, s[0:1], s18, v4
	v_addc_co_u32_e64 v5, s[0:1], v1, v5, s[0:1]
	global_load_dwordx2 v[4:5], v[4:5], off
	v_lshl_add_u32 v1, v0, 3, 8
	s_waitcnt vmcnt(0)
	ds_write_b64 v1, v[4:5]
.LBB85_3:
	s_or_b64 exec, exec, s[2:3]
	s_waitcnt lgkmcnt(0)
	s_and_b32 s20, 0xffff, s6
	v_add_u32_e32 v2, s20, v0
	v_cmp_gt_i64_e64 s[0:1], s[16:17], v[2:3]
	s_and_saveexec_b64 s[6:7], s[0:1]
	s_cbranch_execz .LBB85_5
; %bb.4:
	v_add_u32_e32 v4, s15, v2
	v_mov_b32_e32 v5, 0
	v_lshlrev_b64 v[4:5], 3, v[4:5]
	v_mov_b32_e32 v1, s19
	v_add_co_u32_e64 v4, s[2:3], s18, v4
	v_addc_co_u32_e64 v5, s[2:3], v1, v5, s[2:3]
	global_load_dwordx2 v[4:5], v[4:5], off
	v_lshl_add_u32 v1, v2, 3, 8
	s_waitcnt vmcnt(0)
	ds_write_b64 v1, v[4:5]
.LBB85_5:
	s_or_b64 exec, exec, s[6:7]
	v_add_u32_e32 v1, 8, v0
	v_cndmask_b32_e64 v2, 0, 1, vcc
	ds_write_b8 v1, v2 offset:8192
	v_add_u32_e32 v2, s20, v1
	v_cndmask_b32_e64 v3, 0, 1, s[0:1]
	v_mad_u32_u24 v1, v0, 15, v1
	ds_write_b8 v2, v3 offset:8192
	s_waitcnt lgkmcnt(0)
	s_barrier
	s_barrier
	ds_read2_b64 v[2:5], v1 offset1:1
	s_mov_b32 s6, 1
	v_mad_i32_i24 v7, v0, -14, v1
	s_waitcnt lgkmcnt(0)
	v_cmp_ge_i64_e64 s[0:1], v[2:3], v[4:5]
	v_cmp_lt_i64_e32 vcc, v[2:3], v[4:5]
	s_and_saveexec_b64 s[2:3], vcc
	s_cbranch_execz .LBB85_7
; %bb.6:
	ds_read_u8 v6, v7 offset:8192
	s_andn2_b64 s[0:1], s[0:1], exec
	s_waitcnt lgkmcnt(0)
	v_and_b32_e32 v6, 1, v6
	v_cmp_eq_u32_e32 vcc, 1, v6
	s_xor_b64 s[8:9], vcc, -1
	s_and_b64 s[8:9], s[8:9], exec
	s_or_b64 s[0:1], s[0:1], s[8:9]
.LBB85_7:
	s_or_b64 exec, exec, s[2:3]
	v_lshlrev_b32_e32 v6, 1, v0
	v_mov_b32_e32 v11, s6
	v_add_u32_e32 v8, 8, v6
	s_and_saveexec_b64 s[2:3], s[0:1]
	s_cbranch_execz .LBB85_9
; %bb.8:
	ds_read_u8 v9, v8 offset:8193
	s_waitcnt lgkmcnt(0)
	v_xor_b32_e32 v11, 1, v9
.LBB85_9:
	s_or_b64 exec, exec, s[2:3]
	v_and_b32_e32 v10, 1, v0
	v_mul_u32_u24_e32 v9, 14, v0
	v_cmp_eq_u32_e32 vcc, v11, v10
	s_and_saveexec_b64 s[0:1], vcc
	s_cbranch_execz .LBB85_11
; %bb.10:
	ds_read_u8 v11, v8 offset:8193
	ds_read_u8 v12, v7 offset:8192
	ds_write_b64 v1, v[4:5]
	v_add_u32_e32 v4, v7, v9
	ds_write_b64 v4, v[2:3] offset:8
	s_waitcnt lgkmcnt(3)
	ds_write_b8 v7, v11 offset:8192
	s_waitcnt lgkmcnt(3)
	ds_write_b8 v8, v12 offset:8193
.LBB85_11:
	s_or_b64 exec, exec, s[0:1]
	v_sub_u32_e32 v12, v6, v10
	v_add_u32_e32 v10, 8, v12
	v_lshl_add_u32 v11, v12, 3, 8
	v_mad_i32_i24 v4, v12, 7, v10
	s_waitcnt lgkmcnt(0)
	s_barrier
	ds_read_b64 v[2:3], v11
	ds_read_b64 v[4:5], v4 offset:16
	s_mov_b64 s[0:1], -1
                                        ; implicit-def: $sgpr6
	s_waitcnt lgkmcnt(0)
	v_cmp_lt_i64_e32 vcc, v[2:3], v[4:5]
	s_and_saveexec_b64 s[2:3], vcc
	s_xor_b64 s[2:3], exec, s[2:3]
	s_cbranch_execz .LBB85_13
; %bb.12:
	ds_read_u8 v13, v10 offset:8192
	s_mov_b32 s6, 1
	s_waitcnt lgkmcnt(0)
	v_and_b32_e32 v13, 1, v13
	v_cmp_eq_u32_e32 vcc, 1, v13
	s_xor_b64 s[0:1], vcc, -1
	s_orn2_b64 s[0:1], s[0:1], exec
.LBB85_13:
	s_or_b64 exec, exec, s[2:3]
	v_mul_i32_i24_e32 v12, 7, v12
	v_mov_b32_e32 v14, s6
	s_and_saveexec_b64 s[2:3], s[0:1]
	s_cbranch_execz .LBB85_15
; %bb.14:
	ds_read_u8 v13, v10 offset:8194
	s_waitcnt lgkmcnt(0)
	v_xor_b32_e32 v14, 1, v13
.LBB85_15:
	s_or_b64 exec, exec, s[2:3]
	v_bfe_u32 v13, v0, 1, 1
	v_cmp_eq_u32_e32 vcc, v14, v13
	v_add_u32_e32 v12, v10, v12
	s_and_saveexec_b64 s[0:1], vcc
	s_cbranch_execz .LBB85_17
; %bb.16:
	ds_read_u8 v14, v10 offset:8194
	ds_read_u8 v15, v10 offset:8192
	ds_write_b64 v11, v[4:5]
	ds_write_b64 v12, v[2:3] offset:16
	s_waitcnt lgkmcnt(3)
	ds_write_b8 v10, v14 offset:8192
	s_waitcnt lgkmcnt(3)
	ds_write_b8 v10, v15 offset:8194
.LBB85_17:
	s_or_b64 exec, exec, s[0:1]
	s_waitcnt lgkmcnt(0)
	s_barrier
	ds_read2_b64 v[2:5], v1 offset1:1
                                        ; implicit-def: $sgpr6
	s_waitcnt lgkmcnt(0)
	v_cmp_ge_i64_e64 s[0:1], v[2:3], v[4:5]
	v_cmp_lt_i64_e32 vcc, v[2:3], v[4:5]
	s_and_saveexec_b64 s[2:3], vcc
	s_cbranch_execnz .LBB85_309
; %bb.18:
	s_or_b64 exec, exec, s[2:3]
	v_mov_b32_e32 v14, s6
	s_and_saveexec_b64 s[2:3], s[0:1]
	s_cbranch_execnz .LBB85_310
.LBB85_19:
	s_or_b64 exec, exec, s[2:3]
	v_cmp_eq_u32_e32 vcc, v14, v13
	s_and_saveexec_b64 s[0:1], vcc
	s_cbranch_execz .LBB85_21
.LBB85_20:
	ds_read_u8 v13, v8 offset:8193
	ds_read_u8 v14, v7 offset:8192
	ds_write_b64 v1, v[4:5]
	v_add_u32_e32 v4, v7, v9
	ds_write_b64 v4, v[2:3] offset:8
	s_waitcnt lgkmcnt(3)
	ds_write_b8 v7, v13 offset:8192
	s_waitcnt lgkmcnt(3)
	ds_write_b8 v8, v14 offset:8193
.LBB85_21:
	s_or_b64 exec, exec, s[0:1]
	v_and_b32_e32 v2, 3, v0
	v_sub_u32_e32 v15, v6, v2
	v_add_u32_e32 v13, 8, v15
	v_lshl_add_u32 v14, v15, 3, 8
	v_mad_i32_i24 v4, v15, 7, v13
	s_waitcnt lgkmcnt(0)
	s_barrier
	ds_read_b64 v[2:3], v14
	ds_read_b64 v[4:5], v4 offset:32
                                        ; implicit-def: $sgpr6
	s_waitcnt lgkmcnt(0)
	v_cmp_ge_i64_e64 s[0:1], v[2:3], v[4:5]
	v_cmp_lt_i64_e32 vcc, v[2:3], v[4:5]
	s_and_saveexec_b64 s[2:3], vcc
	s_cbranch_execz .LBB85_23
; %bb.22:
	ds_read_u8 v16, v13 offset:8192
	s_andn2_b64 s[0:1], s[0:1], exec
	s_mov_b32 s6, 1
	s_waitcnt lgkmcnt(0)
	v_and_b32_e32 v16, 1, v16
	v_cmp_eq_u32_e32 vcc, 1, v16
	s_xor_b64 s[8:9], vcc, -1
	s_and_b64 s[8:9], s[8:9], exec
	s_or_b64 s[0:1], s[0:1], s[8:9]
.LBB85_23:
	s_or_b64 exec, exec, s[2:3]
	v_mul_i32_i24_e32 v15, 7, v15
	v_mov_b32_e32 v17, s6
	s_and_saveexec_b64 s[2:3], s[0:1]
	s_cbranch_execz .LBB85_25
; %bb.24:
	ds_read_u8 v16, v13 offset:8196
	s_waitcnt lgkmcnt(0)
	v_xor_b32_e32 v17, 1, v16
.LBB85_25:
	s_or_b64 exec, exec, s[2:3]
	v_bfe_u32 v16, v0, 2, 1
	v_cmp_eq_u32_e32 vcc, v17, v16
	v_add_u32_e32 v15, v13, v15
	s_and_saveexec_b64 s[0:1], vcc
	s_cbranch_execz .LBB85_27
; %bb.26:
	ds_read_u8 v17, v13 offset:8196
	ds_read_u8 v18, v13 offset:8192
	ds_write_b64 v14, v[4:5]
	ds_write_b64 v15, v[2:3] offset:32
	s_waitcnt lgkmcnt(3)
	ds_write_b8 v13, v17 offset:8192
	s_waitcnt lgkmcnt(3)
	ds_write_b8 v13, v18 offset:8196
.LBB85_27:
	s_or_b64 exec, exec, s[0:1]
	s_waitcnt lgkmcnt(0)
	s_barrier
	ds_read_b64 v[2:3], v11
	ds_read_b64 v[4:5], v12 offset:16
                                        ; implicit-def: $sgpr6
	s_waitcnt lgkmcnt(0)
	v_cmp_ge_i64_e64 s[0:1], v[2:3], v[4:5]
	v_cmp_lt_i64_e32 vcc, v[2:3], v[4:5]
	s_and_saveexec_b64 s[2:3], vcc
	s_cbranch_execnz .LBB85_311
; %bb.28:
	s_or_b64 exec, exec, s[2:3]
	v_mov_b32_e32 v17, s6
	s_and_saveexec_b64 s[2:3], s[0:1]
	s_cbranch_execnz .LBB85_312
.LBB85_29:
	s_or_b64 exec, exec, s[2:3]
	v_cmp_eq_u32_e32 vcc, v17, v16
	s_and_saveexec_b64 s[0:1], vcc
	s_cbranch_execz .LBB85_31
.LBB85_30:
	ds_read_u8 v17, v10 offset:8194
	ds_read_u8 v18, v10 offset:8192
	ds_write_b64 v11, v[4:5]
	ds_write_b64 v12, v[2:3] offset:16
	s_waitcnt lgkmcnt(3)
	ds_write_b8 v10, v17 offset:8192
	s_waitcnt lgkmcnt(3)
	ds_write_b8 v10, v18 offset:8194
.LBB85_31:
	s_or_b64 exec, exec, s[0:1]
	s_waitcnt lgkmcnt(0)
	s_barrier
	ds_read2_b64 v[2:5], v1 offset1:1
                                        ; implicit-def: $sgpr6
	s_waitcnt lgkmcnt(0)
	v_cmp_ge_i64_e64 s[0:1], v[2:3], v[4:5]
	v_cmp_lt_i64_e32 vcc, v[2:3], v[4:5]
	s_and_saveexec_b64 s[2:3], vcc
	s_cbranch_execnz .LBB85_313
; %bb.32:
	s_or_b64 exec, exec, s[2:3]
	v_mov_b32_e32 v17, s6
	s_and_saveexec_b64 s[2:3], s[0:1]
	s_cbranch_execnz .LBB85_314
.LBB85_33:
	s_or_b64 exec, exec, s[2:3]
	v_cmp_eq_u32_e32 vcc, v17, v16
	s_and_saveexec_b64 s[0:1], vcc
	s_cbranch_execz .LBB85_35
.LBB85_34:
	ds_read_u8 v16, v8 offset:8193
	ds_read_u8 v17, v7 offset:8192
	ds_write_b64 v1, v[4:5]
	v_add_u32_e32 v4, v7, v9
	ds_write_b64 v4, v[2:3] offset:8
	s_waitcnt lgkmcnt(3)
	ds_write_b8 v7, v16 offset:8192
	s_waitcnt lgkmcnt(3)
	ds_write_b8 v8, v17 offset:8193
.LBB85_35:
	s_or_b64 exec, exec, s[0:1]
	v_and_b32_e32 v2, 7, v0
	v_sub_u32_e32 v16, v6, v2
	v_add_u32_e32 v17, 8, v16
	v_lshl_add_u32 v18, v16, 3, 8
	v_mad_i32_i24 v4, v16, 7, v17
	s_waitcnt lgkmcnt(0)
	s_barrier
	ds_read_b64 v[2:3], v18
	ds_read_b64 v[4:5], v4 offset:64
                                        ; implicit-def: $sgpr6
	s_waitcnt lgkmcnt(0)
	v_cmp_ge_i64_e64 s[0:1], v[2:3], v[4:5]
	v_cmp_lt_i64_e32 vcc, v[2:3], v[4:5]
	s_and_saveexec_b64 s[2:3], vcc
	s_cbranch_execz .LBB85_37
; %bb.36:
	ds_read_u8 v19, v17 offset:8192
	s_andn2_b64 s[0:1], s[0:1], exec
	s_mov_b32 s6, 1
	s_waitcnt lgkmcnt(0)
	v_and_b32_e32 v19, 1, v19
	v_cmp_eq_u32_e32 vcc, 1, v19
	s_xor_b64 s[8:9], vcc, -1
	s_and_b64 s[8:9], s[8:9], exec
	s_or_b64 s[0:1], s[0:1], s[8:9]
.LBB85_37:
	s_or_b64 exec, exec, s[2:3]
	v_mul_i32_i24_e32 v19, 7, v16
	v_mov_b32_e32 v20, s6
	s_and_saveexec_b64 s[2:3], s[0:1]
	s_cbranch_execz .LBB85_39
; %bb.38:
	ds_read_u8 v16, v17 offset:8200
	s_waitcnt lgkmcnt(0)
	v_xor_b32_e32 v20, 1, v16
.LBB85_39:
	s_or_b64 exec, exec, s[2:3]
	v_bfe_u32 v16, v0, 3, 1
	v_cmp_eq_u32_e32 vcc, v20, v16
	v_add_u32_e32 v19, v17, v19
	s_and_saveexec_b64 s[0:1], vcc
	s_cbranch_execz .LBB85_41
; %bb.40:
	ds_read_u8 v20, v17 offset:8200
	ds_read_u8 v21, v17 offset:8192
	ds_write_b64 v18, v[4:5]
	ds_write_b64 v19, v[2:3] offset:64
	s_waitcnt lgkmcnt(3)
	ds_write_b8 v17, v20 offset:8192
	s_waitcnt lgkmcnt(3)
	ds_write_b8 v17, v21 offset:8200
.LBB85_41:
	s_or_b64 exec, exec, s[0:1]
	s_waitcnt lgkmcnt(0)
	s_barrier
	ds_read_b64 v[2:3], v14
	ds_read_b64 v[4:5], v15 offset:32
                                        ; implicit-def: $sgpr6
	s_waitcnt lgkmcnt(0)
	v_cmp_ge_i64_e64 s[0:1], v[2:3], v[4:5]
	v_cmp_lt_i64_e32 vcc, v[2:3], v[4:5]
	s_and_saveexec_b64 s[2:3], vcc
	s_cbranch_execnz .LBB85_315
; %bb.42:
	s_or_b64 exec, exec, s[2:3]
	v_mov_b32_e32 v20, s6
	s_and_saveexec_b64 s[2:3], s[0:1]
	s_cbranch_execnz .LBB85_316
.LBB85_43:
	s_or_b64 exec, exec, s[2:3]
	v_cmp_eq_u32_e32 vcc, v20, v16
	s_and_saveexec_b64 s[0:1], vcc
	s_cbranch_execz .LBB85_45
.LBB85_44:
	ds_read_u8 v20, v13 offset:8196
	ds_read_u8 v21, v13 offset:8192
	ds_write_b64 v14, v[4:5]
	ds_write_b64 v15, v[2:3] offset:32
	s_waitcnt lgkmcnt(3)
	ds_write_b8 v13, v20 offset:8192
	s_waitcnt lgkmcnt(3)
	ds_write_b8 v13, v21 offset:8196
.LBB85_45:
	s_or_b64 exec, exec, s[0:1]
	s_waitcnt lgkmcnt(0)
	s_barrier
	ds_read_b64 v[2:3], v11
	ds_read_b64 v[4:5], v12 offset:16
                                        ; implicit-def: $sgpr6
	s_waitcnt lgkmcnt(0)
	v_cmp_ge_i64_e64 s[0:1], v[2:3], v[4:5]
	v_cmp_lt_i64_e32 vcc, v[2:3], v[4:5]
	s_and_saveexec_b64 s[2:3], vcc
	s_cbranch_execnz .LBB85_317
; %bb.46:
	s_or_b64 exec, exec, s[2:3]
	v_mov_b32_e32 v20, s6
	s_and_saveexec_b64 s[2:3], s[0:1]
	s_cbranch_execnz .LBB85_318
.LBB85_47:
	s_or_b64 exec, exec, s[2:3]
	v_cmp_eq_u32_e32 vcc, v20, v16
	s_and_saveexec_b64 s[0:1], vcc
	s_cbranch_execz .LBB85_49
.LBB85_48:
	ds_read_u8 v20, v10 offset:8194
	ds_read_u8 v21, v10 offset:8192
	ds_write_b64 v11, v[4:5]
	ds_write_b64 v12, v[2:3] offset:16
	s_waitcnt lgkmcnt(3)
	ds_write_b8 v10, v20 offset:8192
	s_waitcnt lgkmcnt(3)
	ds_write_b8 v10, v21 offset:8194
.LBB85_49:
	s_or_b64 exec, exec, s[0:1]
	s_waitcnt lgkmcnt(0)
	s_barrier
	ds_read2_b64 v[2:5], v1 offset1:1
                                        ; implicit-def: $sgpr6
	s_waitcnt lgkmcnt(0)
	v_cmp_ge_i64_e64 s[0:1], v[2:3], v[4:5]
	v_cmp_lt_i64_e32 vcc, v[2:3], v[4:5]
	s_and_saveexec_b64 s[2:3], vcc
	s_cbranch_execnz .LBB85_319
; %bb.50:
	s_or_b64 exec, exec, s[2:3]
	v_mov_b32_e32 v20, s6
	s_and_saveexec_b64 s[2:3], s[0:1]
	s_cbranch_execnz .LBB85_320
.LBB85_51:
	s_or_b64 exec, exec, s[2:3]
	v_cmp_eq_u32_e32 vcc, v20, v16
	s_and_saveexec_b64 s[0:1], vcc
	s_cbranch_execz .LBB85_53
.LBB85_52:
	ds_read_u8 v16, v8 offset:8193
	ds_read_u8 v20, v7 offset:8192
	ds_write_b64 v1, v[4:5]
	v_add_u32_e32 v4, v7, v9
	ds_write_b64 v4, v[2:3] offset:8
	s_waitcnt lgkmcnt(3)
	ds_write_b8 v7, v16 offset:8192
	s_waitcnt lgkmcnt(3)
	ds_write_b8 v8, v20 offset:8193
.LBB85_53:
	s_or_b64 exec, exec, s[0:1]
	v_and_b32_e32 v2, 15, v0
	v_sub_u32_e32 v16, v6, v2
	v_add_u32_e32 v20, 8, v16
	v_lshl_add_u32 v21, v16, 3, 8
	v_mad_i32_i24 v4, v16, 7, v20
	s_waitcnt lgkmcnt(0)
	s_barrier
	ds_read_b64 v[2:3], v21
	ds_read_b64 v[4:5], v4 offset:128
                                        ; implicit-def: $sgpr6
	s_waitcnt lgkmcnt(0)
	v_cmp_ge_i64_e64 s[0:1], v[2:3], v[4:5]
	v_cmp_lt_i64_e32 vcc, v[2:3], v[4:5]
	s_and_saveexec_b64 s[2:3], vcc
	s_cbranch_execz .LBB85_55
; %bb.54:
	ds_read_u8 v22, v20 offset:8192
	s_andn2_b64 s[0:1], s[0:1], exec
	s_mov_b32 s6, 1
	s_waitcnt lgkmcnt(0)
	v_and_b32_e32 v22, 1, v22
	v_cmp_eq_u32_e32 vcc, 1, v22
	s_xor_b64 s[8:9], vcc, -1
	s_and_b64 s[8:9], s[8:9], exec
	s_or_b64 s[0:1], s[0:1], s[8:9]
.LBB85_55:
	s_or_b64 exec, exec, s[2:3]
	v_mul_i32_i24_e32 v22, 7, v16
	v_mov_b32_e32 v23, s6
	s_and_saveexec_b64 s[2:3], s[0:1]
	s_cbranch_execz .LBB85_57
; %bb.56:
	ds_read_u8 v16, v20 offset:8208
	s_waitcnt lgkmcnt(0)
	v_xor_b32_e32 v23, 1, v16
.LBB85_57:
	s_or_b64 exec, exec, s[2:3]
	v_bfe_u32 v16, v0, 4, 1
	v_cmp_eq_u32_e32 vcc, v23, v16
	v_add_u32_e32 v22, v20, v22
	s_and_saveexec_b64 s[0:1], vcc
	s_cbranch_execz .LBB85_59
; %bb.58:
	ds_read_u8 v23, v20 offset:8208
	ds_read_u8 v24, v20 offset:8192
	ds_write_b64 v21, v[4:5]
	ds_write_b64 v22, v[2:3] offset:128
	s_waitcnt lgkmcnt(3)
	ds_write_b8 v20, v23 offset:8192
	s_waitcnt lgkmcnt(3)
	ds_write_b8 v20, v24 offset:8208
.LBB85_59:
	s_or_b64 exec, exec, s[0:1]
	s_waitcnt lgkmcnt(0)
	s_barrier
	ds_read_b64 v[2:3], v18
	ds_read_b64 v[4:5], v19 offset:64
                                        ; implicit-def: $sgpr6
	s_waitcnt lgkmcnt(0)
	v_cmp_ge_i64_e64 s[0:1], v[2:3], v[4:5]
	v_cmp_lt_i64_e32 vcc, v[2:3], v[4:5]
	s_and_saveexec_b64 s[2:3], vcc
	s_cbranch_execnz .LBB85_321
; %bb.60:
	s_or_b64 exec, exec, s[2:3]
	v_mov_b32_e32 v23, s6
	s_and_saveexec_b64 s[2:3], s[0:1]
	s_cbranch_execnz .LBB85_322
.LBB85_61:
	s_or_b64 exec, exec, s[2:3]
	v_cmp_eq_u32_e32 vcc, v23, v16
	s_and_saveexec_b64 s[0:1], vcc
	s_cbranch_execz .LBB85_63
.LBB85_62:
	ds_read_u8 v23, v17 offset:8200
	ds_read_u8 v24, v17 offset:8192
	ds_write_b64 v18, v[4:5]
	ds_write_b64 v19, v[2:3] offset:64
	s_waitcnt lgkmcnt(3)
	ds_write_b8 v17, v23 offset:8192
	s_waitcnt lgkmcnt(3)
	ds_write_b8 v17, v24 offset:8200
.LBB85_63:
	s_or_b64 exec, exec, s[0:1]
	s_waitcnt lgkmcnt(0)
	s_barrier
	ds_read_b64 v[2:3], v14
	ds_read_b64 v[4:5], v15 offset:32
                                        ; implicit-def: $sgpr6
	s_waitcnt lgkmcnt(0)
	v_cmp_ge_i64_e64 s[0:1], v[2:3], v[4:5]
	v_cmp_lt_i64_e32 vcc, v[2:3], v[4:5]
	s_and_saveexec_b64 s[2:3], vcc
	s_cbranch_execnz .LBB85_323
; %bb.64:
	s_or_b64 exec, exec, s[2:3]
	v_mov_b32_e32 v23, s6
	s_and_saveexec_b64 s[2:3], s[0:1]
	s_cbranch_execnz .LBB85_324
.LBB85_65:
	s_or_b64 exec, exec, s[2:3]
	v_cmp_eq_u32_e32 vcc, v23, v16
	s_and_saveexec_b64 s[0:1], vcc
	s_cbranch_execz .LBB85_67
.LBB85_66:
	ds_read_u8 v23, v13 offset:8196
	ds_read_u8 v24, v13 offset:8192
	ds_write_b64 v14, v[4:5]
	ds_write_b64 v15, v[2:3] offset:32
	s_waitcnt lgkmcnt(3)
	ds_write_b8 v13, v23 offset:8192
	s_waitcnt lgkmcnt(3)
	ds_write_b8 v13, v24 offset:8196
.LBB85_67:
	s_or_b64 exec, exec, s[0:1]
	s_waitcnt lgkmcnt(0)
	s_barrier
	ds_read_b64 v[2:3], v11
	ds_read_b64 v[4:5], v12 offset:16
                                        ; implicit-def: $sgpr6
	s_waitcnt lgkmcnt(0)
	v_cmp_ge_i64_e64 s[0:1], v[2:3], v[4:5]
	v_cmp_lt_i64_e32 vcc, v[2:3], v[4:5]
	s_and_saveexec_b64 s[2:3], vcc
	s_cbranch_execnz .LBB85_325
; %bb.68:
	s_or_b64 exec, exec, s[2:3]
	v_mov_b32_e32 v23, s6
	s_and_saveexec_b64 s[2:3], s[0:1]
	s_cbranch_execnz .LBB85_326
.LBB85_69:
	s_or_b64 exec, exec, s[2:3]
	v_cmp_eq_u32_e32 vcc, v23, v16
	s_and_saveexec_b64 s[0:1], vcc
	s_cbranch_execz .LBB85_71
.LBB85_70:
	ds_read_u8 v23, v10 offset:8194
	ds_read_u8 v24, v10 offset:8192
	ds_write_b64 v11, v[4:5]
	ds_write_b64 v12, v[2:3] offset:16
	s_waitcnt lgkmcnt(3)
	ds_write_b8 v10, v23 offset:8192
	s_waitcnt lgkmcnt(3)
	ds_write_b8 v10, v24 offset:8194
.LBB85_71:
	s_or_b64 exec, exec, s[0:1]
	s_waitcnt lgkmcnt(0)
	s_barrier
	ds_read2_b64 v[2:5], v1 offset1:1
                                        ; implicit-def: $sgpr6
	s_waitcnt lgkmcnt(0)
	v_cmp_ge_i64_e64 s[0:1], v[2:3], v[4:5]
	v_cmp_lt_i64_e32 vcc, v[2:3], v[4:5]
	s_and_saveexec_b64 s[2:3], vcc
	s_cbranch_execnz .LBB85_327
; %bb.72:
	s_or_b64 exec, exec, s[2:3]
	v_mov_b32_e32 v23, s6
	s_and_saveexec_b64 s[2:3], s[0:1]
	s_cbranch_execnz .LBB85_328
.LBB85_73:
	s_or_b64 exec, exec, s[2:3]
	v_cmp_eq_u32_e32 vcc, v23, v16
	s_and_saveexec_b64 s[0:1], vcc
	s_cbranch_execz .LBB85_75
.LBB85_74:
	ds_read_u8 v16, v8 offset:8193
	ds_read_u8 v23, v7 offset:8192
	ds_write_b64 v1, v[4:5]
	v_add_u32_e32 v4, v7, v9
	ds_write_b64 v4, v[2:3] offset:8
	s_waitcnt lgkmcnt(3)
	ds_write_b8 v7, v16 offset:8192
	s_waitcnt lgkmcnt(3)
	ds_write_b8 v8, v23 offset:8193
.LBB85_75:
	s_or_b64 exec, exec, s[0:1]
	v_and_b32_e32 v2, 31, v0
	v_sub_u32_e32 v16, v6, v2
	v_add_u32_e32 v23, 8, v16
	v_lshl_add_u32 v24, v16, 3, 8
	v_mad_i32_i24 v4, v16, 7, v23
	s_waitcnt lgkmcnt(0)
	s_barrier
	ds_read_b64 v[2:3], v24
	ds_read_b64 v[4:5], v4 offset:256
                                        ; implicit-def: $sgpr6
	s_waitcnt lgkmcnt(0)
	v_cmp_ge_i64_e64 s[0:1], v[2:3], v[4:5]
	v_cmp_lt_i64_e32 vcc, v[2:3], v[4:5]
	s_and_saveexec_b64 s[2:3], vcc
	s_cbranch_execz .LBB85_77
; %bb.76:
	ds_read_u8 v25, v23 offset:8192
	s_andn2_b64 s[0:1], s[0:1], exec
	s_mov_b32 s6, 1
	s_waitcnt lgkmcnt(0)
	v_and_b32_e32 v25, 1, v25
	v_cmp_eq_u32_e32 vcc, 1, v25
	s_xor_b64 s[8:9], vcc, -1
	s_and_b64 s[8:9], s[8:9], exec
	s_or_b64 s[0:1], s[0:1], s[8:9]
.LBB85_77:
	s_or_b64 exec, exec, s[2:3]
	v_mul_i32_i24_e32 v25, 7, v16
	v_mov_b32_e32 v26, s6
	s_and_saveexec_b64 s[2:3], s[0:1]
	s_cbranch_execz .LBB85_79
; %bb.78:
	ds_read_u8 v16, v23 offset:8224
	s_waitcnt lgkmcnt(0)
	v_xor_b32_e32 v26, 1, v16
.LBB85_79:
	s_or_b64 exec, exec, s[2:3]
	v_bfe_u32 v16, v0, 5, 1
	v_cmp_eq_u32_e32 vcc, v26, v16
	v_add_u32_e32 v25, v23, v25
	s_and_saveexec_b64 s[0:1], vcc
	s_cbranch_execz .LBB85_81
; %bb.80:
	ds_read_u8 v26, v23 offset:8224
	ds_read_u8 v27, v23 offset:8192
	ds_write_b64 v24, v[4:5]
	ds_write_b64 v25, v[2:3] offset:256
	s_waitcnt lgkmcnt(3)
	ds_write_b8 v23, v26 offset:8192
	s_waitcnt lgkmcnt(3)
	ds_write_b8 v23, v27 offset:8224
.LBB85_81:
	s_or_b64 exec, exec, s[0:1]
	s_waitcnt lgkmcnt(0)
	s_barrier
	ds_read_b64 v[2:3], v21
	ds_read_b64 v[4:5], v22 offset:128
                                        ; implicit-def: $sgpr6
	s_waitcnt lgkmcnt(0)
	v_cmp_ge_i64_e64 s[0:1], v[2:3], v[4:5]
	v_cmp_lt_i64_e32 vcc, v[2:3], v[4:5]
	s_and_saveexec_b64 s[2:3], vcc
	s_cbranch_execnz .LBB85_329
; %bb.82:
	s_or_b64 exec, exec, s[2:3]
	v_mov_b32_e32 v26, s6
	s_and_saveexec_b64 s[2:3], s[0:1]
	s_cbranch_execnz .LBB85_330
.LBB85_83:
	s_or_b64 exec, exec, s[2:3]
	v_cmp_eq_u32_e32 vcc, v26, v16
	s_and_saveexec_b64 s[0:1], vcc
	s_cbranch_execz .LBB85_85
.LBB85_84:
	ds_read_u8 v26, v20 offset:8208
	ds_read_u8 v27, v20 offset:8192
	ds_write_b64 v21, v[4:5]
	ds_write_b64 v22, v[2:3] offset:128
	s_waitcnt lgkmcnt(3)
	ds_write_b8 v20, v26 offset:8192
	s_waitcnt lgkmcnt(3)
	ds_write_b8 v20, v27 offset:8208
.LBB85_85:
	s_or_b64 exec, exec, s[0:1]
	s_waitcnt lgkmcnt(0)
	s_barrier
	ds_read_b64 v[2:3], v18
	ds_read_b64 v[4:5], v19 offset:64
                                        ; implicit-def: $sgpr6
	s_waitcnt lgkmcnt(0)
	v_cmp_ge_i64_e64 s[0:1], v[2:3], v[4:5]
	v_cmp_lt_i64_e32 vcc, v[2:3], v[4:5]
	s_and_saveexec_b64 s[2:3], vcc
	s_cbranch_execnz .LBB85_331
; %bb.86:
	s_or_b64 exec, exec, s[2:3]
	v_mov_b32_e32 v26, s6
	s_and_saveexec_b64 s[2:3], s[0:1]
	s_cbranch_execnz .LBB85_332
.LBB85_87:
	s_or_b64 exec, exec, s[2:3]
	v_cmp_eq_u32_e32 vcc, v26, v16
	s_and_saveexec_b64 s[0:1], vcc
	s_cbranch_execz .LBB85_89
.LBB85_88:
	ds_read_u8 v26, v17 offset:8200
	ds_read_u8 v27, v17 offset:8192
	ds_write_b64 v18, v[4:5]
	ds_write_b64 v19, v[2:3] offset:64
	s_waitcnt lgkmcnt(3)
	ds_write_b8 v17, v26 offset:8192
	s_waitcnt lgkmcnt(3)
	ds_write_b8 v17, v27 offset:8200
.LBB85_89:
	s_or_b64 exec, exec, s[0:1]
	s_waitcnt lgkmcnt(0)
	s_barrier
	ds_read_b64 v[2:3], v14
	ds_read_b64 v[4:5], v15 offset:32
                                        ; implicit-def: $sgpr6
	s_waitcnt lgkmcnt(0)
	v_cmp_ge_i64_e64 s[0:1], v[2:3], v[4:5]
	v_cmp_lt_i64_e32 vcc, v[2:3], v[4:5]
	s_and_saveexec_b64 s[2:3], vcc
	s_cbranch_execnz .LBB85_333
; %bb.90:
	s_or_b64 exec, exec, s[2:3]
	v_mov_b32_e32 v26, s6
	s_and_saveexec_b64 s[2:3], s[0:1]
	s_cbranch_execnz .LBB85_334
.LBB85_91:
	s_or_b64 exec, exec, s[2:3]
	v_cmp_eq_u32_e32 vcc, v26, v16
	s_and_saveexec_b64 s[0:1], vcc
	s_cbranch_execz .LBB85_93
.LBB85_92:
	ds_read_u8 v26, v13 offset:8196
	ds_read_u8 v27, v13 offset:8192
	ds_write_b64 v14, v[4:5]
	ds_write_b64 v15, v[2:3] offset:32
	s_waitcnt lgkmcnt(3)
	ds_write_b8 v13, v26 offset:8192
	s_waitcnt lgkmcnt(3)
	ds_write_b8 v13, v27 offset:8196
.LBB85_93:
	s_or_b64 exec, exec, s[0:1]
	s_waitcnt lgkmcnt(0)
	s_barrier
	ds_read_b64 v[2:3], v11
	ds_read_b64 v[4:5], v12 offset:16
                                        ; implicit-def: $sgpr6
	s_waitcnt lgkmcnt(0)
	v_cmp_ge_i64_e64 s[0:1], v[2:3], v[4:5]
	v_cmp_lt_i64_e32 vcc, v[2:3], v[4:5]
	s_and_saveexec_b64 s[2:3], vcc
	s_cbranch_execnz .LBB85_335
; %bb.94:
	s_or_b64 exec, exec, s[2:3]
	v_mov_b32_e32 v26, s6
	s_and_saveexec_b64 s[2:3], s[0:1]
	s_cbranch_execnz .LBB85_336
.LBB85_95:
	s_or_b64 exec, exec, s[2:3]
	v_cmp_eq_u32_e32 vcc, v26, v16
	s_and_saveexec_b64 s[0:1], vcc
	s_cbranch_execz .LBB85_97
.LBB85_96:
	ds_read_u8 v26, v10 offset:8194
	ds_read_u8 v27, v10 offset:8192
	ds_write_b64 v11, v[4:5]
	ds_write_b64 v12, v[2:3] offset:16
	s_waitcnt lgkmcnt(3)
	ds_write_b8 v10, v26 offset:8192
	s_waitcnt lgkmcnt(3)
	ds_write_b8 v10, v27 offset:8194
.LBB85_97:
	s_or_b64 exec, exec, s[0:1]
	s_waitcnt lgkmcnt(0)
	s_barrier
	ds_read2_b64 v[2:5], v1 offset1:1
                                        ; implicit-def: $sgpr6
	s_waitcnt lgkmcnt(0)
	v_cmp_ge_i64_e64 s[0:1], v[2:3], v[4:5]
	v_cmp_lt_i64_e32 vcc, v[2:3], v[4:5]
	s_and_saveexec_b64 s[2:3], vcc
	s_cbranch_execnz .LBB85_337
; %bb.98:
	s_or_b64 exec, exec, s[2:3]
	v_mov_b32_e32 v26, s6
	s_and_saveexec_b64 s[2:3], s[0:1]
	s_cbranch_execnz .LBB85_338
.LBB85_99:
	s_or_b64 exec, exec, s[2:3]
	v_cmp_eq_u32_e32 vcc, v26, v16
	s_and_saveexec_b64 s[0:1], vcc
	s_cbranch_execz .LBB85_101
.LBB85_100:
	ds_read_u8 v16, v8 offset:8193
	ds_read_u8 v26, v7 offset:8192
	ds_write_b64 v1, v[4:5]
	v_add_u32_e32 v4, v7, v9
	ds_write_b64 v4, v[2:3] offset:8
	s_waitcnt lgkmcnt(3)
	ds_write_b8 v7, v16 offset:8192
	s_waitcnt lgkmcnt(3)
	ds_write_b8 v8, v26 offset:8193
.LBB85_101:
	s_or_b64 exec, exec, s[0:1]
	v_and_b32_e32 v16, 63, v0
	v_sub_u32_e32 v28, v6, v16
	v_add_u32_e32 v26, 8, v28
	v_lshl_add_u32 v27, v28, 3, 8
	v_mad_i32_i24 v4, v28, 7, v26
	s_waitcnt lgkmcnt(0)
	s_barrier
	ds_read_b64 v[2:3], v27
	ds_read_b64 v[4:5], v4 offset:512
                                        ; implicit-def: $sgpr6
	s_waitcnt lgkmcnt(0)
	v_cmp_ge_i64_e64 s[0:1], v[2:3], v[4:5]
	v_cmp_lt_i64_e32 vcc, v[2:3], v[4:5]
	s_and_saveexec_b64 s[2:3], vcc
	s_cbranch_execz .LBB85_103
; %bb.102:
	ds_read_u8 v29, v26 offset:8192
	s_andn2_b64 s[0:1], s[0:1], exec
	s_mov_b32 s6, 1
	s_waitcnt lgkmcnt(0)
	v_and_b32_e32 v29, 1, v29
	v_cmp_eq_u32_e32 vcc, 1, v29
	s_xor_b64 s[8:9], vcc, -1
	s_and_b64 s[8:9], s[8:9], exec
	s_or_b64 s[0:1], s[0:1], s[8:9]
.LBB85_103:
	s_or_b64 exec, exec, s[2:3]
	v_mul_i32_i24_e32 v28, 7, v28
	v_mov_b32_e32 v30, s6
	s_and_saveexec_b64 s[2:3], s[0:1]
	s_cbranch_execz .LBB85_105
; %bb.104:
	ds_read_u8 v29, v26 offset:8256
	s_waitcnt lgkmcnt(0)
	v_xor_b32_e32 v30, 1, v29
.LBB85_105:
	s_or_b64 exec, exec, s[2:3]
	v_bfe_u32 v29, v0, 6, 1
	v_cmp_eq_u32_e32 vcc, v30, v29
	v_add_u32_e32 v28, v26, v28
	s_and_saveexec_b64 s[0:1], vcc
	s_cbranch_execz .LBB85_107
; %bb.106:
	ds_read_u8 v30, v26 offset:8256
	ds_read_u8 v31, v26 offset:8192
	ds_write_b64 v27, v[4:5]
	ds_write_b64 v28, v[2:3] offset:512
	s_waitcnt lgkmcnt(3)
	ds_write_b8 v26, v30 offset:8192
	s_waitcnt lgkmcnt(3)
	ds_write_b8 v26, v31 offset:8256
.LBB85_107:
	s_or_b64 exec, exec, s[0:1]
	s_waitcnt lgkmcnt(0)
	s_barrier
	ds_read_b64 v[2:3], v24
	ds_read_b64 v[4:5], v25 offset:256
                                        ; implicit-def: $sgpr6
	s_waitcnt lgkmcnt(0)
	v_cmp_ge_i64_e64 s[0:1], v[2:3], v[4:5]
	v_cmp_lt_i64_e32 vcc, v[2:3], v[4:5]
	s_and_saveexec_b64 s[2:3], vcc
	s_cbranch_execnz .LBB85_339
; %bb.108:
	s_or_b64 exec, exec, s[2:3]
	v_mov_b32_e32 v30, s6
	s_and_saveexec_b64 s[2:3], s[0:1]
	s_cbranch_execnz .LBB85_340
.LBB85_109:
	s_or_b64 exec, exec, s[2:3]
	v_cmp_eq_u32_e32 vcc, v30, v29
	s_and_saveexec_b64 s[0:1], vcc
	s_cbranch_execz .LBB85_111
.LBB85_110:
	ds_read_u8 v30, v23 offset:8224
	ds_read_u8 v31, v23 offset:8192
	ds_write_b64 v24, v[4:5]
	ds_write_b64 v25, v[2:3] offset:256
	s_waitcnt lgkmcnt(3)
	ds_write_b8 v23, v30 offset:8192
	s_waitcnt lgkmcnt(3)
	ds_write_b8 v23, v31 offset:8224
.LBB85_111:
	s_or_b64 exec, exec, s[0:1]
	s_waitcnt lgkmcnt(0)
	s_barrier
	ds_read_b64 v[2:3], v21
	ds_read_b64 v[4:5], v22 offset:128
                                        ; implicit-def: $sgpr6
	s_waitcnt lgkmcnt(0)
	v_cmp_ge_i64_e64 s[0:1], v[2:3], v[4:5]
	v_cmp_lt_i64_e32 vcc, v[2:3], v[4:5]
	s_and_saveexec_b64 s[2:3], vcc
	s_cbranch_execnz .LBB85_341
; %bb.112:
	s_or_b64 exec, exec, s[2:3]
	v_mov_b32_e32 v30, s6
	s_and_saveexec_b64 s[2:3], s[0:1]
	s_cbranch_execnz .LBB85_342
.LBB85_113:
	s_or_b64 exec, exec, s[2:3]
	v_cmp_eq_u32_e32 vcc, v30, v29
	s_and_saveexec_b64 s[0:1], vcc
	s_cbranch_execz .LBB85_115
.LBB85_114:
	ds_read_u8 v30, v20 offset:8208
	ds_read_u8 v31, v20 offset:8192
	ds_write_b64 v21, v[4:5]
	ds_write_b64 v22, v[2:3] offset:128
	s_waitcnt lgkmcnt(3)
	ds_write_b8 v20, v30 offset:8192
	s_waitcnt lgkmcnt(3)
	ds_write_b8 v20, v31 offset:8208
.LBB85_115:
	s_or_b64 exec, exec, s[0:1]
	s_waitcnt lgkmcnt(0)
	s_barrier
	ds_read_b64 v[2:3], v18
	ds_read_b64 v[4:5], v19 offset:64
                                        ; implicit-def: $sgpr6
	s_waitcnt lgkmcnt(0)
	v_cmp_ge_i64_e64 s[0:1], v[2:3], v[4:5]
	v_cmp_lt_i64_e32 vcc, v[2:3], v[4:5]
	s_and_saveexec_b64 s[2:3], vcc
	s_cbranch_execnz .LBB85_343
; %bb.116:
	s_or_b64 exec, exec, s[2:3]
	v_mov_b32_e32 v30, s6
	s_and_saveexec_b64 s[2:3], s[0:1]
	s_cbranch_execnz .LBB85_344
.LBB85_117:
	s_or_b64 exec, exec, s[2:3]
	v_cmp_eq_u32_e32 vcc, v30, v29
	s_and_saveexec_b64 s[0:1], vcc
	s_cbranch_execz .LBB85_119
.LBB85_118:
	ds_read_u8 v30, v17 offset:8200
	ds_read_u8 v31, v17 offset:8192
	ds_write_b64 v18, v[4:5]
	ds_write_b64 v19, v[2:3] offset:64
	s_waitcnt lgkmcnt(3)
	ds_write_b8 v17, v30 offset:8192
	s_waitcnt lgkmcnt(3)
	ds_write_b8 v17, v31 offset:8200
.LBB85_119:
	s_or_b64 exec, exec, s[0:1]
	s_waitcnt lgkmcnt(0)
	s_barrier
	ds_read_b64 v[2:3], v14
	ds_read_b64 v[4:5], v15 offset:32
                                        ; implicit-def: $sgpr6
	s_waitcnt lgkmcnt(0)
	v_cmp_ge_i64_e64 s[0:1], v[2:3], v[4:5]
	v_cmp_lt_i64_e32 vcc, v[2:3], v[4:5]
	s_and_saveexec_b64 s[2:3], vcc
	s_cbranch_execnz .LBB85_345
; %bb.120:
	s_or_b64 exec, exec, s[2:3]
	v_mov_b32_e32 v30, s6
	s_and_saveexec_b64 s[2:3], s[0:1]
	s_cbranch_execnz .LBB85_346
.LBB85_121:
	s_or_b64 exec, exec, s[2:3]
	v_cmp_eq_u32_e32 vcc, v30, v29
	s_and_saveexec_b64 s[0:1], vcc
	s_cbranch_execz .LBB85_123
.LBB85_122:
	ds_read_u8 v30, v13 offset:8196
	ds_read_u8 v31, v13 offset:8192
	ds_write_b64 v14, v[4:5]
	ds_write_b64 v15, v[2:3] offset:32
	s_waitcnt lgkmcnt(3)
	ds_write_b8 v13, v30 offset:8192
	s_waitcnt lgkmcnt(3)
	ds_write_b8 v13, v31 offset:8196
.LBB85_123:
	s_or_b64 exec, exec, s[0:1]
	s_waitcnt lgkmcnt(0)
	s_barrier
	ds_read_b64 v[2:3], v11
	ds_read_b64 v[4:5], v12 offset:16
                                        ; implicit-def: $sgpr6
	s_waitcnt lgkmcnt(0)
	v_cmp_ge_i64_e64 s[0:1], v[2:3], v[4:5]
	v_cmp_lt_i64_e32 vcc, v[2:3], v[4:5]
	s_and_saveexec_b64 s[2:3], vcc
	s_cbranch_execnz .LBB85_347
; %bb.124:
	s_or_b64 exec, exec, s[2:3]
	v_mov_b32_e32 v30, s6
	s_and_saveexec_b64 s[2:3], s[0:1]
	s_cbranch_execnz .LBB85_348
.LBB85_125:
	s_or_b64 exec, exec, s[2:3]
	v_cmp_eq_u32_e32 vcc, v30, v29
	s_and_saveexec_b64 s[0:1], vcc
	s_cbranch_execz .LBB85_127
.LBB85_126:
	ds_read_u8 v30, v10 offset:8194
	ds_read_u8 v31, v10 offset:8192
	ds_write_b64 v11, v[4:5]
	ds_write_b64 v12, v[2:3] offset:16
	s_waitcnt lgkmcnt(3)
	ds_write_b8 v10, v30 offset:8192
	s_waitcnt lgkmcnt(3)
	ds_write_b8 v10, v31 offset:8194
.LBB85_127:
	s_or_b64 exec, exec, s[0:1]
	s_waitcnt lgkmcnt(0)
	s_barrier
	ds_read2_b64 v[2:5], v1 offset1:1
                                        ; implicit-def: $sgpr6
	s_waitcnt lgkmcnt(0)
	v_cmp_ge_i64_e64 s[0:1], v[2:3], v[4:5]
	v_cmp_lt_i64_e32 vcc, v[2:3], v[4:5]
	s_and_saveexec_b64 s[2:3], vcc
	s_cbranch_execnz .LBB85_349
; %bb.128:
	s_or_b64 exec, exec, s[2:3]
	v_mov_b32_e32 v30, s6
	s_and_saveexec_b64 s[2:3], s[0:1]
	s_cbranch_execnz .LBB85_350
.LBB85_129:
	s_or_b64 exec, exec, s[2:3]
	v_cmp_eq_u32_e32 vcc, v30, v29
	s_and_saveexec_b64 s[0:1], vcc
	s_cbranch_execz .LBB85_131
.LBB85_130:
	ds_read_u8 v29, v8 offset:8193
	ds_read_u8 v30, v7 offset:8192
	ds_write_b64 v1, v[4:5]
	v_add_u32_e32 v4, v7, v9
	ds_write_b64 v4, v[2:3] offset:8
	s_waitcnt lgkmcnt(3)
	ds_write_b8 v7, v29 offset:8192
	s_waitcnt lgkmcnt(3)
	ds_write_b8 v8, v30 offset:8193
.LBB85_131:
	s_or_b64 exec, exec, s[0:1]
	v_and_b32_e32 v2, 0x7f, v0
	v_sub_u32_e32 v31, v6, v2
	v_add_u32_e32 v29, 8, v31
	v_lshl_add_u32 v30, v31, 3, 8
	v_mad_i32_i24 v4, v31, 7, v29
	s_waitcnt lgkmcnt(0)
	s_barrier
	ds_read_b64 v[2:3], v30
	ds_read_b64 v[4:5], v4 offset:1024
                                        ; implicit-def: $sgpr6
	s_waitcnt lgkmcnt(0)
	v_cmp_ge_i64_e64 s[0:1], v[2:3], v[4:5]
	v_cmp_lt_i64_e32 vcc, v[2:3], v[4:5]
	s_and_saveexec_b64 s[2:3], vcc
	s_cbranch_execz .LBB85_133
; %bb.132:
	ds_read_u8 v32, v29 offset:8192
	s_andn2_b64 s[0:1], s[0:1], exec
	s_mov_b32 s6, 1
	s_waitcnt lgkmcnt(0)
	v_and_b32_e32 v32, 1, v32
	v_cmp_eq_u32_e32 vcc, 1, v32
	s_xor_b64 s[8:9], vcc, -1
	s_and_b64 s[8:9], s[8:9], exec
	s_or_b64 s[0:1], s[0:1], s[8:9]
.LBB85_133:
	s_or_b64 exec, exec, s[2:3]
	v_mul_i32_i24_e32 v31, 7, v31
	v_mov_b32_e32 v33, s6
	s_and_saveexec_b64 s[2:3], s[0:1]
	s_cbranch_execz .LBB85_135
; %bb.134:
	ds_read_u8 v32, v29 offset:8320
	s_waitcnt lgkmcnt(0)
	v_xor_b32_e32 v33, 1, v32
.LBB85_135:
	s_or_b64 exec, exec, s[2:3]
	v_bfe_u32 v32, v0, 7, 1
	v_cmp_eq_u32_e32 vcc, v33, v32
	v_add_u32_e32 v31, v29, v31
	s_and_saveexec_b64 s[0:1], vcc
	s_cbranch_execz .LBB85_137
; %bb.136:
	ds_read_u8 v33, v29 offset:8320
	ds_read_u8 v34, v29 offset:8192
	ds_write_b64 v30, v[4:5]
	ds_write_b64 v31, v[2:3] offset:1024
	s_waitcnt lgkmcnt(3)
	ds_write_b8 v29, v33 offset:8192
	s_waitcnt lgkmcnt(3)
	ds_write_b8 v29, v34 offset:8320
.LBB85_137:
	s_or_b64 exec, exec, s[0:1]
	s_waitcnt lgkmcnt(0)
	s_barrier
	ds_read_b64 v[2:3], v27
	ds_read_b64 v[4:5], v28 offset:512
                                        ; implicit-def: $sgpr6
	s_waitcnt lgkmcnt(0)
	v_cmp_ge_i64_e64 s[0:1], v[2:3], v[4:5]
	v_cmp_lt_i64_e32 vcc, v[2:3], v[4:5]
	s_and_saveexec_b64 s[2:3], vcc
	s_cbranch_execnz .LBB85_351
; %bb.138:
	s_or_b64 exec, exec, s[2:3]
	v_mov_b32_e32 v33, s6
	s_and_saveexec_b64 s[2:3], s[0:1]
	s_cbranch_execnz .LBB85_352
.LBB85_139:
	s_or_b64 exec, exec, s[2:3]
	v_cmp_eq_u32_e32 vcc, v33, v32
	s_and_saveexec_b64 s[0:1], vcc
	s_cbranch_execz .LBB85_141
.LBB85_140:
	ds_read_u8 v33, v26 offset:8256
	ds_read_u8 v34, v26 offset:8192
	ds_write_b64 v27, v[4:5]
	ds_write_b64 v28, v[2:3] offset:512
	s_waitcnt lgkmcnt(3)
	ds_write_b8 v26, v33 offset:8192
	s_waitcnt lgkmcnt(3)
	ds_write_b8 v26, v34 offset:8256
.LBB85_141:
	s_or_b64 exec, exec, s[0:1]
	s_waitcnt lgkmcnt(0)
	s_barrier
	ds_read_b64 v[2:3], v24
	ds_read_b64 v[4:5], v25 offset:256
                                        ; implicit-def: $sgpr6
	s_waitcnt lgkmcnt(0)
	v_cmp_ge_i64_e64 s[0:1], v[2:3], v[4:5]
	v_cmp_lt_i64_e32 vcc, v[2:3], v[4:5]
	s_and_saveexec_b64 s[2:3], vcc
	s_cbranch_execnz .LBB85_353
; %bb.142:
	s_or_b64 exec, exec, s[2:3]
	v_mov_b32_e32 v33, s6
	s_and_saveexec_b64 s[2:3], s[0:1]
	s_cbranch_execnz .LBB85_354
.LBB85_143:
	s_or_b64 exec, exec, s[2:3]
	v_cmp_eq_u32_e32 vcc, v33, v32
	s_and_saveexec_b64 s[0:1], vcc
	s_cbranch_execz .LBB85_145
.LBB85_144:
	ds_read_u8 v33, v23 offset:8224
	ds_read_u8 v34, v23 offset:8192
	ds_write_b64 v24, v[4:5]
	ds_write_b64 v25, v[2:3] offset:256
	s_waitcnt lgkmcnt(3)
	ds_write_b8 v23, v33 offset:8192
	s_waitcnt lgkmcnt(3)
	ds_write_b8 v23, v34 offset:8224
.LBB85_145:
	s_or_b64 exec, exec, s[0:1]
	s_waitcnt lgkmcnt(0)
	s_barrier
	ds_read_b64 v[2:3], v21
	ds_read_b64 v[4:5], v22 offset:128
                                        ; implicit-def: $sgpr6
	s_waitcnt lgkmcnt(0)
	v_cmp_ge_i64_e64 s[0:1], v[2:3], v[4:5]
	v_cmp_lt_i64_e32 vcc, v[2:3], v[4:5]
	s_and_saveexec_b64 s[2:3], vcc
	s_cbranch_execnz .LBB85_355
; %bb.146:
	s_or_b64 exec, exec, s[2:3]
	v_mov_b32_e32 v33, s6
	s_and_saveexec_b64 s[2:3], s[0:1]
	s_cbranch_execnz .LBB85_356
.LBB85_147:
	s_or_b64 exec, exec, s[2:3]
	v_cmp_eq_u32_e32 vcc, v33, v32
	s_and_saveexec_b64 s[0:1], vcc
	s_cbranch_execz .LBB85_149
.LBB85_148:
	ds_read_u8 v33, v20 offset:8208
	ds_read_u8 v34, v20 offset:8192
	ds_write_b64 v21, v[4:5]
	ds_write_b64 v22, v[2:3] offset:128
	s_waitcnt lgkmcnt(3)
	ds_write_b8 v20, v33 offset:8192
	s_waitcnt lgkmcnt(3)
	ds_write_b8 v20, v34 offset:8208
.LBB85_149:
	s_or_b64 exec, exec, s[0:1]
	s_waitcnt lgkmcnt(0)
	s_barrier
	ds_read_b64 v[2:3], v18
	ds_read_b64 v[4:5], v19 offset:64
                                        ; implicit-def: $sgpr6
	s_waitcnt lgkmcnt(0)
	v_cmp_ge_i64_e64 s[0:1], v[2:3], v[4:5]
	v_cmp_lt_i64_e32 vcc, v[2:3], v[4:5]
	s_and_saveexec_b64 s[2:3], vcc
	s_cbranch_execnz .LBB85_357
; %bb.150:
	s_or_b64 exec, exec, s[2:3]
	v_mov_b32_e32 v33, s6
	s_and_saveexec_b64 s[2:3], s[0:1]
	s_cbranch_execnz .LBB85_358
.LBB85_151:
	s_or_b64 exec, exec, s[2:3]
	v_cmp_eq_u32_e32 vcc, v33, v32
	s_and_saveexec_b64 s[0:1], vcc
	s_cbranch_execz .LBB85_153
.LBB85_152:
	ds_read_u8 v33, v17 offset:8200
	ds_read_u8 v34, v17 offset:8192
	ds_write_b64 v18, v[4:5]
	ds_write_b64 v19, v[2:3] offset:64
	s_waitcnt lgkmcnt(3)
	ds_write_b8 v17, v33 offset:8192
	s_waitcnt lgkmcnt(3)
	ds_write_b8 v17, v34 offset:8200
.LBB85_153:
	s_or_b64 exec, exec, s[0:1]
	s_waitcnt lgkmcnt(0)
	s_barrier
	ds_read_b64 v[2:3], v14
	ds_read_b64 v[4:5], v15 offset:32
                                        ; implicit-def: $sgpr6
	s_waitcnt lgkmcnt(0)
	v_cmp_ge_i64_e64 s[0:1], v[2:3], v[4:5]
	v_cmp_lt_i64_e32 vcc, v[2:3], v[4:5]
	s_and_saveexec_b64 s[2:3], vcc
	s_cbranch_execnz .LBB85_359
; %bb.154:
	s_or_b64 exec, exec, s[2:3]
	v_mov_b32_e32 v33, s6
	s_and_saveexec_b64 s[2:3], s[0:1]
	s_cbranch_execnz .LBB85_360
.LBB85_155:
	s_or_b64 exec, exec, s[2:3]
	v_cmp_eq_u32_e32 vcc, v33, v32
	s_and_saveexec_b64 s[0:1], vcc
	s_cbranch_execz .LBB85_157
.LBB85_156:
	ds_read_u8 v33, v13 offset:8196
	ds_read_u8 v34, v13 offset:8192
	ds_write_b64 v14, v[4:5]
	ds_write_b64 v15, v[2:3] offset:32
	s_waitcnt lgkmcnt(3)
	ds_write_b8 v13, v33 offset:8192
	s_waitcnt lgkmcnt(3)
	ds_write_b8 v13, v34 offset:8196
.LBB85_157:
	s_or_b64 exec, exec, s[0:1]
	s_waitcnt lgkmcnt(0)
	s_barrier
	ds_read_b64 v[2:3], v11
	ds_read_b64 v[4:5], v12 offset:16
                                        ; implicit-def: $sgpr6
	s_waitcnt lgkmcnt(0)
	v_cmp_ge_i64_e64 s[0:1], v[2:3], v[4:5]
	v_cmp_lt_i64_e32 vcc, v[2:3], v[4:5]
	s_and_saveexec_b64 s[2:3], vcc
	s_cbranch_execnz .LBB85_361
; %bb.158:
	s_or_b64 exec, exec, s[2:3]
	v_mov_b32_e32 v33, s6
	s_and_saveexec_b64 s[2:3], s[0:1]
	s_cbranch_execnz .LBB85_362
.LBB85_159:
	s_or_b64 exec, exec, s[2:3]
	v_cmp_eq_u32_e32 vcc, v33, v32
	s_and_saveexec_b64 s[0:1], vcc
	s_cbranch_execz .LBB85_161
.LBB85_160:
	ds_read_u8 v33, v10 offset:8194
	ds_read_u8 v34, v10 offset:8192
	ds_write_b64 v11, v[4:5]
	ds_write_b64 v12, v[2:3] offset:16
	s_waitcnt lgkmcnt(3)
	ds_write_b8 v10, v33 offset:8192
	s_waitcnt lgkmcnt(3)
	ds_write_b8 v10, v34 offset:8194
.LBB85_161:
	s_or_b64 exec, exec, s[0:1]
	s_waitcnt lgkmcnt(0)
	s_barrier
	ds_read2_b64 v[2:5], v1 offset1:1
                                        ; implicit-def: $sgpr6
	s_waitcnt lgkmcnt(0)
	v_cmp_ge_i64_e64 s[0:1], v[2:3], v[4:5]
	v_cmp_lt_i64_e32 vcc, v[2:3], v[4:5]
	s_and_saveexec_b64 s[2:3], vcc
	s_cbranch_execnz .LBB85_363
; %bb.162:
	s_or_b64 exec, exec, s[2:3]
	v_mov_b32_e32 v33, s6
	s_and_saveexec_b64 s[2:3], s[0:1]
	s_cbranch_execnz .LBB85_364
.LBB85_163:
	s_or_b64 exec, exec, s[2:3]
	v_cmp_eq_u32_e32 vcc, v33, v32
	s_and_saveexec_b64 s[0:1], vcc
	s_cbranch_execz .LBB85_165
.LBB85_164:
	ds_read_u8 v32, v8 offset:8193
	ds_read_u8 v33, v7 offset:8192
	ds_write_b64 v1, v[4:5]
	v_add_u32_e32 v4, v7, v9
	ds_write_b64 v4, v[2:3] offset:8
	s_waitcnt lgkmcnt(3)
	ds_write_b8 v7, v32 offset:8192
	s_waitcnt lgkmcnt(3)
	ds_write_b8 v8, v33 offset:8193
.LBB85_165:
	s_or_b64 exec, exec, s[0:1]
	v_sub_u32_sdwa v34, v6, v0 dst_sel:DWORD dst_unused:UNUSED_PAD src0_sel:DWORD src1_sel:BYTE_0
	v_add_u32_e32 v32, 8, v34
	v_lshl_add_u32 v33, v34, 3, 8
	v_mad_i32_i24 v4, v34, 7, v32
	s_waitcnt lgkmcnt(0)
	s_barrier
	ds_read_b64 v[2:3], v33
	ds_read_b64 v[4:5], v4 offset:2048
                                        ; implicit-def: $sgpr6
	s_waitcnt lgkmcnt(0)
	v_cmp_ge_i64_e64 s[0:1], v[2:3], v[4:5]
	v_cmp_lt_i64_e32 vcc, v[2:3], v[4:5]
	s_and_saveexec_b64 s[2:3], vcc
	s_cbranch_execz .LBB85_167
; %bb.166:
	ds_read_u8 v35, v32 offset:8192
	s_andn2_b64 s[0:1], s[0:1], exec
	s_mov_b32 s6, 1
	s_waitcnt lgkmcnt(0)
	v_and_b32_e32 v35, 1, v35
	v_cmp_eq_u32_e32 vcc, 1, v35
	s_xor_b64 s[8:9], vcc, -1
	s_and_b64 s[8:9], s[8:9], exec
	s_or_b64 s[0:1], s[0:1], s[8:9]
.LBB85_167:
	s_or_b64 exec, exec, s[2:3]
	v_mul_i32_i24_e32 v34, 7, v34
	v_mov_b32_e32 v36, s6
	s_and_saveexec_b64 s[2:3], s[0:1]
	s_cbranch_execz .LBB85_169
; %bb.168:
	ds_read_u8 v35, v32 offset:8448
	s_waitcnt lgkmcnt(0)
	v_xor_b32_e32 v36, 1, v35
.LBB85_169:
	s_or_b64 exec, exec, s[2:3]
	v_bfe_u32 v35, v0, 8, 1
	v_cmp_eq_u32_e32 vcc, v36, v35
	v_add_u32_e32 v34, v32, v34
	s_and_saveexec_b64 s[0:1], vcc
	s_cbranch_execz .LBB85_171
; %bb.170:
	ds_read_u8 v36, v32 offset:8448
	ds_read_u8 v37, v32 offset:8192
	ds_write_b64 v33, v[4:5]
	ds_write_b64 v34, v[2:3] offset:2048
	s_waitcnt lgkmcnt(3)
	ds_write_b8 v32, v36 offset:8192
	s_waitcnt lgkmcnt(3)
	ds_write_b8 v32, v37 offset:8448
.LBB85_171:
	s_or_b64 exec, exec, s[0:1]
	s_waitcnt lgkmcnt(0)
	s_barrier
	ds_read_b64 v[2:3], v30
	ds_read_b64 v[4:5], v31 offset:1024
                                        ; implicit-def: $sgpr6
	s_waitcnt lgkmcnt(0)
	v_cmp_ge_i64_e64 s[0:1], v[2:3], v[4:5]
	v_cmp_lt_i64_e32 vcc, v[2:3], v[4:5]
	s_and_saveexec_b64 s[2:3], vcc
	s_cbranch_execnz .LBB85_365
; %bb.172:
	s_or_b64 exec, exec, s[2:3]
	v_mov_b32_e32 v36, s6
	s_and_saveexec_b64 s[2:3], s[0:1]
	s_cbranch_execnz .LBB85_366
.LBB85_173:
	s_or_b64 exec, exec, s[2:3]
	v_cmp_eq_u32_e32 vcc, v36, v35
	s_and_saveexec_b64 s[0:1], vcc
	s_cbranch_execz .LBB85_175
.LBB85_174:
	ds_read_u8 v36, v29 offset:8320
	ds_read_u8 v37, v29 offset:8192
	ds_write_b64 v30, v[4:5]
	ds_write_b64 v31, v[2:3] offset:1024
	s_waitcnt lgkmcnt(3)
	ds_write_b8 v29, v36 offset:8192
	s_waitcnt lgkmcnt(3)
	ds_write_b8 v29, v37 offset:8320
.LBB85_175:
	s_or_b64 exec, exec, s[0:1]
	s_waitcnt lgkmcnt(0)
	s_barrier
	ds_read_b64 v[2:3], v27
	ds_read_b64 v[4:5], v28 offset:512
                                        ; implicit-def: $sgpr6
	s_waitcnt lgkmcnt(0)
	v_cmp_ge_i64_e64 s[0:1], v[2:3], v[4:5]
	v_cmp_lt_i64_e32 vcc, v[2:3], v[4:5]
	s_and_saveexec_b64 s[2:3], vcc
	s_cbranch_execnz .LBB85_367
; %bb.176:
	s_or_b64 exec, exec, s[2:3]
	v_mov_b32_e32 v36, s6
	s_and_saveexec_b64 s[2:3], s[0:1]
	s_cbranch_execnz .LBB85_368
.LBB85_177:
	s_or_b64 exec, exec, s[2:3]
	v_cmp_eq_u32_e32 vcc, v36, v35
	s_and_saveexec_b64 s[0:1], vcc
	s_cbranch_execz .LBB85_179
.LBB85_178:
	ds_read_u8 v36, v26 offset:8256
	ds_read_u8 v37, v26 offset:8192
	ds_write_b64 v27, v[4:5]
	ds_write_b64 v28, v[2:3] offset:512
	s_waitcnt lgkmcnt(3)
	ds_write_b8 v26, v36 offset:8192
	s_waitcnt lgkmcnt(3)
	ds_write_b8 v26, v37 offset:8256
.LBB85_179:
	s_or_b64 exec, exec, s[0:1]
	s_waitcnt lgkmcnt(0)
	s_barrier
	ds_read_b64 v[2:3], v24
	ds_read_b64 v[4:5], v25 offset:256
                                        ; implicit-def: $sgpr6
	s_waitcnt lgkmcnt(0)
	v_cmp_ge_i64_e64 s[0:1], v[2:3], v[4:5]
	v_cmp_lt_i64_e32 vcc, v[2:3], v[4:5]
	s_and_saveexec_b64 s[2:3], vcc
	s_cbranch_execnz .LBB85_369
; %bb.180:
	s_or_b64 exec, exec, s[2:3]
	v_mov_b32_e32 v36, s6
	s_and_saveexec_b64 s[2:3], s[0:1]
	s_cbranch_execnz .LBB85_370
.LBB85_181:
	s_or_b64 exec, exec, s[2:3]
	v_cmp_eq_u32_e32 vcc, v36, v35
	s_and_saveexec_b64 s[0:1], vcc
	s_cbranch_execz .LBB85_183
.LBB85_182:
	ds_read_u8 v36, v23 offset:8224
	ds_read_u8 v37, v23 offset:8192
	ds_write_b64 v24, v[4:5]
	ds_write_b64 v25, v[2:3] offset:256
	s_waitcnt lgkmcnt(3)
	ds_write_b8 v23, v36 offset:8192
	s_waitcnt lgkmcnt(3)
	ds_write_b8 v23, v37 offset:8224
.LBB85_183:
	s_or_b64 exec, exec, s[0:1]
	s_waitcnt lgkmcnt(0)
	s_barrier
	ds_read_b64 v[2:3], v21
	ds_read_b64 v[4:5], v22 offset:128
                                        ; implicit-def: $sgpr6
	s_waitcnt lgkmcnt(0)
	v_cmp_ge_i64_e64 s[0:1], v[2:3], v[4:5]
	v_cmp_lt_i64_e32 vcc, v[2:3], v[4:5]
	s_and_saveexec_b64 s[2:3], vcc
	s_cbranch_execnz .LBB85_371
; %bb.184:
	s_or_b64 exec, exec, s[2:3]
	v_mov_b32_e32 v36, s6
	s_and_saveexec_b64 s[2:3], s[0:1]
	s_cbranch_execnz .LBB85_372
.LBB85_185:
	s_or_b64 exec, exec, s[2:3]
	v_cmp_eq_u32_e32 vcc, v36, v35
	s_and_saveexec_b64 s[0:1], vcc
	s_cbranch_execz .LBB85_187
.LBB85_186:
	ds_read_u8 v36, v20 offset:8208
	ds_read_u8 v37, v20 offset:8192
	ds_write_b64 v21, v[4:5]
	ds_write_b64 v22, v[2:3] offset:128
	s_waitcnt lgkmcnt(3)
	ds_write_b8 v20, v36 offset:8192
	s_waitcnt lgkmcnt(3)
	ds_write_b8 v20, v37 offset:8208
.LBB85_187:
	s_or_b64 exec, exec, s[0:1]
	s_waitcnt lgkmcnt(0)
	s_barrier
	ds_read_b64 v[2:3], v18
	ds_read_b64 v[4:5], v19 offset:64
                                        ; implicit-def: $sgpr6
	s_waitcnt lgkmcnt(0)
	v_cmp_ge_i64_e64 s[0:1], v[2:3], v[4:5]
	v_cmp_lt_i64_e32 vcc, v[2:3], v[4:5]
	s_and_saveexec_b64 s[2:3], vcc
	s_cbranch_execnz .LBB85_373
; %bb.188:
	s_or_b64 exec, exec, s[2:3]
	v_mov_b32_e32 v36, s6
	s_and_saveexec_b64 s[2:3], s[0:1]
	s_cbranch_execnz .LBB85_374
.LBB85_189:
	s_or_b64 exec, exec, s[2:3]
	v_cmp_eq_u32_e32 vcc, v36, v35
	s_and_saveexec_b64 s[0:1], vcc
	s_cbranch_execz .LBB85_191
.LBB85_190:
	ds_read_u8 v36, v17 offset:8200
	ds_read_u8 v37, v17 offset:8192
	ds_write_b64 v18, v[4:5]
	ds_write_b64 v19, v[2:3] offset:64
	s_waitcnt lgkmcnt(3)
	ds_write_b8 v17, v36 offset:8192
	s_waitcnt lgkmcnt(3)
	ds_write_b8 v17, v37 offset:8200
.LBB85_191:
	s_or_b64 exec, exec, s[0:1]
	s_waitcnt lgkmcnt(0)
	s_barrier
	ds_read_b64 v[2:3], v14
	ds_read_b64 v[4:5], v15 offset:32
                                        ; implicit-def: $sgpr6
	s_waitcnt lgkmcnt(0)
	v_cmp_ge_i64_e64 s[0:1], v[2:3], v[4:5]
	v_cmp_lt_i64_e32 vcc, v[2:3], v[4:5]
	s_and_saveexec_b64 s[2:3], vcc
	s_cbranch_execnz .LBB85_375
; %bb.192:
	s_or_b64 exec, exec, s[2:3]
	v_mov_b32_e32 v36, s6
	s_and_saveexec_b64 s[2:3], s[0:1]
	s_cbranch_execnz .LBB85_376
.LBB85_193:
	s_or_b64 exec, exec, s[2:3]
	v_cmp_eq_u32_e32 vcc, v36, v35
	s_and_saveexec_b64 s[0:1], vcc
	s_cbranch_execz .LBB85_195
.LBB85_194:
	ds_read_u8 v36, v13 offset:8196
	ds_read_u8 v37, v13 offset:8192
	ds_write_b64 v14, v[4:5]
	ds_write_b64 v15, v[2:3] offset:32
	s_waitcnt lgkmcnt(3)
	ds_write_b8 v13, v36 offset:8192
	s_waitcnt lgkmcnt(3)
	ds_write_b8 v13, v37 offset:8196
.LBB85_195:
	s_or_b64 exec, exec, s[0:1]
	s_waitcnt lgkmcnt(0)
	s_barrier
	ds_read_b64 v[2:3], v11
	ds_read_b64 v[4:5], v12 offset:16
                                        ; implicit-def: $sgpr6
	s_waitcnt lgkmcnt(0)
	v_cmp_ge_i64_e64 s[0:1], v[2:3], v[4:5]
	v_cmp_lt_i64_e32 vcc, v[2:3], v[4:5]
	s_and_saveexec_b64 s[2:3], vcc
	s_cbranch_execnz .LBB85_377
; %bb.196:
	s_or_b64 exec, exec, s[2:3]
	v_mov_b32_e32 v36, s6
	s_and_saveexec_b64 s[2:3], s[0:1]
	s_cbranch_execnz .LBB85_378
.LBB85_197:
	s_or_b64 exec, exec, s[2:3]
	v_cmp_eq_u32_e32 vcc, v36, v35
	s_and_saveexec_b64 s[0:1], vcc
	s_cbranch_execz .LBB85_199
.LBB85_198:
	ds_read_u8 v36, v10 offset:8194
	ds_read_u8 v37, v10 offset:8192
	ds_write_b64 v11, v[4:5]
	ds_write_b64 v12, v[2:3] offset:16
	s_waitcnt lgkmcnt(3)
	ds_write_b8 v10, v36 offset:8192
	s_waitcnt lgkmcnt(3)
	ds_write_b8 v10, v37 offset:8194
.LBB85_199:
	s_or_b64 exec, exec, s[0:1]
	s_waitcnt lgkmcnt(0)
	s_barrier
	ds_read2_b64 v[2:5], v1 offset1:1
                                        ; implicit-def: $sgpr6
	s_waitcnt lgkmcnt(0)
	v_cmp_ge_i64_e64 s[0:1], v[2:3], v[4:5]
	v_cmp_lt_i64_e32 vcc, v[2:3], v[4:5]
	s_and_saveexec_b64 s[2:3], vcc
	s_cbranch_execnz .LBB85_379
; %bb.200:
	s_or_b64 exec, exec, s[2:3]
	v_mov_b32_e32 v36, s6
	s_and_saveexec_b64 s[2:3], s[0:1]
	s_cbranch_execnz .LBB85_380
.LBB85_201:
	s_or_b64 exec, exec, s[2:3]
	v_cmp_eq_u32_e32 vcc, v36, v35
	s_and_saveexec_b64 s[0:1], vcc
	s_cbranch_execz .LBB85_203
.LBB85_202:
	ds_read_u8 v35, v8 offset:8193
	ds_read_u8 v36, v7 offset:8192
	ds_write_b64 v1, v[4:5]
	v_add_u32_e32 v4, v7, v9
	ds_write_b64 v4, v[2:3] offset:8
	s_waitcnt lgkmcnt(3)
	ds_write_b8 v7, v35 offset:8192
	s_waitcnt lgkmcnt(3)
	ds_write_b8 v8, v36 offset:8193
.LBB85_203:
	s_or_b64 exec, exec, s[0:1]
	v_and_b32_e32 v2, 0x1ff, v0
	v_sub_u32_e32 v36, v6, v2
	v_add_u32_e32 v35, 8, v36
	v_lshl_add_u32 v37, v36, 3, 8
	v_mad_i32_i24 v4, v36, 7, v35
	s_waitcnt lgkmcnt(0)
	s_barrier
	ds_read_b64 v[2:3], v37
	ds_read_b64 v[4:5], v4 offset:4096
                                        ; implicit-def: $sgpr6
	s_waitcnt lgkmcnt(0)
	v_cmp_ge_i64_e64 s[0:1], v[2:3], v[4:5]
	v_cmp_lt_i64_e32 vcc, v[2:3], v[4:5]
	s_and_saveexec_b64 s[2:3], vcc
	s_cbranch_execnz .LBB85_381
; %bb.204:
	s_or_b64 exec, exec, s[2:3]
	v_mov_b32_e32 v38, s6
	s_and_saveexec_b64 s[2:3], s[0:1]
	s_cbranch_execnz .LBB85_382
.LBB85_205:
	s_or_b64 exec, exec, s[2:3]
	v_cmp_eq_u32_e32 vcc, 0, v38
	s_and_saveexec_b64 s[0:1], vcc
	s_cbranch_execz .LBB85_207
.LBB85_206:
	ds_read_u8 v38, v35 offset:8192
	ds_read_u8 v39, v35 offset:8704
	v_mul_i32_i24_e32 v36, 7, v36
	ds_write_b64 v37, v[4:5]
	v_add_u32_e32 v4, v35, v36
	ds_write_b64 v4, v[2:3] offset:4096
	s_waitcnt lgkmcnt(2)
	ds_write_b8 v35, v39 offset:8192
	ds_write_b8 v35, v38 offset:8704
.LBB85_207:
	s_or_b64 exec, exec, s[0:1]
	s_waitcnt lgkmcnt(0)
	s_barrier
	ds_read_b64 v[2:3], v33
	ds_read_b64 v[4:5], v34 offset:2048
                                        ; implicit-def: $sgpr6
	s_waitcnt lgkmcnt(0)
	v_cmp_ge_i64_e64 s[0:1], v[2:3], v[4:5]
	v_cmp_lt_i64_e32 vcc, v[2:3], v[4:5]
	s_and_saveexec_b64 s[2:3], vcc
	s_cbranch_execnz .LBB85_383
; %bb.208:
	s_or_b64 exec, exec, s[2:3]
	v_mov_b32_e32 v35, s6
	s_and_saveexec_b64 s[2:3], s[0:1]
	s_cbranch_execnz .LBB85_384
.LBB85_209:
	s_or_b64 exec, exec, s[2:3]
	v_cmp_eq_u32_e32 vcc, 0, v35
	s_and_saveexec_b64 s[0:1], vcc
	s_cbranch_execz .LBB85_211
.LBB85_210:
	ds_read_u8 v35, v32 offset:8448
	ds_read_u8 v36, v32 offset:8192
	ds_write_b64 v33, v[4:5]
	ds_write_b64 v34, v[2:3] offset:2048
	s_waitcnt lgkmcnt(3)
	ds_write_b8 v32, v35 offset:8192
	s_waitcnt lgkmcnt(3)
	ds_write_b8 v32, v36 offset:8448
.LBB85_211:
	s_or_b64 exec, exec, s[0:1]
	s_waitcnt lgkmcnt(0)
	s_barrier
	ds_read_b64 v[2:3], v30
	ds_read_b64 v[4:5], v31 offset:1024
                                        ; implicit-def: $sgpr6
	s_waitcnt lgkmcnt(0)
	v_cmp_ge_i64_e64 s[0:1], v[2:3], v[4:5]
	v_cmp_lt_i64_e32 vcc, v[2:3], v[4:5]
	s_and_saveexec_b64 s[2:3], vcc
	s_cbranch_execnz .LBB85_385
; %bb.212:
	s_or_b64 exec, exec, s[2:3]
	v_mov_b32_e32 v32, s6
	s_and_saveexec_b64 s[2:3], s[0:1]
	s_cbranch_execnz .LBB85_386
.LBB85_213:
	s_or_b64 exec, exec, s[2:3]
	v_cmp_eq_u32_e32 vcc, 0, v32
	s_and_saveexec_b64 s[0:1], vcc
	s_cbranch_execz .LBB85_215
.LBB85_214:
	ds_read_u8 v32, v29 offset:8320
	ds_read_u8 v33, v29 offset:8192
	ds_write_b64 v30, v[4:5]
	ds_write_b64 v31, v[2:3] offset:1024
	s_waitcnt lgkmcnt(3)
	ds_write_b8 v29, v32 offset:8192
	s_waitcnt lgkmcnt(3)
	ds_write_b8 v29, v33 offset:8320
.LBB85_215:
	s_or_b64 exec, exec, s[0:1]
	s_waitcnt lgkmcnt(0)
	s_barrier
	ds_read_b64 v[2:3], v27
	ds_read_b64 v[4:5], v28 offset:512
	s_waitcnt lgkmcnt(0)
	v_cmp_ge_i64_e64 s[2:3], v[2:3], v[4:5]
	v_cmp_lt_i64_e32 vcc, v[2:3], v[4:5]
	s_and_saveexec_b64 s[0:1], vcc
	s_cbranch_execz .LBB85_217
; %bb.216:
	ds_read_u8 v29, v26 offset:8192
	s_andn2_b64 s[2:3], s[2:3], exec
	s_waitcnt lgkmcnt(0)
	v_and_b32_e32 v29, 1, v29
	v_cmp_eq_u32_e32 vcc, 1, v29
	s_xor_b64 s[6:7], vcc, -1
	s_and_b64 s[6:7], s[6:7], exec
	s_or_b64 s[2:3], s[2:3], s[6:7]
.LBB85_217:
	s_or_b64 exec, exec, s[0:1]
	s_and_saveexec_b64 s[0:1], s[2:3]
	s_cbranch_execz .LBB85_220
; %bb.218:
	ds_read_u8 v29, v26 offset:8256
	s_waitcnt lgkmcnt(0)
	v_cmp_ne_u16_e32 vcc, 0, v29
	s_and_b64 exec, exec, vcc
	s_cbranch_execz .LBB85_220
; %bb.219:
	ds_read_u8 v30, v26 offset:8192
	ds_write_b64 v27, v[4:5]
	ds_write_b64 v28, v[2:3] offset:512
	ds_write_b8 v26, v29 offset:8192
	s_waitcnt lgkmcnt(3)
	ds_write_b8 v26, v30 offset:8256
.LBB85_220:
	s_or_b64 exec, exec, s[0:1]
	s_waitcnt lgkmcnt(0)
	s_barrier
	ds_read_b64 v[2:3], v24
	ds_read_b64 v[4:5], v25 offset:256
	s_waitcnt lgkmcnt(0)
	v_cmp_ge_i64_e64 s[2:3], v[2:3], v[4:5]
	v_cmp_lt_i64_e32 vcc, v[2:3], v[4:5]
	s_and_saveexec_b64 s[0:1], vcc
	s_cbranch_execz .LBB85_222
; %bb.221:
	ds_read_u8 v26, v23 offset:8192
	s_andn2_b64 s[2:3], s[2:3], exec
	s_waitcnt lgkmcnt(0)
	v_and_b32_e32 v26, 1, v26
	v_cmp_eq_u32_e32 vcc, 1, v26
	s_xor_b64 s[6:7], vcc, -1
	s_and_b64 s[6:7], s[6:7], exec
	s_or_b64 s[2:3], s[2:3], s[6:7]
.LBB85_222:
	s_or_b64 exec, exec, s[0:1]
	s_and_saveexec_b64 s[0:1], s[2:3]
	s_cbranch_execz .LBB85_225
; %bb.223:
	ds_read_u8 v26, v23 offset:8224
	s_waitcnt lgkmcnt(0)
	v_cmp_ne_u16_e32 vcc, 0, v26
	s_and_b64 exec, exec, vcc
	s_cbranch_execz .LBB85_225
; %bb.224:
	ds_read_u8 v27, v23 offset:8192
	ds_write_b64 v24, v[4:5]
	ds_write_b64 v25, v[2:3] offset:256
	ds_write_b8 v23, v26 offset:8192
	s_waitcnt lgkmcnt(3)
	ds_write_b8 v23, v27 offset:8224
.LBB85_225:
	;; [unrolled: 37-line block ×6, first 2 shown]
	s_or_b64 exec, exec, s[0:1]
	s_waitcnt lgkmcnt(0)
	s_barrier
	ds_read2_b64 v[2:5], v1 offset1:1
	s_waitcnt lgkmcnt(0)
	v_cmp_ge_i64_e64 s[2:3], v[2:3], v[4:5]
	v_cmp_lt_i64_e32 vcc, v[2:3], v[4:5]
	s_and_saveexec_b64 s[0:1], vcc
	s_cbranch_execz .LBB85_247
; %bb.246:
	ds_read_u8 v10, v7 offset:8192
	s_andn2_b64 s[2:3], s[2:3], exec
	s_waitcnt lgkmcnt(0)
	v_and_b32_e32 v10, 1, v10
	v_cmp_eq_u32_e32 vcc, 1, v10
	s_xor_b64 s[6:7], vcc, -1
	s_and_b64 s[6:7], s[6:7], exec
	s_or_b64 s[2:3], s[2:3], s[6:7]
.LBB85_247:
	s_or_b64 exec, exec, s[0:1]
	s_and_saveexec_b64 s[0:1], s[2:3]
	s_cbranch_execz .LBB85_250
; %bb.248:
	ds_read_u8 v10, v8 offset:8193
	s_waitcnt lgkmcnt(0)
	v_cmp_ne_u16_e32 vcc, 0, v10
	s_and_b64 exec, exec, vcc
	s_cbranch_execz .LBB85_250
; %bb.249:
	ds_read_u8 v11, v7 offset:8192
	ds_write_b64 v1, v[4:5]
	v_add_u32_e32 v4, v7, v9
	ds_write_b64 v4, v[2:3] offset:8
	ds_write_b8 v7, v10 offset:8192
	s_waitcnt lgkmcnt(3)
	ds_write_b8 v8, v11 offset:8193
.LBB85_250:
	s_or_b64 exec, exec, s[0:1]
	v_cmp_eq_u32_e32 vcc, 0, v0
	s_waitcnt lgkmcnt(0)
	s_barrier
	s_barrier
	s_and_saveexec_b64 s[0:1], vcc
	s_cbranch_execz .LBB85_252
; %bb.251:
	v_mov_b32_e32 v2, 8
	v_mov_b32_e32 v3, 1
	ds_write_b8 v2, v3 offset:8196
	v_mov_b32_e32 v3, 0
	ds_write_b32 v2, v3 offset:8192
.LBB85_252:
	s_or_b64 exec, exec, s[0:1]
	ds_read2_b64 v[2:5], v1 offset1:1
	s_add_i32 s10, 8, 0x2000
	v_lshl_add_u32 v1, v6, 3, s10
	s_waitcnt lgkmcnt(0)
	v_cmp_ne_u64_e64 s[0:1], v[2:3], v[4:5]
	v_cndmask_b32_e64 v7, 0, 1, s[0:1]
	v_cmp_eq_u64_e64 s[0:1], v[2:3], v[4:5]
	v_cndmask_b32_e64 v2, 0, 1, s[0:1]
	s_movk_i32 s0, 0x1ff
	ds_write_b32 v1, v2 offset:8
	v_cmp_gt_u32_e64 s[2:3], s0, v0
	v_lshl_add_u32 v2, v6, 3, 8
	ds_write_b8 v1, v7 offset:12
	s_and_saveexec_b64 s[6:7], s[2:3]
	s_cbranch_execz .LBB85_254
; %bb.253:
	ds_read_b64 v[8:9], v2 offset:16
	s_waitcnt lgkmcnt(0)
	v_cmp_ne_u64_e64 s[0:1], v[4:5], v[8:9]
	v_cndmask_b32_e64 v3, 0, 1, s[0:1]
	v_cmp_eq_u64_e64 s[0:1], v[4:5], v[8:9]
	v_cndmask_b32_e64 v4, 0, 1, s[0:1]
	ds_write_b8 v1, v3 offset:20
	ds_write_b32 v1, v4 offset:16
.LBB85_254:
	s_or_b64 exec, exec, s[6:7]
	s_movk_i32 s0, 0x200
	v_cmp_gt_u32_e64 s[0:1], s0, v0
	s_waitcnt lgkmcnt(0)
	s_barrier
	s_and_saveexec_b64 s[6:7], s[0:1]
	s_cbranch_execz .LBB85_256
; %bb.255:
	ds_read_u8 v3, v1 offset:12
	ds_read_b32 v4, v2 offset:8192
	ds_read_b32 v5, v1 offset:8
	ds_read_u8 v7, v2 offset:8196
	s_waitcnt lgkmcnt(3)
	v_and_b32_e32 v8, 1, v3
	v_cmp_eq_u32_e64 s[0:1], 1, v8
	s_waitcnt lgkmcnt(2)
	v_cndmask_b32_e64 v4, v4, 0, s[0:1]
	s_waitcnt lgkmcnt(0)
	v_or_b32_e32 v3, v7, v3
	v_add_u32_e32 v4, v4, v5
	v_and_b32_e32 v3, 1, v3
	ds_write2_b32 v1, v4, v3 offset0:2 offset1:3
.LBB85_256:
	s_or_b64 exec, exec, s[6:7]
	v_add_u32_e32 v13, 2, v6
	v_lshlrev_b32_e32 v3, 1, v13
	s_movk_i32 s0, 0x100
	v_add_u32_e32 v4, -1, v3
	v_cmp_gt_u32_e64 s[0:1], s0, v0
	s_waitcnt lgkmcnt(0)
	s_barrier
	s_and_saveexec_b64 s[6:7], s[0:1]
	s_cbranch_execz .LBB85_258
; %bb.257:
	v_lshl_add_u32 v5, v4, 3, 8
	ds_read_b32 v7, v5 offset:8192
	ds_read_u8 v8, v5 offset:8196
	v_lshl_add_u32 v9, v3, 3, 8
	ds_read_b32 v10, v9 offset:8168
	ds_read_u8 v9, v9 offset:8172
	v_add_u32_e32 v5, 0x2000, v5
	s_waitcnt lgkmcnt(2)
	v_and_b32_e32 v11, 1, v8
	v_cmp_eq_u32_e64 s[0:1], 1, v11
	s_waitcnt lgkmcnt(1)
	v_cndmask_b32_e64 v10, v10, 0, s[0:1]
	s_waitcnt lgkmcnt(0)
	v_or_b32_e32 v8, v9, v8
	v_add_u32_e32 v7, v10, v7
	v_and_b32_e32 v8, 1, v8
	ds_write2_b32 v5, v7, v8 offset1:1
.LBB85_258:
	s_or_b64 exec, exec, s[6:7]
	s_movk_i32 s0, 0x80
	v_lshlrev_b32_e32 v5, 2, v13
	v_add_u32_e32 v4, v4, v3
	v_cmp_gt_u32_e64 s[0:1], s0, v0
	s_waitcnt lgkmcnt(0)
	s_barrier
	s_and_saveexec_b64 s[6:7], s[0:1]
	s_cbranch_execz .LBB85_260
; %bb.259:
	v_lshl_add_u32 v7, v4, 3, 8
	ds_read_b32 v8, v7 offset:8192
	ds_read_u8 v9, v7 offset:8196
	v_lshl_add_u32 v10, v5, 3, 8
	ds_read_b32 v11, v10 offset:8152
	ds_read_u8 v10, v10 offset:8156
	v_add_u32_e32 v7, 0x2000, v7
	s_waitcnt lgkmcnt(2)
	v_and_b32_e32 v12, 1, v9
	v_cmp_eq_u32_e64 s[0:1], 1, v12
	s_waitcnt lgkmcnt(1)
	v_cndmask_b32_e64 v11, v11, 0, s[0:1]
	s_waitcnt lgkmcnt(0)
	v_or_b32_e32 v9, v10, v9
	v_add_u32_e32 v8, v11, v8
	v_and_b32_e32 v9, 1, v9
	ds_write2_b32 v7, v8, v9 offset1:1
.LBB85_260:
	s_or_b64 exec, exec, s[6:7]
	v_lshlrev_b32_e32 v8, 3, v13
	v_add_u32_e32 v7, v4, v5
	v_cmp_gt_u32_e64 s[0:1], 64, v0
	s_waitcnt lgkmcnt(0)
	s_barrier
	s_and_saveexec_b64 s[8:9], s[0:1]
	s_cbranch_execz .LBB85_262
; %bb.261:
	v_lshl_add_u32 v9, v7, 3, 8
	ds_read_b32 v10, v9 offset:8192
	ds_read_u8 v11, v9 offset:8196
	v_lshl_add_u32 v12, v8, 3, 8
	ds_read_b32 v14, v12 offset:8120
	ds_read_u8 v12, v12 offset:8124
	v_add_u32_e32 v9, 0x2000, v9
	s_waitcnt lgkmcnt(2)
	v_and_b32_e32 v15, 1, v11
	v_cmp_eq_u32_e64 s[6:7], 1, v15
	s_waitcnt lgkmcnt(1)
	v_cndmask_b32_e64 v14, v14, 0, s[6:7]
	s_waitcnt lgkmcnt(0)
	v_or_b32_e32 v11, v12, v11
	v_add_u32_e32 v10, v14, v10
	v_and_b32_e32 v11, 1, v11
	ds_write2_b32 v9, v10, v11 offset1:1
.LBB85_262:
	s_or_b64 exec, exec, s[8:9]
	;; [unrolled: 27-line block ×6, first 2 shown]
	v_add_u32_e32 v19, v17, v18
	v_cmp_gt_u32_e64 s[6:7], 2, v0
	v_lshl_add_u32 v19, v19, 3, 8
	s_waitcnt lgkmcnt(0)
	s_barrier
	s_and_saveexec_b64 s[8:9], s[6:7]
	s_cbranch_execz .LBB85_272
; %bb.271:
	ds_read_u8 v21, v19 offset:8196
	v_lshl_add_u32 v13, v13, 11, 8
	ds_read_b32 v22, v13 offset:6136
	ds_read_b32 v23, v19 offset:8192
	ds_read_u8 v13, v13 offset:6140
	v_add_u32_e32 v20, 0x2000, v19
	s_waitcnt lgkmcnt(3)
	v_and_b32_e32 v24, 1, v21
	v_cmp_eq_u32_e64 s[6:7], 1, v24
	s_waitcnt lgkmcnt(2)
	v_cndmask_b32_e64 v22, v22, 0, s[6:7]
	s_waitcnt lgkmcnt(0)
	v_or_b32_e32 v13, v13, v21
	v_add_u32_e32 v22, v22, v23
	v_and_b32_e32 v13, 1, v13
	ds_write2_b32 v20, v22, v13 offset1:1
.LBB85_272:
	s_or_b64 exec, exec, s[8:9]
	s_waitcnt lgkmcnt(0)
	s_barrier
	s_and_saveexec_b64 s[8:9], vcc
	s_cbranch_execz .LBB85_274
; %bb.273:
	v_mov_b32_e32 v13, 8
	s_movk_i32 s6, 0xf8
	ds_read_u8 v22, v13 offset:16380
	v_add_u32_e64 v20, s6, 8
	ds_read2st64_b32 v[20:21], v20 offset0:47 offset1:63
	ds_read_u8 v13, v13 offset:12284
	s_add_i32 s11, 8, 0x3ff8
	s_waitcnt lgkmcnt(2)
	v_and_b32_e32 v23, 1, v22
	v_cmp_eq_u32_e64 s[6:7], 1, v23
	s_waitcnt lgkmcnt(1)
	v_cndmask_b32_e64 v20, v20, 0, s[6:7]
	s_waitcnt lgkmcnt(0)
	v_or_b32_e32 v13, v13, v22
	v_add_u32_e32 v20, v20, v21
	v_and_b32_e32 v13, 1, v13
	v_mov_b32_e32 v21, s11
	ds_write2_b32 v21, v20, v13 offset1:1
.LBB85_274:
	s_or_b64 exec, exec, s[8:9]
	s_waitcnt lgkmcnt(0)
	s_barrier
	s_and_saveexec_b64 s[8:9], vcc
	s_cbranch_execz .LBB85_276
; %bb.275:
	v_mov_b32_e32 v13, 8
	ds_read_u8 v20, v13 offset:14332
	ds_read_b32 v13, v13 offset:14328
	ds_read_b32 v21, v19 offset:8192
	ds_read_u8 v19, v19 offset:8196
	s_add_i32 s11, 8, 0x37f8
	s_waitcnt lgkmcnt(3)
	v_and_b32_e32 v22, 1, v20
	v_cmp_eq_u32_e64 s[6:7], 1, v22
	s_waitcnt lgkmcnt(1)
	v_cndmask_b32_e64 v21, v21, 0, s[6:7]
	s_waitcnt lgkmcnt(0)
	v_or_b32_e32 v19, v19, v20
	v_add_u32_e32 v13, v21, v13
	v_and_b32_e32 v19, 1, v19
	v_mov_b32_e32 v20, s11
	ds_write2_b32 v20, v13, v19 offset1:1
.LBB85_276:
	s_or_b64 exec, exec, s[8:9]
	v_cmp_gt_u32_e64 s[6:7], 3, v0
	s_waitcnt lgkmcnt(0)
	s_barrier
	s_and_saveexec_b64 s[8:9], s[6:7]
	s_cbranch_execz .LBB85_278
; %bb.277:
	v_lshl_add_u32 v13, v18, 3, s10
	ds_read_u8 v18, v13 offset:1020
	v_lshl_add_u32 v17, v17, 3, s10
	ds_read_b32 v19, v17
	ds_read_b32 v20, v13 offset:1016
	ds_read_u8 v17, v17 offset:4
	s_waitcnt lgkmcnt(3)
	v_and_b32_e32 v21, 1, v18
	v_cmp_eq_u32_e64 s[6:7], 1, v21
	s_waitcnt lgkmcnt(2)
	v_cndmask_b32_e64 v19, v19, 0, s[6:7]
	s_waitcnt lgkmcnt(0)
	v_or_b32_e32 v17, v17, v18
	v_add_u32_e32 v19, v19, v20
	v_and_b32_e32 v17, 1, v17
	ds_write2_b32 v13, v19, v17 offset0:254 offset1:255
.LBB85_278:
	s_or_b64 exec, exec, s[8:9]
	v_cmp_gt_u32_e64 s[6:7], 7, v0
	s_waitcnt lgkmcnt(0)
	s_barrier
	s_and_saveexec_b64 s[8:9], s[6:7]
	s_cbranch_execz .LBB85_280
; %bb.279:
	v_lshl_add_u32 v13, v15, 3, s10
	ds_read_u8 v15, v13 offset:508
	v_lshl_add_u32 v14, v14, 3, s10
	ds_read_b32 v17, v14
	ds_read_b32 v18, v13 offset:504
	ds_read_u8 v14, v14 offset:4
	s_waitcnt lgkmcnt(3)
	v_and_b32_e32 v19, 1, v15
	v_cmp_eq_u32_e64 s[6:7], 1, v19
	s_waitcnt lgkmcnt(2)
	v_cndmask_b32_e64 v17, v17, 0, s[6:7]
	s_waitcnt lgkmcnt(0)
	v_or_b32_e32 v14, v14, v15
	v_add_u32_e32 v17, v17, v18
	v_and_b32_e32 v14, 1, v14
	ds_write2_b32 v13, v17, v14 offset0:126 offset1:127
.LBB85_280:
	;; [unrolled: 24-line block ×5, first 2 shown]
	s_or_b64 exec, exec, s[8:9]
	s_movk_i32 s6, 0x7f
	v_cmp_gt_u32_e64 s[6:7], s6, v0
	s_waitcnt lgkmcnt(0)
	s_barrier
	s_and_saveexec_b64 s[8:9], s[6:7]
	s_cbranch_execz .LBB85_288
; %bb.287:
	v_lshl_add_u32 v5, v5, 3, s10
	ds_read_u8 v7, v5 offset:28
	v_lshl_add_u32 v4, v4, 3, s10
	ds_read_b32 v8, v4
	ds_read_b32 v9, v5 offset:24
	ds_read_u8 v4, v4 offset:4
	s_waitcnt lgkmcnt(3)
	v_and_b32_e32 v10, 1, v7
	v_cmp_eq_u32_e64 s[6:7], 1, v10
	s_waitcnt lgkmcnt(2)
	v_cndmask_b32_e64 v8, v8, 0, s[6:7]
	s_waitcnt lgkmcnt(0)
	v_or_b32_e32 v4, v4, v7
	v_add_u32_e32 v8, v8, v9
	v_and_b32_e32 v4, 1, v4
	ds_write2_b32 v5, v8, v4 offset0:6 offset1:7
.LBB85_288:
	s_or_b64 exec, exec, s[8:9]
	s_movk_i32 s6, 0xff
	v_cmp_gt_u32_e64 s[6:7], s6, v0
	s_waitcnt lgkmcnt(0)
	s_barrier
	s_and_saveexec_b64 s[8:9], s[6:7]
	s_cbranch_execz .LBB85_290
; %bb.289:
	v_lshl_add_u32 v3, v3, 3, s10
	ds_read_u8 v4, v3 offset:12
	v_add_u32_e32 v5, -8, v3
	ds_read_b32 v7, v5
	ds_read_b32 v8, v3 offset:8
	ds_read_u8 v5, v5 offset:4
	s_waitcnt lgkmcnt(3)
	v_and_b32_e32 v9, 1, v4
	v_cmp_eq_u32_e64 s[6:7], 1, v9
	s_waitcnt lgkmcnt(2)
	v_cndmask_b32_e64 v7, v7, 0, s[6:7]
	s_waitcnt lgkmcnt(0)
	v_or_b32_e32 v4, v5, v4
	v_add_u32_e32 v7, v7, v8
	v_and_b32_e32 v4, 1, v4
	ds_write2_b32 v3, v7, v4 offset0:2 offset1:3
.LBB85_290:
	s_or_b64 exec, exec, s[8:9]
	s_waitcnt lgkmcnt(0)
	s_barrier
	s_and_saveexec_b64 s[6:7], s[2:3]
	s_cbranch_execz .LBB85_292
; %bb.291:
	ds_read_u8 v3, v1 offset:20
	ds_read_u8 v7, v1 offset:12
	ds_read2_b32 v[4:5], v1 offset0:2 offset1:4
	s_waitcnt lgkmcnt(2)
	v_and_b32_e32 v8, 1, v3
	v_cmp_eq_u32_e64 s[2:3], 1, v8
	s_waitcnt lgkmcnt(1)
	v_or_b32_e32 v3, v7, v3
	s_waitcnt lgkmcnt(0)
	v_cndmask_b32_e64 v4, v4, 0, s[2:3]
	v_add_u32_e32 v4, v4, v5
	v_and_b32_e32 v3, 1, v3
	ds_write2_b32 v1, v4, v3 offset0:4 offset1:5
.LBB85_292:
	s_or_b64 exec, exec, s[6:7]
	s_waitcnt lgkmcnt(0)
	s_barrier
	ds_read_b32 v3, v2 offset:8192
	ds_read_b32 v1, v1 offset:8
	v_or_b32_e32 v2, 1, v6
	v_cmp_gt_u32_e64 s[6:7], s16, v2
	v_cmp_gt_u32_e64 s[2:3], s16, v6
	s_waitcnt lgkmcnt(1)
	v_cndmask_b32_e64 v3, 0, v3, s[2:3]
	s_waitcnt lgkmcnt(0)
	v_cndmask_b32_e64 v5, 0, v1, s[6:7]
	v_mbcnt_lo_u32_b32 v1, -1, 0
	v_mbcnt_hi_u32_b32 v12, -1, v1
	v_and_b32_e32 v13, 63, v12
	v_cmp_gt_u32_e64 s[8:9], 32, v13
	v_cndmask_b32_e64 v1, 0, 1, s[8:9]
	v_lshlrev_b32_e32 v1, 5, v1
	v_cndmask_b32_e64 v4, 0, v6, s[2:3]
	v_max_u32_e32 v7, v5, v3
	v_add_lshl_u32 v1, v1, v12, 2
	v_cndmask_b32_e64 v8, 0, v2, s[6:7]
	v_cmp_gt_u32_e64 s[8:9], v5, v3
	ds_bpermute_b32 v9, v1, v7
	v_cndmask_b32_e64 v3, v4, v8, s[8:9]
	ds_bpermute_b32 v4, v1, v3
	v_cmp_gt_u32_e64 s[8:9], 48, v13
	v_cndmask_b32_e64 v8, 0, 1, s[8:9]
	v_lshlrev_b32_e32 v8, 4, v8
	s_waitcnt lgkmcnt(1)
	v_max_u32_e32 v5, v9, v7
	v_add_lshl_u32 v8, v8, v12, 2
	v_cmp_gt_u32_e64 s[8:9], v9, v7
	ds_bpermute_b32 v10, v8, v5
	s_waitcnt lgkmcnt(1)
	v_cndmask_b32_e64 v3, v3, v4, s[8:9]
	ds_bpermute_b32 v4, v8, v3
	v_cmp_gt_u32_e64 s[8:9], 56, v13
	v_cndmask_b32_e64 v9, 0, 1, s[8:9]
	v_lshlrev_b32_e32 v9, 3, v9
	s_waitcnt lgkmcnt(1)
	v_max_u32_e32 v7, v10, v5
	v_add_lshl_u32 v9, v9, v12, 2
	v_cmp_gt_u32_e64 s[8:9], v10, v5
	ds_bpermute_b32 v11, v9, v7
	s_waitcnt lgkmcnt(1)
	;; [unrolled: 11-line block ×4, first 2 shown]
	v_cndmask_b32_e64 v4, v3, v4, s[8:9]
	ds_bpermute_b32 v5, v11, v4
	s_waitcnt lgkmcnt(0)
	s_barrier
	v_cmp_gt_u32_e64 s[8:9], v15, v7
	v_max_u32_e32 v3, v15, v7
	v_cndmask_b32_e64 v4, v4, v5, s[8:9]
	v_cmp_ne_u32_e64 s[8:9], 63, v13
	v_addc_co_u32_e64 v5, s[8:9], 0, v12, s[8:9]
	v_lshlrev_b32_e32 v12, 2, v5
	ds_bpermute_b32 v5, v12, v4
	ds_bpermute_b32 v7, v12, v3
	v_cmp_eq_u32_e64 s[8:9], 0, v16
	s_waitcnt lgkmcnt(0)
	s_barrier
	s_and_saveexec_b64 s[12:13], s[8:9]
	s_cbranch_execz .LBB85_294
; %bb.293:
	v_lshrrev_b32_e32 v13, 3, v0
	v_add_u32_e32 v13, 8, v13
	v_cmp_gt_u32_e64 s[10:11], v7, v3
	v_add_u32_e32 v13, 0x2000, v13
	v_cndmask_b32_e64 v4, v4, v5, s[10:11]
	v_max_u32_e32 v3, v7, v3
	ds_write2_b32 v13, v3, v4 offset1:1
.LBB85_294:
	s_or_b64 exec, exec, s[12:13]
	s_lshr_b32 s10, s20, 6
	v_cmp_gt_u32_e64 s[10:11], s10, v0
	v_lshl_add_u32 v13, v16, 3, 8
	v_mov_b32_e32 v3, 0
	v_mov_b32_e32 v4, 0
	s_waitcnt lgkmcnt(0)
	s_barrier
	s_and_saveexec_b64 s[12:13], s[10:11]
	s_cbranch_execnz .LBB85_387
; %bb.295:
	s_or_b64 exec, exec, s[12:13]
	s_and_saveexec_b64 s[12:13], s[10:11]
	s_cbranch_execnz .LBB85_388
.LBB85_296:
	s_or_b64 exec, exec, s[12:13]
	s_and_saveexec_b64 s[20:21], s[0:1]
	s_cbranch_execnz .LBB85_389
.LBB85_297:
	s_or_b64 exec, exec, s[20:21]
	s_and_saveexec_b64 s[12:13], vcc
	s_cbranch_execz .LBB85_299
.LBB85_298:
	s_waitcnt lgkmcnt(0)
	v_lshl_add_u32 v3, v3, 3, 8
	ds_read_b64 v[4:5], v3
	v_mov_b32_e32 v3, 0
	s_waitcnt lgkmcnt(0)
	ds_write_b64 v3, v[4:5]
.LBB85_299:
	s_or_b64 exec, exec, s[12:13]
	s_mov_b32 s20, 0
	v_mov_b32_e32 v7, 0
	s_mov_b32 s21, s20
	v_cmp_gt_i64_e64 s[12:13], s[16:17], v[6:7]
	s_waitcnt lgkmcnt(0)
	v_pk_mov_b32 v[4:5], s[20:21], s[20:21] op_sel:[0,1]
	s_barrier
	s_and_saveexec_b64 s[20:21], s[12:13]
	s_cbranch_execz .LBB85_301
; %bb.300:
	v_add_u32_e32 v4, s15, v6
	v_mov_b32_e32 v5, v7
	v_lshlrev_b64 v[4:5], 3, v[4:5]
	v_mov_b32_e32 v3, s19
	v_add_co_u32_e64 v4, s[12:13], s18, v4
	v_addc_co_u32_e64 v5, s[12:13], v3, v5, s[12:13]
	global_load_dwordx2 v[4:5], v[4:5], off
	ds_read_b64 v[14:15], v7
	s_waitcnt vmcnt(0) lgkmcnt(0)
	v_cmp_eq_u64_e64 s[12:13], v[4:5], v[14:15]
	v_cndmask_b32_e64 v6, 0, v6, s[12:13]
	v_pk_mov_b32 v[4:5], v[6:7], v[6:7] op_sel:[0,1]
.LBB85_301:
	s_or_b64 exec, exec, s[20:21]
	v_mov_b32_e32 v3, v7
	v_cmp_gt_i64_e64 s[12:13], s[16:17], v[2:3]
	s_and_saveexec_b64 s[16:17], s[12:13]
	s_cbranch_execz .LBB85_303
; %bb.302:
	v_add_u32_e32 v6, s15, v2
	v_mov_b32_e32 v7, 0
	v_lshlrev_b64 v[14:15], 3, v[6:7]
	v_mov_b32_e32 v3, s19
	v_add_co_u32_e64 v14, s[12:13], s18, v14
	v_addc_co_u32_e64 v15, s[12:13], v3, v15, s[12:13]
	global_load_dwordx2 v[14:15], v[14:15], off
	ds_read_b64 v[6:7], v7
	s_waitcnt vmcnt(0) lgkmcnt(0)
	v_cmp_eq_u64_e64 s[12:13], v[14:15], v[6:7]
	v_cndmask_b32_e64 v5, 0, v2, s[12:13]
.LBB85_303:
	s_or_b64 exec, exec, s[16:17]
	v_cndmask_b32_e64 v2, 0, v4, s[2:3]
	v_cndmask_b32_e64 v3, 0, v5, s[6:7]
	v_max_u32_e32 v2, v3, v2
	ds_bpermute_b32 v3, v1, v2
	s_waitcnt lgkmcnt(0)
	s_barrier
	v_max_u32_e32 v2, v3, v2
	ds_bpermute_b32 v3, v8, v2
	s_waitcnt lgkmcnt(0)
	v_max_u32_e32 v2, v3, v2
	ds_bpermute_b32 v3, v9, v2
	s_waitcnt lgkmcnt(0)
	;; [unrolled: 3-line block ×4, first 2 shown]
	v_max_u32_e32 v2, v3, v2
	ds_bpermute_b32 v3, v12, v2
	s_and_saveexec_b64 s[2:3], s[8:9]
	s_cbranch_execz .LBB85_305
; %bb.304:
	v_lshrrev_b32_e32 v0, 4, v0
	v_add_u32_e32 v0, 8, v0
	s_waitcnt lgkmcnt(0)
	v_max_u32_e32 v2, v3, v2
	ds_write_b32 v0, v2
.LBB85_305:
	s_or_b64 exec, exec, s[2:3]
	v_mov_b32_e32 v0, 0
	s_waitcnt lgkmcnt(0)
	s_barrier
	s_and_saveexec_b64 s[2:3], s[10:11]
	s_cbranch_execnz .LBB85_390
; %bb.306:
	s_or_b64 exec, exec, s[2:3]
	s_and_saveexec_b64 s[2:3], s[0:1]
	s_cbranch_execnz .LBB85_391
.LBB85_307:
	s_or_b64 exec, exec, s[2:3]
	s_and_saveexec_b64 s[0:1], vcc
	s_cbranch_execnz .LBB85_392
.LBB85_308:
	s_endpgm
.LBB85_309:
	ds_read_u8 v14, v7 offset:8192
	s_andn2_b64 s[0:1], s[0:1], exec
	s_mov_b32 s6, 1
	s_waitcnt lgkmcnt(0)
	v_and_b32_e32 v14, 1, v14
	v_cmp_eq_u32_e32 vcc, 1, v14
	s_xor_b64 s[8:9], vcc, -1
	s_and_b64 s[8:9], s[8:9], exec
	s_or_b64 s[0:1], s[0:1], s[8:9]
	s_or_b64 exec, exec, s[2:3]
	v_mov_b32_e32 v14, s6
	s_and_saveexec_b64 s[2:3], s[0:1]
	s_cbranch_execz .LBB85_19
.LBB85_310:
	ds_read_u8 v14, v8 offset:8193
	s_waitcnt lgkmcnt(0)
	v_xor_b32_e32 v14, 1, v14
	s_or_b64 exec, exec, s[2:3]
	v_cmp_eq_u32_e32 vcc, v14, v13
	s_and_saveexec_b64 s[0:1], vcc
	s_cbranch_execnz .LBB85_20
	s_branch .LBB85_21
.LBB85_311:
	ds_read_u8 v17, v10 offset:8192
	s_andn2_b64 s[0:1], s[0:1], exec
	s_mov_b32 s6, 1
	s_waitcnt lgkmcnt(0)
	v_and_b32_e32 v17, 1, v17
	v_cmp_eq_u32_e32 vcc, 1, v17
	s_xor_b64 s[8:9], vcc, -1
	s_and_b64 s[8:9], s[8:9], exec
	s_or_b64 s[0:1], s[0:1], s[8:9]
	s_or_b64 exec, exec, s[2:3]
	v_mov_b32_e32 v17, s6
	s_and_saveexec_b64 s[2:3], s[0:1]
	s_cbranch_execz .LBB85_29
.LBB85_312:
	ds_read_u8 v17, v10 offset:8194
	s_waitcnt lgkmcnt(0)
	v_xor_b32_e32 v17, 1, v17
	s_or_b64 exec, exec, s[2:3]
	v_cmp_eq_u32_e32 vcc, v17, v16
	s_and_saveexec_b64 s[0:1], vcc
	s_cbranch_execnz .LBB85_30
	s_branch .LBB85_31
.LBB85_313:
	ds_read_u8 v17, v7 offset:8192
	s_andn2_b64 s[0:1], s[0:1], exec
	s_mov_b32 s6, 1
	s_waitcnt lgkmcnt(0)
	v_and_b32_e32 v17, 1, v17
	v_cmp_eq_u32_e32 vcc, 1, v17
	s_xor_b64 s[8:9], vcc, -1
	s_and_b64 s[8:9], s[8:9], exec
	s_or_b64 s[0:1], s[0:1], s[8:9]
	s_or_b64 exec, exec, s[2:3]
	v_mov_b32_e32 v17, s6
	s_and_saveexec_b64 s[2:3], s[0:1]
	s_cbranch_execz .LBB85_33
.LBB85_314:
	ds_read_u8 v17, v8 offset:8193
	s_waitcnt lgkmcnt(0)
	v_xor_b32_e32 v17, 1, v17
	s_or_b64 exec, exec, s[2:3]
	v_cmp_eq_u32_e32 vcc, v17, v16
	s_and_saveexec_b64 s[0:1], vcc
	s_cbranch_execnz .LBB85_34
	s_branch .LBB85_35
.LBB85_315:
	ds_read_u8 v20, v13 offset:8192
	s_andn2_b64 s[0:1], s[0:1], exec
	s_mov_b32 s6, 1
	s_waitcnt lgkmcnt(0)
	v_and_b32_e32 v20, 1, v20
	v_cmp_eq_u32_e32 vcc, 1, v20
	s_xor_b64 s[8:9], vcc, -1
	s_and_b64 s[8:9], s[8:9], exec
	s_or_b64 s[0:1], s[0:1], s[8:9]
	s_or_b64 exec, exec, s[2:3]
	v_mov_b32_e32 v20, s6
	s_and_saveexec_b64 s[2:3], s[0:1]
	s_cbranch_execz .LBB85_43
.LBB85_316:
	ds_read_u8 v20, v13 offset:8196
	s_waitcnt lgkmcnt(0)
	v_xor_b32_e32 v20, 1, v20
	s_or_b64 exec, exec, s[2:3]
	v_cmp_eq_u32_e32 vcc, v20, v16
	s_and_saveexec_b64 s[0:1], vcc
	s_cbranch_execnz .LBB85_44
	s_branch .LBB85_45
.LBB85_317:
	ds_read_u8 v20, v10 offset:8192
	s_andn2_b64 s[0:1], s[0:1], exec
	s_mov_b32 s6, 1
	s_waitcnt lgkmcnt(0)
	v_and_b32_e32 v20, 1, v20
	v_cmp_eq_u32_e32 vcc, 1, v20
	s_xor_b64 s[8:9], vcc, -1
	s_and_b64 s[8:9], s[8:9], exec
	s_or_b64 s[0:1], s[0:1], s[8:9]
	s_or_b64 exec, exec, s[2:3]
	v_mov_b32_e32 v20, s6
	s_and_saveexec_b64 s[2:3], s[0:1]
	s_cbranch_execz .LBB85_47
.LBB85_318:
	ds_read_u8 v20, v10 offset:8194
	s_waitcnt lgkmcnt(0)
	v_xor_b32_e32 v20, 1, v20
	s_or_b64 exec, exec, s[2:3]
	v_cmp_eq_u32_e32 vcc, v20, v16
	s_and_saveexec_b64 s[0:1], vcc
	s_cbranch_execnz .LBB85_48
	s_branch .LBB85_49
.LBB85_319:
	ds_read_u8 v20, v7 offset:8192
	s_andn2_b64 s[0:1], s[0:1], exec
	s_mov_b32 s6, 1
	s_waitcnt lgkmcnt(0)
	v_and_b32_e32 v20, 1, v20
	v_cmp_eq_u32_e32 vcc, 1, v20
	s_xor_b64 s[8:9], vcc, -1
	s_and_b64 s[8:9], s[8:9], exec
	s_or_b64 s[0:1], s[0:1], s[8:9]
	s_or_b64 exec, exec, s[2:3]
	v_mov_b32_e32 v20, s6
	s_and_saveexec_b64 s[2:3], s[0:1]
	s_cbranch_execz .LBB85_51
.LBB85_320:
	ds_read_u8 v20, v8 offset:8193
	s_waitcnt lgkmcnt(0)
	v_xor_b32_e32 v20, 1, v20
	s_or_b64 exec, exec, s[2:3]
	v_cmp_eq_u32_e32 vcc, v20, v16
	s_and_saveexec_b64 s[0:1], vcc
	s_cbranch_execnz .LBB85_52
	s_branch .LBB85_53
.LBB85_321:
	ds_read_u8 v23, v17 offset:8192
	s_andn2_b64 s[0:1], s[0:1], exec
	s_mov_b32 s6, 1
	s_waitcnt lgkmcnt(0)
	v_and_b32_e32 v23, 1, v23
	v_cmp_eq_u32_e32 vcc, 1, v23
	s_xor_b64 s[8:9], vcc, -1
	s_and_b64 s[8:9], s[8:9], exec
	s_or_b64 s[0:1], s[0:1], s[8:9]
	s_or_b64 exec, exec, s[2:3]
	v_mov_b32_e32 v23, s6
	s_and_saveexec_b64 s[2:3], s[0:1]
	s_cbranch_execz .LBB85_61
.LBB85_322:
	ds_read_u8 v23, v17 offset:8200
	s_waitcnt lgkmcnt(0)
	v_xor_b32_e32 v23, 1, v23
	s_or_b64 exec, exec, s[2:3]
	v_cmp_eq_u32_e32 vcc, v23, v16
	s_and_saveexec_b64 s[0:1], vcc
	s_cbranch_execnz .LBB85_62
	s_branch .LBB85_63
.LBB85_323:
	ds_read_u8 v23, v13 offset:8192
	s_andn2_b64 s[0:1], s[0:1], exec
	s_mov_b32 s6, 1
	s_waitcnt lgkmcnt(0)
	v_and_b32_e32 v23, 1, v23
	v_cmp_eq_u32_e32 vcc, 1, v23
	s_xor_b64 s[8:9], vcc, -1
	s_and_b64 s[8:9], s[8:9], exec
	s_or_b64 s[0:1], s[0:1], s[8:9]
	s_or_b64 exec, exec, s[2:3]
	v_mov_b32_e32 v23, s6
	s_and_saveexec_b64 s[2:3], s[0:1]
	s_cbranch_execz .LBB85_65
.LBB85_324:
	ds_read_u8 v23, v13 offset:8196
	s_waitcnt lgkmcnt(0)
	v_xor_b32_e32 v23, 1, v23
	s_or_b64 exec, exec, s[2:3]
	v_cmp_eq_u32_e32 vcc, v23, v16
	s_and_saveexec_b64 s[0:1], vcc
	s_cbranch_execnz .LBB85_66
	s_branch .LBB85_67
.LBB85_325:
	ds_read_u8 v23, v10 offset:8192
	s_andn2_b64 s[0:1], s[0:1], exec
	s_mov_b32 s6, 1
	s_waitcnt lgkmcnt(0)
	v_and_b32_e32 v23, 1, v23
	v_cmp_eq_u32_e32 vcc, 1, v23
	s_xor_b64 s[8:9], vcc, -1
	s_and_b64 s[8:9], s[8:9], exec
	s_or_b64 s[0:1], s[0:1], s[8:9]
	s_or_b64 exec, exec, s[2:3]
	v_mov_b32_e32 v23, s6
	s_and_saveexec_b64 s[2:3], s[0:1]
	s_cbranch_execz .LBB85_69
.LBB85_326:
	ds_read_u8 v23, v10 offset:8194
	s_waitcnt lgkmcnt(0)
	v_xor_b32_e32 v23, 1, v23
	s_or_b64 exec, exec, s[2:3]
	v_cmp_eq_u32_e32 vcc, v23, v16
	s_and_saveexec_b64 s[0:1], vcc
	s_cbranch_execnz .LBB85_70
	s_branch .LBB85_71
.LBB85_327:
	ds_read_u8 v23, v7 offset:8192
	s_andn2_b64 s[0:1], s[0:1], exec
	s_mov_b32 s6, 1
	s_waitcnt lgkmcnt(0)
	v_and_b32_e32 v23, 1, v23
	v_cmp_eq_u32_e32 vcc, 1, v23
	s_xor_b64 s[8:9], vcc, -1
	s_and_b64 s[8:9], s[8:9], exec
	s_or_b64 s[0:1], s[0:1], s[8:9]
	s_or_b64 exec, exec, s[2:3]
	v_mov_b32_e32 v23, s6
	s_and_saveexec_b64 s[2:3], s[0:1]
	s_cbranch_execz .LBB85_73
.LBB85_328:
	ds_read_u8 v23, v8 offset:8193
	s_waitcnt lgkmcnt(0)
	v_xor_b32_e32 v23, 1, v23
	s_or_b64 exec, exec, s[2:3]
	v_cmp_eq_u32_e32 vcc, v23, v16
	s_and_saveexec_b64 s[0:1], vcc
	s_cbranch_execnz .LBB85_74
	s_branch .LBB85_75
.LBB85_329:
	ds_read_u8 v26, v20 offset:8192
	s_andn2_b64 s[0:1], s[0:1], exec
	s_mov_b32 s6, 1
	s_waitcnt lgkmcnt(0)
	v_and_b32_e32 v26, 1, v26
	v_cmp_eq_u32_e32 vcc, 1, v26
	s_xor_b64 s[8:9], vcc, -1
	s_and_b64 s[8:9], s[8:9], exec
	s_or_b64 s[0:1], s[0:1], s[8:9]
	s_or_b64 exec, exec, s[2:3]
	v_mov_b32_e32 v26, s6
	s_and_saveexec_b64 s[2:3], s[0:1]
	s_cbranch_execz .LBB85_83
.LBB85_330:
	ds_read_u8 v26, v20 offset:8208
	s_waitcnt lgkmcnt(0)
	v_xor_b32_e32 v26, 1, v26
	s_or_b64 exec, exec, s[2:3]
	v_cmp_eq_u32_e32 vcc, v26, v16
	s_and_saveexec_b64 s[0:1], vcc
	s_cbranch_execnz .LBB85_84
	s_branch .LBB85_85
.LBB85_331:
	ds_read_u8 v26, v17 offset:8192
	s_andn2_b64 s[0:1], s[0:1], exec
	s_mov_b32 s6, 1
	s_waitcnt lgkmcnt(0)
	v_and_b32_e32 v26, 1, v26
	v_cmp_eq_u32_e32 vcc, 1, v26
	s_xor_b64 s[8:9], vcc, -1
	s_and_b64 s[8:9], s[8:9], exec
	s_or_b64 s[0:1], s[0:1], s[8:9]
	s_or_b64 exec, exec, s[2:3]
	v_mov_b32_e32 v26, s6
	s_and_saveexec_b64 s[2:3], s[0:1]
	s_cbranch_execz .LBB85_87
.LBB85_332:
	ds_read_u8 v26, v17 offset:8200
	s_waitcnt lgkmcnt(0)
	v_xor_b32_e32 v26, 1, v26
	s_or_b64 exec, exec, s[2:3]
	v_cmp_eq_u32_e32 vcc, v26, v16
	s_and_saveexec_b64 s[0:1], vcc
	s_cbranch_execnz .LBB85_88
	s_branch .LBB85_89
.LBB85_333:
	ds_read_u8 v26, v13 offset:8192
	s_andn2_b64 s[0:1], s[0:1], exec
	s_mov_b32 s6, 1
	s_waitcnt lgkmcnt(0)
	v_and_b32_e32 v26, 1, v26
	v_cmp_eq_u32_e32 vcc, 1, v26
	s_xor_b64 s[8:9], vcc, -1
	s_and_b64 s[8:9], s[8:9], exec
	s_or_b64 s[0:1], s[0:1], s[8:9]
	s_or_b64 exec, exec, s[2:3]
	v_mov_b32_e32 v26, s6
	s_and_saveexec_b64 s[2:3], s[0:1]
	s_cbranch_execz .LBB85_91
.LBB85_334:
	ds_read_u8 v26, v13 offset:8196
	s_waitcnt lgkmcnt(0)
	v_xor_b32_e32 v26, 1, v26
	s_or_b64 exec, exec, s[2:3]
	v_cmp_eq_u32_e32 vcc, v26, v16
	s_and_saveexec_b64 s[0:1], vcc
	s_cbranch_execnz .LBB85_92
	s_branch .LBB85_93
.LBB85_335:
	ds_read_u8 v26, v10 offset:8192
	s_andn2_b64 s[0:1], s[0:1], exec
	s_mov_b32 s6, 1
	s_waitcnt lgkmcnt(0)
	v_and_b32_e32 v26, 1, v26
	v_cmp_eq_u32_e32 vcc, 1, v26
	s_xor_b64 s[8:9], vcc, -1
	s_and_b64 s[8:9], s[8:9], exec
	s_or_b64 s[0:1], s[0:1], s[8:9]
	s_or_b64 exec, exec, s[2:3]
	v_mov_b32_e32 v26, s6
	s_and_saveexec_b64 s[2:3], s[0:1]
	s_cbranch_execz .LBB85_95
.LBB85_336:
	ds_read_u8 v26, v10 offset:8194
	s_waitcnt lgkmcnt(0)
	v_xor_b32_e32 v26, 1, v26
	s_or_b64 exec, exec, s[2:3]
	v_cmp_eq_u32_e32 vcc, v26, v16
	s_and_saveexec_b64 s[0:1], vcc
	s_cbranch_execnz .LBB85_96
	s_branch .LBB85_97
.LBB85_337:
	ds_read_u8 v26, v7 offset:8192
	s_andn2_b64 s[0:1], s[0:1], exec
	s_mov_b32 s6, 1
	s_waitcnt lgkmcnt(0)
	v_and_b32_e32 v26, 1, v26
	v_cmp_eq_u32_e32 vcc, 1, v26
	s_xor_b64 s[8:9], vcc, -1
	s_and_b64 s[8:9], s[8:9], exec
	s_or_b64 s[0:1], s[0:1], s[8:9]
	s_or_b64 exec, exec, s[2:3]
	v_mov_b32_e32 v26, s6
	s_and_saveexec_b64 s[2:3], s[0:1]
	s_cbranch_execz .LBB85_99
.LBB85_338:
	ds_read_u8 v26, v8 offset:8193
	s_waitcnt lgkmcnt(0)
	v_xor_b32_e32 v26, 1, v26
	s_or_b64 exec, exec, s[2:3]
	v_cmp_eq_u32_e32 vcc, v26, v16
	s_and_saveexec_b64 s[0:1], vcc
	s_cbranch_execnz .LBB85_100
	s_branch .LBB85_101
.LBB85_339:
	ds_read_u8 v30, v23 offset:8192
	s_andn2_b64 s[0:1], s[0:1], exec
	s_mov_b32 s6, 1
	s_waitcnt lgkmcnt(0)
	v_and_b32_e32 v30, 1, v30
	v_cmp_eq_u32_e32 vcc, 1, v30
	s_xor_b64 s[8:9], vcc, -1
	s_and_b64 s[8:9], s[8:9], exec
	s_or_b64 s[0:1], s[0:1], s[8:9]
	s_or_b64 exec, exec, s[2:3]
	v_mov_b32_e32 v30, s6
	s_and_saveexec_b64 s[2:3], s[0:1]
	s_cbranch_execz .LBB85_109
.LBB85_340:
	ds_read_u8 v30, v23 offset:8224
	s_waitcnt lgkmcnt(0)
	v_xor_b32_e32 v30, 1, v30
	s_or_b64 exec, exec, s[2:3]
	v_cmp_eq_u32_e32 vcc, v30, v29
	s_and_saveexec_b64 s[0:1], vcc
	s_cbranch_execnz .LBB85_110
	s_branch .LBB85_111
.LBB85_341:
	ds_read_u8 v30, v20 offset:8192
	s_andn2_b64 s[0:1], s[0:1], exec
	s_mov_b32 s6, 1
	s_waitcnt lgkmcnt(0)
	v_and_b32_e32 v30, 1, v30
	v_cmp_eq_u32_e32 vcc, 1, v30
	s_xor_b64 s[8:9], vcc, -1
	s_and_b64 s[8:9], s[8:9], exec
	s_or_b64 s[0:1], s[0:1], s[8:9]
	s_or_b64 exec, exec, s[2:3]
	v_mov_b32_e32 v30, s6
	s_and_saveexec_b64 s[2:3], s[0:1]
	s_cbranch_execz .LBB85_113
.LBB85_342:
	ds_read_u8 v30, v20 offset:8208
	s_waitcnt lgkmcnt(0)
	v_xor_b32_e32 v30, 1, v30
	s_or_b64 exec, exec, s[2:3]
	v_cmp_eq_u32_e32 vcc, v30, v29
	s_and_saveexec_b64 s[0:1], vcc
	s_cbranch_execnz .LBB85_114
	s_branch .LBB85_115
.LBB85_343:
	ds_read_u8 v30, v17 offset:8192
	s_andn2_b64 s[0:1], s[0:1], exec
	s_mov_b32 s6, 1
	s_waitcnt lgkmcnt(0)
	v_and_b32_e32 v30, 1, v30
	v_cmp_eq_u32_e32 vcc, 1, v30
	s_xor_b64 s[8:9], vcc, -1
	s_and_b64 s[8:9], s[8:9], exec
	s_or_b64 s[0:1], s[0:1], s[8:9]
	s_or_b64 exec, exec, s[2:3]
	v_mov_b32_e32 v30, s6
	s_and_saveexec_b64 s[2:3], s[0:1]
	s_cbranch_execz .LBB85_117
.LBB85_344:
	ds_read_u8 v30, v17 offset:8200
	s_waitcnt lgkmcnt(0)
	v_xor_b32_e32 v30, 1, v30
	s_or_b64 exec, exec, s[2:3]
	v_cmp_eq_u32_e32 vcc, v30, v29
	s_and_saveexec_b64 s[0:1], vcc
	s_cbranch_execnz .LBB85_118
	s_branch .LBB85_119
.LBB85_345:
	ds_read_u8 v30, v13 offset:8192
	s_andn2_b64 s[0:1], s[0:1], exec
	s_mov_b32 s6, 1
	s_waitcnt lgkmcnt(0)
	v_and_b32_e32 v30, 1, v30
	v_cmp_eq_u32_e32 vcc, 1, v30
	s_xor_b64 s[8:9], vcc, -1
	s_and_b64 s[8:9], s[8:9], exec
	s_or_b64 s[0:1], s[0:1], s[8:9]
	s_or_b64 exec, exec, s[2:3]
	v_mov_b32_e32 v30, s6
	s_and_saveexec_b64 s[2:3], s[0:1]
	s_cbranch_execz .LBB85_121
.LBB85_346:
	ds_read_u8 v30, v13 offset:8196
	s_waitcnt lgkmcnt(0)
	v_xor_b32_e32 v30, 1, v30
	s_or_b64 exec, exec, s[2:3]
	v_cmp_eq_u32_e32 vcc, v30, v29
	s_and_saveexec_b64 s[0:1], vcc
	s_cbranch_execnz .LBB85_122
	s_branch .LBB85_123
.LBB85_347:
	ds_read_u8 v30, v10 offset:8192
	s_andn2_b64 s[0:1], s[0:1], exec
	s_mov_b32 s6, 1
	s_waitcnt lgkmcnt(0)
	v_and_b32_e32 v30, 1, v30
	v_cmp_eq_u32_e32 vcc, 1, v30
	s_xor_b64 s[8:9], vcc, -1
	s_and_b64 s[8:9], s[8:9], exec
	s_or_b64 s[0:1], s[0:1], s[8:9]
	s_or_b64 exec, exec, s[2:3]
	v_mov_b32_e32 v30, s6
	s_and_saveexec_b64 s[2:3], s[0:1]
	s_cbranch_execz .LBB85_125
.LBB85_348:
	ds_read_u8 v30, v10 offset:8194
	s_waitcnt lgkmcnt(0)
	v_xor_b32_e32 v30, 1, v30
	s_or_b64 exec, exec, s[2:3]
	v_cmp_eq_u32_e32 vcc, v30, v29
	s_and_saveexec_b64 s[0:1], vcc
	s_cbranch_execnz .LBB85_126
	s_branch .LBB85_127
.LBB85_349:
	ds_read_u8 v30, v7 offset:8192
	s_andn2_b64 s[0:1], s[0:1], exec
	s_mov_b32 s6, 1
	s_waitcnt lgkmcnt(0)
	v_and_b32_e32 v30, 1, v30
	v_cmp_eq_u32_e32 vcc, 1, v30
	s_xor_b64 s[8:9], vcc, -1
	s_and_b64 s[8:9], s[8:9], exec
	s_or_b64 s[0:1], s[0:1], s[8:9]
	s_or_b64 exec, exec, s[2:3]
	v_mov_b32_e32 v30, s6
	s_and_saveexec_b64 s[2:3], s[0:1]
	s_cbranch_execz .LBB85_129
.LBB85_350:
	ds_read_u8 v30, v8 offset:8193
	s_waitcnt lgkmcnt(0)
	v_xor_b32_e32 v30, 1, v30
	s_or_b64 exec, exec, s[2:3]
	v_cmp_eq_u32_e32 vcc, v30, v29
	s_and_saveexec_b64 s[0:1], vcc
	s_cbranch_execnz .LBB85_130
	s_branch .LBB85_131
.LBB85_351:
	ds_read_u8 v33, v26 offset:8192
	s_andn2_b64 s[0:1], s[0:1], exec
	s_mov_b32 s6, 1
	s_waitcnt lgkmcnt(0)
	v_and_b32_e32 v33, 1, v33
	v_cmp_eq_u32_e32 vcc, 1, v33
	s_xor_b64 s[8:9], vcc, -1
	s_and_b64 s[8:9], s[8:9], exec
	s_or_b64 s[0:1], s[0:1], s[8:9]
	s_or_b64 exec, exec, s[2:3]
	v_mov_b32_e32 v33, s6
	s_and_saveexec_b64 s[2:3], s[0:1]
	s_cbranch_execz .LBB85_139
.LBB85_352:
	ds_read_u8 v33, v26 offset:8256
	s_waitcnt lgkmcnt(0)
	v_xor_b32_e32 v33, 1, v33
	s_or_b64 exec, exec, s[2:3]
	v_cmp_eq_u32_e32 vcc, v33, v32
	s_and_saveexec_b64 s[0:1], vcc
	s_cbranch_execnz .LBB85_140
	s_branch .LBB85_141
.LBB85_353:
	ds_read_u8 v33, v23 offset:8192
	s_andn2_b64 s[0:1], s[0:1], exec
	s_mov_b32 s6, 1
	s_waitcnt lgkmcnt(0)
	v_and_b32_e32 v33, 1, v33
	v_cmp_eq_u32_e32 vcc, 1, v33
	s_xor_b64 s[8:9], vcc, -1
	s_and_b64 s[8:9], s[8:9], exec
	s_or_b64 s[0:1], s[0:1], s[8:9]
	s_or_b64 exec, exec, s[2:3]
	v_mov_b32_e32 v33, s6
	s_and_saveexec_b64 s[2:3], s[0:1]
	s_cbranch_execz .LBB85_143
.LBB85_354:
	ds_read_u8 v33, v23 offset:8224
	s_waitcnt lgkmcnt(0)
	v_xor_b32_e32 v33, 1, v33
	s_or_b64 exec, exec, s[2:3]
	v_cmp_eq_u32_e32 vcc, v33, v32
	s_and_saveexec_b64 s[0:1], vcc
	s_cbranch_execnz .LBB85_144
	s_branch .LBB85_145
.LBB85_355:
	ds_read_u8 v33, v20 offset:8192
	s_andn2_b64 s[0:1], s[0:1], exec
	s_mov_b32 s6, 1
	s_waitcnt lgkmcnt(0)
	v_and_b32_e32 v33, 1, v33
	v_cmp_eq_u32_e32 vcc, 1, v33
	s_xor_b64 s[8:9], vcc, -1
	s_and_b64 s[8:9], s[8:9], exec
	s_or_b64 s[0:1], s[0:1], s[8:9]
	s_or_b64 exec, exec, s[2:3]
	v_mov_b32_e32 v33, s6
	s_and_saveexec_b64 s[2:3], s[0:1]
	s_cbranch_execz .LBB85_147
.LBB85_356:
	ds_read_u8 v33, v20 offset:8208
	s_waitcnt lgkmcnt(0)
	v_xor_b32_e32 v33, 1, v33
	s_or_b64 exec, exec, s[2:3]
	v_cmp_eq_u32_e32 vcc, v33, v32
	s_and_saveexec_b64 s[0:1], vcc
	s_cbranch_execnz .LBB85_148
	s_branch .LBB85_149
.LBB85_357:
	ds_read_u8 v33, v17 offset:8192
	s_andn2_b64 s[0:1], s[0:1], exec
	s_mov_b32 s6, 1
	s_waitcnt lgkmcnt(0)
	v_and_b32_e32 v33, 1, v33
	v_cmp_eq_u32_e32 vcc, 1, v33
	s_xor_b64 s[8:9], vcc, -1
	s_and_b64 s[8:9], s[8:9], exec
	s_or_b64 s[0:1], s[0:1], s[8:9]
	s_or_b64 exec, exec, s[2:3]
	v_mov_b32_e32 v33, s6
	s_and_saveexec_b64 s[2:3], s[0:1]
	s_cbranch_execz .LBB85_151
.LBB85_358:
	ds_read_u8 v33, v17 offset:8200
	s_waitcnt lgkmcnt(0)
	v_xor_b32_e32 v33, 1, v33
	s_or_b64 exec, exec, s[2:3]
	v_cmp_eq_u32_e32 vcc, v33, v32
	s_and_saveexec_b64 s[0:1], vcc
	s_cbranch_execnz .LBB85_152
	s_branch .LBB85_153
.LBB85_359:
	ds_read_u8 v33, v13 offset:8192
	s_andn2_b64 s[0:1], s[0:1], exec
	s_mov_b32 s6, 1
	s_waitcnt lgkmcnt(0)
	v_and_b32_e32 v33, 1, v33
	v_cmp_eq_u32_e32 vcc, 1, v33
	s_xor_b64 s[8:9], vcc, -1
	s_and_b64 s[8:9], s[8:9], exec
	s_or_b64 s[0:1], s[0:1], s[8:9]
	s_or_b64 exec, exec, s[2:3]
	v_mov_b32_e32 v33, s6
	s_and_saveexec_b64 s[2:3], s[0:1]
	s_cbranch_execz .LBB85_155
.LBB85_360:
	ds_read_u8 v33, v13 offset:8196
	s_waitcnt lgkmcnt(0)
	v_xor_b32_e32 v33, 1, v33
	s_or_b64 exec, exec, s[2:3]
	v_cmp_eq_u32_e32 vcc, v33, v32
	s_and_saveexec_b64 s[0:1], vcc
	s_cbranch_execnz .LBB85_156
	s_branch .LBB85_157
.LBB85_361:
	ds_read_u8 v33, v10 offset:8192
	s_andn2_b64 s[0:1], s[0:1], exec
	s_mov_b32 s6, 1
	s_waitcnt lgkmcnt(0)
	v_and_b32_e32 v33, 1, v33
	v_cmp_eq_u32_e32 vcc, 1, v33
	s_xor_b64 s[8:9], vcc, -1
	s_and_b64 s[8:9], s[8:9], exec
	s_or_b64 s[0:1], s[0:1], s[8:9]
	s_or_b64 exec, exec, s[2:3]
	v_mov_b32_e32 v33, s6
	s_and_saveexec_b64 s[2:3], s[0:1]
	s_cbranch_execz .LBB85_159
.LBB85_362:
	ds_read_u8 v33, v10 offset:8194
	s_waitcnt lgkmcnt(0)
	v_xor_b32_e32 v33, 1, v33
	s_or_b64 exec, exec, s[2:3]
	v_cmp_eq_u32_e32 vcc, v33, v32
	s_and_saveexec_b64 s[0:1], vcc
	s_cbranch_execnz .LBB85_160
	s_branch .LBB85_161
.LBB85_363:
	ds_read_u8 v33, v7 offset:8192
	s_andn2_b64 s[0:1], s[0:1], exec
	s_mov_b32 s6, 1
	s_waitcnt lgkmcnt(0)
	v_and_b32_e32 v33, 1, v33
	v_cmp_eq_u32_e32 vcc, 1, v33
	s_xor_b64 s[8:9], vcc, -1
	s_and_b64 s[8:9], s[8:9], exec
	s_or_b64 s[0:1], s[0:1], s[8:9]
	s_or_b64 exec, exec, s[2:3]
	v_mov_b32_e32 v33, s6
	s_and_saveexec_b64 s[2:3], s[0:1]
	s_cbranch_execz .LBB85_163
.LBB85_364:
	ds_read_u8 v33, v8 offset:8193
	s_waitcnt lgkmcnt(0)
	v_xor_b32_e32 v33, 1, v33
	s_or_b64 exec, exec, s[2:3]
	v_cmp_eq_u32_e32 vcc, v33, v32
	s_and_saveexec_b64 s[0:1], vcc
	s_cbranch_execnz .LBB85_164
	s_branch .LBB85_165
.LBB85_365:
	ds_read_u8 v36, v29 offset:8192
	s_andn2_b64 s[0:1], s[0:1], exec
	s_mov_b32 s6, 1
	s_waitcnt lgkmcnt(0)
	v_and_b32_e32 v36, 1, v36
	v_cmp_eq_u32_e32 vcc, 1, v36
	s_xor_b64 s[8:9], vcc, -1
	s_and_b64 s[8:9], s[8:9], exec
	s_or_b64 s[0:1], s[0:1], s[8:9]
	s_or_b64 exec, exec, s[2:3]
	v_mov_b32_e32 v36, s6
	s_and_saveexec_b64 s[2:3], s[0:1]
	s_cbranch_execz .LBB85_173
.LBB85_366:
	ds_read_u8 v36, v29 offset:8320
	s_waitcnt lgkmcnt(0)
	v_xor_b32_e32 v36, 1, v36
	s_or_b64 exec, exec, s[2:3]
	v_cmp_eq_u32_e32 vcc, v36, v35
	s_and_saveexec_b64 s[0:1], vcc
	s_cbranch_execnz .LBB85_174
	s_branch .LBB85_175
.LBB85_367:
	ds_read_u8 v36, v26 offset:8192
	s_andn2_b64 s[0:1], s[0:1], exec
	s_mov_b32 s6, 1
	s_waitcnt lgkmcnt(0)
	v_and_b32_e32 v36, 1, v36
	v_cmp_eq_u32_e32 vcc, 1, v36
	s_xor_b64 s[8:9], vcc, -1
	s_and_b64 s[8:9], s[8:9], exec
	s_or_b64 s[0:1], s[0:1], s[8:9]
	s_or_b64 exec, exec, s[2:3]
	v_mov_b32_e32 v36, s6
	s_and_saveexec_b64 s[2:3], s[0:1]
	s_cbranch_execz .LBB85_177
.LBB85_368:
	ds_read_u8 v36, v26 offset:8256
	s_waitcnt lgkmcnt(0)
	v_xor_b32_e32 v36, 1, v36
	s_or_b64 exec, exec, s[2:3]
	v_cmp_eq_u32_e32 vcc, v36, v35
	s_and_saveexec_b64 s[0:1], vcc
	s_cbranch_execnz .LBB85_178
	s_branch .LBB85_179
.LBB85_369:
	ds_read_u8 v36, v23 offset:8192
	s_andn2_b64 s[0:1], s[0:1], exec
	s_mov_b32 s6, 1
	s_waitcnt lgkmcnt(0)
	v_and_b32_e32 v36, 1, v36
	v_cmp_eq_u32_e32 vcc, 1, v36
	s_xor_b64 s[8:9], vcc, -1
	s_and_b64 s[8:9], s[8:9], exec
	s_or_b64 s[0:1], s[0:1], s[8:9]
	s_or_b64 exec, exec, s[2:3]
	v_mov_b32_e32 v36, s6
	s_and_saveexec_b64 s[2:3], s[0:1]
	s_cbranch_execz .LBB85_181
.LBB85_370:
	ds_read_u8 v36, v23 offset:8224
	s_waitcnt lgkmcnt(0)
	v_xor_b32_e32 v36, 1, v36
	s_or_b64 exec, exec, s[2:3]
	v_cmp_eq_u32_e32 vcc, v36, v35
	s_and_saveexec_b64 s[0:1], vcc
	s_cbranch_execnz .LBB85_182
	s_branch .LBB85_183
.LBB85_371:
	ds_read_u8 v36, v20 offset:8192
	s_andn2_b64 s[0:1], s[0:1], exec
	s_mov_b32 s6, 1
	s_waitcnt lgkmcnt(0)
	v_and_b32_e32 v36, 1, v36
	v_cmp_eq_u32_e32 vcc, 1, v36
	s_xor_b64 s[8:9], vcc, -1
	s_and_b64 s[8:9], s[8:9], exec
	s_or_b64 s[0:1], s[0:1], s[8:9]
	s_or_b64 exec, exec, s[2:3]
	v_mov_b32_e32 v36, s6
	s_and_saveexec_b64 s[2:3], s[0:1]
	s_cbranch_execz .LBB85_185
.LBB85_372:
	ds_read_u8 v36, v20 offset:8208
	s_waitcnt lgkmcnt(0)
	v_xor_b32_e32 v36, 1, v36
	s_or_b64 exec, exec, s[2:3]
	v_cmp_eq_u32_e32 vcc, v36, v35
	s_and_saveexec_b64 s[0:1], vcc
	s_cbranch_execnz .LBB85_186
	s_branch .LBB85_187
.LBB85_373:
	ds_read_u8 v36, v17 offset:8192
	s_andn2_b64 s[0:1], s[0:1], exec
	s_mov_b32 s6, 1
	s_waitcnt lgkmcnt(0)
	v_and_b32_e32 v36, 1, v36
	v_cmp_eq_u32_e32 vcc, 1, v36
	s_xor_b64 s[8:9], vcc, -1
	s_and_b64 s[8:9], s[8:9], exec
	s_or_b64 s[0:1], s[0:1], s[8:9]
	s_or_b64 exec, exec, s[2:3]
	v_mov_b32_e32 v36, s6
	s_and_saveexec_b64 s[2:3], s[0:1]
	s_cbranch_execz .LBB85_189
.LBB85_374:
	ds_read_u8 v36, v17 offset:8200
	s_waitcnt lgkmcnt(0)
	v_xor_b32_e32 v36, 1, v36
	s_or_b64 exec, exec, s[2:3]
	v_cmp_eq_u32_e32 vcc, v36, v35
	s_and_saveexec_b64 s[0:1], vcc
	s_cbranch_execnz .LBB85_190
	s_branch .LBB85_191
.LBB85_375:
	ds_read_u8 v36, v13 offset:8192
	s_andn2_b64 s[0:1], s[0:1], exec
	s_mov_b32 s6, 1
	s_waitcnt lgkmcnt(0)
	v_and_b32_e32 v36, 1, v36
	v_cmp_eq_u32_e32 vcc, 1, v36
	s_xor_b64 s[8:9], vcc, -1
	s_and_b64 s[8:9], s[8:9], exec
	s_or_b64 s[0:1], s[0:1], s[8:9]
	s_or_b64 exec, exec, s[2:3]
	v_mov_b32_e32 v36, s6
	s_and_saveexec_b64 s[2:3], s[0:1]
	s_cbranch_execz .LBB85_193
.LBB85_376:
	ds_read_u8 v36, v13 offset:8196
	s_waitcnt lgkmcnt(0)
	v_xor_b32_e32 v36, 1, v36
	s_or_b64 exec, exec, s[2:3]
	v_cmp_eq_u32_e32 vcc, v36, v35
	s_and_saveexec_b64 s[0:1], vcc
	s_cbranch_execnz .LBB85_194
	s_branch .LBB85_195
.LBB85_377:
	ds_read_u8 v36, v10 offset:8192
	s_andn2_b64 s[0:1], s[0:1], exec
	s_mov_b32 s6, 1
	s_waitcnt lgkmcnt(0)
	v_and_b32_e32 v36, 1, v36
	v_cmp_eq_u32_e32 vcc, 1, v36
	s_xor_b64 s[8:9], vcc, -1
	s_and_b64 s[8:9], s[8:9], exec
	s_or_b64 s[0:1], s[0:1], s[8:9]
	s_or_b64 exec, exec, s[2:3]
	v_mov_b32_e32 v36, s6
	s_and_saveexec_b64 s[2:3], s[0:1]
	s_cbranch_execz .LBB85_197
.LBB85_378:
	ds_read_u8 v36, v10 offset:8194
	s_waitcnt lgkmcnt(0)
	v_xor_b32_e32 v36, 1, v36
	s_or_b64 exec, exec, s[2:3]
	v_cmp_eq_u32_e32 vcc, v36, v35
	s_and_saveexec_b64 s[0:1], vcc
	s_cbranch_execnz .LBB85_198
	s_branch .LBB85_199
.LBB85_379:
	ds_read_u8 v36, v7 offset:8192
	s_andn2_b64 s[0:1], s[0:1], exec
	s_mov_b32 s6, 1
	s_waitcnt lgkmcnt(0)
	v_and_b32_e32 v36, 1, v36
	v_cmp_eq_u32_e32 vcc, 1, v36
	s_xor_b64 s[8:9], vcc, -1
	s_and_b64 s[8:9], s[8:9], exec
	s_or_b64 s[0:1], s[0:1], s[8:9]
	s_or_b64 exec, exec, s[2:3]
	v_mov_b32_e32 v36, s6
	s_and_saveexec_b64 s[2:3], s[0:1]
	s_cbranch_execz .LBB85_201
.LBB85_380:
	ds_read_u8 v36, v8 offset:8193
	s_waitcnt lgkmcnt(0)
	v_xor_b32_e32 v36, 1, v36
	s_or_b64 exec, exec, s[2:3]
	v_cmp_eq_u32_e32 vcc, v36, v35
	s_and_saveexec_b64 s[0:1], vcc
	s_cbranch_execnz .LBB85_202
	s_branch .LBB85_203
.LBB85_381:
	ds_read_u8 v38, v35 offset:8192
	s_andn2_b64 s[0:1], s[0:1], exec
	s_mov_b32 s6, 1
	s_waitcnt lgkmcnt(0)
	v_and_b32_e32 v38, 1, v38
	v_cmp_eq_u32_e32 vcc, 1, v38
	s_xor_b64 s[8:9], vcc, -1
	s_and_b64 s[8:9], s[8:9], exec
	s_or_b64 s[0:1], s[0:1], s[8:9]
	s_or_b64 exec, exec, s[2:3]
	v_mov_b32_e32 v38, s6
	s_and_saveexec_b64 s[2:3], s[0:1]
	s_cbranch_execz .LBB85_205
.LBB85_382:
	ds_read_u8 v38, v35 offset:8704
	s_waitcnt lgkmcnt(0)
	v_xor_b32_e32 v38, 1, v38
	s_or_b64 exec, exec, s[2:3]
	v_cmp_eq_u32_e32 vcc, 0, v38
	s_and_saveexec_b64 s[0:1], vcc
	s_cbranch_execnz .LBB85_206
	s_branch .LBB85_207
.LBB85_383:
	ds_read_u8 v35, v32 offset:8192
	s_andn2_b64 s[0:1], s[0:1], exec
	s_mov_b32 s6, 1
	s_waitcnt lgkmcnt(0)
	v_and_b32_e32 v35, 1, v35
	v_cmp_eq_u32_e32 vcc, 1, v35
	s_xor_b64 s[8:9], vcc, -1
	s_and_b64 s[8:9], s[8:9], exec
	s_or_b64 s[0:1], s[0:1], s[8:9]
	s_or_b64 exec, exec, s[2:3]
	v_mov_b32_e32 v35, s6
	s_and_saveexec_b64 s[2:3], s[0:1]
	s_cbranch_execz .LBB85_209
.LBB85_384:
	ds_read_u8 v35, v32 offset:8448
	s_waitcnt lgkmcnt(0)
	v_xor_b32_e32 v35, 1, v35
	s_or_b64 exec, exec, s[2:3]
	v_cmp_eq_u32_e32 vcc, 0, v35
	s_and_saveexec_b64 s[0:1], vcc
	s_cbranch_execnz .LBB85_210
	s_branch .LBB85_211
.LBB85_385:
	ds_read_u8 v32, v29 offset:8192
	s_andn2_b64 s[0:1], s[0:1], exec
	s_mov_b32 s6, 1
	s_waitcnt lgkmcnt(0)
	v_and_b32_e32 v32, 1, v32
	v_cmp_eq_u32_e32 vcc, 1, v32
	s_xor_b64 s[8:9], vcc, -1
	s_and_b64 s[8:9], s[8:9], exec
	s_or_b64 s[0:1], s[0:1], s[8:9]
	s_or_b64 exec, exec, s[2:3]
	v_mov_b32_e32 v32, s6
	s_and_saveexec_b64 s[2:3], s[0:1]
	s_cbranch_execz .LBB85_213
.LBB85_386:
	ds_read_u8 v32, v29 offset:8320
	s_waitcnt lgkmcnt(0)
	v_xor_b32_e32 v32, 1, v32
	s_or_b64 exec, exec, s[2:3]
	v_cmp_eq_u32_e32 vcc, 0, v32
	s_and_saveexec_b64 s[0:1], vcc
	s_cbranch_execnz .LBB85_214
	s_branch .LBB85_215
.LBB85_387:
	ds_read_b32 v4, v13 offset:8192
	s_or_b64 exec, exec, s[12:13]
	s_and_saveexec_b64 s[12:13], s[10:11]
	s_cbranch_execz .LBB85_296
.LBB85_388:
	ds_read_b32 v3, v13 offset:8196
	s_or_b64 exec, exec, s[12:13]
	s_and_saveexec_b64 s[20:21], s[0:1]
	s_cbranch_execz .LBB85_297
.LBB85_389:
	s_waitcnt lgkmcnt(0)
	ds_bpermute_b32 v5, v1, v4
	ds_bpermute_b32 v7, v1, v3
	s_waitcnt lgkmcnt(1)
	v_max_u32_e32 v14, v5, v4
	v_cmp_gt_u32_e64 s[12:13], v5, v4
	ds_bpermute_b32 v15, v8, v14
	s_waitcnt lgkmcnt(1)
	v_cndmask_b32_e64 v3, v3, v7, s[12:13]
	ds_bpermute_b32 v4, v8, v3
	s_waitcnt lgkmcnt(1)
	v_max_u32_e32 v5, v15, v14
	v_cmp_gt_u32_e64 s[12:13], v15, v14
	ds_bpermute_b32 v7, v9, v5
	s_waitcnt lgkmcnt(1)
	v_cndmask_b32_e64 v3, v3, v4, s[12:13]
	;; [unrolled: 7-line block ×4, first 2 shown]
	ds_bpermute_b32 v4, v11, v3
	s_waitcnt lgkmcnt(1)
	v_max_u32_e32 v14, v7, v5
	v_cmp_gt_u32_e64 s[12:13], v7, v5
	s_waitcnt lgkmcnt(0)
	v_cndmask_b32_e64 v3, v3, v4, s[12:13]
	ds_bpermute_b32 v4, v12, v14
	ds_bpermute_b32 v5, v12, v3
	s_waitcnt lgkmcnt(1)
	v_cmp_gt_u32_e64 s[12:13], v4, v14
	s_waitcnt lgkmcnt(0)
	v_cndmask_b32_e64 v3, v3, v5, s[12:13]
	s_or_b64 exec, exec, s[20:21]
	s_and_saveexec_b64 s[12:13], vcc
	s_cbranch_execnz .LBB85_298
	s_branch .LBB85_299
.LBB85_390:
	v_lshlrev_b32_e32 v0, 2, v16
	v_sub_u32_e32 v0, v13, v0
	ds_read_b32 v0, v0
	s_or_b64 exec, exec, s[2:3]
	s_and_saveexec_b64 s[2:3], s[0:1]
	s_cbranch_execz .LBB85_307
.LBB85_391:
	s_waitcnt lgkmcnt(0)
	ds_bpermute_b32 v1, v1, v0
	s_waitcnt lgkmcnt(0)
	v_max_u32_e32 v0, v1, v0
	ds_bpermute_b32 v1, v8, v0
	s_waitcnt lgkmcnt(0)
	v_max_u32_e32 v0, v1, v0
	;; [unrolled: 3-line block ×6, first 2 shown]
	s_or_b64 exec, exec, s[2:3]
	s_and_saveexec_b64 s[0:1], vcc
	s_cbranch_execz .LBB85_308
.LBB85_392:
	s_load_dword s6, s[4:5], 0xd8
	s_load_dwordx2 s[0:1], s[4:5], 0xe0
	s_add_u32 s2, s4, 8
	s_addc_u32 s3, s5, 0
	s_mov_b32 s5, 0
	s_waitcnt lgkmcnt(0)
	s_cmp_lt_i32 s6, 2
	s_cbranch_scc1 .LBB85_395
; %bb.393:
	s_add_i32 s4, s6, -1
	s_add_i32 s8, s6, 1
	s_lshl_b64 s[6:7], s[4:5], 2
	s_add_u32 s4, s6, s2
	s_addc_u32 s7, s7, s3
	s_add_u32 s6, s4, 8
	s_addc_u32 s7, s7, 0
.LBB85_394:                             ; =>This Inner Loop Header: Depth=1
	s_load_dword s4, s[6:7], 0x0
	s_load_dword s10, s[6:7], 0x64
	s_mov_b32 s9, s14
	s_waitcnt lgkmcnt(0)
	v_cvt_f32_u32_e32 v1, s4
	s_sub_i32 s11, 0, s4
	v_rcp_iflag_f32_e32 v1, v1
	v_mul_f32_e32 v1, 0x4f7ffffe, v1
	v_cvt_u32_f32_e32 v1, v1
	v_readfirstlane_b32 s12, v1
	s_mul_i32 s11, s11, s12
	s_mul_hi_u32 s11, s12, s11
	s_add_i32 s12, s12, s11
	s_mul_hi_u32 s11, s14, s12
	s_mul_i32 s12, s11, s4
	s_sub_i32 s12, s14, s12
	s_add_i32 s13, s11, 1
	s_sub_i32 s14, s12, s4
	s_cmp_ge_u32 s12, s4
	s_cselect_b32 s11, s13, s11
	s_cselect_b32 s12, s14, s12
	s_add_i32 s13, s11, 1
	s_cmp_ge_u32 s12, s4
	s_cselect_b32 s14, s13, s11
	s_mul_i32 s4, s14, s4
	s_sub_i32 s4, s9, s4
	s_mul_i32 s4, s10, s4
	s_add_i32 s8, s8, -1
	s_add_i32 s5, s4, s5
	s_add_u32 s6, s6, -4
	s_addc_u32 s7, s7, -1
	s_cmp_gt_u32 s8, 2
	s_cbranch_scc1 .LBB85_394
.LBB85_395:
	s_load_dword s4, s[2:3], 0x6c
	s_mov_b32 s7, 0
	s_load_dwordx2 s[2:3], s[2:3], 0x0
	v_mov_b32_e32 v1, 0
	ds_read_b64 v[2:3], v1
	s_waitcnt lgkmcnt(0)
	s_mul_i32 s4, s4, s14
	s_add_i32 s6, s4, s5
	s_lshl_b64 s[4:5], s[6:7], 3
	s_add_u32 s2, s2, s4
	s_addc_u32 s3, s3, s5
	s_add_u32 s0, s0, s4
	s_addc_u32 s1, s1, s5
	global_store_dwordx2 v1, v[2:3], s[2:3]
	global_store_dwordx2 v1, v[0:1], s[0:1]
	s_endpgm
	.section	.rodata,"a",@progbits
	.p2align	6, 0x0
	.amdhsa_kernel _ZN2at6native12compute_modeIlLj1024EEEvPKT_NS_4cuda6detail10TensorInfoIS2_jEENS7_IljEEll
		.amdhsa_group_segment_fixed_size 8
		.amdhsa_private_segment_fixed_size 0
		.amdhsa_kernarg_size 712
		.amdhsa_user_sgpr_count 6
		.amdhsa_user_sgpr_private_segment_buffer 1
		.amdhsa_user_sgpr_dispatch_ptr 0
		.amdhsa_user_sgpr_queue_ptr 0
		.amdhsa_user_sgpr_kernarg_segment_ptr 1
		.amdhsa_user_sgpr_dispatch_id 0
		.amdhsa_user_sgpr_flat_scratch_init 0
		.amdhsa_user_sgpr_kernarg_preload_length 0
		.amdhsa_user_sgpr_kernarg_preload_offset 0
		.amdhsa_user_sgpr_private_segment_size 0
		.amdhsa_uses_dynamic_stack 0
		.amdhsa_system_sgpr_private_segment_wavefront_offset 0
		.amdhsa_system_sgpr_workgroup_id_x 1
		.amdhsa_system_sgpr_workgroup_id_y 1
		.amdhsa_system_sgpr_workgroup_id_z 1
		.amdhsa_system_sgpr_workgroup_info 0
		.amdhsa_system_vgpr_workitem_id 0
		.amdhsa_next_free_vgpr 40
		.amdhsa_next_free_sgpr 22
		.amdhsa_accum_offset 40
		.amdhsa_reserve_vcc 1
		.amdhsa_reserve_flat_scratch 0
		.amdhsa_float_round_mode_32 0
		.amdhsa_float_round_mode_16_64 0
		.amdhsa_float_denorm_mode_32 3
		.amdhsa_float_denorm_mode_16_64 3
		.amdhsa_dx10_clamp 1
		.amdhsa_ieee_mode 1
		.amdhsa_fp16_overflow 0
		.amdhsa_tg_split 0
		.amdhsa_exception_fp_ieee_invalid_op 0
		.amdhsa_exception_fp_denorm_src 0
		.amdhsa_exception_fp_ieee_div_zero 0
		.amdhsa_exception_fp_ieee_overflow 0
		.amdhsa_exception_fp_ieee_underflow 0
		.amdhsa_exception_fp_ieee_inexact 0
		.amdhsa_exception_int_div_zero 0
	.end_amdhsa_kernel
	.section	.text._ZN2at6native12compute_modeIlLj1024EEEvPKT_NS_4cuda6detail10TensorInfoIS2_jEENS7_IljEEll,"axG",@progbits,_ZN2at6native12compute_modeIlLj1024EEEvPKT_NS_4cuda6detail10TensorInfoIS2_jEENS7_IljEEll,comdat
.Lfunc_end85:
	.size	_ZN2at6native12compute_modeIlLj1024EEEvPKT_NS_4cuda6detail10TensorInfoIS2_jEENS7_IljEEll, .Lfunc_end85-_ZN2at6native12compute_modeIlLj1024EEEvPKT_NS_4cuda6detail10TensorInfoIS2_jEENS7_IljEEll
                                        ; -- End function
	.section	.AMDGPU.csdata,"",@progbits
; Kernel info:
; codeLenInByte = 17308
; NumSgprs: 26
; NumVgprs: 40
; NumAgprs: 0
; TotalNumVgprs: 40
; ScratchSize: 0
; MemoryBound: 0
; FloatMode: 240
; IeeeMode: 1
; LDSByteSize: 8 bytes/workgroup (compile time only)
; SGPRBlocks: 3
; VGPRBlocks: 4
; NumSGPRsForWavesPerEU: 26
; NumVGPRsForWavesPerEU: 40
; AccumOffset: 40
; Occupancy: 8
; WaveLimiterHint : 1
; COMPUTE_PGM_RSRC2:SCRATCH_EN: 0
; COMPUTE_PGM_RSRC2:USER_SGPR: 6
; COMPUTE_PGM_RSRC2:TRAP_HANDLER: 0
; COMPUTE_PGM_RSRC2:TGID_X_EN: 1
; COMPUTE_PGM_RSRC2:TGID_Y_EN: 1
; COMPUTE_PGM_RSRC2:TGID_Z_EN: 1
; COMPUTE_PGM_RSRC2:TIDIG_COMP_CNT: 0
; COMPUTE_PGM_RSRC3_GFX90A:ACCUM_OFFSET: 9
; COMPUTE_PGM_RSRC3_GFX90A:TG_SPLIT: 0
	.section	.text._ZN2at6native12compute_modeIlLj128EEEvPKT_NS_4cuda6detail10TensorInfoIS2_jEENS7_IljEEll,"axG",@progbits,_ZN2at6native12compute_modeIlLj128EEEvPKT_NS_4cuda6detail10TensorInfoIS2_jEENS7_IljEEll,comdat
	.protected	_ZN2at6native12compute_modeIlLj128EEEvPKT_NS_4cuda6detail10TensorInfoIS2_jEENS7_IljEEll ; -- Begin function _ZN2at6native12compute_modeIlLj128EEEvPKT_NS_4cuda6detail10TensorInfoIS2_jEENS7_IljEEll
	.globl	_ZN2at6native12compute_modeIlLj128EEEvPKT_NS_4cuda6detail10TensorInfoIS2_jEENS7_IljEEll
	.p2align	8
	.type	_ZN2at6native12compute_modeIlLj128EEEvPKT_NS_4cuda6detail10TensorInfoIS2_jEENS7_IljEEll,@function
_ZN2at6native12compute_modeIlLj128EEEvPKT_NS_4cuda6detail10TensorInfoIS2_jEENS7_IljEEll: ; @_ZN2at6native12compute_modeIlLj128EEEvPKT_NS_4cuda6detail10TensorInfoIS2_jEENS7_IljEEll
; %bb.0:
	s_load_dwordx4 s[16:19], s[4:5], 0x1b8
	s_load_dwordx2 s[2:3], s[4:5], 0x1c8
	s_add_u32 s0, s4, 0x1c8
	s_addc_u32 s1, s5, 0
	s_mov_b32 s15, 0
	s_waitcnt lgkmcnt(0)
	v_mov_b32_e32 v2, s18
	s_mul_i32 s3, s3, s8
	s_add_i32 s3, s3, s7
	s_mul_i32 s2, s3, s2
	v_mov_b32_e32 v3, s19
	s_add_i32 s14, s2, s6
	v_cmp_ge_i64_e32 vcc, s[14:15], v[2:3]
	s_cbranch_vccnz .LBB86_182
; %bb.1:
	s_load_dwordx2 s[18:19], s[4:5], 0x0
	s_load_dword s6, s[0:1], 0xc
	v_mov_b32_e32 v3, 0
	v_mov_b32_e32 v1, v3
	s_mul_i32 s15, s14, s16
	v_cmp_gt_i64_e32 vcc, s[16:17], v[0:1]
	s_and_saveexec_b64 s[2:3], vcc
	s_cbranch_execz .LBB86_3
; %bb.2:
	v_add_u32_e32 v2, s15, v0
	v_lshlrev_b64 v[4:5], 3, v[2:3]
	s_waitcnt lgkmcnt(0)
	v_mov_b32_e32 v1, s19
	v_add_co_u32_e64 v4, s[0:1], s18, v4
	v_addc_co_u32_e64 v5, s[0:1], v1, v5, s[0:1]
	global_load_dwordx2 v[4:5], v[4:5], off
	v_lshl_add_u32 v1, v0, 3, 8
	s_waitcnt vmcnt(0)
	ds_write_b64 v1, v[4:5]
.LBB86_3:
	s_or_b64 exec, exec, s[2:3]
	s_waitcnt lgkmcnt(0)
	s_and_b32 s20, 0xffff, s6
	v_add_u32_e32 v2, s20, v0
	v_cmp_gt_i64_e64 s[0:1], s[16:17], v[2:3]
	s_and_saveexec_b64 s[6:7], s[0:1]
	s_cbranch_execz .LBB86_5
; %bb.4:
	v_add_u32_e32 v4, s15, v2
	v_mov_b32_e32 v5, 0
	v_lshlrev_b64 v[4:5], 3, v[4:5]
	v_mov_b32_e32 v1, s19
	v_add_co_u32_e64 v4, s[2:3], s18, v4
	v_addc_co_u32_e64 v5, s[2:3], v1, v5, s[2:3]
	global_load_dwordx2 v[4:5], v[4:5], off
	v_lshl_add_u32 v1, v2, 3, 8
	s_waitcnt vmcnt(0)
	ds_write_b64 v1, v[4:5]
.LBB86_5:
	s_or_b64 exec, exec, s[6:7]
	v_add_u32_e32 v1, 8, v0
	v_cndmask_b32_e64 v2, 0, 1, vcc
	ds_write_b8 v1, v2 offset:1024
	v_add_u32_e32 v2, s20, v1
	v_cndmask_b32_e64 v3, 0, 1, s[0:1]
	v_mad_u32_u24 v1, v0, 15, v1
	ds_write_b8 v2, v3 offset:1024
	s_waitcnt lgkmcnt(0)
	s_barrier
	s_barrier
	ds_read2_b64 v[2:5], v1 offset1:1
	s_mov_b32 s6, 1
	v_mad_i32_i24 v7, v0, -14, v1
	s_waitcnt lgkmcnt(0)
	v_cmp_ge_i64_e64 s[0:1], v[2:3], v[4:5]
	v_cmp_lt_i64_e32 vcc, v[2:3], v[4:5]
	s_and_saveexec_b64 s[2:3], vcc
	s_cbranch_execz .LBB86_7
; %bb.6:
	ds_read_u8 v6, v7 offset:1024
	s_andn2_b64 s[0:1], s[0:1], exec
	s_waitcnt lgkmcnt(0)
	v_and_b32_e32 v6, 1, v6
	v_cmp_eq_u32_e32 vcc, 1, v6
	s_xor_b64 s[8:9], vcc, -1
	s_and_b64 s[8:9], s[8:9], exec
	s_or_b64 s[0:1], s[0:1], s[8:9]
.LBB86_7:
	s_or_b64 exec, exec, s[2:3]
	v_lshlrev_b32_e32 v6, 1, v0
	v_mov_b32_e32 v11, s6
	v_add_u32_e32 v8, 8, v6
	s_and_saveexec_b64 s[2:3], s[0:1]
	s_cbranch_execz .LBB86_9
; %bb.8:
	ds_read_u8 v9, v8 offset:1025
	s_waitcnt lgkmcnt(0)
	v_xor_b32_e32 v11, 1, v9
.LBB86_9:
	s_or_b64 exec, exec, s[2:3]
	v_and_b32_e32 v10, 1, v0
	v_mul_u32_u24_e32 v9, 14, v0
	v_cmp_eq_u32_e32 vcc, v11, v10
	s_and_saveexec_b64 s[0:1], vcc
	s_cbranch_execz .LBB86_11
; %bb.10:
	ds_read_u8 v11, v8 offset:1025
	ds_read_u8 v12, v7 offset:1024
	ds_write_b64 v1, v[4:5]
	v_add_u32_e32 v4, v7, v9
	ds_write_b64 v4, v[2:3] offset:8
	s_waitcnt lgkmcnt(3)
	ds_write_b8 v7, v11 offset:1024
	s_waitcnt lgkmcnt(3)
	ds_write_b8 v8, v12 offset:1025
.LBB86_11:
	s_or_b64 exec, exec, s[0:1]
	v_sub_u32_e32 v12, v6, v10
	v_add_u32_e32 v10, 8, v12
	v_lshl_add_u32 v11, v12, 3, 8
	v_mad_i32_i24 v4, v12, 7, v10
	s_waitcnt lgkmcnt(0)
	s_barrier
	ds_read_b64 v[2:3], v11
	ds_read_b64 v[4:5], v4 offset:16
	s_mov_b64 s[0:1], -1
                                        ; implicit-def: $sgpr6
	s_waitcnt lgkmcnt(0)
	v_cmp_lt_i64_e32 vcc, v[2:3], v[4:5]
	s_and_saveexec_b64 s[2:3], vcc
	s_xor_b64 s[2:3], exec, s[2:3]
	s_cbranch_execz .LBB86_13
; %bb.12:
	ds_read_u8 v13, v10 offset:1024
	s_mov_b32 s6, 1
	s_waitcnt lgkmcnt(0)
	v_and_b32_e32 v13, 1, v13
	v_cmp_eq_u32_e32 vcc, 1, v13
	s_xor_b64 s[0:1], vcc, -1
	s_orn2_b64 s[0:1], s[0:1], exec
.LBB86_13:
	s_or_b64 exec, exec, s[2:3]
	v_mul_i32_i24_e32 v12, 7, v12
	v_mov_b32_e32 v14, s6
	s_and_saveexec_b64 s[2:3], s[0:1]
	s_cbranch_execz .LBB86_15
; %bb.14:
	ds_read_u8 v13, v10 offset:1026
	s_waitcnt lgkmcnt(0)
	v_xor_b32_e32 v14, 1, v13
.LBB86_15:
	s_or_b64 exec, exec, s[2:3]
	v_bfe_u32 v13, v0, 1, 1
	v_cmp_eq_u32_e32 vcc, v14, v13
	v_add_u32_e32 v12, v10, v12
	s_and_saveexec_b64 s[0:1], vcc
	s_cbranch_execz .LBB86_17
; %bb.16:
	ds_read_u8 v14, v10 offset:1026
	ds_read_u8 v15, v10 offset:1024
	ds_write_b64 v11, v[4:5]
	ds_write_b64 v12, v[2:3] offset:16
	s_waitcnt lgkmcnt(3)
	ds_write_b8 v10, v14 offset:1024
	s_waitcnt lgkmcnt(3)
	ds_write_b8 v10, v15 offset:1026
.LBB86_17:
	s_or_b64 exec, exec, s[0:1]
	s_waitcnt lgkmcnt(0)
	s_barrier
	ds_read2_b64 v[2:5], v1 offset1:1
                                        ; implicit-def: $sgpr6
	s_waitcnt lgkmcnt(0)
	v_cmp_ge_i64_e64 s[0:1], v[2:3], v[4:5]
	v_cmp_lt_i64_e32 vcc, v[2:3], v[4:5]
	s_and_saveexec_b64 s[2:3], vcc
	s_cbranch_execnz .LBB86_183
; %bb.18:
	s_or_b64 exec, exec, s[2:3]
	v_mov_b32_e32 v14, s6
	s_and_saveexec_b64 s[2:3], s[0:1]
	s_cbranch_execnz .LBB86_184
.LBB86_19:
	s_or_b64 exec, exec, s[2:3]
	v_cmp_eq_u32_e32 vcc, v14, v13
	s_and_saveexec_b64 s[0:1], vcc
	s_cbranch_execz .LBB86_21
.LBB86_20:
	ds_read_u8 v13, v8 offset:1025
	ds_read_u8 v14, v7 offset:1024
	ds_write_b64 v1, v[4:5]
	v_add_u32_e32 v4, v7, v9
	ds_write_b64 v4, v[2:3] offset:8
	s_waitcnt lgkmcnt(3)
	ds_write_b8 v7, v13 offset:1024
	s_waitcnt lgkmcnt(3)
	ds_write_b8 v8, v14 offset:1025
.LBB86_21:
	s_or_b64 exec, exec, s[0:1]
	v_and_b32_e32 v2, 3, v0
	v_sub_u32_e32 v15, v6, v2
	v_add_u32_e32 v13, 8, v15
	v_lshl_add_u32 v14, v15, 3, 8
	v_mad_i32_i24 v4, v15, 7, v13
	s_waitcnt lgkmcnt(0)
	s_barrier
	ds_read_b64 v[2:3], v14
	ds_read_b64 v[4:5], v4 offset:32
                                        ; implicit-def: $sgpr6
	s_waitcnt lgkmcnt(0)
	v_cmp_ge_i64_e64 s[0:1], v[2:3], v[4:5]
	v_cmp_lt_i64_e32 vcc, v[2:3], v[4:5]
	s_and_saveexec_b64 s[2:3], vcc
	s_cbranch_execz .LBB86_23
; %bb.22:
	ds_read_u8 v16, v13 offset:1024
	s_andn2_b64 s[0:1], s[0:1], exec
	s_mov_b32 s6, 1
	s_waitcnt lgkmcnt(0)
	v_and_b32_e32 v16, 1, v16
	v_cmp_eq_u32_e32 vcc, 1, v16
	s_xor_b64 s[8:9], vcc, -1
	s_and_b64 s[8:9], s[8:9], exec
	s_or_b64 s[0:1], s[0:1], s[8:9]
.LBB86_23:
	s_or_b64 exec, exec, s[2:3]
	v_mul_i32_i24_e32 v15, 7, v15
	v_mov_b32_e32 v17, s6
	s_and_saveexec_b64 s[2:3], s[0:1]
	s_cbranch_execz .LBB86_25
; %bb.24:
	ds_read_u8 v16, v13 offset:1028
	s_waitcnt lgkmcnt(0)
	v_xor_b32_e32 v17, 1, v16
.LBB86_25:
	s_or_b64 exec, exec, s[2:3]
	v_bfe_u32 v16, v0, 2, 1
	v_cmp_eq_u32_e32 vcc, v17, v16
	v_add_u32_e32 v15, v13, v15
	s_and_saveexec_b64 s[0:1], vcc
	s_cbranch_execz .LBB86_27
; %bb.26:
	ds_read_u8 v17, v13 offset:1028
	ds_read_u8 v18, v13 offset:1024
	ds_write_b64 v14, v[4:5]
	ds_write_b64 v15, v[2:3] offset:32
	s_waitcnt lgkmcnt(3)
	ds_write_b8 v13, v17 offset:1024
	s_waitcnt lgkmcnt(3)
	ds_write_b8 v13, v18 offset:1028
.LBB86_27:
	s_or_b64 exec, exec, s[0:1]
	s_waitcnt lgkmcnt(0)
	s_barrier
	ds_read_b64 v[2:3], v11
	ds_read_b64 v[4:5], v12 offset:16
                                        ; implicit-def: $sgpr6
	s_waitcnt lgkmcnt(0)
	v_cmp_ge_i64_e64 s[0:1], v[2:3], v[4:5]
	v_cmp_lt_i64_e32 vcc, v[2:3], v[4:5]
	s_and_saveexec_b64 s[2:3], vcc
	s_cbranch_execnz .LBB86_185
; %bb.28:
	s_or_b64 exec, exec, s[2:3]
	v_mov_b32_e32 v17, s6
	s_and_saveexec_b64 s[2:3], s[0:1]
	s_cbranch_execnz .LBB86_186
.LBB86_29:
	s_or_b64 exec, exec, s[2:3]
	v_cmp_eq_u32_e32 vcc, v17, v16
	s_and_saveexec_b64 s[0:1], vcc
	s_cbranch_execz .LBB86_31
.LBB86_30:
	ds_read_u8 v17, v10 offset:1026
	ds_read_u8 v18, v10 offset:1024
	ds_write_b64 v11, v[4:5]
	ds_write_b64 v12, v[2:3] offset:16
	s_waitcnt lgkmcnt(3)
	ds_write_b8 v10, v17 offset:1024
	s_waitcnt lgkmcnt(3)
	ds_write_b8 v10, v18 offset:1026
.LBB86_31:
	s_or_b64 exec, exec, s[0:1]
	s_waitcnt lgkmcnt(0)
	s_barrier
	ds_read2_b64 v[2:5], v1 offset1:1
                                        ; implicit-def: $sgpr6
	s_waitcnt lgkmcnt(0)
	v_cmp_ge_i64_e64 s[0:1], v[2:3], v[4:5]
	v_cmp_lt_i64_e32 vcc, v[2:3], v[4:5]
	s_and_saveexec_b64 s[2:3], vcc
	s_cbranch_execnz .LBB86_187
; %bb.32:
	s_or_b64 exec, exec, s[2:3]
	v_mov_b32_e32 v17, s6
	s_and_saveexec_b64 s[2:3], s[0:1]
	s_cbranch_execnz .LBB86_188
.LBB86_33:
	s_or_b64 exec, exec, s[2:3]
	v_cmp_eq_u32_e32 vcc, v17, v16
	s_and_saveexec_b64 s[0:1], vcc
	s_cbranch_execz .LBB86_35
.LBB86_34:
	ds_read_u8 v16, v8 offset:1025
	ds_read_u8 v17, v7 offset:1024
	ds_write_b64 v1, v[4:5]
	v_add_u32_e32 v4, v7, v9
	ds_write_b64 v4, v[2:3] offset:8
	s_waitcnt lgkmcnt(3)
	ds_write_b8 v7, v16 offset:1024
	s_waitcnt lgkmcnt(3)
	ds_write_b8 v8, v17 offset:1025
.LBB86_35:
	s_or_b64 exec, exec, s[0:1]
	v_and_b32_e32 v2, 7, v0
	v_sub_u32_e32 v18, v6, v2
	v_add_u32_e32 v16, 8, v18
	v_lshl_add_u32 v17, v18, 3, 8
	v_mad_i32_i24 v4, v18, 7, v16
	s_waitcnt lgkmcnt(0)
	s_barrier
	ds_read_b64 v[2:3], v17
	ds_read_b64 v[4:5], v4 offset:64
                                        ; implicit-def: $sgpr6
	s_waitcnt lgkmcnt(0)
	v_cmp_ge_i64_e64 s[0:1], v[2:3], v[4:5]
	v_cmp_lt_i64_e32 vcc, v[2:3], v[4:5]
	s_and_saveexec_b64 s[2:3], vcc
	s_cbranch_execz .LBB86_37
; %bb.36:
	ds_read_u8 v19, v16 offset:1024
	s_andn2_b64 s[0:1], s[0:1], exec
	s_mov_b32 s6, 1
	s_waitcnt lgkmcnt(0)
	v_and_b32_e32 v19, 1, v19
	v_cmp_eq_u32_e32 vcc, 1, v19
	s_xor_b64 s[8:9], vcc, -1
	s_and_b64 s[8:9], s[8:9], exec
	s_or_b64 s[0:1], s[0:1], s[8:9]
.LBB86_37:
	s_or_b64 exec, exec, s[2:3]
	v_mul_i32_i24_e32 v18, 7, v18
	v_mov_b32_e32 v20, s6
	s_and_saveexec_b64 s[2:3], s[0:1]
	s_cbranch_execz .LBB86_39
; %bb.38:
	ds_read_u8 v19, v16 offset:1032
	s_waitcnt lgkmcnt(0)
	v_xor_b32_e32 v20, 1, v19
.LBB86_39:
	s_or_b64 exec, exec, s[2:3]
	v_bfe_u32 v19, v0, 3, 1
	v_cmp_eq_u32_e32 vcc, v20, v19
	v_add_u32_e32 v18, v16, v18
	s_and_saveexec_b64 s[0:1], vcc
	s_cbranch_execz .LBB86_41
; %bb.40:
	ds_read_u8 v20, v16 offset:1032
	ds_read_u8 v21, v16 offset:1024
	ds_write_b64 v17, v[4:5]
	ds_write_b64 v18, v[2:3] offset:64
	s_waitcnt lgkmcnt(3)
	ds_write_b8 v16, v20 offset:1024
	s_waitcnt lgkmcnt(3)
	ds_write_b8 v16, v21 offset:1032
.LBB86_41:
	s_or_b64 exec, exec, s[0:1]
	s_waitcnt lgkmcnt(0)
	s_barrier
	ds_read_b64 v[2:3], v14
	ds_read_b64 v[4:5], v15 offset:32
                                        ; implicit-def: $sgpr6
	s_waitcnt lgkmcnt(0)
	v_cmp_ge_i64_e64 s[0:1], v[2:3], v[4:5]
	v_cmp_lt_i64_e32 vcc, v[2:3], v[4:5]
	s_and_saveexec_b64 s[2:3], vcc
	s_cbranch_execnz .LBB86_189
; %bb.42:
	s_or_b64 exec, exec, s[2:3]
	v_mov_b32_e32 v20, s6
	s_and_saveexec_b64 s[2:3], s[0:1]
	s_cbranch_execnz .LBB86_190
.LBB86_43:
	s_or_b64 exec, exec, s[2:3]
	v_cmp_eq_u32_e32 vcc, v20, v19
	s_and_saveexec_b64 s[0:1], vcc
	s_cbranch_execz .LBB86_45
.LBB86_44:
	ds_read_u8 v20, v13 offset:1028
	ds_read_u8 v21, v13 offset:1024
	ds_write_b64 v14, v[4:5]
	ds_write_b64 v15, v[2:3] offset:32
	s_waitcnt lgkmcnt(3)
	ds_write_b8 v13, v20 offset:1024
	s_waitcnt lgkmcnt(3)
	ds_write_b8 v13, v21 offset:1028
.LBB86_45:
	s_or_b64 exec, exec, s[0:1]
	s_waitcnt lgkmcnt(0)
	s_barrier
	ds_read_b64 v[2:3], v11
	ds_read_b64 v[4:5], v12 offset:16
                                        ; implicit-def: $sgpr6
	s_waitcnt lgkmcnt(0)
	v_cmp_ge_i64_e64 s[0:1], v[2:3], v[4:5]
	v_cmp_lt_i64_e32 vcc, v[2:3], v[4:5]
	s_and_saveexec_b64 s[2:3], vcc
	s_cbranch_execnz .LBB86_191
; %bb.46:
	s_or_b64 exec, exec, s[2:3]
	v_mov_b32_e32 v20, s6
	s_and_saveexec_b64 s[2:3], s[0:1]
	s_cbranch_execnz .LBB86_192
.LBB86_47:
	s_or_b64 exec, exec, s[2:3]
	v_cmp_eq_u32_e32 vcc, v20, v19
	s_and_saveexec_b64 s[0:1], vcc
	s_cbranch_execz .LBB86_49
.LBB86_48:
	ds_read_u8 v20, v10 offset:1026
	ds_read_u8 v21, v10 offset:1024
	ds_write_b64 v11, v[4:5]
	ds_write_b64 v12, v[2:3] offset:16
	s_waitcnt lgkmcnt(3)
	ds_write_b8 v10, v20 offset:1024
	s_waitcnt lgkmcnt(3)
	ds_write_b8 v10, v21 offset:1026
.LBB86_49:
	s_or_b64 exec, exec, s[0:1]
	s_waitcnt lgkmcnt(0)
	s_barrier
	ds_read2_b64 v[2:5], v1 offset1:1
                                        ; implicit-def: $sgpr6
	s_waitcnt lgkmcnt(0)
	v_cmp_ge_i64_e64 s[0:1], v[2:3], v[4:5]
	v_cmp_lt_i64_e32 vcc, v[2:3], v[4:5]
	s_and_saveexec_b64 s[2:3], vcc
	s_cbranch_execnz .LBB86_193
; %bb.50:
	s_or_b64 exec, exec, s[2:3]
	v_mov_b32_e32 v20, s6
	s_and_saveexec_b64 s[2:3], s[0:1]
	s_cbranch_execnz .LBB86_194
.LBB86_51:
	s_or_b64 exec, exec, s[2:3]
	v_cmp_eq_u32_e32 vcc, v20, v19
	s_and_saveexec_b64 s[0:1], vcc
	s_cbranch_execz .LBB86_53
.LBB86_52:
	ds_read_u8 v19, v8 offset:1025
	ds_read_u8 v20, v7 offset:1024
	ds_write_b64 v1, v[4:5]
	v_add_u32_e32 v4, v7, v9
	ds_write_b64 v4, v[2:3] offset:8
	s_waitcnt lgkmcnt(3)
	ds_write_b8 v7, v19 offset:1024
	s_waitcnt lgkmcnt(3)
	ds_write_b8 v8, v20 offset:1025
.LBB86_53:
	s_or_b64 exec, exec, s[0:1]
	v_and_b32_e32 v2, 15, v0
	v_sub_u32_e32 v19, v6, v2
	v_add_u32_e32 v20, 8, v19
	v_lshl_add_u32 v21, v19, 3, 8
	v_mad_i32_i24 v4, v19, 7, v20
	s_waitcnt lgkmcnt(0)
	s_barrier
	ds_read_b64 v[2:3], v21
	ds_read_b64 v[4:5], v4 offset:128
                                        ; implicit-def: $sgpr6
	s_waitcnt lgkmcnt(0)
	v_cmp_ge_i64_e64 s[0:1], v[2:3], v[4:5]
	v_cmp_lt_i64_e32 vcc, v[2:3], v[4:5]
	s_and_saveexec_b64 s[2:3], vcc
	s_cbranch_execz .LBB86_55
; %bb.54:
	ds_read_u8 v22, v20 offset:1024
	s_andn2_b64 s[0:1], s[0:1], exec
	s_mov_b32 s6, 1
	s_waitcnt lgkmcnt(0)
	v_and_b32_e32 v22, 1, v22
	v_cmp_eq_u32_e32 vcc, 1, v22
	s_xor_b64 s[8:9], vcc, -1
	s_and_b64 s[8:9], s[8:9], exec
	s_or_b64 s[0:1], s[0:1], s[8:9]
.LBB86_55:
	s_or_b64 exec, exec, s[2:3]
	v_mul_i32_i24_e32 v22, 7, v19
	v_mov_b32_e32 v23, s6
	s_and_saveexec_b64 s[2:3], s[0:1]
	s_cbranch_execz .LBB86_57
; %bb.56:
	ds_read_u8 v19, v20 offset:1040
	s_waitcnt lgkmcnt(0)
	v_xor_b32_e32 v23, 1, v19
.LBB86_57:
	s_or_b64 exec, exec, s[2:3]
	v_bfe_u32 v19, v0, 4, 1
	v_cmp_eq_u32_e32 vcc, v23, v19
	v_add_u32_e32 v22, v20, v22
	s_and_saveexec_b64 s[0:1], vcc
	s_cbranch_execz .LBB86_59
; %bb.58:
	ds_read_u8 v23, v20 offset:1040
	ds_read_u8 v24, v20 offset:1024
	ds_write_b64 v21, v[4:5]
	ds_write_b64 v22, v[2:3] offset:128
	s_waitcnt lgkmcnt(3)
	ds_write_b8 v20, v23 offset:1024
	s_waitcnt lgkmcnt(3)
	ds_write_b8 v20, v24 offset:1040
.LBB86_59:
	s_or_b64 exec, exec, s[0:1]
	s_waitcnt lgkmcnt(0)
	s_barrier
	ds_read_b64 v[2:3], v17
	ds_read_b64 v[4:5], v18 offset:64
                                        ; implicit-def: $sgpr6
	s_waitcnt lgkmcnt(0)
	v_cmp_ge_i64_e64 s[0:1], v[2:3], v[4:5]
	v_cmp_lt_i64_e32 vcc, v[2:3], v[4:5]
	s_and_saveexec_b64 s[2:3], vcc
	s_cbranch_execnz .LBB86_195
; %bb.60:
	s_or_b64 exec, exec, s[2:3]
	v_mov_b32_e32 v23, s6
	s_and_saveexec_b64 s[2:3], s[0:1]
	s_cbranch_execnz .LBB86_196
.LBB86_61:
	s_or_b64 exec, exec, s[2:3]
	v_cmp_eq_u32_e32 vcc, v23, v19
	s_and_saveexec_b64 s[0:1], vcc
	s_cbranch_execz .LBB86_63
.LBB86_62:
	ds_read_u8 v23, v16 offset:1032
	ds_read_u8 v24, v16 offset:1024
	ds_write_b64 v17, v[4:5]
	ds_write_b64 v18, v[2:3] offset:64
	s_waitcnt lgkmcnt(3)
	ds_write_b8 v16, v23 offset:1024
	s_waitcnt lgkmcnt(3)
	ds_write_b8 v16, v24 offset:1032
.LBB86_63:
	s_or_b64 exec, exec, s[0:1]
	s_waitcnt lgkmcnt(0)
	s_barrier
	ds_read_b64 v[2:3], v14
	ds_read_b64 v[4:5], v15 offset:32
                                        ; implicit-def: $sgpr6
	s_waitcnt lgkmcnt(0)
	v_cmp_ge_i64_e64 s[0:1], v[2:3], v[4:5]
	v_cmp_lt_i64_e32 vcc, v[2:3], v[4:5]
	s_and_saveexec_b64 s[2:3], vcc
	s_cbranch_execnz .LBB86_197
; %bb.64:
	s_or_b64 exec, exec, s[2:3]
	v_mov_b32_e32 v23, s6
	s_and_saveexec_b64 s[2:3], s[0:1]
	s_cbranch_execnz .LBB86_198
.LBB86_65:
	s_or_b64 exec, exec, s[2:3]
	v_cmp_eq_u32_e32 vcc, v23, v19
	s_and_saveexec_b64 s[0:1], vcc
	s_cbranch_execz .LBB86_67
.LBB86_66:
	ds_read_u8 v23, v13 offset:1028
	ds_read_u8 v24, v13 offset:1024
	ds_write_b64 v14, v[4:5]
	ds_write_b64 v15, v[2:3] offset:32
	s_waitcnt lgkmcnt(3)
	ds_write_b8 v13, v23 offset:1024
	s_waitcnt lgkmcnt(3)
	ds_write_b8 v13, v24 offset:1028
.LBB86_67:
	s_or_b64 exec, exec, s[0:1]
	s_waitcnt lgkmcnt(0)
	s_barrier
	ds_read_b64 v[2:3], v11
	ds_read_b64 v[4:5], v12 offset:16
                                        ; implicit-def: $sgpr6
	s_waitcnt lgkmcnt(0)
	v_cmp_ge_i64_e64 s[0:1], v[2:3], v[4:5]
	v_cmp_lt_i64_e32 vcc, v[2:3], v[4:5]
	s_and_saveexec_b64 s[2:3], vcc
	s_cbranch_execnz .LBB86_199
; %bb.68:
	s_or_b64 exec, exec, s[2:3]
	v_mov_b32_e32 v23, s6
	s_and_saveexec_b64 s[2:3], s[0:1]
	s_cbranch_execnz .LBB86_200
.LBB86_69:
	s_or_b64 exec, exec, s[2:3]
	v_cmp_eq_u32_e32 vcc, v23, v19
	s_and_saveexec_b64 s[0:1], vcc
	s_cbranch_execz .LBB86_71
.LBB86_70:
	ds_read_u8 v23, v10 offset:1026
	ds_read_u8 v24, v10 offset:1024
	ds_write_b64 v11, v[4:5]
	ds_write_b64 v12, v[2:3] offset:16
	s_waitcnt lgkmcnt(3)
	ds_write_b8 v10, v23 offset:1024
	s_waitcnt lgkmcnt(3)
	ds_write_b8 v10, v24 offset:1026
.LBB86_71:
	s_or_b64 exec, exec, s[0:1]
	s_waitcnt lgkmcnt(0)
	s_barrier
	ds_read2_b64 v[2:5], v1 offset1:1
                                        ; implicit-def: $sgpr6
	s_waitcnt lgkmcnt(0)
	v_cmp_ge_i64_e64 s[0:1], v[2:3], v[4:5]
	v_cmp_lt_i64_e32 vcc, v[2:3], v[4:5]
	s_and_saveexec_b64 s[2:3], vcc
	s_cbranch_execnz .LBB86_201
; %bb.72:
	s_or_b64 exec, exec, s[2:3]
	v_mov_b32_e32 v23, s6
	s_and_saveexec_b64 s[2:3], s[0:1]
	s_cbranch_execnz .LBB86_202
.LBB86_73:
	s_or_b64 exec, exec, s[2:3]
	v_cmp_eq_u32_e32 vcc, v23, v19
	s_and_saveexec_b64 s[0:1], vcc
	s_cbranch_execz .LBB86_75
.LBB86_74:
	ds_read_u8 v19, v8 offset:1025
	ds_read_u8 v23, v7 offset:1024
	ds_write_b64 v1, v[4:5]
	v_add_u32_e32 v4, v7, v9
	ds_write_b64 v4, v[2:3] offset:8
	s_waitcnt lgkmcnt(3)
	ds_write_b8 v7, v19 offset:1024
	s_waitcnt lgkmcnt(3)
	ds_write_b8 v8, v23 offset:1025
.LBB86_75:
	s_or_b64 exec, exec, s[0:1]
	v_and_b32_e32 v2, 31, v0
	v_sub_u32_e32 v19, v6, v2
	v_add_u32_e32 v23, 8, v19
	v_lshl_add_u32 v24, v19, 3, 8
	v_mad_i32_i24 v4, v19, 7, v23
	s_waitcnt lgkmcnt(0)
	s_barrier
	ds_read_b64 v[2:3], v24
	ds_read_b64 v[4:5], v4 offset:256
                                        ; implicit-def: $sgpr6
	s_waitcnt lgkmcnt(0)
	v_cmp_ge_i64_e64 s[0:1], v[2:3], v[4:5]
	v_cmp_lt_i64_e32 vcc, v[2:3], v[4:5]
	s_and_saveexec_b64 s[2:3], vcc
	s_cbranch_execz .LBB86_77
; %bb.76:
	ds_read_u8 v25, v23 offset:1024
	s_andn2_b64 s[0:1], s[0:1], exec
	s_mov_b32 s6, 1
	s_waitcnt lgkmcnt(0)
	v_and_b32_e32 v25, 1, v25
	v_cmp_eq_u32_e32 vcc, 1, v25
	s_xor_b64 s[8:9], vcc, -1
	s_and_b64 s[8:9], s[8:9], exec
	s_or_b64 s[0:1], s[0:1], s[8:9]
.LBB86_77:
	s_or_b64 exec, exec, s[2:3]
	v_mul_i32_i24_e32 v25, 7, v19
	v_mov_b32_e32 v26, s6
	s_and_saveexec_b64 s[2:3], s[0:1]
	s_cbranch_execz .LBB86_79
; %bb.78:
	ds_read_u8 v19, v23 offset:1056
	s_waitcnt lgkmcnt(0)
	v_xor_b32_e32 v26, 1, v19
.LBB86_79:
	s_or_b64 exec, exec, s[2:3]
	v_bfe_u32 v19, v0, 5, 1
	v_cmp_eq_u32_e32 vcc, v26, v19
	v_add_u32_e32 v25, v23, v25
	s_and_saveexec_b64 s[0:1], vcc
	s_cbranch_execz .LBB86_81
; %bb.80:
	ds_read_u8 v26, v23 offset:1056
	ds_read_u8 v27, v23 offset:1024
	ds_write_b64 v24, v[4:5]
	ds_write_b64 v25, v[2:3] offset:256
	s_waitcnt lgkmcnt(3)
	ds_write_b8 v23, v26 offset:1024
	s_waitcnt lgkmcnt(3)
	ds_write_b8 v23, v27 offset:1056
.LBB86_81:
	s_or_b64 exec, exec, s[0:1]
	s_waitcnt lgkmcnt(0)
	s_barrier
	ds_read_b64 v[2:3], v21
	ds_read_b64 v[4:5], v22 offset:128
                                        ; implicit-def: $sgpr6
	s_waitcnt lgkmcnt(0)
	v_cmp_ge_i64_e64 s[0:1], v[2:3], v[4:5]
	v_cmp_lt_i64_e32 vcc, v[2:3], v[4:5]
	s_and_saveexec_b64 s[2:3], vcc
	s_cbranch_execnz .LBB86_203
; %bb.82:
	s_or_b64 exec, exec, s[2:3]
	v_mov_b32_e32 v26, s6
	s_and_saveexec_b64 s[2:3], s[0:1]
	s_cbranch_execnz .LBB86_204
.LBB86_83:
	s_or_b64 exec, exec, s[2:3]
	v_cmp_eq_u32_e32 vcc, v26, v19
	s_and_saveexec_b64 s[0:1], vcc
	s_cbranch_execz .LBB86_85
.LBB86_84:
	ds_read_u8 v26, v20 offset:1040
	ds_read_u8 v27, v20 offset:1024
	ds_write_b64 v21, v[4:5]
	ds_write_b64 v22, v[2:3] offset:128
	s_waitcnt lgkmcnt(3)
	ds_write_b8 v20, v26 offset:1024
	s_waitcnt lgkmcnt(3)
	ds_write_b8 v20, v27 offset:1040
.LBB86_85:
	s_or_b64 exec, exec, s[0:1]
	s_waitcnt lgkmcnt(0)
	s_barrier
	ds_read_b64 v[2:3], v17
	ds_read_b64 v[4:5], v18 offset:64
                                        ; implicit-def: $sgpr6
	s_waitcnt lgkmcnt(0)
	v_cmp_ge_i64_e64 s[0:1], v[2:3], v[4:5]
	v_cmp_lt_i64_e32 vcc, v[2:3], v[4:5]
	s_and_saveexec_b64 s[2:3], vcc
	s_cbranch_execnz .LBB86_205
; %bb.86:
	s_or_b64 exec, exec, s[2:3]
	v_mov_b32_e32 v26, s6
	s_and_saveexec_b64 s[2:3], s[0:1]
	s_cbranch_execnz .LBB86_206
.LBB86_87:
	s_or_b64 exec, exec, s[2:3]
	v_cmp_eq_u32_e32 vcc, v26, v19
	s_and_saveexec_b64 s[0:1], vcc
	s_cbranch_execz .LBB86_89
.LBB86_88:
	ds_read_u8 v26, v16 offset:1032
	ds_read_u8 v27, v16 offset:1024
	ds_write_b64 v17, v[4:5]
	ds_write_b64 v18, v[2:3] offset:64
	s_waitcnt lgkmcnt(3)
	ds_write_b8 v16, v26 offset:1024
	s_waitcnt lgkmcnt(3)
	ds_write_b8 v16, v27 offset:1032
.LBB86_89:
	s_or_b64 exec, exec, s[0:1]
	s_waitcnt lgkmcnt(0)
	s_barrier
	ds_read_b64 v[2:3], v14
	ds_read_b64 v[4:5], v15 offset:32
                                        ; implicit-def: $sgpr6
	s_waitcnt lgkmcnt(0)
	v_cmp_ge_i64_e64 s[0:1], v[2:3], v[4:5]
	v_cmp_lt_i64_e32 vcc, v[2:3], v[4:5]
	s_and_saveexec_b64 s[2:3], vcc
	s_cbranch_execnz .LBB86_207
; %bb.90:
	s_or_b64 exec, exec, s[2:3]
	v_mov_b32_e32 v26, s6
	s_and_saveexec_b64 s[2:3], s[0:1]
	s_cbranch_execnz .LBB86_208
.LBB86_91:
	s_or_b64 exec, exec, s[2:3]
	v_cmp_eq_u32_e32 vcc, v26, v19
	s_and_saveexec_b64 s[0:1], vcc
	s_cbranch_execz .LBB86_93
.LBB86_92:
	ds_read_u8 v26, v13 offset:1028
	ds_read_u8 v27, v13 offset:1024
	ds_write_b64 v14, v[4:5]
	ds_write_b64 v15, v[2:3] offset:32
	s_waitcnt lgkmcnt(3)
	ds_write_b8 v13, v26 offset:1024
	s_waitcnt lgkmcnt(3)
	ds_write_b8 v13, v27 offset:1028
.LBB86_93:
	s_or_b64 exec, exec, s[0:1]
	s_waitcnt lgkmcnt(0)
	s_barrier
	ds_read_b64 v[2:3], v11
	ds_read_b64 v[4:5], v12 offset:16
                                        ; implicit-def: $sgpr6
	s_waitcnt lgkmcnt(0)
	v_cmp_ge_i64_e64 s[0:1], v[2:3], v[4:5]
	v_cmp_lt_i64_e32 vcc, v[2:3], v[4:5]
	s_and_saveexec_b64 s[2:3], vcc
	s_cbranch_execnz .LBB86_209
; %bb.94:
	s_or_b64 exec, exec, s[2:3]
	v_mov_b32_e32 v26, s6
	s_and_saveexec_b64 s[2:3], s[0:1]
	s_cbranch_execnz .LBB86_210
.LBB86_95:
	s_or_b64 exec, exec, s[2:3]
	v_cmp_eq_u32_e32 vcc, v26, v19
	s_and_saveexec_b64 s[0:1], vcc
	s_cbranch_execz .LBB86_97
.LBB86_96:
	ds_read_u8 v26, v10 offset:1026
	ds_read_u8 v27, v10 offset:1024
	ds_write_b64 v11, v[4:5]
	ds_write_b64 v12, v[2:3] offset:16
	s_waitcnt lgkmcnt(3)
	ds_write_b8 v10, v26 offset:1024
	s_waitcnt lgkmcnt(3)
	ds_write_b8 v10, v27 offset:1026
.LBB86_97:
	s_or_b64 exec, exec, s[0:1]
	s_waitcnt lgkmcnt(0)
	s_barrier
	ds_read2_b64 v[2:5], v1 offset1:1
                                        ; implicit-def: $sgpr6
	s_waitcnt lgkmcnt(0)
	v_cmp_ge_i64_e64 s[0:1], v[2:3], v[4:5]
	v_cmp_lt_i64_e32 vcc, v[2:3], v[4:5]
	s_and_saveexec_b64 s[2:3], vcc
	s_cbranch_execnz .LBB86_211
; %bb.98:
	s_or_b64 exec, exec, s[2:3]
	v_mov_b32_e32 v26, s6
	s_and_saveexec_b64 s[2:3], s[0:1]
	s_cbranch_execnz .LBB86_212
.LBB86_99:
	s_or_b64 exec, exec, s[2:3]
	v_cmp_eq_u32_e32 vcc, v26, v19
	s_and_saveexec_b64 s[0:1], vcc
	s_cbranch_execz .LBB86_101
.LBB86_100:
	ds_read_u8 v19, v8 offset:1025
	ds_read_u8 v26, v7 offset:1024
	ds_write_b64 v1, v[4:5]
	v_add_u32_e32 v4, v7, v9
	ds_write_b64 v4, v[2:3] offset:8
	s_waitcnt lgkmcnt(3)
	ds_write_b8 v7, v19 offset:1024
	s_waitcnt lgkmcnt(3)
	ds_write_b8 v8, v26 offset:1025
.LBB86_101:
	s_or_b64 exec, exec, s[0:1]
	v_and_b32_e32 v19, 63, v0
	v_sub_u32_e32 v28, v6, v19
	v_add_u32_e32 v26, 8, v28
	v_lshl_add_u32 v27, v28, 3, 8
	v_mad_i32_i24 v4, v28, 7, v26
	s_waitcnt lgkmcnt(0)
	s_barrier
	ds_read_b64 v[2:3], v27
	ds_read_b64 v[4:5], v4 offset:512
	s_waitcnt lgkmcnt(0)
	v_cmp_ge_i64_e64 s[2:3], v[2:3], v[4:5]
	v_cmp_lt_i64_e32 vcc, v[2:3], v[4:5]
	s_and_saveexec_b64 s[0:1], vcc
	s_cbranch_execz .LBB86_103
; %bb.102:
	ds_read_u8 v29, v26 offset:1024
	s_andn2_b64 s[2:3], s[2:3], exec
	s_waitcnt lgkmcnt(0)
	v_and_b32_e32 v29, 1, v29
	v_cmp_eq_u32_e32 vcc, 1, v29
	s_xor_b64 s[6:7], vcc, -1
	s_and_b64 s[6:7], s[6:7], exec
	s_or_b64 s[2:3], s[2:3], s[6:7]
.LBB86_103:
	s_or_b64 exec, exec, s[0:1]
	s_and_saveexec_b64 s[0:1], s[2:3]
	s_cbranch_execz .LBB86_106
; %bb.104:
	ds_read_u8 v29, v26 offset:1088
	s_waitcnt lgkmcnt(0)
	v_cmp_ne_u16_e32 vcc, 0, v29
	s_and_b64 exec, exec, vcc
	s_cbranch_execz .LBB86_106
; %bb.105:
	ds_read_u8 v30, v26 offset:1024
	v_mul_i32_i24_e32 v28, 7, v28
	ds_write_b64 v27, v[4:5]
	v_add_u32_e32 v4, v26, v28
	ds_write_b64 v4, v[2:3] offset:512
	ds_write_b8 v26, v29 offset:1024
	s_waitcnt lgkmcnt(3)
	ds_write_b8 v26, v30 offset:1088
.LBB86_106:
	s_or_b64 exec, exec, s[0:1]
	s_waitcnt lgkmcnt(0)
	s_barrier
	ds_read_b64 v[2:3], v24
	ds_read_b64 v[4:5], v25 offset:256
	s_waitcnt lgkmcnt(0)
	v_cmp_ge_i64_e64 s[2:3], v[2:3], v[4:5]
	v_cmp_lt_i64_e32 vcc, v[2:3], v[4:5]
	s_and_saveexec_b64 s[0:1], vcc
	s_cbranch_execz .LBB86_108
; %bb.107:
	ds_read_u8 v26, v23 offset:1024
	s_andn2_b64 s[2:3], s[2:3], exec
	s_waitcnt lgkmcnt(0)
	v_and_b32_e32 v26, 1, v26
	v_cmp_eq_u32_e32 vcc, 1, v26
	s_xor_b64 s[6:7], vcc, -1
	s_and_b64 s[6:7], s[6:7], exec
	s_or_b64 s[2:3], s[2:3], s[6:7]
.LBB86_108:
	s_or_b64 exec, exec, s[0:1]
	s_and_saveexec_b64 s[0:1], s[2:3]
	s_cbranch_execz .LBB86_111
; %bb.109:
	ds_read_u8 v26, v23 offset:1056
	s_waitcnt lgkmcnt(0)
	v_cmp_ne_u16_e32 vcc, 0, v26
	s_and_b64 exec, exec, vcc
	s_cbranch_execz .LBB86_111
; %bb.110:
	ds_read_u8 v27, v23 offset:1024
	ds_write_b64 v24, v[4:5]
	ds_write_b64 v25, v[2:3] offset:256
	ds_write_b8 v23, v26 offset:1024
	s_waitcnt lgkmcnt(3)
	ds_write_b8 v23, v27 offset:1056
.LBB86_111:
	s_or_b64 exec, exec, s[0:1]
	s_waitcnt lgkmcnt(0)
	s_barrier
	ds_read_b64 v[2:3], v21
	ds_read_b64 v[4:5], v22 offset:128
	s_waitcnt lgkmcnt(0)
	v_cmp_ge_i64_e64 s[2:3], v[2:3], v[4:5]
	v_cmp_lt_i64_e32 vcc, v[2:3], v[4:5]
	s_and_saveexec_b64 s[0:1], vcc
	s_cbranch_execz .LBB86_113
; %bb.112:
	ds_read_u8 v23, v20 offset:1024
	s_andn2_b64 s[2:3], s[2:3], exec
	s_waitcnt lgkmcnt(0)
	v_and_b32_e32 v23, 1, v23
	v_cmp_eq_u32_e32 vcc, 1, v23
	s_xor_b64 s[6:7], vcc, -1
	s_and_b64 s[6:7], s[6:7], exec
	s_or_b64 s[2:3], s[2:3], s[6:7]
.LBB86_113:
	s_or_b64 exec, exec, s[0:1]
	s_and_saveexec_b64 s[0:1], s[2:3]
	s_cbranch_execz .LBB86_116
; %bb.114:
	ds_read_u8 v23, v20 offset:1040
	s_waitcnt lgkmcnt(0)
	v_cmp_ne_u16_e32 vcc, 0, v23
	s_and_b64 exec, exec, vcc
	s_cbranch_execz .LBB86_116
; %bb.115:
	ds_read_u8 v24, v20 offset:1024
	ds_write_b64 v21, v[4:5]
	ds_write_b64 v22, v[2:3] offset:128
	ds_write_b8 v20, v23 offset:1024
	s_waitcnt lgkmcnt(3)
	ds_write_b8 v20, v24 offset:1040
.LBB86_116:
	;; [unrolled: 37-line block ×5, first 2 shown]
	s_or_b64 exec, exec, s[0:1]
	s_waitcnt lgkmcnt(0)
	s_barrier
	ds_read2_b64 v[2:5], v1 offset1:1
	s_waitcnt lgkmcnt(0)
	v_cmp_ge_i64_e64 s[2:3], v[2:3], v[4:5]
	v_cmp_lt_i64_e32 vcc, v[2:3], v[4:5]
	s_and_saveexec_b64 s[0:1], vcc
	s_cbranch_execz .LBB86_133
; %bb.132:
	ds_read_u8 v10, v7 offset:1024
	s_andn2_b64 s[2:3], s[2:3], exec
	s_waitcnt lgkmcnt(0)
	v_and_b32_e32 v10, 1, v10
	v_cmp_eq_u32_e32 vcc, 1, v10
	s_xor_b64 s[6:7], vcc, -1
	s_and_b64 s[6:7], s[6:7], exec
	s_or_b64 s[2:3], s[2:3], s[6:7]
.LBB86_133:
	s_or_b64 exec, exec, s[0:1]
	s_and_saveexec_b64 s[0:1], s[2:3]
	s_cbranch_execz .LBB86_136
; %bb.134:
	ds_read_u8 v10, v8 offset:1025
	s_waitcnt lgkmcnt(0)
	v_cmp_ne_u16_e32 vcc, 0, v10
	s_and_b64 exec, exec, vcc
	s_cbranch_execz .LBB86_136
; %bb.135:
	ds_read_u8 v11, v7 offset:1024
	ds_write_b64 v1, v[4:5]
	v_add_u32_e32 v4, v7, v9
	ds_write_b64 v4, v[2:3] offset:8
	ds_write_b8 v7, v10 offset:1024
	s_waitcnt lgkmcnt(3)
	ds_write_b8 v8, v11 offset:1025
.LBB86_136:
	s_or_b64 exec, exec, s[0:1]
	v_cmp_eq_u32_e32 vcc, 0, v0
	s_waitcnt lgkmcnt(0)
	s_barrier
	s_barrier
	s_and_saveexec_b64 s[0:1], vcc
	s_cbranch_execz .LBB86_138
; %bb.137:
	v_mov_b32_e32 v2, 8
	v_mov_b32_e32 v3, 1
	ds_write_b8 v2, v3 offset:1028
	v_mov_b32_e32 v3, 0
	ds_write_b32 v2, v3 offset:1024
.LBB86_138:
	s_or_b64 exec, exec, s[0:1]
	ds_read2_b64 v[2:5], v1 offset1:1
	s_add_i32 s10, 8, 0x400
	v_lshl_add_u32 v1, v6, 3, s10
	v_cmp_gt_u32_e64 s[2:3], 63, v0
	s_waitcnt lgkmcnt(0)
	v_cmp_ne_u64_e64 s[0:1], v[2:3], v[4:5]
	v_cndmask_b32_e64 v7, 0, 1, s[0:1]
	v_cmp_eq_u64_e64 s[0:1], v[2:3], v[4:5]
	v_cndmask_b32_e64 v2, 0, 1, s[0:1]
	ds_write_b32 v1, v2 offset:8
	v_lshl_add_u32 v2, v6, 3, 8
	ds_write_b8 v1, v7 offset:12
	s_and_saveexec_b64 s[6:7], s[2:3]
	s_cbranch_execz .LBB86_140
; %bb.139:
	ds_read_b64 v[8:9], v2 offset:16
	s_waitcnt lgkmcnt(0)
	v_cmp_ne_u64_e64 s[0:1], v[4:5], v[8:9]
	v_cndmask_b32_e64 v3, 0, 1, s[0:1]
	v_cmp_eq_u64_e64 s[0:1], v[4:5], v[8:9]
	v_cndmask_b32_e64 v4, 0, 1, s[0:1]
	ds_write_b8 v1, v3 offset:20
	ds_write_b32 v1, v4 offset:16
.LBB86_140:
	s_or_b64 exec, exec, s[6:7]
	v_cmp_gt_u32_e64 s[0:1], 64, v0
	s_waitcnt lgkmcnt(0)
	s_barrier
	s_and_saveexec_b64 s[8:9], s[0:1]
	s_cbranch_execz .LBB86_142
; %bb.141:
	ds_read_u8 v3, v1 offset:12
	ds_read_b32 v4, v2 offset:1024
	ds_read_b32 v5, v1 offset:8
	ds_read_u8 v7, v2 offset:1028
	s_waitcnt lgkmcnt(3)
	v_and_b32_e32 v8, 1, v3
	v_cmp_eq_u32_e64 s[6:7], 1, v8
	s_waitcnt lgkmcnt(2)
	v_cndmask_b32_e64 v4, v4, 0, s[6:7]
	s_waitcnt lgkmcnt(0)
	v_or_b32_e32 v3, v7, v3
	v_add_u32_e32 v4, v4, v5
	v_and_b32_e32 v3, 1, v3
	ds_write2_b32 v1, v4, v3 offset0:2 offset1:3
.LBB86_142:
	s_or_b64 exec, exec, s[8:9]
	v_add_u32_e32 v9, 2, v6
	v_lshlrev_b32_e32 v3, 1, v9
	v_add_u32_e32 v4, -1, v3
	v_cmp_gt_u32_e64 s[6:7], 32, v0
	s_waitcnt lgkmcnt(0)
	s_barrier
	s_and_saveexec_b64 s[8:9], s[6:7]
	s_cbranch_execz .LBB86_144
; %bb.143:
	v_lshl_add_u32 v5, v4, 3, 8
	ds_read_b32 v7, v5 offset:1024
	ds_read_u8 v8, v5 offset:1028
	v_lshl_add_u32 v10, v3, 3, 8
	ds_read_b32 v11, v10 offset:1000
	ds_read_u8 v10, v10 offset:1004
	v_add_u32_e32 v5, 0x400, v5
	s_waitcnt lgkmcnt(2)
	v_and_b32_e32 v12, 1, v8
	v_cmp_eq_u32_e64 s[6:7], 1, v12
	s_waitcnt lgkmcnt(1)
	v_cndmask_b32_e64 v11, v11, 0, s[6:7]
	s_waitcnt lgkmcnt(0)
	v_or_b32_e32 v8, v10, v8
	v_add_u32_e32 v7, v11, v7
	v_and_b32_e32 v8, 1, v8
	ds_write2_b32 v5, v7, v8 offset1:1
.LBB86_144:
	s_or_b64 exec, exec, s[8:9]
	v_lshlrev_b32_e32 v5, 2, v9
	v_add_u32_e32 v4, v4, v3
	v_cmp_gt_u32_e64 s[6:7], 16, v0
	s_waitcnt lgkmcnt(0)
	s_barrier
	s_and_saveexec_b64 s[8:9], s[6:7]
	s_cbranch_execz .LBB86_146
; %bb.145:
	v_lshl_add_u32 v7, v4, 3, 8
	ds_read_b32 v8, v7 offset:1024
	ds_read_u8 v10, v7 offset:1028
	v_lshl_add_u32 v11, v5, 3, 8
	ds_read_b32 v12, v11 offset:984
	ds_read_u8 v11, v11 offset:988
	v_add_u32_e32 v7, 0x400, v7
	s_waitcnt lgkmcnt(2)
	v_and_b32_e32 v13, 1, v10
	v_cmp_eq_u32_e64 s[6:7], 1, v13
	s_waitcnt lgkmcnt(1)
	v_cndmask_b32_e64 v12, v12, 0, s[6:7]
	s_waitcnt lgkmcnt(0)
	v_or_b32_e32 v10, v11, v10
	v_add_u32_e32 v8, v12, v8
	v_and_b32_e32 v10, 1, v10
	ds_write2_b32 v7, v8, v10 offset1:1
.LBB86_146:
	s_or_b64 exec, exec, s[8:9]
	v_lshlrev_b32_e32 v8, 3, v9
	v_add_u32_e32 v7, v4, v5
	;; [unrolled: 27-line block ×3, first 2 shown]
	v_cmp_gt_u32_e64 s[6:7], 4, v0
	s_waitcnt lgkmcnt(0)
	s_barrier
	s_and_saveexec_b64 s[8:9], s[6:7]
	s_cbranch_execz .LBB86_150
; %bb.149:
	v_lshl_add_u32 v12, v10, 3, 8
	ds_read_b32 v13, v12 offset:1024
	ds_read_u8 v14, v12 offset:1028
	v_lshl_add_u32 v15, v11, 3, 8
	ds_read_b32 v16, v15 offset:888
	ds_read_u8 v15, v15 offset:892
	v_add_u32_e32 v12, 0x400, v12
	s_waitcnt lgkmcnt(2)
	v_and_b32_e32 v17, 1, v14
	v_cmp_eq_u32_e64 s[6:7], 1, v17
	s_waitcnt lgkmcnt(1)
	v_cndmask_b32_e64 v16, v16, 0, s[6:7]
	s_waitcnt lgkmcnt(0)
	v_or_b32_e32 v14, v15, v14
	v_add_u32_e32 v13, v16, v13
	v_and_b32_e32 v14, 1, v14
	ds_write2_b32 v12, v13, v14 offset1:1
.LBB86_150:
	s_or_b64 exec, exec, s[8:9]
	v_add_u32_e32 v12, v10, v11
	v_cmp_gt_u32_e64 s[6:7], 2, v0
	v_lshl_add_u32 v12, v12, 3, 8
	s_waitcnt lgkmcnt(0)
	s_barrier
	s_and_saveexec_b64 s[8:9], s[6:7]
	s_cbranch_execz .LBB86_152
; %bb.151:
	ds_read_u8 v14, v12 offset:1028
	v_lshl_add_u32 v9, v9, 8, 8
	ds_read_b32 v15, v9 offset:760
	ds_read_b32 v16, v12 offset:1024
	ds_read_u8 v9, v9 offset:764
	v_add_u32_e32 v13, 0x400, v12
	s_waitcnt lgkmcnt(3)
	v_and_b32_e32 v17, 1, v14
	v_cmp_eq_u32_e64 s[6:7], 1, v17
	s_waitcnt lgkmcnt(2)
	v_cndmask_b32_e64 v15, v15, 0, s[6:7]
	s_waitcnt lgkmcnt(0)
	v_or_b32_e32 v9, v9, v14
	v_add_u32_e32 v15, v15, v16
	v_and_b32_e32 v9, 1, v9
	ds_write2_b32 v13, v15, v9 offset1:1
.LBB86_152:
	s_or_b64 exec, exec, s[8:9]
	s_waitcnt lgkmcnt(0)
	s_barrier
	s_and_saveexec_b64 s[8:9], vcc
	s_cbranch_execz .LBB86_154
; %bb.153:
	v_mov_b32_e32 v9, 8
	s_movk_i32 s6, 0xf8
	ds_read_u8 v13, v9 offset:2044
	v_add_u32_e64 v14, s6, 8
	ds_read2st64_b32 v[14:15], v14 offset0:5 offset1:7
	ds_read_u8 v9, v9 offset:1532
	s_add_i32 s11, 8, 0x7f8
	s_waitcnt lgkmcnt(2)
	v_and_b32_e32 v16, 1, v13
	v_cmp_eq_u32_e64 s[6:7], 1, v16
	s_waitcnt lgkmcnt(1)
	v_cndmask_b32_e64 v14, v14, 0, s[6:7]
	s_waitcnt lgkmcnt(0)
	v_or_b32_e32 v9, v9, v13
	v_add_u32_e32 v14, v14, v15
	v_and_b32_e32 v9, 1, v9
	v_mov_b32_e32 v13, s11
	ds_write2_b32 v13, v14, v9 offset1:1
.LBB86_154:
	s_or_b64 exec, exec, s[8:9]
	s_waitcnt lgkmcnt(0)
	s_barrier
	s_and_saveexec_b64 s[8:9], vcc
	s_cbranch_execz .LBB86_156
; %bb.155:
	v_mov_b32_e32 v9, 8
	ds_read_u8 v13, v9 offset:1788
	ds_read_b32 v9, v9 offset:1784
	ds_read_b32 v14, v12 offset:1024
	ds_read_u8 v12, v12 offset:1028
	s_add_i32 s11, 8, 0x6f8
	s_waitcnt lgkmcnt(3)
	v_and_b32_e32 v15, 1, v13
	v_cmp_eq_u32_e64 s[6:7], 1, v15
	s_waitcnt lgkmcnt(1)
	v_cndmask_b32_e64 v14, v14, 0, s[6:7]
	s_waitcnt lgkmcnt(0)
	v_or_b32_e32 v12, v12, v13
	v_add_u32_e32 v9, v14, v9
	v_and_b32_e32 v12, 1, v12
	v_mov_b32_e32 v13, s11
	ds_write2_b32 v13, v9, v12 offset1:1
.LBB86_156:
	s_or_b64 exec, exec, s[8:9]
	v_cmp_gt_u32_e64 s[6:7], 3, v0
	s_waitcnt lgkmcnt(0)
	s_barrier
	s_and_saveexec_b64 s[8:9], s[6:7]
	s_cbranch_execz .LBB86_158
; %bb.157:
	v_lshl_add_u32 v9, v11, 3, s10
	ds_read_u8 v11, v9 offset:124
	v_lshl_add_u32 v10, v10, 3, s10
	ds_read_b32 v12, v10
	ds_read_b32 v13, v9 offset:120
	ds_read_u8 v10, v10 offset:4
	s_waitcnt lgkmcnt(3)
	v_and_b32_e32 v14, 1, v11
	v_cmp_eq_u32_e64 s[6:7], 1, v14
	s_waitcnt lgkmcnt(2)
	v_cndmask_b32_e64 v12, v12, 0, s[6:7]
	s_waitcnt lgkmcnt(0)
	v_or_b32_e32 v10, v10, v11
	v_add_u32_e32 v12, v12, v13
	v_and_b32_e32 v10, 1, v10
	ds_write2_b32 v9, v12, v10 offset0:30 offset1:31
.LBB86_158:
	s_or_b64 exec, exec, s[8:9]
	v_cmp_gt_u32_e64 s[6:7], 7, v0
	s_waitcnt lgkmcnt(0)
	s_barrier
	s_and_saveexec_b64 s[8:9], s[6:7]
	s_cbranch_execz .LBB86_160
; %bb.159:
	v_lshl_add_u32 v8, v8, 3, s10
	ds_read_u8 v9, v8 offset:60
	v_lshl_add_u32 v7, v7, 3, s10
	ds_read_b32 v10, v7
	ds_read_b32 v11, v8 offset:56
	ds_read_u8 v7, v7 offset:4
	s_waitcnt lgkmcnt(3)
	v_and_b32_e32 v12, 1, v9
	v_cmp_eq_u32_e64 s[6:7], 1, v12
	s_waitcnt lgkmcnt(2)
	v_cndmask_b32_e64 v10, v10, 0, s[6:7]
	s_waitcnt lgkmcnt(0)
	v_or_b32_e32 v7, v7, v9
	v_add_u32_e32 v10, v10, v11
	v_and_b32_e32 v7, 1, v7
	ds_write2_b32 v8, v10, v7 offset0:14 offset1:15
.LBB86_160:
	;; [unrolled: 24-line block ×3, first 2 shown]
	s_or_b64 exec, exec, s[8:9]
	v_cmp_gt_u32_e64 s[6:7], 31, v0
	s_waitcnt lgkmcnt(0)
	s_barrier
	s_and_saveexec_b64 s[8:9], s[6:7]
	s_cbranch_execz .LBB86_164
; %bb.163:
	v_lshl_add_u32 v3, v3, 3, s10
	ds_read_u8 v4, v3 offset:12
	v_add_u32_e32 v5, -8, v3
	ds_read_b32 v7, v5
	ds_read_b32 v8, v3 offset:8
	ds_read_u8 v5, v5 offset:4
	s_waitcnt lgkmcnt(3)
	v_and_b32_e32 v9, 1, v4
	v_cmp_eq_u32_e64 s[6:7], 1, v9
	s_waitcnt lgkmcnt(2)
	v_cndmask_b32_e64 v7, v7, 0, s[6:7]
	s_waitcnt lgkmcnt(0)
	v_or_b32_e32 v4, v5, v4
	v_add_u32_e32 v7, v7, v8
	v_and_b32_e32 v4, 1, v4
	ds_write2_b32 v3, v7, v4 offset0:2 offset1:3
.LBB86_164:
	s_or_b64 exec, exec, s[8:9]
	s_waitcnt lgkmcnt(0)
	s_barrier
	s_and_saveexec_b64 s[6:7], s[2:3]
	s_cbranch_execz .LBB86_166
; %bb.165:
	ds_read_u8 v3, v1 offset:20
	ds_read_u8 v7, v1 offset:12
	ds_read2_b32 v[4:5], v1 offset0:2 offset1:4
	s_waitcnt lgkmcnt(2)
	v_and_b32_e32 v8, 1, v3
	v_cmp_eq_u32_e64 s[2:3], 1, v8
	s_waitcnt lgkmcnt(1)
	v_or_b32_e32 v3, v7, v3
	s_waitcnt lgkmcnt(0)
	v_cndmask_b32_e64 v4, v4, 0, s[2:3]
	v_add_u32_e32 v4, v4, v5
	v_and_b32_e32 v3, 1, v3
	ds_write2_b32 v1, v4, v3 offset0:4 offset1:5
.LBB86_166:
	s_or_b64 exec, exec, s[6:7]
	s_waitcnt lgkmcnt(0)
	s_barrier
	ds_read_b32 v3, v2 offset:1024
	ds_read_b32 v1, v1 offset:8
	v_or_b32_e32 v2, 1, v6
	v_cmp_gt_u32_e64 s[6:7], s16, v2
	v_cmp_gt_u32_e64 s[2:3], s16, v6
	s_waitcnt lgkmcnt(1)
	v_cndmask_b32_e64 v3, 0, v3, s[2:3]
	s_waitcnt lgkmcnt(0)
	v_cndmask_b32_e64 v5, 0, v1, s[6:7]
	v_mbcnt_lo_u32_b32 v1, -1, 0
	v_mbcnt_hi_u32_b32 v12, -1, v1
	v_and_b32_e32 v13, 63, v12
	v_cmp_gt_u32_e64 s[8:9], 32, v13
	v_cndmask_b32_e64 v1, 0, 1, s[8:9]
	v_lshlrev_b32_e32 v1, 5, v1
	v_cndmask_b32_e64 v4, 0, v6, s[2:3]
	v_max_u32_e32 v7, v5, v3
	v_add_lshl_u32 v1, v1, v12, 2
	v_cndmask_b32_e64 v8, 0, v2, s[6:7]
	v_cmp_gt_u32_e64 s[8:9], v5, v3
	ds_bpermute_b32 v9, v1, v7
	v_cndmask_b32_e64 v3, v4, v8, s[8:9]
	ds_bpermute_b32 v4, v1, v3
	v_cmp_gt_u32_e64 s[8:9], 48, v13
	v_cndmask_b32_e64 v8, 0, 1, s[8:9]
	v_lshlrev_b32_e32 v8, 4, v8
	s_waitcnt lgkmcnt(1)
	v_max_u32_e32 v5, v9, v7
	v_add_lshl_u32 v8, v8, v12, 2
	v_cmp_gt_u32_e64 s[8:9], v9, v7
	ds_bpermute_b32 v10, v8, v5
	s_waitcnt lgkmcnt(1)
	v_cndmask_b32_e64 v3, v3, v4, s[8:9]
	ds_bpermute_b32 v4, v8, v3
	v_cmp_gt_u32_e64 s[8:9], 56, v13
	v_cndmask_b32_e64 v9, 0, 1, s[8:9]
	v_lshlrev_b32_e32 v9, 3, v9
	s_waitcnt lgkmcnt(1)
	v_max_u32_e32 v7, v10, v5
	v_add_lshl_u32 v9, v9, v12, 2
	v_cmp_gt_u32_e64 s[8:9], v10, v5
	ds_bpermute_b32 v11, v9, v7
	s_waitcnt lgkmcnt(1)
	;; [unrolled: 11-line block ×4, first 2 shown]
	v_cndmask_b32_e64 v4, v3, v4, s[8:9]
	ds_bpermute_b32 v5, v11, v4
	s_waitcnt lgkmcnt(0)
	s_barrier
	v_cmp_gt_u32_e64 s[8:9], v15, v7
	v_max_u32_e32 v3, v15, v7
	v_cndmask_b32_e64 v4, v4, v5, s[8:9]
	v_cmp_ne_u32_e64 s[8:9], 63, v13
	v_addc_co_u32_e64 v5, s[8:9], 0, v12, s[8:9]
	v_lshlrev_b32_e32 v12, 2, v5
	ds_bpermute_b32 v5, v12, v4
	ds_bpermute_b32 v7, v12, v3
	v_cmp_eq_u32_e64 s[8:9], 0, v19
	s_waitcnt lgkmcnt(0)
	s_barrier
	s_and_saveexec_b64 s[12:13], s[8:9]
	s_cbranch_execz .LBB86_168
; %bb.167:
	v_lshrrev_b32_e32 v13, 3, v0
	v_add_u32_e32 v13, 8, v13
	v_cmp_gt_u32_e64 s[10:11], v7, v3
	v_add_u32_e32 v13, 0x400, v13
	v_cndmask_b32_e64 v4, v4, v5, s[10:11]
	v_max_u32_e32 v3, v7, v3
	ds_write2_b32 v13, v3, v4 offset1:1
.LBB86_168:
	s_or_b64 exec, exec, s[12:13]
	s_lshr_b32 s10, s20, 6
	v_cmp_gt_u32_e64 s[10:11], s10, v0
	v_lshl_add_u32 v13, v19, 3, 8
	v_mov_b32_e32 v3, 0
	v_mov_b32_e32 v4, 0
	s_waitcnt lgkmcnt(0)
	s_barrier
	s_and_saveexec_b64 s[12:13], s[10:11]
	s_cbranch_execnz .LBB86_213
; %bb.169:
	s_or_b64 exec, exec, s[12:13]
	s_and_saveexec_b64 s[12:13], s[10:11]
	s_cbranch_execnz .LBB86_214
.LBB86_170:
	s_or_b64 exec, exec, s[12:13]
	s_and_saveexec_b64 s[20:21], s[0:1]
	s_cbranch_execnz .LBB86_215
.LBB86_171:
	s_or_b64 exec, exec, s[20:21]
	s_and_saveexec_b64 s[12:13], vcc
	s_cbranch_execz .LBB86_173
.LBB86_172:
	s_waitcnt lgkmcnt(0)
	v_lshl_add_u32 v3, v3, 3, 8
	ds_read_b64 v[4:5], v3
	v_mov_b32_e32 v3, 0
	s_waitcnt lgkmcnt(0)
	ds_write_b64 v3, v[4:5]
.LBB86_173:
	s_or_b64 exec, exec, s[12:13]
	s_mov_b32 s20, 0
	v_mov_b32_e32 v7, 0
	s_mov_b32 s21, s20
	v_cmp_gt_i64_e64 s[12:13], s[16:17], v[6:7]
	s_waitcnt lgkmcnt(0)
	v_pk_mov_b32 v[4:5], s[20:21], s[20:21] op_sel:[0,1]
	s_barrier
	s_and_saveexec_b64 s[20:21], s[12:13]
	s_cbranch_execz .LBB86_175
; %bb.174:
	v_add_u32_e32 v4, s15, v6
	v_mov_b32_e32 v5, v7
	v_lshlrev_b64 v[4:5], 3, v[4:5]
	v_mov_b32_e32 v3, s19
	v_add_co_u32_e64 v4, s[12:13], s18, v4
	v_addc_co_u32_e64 v5, s[12:13], v3, v5, s[12:13]
	global_load_dwordx2 v[4:5], v[4:5], off
	ds_read_b64 v[14:15], v7
	s_waitcnt vmcnt(0) lgkmcnt(0)
	v_cmp_eq_u64_e64 s[12:13], v[4:5], v[14:15]
	v_cndmask_b32_e64 v6, 0, v6, s[12:13]
	v_pk_mov_b32 v[4:5], v[6:7], v[6:7] op_sel:[0,1]
.LBB86_175:
	s_or_b64 exec, exec, s[20:21]
	v_mov_b32_e32 v3, v7
	v_cmp_gt_i64_e64 s[12:13], s[16:17], v[2:3]
	s_and_saveexec_b64 s[16:17], s[12:13]
	s_cbranch_execz .LBB86_177
; %bb.176:
	v_add_u32_e32 v6, s15, v2
	v_mov_b32_e32 v7, 0
	v_lshlrev_b64 v[14:15], 3, v[6:7]
	v_mov_b32_e32 v3, s19
	v_add_co_u32_e64 v14, s[12:13], s18, v14
	v_addc_co_u32_e64 v15, s[12:13], v3, v15, s[12:13]
	global_load_dwordx2 v[14:15], v[14:15], off
	ds_read_b64 v[6:7], v7
	s_waitcnt vmcnt(0) lgkmcnt(0)
	v_cmp_eq_u64_e64 s[12:13], v[14:15], v[6:7]
	v_cndmask_b32_e64 v5, 0, v2, s[12:13]
.LBB86_177:
	s_or_b64 exec, exec, s[16:17]
	v_cndmask_b32_e64 v2, 0, v4, s[2:3]
	v_cndmask_b32_e64 v3, 0, v5, s[6:7]
	v_max_u32_e32 v2, v3, v2
	ds_bpermute_b32 v3, v1, v2
	s_waitcnt lgkmcnt(0)
	s_barrier
	v_max_u32_e32 v2, v3, v2
	ds_bpermute_b32 v3, v8, v2
	s_waitcnt lgkmcnt(0)
	v_max_u32_e32 v2, v3, v2
	ds_bpermute_b32 v3, v9, v2
	s_waitcnt lgkmcnt(0)
	;; [unrolled: 3-line block ×4, first 2 shown]
	v_max_u32_e32 v2, v3, v2
	ds_bpermute_b32 v3, v12, v2
	s_and_saveexec_b64 s[2:3], s[8:9]
	s_cbranch_execz .LBB86_179
; %bb.178:
	v_lshrrev_b32_e32 v0, 4, v0
	v_add_u32_e32 v0, 8, v0
	s_waitcnt lgkmcnt(0)
	v_max_u32_e32 v2, v3, v2
	ds_write_b32 v0, v2
.LBB86_179:
	s_or_b64 exec, exec, s[2:3]
	v_mov_b32_e32 v0, 0
	s_waitcnt lgkmcnt(0)
	s_barrier
	s_and_saveexec_b64 s[2:3], s[10:11]
	s_cbranch_execnz .LBB86_216
; %bb.180:
	s_or_b64 exec, exec, s[2:3]
	s_and_saveexec_b64 s[2:3], s[0:1]
	s_cbranch_execnz .LBB86_217
.LBB86_181:
	s_or_b64 exec, exec, s[2:3]
	s_and_saveexec_b64 s[0:1], vcc
	s_cbranch_execnz .LBB86_218
.LBB86_182:
	s_endpgm
.LBB86_183:
	ds_read_u8 v14, v7 offset:1024
	s_andn2_b64 s[0:1], s[0:1], exec
	s_mov_b32 s6, 1
	s_waitcnt lgkmcnt(0)
	v_and_b32_e32 v14, 1, v14
	v_cmp_eq_u32_e32 vcc, 1, v14
	s_xor_b64 s[8:9], vcc, -1
	s_and_b64 s[8:9], s[8:9], exec
	s_or_b64 s[0:1], s[0:1], s[8:9]
	s_or_b64 exec, exec, s[2:3]
	v_mov_b32_e32 v14, s6
	s_and_saveexec_b64 s[2:3], s[0:1]
	s_cbranch_execz .LBB86_19
.LBB86_184:
	ds_read_u8 v14, v8 offset:1025
	s_waitcnt lgkmcnt(0)
	v_xor_b32_e32 v14, 1, v14
	s_or_b64 exec, exec, s[2:3]
	v_cmp_eq_u32_e32 vcc, v14, v13
	s_and_saveexec_b64 s[0:1], vcc
	s_cbranch_execnz .LBB86_20
	s_branch .LBB86_21
.LBB86_185:
	ds_read_u8 v17, v10 offset:1024
	s_andn2_b64 s[0:1], s[0:1], exec
	s_mov_b32 s6, 1
	s_waitcnt lgkmcnt(0)
	v_and_b32_e32 v17, 1, v17
	v_cmp_eq_u32_e32 vcc, 1, v17
	s_xor_b64 s[8:9], vcc, -1
	s_and_b64 s[8:9], s[8:9], exec
	s_or_b64 s[0:1], s[0:1], s[8:9]
	s_or_b64 exec, exec, s[2:3]
	v_mov_b32_e32 v17, s6
	s_and_saveexec_b64 s[2:3], s[0:1]
	s_cbranch_execz .LBB86_29
.LBB86_186:
	ds_read_u8 v17, v10 offset:1026
	s_waitcnt lgkmcnt(0)
	v_xor_b32_e32 v17, 1, v17
	s_or_b64 exec, exec, s[2:3]
	v_cmp_eq_u32_e32 vcc, v17, v16
	s_and_saveexec_b64 s[0:1], vcc
	s_cbranch_execnz .LBB86_30
	s_branch .LBB86_31
.LBB86_187:
	ds_read_u8 v17, v7 offset:1024
	s_andn2_b64 s[0:1], s[0:1], exec
	s_mov_b32 s6, 1
	s_waitcnt lgkmcnt(0)
	v_and_b32_e32 v17, 1, v17
	v_cmp_eq_u32_e32 vcc, 1, v17
	s_xor_b64 s[8:9], vcc, -1
	s_and_b64 s[8:9], s[8:9], exec
	s_or_b64 s[0:1], s[0:1], s[8:9]
	s_or_b64 exec, exec, s[2:3]
	v_mov_b32_e32 v17, s6
	s_and_saveexec_b64 s[2:3], s[0:1]
	s_cbranch_execz .LBB86_33
.LBB86_188:
	ds_read_u8 v17, v8 offset:1025
	s_waitcnt lgkmcnt(0)
	v_xor_b32_e32 v17, 1, v17
	s_or_b64 exec, exec, s[2:3]
	v_cmp_eq_u32_e32 vcc, v17, v16
	s_and_saveexec_b64 s[0:1], vcc
	s_cbranch_execnz .LBB86_34
	s_branch .LBB86_35
.LBB86_189:
	ds_read_u8 v20, v13 offset:1024
	s_andn2_b64 s[0:1], s[0:1], exec
	s_mov_b32 s6, 1
	s_waitcnt lgkmcnt(0)
	v_and_b32_e32 v20, 1, v20
	v_cmp_eq_u32_e32 vcc, 1, v20
	s_xor_b64 s[8:9], vcc, -1
	s_and_b64 s[8:9], s[8:9], exec
	s_or_b64 s[0:1], s[0:1], s[8:9]
	s_or_b64 exec, exec, s[2:3]
	v_mov_b32_e32 v20, s6
	s_and_saveexec_b64 s[2:3], s[0:1]
	s_cbranch_execz .LBB86_43
.LBB86_190:
	ds_read_u8 v20, v13 offset:1028
	s_waitcnt lgkmcnt(0)
	v_xor_b32_e32 v20, 1, v20
	s_or_b64 exec, exec, s[2:3]
	v_cmp_eq_u32_e32 vcc, v20, v19
	s_and_saveexec_b64 s[0:1], vcc
	s_cbranch_execnz .LBB86_44
	s_branch .LBB86_45
.LBB86_191:
	ds_read_u8 v20, v10 offset:1024
	s_andn2_b64 s[0:1], s[0:1], exec
	s_mov_b32 s6, 1
	s_waitcnt lgkmcnt(0)
	v_and_b32_e32 v20, 1, v20
	v_cmp_eq_u32_e32 vcc, 1, v20
	s_xor_b64 s[8:9], vcc, -1
	s_and_b64 s[8:9], s[8:9], exec
	s_or_b64 s[0:1], s[0:1], s[8:9]
	s_or_b64 exec, exec, s[2:3]
	v_mov_b32_e32 v20, s6
	s_and_saveexec_b64 s[2:3], s[0:1]
	s_cbranch_execz .LBB86_47
.LBB86_192:
	ds_read_u8 v20, v10 offset:1026
	s_waitcnt lgkmcnt(0)
	v_xor_b32_e32 v20, 1, v20
	s_or_b64 exec, exec, s[2:3]
	v_cmp_eq_u32_e32 vcc, v20, v19
	s_and_saveexec_b64 s[0:1], vcc
	s_cbranch_execnz .LBB86_48
	s_branch .LBB86_49
.LBB86_193:
	ds_read_u8 v20, v7 offset:1024
	s_andn2_b64 s[0:1], s[0:1], exec
	s_mov_b32 s6, 1
	s_waitcnt lgkmcnt(0)
	v_and_b32_e32 v20, 1, v20
	v_cmp_eq_u32_e32 vcc, 1, v20
	s_xor_b64 s[8:9], vcc, -1
	s_and_b64 s[8:9], s[8:9], exec
	s_or_b64 s[0:1], s[0:1], s[8:9]
	s_or_b64 exec, exec, s[2:3]
	v_mov_b32_e32 v20, s6
	s_and_saveexec_b64 s[2:3], s[0:1]
	s_cbranch_execz .LBB86_51
.LBB86_194:
	ds_read_u8 v20, v8 offset:1025
	s_waitcnt lgkmcnt(0)
	v_xor_b32_e32 v20, 1, v20
	s_or_b64 exec, exec, s[2:3]
	v_cmp_eq_u32_e32 vcc, v20, v19
	s_and_saveexec_b64 s[0:1], vcc
	s_cbranch_execnz .LBB86_52
	s_branch .LBB86_53
.LBB86_195:
	ds_read_u8 v23, v16 offset:1024
	s_andn2_b64 s[0:1], s[0:1], exec
	s_mov_b32 s6, 1
	s_waitcnt lgkmcnt(0)
	v_and_b32_e32 v23, 1, v23
	v_cmp_eq_u32_e32 vcc, 1, v23
	s_xor_b64 s[8:9], vcc, -1
	s_and_b64 s[8:9], s[8:9], exec
	s_or_b64 s[0:1], s[0:1], s[8:9]
	s_or_b64 exec, exec, s[2:3]
	v_mov_b32_e32 v23, s6
	s_and_saveexec_b64 s[2:3], s[0:1]
	s_cbranch_execz .LBB86_61
.LBB86_196:
	ds_read_u8 v23, v16 offset:1032
	s_waitcnt lgkmcnt(0)
	v_xor_b32_e32 v23, 1, v23
	s_or_b64 exec, exec, s[2:3]
	v_cmp_eq_u32_e32 vcc, v23, v19
	s_and_saveexec_b64 s[0:1], vcc
	s_cbranch_execnz .LBB86_62
	s_branch .LBB86_63
.LBB86_197:
	ds_read_u8 v23, v13 offset:1024
	s_andn2_b64 s[0:1], s[0:1], exec
	s_mov_b32 s6, 1
	s_waitcnt lgkmcnt(0)
	v_and_b32_e32 v23, 1, v23
	v_cmp_eq_u32_e32 vcc, 1, v23
	s_xor_b64 s[8:9], vcc, -1
	s_and_b64 s[8:9], s[8:9], exec
	s_or_b64 s[0:1], s[0:1], s[8:9]
	s_or_b64 exec, exec, s[2:3]
	v_mov_b32_e32 v23, s6
	s_and_saveexec_b64 s[2:3], s[0:1]
	s_cbranch_execz .LBB86_65
.LBB86_198:
	ds_read_u8 v23, v13 offset:1028
	s_waitcnt lgkmcnt(0)
	v_xor_b32_e32 v23, 1, v23
	s_or_b64 exec, exec, s[2:3]
	v_cmp_eq_u32_e32 vcc, v23, v19
	s_and_saveexec_b64 s[0:1], vcc
	s_cbranch_execnz .LBB86_66
	s_branch .LBB86_67
.LBB86_199:
	ds_read_u8 v23, v10 offset:1024
	s_andn2_b64 s[0:1], s[0:1], exec
	s_mov_b32 s6, 1
	s_waitcnt lgkmcnt(0)
	v_and_b32_e32 v23, 1, v23
	v_cmp_eq_u32_e32 vcc, 1, v23
	s_xor_b64 s[8:9], vcc, -1
	s_and_b64 s[8:9], s[8:9], exec
	s_or_b64 s[0:1], s[0:1], s[8:9]
	s_or_b64 exec, exec, s[2:3]
	v_mov_b32_e32 v23, s6
	s_and_saveexec_b64 s[2:3], s[0:1]
	s_cbranch_execz .LBB86_69
.LBB86_200:
	ds_read_u8 v23, v10 offset:1026
	s_waitcnt lgkmcnt(0)
	v_xor_b32_e32 v23, 1, v23
	s_or_b64 exec, exec, s[2:3]
	v_cmp_eq_u32_e32 vcc, v23, v19
	s_and_saveexec_b64 s[0:1], vcc
	s_cbranch_execnz .LBB86_70
	s_branch .LBB86_71
.LBB86_201:
	ds_read_u8 v23, v7 offset:1024
	s_andn2_b64 s[0:1], s[0:1], exec
	s_mov_b32 s6, 1
	s_waitcnt lgkmcnt(0)
	v_and_b32_e32 v23, 1, v23
	v_cmp_eq_u32_e32 vcc, 1, v23
	s_xor_b64 s[8:9], vcc, -1
	s_and_b64 s[8:9], s[8:9], exec
	s_or_b64 s[0:1], s[0:1], s[8:9]
	s_or_b64 exec, exec, s[2:3]
	v_mov_b32_e32 v23, s6
	s_and_saveexec_b64 s[2:3], s[0:1]
	s_cbranch_execz .LBB86_73
.LBB86_202:
	ds_read_u8 v23, v8 offset:1025
	s_waitcnt lgkmcnt(0)
	v_xor_b32_e32 v23, 1, v23
	s_or_b64 exec, exec, s[2:3]
	v_cmp_eq_u32_e32 vcc, v23, v19
	s_and_saveexec_b64 s[0:1], vcc
	s_cbranch_execnz .LBB86_74
	s_branch .LBB86_75
.LBB86_203:
	ds_read_u8 v26, v20 offset:1024
	s_andn2_b64 s[0:1], s[0:1], exec
	s_mov_b32 s6, 1
	s_waitcnt lgkmcnt(0)
	v_and_b32_e32 v26, 1, v26
	v_cmp_eq_u32_e32 vcc, 1, v26
	s_xor_b64 s[8:9], vcc, -1
	s_and_b64 s[8:9], s[8:9], exec
	s_or_b64 s[0:1], s[0:1], s[8:9]
	s_or_b64 exec, exec, s[2:3]
	v_mov_b32_e32 v26, s6
	s_and_saveexec_b64 s[2:3], s[0:1]
	s_cbranch_execz .LBB86_83
.LBB86_204:
	ds_read_u8 v26, v20 offset:1040
	s_waitcnt lgkmcnt(0)
	v_xor_b32_e32 v26, 1, v26
	s_or_b64 exec, exec, s[2:3]
	v_cmp_eq_u32_e32 vcc, v26, v19
	s_and_saveexec_b64 s[0:1], vcc
	s_cbranch_execnz .LBB86_84
	s_branch .LBB86_85
.LBB86_205:
	ds_read_u8 v26, v16 offset:1024
	s_andn2_b64 s[0:1], s[0:1], exec
	s_mov_b32 s6, 1
	s_waitcnt lgkmcnt(0)
	v_and_b32_e32 v26, 1, v26
	v_cmp_eq_u32_e32 vcc, 1, v26
	s_xor_b64 s[8:9], vcc, -1
	s_and_b64 s[8:9], s[8:9], exec
	s_or_b64 s[0:1], s[0:1], s[8:9]
	s_or_b64 exec, exec, s[2:3]
	v_mov_b32_e32 v26, s6
	s_and_saveexec_b64 s[2:3], s[0:1]
	s_cbranch_execz .LBB86_87
.LBB86_206:
	ds_read_u8 v26, v16 offset:1032
	s_waitcnt lgkmcnt(0)
	v_xor_b32_e32 v26, 1, v26
	s_or_b64 exec, exec, s[2:3]
	v_cmp_eq_u32_e32 vcc, v26, v19
	s_and_saveexec_b64 s[0:1], vcc
	s_cbranch_execnz .LBB86_88
	s_branch .LBB86_89
.LBB86_207:
	ds_read_u8 v26, v13 offset:1024
	s_andn2_b64 s[0:1], s[0:1], exec
	s_mov_b32 s6, 1
	s_waitcnt lgkmcnt(0)
	v_and_b32_e32 v26, 1, v26
	v_cmp_eq_u32_e32 vcc, 1, v26
	s_xor_b64 s[8:9], vcc, -1
	s_and_b64 s[8:9], s[8:9], exec
	s_or_b64 s[0:1], s[0:1], s[8:9]
	s_or_b64 exec, exec, s[2:3]
	v_mov_b32_e32 v26, s6
	s_and_saveexec_b64 s[2:3], s[0:1]
	s_cbranch_execz .LBB86_91
.LBB86_208:
	ds_read_u8 v26, v13 offset:1028
	s_waitcnt lgkmcnt(0)
	v_xor_b32_e32 v26, 1, v26
	s_or_b64 exec, exec, s[2:3]
	v_cmp_eq_u32_e32 vcc, v26, v19
	s_and_saveexec_b64 s[0:1], vcc
	s_cbranch_execnz .LBB86_92
	s_branch .LBB86_93
.LBB86_209:
	ds_read_u8 v26, v10 offset:1024
	s_andn2_b64 s[0:1], s[0:1], exec
	s_mov_b32 s6, 1
	s_waitcnt lgkmcnt(0)
	v_and_b32_e32 v26, 1, v26
	v_cmp_eq_u32_e32 vcc, 1, v26
	s_xor_b64 s[8:9], vcc, -1
	s_and_b64 s[8:9], s[8:9], exec
	s_or_b64 s[0:1], s[0:1], s[8:9]
	s_or_b64 exec, exec, s[2:3]
	v_mov_b32_e32 v26, s6
	s_and_saveexec_b64 s[2:3], s[0:1]
	s_cbranch_execz .LBB86_95
.LBB86_210:
	ds_read_u8 v26, v10 offset:1026
	s_waitcnt lgkmcnt(0)
	v_xor_b32_e32 v26, 1, v26
	s_or_b64 exec, exec, s[2:3]
	v_cmp_eq_u32_e32 vcc, v26, v19
	s_and_saveexec_b64 s[0:1], vcc
	s_cbranch_execnz .LBB86_96
	s_branch .LBB86_97
.LBB86_211:
	ds_read_u8 v26, v7 offset:1024
	s_andn2_b64 s[0:1], s[0:1], exec
	s_mov_b32 s6, 1
	s_waitcnt lgkmcnt(0)
	v_and_b32_e32 v26, 1, v26
	v_cmp_eq_u32_e32 vcc, 1, v26
	s_xor_b64 s[8:9], vcc, -1
	s_and_b64 s[8:9], s[8:9], exec
	s_or_b64 s[0:1], s[0:1], s[8:9]
	s_or_b64 exec, exec, s[2:3]
	v_mov_b32_e32 v26, s6
	s_and_saveexec_b64 s[2:3], s[0:1]
	s_cbranch_execz .LBB86_99
.LBB86_212:
	ds_read_u8 v26, v8 offset:1025
	s_waitcnt lgkmcnt(0)
	v_xor_b32_e32 v26, 1, v26
	s_or_b64 exec, exec, s[2:3]
	v_cmp_eq_u32_e32 vcc, v26, v19
	s_and_saveexec_b64 s[0:1], vcc
	s_cbranch_execnz .LBB86_100
	s_branch .LBB86_101
.LBB86_213:
	ds_read_b32 v4, v13 offset:1024
	s_or_b64 exec, exec, s[12:13]
	s_and_saveexec_b64 s[12:13], s[10:11]
	s_cbranch_execz .LBB86_170
.LBB86_214:
	ds_read_b32 v3, v13 offset:1028
	s_or_b64 exec, exec, s[12:13]
	s_and_saveexec_b64 s[20:21], s[0:1]
	s_cbranch_execz .LBB86_171
.LBB86_215:
	s_waitcnt lgkmcnt(0)
	ds_bpermute_b32 v5, v1, v4
	ds_bpermute_b32 v7, v1, v3
	s_waitcnt lgkmcnt(1)
	v_max_u32_e32 v14, v5, v4
	v_cmp_gt_u32_e64 s[12:13], v5, v4
	ds_bpermute_b32 v15, v8, v14
	s_waitcnt lgkmcnt(1)
	v_cndmask_b32_e64 v3, v3, v7, s[12:13]
	ds_bpermute_b32 v4, v8, v3
	s_waitcnt lgkmcnt(1)
	v_max_u32_e32 v5, v15, v14
	v_cmp_gt_u32_e64 s[12:13], v15, v14
	ds_bpermute_b32 v7, v9, v5
	s_waitcnt lgkmcnt(1)
	v_cndmask_b32_e64 v3, v3, v4, s[12:13]
	;; [unrolled: 7-line block ×4, first 2 shown]
	ds_bpermute_b32 v4, v11, v3
	s_waitcnt lgkmcnt(1)
	v_max_u32_e32 v14, v7, v5
	v_cmp_gt_u32_e64 s[12:13], v7, v5
	s_waitcnt lgkmcnt(0)
	v_cndmask_b32_e64 v3, v3, v4, s[12:13]
	ds_bpermute_b32 v4, v12, v14
	ds_bpermute_b32 v5, v12, v3
	s_waitcnt lgkmcnt(1)
	v_cmp_gt_u32_e64 s[12:13], v4, v14
	s_waitcnt lgkmcnt(0)
	v_cndmask_b32_e64 v3, v3, v5, s[12:13]
	s_or_b64 exec, exec, s[20:21]
	s_and_saveexec_b64 s[12:13], vcc
	s_cbranch_execnz .LBB86_172
	s_branch .LBB86_173
.LBB86_216:
	v_lshlrev_b32_e32 v0, 2, v19
	v_sub_u32_e32 v0, v13, v0
	ds_read_b32 v0, v0
	s_or_b64 exec, exec, s[2:3]
	s_and_saveexec_b64 s[2:3], s[0:1]
	s_cbranch_execz .LBB86_181
.LBB86_217:
	s_waitcnt lgkmcnt(0)
	ds_bpermute_b32 v1, v1, v0
	s_waitcnt lgkmcnt(0)
	v_max_u32_e32 v0, v1, v0
	ds_bpermute_b32 v1, v8, v0
	s_waitcnt lgkmcnt(0)
	v_max_u32_e32 v0, v1, v0
	;; [unrolled: 3-line block ×6, first 2 shown]
	s_or_b64 exec, exec, s[2:3]
	s_and_saveexec_b64 s[0:1], vcc
	s_cbranch_execz .LBB86_182
.LBB86_218:
	s_load_dword s6, s[4:5], 0xd8
	s_load_dwordx2 s[0:1], s[4:5], 0xe0
	s_add_u32 s2, s4, 8
	s_addc_u32 s3, s5, 0
	s_mov_b32 s5, 0
	s_waitcnt lgkmcnt(0)
	s_cmp_lt_i32 s6, 2
	s_cbranch_scc1 .LBB86_221
; %bb.219:
	s_add_i32 s4, s6, -1
	s_add_i32 s8, s6, 1
	s_lshl_b64 s[6:7], s[4:5], 2
	s_add_u32 s4, s6, s2
	s_addc_u32 s7, s7, s3
	s_add_u32 s6, s4, 8
	s_addc_u32 s7, s7, 0
.LBB86_220:                             ; =>This Inner Loop Header: Depth=1
	s_load_dword s4, s[6:7], 0x0
	s_load_dword s10, s[6:7], 0x64
	s_mov_b32 s9, s14
	s_waitcnt lgkmcnt(0)
	v_cvt_f32_u32_e32 v1, s4
	s_sub_i32 s11, 0, s4
	v_rcp_iflag_f32_e32 v1, v1
	v_mul_f32_e32 v1, 0x4f7ffffe, v1
	v_cvt_u32_f32_e32 v1, v1
	v_readfirstlane_b32 s12, v1
	s_mul_i32 s11, s11, s12
	s_mul_hi_u32 s11, s12, s11
	s_add_i32 s12, s12, s11
	s_mul_hi_u32 s11, s14, s12
	s_mul_i32 s12, s11, s4
	s_sub_i32 s12, s14, s12
	s_add_i32 s13, s11, 1
	s_sub_i32 s14, s12, s4
	s_cmp_ge_u32 s12, s4
	s_cselect_b32 s11, s13, s11
	s_cselect_b32 s12, s14, s12
	s_add_i32 s13, s11, 1
	s_cmp_ge_u32 s12, s4
	s_cselect_b32 s14, s13, s11
	s_mul_i32 s4, s14, s4
	s_sub_i32 s4, s9, s4
	s_mul_i32 s4, s10, s4
	s_add_i32 s8, s8, -1
	s_add_i32 s5, s4, s5
	s_add_u32 s6, s6, -4
	s_addc_u32 s7, s7, -1
	s_cmp_gt_u32 s8, 2
	s_cbranch_scc1 .LBB86_220
.LBB86_221:
	s_load_dword s4, s[2:3], 0x6c
	s_mov_b32 s7, 0
	s_load_dwordx2 s[2:3], s[2:3], 0x0
	v_mov_b32_e32 v1, 0
	ds_read_b64 v[2:3], v1
	s_waitcnt lgkmcnt(0)
	s_mul_i32 s4, s4, s14
	s_add_i32 s6, s4, s5
	s_lshl_b64 s[4:5], s[6:7], 3
	s_add_u32 s2, s2, s4
	s_addc_u32 s3, s3, s5
	s_add_u32 s0, s0, s4
	s_addc_u32 s1, s1, s5
	global_store_dwordx2 v1, v[2:3], s[2:3]
	global_store_dwordx2 v1, v[0:1], s[0:1]
	s_endpgm
	.section	.rodata,"a",@progbits
	.p2align	6, 0x0
	.amdhsa_kernel _ZN2at6native12compute_modeIlLj128EEEvPKT_NS_4cuda6detail10TensorInfoIS2_jEENS7_IljEEll
		.amdhsa_group_segment_fixed_size 8
		.amdhsa_private_segment_fixed_size 0
		.amdhsa_kernarg_size 712
		.amdhsa_user_sgpr_count 6
		.amdhsa_user_sgpr_private_segment_buffer 1
		.amdhsa_user_sgpr_dispatch_ptr 0
		.amdhsa_user_sgpr_queue_ptr 0
		.amdhsa_user_sgpr_kernarg_segment_ptr 1
		.amdhsa_user_sgpr_dispatch_id 0
		.amdhsa_user_sgpr_flat_scratch_init 0
		.amdhsa_user_sgpr_kernarg_preload_length 0
		.amdhsa_user_sgpr_kernarg_preload_offset 0
		.amdhsa_user_sgpr_private_segment_size 0
		.amdhsa_uses_dynamic_stack 0
		.amdhsa_system_sgpr_private_segment_wavefront_offset 0
		.amdhsa_system_sgpr_workgroup_id_x 1
		.amdhsa_system_sgpr_workgroup_id_y 1
		.amdhsa_system_sgpr_workgroup_id_z 1
		.amdhsa_system_sgpr_workgroup_info 0
		.amdhsa_system_vgpr_workitem_id 0
		.amdhsa_next_free_vgpr 31
		.amdhsa_next_free_sgpr 22
		.amdhsa_accum_offset 32
		.amdhsa_reserve_vcc 1
		.amdhsa_reserve_flat_scratch 0
		.amdhsa_float_round_mode_32 0
		.amdhsa_float_round_mode_16_64 0
		.amdhsa_float_denorm_mode_32 3
		.amdhsa_float_denorm_mode_16_64 3
		.amdhsa_dx10_clamp 1
		.amdhsa_ieee_mode 1
		.amdhsa_fp16_overflow 0
		.amdhsa_tg_split 0
		.amdhsa_exception_fp_ieee_invalid_op 0
		.amdhsa_exception_fp_denorm_src 0
		.amdhsa_exception_fp_ieee_div_zero 0
		.amdhsa_exception_fp_ieee_overflow 0
		.amdhsa_exception_fp_ieee_underflow 0
		.amdhsa_exception_fp_ieee_inexact 0
		.amdhsa_exception_int_div_zero 0
	.end_amdhsa_kernel
	.section	.text._ZN2at6native12compute_modeIlLj128EEEvPKT_NS_4cuda6detail10TensorInfoIS2_jEENS7_IljEEll,"axG",@progbits,_ZN2at6native12compute_modeIlLj128EEEvPKT_NS_4cuda6detail10TensorInfoIS2_jEENS7_IljEEll,comdat
.Lfunc_end86:
	.size	_ZN2at6native12compute_modeIlLj128EEEvPKT_NS_4cuda6detail10TensorInfoIS2_jEENS7_IljEEll, .Lfunc_end86-_ZN2at6native12compute_modeIlLj128EEEvPKT_NS_4cuda6detail10TensorInfoIS2_jEENS7_IljEEll
                                        ; -- End function
	.section	.AMDGPU.csdata,"",@progbits
; Kernel info:
; codeLenInByte = 10188
; NumSgprs: 26
; NumVgprs: 31
; NumAgprs: 0
; TotalNumVgprs: 31
; ScratchSize: 0
; MemoryBound: 0
; FloatMode: 240
; IeeeMode: 1
; LDSByteSize: 8 bytes/workgroup (compile time only)
; SGPRBlocks: 3
; VGPRBlocks: 3
; NumSGPRsForWavesPerEU: 26
; NumVGPRsForWavesPerEU: 31
; AccumOffset: 32
; Occupancy: 8
; WaveLimiterHint : 1
; COMPUTE_PGM_RSRC2:SCRATCH_EN: 0
; COMPUTE_PGM_RSRC2:USER_SGPR: 6
; COMPUTE_PGM_RSRC2:TRAP_HANDLER: 0
; COMPUTE_PGM_RSRC2:TGID_X_EN: 1
; COMPUTE_PGM_RSRC2:TGID_Y_EN: 1
; COMPUTE_PGM_RSRC2:TGID_Z_EN: 1
; COMPUTE_PGM_RSRC2:TIDIG_COMP_CNT: 0
; COMPUTE_PGM_RSRC3_GFX90A:ACCUM_OFFSET: 7
; COMPUTE_PGM_RSRC3_GFX90A:TG_SPLIT: 0
	.section	.text._ZN2at6native12compute_modeIsLj2048EEEvPKT_NS_4cuda6detail10TensorInfoIS2_jEENS7_IljEEll,"axG",@progbits,_ZN2at6native12compute_modeIsLj2048EEEvPKT_NS_4cuda6detail10TensorInfoIS2_jEENS7_IljEEll,comdat
	.protected	_ZN2at6native12compute_modeIsLj2048EEEvPKT_NS_4cuda6detail10TensorInfoIS2_jEENS7_IljEEll ; -- Begin function _ZN2at6native12compute_modeIsLj2048EEEvPKT_NS_4cuda6detail10TensorInfoIS2_jEENS7_IljEEll
	.globl	_ZN2at6native12compute_modeIsLj2048EEEvPKT_NS_4cuda6detail10TensorInfoIS2_jEENS7_IljEEll
	.p2align	8
	.type	_ZN2at6native12compute_modeIsLj2048EEEvPKT_NS_4cuda6detail10TensorInfoIS2_jEENS7_IljEEll,@function
_ZN2at6native12compute_modeIsLj2048EEEvPKT_NS_4cuda6detail10TensorInfoIS2_jEENS7_IljEEll: ; @_ZN2at6native12compute_modeIsLj2048EEEvPKT_NS_4cuda6detail10TensorInfoIS2_jEENS7_IljEEll
; %bb.0:
	s_load_dwordx4 s[16:19], s[4:5], 0x1b8
	s_load_dwordx2 s[2:3], s[4:5], 0x1c8
	s_add_u32 s0, s4, 0x1c8
	s_addc_u32 s1, s5, 0
	s_waitcnt lgkmcnt(0)
	v_mov_b32_e32 v2, s18
	s_mul_i32 s3, s3, s8
	s_add_i32 s3, s3, s7
	s_mul_i32 s2, s3, s2
	v_mov_b32_e32 v3, s19
	s_add_i32 s18, s2, s6
	s_mov_b32 s19, 0
	v_cmp_ge_i64_e32 vcc, s[18:19], v[2:3]
	s_cbranch_vccnz .LBB87_134
; %bb.1:
	s_load_dwordx2 s[20:21], s[4:5], 0x0
	s_load_dword s6, s[0:1], 0xc
	v_mov_b32_e32 v3, 0
	v_mov_b32_e32 v1, v3
	s_mul_i32 s19, s18, s16
	v_cmp_gt_i64_e32 vcc, s[16:17], v[0:1]
	s_and_saveexec_b64 s[2:3], vcc
	s_cbranch_execz .LBB87_3
; %bb.2:
	v_add_u32_e32 v2, s19, v0
	v_lshlrev_b64 v[4:5], 1, v[2:3]
	s_waitcnt lgkmcnt(0)
	v_mov_b32_e32 v1, s21
	v_add_co_u32_e64 v4, s[0:1], s20, v4
	v_addc_co_u32_e64 v5, s[0:1], v1, v5, s[0:1]
	global_load_ushort v1, v[4:5], off
	v_lshl_add_u32 v2, v0, 1, 2
	s_waitcnt vmcnt(0)
	ds_write_b16 v2, v1
.LBB87_3:
	s_or_b64 exec, exec, s[2:3]
	s_load_dwordx2 s[14:15], s[4:5], 0xe0
	s_waitcnt lgkmcnt(0)
	s_and_b32 s22, 0xffff, s6
	v_add_u32_e32 v2, s22, v0
	v_cmp_gt_i64_e64 s[0:1], s[16:17], v[2:3]
	s_and_saveexec_b64 s[6:7], s[0:1]
	s_cbranch_execz .LBB87_5
; %bb.4:
	v_add_u32_e32 v4, s19, v2
	v_mov_b32_e32 v5, 0
	v_lshlrev_b64 v[4:5], 1, v[4:5]
	v_mov_b32_e32 v1, s21
	v_add_co_u32_e64 v4, s[2:3], s20, v4
	v_addc_co_u32_e64 v5, s[2:3], v1, v5, s[2:3]
	global_load_ushort v1, v[4:5], off
	v_lshl_add_u32 v2, v2, 1, 2
	s_waitcnt vmcnt(0)
	ds_write_b16 v2, v1
.LBB87_5:
	s_or_b64 exec, exec, s[6:7]
	v_add_u32_e32 v1, 2, v0
	v_cndmask_b32_e64 v2, 0, 1, vcc
	ds_write_b8 v1, v2 offset:4096
	v_add_u32_e32 v2, s22, v1
	v_cndmask_b32_e64 v3, 0, 1, s[0:1]
	s_mov_b32 s6, 2
	ds_write_b8 v2, v3 offset:4096
	v_lshlrev_b32_e32 v2, 1, v0
	s_waitcnt lgkmcnt(0)
	s_barrier
	s_branch .LBB87_7
.LBB87_6:                               ;   in Loop: Header=BB87_7 Depth=1
	s_lshl_b32 s0, s6, 2
	s_cmpk_gt_u32 s6, 0x1ff
	s_mov_b32 s6, s0
	s_cbranch_scc1 .LBB87_23
.LBB87_7:                               ; =>This Loop Header: Depth=1
                                        ;     Child Loop BB87_9 Depth 2
                                        ;     Child Loop BB87_17 Depth 2
	s_lshr_b32 s7, s6, 1
	v_and_b32_e32 v3, s7, v0
	v_cmp_ne_u32_e32 vcc, 0, v3
	v_cndmask_b32_e64 v3, 0, 1, vcc
	s_branch .LBB87_9
.LBB87_8:                               ;   in Loop: Header=BB87_9 Depth=2
	s_or_b64 exec, exec, s[0:1]
	s_lshr_b32 s0, s7, 1
	s_cmp_lt_u32 s7, 2
	s_mov_b32 s7, s0
	s_cbranch_scc1 .LBB87_15
.LBB87_9:                               ;   Parent Loop BB87_7 Depth=1
                                        ; =>  This Inner Loop Header: Depth=2
	s_add_i32 s0, s7, -1
	v_and_b32_e32 v4, s0, v0
	v_sub_u32_e32 v7, v2, v4
	v_lshl_add_u32 v4, v7, 1, 2
	s_barrier
	v_lshl_add_u32 v5, s7, 1, v4
	ds_read_u16 v6, v4
	ds_read_u16 v8, v5
	v_add_u32_e32 v7, 2, v7
                                        ; implicit-def: $sgpr8
	s_waitcnt lgkmcnt(0)
	v_cmp_ge_i16_e64 s[0:1], v6, v8
	v_cmp_lt_i16_e32 vcc, v6, v8
	s_and_saveexec_b64 s[2:3], vcc
	s_cbranch_execz .LBB87_11
; %bb.10:                               ;   in Loop: Header=BB87_9 Depth=2
	ds_read_u8 v9, v7 offset:4096
	s_andn2_b64 s[0:1], s[0:1], exec
	s_mov_b32 s8, 1
	s_waitcnt lgkmcnt(0)
	v_and_b32_e32 v9, 1, v9
	v_cmp_eq_u32_e32 vcc, 1, v9
	s_xor_b64 s[10:11], vcc, -1
	s_and_b64 s[10:11], s[10:11], exec
	s_or_b64 s[0:1], s[0:1], s[10:11]
.LBB87_11:                              ;   in Loop: Header=BB87_9 Depth=2
	s_or_b64 exec, exec, s[2:3]
	v_mov_b32_e32 v10, s8
	v_add_u32_e32 v9, s7, v7
	s_and_saveexec_b64 s[2:3], s[0:1]
	s_cbranch_execz .LBB87_13
; %bb.12:                               ;   in Loop: Header=BB87_9 Depth=2
	ds_read_u8 v10, v9 offset:4096
	s_waitcnt lgkmcnt(0)
	v_xor_b32_e32 v10, 1, v10
.LBB87_13:                              ;   in Loop: Header=BB87_9 Depth=2
	s_or_b64 exec, exec, s[2:3]
	v_cmp_eq_u32_e32 vcc, v10, v3
	s_and_saveexec_b64 s[0:1], vcc
	s_cbranch_execz .LBB87_8
; %bb.14:                               ;   in Loop: Header=BB87_9 Depth=2
	ds_read_u8 v10, v9 offset:4096
	ds_read_u8 v11, v7 offset:4096
	ds_write_b16 v4, v8
	ds_write_b16 v5, v6
	s_waitcnt lgkmcnt(3)
	ds_write_b8 v7, v10 offset:4096
	s_waitcnt lgkmcnt(3)
	ds_write_b8 v9, v11 offset:4096
	s_branch .LBB87_8
.LBB87_15:                              ;   in Loop: Header=BB87_7 Depth=1
	v_and_b32_e32 v3, s6, v0
	v_cmp_ne_u32_e32 vcc, 0, v3
	v_cndmask_b32_e64 v3, 0, 1, vcc
	s_mov_b32 s7, s6
	s_branch .LBB87_17
.LBB87_16:                              ;   in Loop: Header=BB87_17 Depth=2
	s_or_b64 exec, exec, s[0:1]
	s_lshr_b32 s0, s7, 1
	s_cmp_gt_u32 s7, 1
	s_mov_b32 s7, s0
	s_cbranch_scc0 .LBB87_6
.LBB87_17:                              ;   Parent Loop BB87_7 Depth=1
                                        ; =>  This Inner Loop Header: Depth=2
	s_add_i32 s0, s7, -1
	v_and_b32_e32 v4, s0, v0
	v_sub_u32_e32 v7, v2, v4
	v_lshl_add_u32 v4, v7, 1, 2
	s_waitcnt lgkmcnt(0)
	s_barrier
	v_lshl_add_u32 v5, s7, 1, v4
	ds_read_u16 v6, v4
	ds_read_u16 v8, v5
	v_add_u32_e32 v7, 2, v7
                                        ; implicit-def: $sgpr8
	s_waitcnt lgkmcnt(0)
	v_cmp_ge_i16_e64 s[0:1], v6, v8
	v_cmp_lt_i16_e32 vcc, v6, v8
	s_and_saveexec_b64 s[2:3], vcc
	s_cbranch_execz .LBB87_19
; %bb.18:                               ;   in Loop: Header=BB87_17 Depth=2
	ds_read_u8 v9, v7 offset:4096
	s_andn2_b64 s[0:1], s[0:1], exec
	s_mov_b32 s8, 1
	s_waitcnt lgkmcnt(0)
	v_and_b32_e32 v9, 1, v9
	v_cmp_eq_u32_e32 vcc, 1, v9
	s_xor_b64 s[10:11], vcc, -1
	s_and_b64 s[10:11], s[10:11], exec
	s_or_b64 s[0:1], s[0:1], s[10:11]
.LBB87_19:                              ;   in Loop: Header=BB87_17 Depth=2
	s_or_b64 exec, exec, s[2:3]
	v_mov_b32_e32 v10, s8
	v_add_u32_e32 v9, s7, v7
	s_and_saveexec_b64 s[2:3], s[0:1]
	s_cbranch_execz .LBB87_21
; %bb.20:                               ;   in Loop: Header=BB87_17 Depth=2
	ds_read_u8 v10, v9 offset:4096
	s_waitcnt lgkmcnt(0)
	v_xor_b32_e32 v10, 1, v10
.LBB87_21:                              ;   in Loop: Header=BB87_17 Depth=2
	s_or_b64 exec, exec, s[2:3]
	v_cmp_eq_u32_e32 vcc, v10, v3
	s_and_saveexec_b64 s[0:1], vcc
	s_cbranch_execz .LBB87_16
; %bb.22:                               ;   in Loop: Header=BB87_17 Depth=2
	ds_read_u8 v10, v9 offset:4096
	ds_read_u8 v11, v7 offset:4096
	ds_write_b16 v4, v8
	ds_write_b16 v5, v6
	s_waitcnt lgkmcnt(3)
	ds_write_b8 v7, v10 offset:4096
	s_waitcnt lgkmcnt(3)
	ds_write_b8 v9, v11 offset:4096
	s_branch .LBB87_16
.LBB87_23:
	v_add_u32_e32 v3, v1, v0
	s_waitcnt lgkmcnt(0)
	s_barrier
	ds_read_u16 v4, v3
	ds_read_u16 v5, v3 offset:2048
                                        ; implicit-def: $sgpr6
	s_waitcnt lgkmcnt(0)
	v_cmp_ge_i16_e64 s[0:1], v4, v5
	v_cmp_lt_i16_e32 vcc, v4, v5
	s_and_saveexec_b64 s[2:3], vcc
	s_cbranch_execnz .LBB87_135
; %bb.24:
	s_or_b64 exec, exec, s[2:3]
	v_mov_b32_e32 v6, s6
	s_and_saveexec_b64 s[2:3], s[0:1]
	s_cbranch_execnz .LBB87_136
.LBB87_25:
	s_or_b64 exec, exec, s[2:3]
	v_cmp_eq_u32_e32 vcc, 0, v6
	s_and_saveexec_b64 s[0:1], vcc
	s_cbranch_execz .LBB87_27
.LBB87_26:
	ds_read_u8 v6, v1 offset:5120
	ds_read_u8 v7, v1 offset:4096
	ds_write_b16 v3, v5
	ds_write_b16 v3, v4 offset:2048
	s_waitcnt lgkmcnt(3)
	ds_write_b8 v1, v6 offset:4096
	s_waitcnt lgkmcnt(3)
	ds_write_b8 v1, v7 offset:5120
.LBB87_27:
	s_or_b64 exec, exec, s[0:1]
	v_and_b32_e32 v1, 0x1ff, v0
	v_sub_u32_e32 v4, v2, v1
	v_lshl_add_u32 v3, v4, 1, 2
	v_add_u32_e32 v1, 2, v4
	s_waitcnt lgkmcnt(0)
	s_barrier
	v_add_u32_e32 v4, v1, v4
	ds_read_u16 v5, v3
	ds_read_u16 v6, v4 offset:1024
	s_mov_b32 s6, 1
	s_waitcnt lgkmcnt(0)
	v_cmp_ge_i16_e64 s[0:1], v5, v6
	v_cmp_lt_i16_e32 vcc, v5, v6
	s_and_saveexec_b64 s[2:3], vcc
	s_cbranch_execnz .LBB87_137
; %bb.28:
	s_or_b64 exec, exec, s[2:3]
	v_mov_b32_e32 v7, s6
	s_and_saveexec_b64 s[2:3], s[0:1]
	s_cbranch_execnz .LBB87_138
.LBB87_29:
	s_or_b64 exec, exec, s[2:3]
	v_cmp_eq_u32_e32 vcc, 0, v7
	s_and_saveexec_b64 s[0:1], vcc
	s_cbranch_execz .LBB87_31
.LBB87_30:
	ds_read_u8 v7, v1 offset:4608
	ds_read_u8 v8, v1 offset:4096
	ds_write_b16 v3, v6
	ds_write_b16 v4, v5 offset:1024
	s_waitcnt lgkmcnt(3)
	ds_write_b8 v1, v7 offset:4096
	s_waitcnt lgkmcnt(3)
	ds_write_b8 v1, v8 offset:4608
.LBB87_31:
	s_or_b64 exec, exec, s[0:1]
	v_sub_u32_sdwa v4, v2, v0 dst_sel:DWORD dst_unused:UNUSED_PAD src0_sel:DWORD src1_sel:BYTE_0
	v_lshl_add_u32 v3, v4, 1, 2
	v_add_u32_e32 v1, 2, v4
	s_waitcnt lgkmcnt(0)
	s_barrier
	v_add_u32_e32 v4, v1, v4
	ds_read_u16 v5, v3
	ds_read_u16 v6, v4 offset:512
	s_waitcnt lgkmcnt(0)
	v_cmp_ge_i16_e64 s[0:1], v5, v6
	v_cmp_lt_i16_e32 vcc, v5, v6
	s_and_saveexec_b64 s[2:3], vcc
	s_cbranch_execnz .LBB87_139
; %bb.32:
	s_or_b64 exec, exec, s[2:3]
	v_mov_b32_e32 v7, s6
	s_and_saveexec_b64 s[2:3], s[0:1]
	s_cbranch_execnz .LBB87_140
.LBB87_33:
	s_or_b64 exec, exec, s[2:3]
	v_cmp_eq_u32_e32 vcc, 0, v7
	s_and_saveexec_b64 s[0:1], vcc
	s_cbranch_execz .LBB87_35
.LBB87_34:
	ds_read_u8 v7, v1 offset:4352
	ds_read_u8 v8, v1 offset:4096
	ds_write_b16 v3, v6
	ds_write_b16 v4, v5 offset:512
	s_waitcnt lgkmcnt(3)
	ds_write_b8 v1, v7 offset:4096
	s_waitcnt lgkmcnt(3)
	ds_write_b8 v1, v8 offset:4352
.LBB87_35:
	s_or_b64 exec, exec, s[0:1]
	v_and_b32_e32 v1, 0x7f, v0
	v_sub_u32_e32 v4, v2, v1
	v_lshl_add_u32 v3, v4, 1, 2
	v_add_u32_e32 v1, 2, v4
	s_waitcnt lgkmcnt(0)
	s_barrier
	v_add_u32_e32 v4, v1, v4
	ds_read_u16 v5, v3
	ds_read_u16 v6, v4 offset:256
	s_waitcnt lgkmcnt(0)
	v_cmp_ge_i16_e64 s[0:1], v5, v6
	v_cmp_lt_i16_e32 vcc, v5, v6
	s_and_saveexec_b64 s[2:3], vcc
	s_cbranch_execnz .LBB87_141
; %bb.36:
	s_or_b64 exec, exec, s[2:3]
	v_mov_b32_e32 v7, s6
	s_and_saveexec_b64 s[2:3], s[0:1]
	s_cbranch_execnz .LBB87_142
.LBB87_37:
	s_or_b64 exec, exec, s[2:3]
	v_cmp_eq_u32_e32 vcc, 0, v7
	s_and_saveexec_b64 s[0:1], vcc
	s_cbranch_execz .LBB87_39
.LBB87_38:
	ds_read_u8 v7, v1 offset:4224
	ds_read_u8 v8, v1 offset:4096
	ds_write_b16 v3, v6
	ds_write_b16 v4, v5 offset:256
	s_waitcnt lgkmcnt(3)
	ds_write_b8 v1, v7 offset:4096
	s_waitcnt lgkmcnt(3)
	ds_write_b8 v1, v8 offset:4224
.LBB87_39:
	s_or_b64 exec, exec, s[0:1]
	v_and_b32_e32 v1, 63, v0
	v_sub_u32_e32 v5, v2, v1
	v_lshl_add_u32 v4, v5, 1, 2
	v_add_u32_e32 v3, 2, v5
	s_waitcnt lgkmcnt(0)
	s_barrier
	v_add_u32_e32 v5, v3, v5
	ds_read_u16 v6, v4
	ds_read_u16 v7, v5 offset:128
	s_waitcnt lgkmcnt(0)
	v_cmp_ge_i16_e64 s[2:3], v6, v7
	v_cmp_lt_i16_e32 vcc, v6, v7
	s_and_saveexec_b64 s[0:1], vcc
	s_cbranch_execz .LBB87_41
; %bb.40:
	ds_read_u8 v8, v3 offset:4096
	s_andn2_b64 s[2:3], s[2:3], exec
	s_waitcnt lgkmcnt(0)
	v_and_b32_e32 v8, 1, v8
	v_cmp_eq_u32_e32 vcc, 1, v8
	s_xor_b64 s[6:7], vcc, -1
	s_and_b64 s[6:7], s[6:7], exec
	s_or_b64 s[2:3], s[2:3], s[6:7]
.LBB87_41:
	s_or_b64 exec, exec, s[0:1]
	s_and_saveexec_b64 s[0:1], s[2:3]
	s_cbranch_execz .LBB87_44
; %bb.42:
	ds_read_u8 v8, v3 offset:4160
	s_waitcnt lgkmcnt(0)
	v_cmp_ne_u16_e32 vcc, 0, v8
	s_and_b64 exec, exec, vcc
	s_cbranch_execz .LBB87_44
; %bb.43:
	ds_read_u8 v9, v3 offset:4096
	ds_write_b16 v4, v7
	ds_write_b16 v5, v6 offset:128
	ds_write_b8 v3, v8 offset:4096
	s_waitcnt lgkmcnt(3)
	ds_write_b8 v3, v9 offset:4160
.LBB87_44:
	s_or_b64 exec, exec, s[0:1]
	v_and_b32_e32 v3, 31, v0
	v_sub_u32_e32 v5, v2, v3
	v_lshl_add_u32 v4, v5, 1, 2
	v_add_u32_e32 v3, 2, v5
	s_waitcnt lgkmcnt(0)
	s_barrier
	v_add_u32_e32 v5, v3, v5
	ds_read_u16 v6, v4
	ds_read_u16 v7, v5 offset:64
	s_waitcnt lgkmcnt(0)
	v_cmp_ge_i16_e64 s[2:3], v6, v7
	v_cmp_lt_i16_e32 vcc, v6, v7
	s_and_saveexec_b64 s[0:1], vcc
	s_cbranch_execz .LBB87_46
; %bb.45:
	ds_read_u8 v8, v3 offset:4096
	s_andn2_b64 s[2:3], s[2:3], exec
	s_waitcnt lgkmcnt(0)
	v_and_b32_e32 v8, 1, v8
	v_cmp_eq_u32_e32 vcc, 1, v8
	s_xor_b64 s[6:7], vcc, -1
	s_and_b64 s[6:7], s[6:7], exec
	s_or_b64 s[2:3], s[2:3], s[6:7]
.LBB87_46:
	s_or_b64 exec, exec, s[0:1]
	s_and_saveexec_b64 s[0:1], s[2:3]
	s_cbranch_execz .LBB87_49
; %bb.47:
	ds_read_u8 v8, v3 offset:4128
	s_waitcnt lgkmcnt(0)
	v_cmp_ne_u16_e32 vcc, 0, v8
	s_and_b64 exec, exec, vcc
	s_cbranch_execz .LBB87_49
; %bb.48:
	ds_read_u8 v9, v3 offset:4096
	ds_write_b16 v4, v7
	ds_write_b16 v5, v6 offset:64
	ds_write_b8 v3, v8 offset:4096
	s_waitcnt lgkmcnt(3)
	ds_write_b8 v3, v9 offset:4128
.LBB87_49:
	;; [unrolled: 42-line block ×6, first 2 shown]
	s_or_b64 exec, exec, s[0:1]
	v_lshl_add_u32 v5, v2, 1, 2
	s_waitcnt lgkmcnt(0)
	s_barrier
	ds_read_b32 v4, v5
	v_sub_u32_e32 v3, v5, v2
	s_add_i32 s10, 2, 0x1000
	s_waitcnt lgkmcnt(0)
	v_cmp_ge_i16_sdwa s[2:3], v4, v4 src0_sel:DWORD src1_sel:WORD_1
	v_cmp_lt_i16_sdwa s[6:7], v4, v4 src0_sel:DWORD src1_sel:WORD_1
	s_and_saveexec_b64 s[0:1], s[6:7]
	s_cbranch_execz .LBB87_71
; %bb.70:
	ds_read_u8 v6, v3 offset:4096
	s_andn2_b64 s[2:3], s[2:3], exec
	s_waitcnt lgkmcnt(0)
	v_and_b32_e32 v6, 1, v6
	v_cmp_eq_u32_e32 vcc, 1, v6
	s_xor_b64 s[6:7], vcc, -1
	s_and_b64 s[6:7], s[6:7], exec
	s_or_b64 s[2:3], s[2:3], s[6:7]
.LBB87_71:
	s_or_b64 exec, exec, s[0:1]
	v_add_u32_e32 v6, s10, v2
	s_and_saveexec_b64 s[0:1], s[2:3]
	s_cbranch_execz .LBB87_74
; %bb.72:
	ds_read_u8 v7, v6 offset:1
	s_waitcnt lgkmcnt(0)
	v_cmp_ne_u16_e32 vcc, 0, v7
	s_and_b64 exec, exec, vcc
	s_cbranch_execz .LBB87_74
; %bb.73:
	ds_read_u8 v8, v3 offset:4096
	v_alignbit_b32 v4, v4, v4, 16
	ds_write_b32 v5, v4
	ds_write_b8 v3, v7 offset:4096
	s_waitcnt lgkmcnt(2)
	ds_write_b8 v6, v8 offset:1
.LBB87_74:
	s_or_b64 exec, exec, s[0:1]
	v_cmp_eq_u32_e32 vcc, 0, v0
	s_waitcnt lgkmcnt(0)
	s_barrier
	s_barrier
	s_and_saveexec_b64 s[0:1], vcc
	s_cbranch_execz .LBB87_76
; %bb.75:
	v_mov_b32_e32 v4, 2
	v_mov_b32_e32 v7, 1
	ds_write_b8 v4, v7 offset:4100
	v_mov_b32_e32 v7, 0
	ds_write_b32 v4, v7 offset:4096
.LBB87_76:
	s_or_b64 exec, exec, s[0:1]
	v_add_u32_e32 v3, v3, v2
	ds_read_u16 v4, v5
	ds_read_u16 v8, v3 offset:2
	v_mad_u32_u24 v9, v0, 14, v6
	v_mul_u32_u24_e32 v7, 14, v0
	s_waitcnt lgkmcnt(0)
	v_cmp_ne_u16_e64 s[0:1], v4, v8
	v_cndmask_b32_e64 v10, 0, 1, s[0:1]
	v_cmp_eq_u16_e64 s[0:1], v4, v8
	v_cndmask_b32_e64 v4, 0, 1, s[0:1]
	s_movk_i32 s0, 0x3ff
	ds_write_b32 v9, v4 offset:8
	v_cmp_ne_u32_e64 s[2:3], s0, v0
	v_mov_b32_e32 v4, 0x800
	ds_write_b8 v9, v10 offset:12
	s_and_saveexec_b64 s[6:7], s[2:3]
	s_cbranch_execz .LBB87_78
; %bb.77:
	ds_read_u16 v5, v5 offset:4
	v_add_u32_e32 v4, 2, v2
	v_lshl_add_u32 v9, v2, 3, s10
	s_waitcnt lgkmcnt(0)
	v_cmp_ne_u16_e64 s[0:1], v8, v5
	v_cndmask_b32_e64 v10, 0, 1, s[0:1]
	v_cmp_eq_u16_e64 s[0:1], v8, v5
	v_cndmask_b32_e64 v5, 0, 1, s[0:1]
	ds_write_b8 v9, v10 offset:20
	ds_write_b32 v9, v5 offset:16
.LBB87_78:
	s_or_b64 exec, exec, s[6:7]
	v_add_u32_e32 v5, v6, v7
	s_waitcnt lgkmcnt(0)
	s_barrier
	ds_read_u8 v6, v5 offset:12
	v_mad_u32_u24 v7, v0, 12, v3
	ds_read_b32 v8, v7 offset:4096
	ds_read_b32 v9, v5 offset:8
	ds_read_u8 v7, v7 offset:4100
	s_waitcnt lgkmcnt(3)
	v_and_b32_e32 v10, 1, v6
	v_cmp_eq_u32_e64 s[0:1], 1, v10
	s_waitcnt lgkmcnt(2)
	v_cndmask_b32_e64 v8, v8, 0, s[0:1]
	s_waitcnt lgkmcnt(0)
	v_or_b32_e32 v6, v7, v6
	v_add_u32_e32 v8, v8, v9
	v_and_b32_e32 v6, 1, v6
	ds_write2_b32 v5, v8, v6 offset0:2 offset1:3
	v_lshlrev_b32_e32 v6, 1, v4
	s_movk_i32 s0, 0x200
	v_add_u32_e32 v7, -1, v6
	v_cmp_gt_u32_e64 s[0:1], s0, v0
	s_waitcnt lgkmcnt(0)
	s_barrier
	s_and_saveexec_b64 s[6:7], s[0:1]
	s_cbranch_execz .LBB87_80
; %bb.79:
	v_lshl_add_u32 v8, v7, 3, 2
	ds_read_b32 v9, v8 offset:4096
	ds_read_u8 v10, v8 offset:4100
	v_lshl_add_u32 v11, v6, 3, 2
	ds_read_b32 v12, v11 offset:4072
	ds_read_u8 v11, v11 offset:4076
	v_add_u32_e32 v8, 0x1000, v8
	s_waitcnt lgkmcnt(2)
	v_and_b32_e32 v13, 1, v10
	v_cmp_eq_u32_e64 s[0:1], 1, v13
	s_waitcnt lgkmcnt(1)
	v_cndmask_b32_e64 v12, v12, 0, s[0:1]
	s_waitcnt lgkmcnt(0)
	v_or_b32_e32 v10, v11, v10
	v_add_u32_e32 v9, v12, v9
	v_and_b32_e32 v10, 1, v10
	ds_write2_b32 v8, v9, v10 offset1:1
.LBB87_80:
	s_or_b64 exec, exec, s[6:7]
	s_movk_i32 s0, 0x100
	v_lshlrev_b32_e32 v8, 2, v4
	v_add_u32_e32 v7, v7, v6
	v_cmp_gt_u32_e64 s[0:1], s0, v0
	s_waitcnt lgkmcnt(0)
	s_barrier
	s_and_saveexec_b64 s[6:7], s[0:1]
	s_cbranch_execz .LBB87_82
; %bb.81:
	v_lshl_add_u32 v9, v7, 3, 2
	ds_read_b32 v10, v9 offset:4096
	ds_read_u8 v11, v9 offset:4100
	v_lshl_add_u32 v12, v8, 3, 2
	ds_read_b32 v13, v12 offset:4056
	ds_read_u8 v12, v12 offset:4060
	v_add_u32_e32 v9, 0x1000, v9
	s_waitcnt lgkmcnt(2)
	v_and_b32_e32 v14, 1, v11
	v_cmp_eq_u32_e64 s[0:1], 1, v14
	s_waitcnt lgkmcnt(1)
	v_cndmask_b32_e64 v13, v13, 0, s[0:1]
	s_waitcnt lgkmcnt(0)
	v_or_b32_e32 v11, v12, v11
	v_add_u32_e32 v10, v13, v10
	v_and_b32_e32 v11, 1, v11
	ds_write2_b32 v9, v10, v11 offset1:1
.LBB87_82:
	s_or_b64 exec, exec, s[6:7]
	s_movk_i32 s0, 0x80
	v_lshlrev_b32_e32 v10, 3, v4
	v_add_u32_e32 v9, v7, v8
	v_cmp_gt_u32_e64 s[0:1], s0, v0
	s_waitcnt lgkmcnt(0)
	s_barrier
	s_and_saveexec_b64 s[6:7], s[0:1]
	s_cbranch_execz .LBB87_84
; %bb.83:
	v_lshl_add_u32 v11, v9, 3, 2
	ds_read_b32 v12, v11 offset:4096
	ds_read_u8 v13, v11 offset:4100
	v_lshl_add_u32 v14, v10, 3, 2
	ds_read_b32 v15, v14 offset:4024
	ds_read_u8 v14, v14 offset:4028
	v_add_u32_e32 v11, 0x1000, v11
	s_waitcnt lgkmcnt(2)
	v_and_b32_e32 v16, 1, v13
	v_cmp_eq_u32_e64 s[0:1], 1, v16
	s_waitcnt lgkmcnt(1)
	v_cndmask_b32_e64 v15, v15, 0, s[0:1]
	s_waitcnt lgkmcnt(0)
	v_or_b32_e32 v13, v14, v13
	v_add_u32_e32 v12, v15, v12
	v_and_b32_e32 v13, 1, v13
	ds_write2_b32 v11, v12, v13 offset1:1
.LBB87_84:
	s_or_b64 exec, exec, s[6:7]
	v_lshlrev_b32_e32 v12, 4, v4
	v_add_u32_e32 v11, v9, v10
	v_cmp_gt_u32_e64 s[0:1], 64, v0
	s_waitcnt lgkmcnt(0)
	s_barrier
	s_and_saveexec_b64 s[8:9], s[0:1]
	s_cbranch_execz .LBB87_86
; %bb.85:
	v_lshl_add_u32 v13, v11, 3, 2
	ds_read_b32 v14, v13 offset:4096
	ds_read_u8 v15, v13 offset:4100
	v_lshl_add_u32 v16, v12, 3, 2
	ds_read_b32 v17, v16 offset:3960
	ds_read_u8 v16, v16 offset:3964
	v_add_u32_e32 v13, 0x1000, v13
	s_waitcnt lgkmcnt(2)
	v_and_b32_e32 v18, 1, v15
	v_cmp_eq_u32_e64 s[6:7], 1, v18
	s_waitcnt lgkmcnt(1)
	v_cndmask_b32_e64 v17, v17, 0, s[6:7]
	s_waitcnt lgkmcnt(0)
	v_or_b32_e32 v15, v16, v15
	v_add_u32_e32 v14, v17, v14
	v_and_b32_e32 v15, 1, v15
	ds_write2_b32 v13, v14, v15 offset1:1
.LBB87_86:
	s_or_b64 exec, exec, s[8:9]
	;; [unrolled: 27-line block ×6, first 2 shown]
	v_add_u32_e32 v21, v19, v20
	v_cmp_gt_u32_e64 s[6:7], 2, v0
	v_lshl_add_u32 v21, v21, 3, 2
	s_waitcnt lgkmcnt(0)
	s_barrier
	s_and_saveexec_b64 s[8:9], s[6:7]
	s_cbranch_execz .LBB87_96
; %bb.95:
	v_lshl_add_u32 v23, v4, 12, 2
	v_add_u32_e32 v24, -8, v23
	ds_read_u8 v25, v21 offset:4100
	ds_read_b32 v24, v24
	v_add_u32_e32 v23, -4, v23
	ds_read_b32 v26, v21 offset:4096
	ds_read_u8 v23, v23
	v_add_u32_e32 v22, 0x1000, v21
	s_waitcnt lgkmcnt(3)
	v_and_b32_e32 v27, 1, v25
	v_cmp_eq_u32_e64 s[6:7], 1, v27
	s_waitcnt lgkmcnt(2)
	v_cndmask_b32_e64 v24, v24, 0, s[6:7]
	s_waitcnt lgkmcnt(0)
	v_or_b32_e32 v23, v23, v25
	v_add_u32_e32 v24, v24, v26
	v_and_b32_e32 v23, 1, v23
	ds_write2_b32 v22, v24, v23 offset1:1
.LBB87_96:
	s_or_b64 exec, exec, s[8:9]
	s_waitcnt lgkmcnt(0)
	s_barrier
	s_and_saveexec_b64 s[8:9], vcc
	s_cbranch_execz .LBB87_98
; %bb.97:
	v_mov_b32_e32 v24, 2
	s_movk_i32 s6, 0xf8
	ds_read_u8 v25, v24 offset:20476
	v_add_u32_e64 v22, s6, 2
	ds_read2st64_b32 v[22:23], v22 offset0:47 offset1:79
	ds_read_u8 v24, v24 offset:12284
	s_add_i32 s11, 2, 0x4ff8
	s_waitcnt lgkmcnt(2)
	v_and_b32_e32 v26, 1, v25
	v_cmp_eq_u32_e64 s[6:7], 1, v26
	s_waitcnt lgkmcnt(1)
	v_cndmask_b32_e64 v22, v22, 0, s[6:7]
	v_add_u32_e32 v22, v22, v23
	s_waitcnt lgkmcnt(0)
	v_or_b32_e32 v23, v24, v25
	v_and_b32_e32 v23, 1, v23
	v_mov_b32_e32 v24, s11
	ds_write2_b32 v24, v22, v23 offset1:1
.LBB87_98:
	s_or_b64 exec, exec, s[8:9]
	s_waitcnt lgkmcnt(0)
	s_barrier
	s_and_saveexec_b64 s[8:9], vcc
	s_cbranch_execz .LBB87_100
; %bb.99:
	v_mov_b32_e32 v22, 2
	ds_read_u8 v23, v22 offset:16380
	ds_read_b32 v22, v22 offset:16376
	ds_read_b32 v24, v21 offset:4096
	ds_read_u8 v21, v21 offset:4100
	s_add_i32 s11, 2, 0x3ff8
	s_waitcnt lgkmcnt(3)
	v_and_b32_e32 v25, 1, v23
	v_cmp_eq_u32_e64 s[6:7], 1, v25
	s_waitcnt lgkmcnt(1)
	v_cndmask_b32_e64 v24, v24, 0, s[6:7]
	s_waitcnt lgkmcnt(0)
	v_or_b32_e32 v21, v21, v23
	v_add_u32_e32 v22, v24, v22
	v_and_b32_e32 v21, 1, v21
	v_mov_b32_e32 v23, s11
	ds_write2_b32 v23, v22, v21 offset1:1
.LBB87_100:
	s_or_b64 exec, exec, s[8:9]
	v_cmp_gt_u32_e64 s[6:7], 3, v0
	s_waitcnt lgkmcnt(0)
	s_barrier
	s_and_saveexec_b64 s[8:9], s[6:7]
	s_cbranch_execz .LBB87_102
; %bb.101:
	v_lshl_add_u32 v20, v20, 3, s10
	ds_read_b32 v21, v20 offset:2040
	ds_read_u8 v22, v20 offset:2044
	v_lshl_add_u32 v19, v19, 3, s10
	ds_read_b32 v23, v19
	ds_read_u8 v19, v19 offset:4
	v_add_u32_e32 v20, 0x7f8, v20
	s_waitcnt lgkmcnt(2)
	v_and_b32_e32 v24, 1, v22
	v_cmp_eq_u32_e64 s[6:7], 1, v24
	s_waitcnt lgkmcnt(1)
	v_cndmask_b32_e64 v23, v23, 0, s[6:7]
	s_waitcnt lgkmcnt(0)
	v_or_b32_e32 v19, v19, v22
	v_add_u32_e32 v21, v23, v21
	v_and_b32_e32 v19, 1, v19
	ds_write2_b32 v20, v21, v19 offset1:1
.LBB87_102:
	s_or_b64 exec, exec, s[8:9]
	v_cmp_gt_u32_e64 s[6:7], 7, v0
	s_waitcnt lgkmcnt(0)
	s_barrier
	s_and_saveexec_b64 s[8:9], s[6:7]
	s_cbranch_execz .LBB87_104
; %bb.103:
	v_lshl_add_u32 v18, v18, 3, s10
	ds_read_u8 v19, v18 offset:1020
	v_lshl_add_u32 v17, v17, 3, s10
	ds_read_b32 v20, v17
	ds_read_b32 v21, v18 offset:1016
	ds_read_u8 v17, v17 offset:4
	s_waitcnt lgkmcnt(3)
	v_and_b32_e32 v22, 1, v19
	v_cmp_eq_u32_e64 s[6:7], 1, v22
	s_waitcnt lgkmcnt(2)
	v_cndmask_b32_e64 v20, v20, 0, s[6:7]
	s_waitcnt lgkmcnt(0)
	v_or_b32_e32 v17, v17, v19
	v_add_u32_e32 v20, v20, v21
	v_and_b32_e32 v17, 1, v17
	ds_write2_b32 v18, v20, v17 offset0:254 offset1:255
.LBB87_104:
	s_or_b64 exec, exec, s[8:9]
	v_cmp_gt_u32_e64 s[6:7], 15, v0
	s_waitcnt lgkmcnt(0)
	s_barrier
	s_and_saveexec_b64 s[8:9], s[6:7]
	s_cbranch_execz .LBB87_106
; %bb.105:
	v_lshl_add_u32 v16, v16, 3, s10
	ds_read_u8 v17, v16 offset:508
	v_lshl_add_u32 v15, v15, 3, s10
	ds_read_b32 v18, v15
	ds_read_b32 v19, v16 offset:504
	ds_read_u8 v15, v15 offset:4
	s_waitcnt lgkmcnt(3)
	v_and_b32_e32 v20, 1, v17
	v_cmp_eq_u32_e64 s[6:7], 1, v20
	s_waitcnt lgkmcnt(2)
	v_cndmask_b32_e64 v18, v18, 0, s[6:7]
	s_waitcnt lgkmcnt(0)
	v_or_b32_e32 v15, v15, v17
	v_add_u32_e32 v18, v18, v19
	v_and_b32_e32 v15, 1, v15
	ds_write2_b32 v16, v18, v15 offset0:126 offset1:127
.LBB87_106:
	;; [unrolled: 24-line block ×4, first 2 shown]
	s_or_b64 exec, exec, s[8:9]
	s_movk_i32 s6, 0x7f
	v_cmp_gt_u32_e64 s[6:7], s6, v0
	s_waitcnt lgkmcnt(0)
	s_barrier
	s_and_saveexec_b64 s[8:9], s[6:7]
	s_cbranch_execz .LBB87_112
; %bb.111:
	v_lshl_add_u32 v10, v10, 3, s10
	ds_read_u8 v11, v10 offset:60
	v_lshl_add_u32 v9, v9, 3, s10
	ds_read_b32 v12, v9
	ds_read_b32 v13, v10 offset:56
	ds_read_u8 v9, v9 offset:4
	s_waitcnt lgkmcnt(3)
	v_and_b32_e32 v14, 1, v11
	v_cmp_eq_u32_e64 s[6:7], 1, v14
	s_waitcnt lgkmcnt(2)
	v_cndmask_b32_e64 v12, v12, 0, s[6:7]
	s_waitcnt lgkmcnt(0)
	v_or_b32_e32 v9, v9, v11
	v_add_u32_e32 v12, v12, v13
	v_and_b32_e32 v9, 1, v9
	ds_write2_b32 v10, v12, v9 offset0:14 offset1:15
.LBB87_112:
	s_or_b64 exec, exec, s[8:9]
	s_movk_i32 s6, 0xff
	v_cmp_gt_u32_e64 s[6:7], s6, v0
	s_waitcnt lgkmcnt(0)
	s_barrier
	s_and_saveexec_b64 s[8:9], s[6:7]
	s_cbranch_execz .LBB87_114
; %bb.113:
	v_lshl_add_u32 v8, v8, 3, s10
	ds_read_u8 v9, v8 offset:28
	v_lshl_add_u32 v7, v7, 3, s10
	ds_read_b32 v10, v7
	ds_read_b32 v11, v8 offset:24
	ds_read_u8 v7, v7 offset:4
	s_waitcnt lgkmcnt(3)
	v_and_b32_e32 v12, 1, v9
	v_cmp_eq_u32_e64 s[6:7], 1, v12
	s_waitcnt lgkmcnt(2)
	v_cndmask_b32_e64 v10, v10, 0, s[6:7]
	s_waitcnt lgkmcnt(0)
	v_or_b32_e32 v7, v7, v9
	v_add_u32_e32 v10, v10, v11
	v_and_b32_e32 v7, 1, v7
	ds_write2_b32 v8, v10, v7 offset0:6 offset1:7
.LBB87_114:
	s_or_b64 exec, exec, s[8:9]
	s_movk_i32 s6, 0x1ff
	v_cmp_gt_u32_e64 s[6:7], s6, v0
	s_waitcnt lgkmcnt(0)
	s_barrier
	s_and_saveexec_b64 s[8:9], s[6:7]
	s_cbranch_execz .LBB87_116
; %bb.115:
	v_lshl_add_u32 v6, v6, 3, s10
	ds_read_u8 v7, v6 offset:12
	v_add_u32_e32 v8, -8, v6
	ds_read_b32 v9, v8
	ds_read_b32 v10, v6 offset:8
	ds_read_u8 v8, v8 offset:4
	s_waitcnt lgkmcnt(3)
	v_and_b32_e32 v11, 1, v7
	v_cmp_eq_u32_e64 s[6:7], 1, v11
	s_waitcnt lgkmcnt(2)
	v_cndmask_b32_e64 v9, v9, 0, s[6:7]
	s_waitcnt lgkmcnt(0)
	v_or_b32_e32 v7, v8, v7
	v_add_u32_e32 v9, v9, v10
	v_and_b32_e32 v7, 1, v7
	ds_write2_b32 v6, v9, v7 offset0:2 offset1:3
.LBB87_116:
	s_or_b64 exec, exec, s[8:9]
	v_mul_u32_u24_e32 v6, 12, v0
	s_waitcnt lgkmcnt(0)
	s_barrier
	s_and_saveexec_b64 s[6:7], s[2:3]
	s_cbranch_execz .LBB87_118
; %bb.117:
	v_lshl_add_u32 v4, v4, 3, 2
	ds_read_u8 v7, v4 offset:4100
	ds_read_b32 v8, v5 offset:8
	v_add_u32_e32 v9, 0x1000, v4
	ds_read_b32 v4, v4 offset:4096
	ds_read_u8 v10, v5 offset:12
	s_waitcnt lgkmcnt(3)
	v_and_b32_e32 v11, 1, v7
	v_cmp_eq_u32_e64 s[2:3], 1, v11
	s_waitcnt lgkmcnt(2)
	v_cndmask_b32_e64 v8, v8, 0, s[2:3]
	s_waitcnt lgkmcnt(0)
	v_or_b32_e32 v7, v10, v7
	v_add_u32_e32 v4, v8, v4
	v_and_b32_e32 v7, 1, v7
	ds_write2_b32 v9, v4, v7 offset1:1
.LBB87_118:
	s_or_b64 exec, exec, s[6:7]
	v_add_u32_e32 v3, v3, v6
	s_waitcnt lgkmcnt(0)
	s_barrier
	ds_read_b32 v3, v3 offset:4096
	ds_read_b32 v5, v5 offset:8
	v_mbcnt_lo_u32_b32 v8, -1, 0
	v_mbcnt_hi_u32_b32 v13, -1, v8
	v_and_b32_e32 v14, 63, v13
	v_or_b32_e32 v4, 1, v2
	v_cmp_gt_u32_e64 s[8:9], 32, v14
	v_cmp_gt_u32_e64 s[2:3], s16, v2
	;; [unrolled: 1-line block ×3, first 2 shown]
	v_cndmask_b32_e64 v8, 0, 1, s[8:9]
	s_waitcnt lgkmcnt(1)
	v_cndmask_b32_e64 v3, 0, v3, s[2:3]
	s_waitcnt lgkmcnt(0)
	v_cndmask_b32_e64 v5, 0, v5, s[6:7]
	v_lshlrev_b32_e32 v8, 5, v8
	v_cndmask_b32_e64 v6, 0, v2, s[2:3]
	v_max_u32_e32 v7, v5, v3
	v_add_lshl_u32 v8, v8, v13, 2
	v_cndmask_b32_e64 v9, 0, v4, s[6:7]
	v_cmp_gt_u32_e64 s[8:9], v5, v3
	ds_bpermute_b32 v10, v8, v7
	v_cndmask_b32_e64 v3, v6, v9, s[8:9]
	ds_bpermute_b32 v5, v8, v3
	v_cmp_gt_u32_e64 s[8:9], 48, v14
	v_cndmask_b32_e64 v9, 0, 1, s[8:9]
	v_lshlrev_b32_e32 v9, 4, v9
	s_waitcnt lgkmcnt(1)
	v_max_u32_e32 v6, v10, v7
	v_add_lshl_u32 v9, v9, v13, 2
	v_cmp_gt_u32_e64 s[8:9], v10, v7
	ds_bpermute_b32 v11, v9, v6
	s_waitcnt lgkmcnt(1)
	v_cndmask_b32_e64 v3, v3, v5, s[8:9]
	ds_bpermute_b32 v5, v9, v3
	v_cmp_gt_u32_e64 s[8:9], 56, v14
	v_cndmask_b32_e64 v10, 0, 1, s[8:9]
	v_lshlrev_b32_e32 v10, 3, v10
	s_waitcnt lgkmcnt(1)
	v_max_u32_e32 v7, v11, v6
	v_add_lshl_u32 v10, v10, v13, 2
	v_cmp_gt_u32_e64 s[8:9], v11, v6
	ds_bpermute_b32 v12, v10, v7
	s_waitcnt lgkmcnt(1)
	;; [unrolled: 11-line block ×4, first 2 shown]
	v_cndmask_b32_e64 v5, v3, v5, s[8:9]
	ds_bpermute_b32 v6, v12, v5
	s_waitcnt lgkmcnt(0)
	s_barrier
	v_cmp_gt_u32_e64 s[8:9], v16, v7
	v_max_u32_e32 v3, v16, v7
	v_cndmask_b32_e64 v5, v5, v6, s[8:9]
	v_cmp_ne_u32_e64 s[8:9], 63, v14
	v_addc_co_u32_e64 v6, s[8:9], 0, v13, s[8:9]
	v_lshlrev_b32_e32 v13, 2, v6
	ds_bpermute_b32 v6, v13, v5
	ds_bpermute_b32 v7, v13, v3
	v_cmp_eq_u32_e64 s[8:9], 0, v1
	s_waitcnt lgkmcnt(0)
	s_barrier
	s_and_saveexec_b64 s[12:13], s[8:9]
	s_cbranch_execz .LBB87_120
; %bb.119:
	v_lshrrev_b32_e32 v14, 3, v0
	v_add_u32_e32 v14, 2, v14
	v_cmp_gt_u32_e64 s[10:11], v7, v3
	v_add_u32_e32 v14, 0x1000, v14
	v_cndmask_b32_e64 v5, v5, v6, s[10:11]
	v_max_u32_e32 v3, v7, v3
	ds_write2_b32 v14, v3, v5 offset1:1
.LBB87_120:
	s_or_b64 exec, exec, s[12:13]
	s_lshr_b32 s10, s22, 6
	v_cmp_gt_u32_e64 s[10:11], s10, v0
	v_lshl_add_u32 v14, v1, 3, 2
	v_mov_b32_e32 v3, 0
	v_mov_b32_e32 v5, 0
	s_waitcnt lgkmcnt(0)
	s_barrier
	s_and_saveexec_b64 s[12:13], s[10:11]
	s_cbranch_execnz .LBB87_143
; %bb.121:
	s_or_b64 exec, exec, s[12:13]
	s_and_saveexec_b64 s[12:13], s[10:11]
	s_cbranch_execnz .LBB87_144
.LBB87_122:
	s_or_b64 exec, exec, s[12:13]
	s_and_saveexec_b64 s[22:23], s[0:1]
	s_cbranch_execnz .LBB87_145
.LBB87_123:
	s_or_b64 exec, exec, s[22:23]
	s_and_saveexec_b64 s[12:13], vcc
	s_cbranch_execz .LBB87_125
.LBB87_124:
	s_waitcnt lgkmcnt(0)
	v_lshl_add_u32 v3, v3, 1, 2
	ds_read_u16 v3, v3
	v_mov_b32_e32 v5, 0
	s_waitcnt lgkmcnt(0)
	ds_write_b16 v5, v3
.LBB87_125:
	s_or_b64 exec, exec, s[12:13]
	s_mov_b32 s22, 0
	s_waitcnt lgkmcnt(0)
	v_mov_b32_e32 v3, 0
	s_mov_b32 s23, s22
	v_cmp_gt_i64_e64 s[12:13], s[16:17], v[2:3]
	v_pk_mov_b32 v[6:7], s[22:23], s[22:23] op_sel:[0,1]
	s_barrier
	s_and_saveexec_b64 s[22:23], s[12:13]
	s_cbranch_execz .LBB87_127
; %bb.126:
	v_add_u32_e32 v6, s19, v2
	v_mov_b32_e32 v7, v3
	v_lshlrev_b64 v[6:7], 1, v[6:7]
	v_mov_b32_e32 v5, s21
	v_add_co_u32_e64 v6, s[12:13], s20, v6
	v_addc_co_u32_e64 v7, s[12:13], v5, v7, s[12:13]
	global_load_ushort v5, v[6:7], off
	ds_read_u16 v6, v3
	s_waitcnt vmcnt(0) lgkmcnt(0)
	v_cmp_eq_u16_e64 s[12:13], v5, v6
	v_cndmask_b32_e64 v2, 0, v2, s[12:13]
	v_pk_mov_b32 v[6:7], v[2:3], v[2:3] op_sel:[0,1]
.LBB87_127:
	s_or_b64 exec, exec, s[22:23]
	v_mov_b32_e32 v5, v3
	v_cmp_gt_i64_e64 s[12:13], s[16:17], v[4:5]
	s_and_saveexec_b64 s[16:17], s[12:13]
	s_cbranch_execz .LBB87_129
; %bb.128:
	v_add_u32_e32 v2, s19, v4
	v_mov_b32_e32 v3, 0
	v_lshlrev_b64 v[16:17], 1, v[2:3]
	v_mov_b32_e32 v2, s21
	v_add_co_u32_e64 v16, s[12:13], s20, v16
	v_addc_co_u32_e64 v17, s[12:13], v2, v17, s[12:13]
	global_load_ushort v2, v[16:17], off
	ds_read_u16 v3, v3
	s_waitcnt vmcnt(0) lgkmcnt(0)
	v_cmp_eq_u16_e64 s[12:13], v2, v3
	v_cndmask_b32_e64 v7, 0, v4, s[12:13]
.LBB87_129:
	s_or_b64 exec, exec, s[16:17]
	v_cndmask_b32_e64 v2, 0, v6, s[2:3]
	v_cndmask_b32_e64 v3, 0, v7, s[6:7]
	v_max_u32_e32 v2, v3, v2
	ds_bpermute_b32 v3, v8, v2
	s_waitcnt lgkmcnt(0)
	s_barrier
	v_max_u32_e32 v2, v3, v2
	ds_bpermute_b32 v3, v9, v2
	s_waitcnt lgkmcnt(0)
	v_max_u32_e32 v2, v3, v2
	ds_bpermute_b32 v3, v10, v2
	s_waitcnt lgkmcnt(0)
	;; [unrolled: 3-line block ×4, first 2 shown]
	v_max_u32_e32 v2, v3, v2
	ds_bpermute_b32 v3, v13, v2
	s_and_saveexec_b64 s[2:3], s[8:9]
	s_cbranch_execz .LBB87_131
; %bb.130:
	v_lshrrev_b32_e32 v0, 4, v0
	v_add_u32_e32 v0, 2, v0
	s_waitcnt lgkmcnt(0)
	v_max_u32_e32 v2, v3, v2
	ds_write_b32 v0, v2
.LBB87_131:
	s_or_b64 exec, exec, s[2:3]
	v_mov_b32_e32 v0, 0
	s_waitcnt lgkmcnt(0)
	s_barrier
	s_and_saveexec_b64 s[2:3], s[10:11]
	s_cbranch_execnz .LBB87_146
; %bb.132:
	s_or_b64 exec, exec, s[2:3]
	s_and_saveexec_b64 s[2:3], s[0:1]
	s_cbranch_execnz .LBB87_147
.LBB87_133:
	s_or_b64 exec, exec, s[2:3]
	s_and_saveexec_b64 s[0:1], vcc
	s_cbranch_execnz .LBB87_148
.LBB87_134:
	s_endpgm
.LBB87_135:
	ds_read_u8 v6, v1 offset:4096
	s_andn2_b64 s[0:1], s[0:1], exec
	s_mov_b32 s6, 1
	s_waitcnt lgkmcnt(0)
	v_and_b32_e32 v6, 1, v6
	v_cmp_eq_u32_e32 vcc, 1, v6
	s_xor_b64 s[8:9], vcc, -1
	s_and_b64 s[8:9], s[8:9], exec
	s_or_b64 s[0:1], s[0:1], s[8:9]
	s_or_b64 exec, exec, s[2:3]
	v_mov_b32_e32 v6, s6
	s_and_saveexec_b64 s[2:3], s[0:1]
	s_cbranch_execz .LBB87_25
.LBB87_136:
	ds_read_u8 v6, v1 offset:5120
	s_waitcnt lgkmcnt(0)
	v_xor_b32_e32 v6, 1, v6
	s_or_b64 exec, exec, s[2:3]
	v_cmp_eq_u32_e32 vcc, 0, v6
	s_and_saveexec_b64 s[0:1], vcc
	s_cbranch_execnz .LBB87_26
	s_branch .LBB87_27
.LBB87_137:
	ds_read_u8 v7, v1 offset:4096
	s_andn2_b64 s[0:1], s[0:1], exec
	s_waitcnt lgkmcnt(0)
	v_and_b32_e32 v7, 1, v7
	v_cmp_eq_u32_e32 vcc, 1, v7
	s_xor_b64 s[8:9], vcc, -1
	s_and_b64 s[8:9], s[8:9], exec
	s_or_b64 s[0:1], s[0:1], s[8:9]
	s_or_b64 exec, exec, s[2:3]
	v_mov_b32_e32 v7, s6
	s_and_saveexec_b64 s[2:3], s[0:1]
	s_cbranch_execz .LBB87_29
.LBB87_138:
	ds_read_u8 v7, v1 offset:4608
	s_waitcnt lgkmcnt(0)
	v_xor_b32_e32 v7, 1, v7
	s_or_b64 exec, exec, s[2:3]
	v_cmp_eq_u32_e32 vcc, 0, v7
	s_and_saveexec_b64 s[0:1], vcc
	s_cbranch_execnz .LBB87_30
	s_branch .LBB87_31
.LBB87_139:
	ds_read_u8 v7, v1 offset:4096
	s_andn2_b64 s[0:1], s[0:1], exec
	s_waitcnt lgkmcnt(0)
	v_and_b32_e32 v7, 1, v7
	v_cmp_eq_u32_e32 vcc, 1, v7
	s_xor_b64 s[8:9], vcc, -1
	s_and_b64 s[8:9], s[8:9], exec
	s_or_b64 s[0:1], s[0:1], s[8:9]
	s_or_b64 exec, exec, s[2:3]
	v_mov_b32_e32 v7, s6
	s_and_saveexec_b64 s[2:3], s[0:1]
	s_cbranch_execz .LBB87_33
.LBB87_140:
	ds_read_u8 v7, v1 offset:4352
	s_waitcnt lgkmcnt(0)
	v_xor_b32_e32 v7, 1, v7
	s_or_b64 exec, exec, s[2:3]
	v_cmp_eq_u32_e32 vcc, 0, v7
	s_and_saveexec_b64 s[0:1], vcc
	s_cbranch_execnz .LBB87_34
	s_branch .LBB87_35
.LBB87_141:
	ds_read_u8 v7, v1 offset:4096
	s_andn2_b64 s[0:1], s[0:1], exec
	s_waitcnt lgkmcnt(0)
	v_and_b32_e32 v7, 1, v7
	v_cmp_eq_u32_e32 vcc, 1, v7
	s_xor_b64 s[8:9], vcc, -1
	s_and_b64 s[8:9], s[8:9], exec
	s_or_b64 s[0:1], s[0:1], s[8:9]
	s_or_b64 exec, exec, s[2:3]
	v_mov_b32_e32 v7, s6
	s_and_saveexec_b64 s[2:3], s[0:1]
	s_cbranch_execz .LBB87_37
.LBB87_142:
	ds_read_u8 v7, v1 offset:4224
	s_waitcnt lgkmcnt(0)
	v_xor_b32_e32 v7, 1, v7
	s_or_b64 exec, exec, s[2:3]
	v_cmp_eq_u32_e32 vcc, 0, v7
	s_and_saveexec_b64 s[0:1], vcc
	s_cbranch_execnz .LBB87_38
	s_branch .LBB87_39
.LBB87_143:
	ds_read_b32 v5, v14 offset:4096
	s_or_b64 exec, exec, s[12:13]
	s_and_saveexec_b64 s[12:13], s[10:11]
	s_cbranch_execz .LBB87_122
.LBB87_144:
	ds_read_b32 v3, v14 offset:4100
	s_or_b64 exec, exec, s[12:13]
	s_and_saveexec_b64 s[22:23], s[0:1]
	s_cbranch_execz .LBB87_123
.LBB87_145:
	s_waitcnt lgkmcnt(0)
	ds_bpermute_b32 v6, v8, v5
	ds_bpermute_b32 v7, v8, v3
	s_waitcnt lgkmcnt(1)
	v_max_u32_e32 v15, v6, v5
	v_cmp_gt_u32_e64 s[12:13], v6, v5
	ds_bpermute_b32 v16, v9, v15
	s_waitcnt lgkmcnt(1)
	v_cndmask_b32_e64 v3, v3, v7, s[12:13]
	ds_bpermute_b32 v5, v9, v3
	s_waitcnt lgkmcnt(1)
	v_max_u32_e32 v6, v16, v15
	v_cmp_gt_u32_e64 s[12:13], v16, v15
	ds_bpermute_b32 v7, v10, v6
	s_waitcnt lgkmcnt(1)
	v_cndmask_b32_e64 v3, v3, v5, s[12:13]
	;; [unrolled: 7-line block ×4, first 2 shown]
	ds_bpermute_b32 v5, v12, v3
	s_waitcnt lgkmcnt(1)
	v_max_u32_e32 v15, v7, v6
	v_cmp_gt_u32_e64 s[12:13], v7, v6
	s_waitcnt lgkmcnt(0)
	v_cndmask_b32_e64 v3, v3, v5, s[12:13]
	ds_bpermute_b32 v5, v13, v15
	ds_bpermute_b32 v6, v13, v3
	s_waitcnt lgkmcnt(1)
	v_cmp_gt_u32_e64 s[12:13], v5, v15
	s_waitcnt lgkmcnt(0)
	v_cndmask_b32_e64 v3, v3, v6, s[12:13]
	s_or_b64 exec, exec, s[22:23]
	s_and_saveexec_b64 s[12:13], vcc
	s_cbranch_execnz .LBB87_124
	s_branch .LBB87_125
.LBB87_146:
	v_lshlrev_b32_e32 v0, 2, v1
	v_sub_u32_e32 v0, v14, v0
	ds_read_b32 v0, v0
	s_or_b64 exec, exec, s[2:3]
	s_and_saveexec_b64 s[2:3], s[0:1]
	s_cbranch_execz .LBB87_133
.LBB87_147:
	s_waitcnt lgkmcnt(0)
	ds_bpermute_b32 v1, v8, v0
	s_waitcnt lgkmcnt(0)
	v_max_u32_e32 v0, v1, v0
	ds_bpermute_b32 v1, v9, v0
	s_waitcnt lgkmcnt(0)
	v_max_u32_e32 v0, v1, v0
	;; [unrolled: 3-line block ×6, first 2 shown]
	s_or_b64 exec, exec, s[2:3]
	s_and_saveexec_b64 s[0:1], vcc
	s_cbranch_execz .LBB87_134
.LBB87_148:
	s_load_dword s2, s[4:5], 0xd8
	s_add_u32 s0, s4, 8
	s_addc_u32 s1, s5, 0
	s_mov_b32 s3, 0
	s_waitcnt lgkmcnt(0)
	s_cmp_lt_i32 s2, 2
	s_cbranch_scc1 .LBB87_151
; %bb.149:
	s_add_i32 s6, s2, 1
	s_add_i32 s2, s2, -1
	s_lshl_b64 s[4:5], s[2:3], 2
	s_add_u32 s2, s4, s0
	s_addc_u32 s5, s5, s1
	s_add_u32 s4, s2, 8
	s_addc_u32 s5, s5, 0
.LBB87_150:                             ; =>This Inner Loop Header: Depth=1
	s_load_dword s2, s[4:5], 0x0
	s_load_dword s8, s[4:5], 0x64
	s_mov_b32 s7, s18
	s_waitcnt lgkmcnt(0)
	v_cvt_f32_u32_e32 v1, s2
	s_sub_i32 s9, 0, s2
	v_rcp_iflag_f32_e32 v1, v1
	v_mul_f32_e32 v1, 0x4f7ffffe, v1
	v_cvt_u32_f32_e32 v1, v1
	v_readfirstlane_b32 s10, v1
	s_mul_i32 s9, s9, s10
	s_mul_hi_u32 s9, s10, s9
	s_add_i32 s10, s10, s9
	s_mul_hi_u32 s9, s18, s10
	s_mul_i32 s10, s9, s2
	s_sub_i32 s10, s18, s10
	s_add_i32 s11, s9, 1
	s_sub_i32 s12, s10, s2
	s_cmp_ge_u32 s10, s2
	s_cselect_b32 s9, s11, s9
	s_cselect_b32 s10, s12, s10
	s_add_i32 s11, s9, 1
	s_cmp_ge_u32 s10, s2
	s_cselect_b32 s18, s11, s9
	s_mul_i32 s2, s18, s2
	s_sub_i32 s2, s7, s2
	s_mul_i32 s2, s8, s2
	s_add_i32 s6, s6, -1
	s_add_i32 s3, s2, s3
	s_add_u32 s4, s4, -4
	s_addc_u32 s5, s5, -1
	s_cmp_gt_u32 s6, 2
	s_cbranch_scc1 .LBB87_150
.LBB87_151:
	s_load_dword s2, s[0:1], 0x6c
	v_mov_b32_e32 v1, 0
	s_load_dwordx2 s[0:1], s[0:1], 0x0
	ds_read_u16 v2, v1
	s_mov_b32 s5, 0
	s_waitcnt lgkmcnt(0)
	s_mul_i32 s2, s2, s18
	s_add_i32 s4, s2, s3
	s_lshl_b64 s[2:3], s[4:5], 1
	s_add_u32 s0, s0, s2
	s_addc_u32 s1, s1, s3
	global_store_short v1, v2, s[0:1]
	s_lshl_b64 s[0:1], s[4:5], 3
	s_add_u32 s0, s14, s0
	s_addc_u32 s1, s15, s1
	global_store_dwordx2 v1, v[0:1], s[0:1]
	s_endpgm
	.section	.rodata,"a",@progbits
	.p2align	6, 0x0
	.amdhsa_kernel _ZN2at6native12compute_modeIsLj2048EEEvPKT_NS_4cuda6detail10TensorInfoIS2_jEENS7_IljEEll
		.amdhsa_group_segment_fixed_size 2
		.amdhsa_private_segment_fixed_size 0
		.amdhsa_kernarg_size 712
		.amdhsa_user_sgpr_count 6
		.amdhsa_user_sgpr_private_segment_buffer 1
		.amdhsa_user_sgpr_dispatch_ptr 0
		.amdhsa_user_sgpr_queue_ptr 0
		.amdhsa_user_sgpr_kernarg_segment_ptr 1
		.amdhsa_user_sgpr_dispatch_id 0
		.amdhsa_user_sgpr_flat_scratch_init 0
		.amdhsa_user_sgpr_kernarg_preload_length 0
		.amdhsa_user_sgpr_kernarg_preload_offset 0
		.amdhsa_user_sgpr_private_segment_size 0
		.amdhsa_uses_dynamic_stack 0
		.amdhsa_system_sgpr_private_segment_wavefront_offset 0
		.amdhsa_system_sgpr_workgroup_id_x 1
		.amdhsa_system_sgpr_workgroup_id_y 1
		.amdhsa_system_sgpr_workgroup_id_z 1
		.amdhsa_system_sgpr_workgroup_info 0
		.amdhsa_system_vgpr_workitem_id 0
		.amdhsa_next_free_vgpr 28
		.amdhsa_next_free_sgpr 24
		.amdhsa_accum_offset 28
		.amdhsa_reserve_vcc 1
		.amdhsa_reserve_flat_scratch 0
		.amdhsa_float_round_mode_32 0
		.amdhsa_float_round_mode_16_64 0
		.amdhsa_float_denorm_mode_32 3
		.amdhsa_float_denorm_mode_16_64 3
		.amdhsa_dx10_clamp 1
		.amdhsa_ieee_mode 1
		.amdhsa_fp16_overflow 0
		.amdhsa_tg_split 0
		.amdhsa_exception_fp_ieee_invalid_op 0
		.amdhsa_exception_fp_denorm_src 0
		.amdhsa_exception_fp_ieee_div_zero 0
		.amdhsa_exception_fp_ieee_overflow 0
		.amdhsa_exception_fp_ieee_underflow 0
		.amdhsa_exception_fp_ieee_inexact 0
		.amdhsa_exception_int_div_zero 0
	.end_amdhsa_kernel
	.section	.text._ZN2at6native12compute_modeIsLj2048EEEvPKT_NS_4cuda6detail10TensorInfoIS2_jEENS7_IljEEll,"axG",@progbits,_ZN2at6native12compute_modeIsLj2048EEEvPKT_NS_4cuda6detail10TensorInfoIS2_jEENS7_IljEEll,comdat
.Lfunc_end87:
	.size	_ZN2at6native12compute_modeIsLj2048EEEvPKT_NS_4cuda6detail10TensorInfoIS2_jEENS7_IljEEll, .Lfunc_end87-_ZN2at6native12compute_modeIsLj2048EEEvPKT_NS_4cuda6detail10TensorInfoIS2_jEENS7_IljEEll
                                        ; -- End function
	.section	.AMDGPU.csdata,"",@progbits
; Kernel info:
; codeLenInByte = 8208
; NumSgprs: 28
; NumVgprs: 28
; NumAgprs: 0
; TotalNumVgprs: 28
; ScratchSize: 0
; MemoryBound: 0
; FloatMode: 240
; IeeeMode: 1
; LDSByteSize: 2 bytes/workgroup (compile time only)
; SGPRBlocks: 3
; VGPRBlocks: 3
; NumSGPRsForWavesPerEU: 28
; NumVGPRsForWavesPerEU: 28
; AccumOffset: 28
; Occupancy: 8
; WaveLimiterHint : 1
; COMPUTE_PGM_RSRC2:SCRATCH_EN: 0
; COMPUTE_PGM_RSRC2:USER_SGPR: 6
; COMPUTE_PGM_RSRC2:TRAP_HANDLER: 0
; COMPUTE_PGM_RSRC2:TGID_X_EN: 1
; COMPUTE_PGM_RSRC2:TGID_Y_EN: 1
; COMPUTE_PGM_RSRC2:TGID_Z_EN: 1
; COMPUTE_PGM_RSRC2:TIDIG_COMP_CNT: 0
; COMPUTE_PGM_RSRC3_GFX90A:ACCUM_OFFSET: 6
; COMPUTE_PGM_RSRC3_GFX90A:TG_SPLIT: 0
	.section	.text._ZN2at6native12compute_modeIsLj1024EEEvPKT_NS_4cuda6detail10TensorInfoIS2_jEENS7_IljEEll,"axG",@progbits,_ZN2at6native12compute_modeIsLj1024EEEvPKT_NS_4cuda6detail10TensorInfoIS2_jEENS7_IljEEll,comdat
	.protected	_ZN2at6native12compute_modeIsLj1024EEEvPKT_NS_4cuda6detail10TensorInfoIS2_jEENS7_IljEEll ; -- Begin function _ZN2at6native12compute_modeIsLj1024EEEvPKT_NS_4cuda6detail10TensorInfoIS2_jEENS7_IljEEll
	.globl	_ZN2at6native12compute_modeIsLj1024EEEvPKT_NS_4cuda6detail10TensorInfoIS2_jEENS7_IljEEll
	.p2align	8
	.type	_ZN2at6native12compute_modeIsLj1024EEEvPKT_NS_4cuda6detail10TensorInfoIS2_jEENS7_IljEEll,@function
_ZN2at6native12compute_modeIsLj1024EEEvPKT_NS_4cuda6detail10TensorInfoIS2_jEENS7_IljEEll: ; @_ZN2at6native12compute_modeIsLj1024EEEvPKT_NS_4cuda6detail10TensorInfoIS2_jEENS7_IljEEll
; %bb.0:
	s_load_dwordx4 s[16:19], s[4:5], 0x1b8
	s_load_dwordx2 s[2:3], s[4:5], 0x1c8
	s_add_u32 s0, s4, 0x1c8
	s_addc_u32 s1, s5, 0
	s_mov_b32 s15, 0
	s_waitcnt lgkmcnt(0)
	v_mov_b32_e32 v2, s18
	s_mul_i32 s3, s3, s8
	s_add_i32 s3, s3, s7
	s_mul_i32 s2, s3, s2
	v_mov_b32_e32 v3, s19
	s_add_i32 s14, s2, s6
	v_cmp_ge_i64_e32 vcc, s[14:15], v[2:3]
	s_cbranch_vccnz .LBB88_308
; %bb.1:
	s_load_dwordx2 s[18:19], s[4:5], 0x0
	s_load_dword s6, s[0:1], 0xc
	v_mov_b32_e32 v3, 0
	v_mov_b32_e32 v1, v3
	s_mul_i32 s15, s14, s16
	v_cmp_gt_i64_e32 vcc, s[16:17], v[0:1]
	s_and_saveexec_b64 s[2:3], vcc
	s_cbranch_execz .LBB88_3
; %bb.2:
	v_add_u32_e32 v2, s15, v0
	v_lshlrev_b64 v[4:5], 1, v[2:3]
	s_waitcnt lgkmcnt(0)
	v_mov_b32_e32 v1, s19
	v_add_co_u32_e64 v4, s[0:1], s18, v4
	v_addc_co_u32_e64 v5, s[0:1], v1, v5, s[0:1]
	global_load_ushort v1, v[4:5], off
	v_lshl_add_u32 v2, v0, 1, 2
	s_waitcnt vmcnt(0)
	ds_write_b16 v2, v1
.LBB88_3:
	s_or_b64 exec, exec, s[2:3]
	s_waitcnt lgkmcnt(0)
	s_and_b32 s20, 0xffff, s6
	v_add_u32_e32 v2, s20, v0
	v_cmp_gt_i64_e64 s[0:1], s[16:17], v[2:3]
	s_and_saveexec_b64 s[6:7], s[0:1]
	s_cbranch_execz .LBB88_5
; %bb.4:
	v_add_u32_e32 v4, s15, v2
	v_mov_b32_e32 v5, 0
	v_lshlrev_b64 v[4:5], 1, v[4:5]
	v_mov_b32_e32 v1, s19
	v_add_co_u32_e64 v4, s[2:3], s18, v4
	v_addc_co_u32_e64 v5, s[2:3], v1, v5, s[2:3]
	global_load_ushort v1, v[4:5], off
	v_lshl_add_u32 v2, v2, 1, 2
	s_waitcnt vmcnt(0)
	ds_write_b16 v2, v1
.LBB88_5:
	s_or_b64 exec, exec, s[6:7]
	v_add_u32_e32 v1, 2, v0
	v_cndmask_b32_e64 v2, 0, 1, vcc
	ds_write_b8 v1, v2 offset:2048
	v_add_u32_e32 v2, s20, v1
	v_cndmask_b32_e64 v3, 0, 1, s[0:1]
	ds_write_b8 v2, v3 offset:2048
	v_mad_u32_u24 v3, v0, 3, v1
	s_waitcnt lgkmcnt(0)
	s_barrier
	s_barrier
	ds_read_b32 v5, v3
	v_lshlrev_b32_e32 v2, 1, v0
	s_mov_b32 s6, 1
	v_sub_u32_e32 v4, v3, v2
	s_waitcnt lgkmcnt(0)
	v_cmp_ge_i16_sdwa s[0:1], v5, v5 src0_sel:DWORD src1_sel:WORD_1
	v_cmp_lt_i16_sdwa s[8:9], v5, v5 src0_sel:DWORD src1_sel:WORD_1
	s_and_saveexec_b64 s[2:3], s[8:9]
	s_cbranch_execz .LBB88_7
; %bb.6:
	ds_read_u8 v1, v4 offset:2048
	s_andn2_b64 s[0:1], s[0:1], exec
	s_waitcnt lgkmcnt(0)
	v_and_b32_e32 v1, 1, v1
	v_cmp_eq_u32_e32 vcc, 1, v1
	s_xor_b64 s[8:9], vcc, -1
	s_and_b64 s[8:9], s[8:9], exec
	s_or_b64 s[0:1], s[0:1], s[8:9]
.LBB88_7:
	s_or_b64 exec, exec, s[2:3]
	v_mov_b32_e32 v7, s6
	v_add_u32_e32 v1, 2, v2
	s_and_saveexec_b64 s[2:3], s[0:1]
	s_cbranch_execz .LBB88_9
; %bb.8:
	ds_read_u8 v6, v1 offset:2049
	s_waitcnt lgkmcnt(0)
	v_xor_b32_e32 v7, 1, v6
.LBB88_9:
	s_or_b64 exec, exec, s[2:3]
	v_and_b32_e32 v6, 1, v0
	v_cmp_eq_u32_e32 vcc, v7, v6
	s_and_saveexec_b64 s[0:1], vcc
	s_cbranch_execz .LBB88_11
; %bb.10:
	ds_read_u8 v7, v1 offset:2049
	ds_read_u8 v8, v4 offset:2048
	v_alignbit_b32 v5, v5, v5, 16
	ds_write_b32 v3, v5
	s_waitcnt lgkmcnt(2)
	ds_write_b8 v4, v7 offset:2048
	s_waitcnt lgkmcnt(2)
	ds_write_b8 v1, v8 offset:2049
.LBB88_11:
	s_or_b64 exec, exec, s[0:1]
	v_sub_u32_e32 v7, v2, v6
	v_lshl_add_u32 v6, v7, 1, 2
	v_add_u32_e32 v5, 2, v7
	s_waitcnt lgkmcnt(0)
	s_barrier
	v_add_u32_e32 v7, v5, v7
	ds_read_u16 v9, v6
	ds_read_u16 v10, v7 offset:4
	s_mov_b64 s[0:1], -1
                                        ; implicit-def: $sgpr6
	s_waitcnt lgkmcnt(0)
	v_cmp_lt_i16_e32 vcc, v9, v10
	s_and_saveexec_b64 s[2:3], vcc
	s_xor_b64 s[2:3], exec, s[2:3]
	s_cbranch_execz .LBB88_13
; %bb.12:
	ds_read_u8 v8, v5 offset:2048
	s_mov_b32 s6, 1
	s_waitcnt lgkmcnt(0)
	v_and_b32_e32 v8, 1, v8
	v_cmp_eq_u32_e32 vcc, 1, v8
	s_xor_b64 s[0:1], vcc, -1
	s_orn2_b64 s[0:1], s[0:1], exec
.LBB88_13:
	s_or_b64 exec, exec, s[2:3]
	v_mov_b32_e32 v11, s6
	s_and_saveexec_b64 s[2:3], s[0:1]
	s_cbranch_execz .LBB88_15
; %bb.14:
	ds_read_u8 v8, v5 offset:2050
	s_waitcnt lgkmcnt(0)
	v_xor_b32_e32 v11, 1, v8
.LBB88_15:
	s_or_b64 exec, exec, s[2:3]
	v_bfe_u32 v8, v0, 1, 1
	v_cmp_eq_u32_e32 vcc, v11, v8
	s_and_saveexec_b64 s[0:1], vcc
	s_cbranch_execz .LBB88_17
; %bb.16:
	ds_read_u8 v11, v5 offset:2050
	ds_read_u8 v12, v5 offset:2048
	ds_write_b16 v6, v10
	ds_write_b16 v7, v9 offset:4
	s_waitcnt lgkmcnt(3)
	ds_write_b8 v5, v11 offset:2048
	s_waitcnt lgkmcnt(3)
	ds_write_b8 v5, v12 offset:2050
.LBB88_17:
	s_or_b64 exec, exec, s[0:1]
	s_waitcnt lgkmcnt(0)
	s_barrier
	ds_read_b32 v9, v3
                                        ; implicit-def: $sgpr6
	s_waitcnt lgkmcnt(0)
	v_cmp_ge_i16_sdwa s[0:1], v9, v9 src0_sel:DWORD src1_sel:WORD_1
	v_cmp_lt_i16_sdwa s[8:9], v9, v9 src0_sel:DWORD src1_sel:WORD_1
	s_and_saveexec_b64 s[2:3], s[8:9]
	s_cbranch_execnz .LBB88_309
; %bb.18:
	s_or_b64 exec, exec, s[2:3]
	v_mov_b32_e32 v10, s6
	s_and_saveexec_b64 s[2:3], s[0:1]
	s_cbranch_execnz .LBB88_310
.LBB88_19:
	s_or_b64 exec, exec, s[2:3]
	v_cmp_eq_u32_e32 vcc, v10, v8
	s_and_saveexec_b64 s[0:1], vcc
	s_cbranch_execz .LBB88_21
.LBB88_20:
	ds_read_u8 v8, v1 offset:2049
	ds_read_u8 v10, v4 offset:2048
	v_alignbit_b32 v9, v9, v9, 16
	ds_write_b32 v3, v9
	s_waitcnt lgkmcnt(2)
	ds_write_b8 v4, v8 offset:2048
	s_waitcnt lgkmcnt(2)
	ds_write_b8 v1, v10 offset:2049
.LBB88_21:
	s_or_b64 exec, exec, s[0:1]
	v_and_b32_e32 v8, 3, v0
	v_sub_u32_e32 v10, v2, v8
	v_lshl_add_u32 v9, v10, 1, 2
	v_add_u32_e32 v8, 2, v10
	s_waitcnt lgkmcnt(0)
	s_barrier
	v_add_u32_e32 v10, v8, v10
	ds_read_u16 v12, v9
	ds_read_u16 v13, v10 offset:8
	s_mov_b32 s6, 1
	s_waitcnt lgkmcnt(0)
	v_cmp_ge_i16_e64 s[0:1], v12, v13
	v_cmp_lt_i16_e32 vcc, v12, v13
	s_and_saveexec_b64 s[2:3], vcc
	s_cbranch_execz .LBB88_23
; %bb.22:
	ds_read_u8 v11, v8 offset:2048
	s_andn2_b64 s[0:1], s[0:1], exec
	s_waitcnt lgkmcnt(0)
	v_and_b32_e32 v11, 1, v11
	v_cmp_eq_u32_e32 vcc, 1, v11
	s_xor_b64 s[8:9], vcc, -1
	s_and_b64 s[8:9], s[8:9], exec
	s_or_b64 s[0:1], s[0:1], s[8:9]
.LBB88_23:
	s_or_b64 exec, exec, s[2:3]
	v_mov_b32_e32 v14, s6
	s_and_saveexec_b64 s[2:3], s[0:1]
	s_cbranch_execz .LBB88_25
; %bb.24:
	ds_read_u8 v11, v8 offset:2052
	s_waitcnt lgkmcnt(0)
	v_xor_b32_e32 v14, 1, v11
.LBB88_25:
	s_or_b64 exec, exec, s[2:3]
	v_bfe_u32 v11, v0, 2, 1
	v_cmp_eq_u32_e32 vcc, v14, v11
	s_and_saveexec_b64 s[0:1], vcc
	s_cbranch_execz .LBB88_27
; %bb.26:
	ds_read_u8 v14, v8 offset:2052
	ds_read_u8 v15, v8 offset:2048
	ds_write_b16 v9, v13
	ds_write_b16 v10, v12 offset:8
	s_waitcnt lgkmcnt(3)
	ds_write_b8 v8, v14 offset:2048
	s_waitcnt lgkmcnt(3)
	ds_write_b8 v8, v15 offset:2052
.LBB88_27:
	s_or_b64 exec, exec, s[0:1]
	s_waitcnt lgkmcnt(0)
	s_barrier
	ds_read_u16 v12, v6
	ds_read_u16 v13, v7 offset:4
                                        ; implicit-def: $sgpr6
	s_waitcnt lgkmcnt(0)
	v_cmp_ge_i16_e64 s[0:1], v12, v13
	v_cmp_lt_i16_e32 vcc, v12, v13
	s_and_saveexec_b64 s[2:3], vcc
	s_cbranch_execnz .LBB88_311
; %bb.28:
	s_or_b64 exec, exec, s[2:3]
	v_mov_b32_e32 v14, s6
	s_and_saveexec_b64 s[2:3], s[0:1]
	s_cbranch_execnz .LBB88_312
.LBB88_29:
	s_or_b64 exec, exec, s[2:3]
	v_cmp_eq_u32_e32 vcc, v14, v11
	s_and_saveexec_b64 s[0:1], vcc
	s_cbranch_execz .LBB88_31
.LBB88_30:
	ds_read_u8 v14, v5 offset:2050
	ds_read_u8 v15, v5 offset:2048
	ds_write_b16 v6, v13
	ds_write_b16 v7, v12 offset:4
	s_waitcnt lgkmcnt(3)
	ds_write_b8 v5, v14 offset:2048
	s_waitcnt lgkmcnt(3)
	ds_write_b8 v5, v15 offset:2050
.LBB88_31:
	s_or_b64 exec, exec, s[0:1]
	s_waitcnt lgkmcnt(0)
	s_barrier
	ds_read_b32 v12, v3
                                        ; implicit-def: $sgpr6
	s_waitcnt lgkmcnt(0)
	v_cmp_ge_i16_sdwa s[0:1], v12, v12 src0_sel:DWORD src1_sel:WORD_1
	v_cmp_lt_i16_sdwa s[8:9], v12, v12 src0_sel:DWORD src1_sel:WORD_1
	s_and_saveexec_b64 s[2:3], s[8:9]
	s_cbranch_execnz .LBB88_313
; %bb.32:
	s_or_b64 exec, exec, s[2:3]
	v_mov_b32_e32 v13, s6
	s_and_saveexec_b64 s[2:3], s[0:1]
	s_cbranch_execnz .LBB88_314
.LBB88_33:
	s_or_b64 exec, exec, s[2:3]
	v_cmp_eq_u32_e32 vcc, v13, v11
	s_and_saveexec_b64 s[0:1], vcc
	s_cbranch_execz .LBB88_35
.LBB88_34:
	ds_read_u8 v11, v1 offset:2049
	ds_read_u8 v13, v4 offset:2048
	v_alignbit_b32 v12, v12, v12, 16
	ds_write_b32 v3, v12
	s_waitcnt lgkmcnt(2)
	ds_write_b8 v4, v11 offset:2048
	s_waitcnt lgkmcnt(2)
	ds_write_b8 v1, v13 offset:2049
.LBB88_35:
	s_or_b64 exec, exec, s[0:1]
	v_and_b32_e32 v11, 7, v0
	v_sub_u32_e32 v11, v2, v11
	v_lshl_add_u32 v13, v11, 1, 2
	v_add_u32_e32 v12, 2, v11
	s_waitcnt lgkmcnt(0)
	s_barrier
	v_add_u32_e32 v14, v12, v11
	ds_read_u16 v15, v13
	ds_read_u16 v16, v14 offset:16
	s_mov_b32 s6, 1
	s_waitcnt lgkmcnt(0)
	v_cmp_ge_i16_e64 s[0:1], v15, v16
	v_cmp_lt_i16_e32 vcc, v15, v16
	s_and_saveexec_b64 s[2:3], vcc
	s_cbranch_execz .LBB88_37
; %bb.36:
	ds_read_u8 v11, v12 offset:2048
	s_andn2_b64 s[0:1], s[0:1], exec
	s_waitcnt lgkmcnt(0)
	v_and_b32_e32 v11, 1, v11
	v_cmp_eq_u32_e32 vcc, 1, v11
	s_xor_b64 s[8:9], vcc, -1
	s_and_b64 s[8:9], s[8:9], exec
	s_or_b64 s[0:1], s[0:1], s[8:9]
.LBB88_37:
	s_or_b64 exec, exec, s[2:3]
	v_mov_b32_e32 v17, s6
	s_and_saveexec_b64 s[2:3], s[0:1]
	s_cbranch_execz .LBB88_39
; %bb.38:
	ds_read_u8 v11, v12 offset:2056
	s_waitcnt lgkmcnt(0)
	v_xor_b32_e32 v17, 1, v11
.LBB88_39:
	s_or_b64 exec, exec, s[2:3]
	v_bfe_u32 v11, v0, 3, 1
	v_cmp_eq_u32_e32 vcc, v17, v11
	s_and_saveexec_b64 s[0:1], vcc
	s_cbranch_execz .LBB88_41
; %bb.40:
	ds_read_u8 v17, v12 offset:2056
	ds_read_u8 v18, v12 offset:2048
	ds_write_b16 v13, v16
	ds_write_b16 v14, v15 offset:16
	s_waitcnt lgkmcnt(3)
	ds_write_b8 v12, v17 offset:2048
	s_waitcnt lgkmcnt(3)
	ds_write_b8 v12, v18 offset:2056
.LBB88_41:
	s_or_b64 exec, exec, s[0:1]
	s_waitcnt lgkmcnt(0)
	s_barrier
	ds_read_u16 v15, v9
	ds_read_u16 v16, v10 offset:8
                                        ; implicit-def: $sgpr6
	s_waitcnt lgkmcnt(0)
	v_cmp_ge_i16_e64 s[0:1], v15, v16
	v_cmp_lt_i16_e32 vcc, v15, v16
	s_and_saveexec_b64 s[2:3], vcc
	s_cbranch_execnz .LBB88_315
; %bb.42:
	s_or_b64 exec, exec, s[2:3]
	v_mov_b32_e32 v17, s6
	s_and_saveexec_b64 s[2:3], s[0:1]
	s_cbranch_execnz .LBB88_316
.LBB88_43:
	s_or_b64 exec, exec, s[2:3]
	v_cmp_eq_u32_e32 vcc, v17, v11
	s_and_saveexec_b64 s[0:1], vcc
	s_cbranch_execz .LBB88_45
.LBB88_44:
	ds_read_u8 v17, v8 offset:2052
	ds_read_u8 v18, v8 offset:2048
	ds_write_b16 v9, v16
	ds_write_b16 v10, v15 offset:8
	s_waitcnt lgkmcnt(3)
	ds_write_b8 v8, v17 offset:2048
	s_waitcnt lgkmcnt(3)
	ds_write_b8 v8, v18 offset:2052
.LBB88_45:
	s_or_b64 exec, exec, s[0:1]
	s_waitcnt lgkmcnt(0)
	s_barrier
	ds_read_u16 v15, v6
	ds_read_u16 v16, v7 offset:4
                                        ; implicit-def: $sgpr6
	s_waitcnt lgkmcnt(0)
	v_cmp_ge_i16_e64 s[0:1], v15, v16
	v_cmp_lt_i16_e32 vcc, v15, v16
	s_and_saveexec_b64 s[2:3], vcc
	s_cbranch_execnz .LBB88_317
; %bb.46:
	s_or_b64 exec, exec, s[2:3]
	v_mov_b32_e32 v17, s6
	s_and_saveexec_b64 s[2:3], s[0:1]
	s_cbranch_execnz .LBB88_318
.LBB88_47:
	s_or_b64 exec, exec, s[2:3]
	v_cmp_eq_u32_e32 vcc, v17, v11
	s_and_saveexec_b64 s[0:1], vcc
	s_cbranch_execz .LBB88_49
.LBB88_48:
	ds_read_u8 v17, v5 offset:2050
	ds_read_u8 v18, v5 offset:2048
	ds_write_b16 v6, v16
	ds_write_b16 v7, v15 offset:4
	s_waitcnt lgkmcnt(3)
	ds_write_b8 v5, v17 offset:2048
	s_waitcnt lgkmcnt(3)
	ds_write_b8 v5, v18 offset:2050
.LBB88_49:
	s_or_b64 exec, exec, s[0:1]
	s_waitcnt lgkmcnt(0)
	s_barrier
	ds_read_b32 v15, v3
                                        ; implicit-def: $sgpr6
	s_waitcnt lgkmcnt(0)
	v_cmp_ge_i16_sdwa s[0:1], v15, v15 src0_sel:DWORD src1_sel:WORD_1
	v_cmp_lt_i16_sdwa s[8:9], v15, v15 src0_sel:DWORD src1_sel:WORD_1
	s_and_saveexec_b64 s[2:3], s[8:9]
	s_cbranch_execnz .LBB88_319
; %bb.50:
	s_or_b64 exec, exec, s[2:3]
	v_mov_b32_e32 v16, s6
	s_and_saveexec_b64 s[2:3], s[0:1]
	s_cbranch_execnz .LBB88_320
.LBB88_51:
	s_or_b64 exec, exec, s[2:3]
	v_cmp_eq_u32_e32 vcc, v16, v11
	s_and_saveexec_b64 s[0:1], vcc
	s_cbranch_execz .LBB88_53
.LBB88_52:
	ds_read_u8 v11, v1 offset:2049
	ds_read_u8 v16, v4 offset:2048
	v_alignbit_b32 v15, v15, v15, 16
	ds_write_b32 v3, v15
	s_waitcnt lgkmcnt(2)
	ds_write_b8 v4, v11 offset:2048
	s_waitcnt lgkmcnt(2)
	ds_write_b8 v1, v16 offset:2049
.LBB88_53:
	s_or_b64 exec, exec, s[0:1]
	v_and_b32_e32 v11, 15, v0
	v_sub_u32_e32 v11, v2, v11
	v_lshl_add_u32 v16, v11, 1, 2
	v_add_u32_e32 v15, 2, v11
	s_waitcnt lgkmcnt(0)
	s_barrier
	v_add_u32_e32 v17, v15, v11
	ds_read_u16 v18, v16
	ds_read_u16 v19, v17 offset:32
	s_mov_b32 s6, 1
	s_waitcnt lgkmcnt(0)
	v_cmp_ge_i16_e64 s[0:1], v18, v19
	v_cmp_lt_i16_e32 vcc, v18, v19
	s_and_saveexec_b64 s[2:3], vcc
	s_cbranch_execz .LBB88_55
; %bb.54:
	ds_read_u8 v11, v15 offset:2048
	s_andn2_b64 s[0:1], s[0:1], exec
	s_waitcnt lgkmcnt(0)
	v_and_b32_e32 v11, 1, v11
	v_cmp_eq_u32_e32 vcc, 1, v11
	s_xor_b64 s[8:9], vcc, -1
	s_and_b64 s[8:9], s[8:9], exec
	s_or_b64 s[0:1], s[0:1], s[8:9]
.LBB88_55:
	s_or_b64 exec, exec, s[2:3]
	v_mov_b32_e32 v20, s6
	s_and_saveexec_b64 s[2:3], s[0:1]
	s_cbranch_execz .LBB88_57
; %bb.56:
	ds_read_u8 v11, v15 offset:2064
	s_waitcnt lgkmcnt(0)
	v_xor_b32_e32 v20, 1, v11
.LBB88_57:
	s_or_b64 exec, exec, s[2:3]
	v_bfe_u32 v11, v0, 4, 1
	v_cmp_eq_u32_e32 vcc, v20, v11
	s_and_saveexec_b64 s[0:1], vcc
	s_cbranch_execz .LBB88_59
; %bb.58:
	ds_read_u8 v20, v15 offset:2064
	ds_read_u8 v21, v15 offset:2048
	ds_write_b16 v16, v19
	ds_write_b16 v17, v18 offset:32
	s_waitcnt lgkmcnt(3)
	ds_write_b8 v15, v20 offset:2048
	s_waitcnt lgkmcnt(3)
	ds_write_b8 v15, v21 offset:2064
.LBB88_59:
	s_or_b64 exec, exec, s[0:1]
	s_waitcnt lgkmcnt(0)
	s_barrier
	ds_read_u16 v18, v13
	ds_read_u16 v19, v14 offset:16
                                        ; implicit-def: $sgpr6
	s_waitcnt lgkmcnt(0)
	v_cmp_ge_i16_e64 s[0:1], v18, v19
	v_cmp_lt_i16_e32 vcc, v18, v19
	s_and_saveexec_b64 s[2:3], vcc
	s_cbranch_execnz .LBB88_321
; %bb.60:
	s_or_b64 exec, exec, s[2:3]
	v_mov_b32_e32 v20, s6
	s_and_saveexec_b64 s[2:3], s[0:1]
	s_cbranch_execnz .LBB88_322
.LBB88_61:
	s_or_b64 exec, exec, s[2:3]
	v_cmp_eq_u32_e32 vcc, v20, v11
	s_and_saveexec_b64 s[0:1], vcc
	s_cbranch_execz .LBB88_63
.LBB88_62:
	ds_read_u8 v20, v12 offset:2056
	ds_read_u8 v21, v12 offset:2048
	ds_write_b16 v13, v19
	ds_write_b16 v14, v18 offset:16
	s_waitcnt lgkmcnt(3)
	ds_write_b8 v12, v20 offset:2048
	s_waitcnt lgkmcnt(3)
	ds_write_b8 v12, v21 offset:2056
.LBB88_63:
	s_or_b64 exec, exec, s[0:1]
	s_waitcnt lgkmcnt(0)
	s_barrier
	ds_read_u16 v18, v9
	ds_read_u16 v19, v10 offset:8
                                        ; implicit-def: $sgpr6
	s_waitcnt lgkmcnt(0)
	v_cmp_ge_i16_e64 s[0:1], v18, v19
	v_cmp_lt_i16_e32 vcc, v18, v19
	s_and_saveexec_b64 s[2:3], vcc
	s_cbranch_execnz .LBB88_323
; %bb.64:
	s_or_b64 exec, exec, s[2:3]
	v_mov_b32_e32 v20, s6
	s_and_saveexec_b64 s[2:3], s[0:1]
	s_cbranch_execnz .LBB88_324
.LBB88_65:
	s_or_b64 exec, exec, s[2:3]
	v_cmp_eq_u32_e32 vcc, v20, v11
	s_and_saveexec_b64 s[0:1], vcc
	s_cbranch_execz .LBB88_67
.LBB88_66:
	ds_read_u8 v20, v8 offset:2052
	ds_read_u8 v21, v8 offset:2048
	ds_write_b16 v9, v19
	ds_write_b16 v10, v18 offset:8
	s_waitcnt lgkmcnt(3)
	ds_write_b8 v8, v20 offset:2048
	s_waitcnt lgkmcnt(3)
	ds_write_b8 v8, v21 offset:2052
.LBB88_67:
	s_or_b64 exec, exec, s[0:1]
	s_waitcnt lgkmcnt(0)
	s_barrier
	ds_read_u16 v18, v6
	ds_read_u16 v19, v7 offset:4
                                        ; implicit-def: $sgpr6
	s_waitcnt lgkmcnt(0)
	v_cmp_ge_i16_e64 s[0:1], v18, v19
	v_cmp_lt_i16_e32 vcc, v18, v19
	s_and_saveexec_b64 s[2:3], vcc
	s_cbranch_execnz .LBB88_325
; %bb.68:
	s_or_b64 exec, exec, s[2:3]
	v_mov_b32_e32 v20, s6
	s_and_saveexec_b64 s[2:3], s[0:1]
	s_cbranch_execnz .LBB88_326
.LBB88_69:
	s_or_b64 exec, exec, s[2:3]
	v_cmp_eq_u32_e32 vcc, v20, v11
	s_and_saveexec_b64 s[0:1], vcc
	s_cbranch_execz .LBB88_71
.LBB88_70:
	ds_read_u8 v20, v5 offset:2050
	ds_read_u8 v21, v5 offset:2048
	ds_write_b16 v6, v19
	ds_write_b16 v7, v18 offset:4
	s_waitcnt lgkmcnt(3)
	ds_write_b8 v5, v20 offset:2048
	s_waitcnt lgkmcnt(3)
	ds_write_b8 v5, v21 offset:2050
.LBB88_71:
	s_or_b64 exec, exec, s[0:1]
	s_waitcnt lgkmcnt(0)
	s_barrier
	ds_read_b32 v18, v3
                                        ; implicit-def: $sgpr6
	s_waitcnt lgkmcnt(0)
	v_cmp_ge_i16_sdwa s[0:1], v18, v18 src0_sel:DWORD src1_sel:WORD_1
	v_cmp_lt_i16_sdwa s[8:9], v18, v18 src0_sel:DWORD src1_sel:WORD_1
	s_and_saveexec_b64 s[2:3], s[8:9]
	s_cbranch_execnz .LBB88_327
; %bb.72:
	s_or_b64 exec, exec, s[2:3]
	v_mov_b32_e32 v19, s6
	s_and_saveexec_b64 s[2:3], s[0:1]
	s_cbranch_execnz .LBB88_328
.LBB88_73:
	s_or_b64 exec, exec, s[2:3]
	v_cmp_eq_u32_e32 vcc, v19, v11
	s_and_saveexec_b64 s[0:1], vcc
	s_cbranch_execz .LBB88_75
.LBB88_74:
	ds_read_u8 v11, v1 offset:2049
	ds_read_u8 v19, v4 offset:2048
	v_alignbit_b32 v18, v18, v18, 16
	ds_write_b32 v3, v18
	s_waitcnt lgkmcnt(2)
	ds_write_b8 v4, v11 offset:2048
	s_waitcnt lgkmcnt(2)
	ds_write_b8 v1, v19 offset:2049
.LBB88_75:
	s_or_b64 exec, exec, s[0:1]
	v_and_b32_e32 v11, 31, v0
	v_sub_u32_e32 v11, v2, v11
	v_lshl_add_u32 v19, v11, 1, 2
	v_add_u32_e32 v18, 2, v11
	s_waitcnt lgkmcnt(0)
	s_barrier
	v_add_u32_e32 v20, v18, v11
	ds_read_u16 v21, v19
	ds_read_u16 v22, v20 offset:64
	s_mov_b32 s6, 1
	s_waitcnt lgkmcnt(0)
	v_cmp_ge_i16_e64 s[0:1], v21, v22
	v_cmp_lt_i16_e32 vcc, v21, v22
	s_and_saveexec_b64 s[2:3], vcc
	s_cbranch_execz .LBB88_77
; %bb.76:
	ds_read_u8 v11, v18 offset:2048
	s_andn2_b64 s[0:1], s[0:1], exec
	s_waitcnt lgkmcnt(0)
	v_and_b32_e32 v11, 1, v11
	v_cmp_eq_u32_e32 vcc, 1, v11
	s_xor_b64 s[8:9], vcc, -1
	s_and_b64 s[8:9], s[8:9], exec
	s_or_b64 s[0:1], s[0:1], s[8:9]
.LBB88_77:
	s_or_b64 exec, exec, s[2:3]
	v_mov_b32_e32 v23, s6
	s_and_saveexec_b64 s[2:3], s[0:1]
	s_cbranch_execz .LBB88_79
; %bb.78:
	ds_read_u8 v11, v18 offset:2080
	s_waitcnt lgkmcnt(0)
	v_xor_b32_e32 v23, 1, v11
.LBB88_79:
	s_or_b64 exec, exec, s[2:3]
	v_bfe_u32 v11, v0, 5, 1
	v_cmp_eq_u32_e32 vcc, v23, v11
	s_and_saveexec_b64 s[0:1], vcc
	s_cbranch_execz .LBB88_81
; %bb.80:
	ds_read_u8 v23, v18 offset:2080
	ds_read_u8 v24, v18 offset:2048
	ds_write_b16 v19, v22
	ds_write_b16 v20, v21 offset:64
	s_waitcnt lgkmcnt(3)
	ds_write_b8 v18, v23 offset:2048
	s_waitcnt lgkmcnt(3)
	ds_write_b8 v18, v24 offset:2080
.LBB88_81:
	s_or_b64 exec, exec, s[0:1]
	s_waitcnt lgkmcnt(0)
	s_barrier
	ds_read_u16 v21, v16
	ds_read_u16 v22, v17 offset:32
                                        ; implicit-def: $sgpr6
	s_waitcnt lgkmcnt(0)
	v_cmp_ge_i16_e64 s[0:1], v21, v22
	v_cmp_lt_i16_e32 vcc, v21, v22
	s_and_saveexec_b64 s[2:3], vcc
	s_cbranch_execnz .LBB88_329
; %bb.82:
	s_or_b64 exec, exec, s[2:3]
	v_mov_b32_e32 v23, s6
	s_and_saveexec_b64 s[2:3], s[0:1]
	s_cbranch_execnz .LBB88_330
.LBB88_83:
	s_or_b64 exec, exec, s[2:3]
	v_cmp_eq_u32_e32 vcc, v23, v11
	s_and_saveexec_b64 s[0:1], vcc
	s_cbranch_execz .LBB88_85
.LBB88_84:
	ds_read_u8 v23, v15 offset:2064
	ds_read_u8 v24, v15 offset:2048
	ds_write_b16 v16, v22
	ds_write_b16 v17, v21 offset:32
	s_waitcnt lgkmcnt(3)
	ds_write_b8 v15, v23 offset:2048
	s_waitcnt lgkmcnt(3)
	ds_write_b8 v15, v24 offset:2064
.LBB88_85:
	s_or_b64 exec, exec, s[0:1]
	s_waitcnt lgkmcnt(0)
	s_barrier
	ds_read_u16 v21, v13
	ds_read_u16 v22, v14 offset:16
                                        ; implicit-def: $sgpr6
	s_waitcnt lgkmcnt(0)
	v_cmp_ge_i16_e64 s[0:1], v21, v22
	v_cmp_lt_i16_e32 vcc, v21, v22
	s_and_saveexec_b64 s[2:3], vcc
	s_cbranch_execnz .LBB88_331
; %bb.86:
	s_or_b64 exec, exec, s[2:3]
	v_mov_b32_e32 v23, s6
	s_and_saveexec_b64 s[2:3], s[0:1]
	s_cbranch_execnz .LBB88_332
.LBB88_87:
	s_or_b64 exec, exec, s[2:3]
	v_cmp_eq_u32_e32 vcc, v23, v11
	s_and_saveexec_b64 s[0:1], vcc
	s_cbranch_execz .LBB88_89
.LBB88_88:
	ds_read_u8 v23, v12 offset:2056
	ds_read_u8 v24, v12 offset:2048
	ds_write_b16 v13, v22
	ds_write_b16 v14, v21 offset:16
	s_waitcnt lgkmcnt(3)
	ds_write_b8 v12, v23 offset:2048
	s_waitcnt lgkmcnt(3)
	ds_write_b8 v12, v24 offset:2056
.LBB88_89:
	s_or_b64 exec, exec, s[0:1]
	s_waitcnt lgkmcnt(0)
	s_barrier
	ds_read_u16 v21, v9
	ds_read_u16 v22, v10 offset:8
                                        ; implicit-def: $sgpr6
	s_waitcnt lgkmcnt(0)
	v_cmp_ge_i16_e64 s[0:1], v21, v22
	v_cmp_lt_i16_e32 vcc, v21, v22
	s_and_saveexec_b64 s[2:3], vcc
	s_cbranch_execnz .LBB88_333
; %bb.90:
	s_or_b64 exec, exec, s[2:3]
	v_mov_b32_e32 v23, s6
	s_and_saveexec_b64 s[2:3], s[0:1]
	s_cbranch_execnz .LBB88_334
.LBB88_91:
	s_or_b64 exec, exec, s[2:3]
	v_cmp_eq_u32_e32 vcc, v23, v11
	s_and_saveexec_b64 s[0:1], vcc
	s_cbranch_execz .LBB88_93
.LBB88_92:
	ds_read_u8 v23, v8 offset:2052
	ds_read_u8 v24, v8 offset:2048
	ds_write_b16 v9, v22
	ds_write_b16 v10, v21 offset:8
	s_waitcnt lgkmcnt(3)
	ds_write_b8 v8, v23 offset:2048
	s_waitcnt lgkmcnt(3)
	ds_write_b8 v8, v24 offset:2052
.LBB88_93:
	s_or_b64 exec, exec, s[0:1]
	s_waitcnt lgkmcnt(0)
	s_barrier
	ds_read_u16 v21, v6
	ds_read_u16 v22, v7 offset:4
                                        ; implicit-def: $sgpr6
	s_waitcnt lgkmcnt(0)
	v_cmp_ge_i16_e64 s[0:1], v21, v22
	v_cmp_lt_i16_e32 vcc, v21, v22
	s_and_saveexec_b64 s[2:3], vcc
	s_cbranch_execnz .LBB88_335
; %bb.94:
	s_or_b64 exec, exec, s[2:3]
	v_mov_b32_e32 v23, s6
	s_and_saveexec_b64 s[2:3], s[0:1]
	s_cbranch_execnz .LBB88_336
.LBB88_95:
	s_or_b64 exec, exec, s[2:3]
	v_cmp_eq_u32_e32 vcc, v23, v11
	s_and_saveexec_b64 s[0:1], vcc
	s_cbranch_execz .LBB88_97
.LBB88_96:
	ds_read_u8 v23, v5 offset:2050
	ds_read_u8 v24, v5 offset:2048
	ds_write_b16 v6, v22
	ds_write_b16 v7, v21 offset:4
	s_waitcnt lgkmcnt(3)
	ds_write_b8 v5, v23 offset:2048
	s_waitcnt lgkmcnt(3)
	ds_write_b8 v5, v24 offset:2050
.LBB88_97:
	s_or_b64 exec, exec, s[0:1]
	s_waitcnt lgkmcnt(0)
	s_barrier
	ds_read_b32 v21, v3
                                        ; implicit-def: $sgpr6
	s_waitcnt lgkmcnt(0)
	v_cmp_ge_i16_sdwa s[0:1], v21, v21 src0_sel:DWORD src1_sel:WORD_1
	v_cmp_lt_i16_sdwa s[8:9], v21, v21 src0_sel:DWORD src1_sel:WORD_1
	s_and_saveexec_b64 s[2:3], s[8:9]
	s_cbranch_execnz .LBB88_337
; %bb.98:
	s_or_b64 exec, exec, s[2:3]
	v_mov_b32_e32 v22, s6
	s_and_saveexec_b64 s[2:3], s[0:1]
	s_cbranch_execnz .LBB88_338
.LBB88_99:
	s_or_b64 exec, exec, s[2:3]
	v_cmp_eq_u32_e32 vcc, v22, v11
	s_and_saveexec_b64 s[0:1], vcc
	s_cbranch_execz .LBB88_101
.LBB88_100:
	ds_read_u8 v11, v1 offset:2049
	ds_read_u8 v22, v4 offset:2048
	v_alignbit_b32 v21, v21, v21, 16
	ds_write_b32 v3, v21
	s_waitcnt lgkmcnt(2)
	ds_write_b8 v4, v11 offset:2048
	s_waitcnt lgkmcnt(2)
	ds_write_b8 v1, v22 offset:2049
.LBB88_101:
	s_or_b64 exec, exec, s[0:1]
	v_and_b32_e32 v11, 63, v0
	v_sub_u32_e32 v23, v2, v11
	v_lshl_add_u32 v22, v23, 1, 2
	v_add_u32_e32 v21, 2, v23
	s_waitcnt lgkmcnt(0)
	s_barrier
	v_add_u32_e32 v23, v21, v23
	ds_read_u16 v25, v22
	ds_read_u16 v26, v23 offset:128
	s_mov_b32 s6, 1
	s_waitcnt lgkmcnt(0)
	v_cmp_ge_i16_e64 s[0:1], v25, v26
	v_cmp_lt_i16_e32 vcc, v25, v26
	s_and_saveexec_b64 s[2:3], vcc
	s_cbranch_execz .LBB88_103
; %bb.102:
	ds_read_u8 v24, v21 offset:2048
	s_andn2_b64 s[0:1], s[0:1], exec
	s_waitcnt lgkmcnt(0)
	v_and_b32_e32 v24, 1, v24
	v_cmp_eq_u32_e32 vcc, 1, v24
	s_xor_b64 s[8:9], vcc, -1
	s_and_b64 s[8:9], s[8:9], exec
	s_or_b64 s[0:1], s[0:1], s[8:9]
.LBB88_103:
	s_or_b64 exec, exec, s[2:3]
	v_mov_b32_e32 v27, s6
	s_and_saveexec_b64 s[2:3], s[0:1]
	s_cbranch_execz .LBB88_105
; %bb.104:
	ds_read_u8 v24, v21 offset:2112
	s_waitcnt lgkmcnt(0)
	v_xor_b32_e32 v27, 1, v24
.LBB88_105:
	s_or_b64 exec, exec, s[2:3]
	v_bfe_u32 v24, v0, 6, 1
	v_cmp_eq_u32_e32 vcc, v27, v24
	s_and_saveexec_b64 s[0:1], vcc
	s_cbranch_execz .LBB88_107
; %bb.106:
	ds_read_u8 v27, v21 offset:2112
	ds_read_u8 v28, v21 offset:2048
	ds_write_b16 v22, v26
	ds_write_b16 v23, v25 offset:128
	s_waitcnt lgkmcnt(3)
	ds_write_b8 v21, v27 offset:2048
	s_waitcnt lgkmcnt(3)
	ds_write_b8 v21, v28 offset:2112
.LBB88_107:
	s_or_b64 exec, exec, s[0:1]
	s_waitcnt lgkmcnt(0)
	s_barrier
	ds_read_u16 v25, v19
	ds_read_u16 v26, v20 offset:64
                                        ; implicit-def: $sgpr6
	s_waitcnt lgkmcnt(0)
	v_cmp_ge_i16_e64 s[0:1], v25, v26
	v_cmp_lt_i16_e32 vcc, v25, v26
	s_and_saveexec_b64 s[2:3], vcc
	s_cbranch_execnz .LBB88_339
; %bb.108:
	s_or_b64 exec, exec, s[2:3]
	v_mov_b32_e32 v27, s6
	s_and_saveexec_b64 s[2:3], s[0:1]
	s_cbranch_execnz .LBB88_340
.LBB88_109:
	s_or_b64 exec, exec, s[2:3]
	v_cmp_eq_u32_e32 vcc, v27, v24
	s_and_saveexec_b64 s[0:1], vcc
	s_cbranch_execz .LBB88_111
.LBB88_110:
	ds_read_u8 v27, v18 offset:2080
	ds_read_u8 v28, v18 offset:2048
	ds_write_b16 v19, v26
	ds_write_b16 v20, v25 offset:64
	s_waitcnt lgkmcnt(3)
	ds_write_b8 v18, v27 offset:2048
	s_waitcnt lgkmcnt(3)
	ds_write_b8 v18, v28 offset:2080
.LBB88_111:
	s_or_b64 exec, exec, s[0:1]
	s_waitcnt lgkmcnt(0)
	s_barrier
	ds_read_u16 v25, v16
	ds_read_u16 v26, v17 offset:32
                                        ; implicit-def: $sgpr6
	s_waitcnt lgkmcnt(0)
	v_cmp_ge_i16_e64 s[0:1], v25, v26
	v_cmp_lt_i16_e32 vcc, v25, v26
	s_and_saveexec_b64 s[2:3], vcc
	s_cbranch_execnz .LBB88_341
; %bb.112:
	s_or_b64 exec, exec, s[2:3]
	v_mov_b32_e32 v27, s6
	s_and_saveexec_b64 s[2:3], s[0:1]
	s_cbranch_execnz .LBB88_342
.LBB88_113:
	s_or_b64 exec, exec, s[2:3]
	v_cmp_eq_u32_e32 vcc, v27, v24
	s_and_saveexec_b64 s[0:1], vcc
	s_cbranch_execz .LBB88_115
.LBB88_114:
	ds_read_u8 v27, v15 offset:2064
	ds_read_u8 v28, v15 offset:2048
	ds_write_b16 v16, v26
	ds_write_b16 v17, v25 offset:32
	s_waitcnt lgkmcnt(3)
	ds_write_b8 v15, v27 offset:2048
	s_waitcnt lgkmcnt(3)
	ds_write_b8 v15, v28 offset:2064
.LBB88_115:
	s_or_b64 exec, exec, s[0:1]
	s_waitcnt lgkmcnt(0)
	s_barrier
	ds_read_u16 v25, v13
	ds_read_u16 v26, v14 offset:16
                                        ; implicit-def: $sgpr6
	s_waitcnt lgkmcnt(0)
	v_cmp_ge_i16_e64 s[0:1], v25, v26
	v_cmp_lt_i16_e32 vcc, v25, v26
	s_and_saveexec_b64 s[2:3], vcc
	s_cbranch_execnz .LBB88_343
; %bb.116:
	s_or_b64 exec, exec, s[2:3]
	v_mov_b32_e32 v27, s6
	s_and_saveexec_b64 s[2:3], s[0:1]
	s_cbranch_execnz .LBB88_344
.LBB88_117:
	s_or_b64 exec, exec, s[2:3]
	v_cmp_eq_u32_e32 vcc, v27, v24
	s_and_saveexec_b64 s[0:1], vcc
	s_cbranch_execz .LBB88_119
.LBB88_118:
	ds_read_u8 v27, v12 offset:2056
	ds_read_u8 v28, v12 offset:2048
	ds_write_b16 v13, v26
	ds_write_b16 v14, v25 offset:16
	s_waitcnt lgkmcnt(3)
	ds_write_b8 v12, v27 offset:2048
	s_waitcnt lgkmcnt(3)
	ds_write_b8 v12, v28 offset:2056
.LBB88_119:
	s_or_b64 exec, exec, s[0:1]
	s_waitcnt lgkmcnt(0)
	s_barrier
	ds_read_u16 v25, v9
	ds_read_u16 v26, v10 offset:8
                                        ; implicit-def: $sgpr6
	s_waitcnt lgkmcnt(0)
	v_cmp_ge_i16_e64 s[0:1], v25, v26
	v_cmp_lt_i16_e32 vcc, v25, v26
	s_and_saveexec_b64 s[2:3], vcc
	s_cbranch_execnz .LBB88_345
; %bb.120:
	s_or_b64 exec, exec, s[2:3]
	v_mov_b32_e32 v27, s6
	s_and_saveexec_b64 s[2:3], s[0:1]
	s_cbranch_execnz .LBB88_346
.LBB88_121:
	s_or_b64 exec, exec, s[2:3]
	v_cmp_eq_u32_e32 vcc, v27, v24
	s_and_saveexec_b64 s[0:1], vcc
	s_cbranch_execz .LBB88_123
.LBB88_122:
	ds_read_u8 v27, v8 offset:2052
	ds_read_u8 v28, v8 offset:2048
	ds_write_b16 v9, v26
	ds_write_b16 v10, v25 offset:8
	s_waitcnt lgkmcnt(3)
	ds_write_b8 v8, v27 offset:2048
	s_waitcnt lgkmcnt(3)
	ds_write_b8 v8, v28 offset:2052
.LBB88_123:
	s_or_b64 exec, exec, s[0:1]
	s_waitcnt lgkmcnt(0)
	s_barrier
	ds_read_u16 v25, v6
	ds_read_u16 v26, v7 offset:4
                                        ; implicit-def: $sgpr6
	s_waitcnt lgkmcnt(0)
	v_cmp_ge_i16_e64 s[0:1], v25, v26
	v_cmp_lt_i16_e32 vcc, v25, v26
	s_and_saveexec_b64 s[2:3], vcc
	s_cbranch_execnz .LBB88_347
; %bb.124:
	s_or_b64 exec, exec, s[2:3]
	v_mov_b32_e32 v27, s6
	s_and_saveexec_b64 s[2:3], s[0:1]
	s_cbranch_execnz .LBB88_348
.LBB88_125:
	s_or_b64 exec, exec, s[2:3]
	v_cmp_eq_u32_e32 vcc, v27, v24
	s_and_saveexec_b64 s[0:1], vcc
	s_cbranch_execz .LBB88_127
.LBB88_126:
	ds_read_u8 v27, v5 offset:2050
	ds_read_u8 v28, v5 offset:2048
	ds_write_b16 v6, v26
	ds_write_b16 v7, v25 offset:4
	s_waitcnt lgkmcnt(3)
	ds_write_b8 v5, v27 offset:2048
	s_waitcnt lgkmcnt(3)
	ds_write_b8 v5, v28 offset:2050
.LBB88_127:
	s_or_b64 exec, exec, s[0:1]
	s_waitcnt lgkmcnt(0)
	s_barrier
	ds_read_b32 v25, v3
                                        ; implicit-def: $sgpr6
	s_waitcnt lgkmcnt(0)
	v_cmp_ge_i16_sdwa s[0:1], v25, v25 src0_sel:DWORD src1_sel:WORD_1
	v_cmp_lt_i16_sdwa s[8:9], v25, v25 src0_sel:DWORD src1_sel:WORD_1
	s_and_saveexec_b64 s[2:3], s[8:9]
	s_cbranch_execnz .LBB88_349
; %bb.128:
	s_or_b64 exec, exec, s[2:3]
	v_mov_b32_e32 v26, s6
	s_and_saveexec_b64 s[2:3], s[0:1]
	s_cbranch_execnz .LBB88_350
.LBB88_129:
	s_or_b64 exec, exec, s[2:3]
	v_cmp_eq_u32_e32 vcc, v26, v24
	s_and_saveexec_b64 s[0:1], vcc
	s_cbranch_execz .LBB88_131
.LBB88_130:
	ds_read_u8 v24, v1 offset:2049
	ds_read_u8 v26, v4 offset:2048
	v_alignbit_b32 v25, v25, v25, 16
	ds_write_b32 v3, v25
	s_waitcnt lgkmcnt(2)
	ds_write_b8 v4, v24 offset:2048
	s_waitcnt lgkmcnt(2)
	ds_write_b8 v1, v26 offset:2049
.LBB88_131:
	s_or_b64 exec, exec, s[0:1]
	v_and_b32_e32 v24, 0x7f, v0
	v_sub_u32_e32 v26, v2, v24
	v_lshl_add_u32 v25, v26, 1, 2
	v_add_u32_e32 v24, 2, v26
	s_waitcnt lgkmcnt(0)
	s_barrier
	v_add_u32_e32 v26, v24, v26
	ds_read_u16 v28, v25
	ds_read_u16 v29, v26 offset:256
	s_mov_b32 s6, 1
	s_waitcnt lgkmcnt(0)
	v_cmp_ge_i16_e64 s[0:1], v28, v29
	v_cmp_lt_i16_e32 vcc, v28, v29
	s_and_saveexec_b64 s[2:3], vcc
	s_cbranch_execz .LBB88_133
; %bb.132:
	ds_read_u8 v27, v24 offset:2048
	s_andn2_b64 s[0:1], s[0:1], exec
	s_waitcnt lgkmcnt(0)
	v_and_b32_e32 v27, 1, v27
	v_cmp_eq_u32_e32 vcc, 1, v27
	s_xor_b64 s[8:9], vcc, -1
	s_and_b64 s[8:9], s[8:9], exec
	s_or_b64 s[0:1], s[0:1], s[8:9]
.LBB88_133:
	s_or_b64 exec, exec, s[2:3]
	v_mov_b32_e32 v30, s6
	s_and_saveexec_b64 s[2:3], s[0:1]
	s_cbranch_execz .LBB88_135
; %bb.134:
	ds_read_u8 v27, v24 offset:2176
	s_waitcnt lgkmcnt(0)
	v_xor_b32_e32 v30, 1, v27
.LBB88_135:
	s_or_b64 exec, exec, s[2:3]
	v_bfe_u32 v27, v0, 7, 1
	v_cmp_eq_u32_e32 vcc, v30, v27
	s_and_saveexec_b64 s[0:1], vcc
	s_cbranch_execz .LBB88_137
; %bb.136:
	ds_read_u8 v30, v24 offset:2176
	ds_read_u8 v31, v24 offset:2048
	ds_write_b16 v25, v29
	ds_write_b16 v26, v28 offset:256
	s_waitcnt lgkmcnt(3)
	ds_write_b8 v24, v30 offset:2048
	s_waitcnt lgkmcnt(3)
	ds_write_b8 v24, v31 offset:2176
.LBB88_137:
	s_or_b64 exec, exec, s[0:1]
	s_waitcnt lgkmcnt(0)
	s_barrier
	ds_read_u16 v28, v22
	ds_read_u16 v29, v23 offset:128
                                        ; implicit-def: $sgpr6
	s_waitcnt lgkmcnt(0)
	v_cmp_ge_i16_e64 s[0:1], v28, v29
	v_cmp_lt_i16_e32 vcc, v28, v29
	s_and_saveexec_b64 s[2:3], vcc
	s_cbranch_execnz .LBB88_351
; %bb.138:
	s_or_b64 exec, exec, s[2:3]
	v_mov_b32_e32 v30, s6
	s_and_saveexec_b64 s[2:3], s[0:1]
	s_cbranch_execnz .LBB88_352
.LBB88_139:
	s_or_b64 exec, exec, s[2:3]
	v_cmp_eq_u32_e32 vcc, v30, v27
	s_and_saveexec_b64 s[0:1], vcc
	s_cbranch_execz .LBB88_141
.LBB88_140:
	ds_read_u8 v30, v21 offset:2112
	ds_read_u8 v31, v21 offset:2048
	ds_write_b16 v22, v29
	ds_write_b16 v23, v28 offset:128
	s_waitcnt lgkmcnt(3)
	ds_write_b8 v21, v30 offset:2048
	s_waitcnt lgkmcnt(3)
	ds_write_b8 v21, v31 offset:2112
.LBB88_141:
	s_or_b64 exec, exec, s[0:1]
	s_waitcnt lgkmcnt(0)
	s_barrier
	ds_read_u16 v28, v19
	ds_read_u16 v29, v20 offset:64
                                        ; implicit-def: $sgpr6
	s_waitcnt lgkmcnt(0)
	v_cmp_ge_i16_e64 s[0:1], v28, v29
	v_cmp_lt_i16_e32 vcc, v28, v29
	s_and_saveexec_b64 s[2:3], vcc
	s_cbranch_execnz .LBB88_353
; %bb.142:
	s_or_b64 exec, exec, s[2:3]
	v_mov_b32_e32 v30, s6
	s_and_saveexec_b64 s[2:3], s[0:1]
	s_cbranch_execnz .LBB88_354
.LBB88_143:
	s_or_b64 exec, exec, s[2:3]
	v_cmp_eq_u32_e32 vcc, v30, v27
	s_and_saveexec_b64 s[0:1], vcc
	s_cbranch_execz .LBB88_145
.LBB88_144:
	ds_read_u8 v30, v18 offset:2080
	ds_read_u8 v31, v18 offset:2048
	ds_write_b16 v19, v29
	ds_write_b16 v20, v28 offset:64
	s_waitcnt lgkmcnt(3)
	ds_write_b8 v18, v30 offset:2048
	s_waitcnt lgkmcnt(3)
	ds_write_b8 v18, v31 offset:2080
.LBB88_145:
	s_or_b64 exec, exec, s[0:1]
	s_waitcnt lgkmcnt(0)
	s_barrier
	ds_read_u16 v28, v16
	ds_read_u16 v29, v17 offset:32
                                        ; implicit-def: $sgpr6
	s_waitcnt lgkmcnt(0)
	v_cmp_ge_i16_e64 s[0:1], v28, v29
	v_cmp_lt_i16_e32 vcc, v28, v29
	s_and_saveexec_b64 s[2:3], vcc
	s_cbranch_execnz .LBB88_355
; %bb.146:
	s_or_b64 exec, exec, s[2:3]
	v_mov_b32_e32 v30, s6
	s_and_saveexec_b64 s[2:3], s[0:1]
	s_cbranch_execnz .LBB88_356
.LBB88_147:
	s_or_b64 exec, exec, s[2:3]
	v_cmp_eq_u32_e32 vcc, v30, v27
	s_and_saveexec_b64 s[0:1], vcc
	s_cbranch_execz .LBB88_149
.LBB88_148:
	ds_read_u8 v30, v15 offset:2064
	ds_read_u8 v31, v15 offset:2048
	ds_write_b16 v16, v29
	ds_write_b16 v17, v28 offset:32
	s_waitcnt lgkmcnt(3)
	ds_write_b8 v15, v30 offset:2048
	s_waitcnt lgkmcnt(3)
	ds_write_b8 v15, v31 offset:2064
.LBB88_149:
	s_or_b64 exec, exec, s[0:1]
	s_waitcnt lgkmcnt(0)
	s_barrier
	ds_read_u16 v28, v13
	ds_read_u16 v29, v14 offset:16
                                        ; implicit-def: $sgpr6
	s_waitcnt lgkmcnt(0)
	v_cmp_ge_i16_e64 s[0:1], v28, v29
	v_cmp_lt_i16_e32 vcc, v28, v29
	s_and_saveexec_b64 s[2:3], vcc
	s_cbranch_execnz .LBB88_357
; %bb.150:
	s_or_b64 exec, exec, s[2:3]
	v_mov_b32_e32 v30, s6
	s_and_saveexec_b64 s[2:3], s[0:1]
	s_cbranch_execnz .LBB88_358
.LBB88_151:
	s_or_b64 exec, exec, s[2:3]
	v_cmp_eq_u32_e32 vcc, v30, v27
	s_and_saveexec_b64 s[0:1], vcc
	s_cbranch_execz .LBB88_153
.LBB88_152:
	ds_read_u8 v30, v12 offset:2056
	ds_read_u8 v31, v12 offset:2048
	ds_write_b16 v13, v29
	ds_write_b16 v14, v28 offset:16
	s_waitcnt lgkmcnt(3)
	ds_write_b8 v12, v30 offset:2048
	s_waitcnt lgkmcnt(3)
	ds_write_b8 v12, v31 offset:2056
.LBB88_153:
	s_or_b64 exec, exec, s[0:1]
	s_waitcnt lgkmcnt(0)
	s_barrier
	ds_read_u16 v28, v9
	ds_read_u16 v29, v10 offset:8
                                        ; implicit-def: $sgpr6
	s_waitcnt lgkmcnt(0)
	v_cmp_ge_i16_e64 s[0:1], v28, v29
	v_cmp_lt_i16_e32 vcc, v28, v29
	s_and_saveexec_b64 s[2:3], vcc
	s_cbranch_execnz .LBB88_359
; %bb.154:
	s_or_b64 exec, exec, s[2:3]
	v_mov_b32_e32 v30, s6
	s_and_saveexec_b64 s[2:3], s[0:1]
	s_cbranch_execnz .LBB88_360
.LBB88_155:
	s_or_b64 exec, exec, s[2:3]
	v_cmp_eq_u32_e32 vcc, v30, v27
	s_and_saveexec_b64 s[0:1], vcc
	s_cbranch_execz .LBB88_157
.LBB88_156:
	ds_read_u8 v30, v8 offset:2052
	ds_read_u8 v31, v8 offset:2048
	ds_write_b16 v9, v29
	ds_write_b16 v10, v28 offset:8
	s_waitcnt lgkmcnt(3)
	ds_write_b8 v8, v30 offset:2048
	s_waitcnt lgkmcnt(3)
	ds_write_b8 v8, v31 offset:2052
.LBB88_157:
	s_or_b64 exec, exec, s[0:1]
	s_waitcnt lgkmcnt(0)
	s_barrier
	ds_read_u16 v28, v6
	ds_read_u16 v29, v7 offset:4
                                        ; implicit-def: $sgpr6
	s_waitcnt lgkmcnt(0)
	v_cmp_ge_i16_e64 s[0:1], v28, v29
	v_cmp_lt_i16_e32 vcc, v28, v29
	s_and_saveexec_b64 s[2:3], vcc
	s_cbranch_execnz .LBB88_361
; %bb.158:
	s_or_b64 exec, exec, s[2:3]
	v_mov_b32_e32 v30, s6
	s_and_saveexec_b64 s[2:3], s[0:1]
	s_cbranch_execnz .LBB88_362
.LBB88_159:
	s_or_b64 exec, exec, s[2:3]
	v_cmp_eq_u32_e32 vcc, v30, v27
	s_and_saveexec_b64 s[0:1], vcc
	s_cbranch_execz .LBB88_161
.LBB88_160:
	ds_read_u8 v30, v5 offset:2050
	ds_read_u8 v31, v5 offset:2048
	ds_write_b16 v6, v29
	ds_write_b16 v7, v28 offset:4
	s_waitcnt lgkmcnt(3)
	ds_write_b8 v5, v30 offset:2048
	s_waitcnt lgkmcnt(3)
	ds_write_b8 v5, v31 offset:2050
.LBB88_161:
	s_or_b64 exec, exec, s[0:1]
	s_waitcnt lgkmcnt(0)
	s_barrier
	ds_read_b32 v28, v3
                                        ; implicit-def: $sgpr6
	s_waitcnt lgkmcnt(0)
	v_cmp_ge_i16_sdwa s[0:1], v28, v28 src0_sel:DWORD src1_sel:WORD_1
	v_cmp_lt_i16_sdwa s[8:9], v28, v28 src0_sel:DWORD src1_sel:WORD_1
	s_and_saveexec_b64 s[2:3], s[8:9]
	s_cbranch_execnz .LBB88_363
; %bb.162:
	s_or_b64 exec, exec, s[2:3]
	v_mov_b32_e32 v29, s6
	s_and_saveexec_b64 s[2:3], s[0:1]
	s_cbranch_execnz .LBB88_364
.LBB88_163:
	s_or_b64 exec, exec, s[2:3]
	v_cmp_eq_u32_e32 vcc, v29, v27
	s_and_saveexec_b64 s[0:1], vcc
	s_cbranch_execz .LBB88_165
.LBB88_164:
	ds_read_u8 v27, v1 offset:2049
	ds_read_u8 v29, v4 offset:2048
	v_alignbit_b32 v28, v28, v28, 16
	ds_write_b32 v3, v28
	s_waitcnt lgkmcnt(2)
	ds_write_b8 v4, v27 offset:2048
	s_waitcnt lgkmcnt(2)
	ds_write_b8 v1, v29 offset:2049
.LBB88_165:
	s_or_b64 exec, exec, s[0:1]
	v_sub_u32_sdwa v29, v2, v0 dst_sel:DWORD dst_unused:UNUSED_PAD src0_sel:DWORD src1_sel:BYTE_0
	v_lshl_add_u32 v28, v29, 1, 2
	v_add_u32_e32 v27, 2, v29
	s_waitcnt lgkmcnt(0)
	s_barrier
	v_add_u32_e32 v29, v27, v29
	ds_read_u16 v31, v28
	ds_read_u16 v32, v29 offset:512
	s_mov_b32 s6, 1
	s_waitcnt lgkmcnt(0)
	v_cmp_ge_i16_e64 s[0:1], v31, v32
	v_cmp_lt_i16_e32 vcc, v31, v32
	s_and_saveexec_b64 s[2:3], vcc
	s_cbranch_execz .LBB88_167
; %bb.166:
	ds_read_u8 v30, v27 offset:2048
	s_andn2_b64 s[0:1], s[0:1], exec
	s_waitcnt lgkmcnt(0)
	v_and_b32_e32 v30, 1, v30
	v_cmp_eq_u32_e32 vcc, 1, v30
	s_xor_b64 s[8:9], vcc, -1
	s_and_b64 s[8:9], s[8:9], exec
	s_or_b64 s[0:1], s[0:1], s[8:9]
.LBB88_167:
	s_or_b64 exec, exec, s[2:3]
	v_mov_b32_e32 v33, s6
	s_and_saveexec_b64 s[2:3], s[0:1]
	s_cbranch_execz .LBB88_169
; %bb.168:
	ds_read_u8 v30, v27 offset:2304
	s_waitcnt lgkmcnt(0)
	v_xor_b32_e32 v33, 1, v30
.LBB88_169:
	s_or_b64 exec, exec, s[2:3]
	v_bfe_u32 v30, v0, 8, 1
	v_cmp_eq_u32_e32 vcc, v33, v30
	s_and_saveexec_b64 s[0:1], vcc
	s_cbranch_execz .LBB88_171
; %bb.170:
	ds_read_u8 v33, v27 offset:2304
	ds_read_u8 v34, v27 offset:2048
	ds_write_b16 v28, v32
	ds_write_b16 v29, v31 offset:512
	s_waitcnt lgkmcnt(3)
	ds_write_b8 v27, v33 offset:2048
	s_waitcnt lgkmcnt(3)
	ds_write_b8 v27, v34 offset:2304
.LBB88_171:
	s_or_b64 exec, exec, s[0:1]
	s_waitcnt lgkmcnt(0)
	s_barrier
	ds_read_u16 v31, v25
	ds_read_u16 v32, v26 offset:256
                                        ; implicit-def: $sgpr6
	s_waitcnt lgkmcnt(0)
	v_cmp_ge_i16_e64 s[0:1], v31, v32
	v_cmp_lt_i16_e32 vcc, v31, v32
	s_and_saveexec_b64 s[2:3], vcc
	s_cbranch_execnz .LBB88_365
; %bb.172:
	s_or_b64 exec, exec, s[2:3]
	v_mov_b32_e32 v33, s6
	s_and_saveexec_b64 s[2:3], s[0:1]
	s_cbranch_execnz .LBB88_366
.LBB88_173:
	s_or_b64 exec, exec, s[2:3]
	v_cmp_eq_u32_e32 vcc, v33, v30
	s_and_saveexec_b64 s[0:1], vcc
	s_cbranch_execz .LBB88_175
.LBB88_174:
	ds_read_u8 v33, v24 offset:2176
	ds_read_u8 v34, v24 offset:2048
	ds_write_b16 v25, v32
	ds_write_b16 v26, v31 offset:256
	s_waitcnt lgkmcnt(3)
	ds_write_b8 v24, v33 offset:2048
	s_waitcnt lgkmcnt(3)
	ds_write_b8 v24, v34 offset:2176
.LBB88_175:
	s_or_b64 exec, exec, s[0:1]
	s_waitcnt lgkmcnt(0)
	s_barrier
	ds_read_u16 v31, v22
	ds_read_u16 v32, v23 offset:128
                                        ; implicit-def: $sgpr6
	s_waitcnt lgkmcnt(0)
	v_cmp_ge_i16_e64 s[0:1], v31, v32
	v_cmp_lt_i16_e32 vcc, v31, v32
	s_and_saveexec_b64 s[2:3], vcc
	s_cbranch_execnz .LBB88_367
; %bb.176:
	s_or_b64 exec, exec, s[2:3]
	v_mov_b32_e32 v33, s6
	s_and_saveexec_b64 s[2:3], s[0:1]
	s_cbranch_execnz .LBB88_368
.LBB88_177:
	s_or_b64 exec, exec, s[2:3]
	v_cmp_eq_u32_e32 vcc, v33, v30
	s_and_saveexec_b64 s[0:1], vcc
	s_cbranch_execz .LBB88_179
.LBB88_178:
	ds_read_u8 v33, v21 offset:2112
	ds_read_u8 v34, v21 offset:2048
	ds_write_b16 v22, v32
	ds_write_b16 v23, v31 offset:128
	s_waitcnt lgkmcnt(3)
	ds_write_b8 v21, v33 offset:2048
	s_waitcnt lgkmcnt(3)
	ds_write_b8 v21, v34 offset:2112
.LBB88_179:
	s_or_b64 exec, exec, s[0:1]
	s_waitcnt lgkmcnt(0)
	s_barrier
	ds_read_u16 v31, v19
	ds_read_u16 v32, v20 offset:64
                                        ; implicit-def: $sgpr6
	s_waitcnt lgkmcnt(0)
	v_cmp_ge_i16_e64 s[0:1], v31, v32
	v_cmp_lt_i16_e32 vcc, v31, v32
	s_and_saveexec_b64 s[2:3], vcc
	s_cbranch_execnz .LBB88_369
; %bb.180:
	s_or_b64 exec, exec, s[2:3]
	v_mov_b32_e32 v33, s6
	s_and_saveexec_b64 s[2:3], s[0:1]
	s_cbranch_execnz .LBB88_370
.LBB88_181:
	s_or_b64 exec, exec, s[2:3]
	v_cmp_eq_u32_e32 vcc, v33, v30
	s_and_saveexec_b64 s[0:1], vcc
	s_cbranch_execz .LBB88_183
.LBB88_182:
	ds_read_u8 v33, v18 offset:2080
	ds_read_u8 v34, v18 offset:2048
	ds_write_b16 v19, v32
	ds_write_b16 v20, v31 offset:64
	s_waitcnt lgkmcnt(3)
	ds_write_b8 v18, v33 offset:2048
	s_waitcnt lgkmcnt(3)
	ds_write_b8 v18, v34 offset:2080
.LBB88_183:
	s_or_b64 exec, exec, s[0:1]
	s_waitcnt lgkmcnt(0)
	s_barrier
	ds_read_u16 v31, v16
	ds_read_u16 v32, v17 offset:32
                                        ; implicit-def: $sgpr6
	s_waitcnt lgkmcnt(0)
	v_cmp_ge_i16_e64 s[0:1], v31, v32
	v_cmp_lt_i16_e32 vcc, v31, v32
	s_and_saveexec_b64 s[2:3], vcc
	s_cbranch_execnz .LBB88_371
; %bb.184:
	s_or_b64 exec, exec, s[2:3]
	v_mov_b32_e32 v33, s6
	s_and_saveexec_b64 s[2:3], s[0:1]
	s_cbranch_execnz .LBB88_372
.LBB88_185:
	s_or_b64 exec, exec, s[2:3]
	v_cmp_eq_u32_e32 vcc, v33, v30
	s_and_saveexec_b64 s[0:1], vcc
	s_cbranch_execz .LBB88_187
.LBB88_186:
	ds_read_u8 v33, v15 offset:2064
	ds_read_u8 v34, v15 offset:2048
	ds_write_b16 v16, v32
	ds_write_b16 v17, v31 offset:32
	s_waitcnt lgkmcnt(3)
	ds_write_b8 v15, v33 offset:2048
	s_waitcnt lgkmcnt(3)
	ds_write_b8 v15, v34 offset:2064
.LBB88_187:
	s_or_b64 exec, exec, s[0:1]
	s_waitcnt lgkmcnt(0)
	s_barrier
	ds_read_u16 v31, v13
	ds_read_u16 v32, v14 offset:16
                                        ; implicit-def: $sgpr6
	s_waitcnt lgkmcnt(0)
	v_cmp_ge_i16_e64 s[0:1], v31, v32
	v_cmp_lt_i16_e32 vcc, v31, v32
	s_and_saveexec_b64 s[2:3], vcc
	s_cbranch_execnz .LBB88_373
; %bb.188:
	s_or_b64 exec, exec, s[2:3]
	v_mov_b32_e32 v33, s6
	s_and_saveexec_b64 s[2:3], s[0:1]
	s_cbranch_execnz .LBB88_374
.LBB88_189:
	s_or_b64 exec, exec, s[2:3]
	v_cmp_eq_u32_e32 vcc, v33, v30
	s_and_saveexec_b64 s[0:1], vcc
	s_cbranch_execz .LBB88_191
.LBB88_190:
	ds_read_u8 v33, v12 offset:2056
	ds_read_u8 v34, v12 offset:2048
	ds_write_b16 v13, v32
	ds_write_b16 v14, v31 offset:16
	s_waitcnt lgkmcnt(3)
	ds_write_b8 v12, v33 offset:2048
	s_waitcnt lgkmcnt(3)
	ds_write_b8 v12, v34 offset:2056
.LBB88_191:
	s_or_b64 exec, exec, s[0:1]
	s_waitcnt lgkmcnt(0)
	s_barrier
	ds_read_u16 v31, v9
	ds_read_u16 v32, v10 offset:8
                                        ; implicit-def: $sgpr6
	s_waitcnt lgkmcnt(0)
	v_cmp_ge_i16_e64 s[0:1], v31, v32
	v_cmp_lt_i16_e32 vcc, v31, v32
	s_and_saveexec_b64 s[2:3], vcc
	s_cbranch_execnz .LBB88_375
; %bb.192:
	s_or_b64 exec, exec, s[2:3]
	v_mov_b32_e32 v33, s6
	s_and_saveexec_b64 s[2:3], s[0:1]
	s_cbranch_execnz .LBB88_376
.LBB88_193:
	s_or_b64 exec, exec, s[2:3]
	v_cmp_eq_u32_e32 vcc, v33, v30
	s_and_saveexec_b64 s[0:1], vcc
	s_cbranch_execz .LBB88_195
.LBB88_194:
	ds_read_u8 v33, v8 offset:2052
	ds_read_u8 v34, v8 offset:2048
	ds_write_b16 v9, v32
	ds_write_b16 v10, v31 offset:8
	s_waitcnt lgkmcnt(3)
	ds_write_b8 v8, v33 offset:2048
	s_waitcnt lgkmcnt(3)
	ds_write_b8 v8, v34 offset:2052
.LBB88_195:
	s_or_b64 exec, exec, s[0:1]
	s_waitcnt lgkmcnt(0)
	s_barrier
	ds_read_u16 v31, v6
	ds_read_u16 v32, v7 offset:4
                                        ; implicit-def: $sgpr6
	s_waitcnt lgkmcnt(0)
	v_cmp_ge_i16_e64 s[0:1], v31, v32
	v_cmp_lt_i16_e32 vcc, v31, v32
	s_and_saveexec_b64 s[2:3], vcc
	s_cbranch_execnz .LBB88_377
; %bb.196:
	s_or_b64 exec, exec, s[2:3]
	v_mov_b32_e32 v33, s6
	s_and_saveexec_b64 s[2:3], s[0:1]
	s_cbranch_execnz .LBB88_378
.LBB88_197:
	s_or_b64 exec, exec, s[2:3]
	v_cmp_eq_u32_e32 vcc, v33, v30
	s_and_saveexec_b64 s[0:1], vcc
	s_cbranch_execz .LBB88_199
.LBB88_198:
	ds_read_u8 v33, v5 offset:2050
	ds_read_u8 v34, v5 offset:2048
	ds_write_b16 v6, v32
	ds_write_b16 v7, v31 offset:4
	s_waitcnt lgkmcnt(3)
	ds_write_b8 v5, v33 offset:2048
	s_waitcnt lgkmcnt(3)
	ds_write_b8 v5, v34 offset:2050
.LBB88_199:
	s_or_b64 exec, exec, s[0:1]
	s_waitcnt lgkmcnt(0)
	s_barrier
	ds_read_b32 v31, v3
                                        ; implicit-def: $sgpr6
	s_waitcnt lgkmcnt(0)
	v_cmp_ge_i16_sdwa s[0:1], v31, v31 src0_sel:DWORD src1_sel:WORD_1
	v_cmp_lt_i16_sdwa s[8:9], v31, v31 src0_sel:DWORD src1_sel:WORD_1
	s_and_saveexec_b64 s[2:3], s[8:9]
	s_cbranch_execnz .LBB88_379
; %bb.200:
	s_or_b64 exec, exec, s[2:3]
	v_mov_b32_e32 v32, s6
	s_and_saveexec_b64 s[2:3], s[0:1]
	s_cbranch_execnz .LBB88_380
.LBB88_201:
	s_or_b64 exec, exec, s[2:3]
	v_cmp_eq_u32_e32 vcc, v32, v30
	s_and_saveexec_b64 s[0:1], vcc
	s_cbranch_execz .LBB88_203
.LBB88_202:
	ds_read_u8 v30, v1 offset:2049
	ds_read_u8 v32, v4 offset:2048
	v_alignbit_b32 v31, v31, v31, 16
	ds_write_b32 v3, v31
	s_waitcnt lgkmcnt(2)
	ds_write_b8 v4, v30 offset:2048
	s_waitcnt lgkmcnt(2)
	ds_write_b8 v1, v32 offset:2049
.LBB88_203:
	s_or_b64 exec, exec, s[0:1]
	v_and_b32_e32 v30, 0x1ff, v0
	v_sub_u32_e32 v32, v2, v30
	v_lshl_add_u32 v31, v32, 1, 2
	v_add_u32_e32 v30, 2, v32
	s_waitcnt lgkmcnt(0)
	s_barrier
	v_add_u32_e32 v32, v30, v32
	ds_read_u16 v33, v31
	ds_read_u16 v34, v32 offset:1024
	s_mov_b32 s6, 1
	s_waitcnt lgkmcnt(0)
	v_cmp_ge_i16_e64 s[0:1], v33, v34
	v_cmp_lt_i16_e32 vcc, v33, v34
	s_and_saveexec_b64 s[2:3], vcc
	s_cbranch_execnz .LBB88_381
; %bb.204:
	s_or_b64 exec, exec, s[2:3]
	v_mov_b32_e32 v35, s6
	s_and_saveexec_b64 s[2:3], s[0:1]
	s_cbranch_execnz .LBB88_382
.LBB88_205:
	s_or_b64 exec, exec, s[2:3]
	v_cmp_eq_u32_e32 vcc, 0, v35
	s_and_saveexec_b64 s[0:1], vcc
	s_cbranch_execz .LBB88_207
.LBB88_206:
	ds_read_u8 v35, v30 offset:2560
	ds_read_u8 v36, v30 offset:2048
	ds_write_b16 v31, v34
	ds_write_b16 v32, v33 offset:1024
	s_waitcnt lgkmcnt(3)
	ds_write_b8 v30, v35 offset:2048
	s_waitcnt lgkmcnt(3)
	ds_write_b8 v30, v36 offset:2560
.LBB88_207:
	s_or_b64 exec, exec, s[0:1]
	s_waitcnt lgkmcnt(0)
	s_barrier
	ds_read_u16 v30, v28
	ds_read_u16 v31, v29 offset:512
                                        ; implicit-def: $sgpr6
	s_waitcnt lgkmcnt(0)
	v_cmp_ge_i16_e64 s[0:1], v30, v31
	v_cmp_lt_i16_e32 vcc, v30, v31
	s_and_saveexec_b64 s[2:3], vcc
	s_cbranch_execnz .LBB88_383
; %bb.208:
	s_or_b64 exec, exec, s[2:3]
	v_mov_b32_e32 v32, s6
	s_and_saveexec_b64 s[2:3], s[0:1]
	s_cbranch_execnz .LBB88_384
.LBB88_209:
	s_or_b64 exec, exec, s[2:3]
	v_cmp_eq_u32_e32 vcc, 0, v32
	s_and_saveexec_b64 s[0:1], vcc
	s_cbranch_execz .LBB88_211
.LBB88_210:
	ds_read_u8 v32, v27 offset:2304
	ds_read_u8 v33, v27 offset:2048
	ds_write_b16 v28, v31
	ds_write_b16 v29, v30 offset:512
	s_waitcnt lgkmcnt(3)
	ds_write_b8 v27, v32 offset:2048
	s_waitcnt lgkmcnt(3)
	ds_write_b8 v27, v33 offset:2304
.LBB88_211:
	s_or_b64 exec, exec, s[0:1]
	s_waitcnt lgkmcnt(0)
	s_barrier
	ds_read_u16 v27, v25
	ds_read_u16 v28, v26 offset:256
                                        ; implicit-def: $sgpr6
	s_waitcnt lgkmcnt(0)
	v_cmp_ge_i16_e64 s[0:1], v27, v28
	v_cmp_lt_i16_e32 vcc, v27, v28
	s_and_saveexec_b64 s[2:3], vcc
	s_cbranch_execnz .LBB88_385
; %bb.212:
	s_or_b64 exec, exec, s[2:3]
	v_mov_b32_e32 v29, s6
	s_and_saveexec_b64 s[2:3], s[0:1]
	s_cbranch_execnz .LBB88_386
.LBB88_213:
	s_or_b64 exec, exec, s[2:3]
	v_cmp_eq_u32_e32 vcc, 0, v29
	s_and_saveexec_b64 s[0:1], vcc
	s_cbranch_execz .LBB88_215
.LBB88_214:
	ds_read_u8 v29, v24 offset:2176
	ds_read_u8 v30, v24 offset:2048
	ds_write_b16 v25, v28
	ds_write_b16 v26, v27 offset:256
	s_waitcnt lgkmcnt(3)
	ds_write_b8 v24, v29 offset:2048
	s_waitcnt lgkmcnt(3)
	ds_write_b8 v24, v30 offset:2176
.LBB88_215:
	s_or_b64 exec, exec, s[0:1]
	s_waitcnt lgkmcnt(0)
	s_barrier
	ds_read_u16 v24, v22
	ds_read_u16 v25, v23 offset:128
	s_waitcnt lgkmcnt(0)
	v_cmp_ge_i16_e64 s[2:3], v24, v25
	v_cmp_lt_i16_e32 vcc, v24, v25
	s_and_saveexec_b64 s[0:1], vcc
	s_cbranch_execz .LBB88_217
; %bb.216:
	ds_read_u8 v26, v21 offset:2048
	s_andn2_b64 s[2:3], s[2:3], exec
	s_waitcnt lgkmcnt(0)
	v_and_b32_e32 v26, 1, v26
	v_cmp_eq_u32_e32 vcc, 1, v26
	s_xor_b64 s[6:7], vcc, -1
	s_and_b64 s[6:7], s[6:7], exec
	s_or_b64 s[2:3], s[2:3], s[6:7]
.LBB88_217:
	s_or_b64 exec, exec, s[0:1]
	s_and_saveexec_b64 s[0:1], s[2:3]
	s_cbranch_execz .LBB88_220
; %bb.218:
	ds_read_u8 v26, v21 offset:2112
	s_waitcnt lgkmcnt(0)
	v_cmp_ne_u16_e32 vcc, 0, v26
	s_and_b64 exec, exec, vcc
	s_cbranch_execz .LBB88_220
; %bb.219:
	ds_read_u8 v27, v21 offset:2048
	ds_write_b16 v22, v25
	ds_write_b16 v23, v24 offset:128
	ds_write_b8 v21, v26 offset:2048
	s_waitcnt lgkmcnt(3)
	ds_write_b8 v21, v27 offset:2112
.LBB88_220:
	s_or_b64 exec, exec, s[0:1]
	s_waitcnt lgkmcnt(0)
	s_barrier
	ds_read_u16 v21, v19
	ds_read_u16 v22, v20 offset:64
	s_waitcnt lgkmcnt(0)
	v_cmp_ge_i16_e64 s[2:3], v21, v22
	v_cmp_lt_i16_e32 vcc, v21, v22
	s_and_saveexec_b64 s[0:1], vcc
	s_cbranch_execz .LBB88_222
; %bb.221:
	ds_read_u8 v23, v18 offset:2048
	s_andn2_b64 s[2:3], s[2:3], exec
	s_waitcnt lgkmcnt(0)
	v_and_b32_e32 v23, 1, v23
	v_cmp_eq_u32_e32 vcc, 1, v23
	s_xor_b64 s[6:7], vcc, -1
	s_and_b64 s[6:7], s[6:7], exec
	s_or_b64 s[2:3], s[2:3], s[6:7]
.LBB88_222:
	s_or_b64 exec, exec, s[0:1]
	s_and_saveexec_b64 s[0:1], s[2:3]
	s_cbranch_execz .LBB88_225
; %bb.223:
	ds_read_u8 v23, v18 offset:2080
	s_waitcnt lgkmcnt(0)
	v_cmp_ne_u16_e32 vcc, 0, v23
	s_and_b64 exec, exec, vcc
	s_cbranch_execz .LBB88_225
; %bb.224:
	ds_read_u8 v24, v18 offset:2048
	ds_write_b16 v19, v22
	ds_write_b16 v20, v21 offset:64
	ds_write_b8 v18, v23 offset:2048
	s_waitcnt lgkmcnt(3)
	ds_write_b8 v18, v24 offset:2080
.LBB88_225:
	;; [unrolled: 37-line block ×6, first 2 shown]
	s_or_b64 exec, exec, s[0:1]
	s_waitcnt lgkmcnt(0)
	s_barrier
	ds_read_b32 v5, v3
	s_waitcnt lgkmcnt(0)
	v_cmp_ge_i16_sdwa s[2:3], v5, v5 src0_sel:DWORD src1_sel:WORD_1
	v_cmp_lt_i16_sdwa s[6:7], v5, v5 src0_sel:DWORD src1_sel:WORD_1
	s_and_saveexec_b64 s[0:1], s[6:7]
	s_cbranch_execz .LBB88_247
; %bb.246:
	ds_read_u8 v6, v4 offset:2048
	s_andn2_b64 s[2:3], s[2:3], exec
	s_waitcnt lgkmcnt(0)
	v_and_b32_e32 v6, 1, v6
	v_cmp_eq_u32_e32 vcc, 1, v6
	s_xor_b64 s[6:7], vcc, -1
	s_and_b64 s[6:7], s[6:7], exec
	s_or_b64 s[2:3], s[2:3], s[6:7]
.LBB88_247:
	s_or_b64 exec, exec, s[0:1]
	s_and_saveexec_b64 s[0:1], s[2:3]
	s_cbranch_execz .LBB88_250
; %bb.248:
	ds_read_u8 v6, v1 offset:2049
	s_waitcnt lgkmcnt(0)
	v_cmp_ne_u16_e32 vcc, 0, v6
	s_and_b64 exec, exec, vcc
	s_cbranch_execz .LBB88_250
; %bb.249:
	ds_read_u8 v7, v4 offset:2048
	v_alignbit_b32 v5, v5, v5, 16
	ds_write_b32 v3, v5
	ds_write_b8 v4, v6 offset:2048
	s_waitcnt lgkmcnt(2)
	ds_write_b8 v1, v7 offset:2049
.LBB88_250:
	s_or_b64 exec, exec, s[0:1]
	v_cmp_eq_u32_e32 vcc, 0, v0
	s_waitcnt lgkmcnt(0)
	s_barrier
	s_barrier
	s_and_saveexec_b64 s[0:1], vcc
	s_cbranch_execz .LBB88_252
; %bb.251:
	v_mov_b32_e32 v5, 2
	v_mov_b32_e32 v6, 1
	ds_write_b8 v5, v6 offset:2052
	v_mov_b32_e32 v6, 0
	ds_write_b32 v5, v6 offset:2048
.LBB88_252:
	s_or_b64 exec, exec, s[0:1]
	v_add_u32_e32 v4, v4, v2
	ds_read_u16 v5, v3
	ds_read_u16 v4, v4 offset:2
	s_add_i32 s10, 2, 0x800
	v_lshl_add_u32 v3, v2, 3, s10
	s_waitcnt lgkmcnt(0)
	v_cmp_ne_u16_e64 s[0:1], v5, v4
	v_cndmask_b32_e64 v6, 0, 1, s[0:1]
	v_cmp_eq_u16_e64 s[0:1], v5, v4
	v_cndmask_b32_e64 v5, 0, 1, s[0:1]
	s_movk_i32 s0, 0x1ff
	v_cmp_gt_u32_e64 s[2:3], s0, v0
	ds_write_b8 v3, v6 offset:12
	ds_write_b32 v3, v5 offset:8
	s_and_saveexec_b64 s[6:7], s[2:3]
	s_cbranch_execz .LBB88_254
; %bb.253:
	v_lshl_add_u32 v5, v2, 1, 2
	ds_read_u16 v5, v5 offset:4
	s_waitcnt lgkmcnt(0)
	v_cmp_ne_u16_e64 s[0:1], v4, v5
	v_cndmask_b32_e64 v6, 0, 1, s[0:1]
	v_cmp_eq_u16_e64 s[0:1], v4, v5
	v_cndmask_b32_e64 v4, 0, 1, s[0:1]
	ds_write_b8 v3, v6 offset:20
	ds_write_b32 v3, v4 offset:16
.LBB88_254:
	s_or_b64 exec, exec, s[6:7]
	s_movk_i32 s0, 0x200
	v_cmp_gt_u32_e64 s[0:1], s0, v0
	v_lshl_add_u32 v4, v2, 3, 2
	s_waitcnt lgkmcnt(0)
	s_barrier
	s_and_saveexec_b64 s[6:7], s[0:1]
	s_cbranch_execz .LBB88_256
; %bb.255:
	ds_read_u8 v5, v3 offset:12
	ds_read_b32 v6, v4 offset:2048
	ds_read_b32 v7, v3 offset:8
	ds_read_u8 v8, v4 offset:2052
	s_waitcnt lgkmcnt(3)
	v_and_b32_e32 v9, 1, v5
	v_cmp_eq_u32_e64 s[0:1], 1, v9
	s_waitcnt lgkmcnt(2)
	v_cndmask_b32_e64 v6, v6, 0, s[0:1]
	s_waitcnt lgkmcnt(0)
	v_or_b32_e32 v5, v8, v5
	v_add_u32_e32 v6, v6, v7
	v_and_b32_e32 v5, 1, v5
	ds_write2_b32 v3, v6, v5 offset0:2 offset1:3
.LBB88_256:
	s_or_b64 exec, exec, s[6:7]
	v_lshlrev_b32_e32 v5, 1, v1
	s_movk_i32 s0, 0x100
	v_add_u32_e32 v6, -1, v5
	v_cmp_gt_u32_e64 s[0:1], s0, v0
	s_waitcnt lgkmcnt(0)
	s_barrier
	s_and_saveexec_b64 s[6:7], s[0:1]
	s_cbranch_execz .LBB88_258
; %bb.257:
	v_lshl_add_u32 v7, v6, 3, 2
	ds_read_b32 v8, v7 offset:2048
	ds_read_u8 v9, v7 offset:2052
	v_lshl_add_u32 v10, v5, 3, 2
	ds_read_b32 v12, v10 offset:2024
	ds_read_u8 v10, v10 offset:2028
	v_add_u32_e32 v7, 0x800, v7
	s_waitcnt lgkmcnt(2)
	v_and_b32_e32 v13, 1, v9
	v_cmp_eq_u32_e64 s[0:1], 1, v13
	s_waitcnt lgkmcnt(1)
	v_cndmask_b32_e64 v12, v12, 0, s[0:1]
	s_waitcnt lgkmcnt(0)
	v_or_b32_e32 v9, v10, v9
	v_add_u32_e32 v8, v12, v8
	v_and_b32_e32 v9, 1, v9
	ds_write2_b32 v7, v8, v9 offset1:1
.LBB88_258:
	s_or_b64 exec, exec, s[6:7]
	s_movk_i32 s0, 0x80
	v_lshlrev_b32_e32 v7, 2, v1
	v_add_u32_e32 v6, v6, v5
	v_cmp_gt_u32_e64 s[0:1], s0, v0
	s_waitcnt lgkmcnt(0)
	s_barrier
	s_and_saveexec_b64 s[6:7], s[0:1]
	s_cbranch_execz .LBB88_260
; %bb.259:
	v_lshl_add_u32 v8, v6, 3, 2
	ds_read_b32 v9, v8 offset:2048
	ds_read_u8 v10, v8 offset:2052
	v_lshl_add_u32 v12, v7, 3, 2
	ds_read_b32 v13, v12 offset:2008
	ds_read_u8 v12, v12 offset:2012
	v_add_u32_e32 v8, 0x800, v8
	s_waitcnt lgkmcnt(2)
	v_and_b32_e32 v14, 1, v10
	v_cmp_eq_u32_e64 s[0:1], 1, v14
	s_waitcnt lgkmcnt(1)
	v_cndmask_b32_e64 v13, v13, 0, s[0:1]
	s_waitcnt lgkmcnt(0)
	v_or_b32_e32 v10, v12, v10
	v_add_u32_e32 v9, v13, v9
	v_and_b32_e32 v10, 1, v10
	ds_write2_b32 v8, v9, v10 offset1:1
.LBB88_260:
	s_or_b64 exec, exec, s[6:7]
	v_lshlrev_b32_e32 v9, 3, v1
	v_add_u32_e32 v8, v6, v7
	v_cmp_gt_u32_e64 s[0:1], 64, v0
	s_waitcnt lgkmcnt(0)
	s_barrier
	s_and_saveexec_b64 s[8:9], s[0:1]
	s_cbranch_execz .LBB88_262
; %bb.261:
	v_lshl_add_u32 v10, v8, 3, 2
	ds_read_b32 v12, v10 offset:2048
	ds_read_u8 v13, v10 offset:2052
	v_lshl_add_u32 v14, v9, 3, 2
	ds_read_b32 v15, v14 offset:1976
	ds_read_u8 v14, v14 offset:1980
	v_add_u32_e32 v10, 0x800, v10
	s_waitcnt lgkmcnt(2)
	v_and_b32_e32 v16, 1, v13
	v_cmp_eq_u32_e64 s[6:7], 1, v16
	s_waitcnt lgkmcnt(1)
	v_cndmask_b32_e64 v15, v15, 0, s[6:7]
	s_waitcnt lgkmcnt(0)
	v_or_b32_e32 v13, v14, v13
	v_add_u32_e32 v12, v15, v12
	v_and_b32_e32 v13, 1, v13
	ds_write2_b32 v10, v12, v13 offset1:1
.LBB88_262:
	s_or_b64 exec, exec, s[8:9]
	;; [unrolled: 27-line block ×6, first 2 shown]
	v_add_u32_e32 v19, v17, v18
	v_cmp_gt_u32_e64 s[6:7], 2, v0
	v_lshl_add_u32 v19, v19, 3, 2
	s_waitcnt lgkmcnt(0)
	s_barrier
	s_and_saveexec_b64 s[8:9], s[6:7]
	s_cbranch_execz .LBB88_272
; %bb.271:
	v_lshl_add_u32 v1, v1, 11, 2
	v_add_u32_e32 v21, -8, v1
	ds_read_u8 v22, v19 offset:2052
	ds_read_b32 v21, v21
	v_add_u32_e32 v1, -4, v1
	ds_read_b32 v23, v19 offset:2048
	ds_read_u8 v1, v1
	v_add_u32_e32 v20, 0x800, v19
	s_waitcnt lgkmcnt(3)
	v_and_b32_e32 v24, 1, v22
	v_cmp_eq_u32_e64 s[6:7], 1, v24
	s_waitcnt lgkmcnt(2)
	v_cndmask_b32_e64 v21, v21, 0, s[6:7]
	s_waitcnt lgkmcnt(0)
	v_or_b32_e32 v1, v1, v22
	v_add_u32_e32 v21, v21, v23
	v_and_b32_e32 v1, 1, v1
	ds_write2_b32 v20, v21, v1 offset1:1
.LBB88_272:
	s_or_b64 exec, exec, s[8:9]
	s_waitcnt lgkmcnt(0)
	s_barrier
	s_and_saveexec_b64 s[8:9], vcc
	s_cbranch_execz .LBB88_274
; %bb.273:
	v_mov_b32_e32 v1, 2
	s_movk_i32 s6, 0xf8
	ds_read_u8 v22, v1 offset:10236
	v_add_u32_e64 v20, s6, 2
	ds_read2st64_b32 v[20:21], v20 offset0:23 offset1:39
	ds_read_u8 v1, v1 offset:6140
	s_add_i32 s11, 2, 0x27f8
	s_waitcnt lgkmcnt(2)
	v_and_b32_e32 v23, 1, v22
	v_cmp_eq_u32_e64 s[6:7], 1, v23
	s_waitcnt lgkmcnt(1)
	v_cndmask_b32_e64 v20, v20, 0, s[6:7]
	s_waitcnt lgkmcnt(0)
	v_or_b32_e32 v1, v1, v22
	v_add_u32_e32 v20, v20, v21
	v_and_b32_e32 v1, 1, v1
	v_mov_b32_e32 v21, s11
	ds_write2_b32 v21, v20, v1 offset1:1
.LBB88_274:
	s_or_b64 exec, exec, s[8:9]
	s_waitcnt lgkmcnt(0)
	s_barrier
	s_and_saveexec_b64 s[8:9], vcc
	s_cbranch_execz .LBB88_276
; %bb.275:
	v_mov_b32_e32 v1, 2
	ds_read_u8 v20, v1 offset:8188
	ds_read_b32 v1, v1 offset:8184
	ds_read_b32 v21, v19 offset:2048
	ds_read_u8 v19, v19 offset:2052
	s_add_i32 s11, 2, 0x1ff8
	s_waitcnt lgkmcnt(3)
	v_and_b32_e32 v22, 1, v20
	v_cmp_eq_u32_e64 s[6:7], 1, v22
	s_waitcnt lgkmcnt(1)
	v_cndmask_b32_e64 v21, v21, 0, s[6:7]
	s_waitcnt lgkmcnt(0)
	v_or_b32_e32 v19, v19, v20
	v_add_u32_e32 v1, v21, v1
	v_and_b32_e32 v19, 1, v19
	v_mov_b32_e32 v20, s11
	ds_write2_b32 v20, v1, v19 offset1:1
.LBB88_276:
	s_or_b64 exec, exec, s[8:9]
	v_cmp_gt_u32_e64 s[6:7], 3, v0
	s_waitcnt lgkmcnt(0)
	s_barrier
	s_and_saveexec_b64 s[8:9], s[6:7]
	s_cbranch_execz .LBB88_278
; %bb.277:
	v_lshl_add_u32 v1, v18, 3, s10
	ds_read_u8 v18, v1 offset:1020
	v_lshl_add_u32 v17, v17, 3, s10
	ds_read_b32 v19, v17
	ds_read_b32 v20, v1 offset:1016
	ds_read_u8 v17, v17 offset:4
	s_waitcnt lgkmcnt(3)
	v_and_b32_e32 v21, 1, v18
	v_cmp_eq_u32_e64 s[6:7], 1, v21
	s_waitcnt lgkmcnt(2)
	v_cndmask_b32_e64 v19, v19, 0, s[6:7]
	s_waitcnt lgkmcnt(0)
	v_or_b32_e32 v17, v17, v18
	v_add_u32_e32 v19, v19, v20
	v_and_b32_e32 v17, 1, v17
	ds_write2_b32 v1, v19, v17 offset0:254 offset1:255
.LBB88_278:
	s_or_b64 exec, exec, s[8:9]
	v_cmp_gt_u32_e64 s[6:7], 7, v0
	s_waitcnt lgkmcnt(0)
	s_barrier
	s_and_saveexec_b64 s[8:9], s[6:7]
	s_cbranch_execz .LBB88_280
; %bb.279:
	v_lshl_add_u32 v1, v16, 3, s10
	ds_read_u8 v16, v1 offset:508
	v_lshl_add_u32 v15, v15, 3, s10
	ds_read_b32 v17, v15
	ds_read_b32 v18, v1 offset:504
	ds_read_u8 v15, v15 offset:4
	s_waitcnt lgkmcnt(3)
	v_and_b32_e32 v19, 1, v16
	v_cmp_eq_u32_e64 s[6:7], 1, v19
	s_waitcnt lgkmcnt(2)
	v_cndmask_b32_e64 v17, v17, 0, s[6:7]
	s_waitcnt lgkmcnt(0)
	v_or_b32_e32 v15, v15, v16
	v_add_u32_e32 v17, v17, v18
	v_and_b32_e32 v15, 1, v15
	ds_write2_b32 v1, v17, v15 offset0:126 offset1:127
.LBB88_280:
	;; [unrolled: 24-line block ×5, first 2 shown]
	s_or_b64 exec, exec, s[8:9]
	s_movk_i32 s6, 0x7f
	v_cmp_gt_u32_e64 s[6:7], s6, v0
	s_waitcnt lgkmcnt(0)
	s_barrier
	s_and_saveexec_b64 s[8:9], s[6:7]
	s_cbranch_execz .LBB88_288
; %bb.287:
	v_lshl_add_u32 v1, v7, 3, s10
	ds_read_u8 v7, v1 offset:28
	v_lshl_add_u32 v6, v6, 3, s10
	ds_read_b32 v8, v6
	ds_read_b32 v9, v1 offset:24
	ds_read_u8 v6, v6 offset:4
	s_waitcnt lgkmcnt(3)
	v_and_b32_e32 v10, 1, v7
	v_cmp_eq_u32_e64 s[6:7], 1, v10
	s_waitcnt lgkmcnt(2)
	v_cndmask_b32_e64 v8, v8, 0, s[6:7]
	s_waitcnt lgkmcnt(0)
	v_or_b32_e32 v6, v6, v7
	v_add_u32_e32 v8, v8, v9
	v_and_b32_e32 v6, 1, v6
	ds_write2_b32 v1, v8, v6 offset0:6 offset1:7
.LBB88_288:
	s_or_b64 exec, exec, s[8:9]
	s_movk_i32 s6, 0xff
	v_cmp_gt_u32_e64 s[6:7], s6, v0
	s_waitcnt lgkmcnt(0)
	s_barrier
	s_and_saveexec_b64 s[8:9], s[6:7]
	s_cbranch_execz .LBB88_290
; %bb.289:
	v_lshl_add_u32 v1, v5, 3, s10
	ds_read_u8 v5, v1 offset:12
	v_add_u32_e32 v6, -8, v1
	ds_read_b32 v7, v6
	ds_read_b32 v8, v1 offset:8
	ds_read_u8 v6, v6 offset:4
	s_waitcnt lgkmcnt(3)
	v_and_b32_e32 v9, 1, v5
	v_cmp_eq_u32_e64 s[6:7], 1, v9
	s_waitcnt lgkmcnt(2)
	v_cndmask_b32_e64 v7, v7, 0, s[6:7]
	s_waitcnt lgkmcnt(0)
	v_or_b32_e32 v5, v6, v5
	v_add_u32_e32 v7, v7, v8
	v_and_b32_e32 v5, 1, v5
	ds_write2_b32 v1, v7, v5 offset0:2 offset1:3
.LBB88_290:
	s_or_b64 exec, exec, s[8:9]
	s_waitcnt lgkmcnt(0)
	s_barrier
	s_and_saveexec_b64 s[6:7], s[2:3]
	s_cbranch_execz .LBB88_292
; %bb.291:
	ds_read_u8 v1, v3 offset:20
	ds_read_u8 v5, v3 offset:12
	ds_read2_b32 v[6:7], v3 offset0:2 offset1:4
	s_waitcnt lgkmcnt(2)
	v_and_b32_e32 v8, 1, v1
	v_cmp_eq_u32_e64 s[2:3], 1, v8
	s_waitcnt lgkmcnt(1)
	v_or_b32_e32 v1, v5, v1
	s_waitcnt lgkmcnt(0)
	v_cndmask_b32_e64 v5, v6, 0, s[2:3]
	v_add_u32_e32 v5, v5, v7
	v_and_b32_e32 v1, 1, v1
	ds_write2_b32 v3, v5, v1 offset0:4 offset1:5
.LBB88_292:
	s_or_b64 exec, exec, s[6:7]
	s_waitcnt lgkmcnt(0)
	s_barrier
	ds_read_b32 v1, v4 offset:2048
	ds_read_b32 v3, v3 offset:8
	v_cmp_gt_u32_e64 s[2:3], s16, v2
	v_or_b32_e32 v4, 1, v2
	v_cmp_gt_u32_e64 s[6:7], s16, v4
	s_waitcnt lgkmcnt(1)
	v_cndmask_b32_e64 v5, 0, v1, s[2:3]
	v_mbcnt_lo_u32_b32 v1, -1, 0
	v_mbcnt_hi_u32_b32 v13, -1, v1
	v_and_b32_e32 v14, 63, v13
	v_cmp_gt_u32_e64 s[8:9], 32, v14
	v_cndmask_b32_e64 v1, 0, 1, s[8:9]
	s_waitcnt lgkmcnt(0)
	v_cndmask_b32_e64 v3, 0, v3, s[6:7]
	v_lshlrev_b32_e32 v1, 5, v1
	v_cndmask_b32_e64 v6, 0, v2, s[2:3]
	v_max_u32_e32 v7, v3, v5
	v_add_lshl_u32 v1, v1, v13, 2
	v_cndmask_b32_e64 v8, 0, v4, s[6:7]
	v_cmp_gt_u32_e64 s[8:9], v3, v5
	ds_bpermute_b32 v9, v1, v7
	v_cndmask_b32_e64 v3, v6, v8, s[8:9]
	ds_bpermute_b32 v5, v1, v3
	v_cmp_gt_u32_e64 s[8:9], 48, v14
	v_cndmask_b32_e64 v8, 0, 1, s[8:9]
	v_lshlrev_b32_e32 v8, 4, v8
	s_waitcnt lgkmcnt(1)
	v_max_u32_e32 v6, v9, v7
	v_add_lshl_u32 v8, v8, v13, 2
	v_cmp_gt_u32_e64 s[8:9], v9, v7
	ds_bpermute_b32 v10, v8, v6
	s_waitcnt lgkmcnt(1)
	v_cndmask_b32_e64 v3, v3, v5, s[8:9]
	ds_bpermute_b32 v5, v8, v3
	v_cmp_gt_u32_e64 s[8:9], 56, v14
	v_cndmask_b32_e64 v9, 0, 1, s[8:9]
	v_lshlrev_b32_e32 v9, 3, v9
	s_waitcnt lgkmcnt(1)
	v_max_u32_e32 v7, v10, v6
	v_add_lshl_u32 v9, v9, v13, 2
	v_cmp_gt_u32_e64 s[8:9], v10, v6
	ds_bpermute_b32 v12, v9, v7
	s_waitcnt lgkmcnt(1)
	;; [unrolled: 11-line block ×4, first 2 shown]
	v_cndmask_b32_e64 v5, v3, v5, s[8:9]
	ds_bpermute_b32 v6, v12, v5
	s_waitcnt lgkmcnt(0)
	s_barrier
	v_cmp_gt_u32_e64 s[8:9], v16, v7
	v_max_u32_e32 v3, v16, v7
	v_cndmask_b32_e64 v5, v5, v6, s[8:9]
	v_cmp_ne_u32_e64 s[8:9], 63, v14
	v_addc_co_u32_e64 v6, s[8:9], 0, v13, s[8:9]
	v_lshlrev_b32_e32 v13, 2, v6
	ds_bpermute_b32 v6, v13, v5
	ds_bpermute_b32 v7, v13, v3
	v_cmp_eq_u32_e64 s[8:9], 0, v11
	s_waitcnt lgkmcnt(0)
	s_barrier
	s_and_saveexec_b64 s[12:13], s[8:9]
	s_cbranch_execz .LBB88_294
; %bb.293:
	v_lshrrev_b32_e32 v14, 3, v0
	v_add_u32_e32 v14, 2, v14
	v_cmp_gt_u32_e64 s[10:11], v7, v3
	v_add_u32_e32 v14, 0x800, v14
	v_cndmask_b32_e64 v5, v5, v6, s[10:11]
	v_max_u32_e32 v3, v7, v3
	ds_write2_b32 v14, v3, v5 offset1:1
.LBB88_294:
	s_or_b64 exec, exec, s[12:13]
	s_lshr_b32 s10, s20, 6
	v_cmp_gt_u32_e64 s[10:11], s10, v0
	v_lshl_add_u32 v14, v11, 3, 2
	v_mov_b32_e32 v3, 0
	v_mov_b32_e32 v5, 0
	s_waitcnt lgkmcnt(0)
	s_barrier
	s_and_saveexec_b64 s[12:13], s[10:11]
	s_cbranch_execnz .LBB88_387
; %bb.295:
	s_or_b64 exec, exec, s[12:13]
	s_and_saveexec_b64 s[12:13], s[10:11]
	s_cbranch_execnz .LBB88_388
.LBB88_296:
	s_or_b64 exec, exec, s[12:13]
	s_and_saveexec_b64 s[20:21], s[0:1]
	s_cbranch_execnz .LBB88_389
.LBB88_297:
	s_or_b64 exec, exec, s[20:21]
	s_and_saveexec_b64 s[12:13], vcc
	s_cbranch_execz .LBB88_299
.LBB88_298:
	s_waitcnt lgkmcnt(0)
	v_lshl_add_u32 v3, v3, 1, 2
	ds_read_u16 v3, v3
	v_mov_b32_e32 v5, 0
	s_waitcnt lgkmcnt(0)
	ds_write_b16 v5, v3
.LBB88_299:
	s_or_b64 exec, exec, s[12:13]
	s_mov_b32 s20, 0
	s_waitcnt lgkmcnt(0)
	v_mov_b32_e32 v3, 0
	s_mov_b32 s21, s20
	v_cmp_gt_i64_e64 s[12:13], s[16:17], v[2:3]
	v_pk_mov_b32 v[6:7], s[20:21], s[20:21] op_sel:[0,1]
	s_barrier
	s_and_saveexec_b64 s[20:21], s[12:13]
	s_cbranch_execz .LBB88_301
; %bb.300:
	v_add_u32_e32 v6, s15, v2
	v_mov_b32_e32 v7, v3
	v_lshlrev_b64 v[6:7], 1, v[6:7]
	v_mov_b32_e32 v5, s19
	v_add_co_u32_e64 v6, s[12:13], s18, v6
	v_addc_co_u32_e64 v7, s[12:13], v5, v7, s[12:13]
	global_load_ushort v5, v[6:7], off
	ds_read_u16 v6, v3
	s_waitcnt vmcnt(0) lgkmcnt(0)
	v_cmp_eq_u16_e64 s[12:13], v5, v6
	v_cndmask_b32_e64 v2, 0, v2, s[12:13]
	v_pk_mov_b32 v[6:7], v[2:3], v[2:3] op_sel:[0,1]
.LBB88_301:
	s_or_b64 exec, exec, s[20:21]
	v_mov_b32_e32 v5, v3
	v_cmp_gt_i64_e64 s[12:13], s[16:17], v[4:5]
	s_and_saveexec_b64 s[16:17], s[12:13]
	s_cbranch_execz .LBB88_303
; %bb.302:
	v_add_u32_e32 v2, s15, v4
	v_mov_b32_e32 v3, 0
	v_lshlrev_b64 v[16:17], 1, v[2:3]
	v_mov_b32_e32 v2, s19
	v_add_co_u32_e64 v16, s[12:13], s18, v16
	v_addc_co_u32_e64 v17, s[12:13], v2, v17, s[12:13]
	global_load_ushort v2, v[16:17], off
	ds_read_u16 v3, v3
	s_waitcnt vmcnt(0) lgkmcnt(0)
	v_cmp_eq_u16_e64 s[12:13], v2, v3
	v_cndmask_b32_e64 v7, 0, v4, s[12:13]
.LBB88_303:
	s_or_b64 exec, exec, s[16:17]
	v_cndmask_b32_e64 v2, 0, v6, s[2:3]
	v_cndmask_b32_e64 v3, 0, v7, s[6:7]
	v_max_u32_e32 v2, v3, v2
	ds_bpermute_b32 v3, v1, v2
	s_waitcnt lgkmcnt(0)
	s_barrier
	v_max_u32_e32 v2, v3, v2
	ds_bpermute_b32 v3, v8, v2
	s_waitcnt lgkmcnt(0)
	v_max_u32_e32 v2, v3, v2
	ds_bpermute_b32 v3, v9, v2
	s_waitcnt lgkmcnt(0)
	;; [unrolled: 3-line block ×4, first 2 shown]
	v_max_u32_e32 v2, v3, v2
	ds_bpermute_b32 v3, v13, v2
	s_and_saveexec_b64 s[2:3], s[8:9]
	s_cbranch_execz .LBB88_305
; %bb.304:
	v_lshrrev_b32_e32 v0, 4, v0
	v_add_u32_e32 v0, 2, v0
	s_waitcnt lgkmcnt(0)
	v_max_u32_e32 v2, v3, v2
	ds_write_b32 v0, v2
.LBB88_305:
	s_or_b64 exec, exec, s[2:3]
	v_mov_b32_e32 v0, 0
	s_waitcnt lgkmcnt(0)
	s_barrier
	s_and_saveexec_b64 s[2:3], s[10:11]
	s_cbranch_execnz .LBB88_390
; %bb.306:
	s_or_b64 exec, exec, s[2:3]
	s_and_saveexec_b64 s[2:3], s[0:1]
	s_cbranch_execnz .LBB88_391
.LBB88_307:
	s_or_b64 exec, exec, s[2:3]
	s_and_saveexec_b64 s[0:1], vcc
	s_cbranch_execnz .LBB88_392
.LBB88_308:
	s_endpgm
.LBB88_309:
	ds_read_u8 v10, v4 offset:2048
	s_andn2_b64 s[0:1], s[0:1], exec
	s_mov_b32 s6, 1
	s_waitcnt lgkmcnt(0)
	v_and_b32_e32 v10, 1, v10
	v_cmp_eq_u32_e32 vcc, 1, v10
	s_xor_b64 s[8:9], vcc, -1
	s_and_b64 s[8:9], s[8:9], exec
	s_or_b64 s[0:1], s[0:1], s[8:9]
	s_or_b64 exec, exec, s[2:3]
	v_mov_b32_e32 v10, s6
	s_and_saveexec_b64 s[2:3], s[0:1]
	s_cbranch_execz .LBB88_19
.LBB88_310:
	ds_read_u8 v10, v1 offset:2049
	s_waitcnt lgkmcnt(0)
	v_xor_b32_e32 v10, 1, v10
	s_or_b64 exec, exec, s[2:3]
	v_cmp_eq_u32_e32 vcc, v10, v8
	s_and_saveexec_b64 s[0:1], vcc
	s_cbranch_execnz .LBB88_20
	s_branch .LBB88_21
.LBB88_311:
	ds_read_u8 v14, v5 offset:2048
	s_andn2_b64 s[0:1], s[0:1], exec
	s_mov_b32 s6, 1
	s_waitcnt lgkmcnt(0)
	v_and_b32_e32 v14, 1, v14
	v_cmp_eq_u32_e32 vcc, 1, v14
	s_xor_b64 s[8:9], vcc, -1
	s_and_b64 s[8:9], s[8:9], exec
	s_or_b64 s[0:1], s[0:1], s[8:9]
	s_or_b64 exec, exec, s[2:3]
	v_mov_b32_e32 v14, s6
	s_and_saveexec_b64 s[2:3], s[0:1]
	s_cbranch_execz .LBB88_29
.LBB88_312:
	ds_read_u8 v14, v5 offset:2050
	s_waitcnt lgkmcnt(0)
	v_xor_b32_e32 v14, 1, v14
	s_or_b64 exec, exec, s[2:3]
	v_cmp_eq_u32_e32 vcc, v14, v11
	s_and_saveexec_b64 s[0:1], vcc
	s_cbranch_execnz .LBB88_30
	s_branch .LBB88_31
.LBB88_313:
	ds_read_u8 v13, v4 offset:2048
	s_andn2_b64 s[0:1], s[0:1], exec
	s_mov_b32 s6, 1
	s_waitcnt lgkmcnt(0)
	v_and_b32_e32 v13, 1, v13
	v_cmp_eq_u32_e32 vcc, 1, v13
	s_xor_b64 s[8:9], vcc, -1
	s_and_b64 s[8:9], s[8:9], exec
	s_or_b64 s[0:1], s[0:1], s[8:9]
	s_or_b64 exec, exec, s[2:3]
	v_mov_b32_e32 v13, s6
	s_and_saveexec_b64 s[2:3], s[0:1]
	s_cbranch_execz .LBB88_33
.LBB88_314:
	ds_read_u8 v13, v1 offset:2049
	s_waitcnt lgkmcnt(0)
	v_xor_b32_e32 v13, 1, v13
	s_or_b64 exec, exec, s[2:3]
	v_cmp_eq_u32_e32 vcc, v13, v11
	s_and_saveexec_b64 s[0:1], vcc
	s_cbranch_execnz .LBB88_34
	s_branch .LBB88_35
.LBB88_315:
	ds_read_u8 v17, v8 offset:2048
	s_andn2_b64 s[0:1], s[0:1], exec
	s_mov_b32 s6, 1
	s_waitcnt lgkmcnt(0)
	v_and_b32_e32 v17, 1, v17
	v_cmp_eq_u32_e32 vcc, 1, v17
	s_xor_b64 s[8:9], vcc, -1
	s_and_b64 s[8:9], s[8:9], exec
	s_or_b64 s[0:1], s[0:1], s[8:9]
	s_or_b64 exec, exec, s[2:3]
	v_mov_b32_e32 v17, s6
	s_and_saveexec_b64 s[2:3], s[0:1]
	s_cbranch_execz .LBB88_43
.LBB88_316:
	ds_read_u8 v17, v8 offset:2052
	s_waitcnt lgkmcnt(0)
	v_xor_b32_e32 v17, 1, v17
	s_or_b64 exec, exec, s[2:3]
	v_cmp_eq_u32_e32 vcc, v17, v11
	s_and_saveexec_b64 s[0:1], vcc
	s_cbranch_execnz .LBB88_44
	s_branch .LBB88_45
.LBB88_317:
	ds_read_u8 v17, v5 offset:2048
	s_andn2_b64 s[0:1], s[0:1], exec
	s_mov_b32 s6, 1
	s_waitcnt lgkmcnt(0)
	v_and_b32_e32 v17, 1, v17
	v_cmp_eq_u32_e32 vcc, 1, v17
	s_xor_b64 s[8:9], vcc, -1
	s_and_b64 s[8:9], s[8:9], exec
	s_or_b64 s[0:1], s[0:1], s[8:9]
	s_or_b64 exec, exec, s[2:3]
	v_mov_b32_e32 v17, s6
	s_and_saveexec_b64 s[2:3], s[0:1]
	s_cbranch_execz .LBB88_47
.LBB88_318:
	ds_read_u8 v17, v5 offset:2050
	s_waitcnt lgkmcnt(0)
	v_xor_b32_e32 v17, 1, v17
	s_or_b64 exec, exec, s[2:3]
	v_cmp_eq_u32_e32 vcc, v17, v11
	s_and_saveexec_b64 s[0:1], vcc
	s_cbranch_execnz .LBB88_48
	s_branch .LBB88_49
.LBB88_319:
	ds_read_u8 v16, v4 offset:2048
	s_andn2_b64 s[0:1], s[0:1], exec
	s_mov_b32 s6, 1
	s_waitcnt lgkmcnt(0)
	v_and_b32_e32 v16, 1, v16
	v_cmp_eq_u32_e32 vcc, 1, v16
	s_xor_b64 s[8:9], vcc, -1
	s_and_b64 s[8:9], s[8:9], exec
	s_or_b64 s[0:1], s[0:1], s[8:9]
	s_or_b64 exec, exec, s[2:3]
	v_mov_b32_e32 v16, s6
	s_and_saveexec_b64 s[2:3], s[0:1]
	s_cbranch_execz .LBB88_51
.LBB88_320:
	ds_read_u8 v16, v1 offset:2049
	s_waitcnt lgkmcnt(0)
	v_xor_b32_e32 v16, 1, v16
	s_or_b64 exec, exec, s[2:3]
	v_cmp_eq_u32_e32 vcc, v16, v11
	s_and_saveexec_b64 s[0:1], vcc
	s_cbranch_execnz .LBB88_52
	s_branch .LBB88_53
.LBB88_321:
	ds_read_u8 v20, v12 offset:2048
	s_andn2_b64 s[0:1], s[0:1], exec
	s_mov_b32 s6, 1
	s_waitcnt lgkmcnt(0)
	v_and_b32_e32 v20, 1, v20
	v_cmp_eq_u32_e32 vcc, 1, v20
	s_xor_b64 s[8:9], vcc, -1
	s_and_b64 s[8:9], s[8:9], exec
	s_or_b64 s[0:1], s[0:1], s[8:9]
	s_or_b64 exec, exec, s[2:3]
	v_mov_b32_e32 v20, s6
	s_and_saveexec_b64 s[2:3], s[0:1]
	s_cbranch_execz .LBB88_61
.LBB88_322:
	ds_read_u8 v20, v12 offset:2056
	s_waitcnt lgkmcnt(0)
	v_xor_b32_e32 v20, 1, v20
	s_or_b64 exec, exec, s[2:3]
	v_cmp_eq_u32_e32 vcc, v20, v11
	s_and_saveexec_b64 s[0:1], vcc
	s_cbranch_execnz .LBB88_62
	s_branch .LBB88_63
.LBB88_323:
	ds_read_u8 v20, v8 offset:2048
	s_andn2_b64 s[0:1], s[0:1], exec
	s_mov_b32 s6, 1
	s_waitcnt lgkmcnt(0)
	v_and_b32_e32 v20, 1, v20
	v_cmp_eq_u32_e32 vcc, 1, v20
	s_xor_b64 s[8:9], vcc, -1
	s_and_b64 s[8:9], s[8:9], exec
	s_or_b64 s[0:1], s[0:1], s[8:9]
	s_or_b64 exec, exec, s[2:3]
	v_mov_b32_e32 v20, s6
	s_and_saveexec_b64 s[2:3], s[0:1]
	s_cbranch_execz .LBB88_65
.LBB88_324:
	ds_read_u8 v20, v8 offset:2052
	s_waitcnt lgkmcnt(0)
	v_xor_b32_e32 v20, 1, v20
	s_or_b64 exec, exec, s[2:3]
	v_cmp_eq_u32_e32 vcc, v20, v11
	s_and_saveexec_b64 s[0:1], vcc
	s_cbranch_execnz .LBB88_66
	s_branch .LBB88_67
.LBB88_325:
	ds_read_u8 v20, v5 offset:2048
	s_andn2_b64 s[0:1], s[0:1], exec
	s_mov_b32 s6, 1
	s_waitcnt lgkmcnt(0)
	v_and_b32_e32 v20, 1, v20
	v_cmp_eq_u32_e32 vcc, 1, v20
	s_xor_b64 s[8:9], vcc, -1
	s_and_b64 s[8:9], s[8:9], exec
	s_or_b64 s[0:1], s[0:1], s[8:9]
	s_or_b64 exec, exec, s[2:3]
	v_mov_b32_e32 v20, s6
	s_and_saveexec_b64 s[2:3], s[0:1]
	s_cbranch_execz .LBB88_69
.LBB88_326:
	ds_read_u8 v20, v5 offset:2050
	s_waitcnt lgkmcnt(0)
	v_xor_b32_e32 v20, 1, v20
	s_or_b64 exec, exec, s[2:3]
	v_cmp_eq_u32_e32 vcc, v20, v11
	s_and_saveexec_b64 s[0:1], vcc
	s_cbranch_execnz .LBB88_70
	s_branch .LBB88_71
.LBB88_327:
	ds_read_u8 v19, v4 offset:2048
	s_andn2_b64 s[0:1], s[0:1], exec
	s_mov_b32 s6, 1
	s_waitcnt lgkmcnt(0)
	v_and_b32_e32 v19, 1, v19
	v_cmp_eq_u32_e32 vcc, 1, v19
	s_xor_b64 s[8:9], vcc, -1
	s_and_b64 s[8:9], s[8:9], exec
	s_or_b64 s[0:1], s[0:1], s[8:9]
	s_or_b64 exec, exec, s[2:3]
	v_mov_b32_e32 v19, s6
	s_and_saveexec_b64 s[2:3], s[0:1]
	s_cbranch_execz .LBB88_73
.LBB88_328:
	ds_read_u8 v19, v1 offset:2049
	s_waitcnt lgkmcnt(0)
	v_xor_b32_e32 v19, 1, v19
	s_or_b64 exec, exec, s[2:3]
	v_cmp_eq_u32_e32 vcc, v19, v11
	s_and_saveexec_b64 s[0:1], vcc
	s_cbranch_execnz .LBB88_74
	s_branch .LBB88_75
.LBB88_329:
	ds_read_u8 v23, v15 offset:2048
	s_andn2_b64 s[0:1], s[0:1], exec
	s_mov_b32 s6, 1
	s_waitcnt lgkmcnt(0)
	v_and_b32_e32 v23, 1, v23
	v_cmp_eq_u32_e32 vcc, 1, v23
	s_xor_b64 s[8:9], vcc, -1
	s_and_b64 s[8:9], s[8:9], exec
	s_or_b64 s[0:1], s[0:1], s[8:9]
	s_or_b64 exec, exec, s[2:3]
	v_mov_b32_e32 v23, s6
	s_and_saveexec_b64 s[2:3], s[0:1]
	s_cbranch_execz .LBB88_83
.LBB88_330:
	ds_read_u8 v23, v15 offset:2064
	s_waitcnt lgkmcnt(0)
	v_xor_b32_e32 v23, 1, v23
	s_or_b64 exec, exec, s[2:3]
	v_cmp_eq_u32_e32 vcc, v23, v11
	s_and_saveexec_b64 s[0:1], vcc
	s_cbranch_execnz .LBB88_84
	s_branch .LBB88_85
.LBB88_331:
	ds_read_u8 v23, v12 offset:2048
	s_andn2_b64 s[0:1], s[0:1], exec
	s_mov_b32 s6, 1
	s_waitcnt lgkmcnt(0)
	v_and_b32_e32 v23, 1, v23
	v_cmp_eq_u32_e32 vcc, 1, v23
	s_xor_b64 s[8:9], vcc, -1
	s_and_b64 s[8:9], s[8:9], exec
	s_or_b64 s[0:1], s[0:1], s[8:9]
	s_or_b64 exec, exec, s[2:3]
	v_mov_b32_e32 v23, s6
	s_and_saveexec_b64 s[2:3], s[0:1]
	s_cbranch_execz .LBB88_87
.LBB88_332:
	ds_read_u8 v23, v12 offset:2056
	s_waitcnt lgkmcnt(0)
	v_xor_b32_e32 v23, 1, v23
	s_or_b64 exec, exec, s[2:3]
	v_cmp_eq_u32_e32 vcc, v23, v11
	s_and_saveexec_b64 s[0:1], vcc
	s_cbranch_execnz .LBB88_88
	s_branch .LBB88_89
.LBB88_333:
	ds_read_u8 v23, v8 offset:2048
	s_andn2_b64 s[0:1], s[0:1], exec
	s_mov_b32 s6, 1
	s_waitcnt lgkmcnt(0)
	v_and_b32_e32 v23, 1, v23
	v_cmp_eq_u32_e32 vcc, 1, v23
	s_xor_b64 s[8:9], vcc, -1
	s_and_b64 s[8:9], s[8:9], exec
	s_or_b64 s[0:1], s[0:1], s[8:9]
	s_or_b64 exec, exec, s[2:3]
	v_mov_b32_e32 v23, s6
	s_and_saveexec_b64 s[2:3], s[0:1]
	s_cbranch_execz .LBB88_91
.LBB88_334:
	ds_read_u8 v23, v8 offset:2052
	s_waitcnt lgkmcnt(0)
	v_xor_b32_e32 v23, 1, v23
	s_or_b64 exec, exec, s[2:3]
	v_cmp_eq_u32_e32 vcc, v23, v11
	s_and_saveexec_b64 s[0:1], vcc
	s_cbranch_execnz .LBB88_92
	s_branch .LBB88_93
.LBB88_335:
	ds_read_u8 v23, v5 offset:2048
	s_andn2_b64 s[0:1], s[0:1], exec
	s_mov_b32 s6, 1
	s_waitcnt lgkmcnt(0)
	v_and_b32_e32 v23, 1, v23
	v_cmp_eq_u32_e32 vcc, 1, v23
	s_xor_b64 s[8:9], vcc, -1
	s_and_b64 s[8:9], s[8:9], exec
	s_or_b64 s[0:1], s[0:1], s[8:9]
	s_or_b64 exec, exec, s[2:3]
	v_mov_b32_e32 v23, s6
	s_and_saveexec_b64 s[2:3], s[0:1]
	s_cbranch_execz .LBB88_95
.LBB88_336:
	ds_read_u8 v23, v5 offset:2050
	s_waitcnt lgkmcnt(0)
	v_xor_b32_e32 v23, 1, v23
	s_or_b64 exec, exec, s[2:3]
	v_cmp_eq_u32_e32 vcc, v23, v11
	s_and_saveexec_b64 s[0:1], vcc
	s_cbranch_execnz .LBB88_96
	s_branch .LBB88_97
.LBB88_337:
	ds_read_u8 v22, v4 offset:2048
	s_andn2_b64 s[0:1], s[0:1], exec
	s_mov_b32 s6, 1
	s_waitcnt lgkmcnt(0)
	v_and_b32_e32 v22, 1, v22
	v_cmp_eq_u32_e32 vcc, 1, v22
	s_xor_b64 s[8:9], vcc, -1
	s_and_b64 s[8:9], s[8:9], exec
	s_or_b64 s[0:1], s[0:1], s[8:9]
	s_or_b64 exec, exec, s[2:3]
	v_mov_b32_e32 v22, s6
	s_and_saveexec_b64 s[2:3], s[0:1]
	s_cbranch_execz .LBB88_99
.LBB88_338:
	ds_read_u8 v22, v1 offset:2049
	s_waitcnt lgkmcnt(0)
	v_xor_b32_e32 v22, 1, v22
	s_or_b64 exec, exec, s[2:3]
	v_cmp_eq_u32_e32 vcc, v22, v11
	s_and_saveexec_b64 s[0:1], vcc
	s_cbranch_execnz .LBB88_100
	s_branch .LBB88_101
.LBB88_339:
	ds_read_u8 v27, v18 offset:2048
	s_andn2_b64 s[0:1], s[0:1], exec
	s_mov_b32 s6, 1
	s_waitcnt lgkmcnt(0)
	v_and_b32_e32 v27, 1, v27
	v_cmp_eq_u32_e32 vcc, 1, v27
	s_xor_b64 s[8:9], vcc, -1
	s_and_b64 s[8:9], s[8:9], exec
	s_or_b64 s[0:1], s[0:1], s[8:9]
	s_or_b64 exec, exec, s[2:3]
	v_mov_b32_e32 v27, s6
	s_and_saveexec_b64 s[2:3], s[0:1]
	s_cbranch_execz .LBB88_109
.LBB88_340:
	ds_read_u8 v27, v18 offset:2080
	s_waitcnt lgkmcnt(0)
	v_xor_b32_e32 v27, 1, v27
	s_or_b64 exec, exec, s[2:3]
	v_cmp_eq_u32_e32 vcc, v27, v24
	s_and_saveexec_b64 s[0:1], vcc
	s_cbranch_execnz .LBB88_110
	s_branch .LBB88_111
.LBB88_341:
	ds_read_u8 v27, v15 offset:2048
	s_andn2_b64 s[0:1], s[0:1], exec
	s_mov_b32 s6, 1
	s_waitcnt lgkmcnt(0)
	v_and_b32_e32 v27, 1, v27
	v_cmp_eq_u32_e32 vcc, 1, v27
	s_xor_b64 s[8:9], vcc, -1
	s_and_b64 s[8:9], s[8:9], exec
	s_or_b64 s[0:1], s[0:1], s[8:9]
	s_or_b64 exec, exec, s[2:3]
	v_mov_b32_e32 v27, s6
	s_and_saveexec_b64 s[2:3], s[0:1]
	s_cbranch_execz .LBB88_113
.LBB88_342:
	ds_read_u8 v27, v15 offset:2064
	s_waitcnt lgkmcnt(0)
	v_xor_b32_e32 v27, 1, v27
	s_or_b64 exec, exec, s[2:3]
	v_cmp_eq_u32_e32 vcc, v27, v24
	s_and_saveexec_b64 s[0:1], vcc
	s_cbranch_execnz .LBB88_114
	s_branch .LBB88_115
.LBB88_343:
	ds_read_u8 v27, v12 offset:2048
	s_andn2_b64 s[0:1], s[0:1], exec
	s_mov_b32 s6, 1
	s_waitcnt lgkmcnt(0)
	v_and_b32_e32 v27, 1, v27
	v_cmp_eq_u32_e32 vcc, 1, v27
	s_xor_b64 s[8:9], vcc, -1
	s_and_b64 s[8:9], s[8:9], exec
	s_or_b64 s[0:1], s[0:1], s[8:9]
	s_or_b64 exec, exec, s[2:3]
	v_mov_b32_e32 v27, s6
	s_and_saveexec_b64 s[2:3], s[0:1]
	s_cbranch_execz .LBB88_117
.LBB88_344:
	ds_read_u8 v27, v12 offset:2056
	s_waitcnt lgkmcnt(0)
	v_xor_b32_e32 v27, 1, v27
	s_or_b64 exec, exec, s[2:3]
	v_cmp_eq_u32_e32 vcc, v27, v24
	s_and_saveexec_b64 s[0:1], vcc
	s_cbranch_execnz .LBB88_118
	s_branch .LBB88_119
.LBB88_345:
	ds_read_u8 v27, v8 offset:2048
	s_andn2_b64 s[0:1], s[0:1], exec
	s_mov_b32 s6, 1
	s_waitcnt lgkmcnt(0)
	v_and_b32_e32 v27, 1, v27
	v_cmp_eq_u32_e32 vcc, 1, v27
	s_xor_b64 s[8:9], vcc, -1
	s_and_b64 s[8:9], s[8:9], exec
	s_or_b64 s[0:1], s[0:1], s[8:9]
	s_or_b64 exec, exec, s[2:3]
	v_mov_b32_e32 v27, s6
	s_and_saveexec_b64 s[2:3], s[0:1]
	s_cbranch_execz .LBB88_121
.LBB88_346:
	ds_read_u8 v27, v8 offset:2052
	s_waitcnt lgkmcnt(0)
	v_xor_b32_e32 v27, 1, v27
	s_or_b64 exec, exec, s[2:3]
	v_cmp_eq_u32_e32 vcc, v27, v24
	s_and_saveexec_b64 s[0:1], vcc
	s_cbranch_execnz .LBB88_122
	s_branch .LBB88_123
.LBB88_347:
	ds_read_u8 v27, v5 offset:2048
	s_andn2_b64 s[0:1], s[0:1], exec
	s_mov_b32 s6, 1
	s_waitcnt lgkmcnt(0)
	v_and_b32_e32 v27, 1, v27
	v_cmp_eq_u32_e32 vcc, 1, v27
	s_xor_b64 s[8:9], vcc, -1
	s_and_b64 s[8:9], s[8:9], exec
	s_or_b64 s[0:1], s[0:1], s[8:9]
	s_or_b64 exec, exec, s[2:3]
	v_mov_b32_e32 v27, s6
	s_and_saveexec_b64 s[2:3], s[0:1]
	s_cbranch_execz .LBB88_125
.LBB88_348:
	ds_read_u8 v27, v5 offset:2050
	s_waitcnt lgkmcnt(0)
	v_xor_b32_e32 v27, 1, v27
	s_or_b64 exec, exec, s[2:3]
	v_cmp_eq_u32_e32 vcc, v27, v24
	s_and_saveexec_b64 s[0:1], vcc
	s_cbranch_execnz .LBB88_126
	s_branch .LBB88_127
.LBB88_349:
	ds_read_u8 v26, v4 offset:2048
	s_andn2_b64 s[0:1], s[0:1], exec
	s_mov_b32 s6, 1
	s_waitcnt lgkmcnt(0)
	v_and_b32_e32 v26, 1, v26
	v_cmp_eq_u32_e32 vcc, 1, v26
	s_xor_b64 s[8:9], vcc, -1
	s_and_b64 s[8:9], s[8:9], exec
	s_or_b64 s[0:1], s[0:1], s[8:9]
	s_or_b64 exec, exec, s[2:3]
	v_mov_b32_e32 v26, s6
	s_and_saveexec_b64 s[2:3], s[0:1]
	s_cbranch_execz .LBB88_129
.LBB88_350:
	ds_read_u8 v26, v1 offset:2049
	s_waitcnt lgkmcnt(0)
	v_xor_b32_e32 v26, 1, v26
	s_or_b64 exec, exec, s[2:3]
	v_cmp_eq_u32_e32 vcc, v26, v24
	s_and_saveexec_b64 s[0:1], vcc
	s_cbranch_execnz .LBB88_130
	s_branch .LBB88_131
.LBB88_351:
	ds_read_u8 v30, v21 offset:2048
	s_andn2_b64 s[0:1], s[0:1], exec
	s_mov_b32 s6, 1
	s_waitcnt lgkmcnt(0)
	v_and_b32_e32 v30, 1, v30
	v_cmp_eq_u32_e32 vcc, 1, v30
	s_xor_b64 s[8:9], vcc, -1
	s_and_b64 s[8:9], s[8:9], exec
	s_or_b64 s[0:1], s[0:1], s[8:9]
	s_or_b64 exec, exec, s[2:3]
	v_mov_b32_e32 v30, s6
	s_and_saveexec_b64 s[2:3], s[0:1]
	s_cbranch_execz .LBB88_139
.LBB88_352:
	ds_read_u8 v30, v21 offset:2112
	s_waitcnt lgkmcnt(0)
	v_xor_b32_e32 v30, 1, v30
	s_or_b64 exec, exec, s[2:3]
	v_cmp_eq_u32_e32 vcc, v30, v27
	s_and_saveexec_b64 s[0:1], vcc
	s_cbranch_execnz .LBB88_140
	s_branch .LBB88_141
.LBB88_353:
	ds_read_u8 v30, v18 offset:2048
	s_andn2_b64 s[0:1], s[0:1], exec
	s_mov_b32 s6, 1
	s_waitcnt lgkmcnt(0)
	v_and_b32_e32 v30, 1, v30
	v_cmp_eq_u32_e32 vcc, 1, v30
	s_xor_b64 s[8:9], vcc, -1
	s_and_b64 s[8:9], s[8:9], exec
	s_or_b64 s[0:1], s[0:1], s[8:9]
	s_or_b64 exec, exec, s[2:3]
	v_mov_b32_e32 v30, s6
	s_and_saveexec_b64 s[2:3], s[0:1]
	s_cbranch_execz .LBB88_143
.LBB88_354:
	ds_read_u8 v30, v18 offset:2080
	s_waitcnt lgkmcnt(0)
	v_xor_b32_e32 v30, 1, v30
	s_or_b64 exec, exec, s[2:3]
	v_cmp_eq_u32_e32 vcc, v30, v27
	s_and_saveexec_b64 s[0:1], vcc
	s_cbranch_execnz .LBB88_144
	s_branch .LBB88_145
.LBB88_355:
	ds_read_u8 v30, v15 offset:2048
	s_andn2_b64 s[0:1], s[0:1], exec
	s_mov_b32 s6, 1
	s_waitcnt lgkmcnt(0)
	v_and_b32_e32 v30, 1, v30
	v_cmp_eq_u32_e32 vcc, 1, v30
	s_xor_b64 s[8:9], vcc, -1
	s_and_b64 s[8:9], s[8:9], exec
	s_or_b64 s[0:1], s[0:1], s[8:9]
	s_or_b64 exec, exec, s[2:3]
	v_mov_b32_e32 v30, s6
	s_and_saveexec_b64 s[2:3], s[0:1]
	s_cbranch_execz .LBB88_147
.LBB88_356:
	ds_read_u8 v30, v15 offset:2064
	s_waitcnt lgkmcnt(0)
	v_xor_b32_e32 v30, 1, v30
	s_or_b64 exec, exec, s[2:3]
	v_cmp_eq_u32_e32 vcc, v30, v27
	s_and_saveexec_b64 s[0:1], vcc
	s_cbranch_execnz .LBB88_148
	s_branch .LBB88_149
.LBB88_357:
	ds_read_u8 v30, v12 offset:2048
	s_andn2_b64 s[0:1], s[0:1], exec
	s_mov_b32 s6, 1
	s_waitcnt lgkmcnt(0)
	v_and_b32_e32 v30, 1, v30
	v_cmp_eq_u32_e32 vcc, 1, v30
	s_xor_b64 s[8:9], vcc, -1
	s_and_b64 s[8:9], s[8:9], exec
	s_or_b64 s[0:1], s[0:1], s[8:9]
	s_or_b64 exec, exec, s[2:3]
	v_mov_b32_e32 v30, s6
	s_and_saveexec_b64 s[2:3], s[0:1]
	s_cbranch_execz .LBB88_151
.LBB88_358:
	ds_read_u8 v30, v12 offset:2056
	s_waitcnt lgkmcnt(0)
	v_xor_b32_e32 v30, 1, v30
	s_or_b64 exec, exec, s[2:3]
	v_cmp_eq_u32_e32 vcc, v30, v27
	s_and_saveexec_b64 s[0:1], vcc
	s_cbranch_execnz .LBB88_152
	s_branch .LBB88_153
.LBB88_359:
	ds_read_u8 v30, v8 offset:2048
	s_andn2_b64 s[0:1], s[0:1], exec
	s_mov_b32 s6, 1
	s_waitcnt lgkmcnt(0)
	v_and_b32_e32 v30, 1, v30
	v_cmp_eq_u32_e32 vcc, 1, v30
	s_xor_b64 s[8:9], vcc, -1
	s_and_b64 s[8:9], s[8:9], exec
	s_or_b64 s[0:1], s[0:1], s[8:9]
	s_or_b64 exec, exec, s[2:3]
	v_mov_b32_e32 v30, s6
	s_and_saveexec_b64 s[2:3], s[0:1]
	s_cbranch_execz .LBB88_155
.LBB88_360:
	ds_read_u8 v30, v8 offset:2052
	s_waitcnt lgkmcnt(0)
	v_xor_b32_e32 v30, 1, v30
	s_or_b64 exec, exec, s[2:3]
	v_cmp_eq_u32_e32 vcc, v30, v27
	s_and_saveexec_b64 s[0:1], vcc
	s_cbranch_execnz .LBB88_156
	s_branch .LBB88_157
.LBB88_361:
	ds_read_u8 v30, v5 offset:2048
	s_andn2_b64 s[0:1], s[0:1], exec
	s_mov_b32 s6, 1
	s_waitcnt lgkmcnt(0)
	v_and_b32_e32 v30, 1, v30
	v_cmp_eq_u32_e32 vcc, 1, v30
	s_xor_b64 s[8:9], vcc, -1
	s_and_b64 s[8:9], s[8:9], exec
	s_or_b64 s[0:1], s[0:1], s[8:9]
	s_or_b64 exec, exec, s[2:3]
	v_mov_b32_e32 v30, s6
	s_and_saveexec_b64 s[2:3], s[0:1]
	s_cbranch_execz .LBB88_159
.LBB88_362:
	ds_read_u8 v30, v5 offset:2050
	s_waitcnt lgkmcnt(0)
	v_xor_b32_e32 v30, 1, v30
	s_or_b64 exec, exec, s[2:3]
	v_cmp_eq_u32_e32 vcc, v30, v27
	s_and_saveexec_b64 s[0:1], vcc
	s_cbranch_execnz .LBB88_160
	s_branch .LBB88_161
.LBB88_363:
	ds_read_u8 v29, v4 offset:2048
	s_andn2_b64 s[0:1], s[0:1], exec
	s_mov_b32 s6, 1
	s_waitcnt lgkmcnt(0)
	v_and_b32_e32 v29, 1, v29
	v_cmp_eq_u32_e32 vcc, 1, v29
	s_xor_b64 s[8:9], vcc, -1
	s_and_b64 s[8:9], s[8:9], exec
	s_or_b64 s[0:1], s[0:1], s[8:9]
	s_or_b64 exec, exec, s[2:3]
	v_mov_b32_e32 v29, s6
	s_and_saveexec_b64 s[2:3], s[0:1]
	s_cbranch_execz .LBB88_163
.LBB88_364:
	ds_read_u8 v29, v1 offset:2049
	s_waitcnt lgkmcnt(0)
	v_xor_b32_e32 v29, 1, v29
	s_or_b64 exec, exec, s[2:3]
	v_cmp_eq_u32_e32 vcc, v29, v27
	s_and_saveexec_b64 s[0:1], vcc
	s_cbranch_execnz .LBB88_164
	s_branch .LBB88_165
.LBB88_365:
	ds_read_u8 v33, v24 offset:2048
	s_andn2_b64 s[0:1], s[0:1], exec
	s_mov_b32 s6, 1
	s_waitcnt lgkmcnt(0)
	v_and_b32_e32 v33, 1, v33
	v_cmp_eq_u32_e32 vcc, 1, v33
	s_xor_b64 s[8:9], vcc, -1
	s_and_b64 s[8:9], s[8:9], exec
	s_or_b64 s[0:1], s[0:1], s[8:9]
	s_or_b64 exec, exec, s[2:3]
	v_mov_b32_e32 v33, s6
	s_and_saveexec_b64 s[2:3], s[0:1]
	s_cbranch_execz .LBB88_173
.LBB88_366:
	ds_read_u8 v33, v24 offset:2176
	s_waitcnt lgkmcnt(0)
	v_xor_b32_e32 v33, 1, v33
	s_or_b64 exec, exec, s[2:3]
	v_cmp_eq_u32_e32 vcc, v33, v30
	s_and_saveexec_b64 s[0:1], vcc
	s_cbranch_execnz .LBB88_174
	s_branch .LBB88_175
.LBB88_367:
	ds_read_u8 v33, v21 offset:2048
	s_andn2_b64 s[0:1], s[0:1], exec
	s_mov_b32 s6, 1
	s_waitcnt lgkmcnt(0)
	v_and_b32_e32 v33, 1, v33
	v_cmp_eq_u32_e32 vcc, 1, v33
	s_xor_b64 s[8:9], vcc, -1
	s_and_b64 s[8:9], s[8:9], exec
	s_or_b64 s[0:1], s[0:1], s[8:9]
	s_or_b64 exec, exec, s[2:3]
	v_mov_b32_e32 v33, s6
	s_and_saveexec_b64 s[2:3], s[0:1]
	s_cbranch_execz .LBB88_177
.LBB88_368:
	ds_read_u8 v33, v21 offset:2112
	s_waitcnt lgkmcnt(0)
	v_xor_b32_e32 v33, 1, v33
	s_or_b64 exec, exec, s[2:3]
	v_cmp_eq_u32_e32 vcc, v33, v30
	s_and_saveexec_b64 s[0:1], vcc
	s_cbranch_execnz .LBB88_178
	s_branch .LBB88_179
.LBB88_369:
	ds_read_u8 v33, v18 offset:2048
	s_andn2_b64 s[0:1], s[0:1], exec
	s_mov_b32 s6, 1
	s_waitcnt lgkmcnt(0)
	v_and_b32_e32 v33, 1, v33
	v_cmp_eq_u32_e32 vcc, 1, v33
	s_xor_b64 s[8:9], vcc, -1
	s_and_b64 s[8:9], s[8:9], exec
	s_or_b64 s[0:1], s[0:1], s[8:9]
	s_or_b64 exec, exec, s[2:3]
	v_mov_b32_e32 v33, s6
	s_and_saveexec_b64 s[2:3], s[0:1]
	s_cbranch_execz .LBB88_181
.LBB88_370:
	ds_read_u8 v33, v18 offset:2080
	s_waitcnt lgkmcnt(0)
	v_xor_b32_e32 v33, 1, v33
	s_or_b64 exec, exec, s[2:3]
	v_cmp_eq_u32_e32 vcc, v33, v30
	s_and_saveexec_b64 s[0:1], vcc
	s_cbranch_execnz .LBB88_182
	s_branch .LBB88_183
.LBB88_371:
	ds_read_u8 v33, v15 offset:2048
	s_andn2_b64 s[0:1], s[0:1], exec
	s_mov_b32 s6, 1
	s_waitcnt lgkmcnt(0)
	v_and_b32_e32 v33, 1, v33
	v_cmp_eq_u32_e32 vcc, 1, v33
	s_xor_b64 s[8:9], vcc, -1
	s_and_b64 s[8:9], s[8:9], exec
	s_or_b64 s[0:1], s[0:1], s[8:9]
	s_or_b64 exec, exec, s[2:3]
	v_mov_b32_e32 v33, s6
	s_and_saveexec_b64 s[2:3], s[0:1]
	s_cbranch_execz .LBB88_185
.LBB88_372:
	ds_read_u8 v33, v15 offset:2064
	s_waitcnt lgkmcnt(0)
	v_xor_b32_e32 v33, 1, v33
	s_or_b64 exec, exec, s[2:3]
	v_cmp_eq_u32_e32 vcc, v33, v30
	s_and_saveexec_b64 s[0:1], vcc
	s_cbranch_execnz .LBB88_186
	s_branch .LBB88_187
.LBB88_373:
	ds_read_u8 v33, v12 offset:2048
	s_andn2_b64 s[0:1], s[0:1], exec
	s_mov_b32 s6, 1
	s_waitcnt lgkmcnt(0)
	v_and_b32_e32 v33, 1, v33
	v_cmp_eq_u32_e32 vcc, 1, v33
	s_xor_b64 s[8:9], vcc, -1
	s_and_b64 s[8:9], s[8:9], exec
	s_or_b64 s[0:1], s[0:1], s[8:9]
	s_or_b64 exec, exec, s[2:3]
	v_mov_b32_e32 v33, s6
	s_and_saveexec_b64 s[2:3], s[0:1]
	s_cbranch_execz .LBB88_189
.LBB88_374:
	ds_read_u8 v33, v12 offset:2056
	s_waitcnt lgkmcnt(0)
	v_xor_b32_e32 v33, 1, v33
	s_or_b64 exec, exec, s[2:3]
	v_cmp_eq_u32_e32 vcc, v33, v30
	s_and_saveexec_b64 s[0:1], vcc
	s_cbranch_execnz .LBB88_190
	s_branch .LBB88_191
.LBB88_375:
	ds_read_u8 v33, v8 offset:2048
	s_andn2_b64 s[0:1], s[0:1], exec
	s_mov_b32 s6, 1
	s_waitcnt lgkmcnt(0)
	v_and_b32_e32 v33, 1, v33
	v_cmp_eq_u32_e32 vcc, 1, v33
	s_xor_b64 s[8:9], vcc, -1
	s_and_b64 s[8:9], s[8:9], exec
	s_or_b64 s[0:1], s[0:1], s[8:9]
	s_or_b64 exec, exec, s[2:3]
	v_mov_b32_e32 v33, s6
	s_and_saveexec_b64 s[2:3], s[0:1]
	s_cbranch_execz .LBB88_193
.LBB88_376:
	ds_read_u8 v33, v8 offset:2052
	s_waitcnt lgkmcnt(0)
	v_xor_b32_e32 v33, 1, v33
	s_or_b64 exec, exec, s[2:3]
	v_cmp_eq_u32_e32 vcc, v33, v30
	s_and_saveexec_b64 s[0:1], vcc
	s_cbranch_execnz .LBB88_194
	s_branch .LBB88_195
.LBB88_377:
	ds_read_u8 v33, v5 offset:2048
	s_andn2_b64 s[0:1], s[0:1], exec
	s_mov_b32 s6, 1
	s_waitcnt lgkmcnt(0)
	v_and_b32_e32 v33, 1, v33
	v_cmp_eq_u32_e32 vcc, 1, v33
	s_xor_b64 s[8:9], vcc, -1
	s_and_b64 s[8:9], s[8:9], exec
	s_or_b64 s[0:1], s[0:1], s[8:9]
	s_or_b64 exec, exec, s[2:3]
	v_mov_b32_e32 v33, s6
	s_and_saveexec_b64 s[2:3], s[0:1]
	s_cbranch_execz .LBB88_197
.LBB88_378:
	ds_read_u8 v33, v5 offset:2050
	s_waitcnt lgkmcnt(0)
	v_xor_b32_e32 v33, 1, v33
	s_or_b64 exec, exec, s[2:3]
	v_cmp_eq_u32_e32 vcc, v33, v30
	s_and_saveexec_b64 s[0:1], vcc
	s_cbranch_execnz .LBB88_198
	s_branch .LBB88_199
.LBB88_379:
	ds_read_u8 v32, v4 offset:2048
	s_andn2_b64 s[0:1], s[0:1], exec
	s_mov_b32 s6, 1
	s_waitcnt lgkmcnt(0)
	v_and_b32_e32 v32, 1, v32
	v_cmp_eq_u32_e32 vcc, 1, v32
	s_xor_b64 s[8:9], vcc, -1
	s_and_b64 s[8:9], s[8:9], exec
	s_or_b64 s[0:1], s[0:1], s[8:9]
	s_or_b64 exec, exec, s[2:3]
	v_mov_b32_e32 v32, s6
	s_and_saveexec_b64 s[2:3], s[0:1]
	s_cbranch_execz .LBB88_201
.LBB88_380:
	ds_read_u8 v32, v1 offset:2049
	s_waitcnt lgkmcnt(0)
	v_xor_b32_e32 v32, 1, v32
	s_or_b64 exec, exec, s[2:3]
	v_cmp_eq_u32_e32 vcc, v32, v30
	s_and_saveexec_b64 s[0:1], vcc
	s_cbranch_execnz .LBB88_202
	s_branch .LBB88_203
.LBB88_381:
	ds_read_u8 v35, v30 offset:2048
	s_andn2_b64 s[0:1], s[0:1], exec
	s_waitcnt lgkmcnt(0)
	v_and_b32_e32 v35, 1, v35
	v_cmp_eq_u32_e32 vcc, 1, v35
	s_xor_b64 s[8:9], vcc, -1
	s_and_b64 s[8:9], s[8:9], exec
	s_or_b64 s[0:1], s[0:1], s[8:9]
	s_or_b64 exec, exec, s[2:3]
	v_mov_b32_e32 v35, s6
	s_and_saveexec_b64 s[2:3], s[0:1]
	s_cbranch_execz .LBB88_205
.LBB88_382:
	ds_read_u8 v35, v30 offset:2560
	s_waitcnt lgkmcnt(0)
	v_xor_b32_e32 v35, 1, v35
	s_or_b64 exec, exec, s[2:3]
	v_cmp_eq_u32_e32 vcc, 0, v35
	s_and_saveexec_b64 s[0:1], vcc
	s_cbranch_execnz .LBB88_206
	s_branch .LBB88_207
.LBB88_383:
	ds_read_u8 v32, v27 offset:2048
	s_andn2_b64 s[0:1], s[0:1], exec
	s_mov_b32 s6, 1
	s_waitcnt lgkmcnt(0)
	v_and_b32_e32 v32, 1, v32
	v_cmp_eq_u32_e32 vcc, 1, v32
	s_xor_b64 s[8:9], vcc, -1
	s_and_b64 s[8:9], s[8:9], exec
	s_or_b64 s[0:1], s[0:1], s[8:9]
	s_or_b64 exec, exec, s[2:3]
	v_mov_b32_e32 v32, s6
	s_and_saveexec_b64 s[2:3], s[0:1]
	s_cbranch_execz .LBB88_209
.LBB88_384:
	ds_read_u8 v32, v27 offset:2304
	s_waitcnt lgkmcnt(0)
	v_xor_b32_e32 v32, 1, v32
	s_or_b64 exec, exec, s[2:3]
	v_cmp_eq_u32_e32 vcc, 0, v32
	s_and_saveexec_b64 s[0:1], vcc
	s_cbranch_execnz .LBB88_210
	s_branch .LBB88_211
.LBB88_385:
	ds_read_u8 v29, v24 offset:2048
	s_andn2_b64 s[0:1], s[0:1], exec
	s_mov_b32 s6, 1
	s_waitcnt lgkmcnt(0)
	v_and_b32_e32 v29, 1, v29
	v_cmp_eq_u32_e32 vcc, 1, v29
	s_xor_b64 s[8:9], vcc, -1
	s_and_b64 s[8:9], s[8:9], exec
	s_or_b64 s[0:1], s[0:1], s[8:9]
	s_or_b64 exec, exec, s[2:3]
	v_mov_b32_e32 v29, s6
	s_and_saveexec_b64 s[2:3], s[0:1]
	s_cbranch_execz .LBB88_213
.LBB88_386:
	ds_read_u8 v29, v24 offset:2176
	s_waitcnt lgkmcnt(0)
	v_xor_b32_e32 v29, 1, v29
	s_or_b64 exec, exec, s[2:3]
	v_cmp_eq_u32_e32 vcc, 0, v29
	s_and_saveexec_b64 s[0:1], vcc
	s_cbranch_execnz .LBB88_214
	s_branch .LBB88_215
.LBB88_387:
	ds_read_b32 v5, v14 offset:2048
	s_or_b64 exec, exec, s[12:13]
	s_and_saveexec_b64 s[12:13], s[10:11]
	s_cbranch_execz .LBB88_296
.LBB88_388:
	ds_read_b32 v3, v14 offset:2052
	s_or_b64 exec, exec, s[12:13]
	s_and_saveexec_b64 s[20:21], s[0:1]
	s_cbranch_execz .LBB88_297
.LBB88_389:
	s_waitcnt lgkmcnt(0)
	ds_bpermute_b32 v6, v1, v5
	ds_bpermute_b32 v7, v1, v3
	s_waitcnt lgkmcnt(1)
	v_max_u32_e32 v15, v6, v5
	v_cmp_gt_u32_e64 s[12:13], v6, v5
	ds_bpermute_b32 v16, v8, v15
	s_waitcnt lgkmcnt(1)
	v_cndmask_b32_e64 v3, v3, v7, s[12:13]
	ds_bpermute_b32 v5, v8, v3
	s_waitcnt lgkmcnt(1)
	v_max_u32_e32 v6, v16, v15
	v_cmp_gt_u32_e64 s[12:13], v16, v15
	ds_bpermute_b32 v7, v9, v6
	s_waitcnt lgkmcnt(1)
	v_cndmask_b32_e64 v3, v3, v5, s[12:13]
	;; [unrolled: 7-line block ×4, first 2 shown]
	ds_bpermute_b32 v5, v12, v3
	s_waitcnt lgkmcnt(1)
	v_max_u32_e32 v15, v7, v6
	v_cmp_gt_u32_e64 s[12:13], v7, v6
	s_waitcnt lgkmcnt(0)
	v_cndmask_b32_e64 v3, v3, v5, s[12:13]
	ds_bpermute_b32 v5, v13, v15
	ds_bpermute_b32 v6, v13, v3
	s_waitcnt lgkmcnt(1)
	v_cmp_gt_u32_e64 s[12:13], v5, v15
	s_waitcnt lgkmcnt(0)
	v_cndmask_b32_e64 v3, v3, v6, s[12:13]
	s_or_b64 exec, exec, s[20:21]
	s_and_saveexec_b64 s[12:13], vcc
	s_cbranch_execnz .LBB88_298
	s_branch .LBB88_299
.LBB88_390:
	v_lshlrev_b32_e32 v0, 2, v11
	v_sub_u32_e32 v0, v14, v0
	ds_read_b32 v0, v0
	s_or_b64 exec, exec, s[2:3]
	s_and_saveexec_b64 s[2:3], s[0:1]
	s_cbranch_execz .LBB88_307
.LBB88_391:
	s_waitcnt lgkmcnt(0)
	ds_bpermute_b32 v1, v1, v0
	s_waitcnt lgkmcnt(0)
	v_max_u32_e32 v0, v1, v0
	ds_bpermute_b32 v1, v8, v0
	s_waitcnt lgkmcnt(0)
	v_max_u32_e32 v0, v1, v0
	;; [unrolled: 3-line block ×6, first 2 shown]
	s_or_b64 exec, exec, s[2:3]
	s_and_saveexec_b64 s[0:1], vcc
	s_cbranch_execz .LBB88_308
.LBB88_392:
	s_load_dword s6, s[4:5], 0xd8
	s_load_dwordx2 s[0:1], s[4:5], 0xe0
	s_add_u32 s2, s4, 8
	s_addc_u32 s3, s5, 0
	s_mov_b32 s5, 0
	s_waitcnt lgkmcnt(0)
	s_cmp_lt_i32 s6, 2
	s_cbranch_scc1 .LBB88_395
; %bb.393:
	s_add_i32 s4, s6, -1
	s_add_i32 s8, s6, 1
	s_lshl_b64 s[6:7], s[4:5], 2
	s_add_u32 s4, s6, s2
	s_addc_u32 s7, s7, s3
	s_add_u32 s6, s4, 8
	s_addc_u32 s7, s7, 0
.LBB88_394:                             ; =>This Inner Loop Header: Depth=1
	s_load_dword s4, s[6:7], 0x0
	s_load_dword s10, s[6:7], 0x64
	s_mov_b32 s9, s14
	s_waitcnt lgkmcnt(0)
	v_cvt_f32_u32_e32 v1, s4
	s_sub_i32 s11, 0, s4
	v_rcp_iflag_f32_e32 v1, v1
	v_mul_f32_e32 v1, 0x4f7ffffe, v1
	v_cvt_u32_f32_e32 v1, v1
	v_readfirstlane_b32 s12, v1
	s_mul_i32 s11, s11, s12
	s_mul_hi_u32 s11, s12, s11
	s_add_i32 s12, s12, s11
	s_mul_hi_u32 s11, s14, s12
	s_mul_i32 s12, s11, s4
	s_sub_i32 s12, s14, s12
	s_add_i32 s13, s11, 1
	s_sub_i32 s14, s12, s4
	s_cmp_ge_u32 s12, s4
	s_cselect_b32 s11, s13, s11
	s_cselect_b32 s12, s14, s12
	s_add_i32 s13, s11, 1
	s_cmp_ge_u32 s12, s4
	s_cselect_b32 s14, s13, s11
	s_mul_i32 s4, s14, s4
	s_sub_i32 s4, s9, s4
	s_mul_i32 s4, s10, s4
	s_add_i32 s8, s8, -1
	s_add_i32 s5, s4, s5
	s_add_u32 s6, s6, -4
	s_addc_u32 s7, s7, -1
	s_cmp_gt_u32 s8, 2
	s_cbranch_scc1 .LBB88_394
.LBB88_395:
	s_load_dword s4, s[2:3], 0x6c
	v_mov_b32_e32 v1, 0
	s_load_dwordx2 s[2:3], s[2:3], 0x0
	ds_read_u16 v2, v1
	s_mov_b32 s7, 0
	s_waitcnt lgkmcnt(0)
	s_mul_i32 s4, s4, s14
	s_add_i32 s6, s4, s5
	s_lshl_b64 s[4:5], s[6:7], 1
	s_add_u32 s2, s2, s4
	s_addc_u32 s3, s3, s5
	global_store_short v1, v2, s[2:3]
	s_lshl_b64 s[2:3], s[6:7], 3
	s_add_u32 s0, s0, s2
	s_addc_u32 s1, s1, s3
	global_store_dwordx2 v1, v[0:1], s[0:1]
	s_endpgm
	.section	.rodata,"a",@progbits
	.p2align	6, 0x0
	.amdhsa_kernel _ZN2at6native12compute_modeIsLj1024EEEvPKT_NS_4cuda6detail10TensorInfoIS2_jEENS7_IljEEll
		.amdhsa_group_segment_fixed_size 2
		.amdhsa_private_segment_fixed_size 0
		.amdhsa_kernarg_size 712
		.amdhsa_user_sgpr_count 6
		.amdhsa_user_sgpr_private_segment_buffer 1
		.amdhsa_user_sgpr_dispatch_ptr 0
		.amdhsa_user_sgpr_queue_ptr 0
		.amdhsa_user_sgpr_kernarg_segment_ptr 1
		.amdhsa_user_sgpr_dispatch_id 0
		.amdhsa_user_sgpr_flat_scratch_init 0
		.amdhsa_user_sgpr_kernarg_preload_length 0
		.amdhsa_user_sgpr_kernarg_preload_offset 0
		.amdhsa_user_sgpr_private_segment_size 0
		.amdhsa_uses_dynamic_stack 0
		.amdhsa_system_sgpr_private_segment_wavefront_offset 0
		.amdhsa_system_sgpr_workgroup_id_x 1
		.amdhsa_system_sgpr_workgroup_id_y 1
		.amdhsa_system_sgpr_workgroup_id_z 1
		.amdhsa_system_sgpr_workgroup_info 0
		.amdhsa_system_vgpr_workitem_id 0
		.amdhsa_next_free_vgpr 37
		.amdhsa_next_free_sgpr 22
		.amdhsa_accum_offset 40
		.amdhsa_reserve_vcc 1
		.amdhsa_reserve_flat_scratch 0
		.amdhsa_float_round_mode_32 0
		.amdhsa_float_round_mode_16_64 0
		.amdhsa_float_denorm_mode_32 3
		.amdhsa_float_denorm_mode_16_64 3
		.amdhsa_dx10_clamp 1
		.amdhsa_ieee_mode 1
		.amdhsa_fp16_overflow 0
		.amdhsa_tg_split 0
		.amdhsa_exception_fp_ieee_invalid_op 0
		.amdhsa_exception_fp_denorm_src 0
		.amdhsa_exception_fp_ieee_div_zero 0
		.amdhsa_exception_fp_ieee_overflow 0
		.amdhsa_exception_fp_ieee_underflow 0
		.amdhsa_exception_fp_ieee_inexact 0
		.amdhsa_exception_int_div_zero 0
	.end_amdhsa_kernel
	.section	.text._ZN2at6native12compute_modeIsLj1024EEEvPKT_NS_4cuda6detail10TensorInfoIS2_jEENS7_IljEEll,"axG",@progbits,_ZN2at6native12compute_modeIsLj1024EEEvPKT_NS_4cuda6detail10TensorInfoIS2_jEENS7_IljEEll,comdat
.Lfunc_end88:
	.size	_ZN2at6native12compute_modeIsLj1024EEEvPKT_NS_4cuda6detail10TensorInfoIS2_jEENS7_IljEEll, .Lfunc_end88-_ZN2at6native12compute_modeIsLj1024EEEvPKT_NS_4cuda6detail10TensorInfoIS2_jEENS7_IljEEll
                                        ; -- End function
	.section	.AMDGPU.csdata,"",@progbits
; Kernel info:
; codeLenInByte = 17224
; NumSgprs: 26
; NumVgprs: 37
; NumAgprs: 0
; TotalNumVgprs: 37
; ScratchSize: 0
; MemoryBound: 0
; FloatMode: 240
; IeeeMode: 1
; LDSByteSize: 2 bytes/workgroup (compile time only)
; SGPRBlocks: 3
; VGPRBlocks: 4
; NumSGPRsForWavesPerEU: 26
; NumVGPRsForWavesPerEU: 37
; AccumOffset: 40
; Occupancy: 8
; WaveLimiterHint : 1
; COMPUTE_PGM_RSRC2:SCRATCH_EN: 0
; COMPUTE_PGM_RSRC2:USER_SGPR: 6
; COMPUTE_PGM_RSRC2:TRAP_HANDLER: 0
; COMPUTE_PGM_RSRC2:TGID_X_EN: 1
; COMPUTE_PGM_RSRC2:TGID_Y_EN: 1
; COMPUTE_PGM_RSRC2:TGID_Z_EN: 1
; COMPUTE_PGM_RSRC2:TIDIG_COMP_CNT: 0
; COMPUTE_PGM_RSRC3_GFX90A:ACCUM_OFFSET: 9
; COMPUTE_PGM_RSRC3_GFX90A:TG_SPLIT: 0
	.section	.text._ZN2at6native12compute_modeIsLj128EEEvPKT_NS_4cuda6detail10TensorInfoIS2_jEENS7_IljEEll,"axG",@progbits,_ZN2at6native12compute_modeIsLj128EEEvPKT_NS_4cuda6detail10TensorInfoIS2_jEENS7_IljEEll,comdat
	.protected	_ZN2at6native12compute_modeIsLj128EEEvPKT_NS_4cuda6detail10TensorInfoIS2_jEENS7_IljEEll ; -- Begin function _ZN2at6native12compute_modeIsLj128EEEvPKT_NS_4cuda6detail10TensorInfoIS2_jEENS7_IljEEll
	.globl	_ZN2at6native12compute_modeIsLj128EEEvPKT_NS_4cuda6detail10TensorInfoIS2_jEENS7_IljEEll
	.p2align	8
	.type	_ZN2at6native12compute_modeIsLj128EEEvPKT_NS_4cuda6detail10TensorInfoIS2_jEENS7_IljEEll,@function
_ZN2at6native12compute_modeIsLj128EEEvPKT_NS_4cuda6detail10TensorInfoIS2_jEENS7_IljEEll: ; @_ZN2at6native12compute_modeIsLj128EEEvPKT_NS_4cuda6detail10TensorInfoIS2_jEENS7_IljEEll
; %bb.0:
	s_load_dwordx4 s[16:19], s[4:5], 0x1b8
	s_load_dwordx2 s[2:3], s[4:5], 0x1c8
	s_add_u32 s0, s4, 0x1c8
	s_addc_u32 s1, s5, 0
	s_mov_b32 s15, 0
	s_waitcnt lgkmcnt(0)
	v_mov_b32_e32 v2, s18
	s_mul_i32 s3, s3, s8
	s_add_i32 s3, s3, s7
	s_mul_i32 s2, s3, s2
	v_mov_b32_e32 v3, s19
	s_add_i32 s14, s2, s6
	v_cmp_ge_i64_e32 vcc, s[14:15], v[2:3]
	s_cbranch_vccnz .LBB89_182
; %bb.1:
	s_load_dwordx2 s[18:19], s[4:5], 0x0
	s_load_dword s6, s[0:1], 0xc
	v_mov_b32_e32 v3, 0
	v_mov_b32_e32 v1, v3
	s_mul_i32 s15, s14, s16
	v_cmp_gt_i64_e32 vcc, s[16:17], v[0:1]
	s_and_saveexec_b64 s[2:3], vcc
	s_cbranch_execz .LBB89_3
; %bb.2:
	v_add_u32_e32 v2, s15, v0
	v_lshlrev_b64 v[4:5], 1, v[2:3]
	s_waitcnt lgkmcnt(0)
	v_mov_b32_e32 v1, s19
	v_add_co_u32_e64 v4, s[0:1], s18, v4
	v_addc_co_u32_e64 v5, s[0:1], v1, v5, s[0:1]
	global_load_ushort v1, v[4:5], off
	v_lshl_add_u32 v2, v0, 1, 2
	s_waitcnt vmcnt(0)
	ds_write_b16 v2, v1
.LBB89_3:
	s_or_b64 exec, exec, s[2:3]
	s_waitcnt lgkmcnt(0)
	s_and_b32 s20, 0xffff, s6
	v_add_u32_e32 v2, s20, v0
	v_cmp_gt_i64_e64 s[0:1], s[16:17], v[2:3]
	s_and_saveexec_b64 s[6:7], s[0:1]
	s_cbranch_execz .LBB89_5
; %bb.4:
	v_add_u32_e32 v4, s15, v2
	v_mov_b32_e32 v5, 0
	v_lshlrev_b64 v[4:5], 1, v[4:5]
	v_mov_b32_e32 v1, s19
	v_add_co_u32_e64 v4, s[2:3], s18, v4
	v_addc_co_u32_e64 v5, s[2:3], v1, v5, s[2:3]
	global_load_ushort v1, v[4:5], off
	v_lshl_add_u32 v2, v2, 1, 2
	s_waitcnt vmcnt(0)
	ds_write_b16 v2, v1
.LBB89_5:
	s_or_b64 exec, exec, s[6:7]
	v_add_u32_e32 v1, 2, v0
	v_cndmask_b32_e64 v2, 0, 1, vcc
	ds_write_b8 v1, v2 offset:256
	v_add_u32_e32 v2, s20, v1
	v_cndmask_b32_e64 v3, 0, 1, s[0:1]
	ds_write_b8 v2, v3 offset:256
	v_mad_u32_u24 v3, v0, 3, v1
	s_waitcnt lgkmcnt(0)
	s_barrier
	s_barrier
	ds_read_b32 v5, v3
	v_lshlrev_b32_e32 v2, 1, v0
	s_mov_b32 s6, 1
	v_sub_u32_e32 v4, v3, v2
	s_waitcnt lgkmcnt(0)
	v_cmp_ge_i16_sdwa s[0:1], v5, v5 src0_sel:DWORD src1_sel:WORD_1
	v_cmp_lt_i16_sdwa s[8:9], v5, v5 src0_sel:DWORD src1_sel:WORD_1
	s_and_saveexec_b64 s[2:3], s[8:9]
	s_cbranch_execz .LBB89_7
; %bb.6:
	ds_read_u8 v1, v4 offset:256
	s_andn2_b64 s[0:1], s[0:1], exec
	s_waitcnt lgkmcnt(0)
	v_and_b32_e32 v1, 1, v1
	v_cmp_eq_u32_e32 vcc, 1, v1
	s_xor_b64 s[8:9], vcc, -1
	s_and_b64 s[8:9], s[8:9], exec
	s_or_b64 s[0:1], s[0:1], s[8:9]
.LBB89_7:
	s_or_b64 exec, exec, s[2:3]
	v_mov_b32_e32 v7, s6
	v_add_u32_e32 v1, 2, v2
	s_and_saveexec_b64 s[2:3], s[0:1]
	s_cbranch_execz .LBB89_9
; %bb.8:
	ds_read_u8 v6, v1 offset:257
	s_waitcnt lgkmcnt(0)
	v_xor_b32_e32 v7, 1, v6
.LBB89_9:
	s_or_b64 exec, exec, s[2:3]
	v_and_b32_e32 v6, 1, v0
	v_cmp_eq_u32_e32 vcc, v7, v6
	s_and_saveexec_b64 s[0:1], vcc
	s_cbranch_execz .LBB89_11
; %bb.10:
	ds_read_u8 v7, v1 offset:257
	ds_read_u8 v8, v4 offset:256
	v_alignbit_b32 v5, v5, v5, 16
	ds_write_b32 v3, v5
	s_waitcnt lgkmcnt(2)
	ds_write_b8 v4, v7 offset:256
	s_waitcnt lgkmcnt(2)
	ds_write_b8 v1, v8 offset:257
.LBB89_11:
	s_or_b64 exec, exec, s[0:1]
	v_sub_u32_e32 v7, v2, v6
	v_lshl_add_u32 v6, v7, 1, 2
	v_add_u32_e32 v5, 2, v7
	s_waitcnt lgkmcnt(0)
	s_barrier
	v_add_u32_e32 v7, v5, v7
	ds_read_u16 v9, v6
	ds_read_u16 v10, v7 offset:4
	s_mov_b64 s[0:1], -1
                                        ; implicit-def: $sgpr6
	s_waitcnt lgkmcnt(0)
	v_cmp_lt_i16_e32 vcc, v9, v10
	s_and_saveexec_b64 s[2:3], vcc
	s_xor_b64 s[2:3], exec, s[2:3]
	s_cbranch_execz .LBB89_13
; %bb.12:
	ds_read_u8 v8, v5 offset:256
	s_mov_b32 s6, 1
	s_waitcnt lgkmcnt(0)
	v_and_b32_e32 v8, 1, v8
	v_cmp_eq_u32_e32 vcc, 1, v8
	s_xor_b64 s[0:1], vcc, -1
	s_orn2_b64 s[0:1], s[0:1], exec
.LBB89_13:
	s_or_b64 exec, exec, s[2:3]
	v_mov_b32_e32 v11, s6
	s_and_saveexec_b64 s[2:3], s[0:1]
	s_cbranch_execz .LBB89_15
; %bb.14:
	ds_read_u8 v8, v5 offset:258
	s_waitcnt lgkmcnt(0)
	v_xor_b32_e32 v11, 1, v8
.LBB89_15:
	s_or_b64 exec, exec, s[2:3]
	v_bfe_u32 v8, v0, 1, 1
	v_cmp_eq_u32_e32 vcc, v11, v8
	s_and_saveexec_b64 s[0:1], vcc
	s_cbranch_execz .LBB89_17
; %bb.16:
	ds_read_u8 v11, v5 offset:258
	ds_read_u8 v12, v5 offset:256
	ds_write_b16 v6, v10
	ds_write_b16 v7, v9 offset:4
	s_waitcnt lgkmcnt(3)
	ds_write_b8 v5, v11 offset:256
	s_waitcnt lgkmcnt(3)
	ds_write_b8 v5, v12 offset:258
.LBB89_17:
	s_or_b64 exec, exec, s[0:1]
	s_waitcnt lgkmcnt(0)
	s_barrier
	ds_read_b32 v9, v3
                                        ; implicit-def: $sgpr6
	s_waitcnt lgkmcnt(0)
	v_cmp_ge_i16_sdwa s[0:1], v9, v9 src0_sel:DWORD src1_sel:WORD_1
	v_cmp_lt_i16_sdwa s[8:9], v9, v9 src0_sel:DWORD src1_sel:WORD_1
	s_and_saveexec_b64 s[2:3], s[8:9]
	s_cbranch_execnz .LBB89_183
; %bb.18:
	s_or_b64 exec, exec, s[2:3]
	v_mov_b32_e32 v10, s6
	s_and_saveexec_b64 s[2:3], s[0:1]
	s_cbranch_execnz .LBB89_184
.LBB89_19:
	s_or_b64 exec, exec, s[2:3]
	v_cmp_eq_u32_e32 vcc, v10, v8
	s_and_saveexec_b64 s[0:1], vcc
	s_cbranch_execz .LBB89_21
.LBB89_20:
	ds_read_u8 v8, v1 offset:257
	ds_read_u8 v10, v4 offset:256
	v_alignbit_b32 v9, v9, v9, 16
	ds_write_b32 v3, v9
	s_waitcnt lgkmcnt(2)
	ds_write_b8 v4, v8 offset:256
	s_waitcnt lgkmcnt(2)
	ds_write_b8 v1, v10 offset:257
.LBB89_21:
	s_or_b64 exec, exec, s[0:1]
	v_and_b32_e32 v8, 3, v0
	v_sub_u32_e32 v10, v2, v8
	v_lshl_add_u32 v9, v10, 1, 2
	v_add_u32_e32 v8, 2, v10
	s_waitcnt lgkmcnt(0)
	s_barrier
	v_add_u32_e32 v10, v8, v10
	ds_read_u16 v12, v9
	ds_read_u16 v13, v10 offset:8
	s_mov_b32 s6, 1
	s_waitcnt lgkmcnt(0)
	v_cmp_ge_i16_e64 s[0:1], v12, v13
	v_cmp_lt_i16_e32 vcc, v12, v13
	s_and_saveexec_b64 s[2:3], vcc
	s_cbranch_execz .LBB89_23
; %bb.22:
	ds_read_u8 v11, v8 offset:256
	s_andn2_b64 s[0:1], s[0:1], exec
	s_waitcnt lgkmcnt(0)
	v_and_b32_e32 v11, 1, v11
	v_cmp_eq_u32_e32 vcc, 1, v11
	s_xor_b64 s[8:9], vcc, -1
	s_and_b64 s[8:9], s[8:9], exec
	s_or_b64 s[0:1], s[0:1], s[8:9]
.LBB89_23:
	s_or_b64 exec, exec, s[2:3]
	v_mov_b32_e32 v14, s6
	s_and_saveexec_b64 s[2:3], s[0:1]
	s_cbranch_execz .LBB89_25
; %bb.24:
	ds_read_u8 v11, v8 offset:260
	s_waitcnt lgkmcnt(0)
	v_xor_b32_e32 v14, 1, v11
.LBB89_25:
	s_or_b64 exec, exec, s[2:3]
	v_bfe_u32 v11, v0, 2, 1
	v_cmp_eq_u32_e32 vcc, v14, v11
	s_and_saveexec_b64 s[0:1], vcc
	s_cbranch_execz .LBB89_27
; %bb.26:
	ds_read_u8 v14, v8 offset:260
	ds_read_u8 v15, v8 offset:256
	ds_write_b16 v9, v13
	ds_write_b16 v10, v12 offset:8
	s_waitcnt lgkmcnt(3)
	ds_write_b8 v8, v14 offset:256
	s_waitcnt lgkmcnt(3)
	ds_write_b8 v8, v15 offset:260
.LBB89_27:
	s_or_b64 exec, exec, s[0:1]
	s_waitcnt lgkmcnt(0)
	s_barrier
	ds_read_u16 v12, v6
	ds_read_u16 v13, v7 offset:4
                                        ; implicit-def: $sgpr6
	s_waitcnt lgkmcnt(0)
	v_cmp_ge_i16_e64 s[0:1], v12, v13
	v_cmp_lt_i16_e32 vcc, v12, v13
	s_and_saveexec_b64 s[2:3], vcc
	s_cbranch_execnz .LBB89_185
; %bb.28:
	s_or_b64 exec, exec, s[2:3]
	v_mov_b32_e32 v14, s6
	s_and_saveexec_b64 s[2:3], s[0:1]
	s_cbranch_execnz .LBB89_186
.LBB89_29:
	s_or_b64 exec, exec, s[2:3]
	v_cmp_eq_u32_e32 vcc, v14, v11
	s_and_saveexec_b64 s[0:1], vcc
	s_cbranch_execz .LBB89_31
.LBB89_30:
	ds_read_u8 v14, v5 offset:258
	ds_read_u8 v15, v5 offset:256
	ds_write_b16 v6, v13
	ds_write_b16 v7, v12 offset:4
	s_waitcnt lgkmcnt(3)
	ds_write_b8 v5, v14 offset:256
	s_waitcnt lgkmcnt(3)
	ds_write_b8 v5, v15 offset:258
.LBB89_31:
	s_or_b64 exec, exec, s[0:1]
	s_waitcnt lgkmcnt(0)
	s_barrier
	ds_read_b32 v12, v3
                                        ; implicit-def: $sgpr6
	s_waitcnt lgkmcnt(0)
	v_cmp_ge_i16_sdwa s[0:1], v12, v12 src0_sel:DWORD src1_sel:WORD_1
	v_cmp_lt_i16_sdwa s[8:9], v12, v12 src0_sel:DWORD src1_sel:WORD_1
	s_and_saveexec_b64 s[2:3], s[8:9]
	s_cbranch_execnz .LBB89_187
; %bb.32:
	s_or_b64 exec, exec, s[2:3]
	v_mov_b32_e32 v13, s6
	s_and_saveexec_b64 s[2:3], s[0:1]
	s_cbranch_execnz .LBB89_188
.LBB89_33:
	s_or_b64 exec, exec, s[2:3]
	v_cmp_eq_u32_e32 vcc, v13, v11
	s_and_saveexec_b64 s[0:1], vcc
	s_cbranch_execz .LBB89_35
.LBB89_34:
	ds_read_u8 v11, v1 offset:257
	ds_read_u8 v13, v4 offset:256
	v_alignbit_b32 v12, v12, v12, 16
	ds_write_b32 v3, v12
	s_waitcnt lgkmcnt(2)
	ds_write_b8 v4, v11 offset:256
	s_waitcnt lgkmcnt(2)
	ds_write_b8 v1, v13 offset:257
.LBB89_35:
	s_or_b64 exec, exec, s[0:1]
	v_and_b32_e32 v11, 7, v0
	v_sub_u32_e32 v13, v2, v11
	v_lshl_add_u32 v12, v13, 1, 2
	v_add_u32_e32 v11, 2, v13
	s_waitcnt lgkmcnt(0)
	s_barrier
	v_add_u32_e32 v13, v11, v13
	ds_read_u16 v15, v12
	ds_read_u16 v16, v13 offset:16
	s_mov_b32 s6, 1
	s_waitcnt lgkmcnt(0)
	v_cmp_ge_i16_e64 s[0:1], v15, v16
	v_cmp_lt_i16_e32 vcc, v15, v16
	s_and_saveexec_b64 s[2:3], vcc
	s_cbranch_execz .LBB89_37
; %bb.36:
	ds_read_u8 v14, v11 offset:256
	s_andn2_b64 s[0:1], s[0:1], exec
	s_waitcnt lgkmcnt(0)
	v_and_b32_e32 v14, 1, v14
	v_cmp_eq_u32_e32 vcc, 1, v14
	s_xor_b64 s[8:9], vcc, -1
	s_and_b64 s[8:9], s[8:9], exec
	s_or_b64 s[0:1], s[0:1], s[8:9]
.LBB89_37:
	s_or_b64 exec, exec, s[2:3]
	v_mov_b32_e32 v17, s6
	s_and_saveexec_b64 s[2:3], s[0:1]
	s_cbranch_execz .LBB89_39
; %bb.38:
	ds_read_u8 v14, v11 offset:264
	s_waitcnt lgkmcnt(0)
	v_xor_b32_e32 v17, 1, v14
.LBB89_39:
	s_or_b64 exec, exec, s[2:3]
	v_bfe_u32 v14, v0, 3, 1
	v_cmp_eq_u32_e32 vcc, v17, v14
	s_and_saveexec_b64 s[0:1], vcc
	s_cbranch_execz .LBB89_41
; %bb.40:
	ds_read_u8 v17, v11 offset:264
	ds_read_u8 v18, v11 offset:256
	ds_write_b16 v12, v16
	ds_write_b16 v13, v15 offset:16
	s_waitcnt lgkmcnt(3)
	ds_write_b8 v11, v17 offset:256
	s_waitcnt lgkmcnt(3)
	ds_write_b8 v11, v18 offset:264
.LBB89_41:
	s_or_b64 exec, exec, s[0:1]
	s_waitcnt lgkmcnt(0)
	s_barrier
	ds_read_u16 v15, v9
	ds_read_u16 v16, v10 offset:8
                                        ; implicit-def: $sgpr6
	s_waitcnt lgkmcnt(0)
	v_cmp_ge_i16_e64 s[0:1], v15, v16
	v_cmp_lt_i16_e32 vcc, v15, v16
	s_and_saveexec_b64 s[2:3], vcc
	s_cbranch_execnz .LBB89_189
; %bb.42:
	s_or_b64 exec, exec, s[2:3]
	v_mov_b32_e32 v17, s6
	s_and_saveexec_b64 s[2:3], s[0:1]
	s_cbranch_execnz .LBB89_190
.LBB89_43:
	s_or_b64 exec, exec, s[2:3]
	v_cmp_eq_u32_e32 vcc, v17, v14
	s_and_saveexec_b64 s[0:1], vcc
	s_cbranch_execz .LBB89_45
.LBB89_44:
	ds_read_u8 v17, v8 offset:260
	ds_read_u8 v18, v8 offset:256
	ds_write_b16 v9, v16
	ds_write_b16 v10, v15 offset:8
	s_waitcnt lgkmcnt(3)
	ds_write_b8 v8, v17 offset:256
	s_waitcnt lgkmcnt(3)
	ds_write_b8 v8, v18 offset:260
.LBB89_45:
	s_or_b64 exec, exec, s[0:1]
	s_waitcnt lgkmcnt(0)
	s_barrier
	ds_read_u16 v15, v6
	ds_read_u16 v16, v7 offset:4
                                        ; implicit-def: $sgpr6
	s_waitcnt lgkmcnt(0)
	v_cmp_ge_i16_e64 s[0:1], v15, v16
	v_cmp_lt_i16_e32 vcc, v15, v16
	s_and_saveexec_b64 s[2:3], vcc
	s_cbranch_execnz .LBB89_191
; %bb.46:
	s_or_b64 exec, exec, s[2:3]
	v_mov_b32_e32 v17, s6
	s_and_saveexec_b64 s[2:3], s[0:1]
	s_cbranch_execnz .LBB89_192
.LBB89_47:
	s_or_b64 exec, exec, s[2:3]
	v_cmp_eq_u32_e32 vcc, v17, v14
	s_and_saveexec_b64 s[0:1], vcc
	s_cbranch_execz .LBB89_49
.LBB89_48:
	ds_read_u8 v17, v5 offset:258
	ds_read_u8 v18, v5 offset:256
	ds_write_b16 v6, v16
	ds_write_b16 v7, v15 offset:4
	s_waitcnt lgkmcnt(3)
	ds_write_b8 v5, v17 offset:256
	s_waitcnt lgkmcnt(3)
	ds_write_b8 v5, v18 offset:258
.LBB89_49:
	s_or_b64 exec, exec, s[0:1]
	s_waitcnt lgkmcnt(0)
	s_barrier
	ds_read_b32 v15, v3
                                        ; implicit-def: $sgpr6
	s_waitcnt lgkmcnt(0)
	v_cmp_ge_i16_sdwa s[0:1], v15, v15 src0_sel:DWORD src1_sel:WORD_1
	v_cmp_lt_i16_sdwa s[8:9], v15, v15 src0_sel:DWORD src1_sel:WORD_1
	s_and_saveexec_b64 s[2:3], s[8:9]
	s_cbranch_execnz .LBB89_193
; %bb.50:
	s_or_b64 exec, exec, s[2:3]
	v_mov_b32_e32 v16, s6
	s_and_saveexec_b64 s[2:3], s[0:1]
	s_cbranch_execnz .LBB89_194
.LBB89_51:
	s_or_b64 exec, exec, s[2:3]
	v_cmp_eq_u32_e32 vcc, v16, v14
	s_and_saveexec_b64 s[0:1], vcc
	s_cbranch_execz .LBB89_53
.LBB89_52:
	ds_read_u8 v14, v1 offset:257
	ds_read_u8 v16, v4 offset:256
	v_alignbit_b32 v15, v15, v15, 16
	ds_write_b32 v3, v15
	s_waitcnt lgkmcnt(2)
	ds_write_b8 v4, v14 offset:256
	s_waitcnt lgkmcnt(2)
	ds_write_b8 v1, v16 offset:257
.LBB89_53:
	s_or_b64 exec, exec, s[0:1]
	v_and_b32_e32 v14, 15, v0
	v_sub_u32_e32 v14, v2, v14
	v_lshl_add_u32 v16, v14, 1, 2
	v_add_u32_e32 v15, 2, v14
	s_waitcnt lgkmcnt(0)
	s_barrier
	v_add_u32_e32 v17, v15, v14
	ds_read_u16 v18, v16
	ds_read_u16 v19, v17 offset:32
	s_mov_b32 s6, 1
	s_waitcnt lgkmcnt(0)
	v_cmp_ge_i16_e64 s[0:1], v18, v19
	v_cmp_lt_i16_e32 vcc, v18, v19
	s_and_saveexec_b64 s[2:3], vcc
	s_cbranch_execz .LBB89_55
; %bb.54:
	ds_read_u8 v14, v15 offset:256
	s_andn2_b64 s[0:1], s[0:1], exec
	s_waitcnt lgkmcnt(0)
	v_and_b32_e32 v14, 1, v14
	v_cmp_eq_u32_e32 vcc, 1, v14
	s_xor_b64 s[8:9], vcc, -1
	s_and_b64 s[8:9], s[8:9], exec
	s_or_b64 s[0:1], s[0:1], s[8:9]
.LBB89_55:
	s_or_b64 exec, exec, s[2:3]
	v_mov_b32_e32 v20, s6
	s_and_saveexec_b64 s[2:3], s[0:1]
	s_cbranch_execz .LBB89_57
; %bb.56:
	ds_read_u8 v14, v15 offset:272
	s_waitcnt lgkmcnt(0)
	v_xor_b32_e32 v20, 1, v14
.LBB89_57:
	s_or_b64 exec, exec, s[2:3]
	v_bfe_u32 v14, v0, 4, 1
	v_cmp_eq_u32_e32 vcc, v20, v14
	s_and_saveexec_b64 s[0:1], vcc
	s_cbranch_execz .LBB89_59
; %bb.58:
	ds_read_u8 v20, v15 offset:272
	ds_read_u8 v21, v15 offset:256
	ds_write_b16 v16, v19
	ds_write_b16 v17, v18 offset:32
	s_waitcnt lgkmcnt(3)
	ds_write_b8 v15, v20 offset:256
	s_waitcnt lgkmcnt(3)
	ds_write_b8 v15, v21 offset:272
.LBB89_59:
	s_or_b64 exec, exec, s[0:1]
	s_waitcnt lgkmcnt(0)
	s_barrier
	ds_read_u16 v18, v12
	ds_read_u16 v19, v13 offset:16
                                        ; implicit-def: $sgpr6
	s_waitcnt lgkmcnt(0)
	v_cmp_ge_i16_e64 s[0:1], v18, v19
	v_cmp_lt_i16_e32 vcc, v18, v19
	s_and_saveexec_b64 s[2:3], vcc
	s_cbranch_execnz .LBB89_195
; %bb.60:
	s_or_b64 exec, exec, s[2:3]
	v_mov_b32_e32 v20, s6
	s_and_saveexec_b64 s[2:3], s[0:1]
	s_cbranch_execnz .LBB89_196
.LBB89_61:
	s_or_b64 exec, exec, s[2:3]
	v_cmp_eq_u32_e32 vcc, v20, v14
	s_and_saveexec_b64 s[0:1], vcc
	s_cbranch_execz .LBB89_63
.LBB89_62:
	ds_read_u8 v20, v11 offset:264
	ds_read_u8 v21, v11 offset:256
	ds_write_b16 v12, v19
	ds_write_b16 v13, v18 offset:16
	s_waitcnt lgkmcnt(3)
	ds_write_b8 v11, v20 offset:256
	s_waitcnt lgkmcnt(3)
	ds_write_b8 v11, v21 offset:264
.LBB89_63:
	s_or_b64 exec, exec, s[0:1]
	s_waitcnt lgkmcnt(0)
	s_barrier
	ds_read_u16 v18, v9
	ds_read_u16 v19, v10 offset:8
                                        ; implicit-def: $sgpr6
	s_waitcnt lgkmcnt(0)
	v_cmp_ge_i16_e64 s[0:1], v18, v19
	v_cmp_lt_i16_e32 vcc, v18, v19
	s_and_saveexec_b64 s[2:3], vcc
	s_cbranch_execnz .LBB89_197
; %bb.64:
	s_or_b64 exec, exec, s[2:3]
	v_mov_b32_e32 v20, s6
	s_and_saveexec_b64 s[2:3], s[0:1]
	s_cbranch_execnz .LBB89_198
.LBB89_65:
	s_or_b64 exec, exec, s[2:3]
	v_cmp_eq_u32_e32 vcc, v20, v14
	s_and_saveexec_b64 s[0:1], vcc
	s_cbranch_execz .LBB89_67
.LBB89_66:
	ds_read_u8 v20, v8 offset:260
	ds_read_u8 v21, v8 offset:256
	ds_write_b16 v9, v19
	ds_write_b16 v10, v18 offset:8
	s_waitcnt lgkmcnt(3)
	ds_write_b8 v8, v20 offset:256
	s_waitcnt lgkmcnt(3)
	ds_write_b8 v8, v21 offset:260
.LBB89_67:
	s_or_b64 exec, exec, s[0:1]
	s_waitcnt lgkmcnt(0)
	s_barrier
	ds_read_u16 v18, v6
	ds_read_u16 v19, v7 offset:4
                                        ; implicit-def: $sgpr6
	s_waitcnt lgkmcnt(0)
	v_cmp_ge_i16_e64 s[0:1], v18, v19
	v_cmp_lt_i16_e32 vcc, v18, v19
	s_and_saveexec_b64 s[2:3], vcc
	s_cbranch_execnz .LBB89_199
; %bb.68:
	s_or_b64 exec, exec, s[2:3]
	v_mov_b32_e32 v20, s6
	s_and_saveexec_b64 s[2:3], s[0:1]
	s_cbranch_execnz .LBB89_200
.LBB89_69:
	s_or_b64 exec, exec, s[2:3]
	v_cmp_eq_u32_e32 vcc, v20, v14
	s_and_saveexec_b64 s[0:1], vcc
	s_cbranch_execz .LBB89_71
.LBB89_70:
	ds_read_u8 v20, v5 offset:258
	ds_read_u8 v21, v5 offset:256
	ds_write_b16 v6, v19
	ds_write_b16 v7, v18 offset:4
	s_waitcnt lgkmcnt(3)
	ds_write_b8 v5, v20 offset:256
	s_waitcnt lgkmcnt(3)
	ds_write_b8 v5, v21 offset:258
.LBB89_71:
	s_or_b64 exec, exec, s[0:1]
	s_waitcnt lgkmcnt(0)
	s_barrier
	ds_read_b32 v18, v3
                                        ; implicit-def: $sgpr6
	s_waitcnt lgkmcnt(0)
	v_cmp_ge_i16_sdwa s[0:1], v18, v18 src0_sel:DWORD src1_sel:WORD_1
	v_cmp_lt_i16_sdwa s[8:9], v18, v18 src0_sel:DWORD src1_sel:WORD_1
	s_and_saveexec_b64 s[2:3], s[8:9]
	s_cbranch_execnz .LBB89_201
; %bb.72:
	s_or_b64 exec, exec, s[2:3]
	v_mov_b32_e32 v19, s6
	s_and_saveexec_b64 s[2:3], s[0:1]
	s_cbranch_execnz .LBB89_202
.LBB89_73:
	s_or_b64 exec, exec, s[2:3]
	v_cmp_eq_u32_e32 vcc, v19, v14
	s_and_saveexec_b64 s[0:1], vcc
	s_cbranch_execz .LBB89_75
.LBB89_74:
	ds_read_u8 v14, v1 offset:257
	ds_read_u8 v19, v4 offset:256
	v_alignbit_b32 v18, v18, v18, 16
	ds_write_b32 v3, v18
	s_waitcnt lgkmcnt(2)
	ds_write_b8 v4, v14 offset:256
	s_waitcnt lgkmcnt(2)
	ds_write_b8 v1, v19 offset:257
.LBB89_75:
	s_or_b64 exec, exec, s[0:1]
	v_and_b32_e32 v14, 31, v0
	v_sub_u32_e32 v14, v2, v14
	v_lshl_add_u32 v19, v14, 1, 2
	v_add_u32_e32 v18, 2, v14
	s_waitcnt lgkmcnt(0)
	s_barrier
	v_add_u32_e32 v20, v18, v14
	ds_read_u16 v21, v19
	ds_read_u16 v22, v20 offset:64
	s_mov_b32 s6, 1
	s_waitcnt lgkmcnt(0)
	v_cmp_ge_i16_e64 s[0:1], v21, v22
	v_cmp_lt_i16_e32 vcc, v21, v22
	s_and_saveexec_b64 s[2:3], vcc
	s_cbranch_execz .LBB89_77
; %bb.76:
	ds_read_u8 v14, v18 offset:256
	s_andn2_b64 s[0:1], s[0:1], exec
	s_waitcnt lgkmcnt(0)
	v_and_b32_e32 v14, 1, v14
	v_cmp_eq_u32_e32 vcc, 1, v14
	s_xor_b64 s[8:9], vcc, -1
	s_and_b64 s[8:9], s[8:9], exec
	s_or_b64 s[0:1], s[0:1], s[8:9]
.LBB89_77:
	s_or_b64 exec, exec, s[2:3]
	v_mov_b32_e32 v23, s6
	s_and_saveexec_b64 s[2:3], s[0:1]
	s_cbranch_execz .LBB89_79
; %bb.78:
	ds_read_u8 v14, v18 offset:288
	s_waitcnt lgkmcnt(0)
	v_xor_b32_e32 v23, 1, v14
.LBB89_79:
	s_or_b64 exec, exec, s[2:3]
	v_bfe_u32 v14, v0, 5, 1
	v_cmp_eq_u32_e32 vcc, v23, v14
	s_and_saveexec_b64 s[0:1], vcc
	s_cbranch_execz .LBB89_81
; %bb.80:
	ds_read_u8 v23, v18 offset:288
	ds_read_u8 v24, v18 offset:256
	ds_write_b16 v19, v22
	ds_write_b16 v20, v21 offset:64
	s_waitcnt lgkmcnt(3)
	ds_write_b8 v18, v23 offset:256
	s_waitcnt lgkmcnt(3)
	ds_write_b8 v18, v24 offset:288
.LBB89_81:
	s_or_b64 exec, exec, s[0:1]
	s_waitcnt lgkmcnt(0)
	s_barrier
	ds_read_u16 v21, v16
	ds_read_u16 v22, v17 offset:32
                                        ; implicit-def: $sgpr6
	s_waitcnt lgkmcnt(0)
	v_cmp_ge_i16_e64 s[0:1], v21, v22
	v_cmp_lt_i16_e32 vcc, v21, v22
	s_and_saveexec_b64 s[2:3], vcc
	s_cbranch_execnz .LBB89_203
; %bb.82:
	s_or_b64 exec, exec, s[2:3]
	v_mov_b32_e32 v23, s6
	s_and_saveexec_b64 s[2:3], s[0:1]
	s_cbranch_execnz .LBB89_204
.LBB89_83:
	s_or_b64 exec, exec, s[2:3]
	v_cmp_eq_u32_e32 vcc, v23, v14
	s_and_saveexec_b64 s[0:1], vcc
	s_cbranch_execz .LBB89_85
.LBB89_84:
	ds_read_u8 v23, v15 offset:272
	ds_read_u8 v24, v15 offset:256
	ds_write_b16 v16, v22
	ds_write_b16 v17, v21 offset:32
	s_waitcnt lgkmcnt(3)
	ds_write_b8 v15, v23 offset:256
	s_waitcnt lgkmcnt(3)
	ds_write_b8 v15, v24 offset:272
.LBB89_85:
	s_or_b64 exec, exec, s[0:1]
	s_waitcnt lgkmcnt(0)
	s_barrier
	ds_read_u16 v21, v12
	ds_read_u16 v22, v13 offset:16
                                        ; implicit-def: $sgpr6
	s_waitcnt lgkmcnt(0)
	v_cmp_ge_i16_e64 s[0:1], v21, v22
	v_cmp_lt_i16_e32 vcc, v21, v22
	s_and_saveexec_b64 s[2:3], vcc
	s_cbranch_execnz .LBB89_205
; %bb.86:
	s_or_b64 exec, exec, s[2:3]
	v_mov_b32_e32 v23, s6
	s_and_saveexec_b64 s[2:3], s[0:1]
	s_cbranch_execnz .LBB89_206
.LBB89_87:
	s_or_b64 exec, exec, s[2:3]
	v_cmp_eq_u32_e32 vcc, v23, v14
	s_and_saveexec_b64 s[0:1], vcc
	s_cbranch_execz .LBB89_89
.LBB89_88:
	ds_read_u8 v23, v11 offset:264
	ds_read_u8 v24, v11 offset:256
	ds_write_b16 v12, v22
	ds_write_b16 v13, v21 offset:16
	s_waitcnt lgkmcnt(3)
	ds_write_b8 v11, v23 offset:256
	s_waitcnt lgkmcnt(3)
	ds_write_b8 v11, v24 offset:264
.LBB89_89:
	s_or_b64 exec, exec, s[0:1]
	s_waitcnt lgkmcnt(0)
	s_barrier
	ds_read_u16 v21, v9
	ds_read_u16 v22, v10 offset:8
                                        ; implicit-def: $sgpr6
	s_waitcnt lgkmcnt(0)
	v_cmp_ge_i16_e64 s[0:1], v21, v22
	v_cmp_lt_i16_e32 vcc, v21, v22
	s_and_saveexec_b64 s[2:3], vcc
	s_cbranch_execnz .LBB89_207
; %bb.90:
	s_or_b64 exec, exec, s[2:3]
	v_mov_b32_e32 v23, s6
	s_and_saveexec_b64 s[2:3], s[0:1]
	s_cbranch_execnz .LBB89_208
.LBB89_91:
	s_or_b64 exec, exec, s[2:3]
	v_cmp_eq_u32_e32 vcc, v23, v14
	s_and_saveexec_b64 s[0:1], vcc
	s_cbranch_execz .LBB89_93
.LBB89_92:
	ds_read_u8 v23, v8 offset:260
	ds_read_u8 v24, v8 offset:256
	ds_write_b16 v9, v22
	ds_write_b16 v10, v21 offset:8
	s_waitcnt lgkmcnt(3)
	ds_write_b8 v8, v23 offset:256
	s_waitcnt lgkmcnt(3)
	ds_write_b8 v8, v24 offset:260
.LBB89_93:
	s_or_b64 exec, exec, s[0:1]
	s_waitcnt lgkmcnt(0)
	s_barrier
	ds_read_u16 v21, v6
	ds_read_u16 v22, v7 offset:4
                                        ; implicit-def: $sgpr6
	s_waitcnt lgkmcnt(0)
	v_cmp_ge_i16_e64 s[0:1], v21, v22
	v_cmp_lt_i16_e32 vcc, v21, v22
	s_and_saveexec_b64 s[2:3], vcc
	s_cbranch_execnz .LBB89_209
; %bb.94:
	s_or_b64 exec, exec, s[2:3]
	v_mov_b32_e32 v23, s6
	s_and_saveexec_b64 s[2:3], s[0:1]
	s_cbranch_execnz .LBB89_210
.LBB89_95:
	s_or_b64 exec, exec, s[2:3]
	v_cmp_eq_u32_e32 vcc, v23, v14
	s_and_saveexec_b64 s[0:1], vcc
	s_cbranch_execz .LBB89_97
.LBB89_96:
	ds_read_u8 v23, v5 offset:258
	ds_read_u8 v24, v5 offset:256
	ds_write_b16 v6, v22
	ds_write_b16 v7, v21 offset:4
	s_waitcnt lgkmcnt(3)
	ds_write_b8 v5, v23 offset:256
	s_waitcnt lgkmcnt(3)
	ds_write_b8 v5, v24 offset:258
.LBB89_97:
	s_or_b64 exec, exec, s[0:1]
	s_waitcnt lgkmcnt(0)
	s_barrier
	ds_read_b32 v21, v3
                                        ; implicit-def: $sgpr6
	s_waitcnt lgkmcnt(0)
	v_cmp_ge_i16_sdwa s[0:1], v21, v21 src0_sel:DWORD src1_sel:WORD_1
	v_cmp_lt_i16_sdwa s[8:9], v21, v21 src0_sel:DWORD src1_sel:WORD_1
	s_and_saveexec_b64 s[2:3], s[8:9]
	s_cbranch_execnz .LBB89_211
; %bb.98:
	s_or_b64 exec, exec, s[2:3]
	v_mov_b32_e32 v22, s6
	s_and_saveexec_b64 s[2:3], s[0:1]
	s_cbranch_execnz .LBB89_212
.LBB89_99:
	s_or_b64 exec, exec, s[2:3]
	v_cmp_eq_u32_e32 vcc, v22, v14
	s_and_saveexec_b64 s[0:1], vcc
	s_cbranch_execz .LBB89_101
.LBB89_100:
	ds_read_u8 v14, v1 offset:257
	ds_read_u8 v22, v4 offset:256
	v_alignbit_b32 v21, v21, v21, 16
	ds_write_b32 v3, v21
	s_waitcnt lgkmcnt(2)
	ds_write_b8 v4, v14 offset:256
	s_waitcnt lgkmcnt(2)
	ds_write_b8 v1, v22 offset:257
.LBB89_101:
	s_or_b64 exec, exec, s[0:1]
	v_and_b32_e32 v14, 63, v0
	v_sub_u32_e32 v23, v2, v14
	v_lshl_add_u32 v22, v23, 1, 2
	v_add_u32_e32 v21, 2, v23
	s_waitcnt lgkmcnt(0)
	s_barrier
	v_add_u32_e32 v23, v21, v23
	ds_read_u16 v24, v22
	ds_read_u16 v25, v23 offset:128
	s_waitcnt lgkmcnt(0)
	v_cmp_ge_i16_e64 s[2:3], v24, v25
	v_cmp_lt_i16_e32 vcc, v24, v25
	s_and_saveexec_b64 s[0:1], vcc
	s_cbranch_execz .LBB89_103
; %bb.102:
	ds_read_u8 v26, v21 offset:256
	s_andn2_b64 s[2:3], s[2:3], exec
	s_waitcnt lgkmcnt(0)
	v_and_b32_e32 v26, 1, v26
	v_cmp_eq_u32_e32 vcc, 1, v26
	s_xor_b64 s[6:7], vcc, -1
	s_and_b64 s[6:7], s[6:7], exec
	s_or_b64 s[2:3], s[2:3], s[6:7]
.LBB89_103:
	s_or_b64 exec, exec, s[0:1]
	s_and_saveexec_b64 s[0:1], s[2:3]
	s_cbranch_execz .LBB89_106
; %bb.104:
	ds_read_u8 v26, v21 offset:320
	s_waitcnt lgkmcnt(0)
	v_cmp_ne_u16_e32 vcc, 0, v26
	s_and_b64 exec, exec, vcc
	s_cbranch_execz .LBB89_106
; %bb.105:
	ds_read_u8 v27, v21 offset:256
	ds_write_b16 v22, v25
	ds_write_b16 v23, v24 offset:128
	ds_write_b8 v21, v26 offset:256
	s_waitcnt lgkmcnt(3)
	ds_write_b8 v21, v27 offset:320
.LBB89_106:
	s_or_b64 exec, exec, s[0:1]
	s_waitcnt lgkmcnt(0)
	s_barrier
	ds_read_u16 v21, v19
	ds_read_u16 v22, v20 offset:64
	s_waitcnt lgkmcnt(0)
	v_cmp_ge_i16_e64 s[2:3], v21, v22
	v_cmp_lt_i16_e32 vcc, v21, v22
	s_and_saveexec_b64 s[0:1], vcc
	s_cbranch_execz .LBB89_108
; %bb.107:
	ds_read_u8 v23, v18 offset:256
	s_andn2_b64 s[2:3], s[2:3], exec
	s_waitcnt lgkmcnt(0)
	v_and_b32_e32 v23, 1, v23
	v_cmp_eq_u32_e32 vcc, 1, v23
	s_xor_b64 s[6:7], vcc, -1
	s_and_b64 s[6:7], s[6:7], exec
	s_or_b64 s[2:3], s[2:3], s[6:7]
.LBB89_108:
	s_or_b64 exec, exec, s[0:1]
	s_and_saveexec_b64 s[0:1], s[2:3]
	s_cbranch_execz .LBB89_111
; %bb.109:
	ds_read_u8 v23, v18 offset:288
	s_waitcnt lgkmcnt(0)
	v_cmp_ne_u16_e32 vcc, 0, v23
	s_and_b64 exec, exec, vcc
	s_cbranch_execz .LBB89_111
; %bb.110:
	ds_read_u8 v24, v18 offset:256
	ds_write_b16 v19, v22
	ds_write_b16 v20, v21 offset:64
	ds_write_b8 v18, v23 offset:256
	s_waitcnt lgkmcnt(3)
	ds_write_b8 v18, v24 offset:288
.LBB89_111:
	s_or_b64 exec, exec, s[0:1]
	s_waitcnt lgkmcnt(0)
	s_barrier
	;; [unrolled: 37-line block ×6, first 2 shown]
	ds_read_b32 v5, v3
	s_waitcnt lgkmcnt(0)
	v_cmp_ge_i16_sdwa s[2:3], v5, v5 src0_sel:DWORD src1_sel:WORD_1
	v_cmp_lt_i16_sdwa s[6:7], v5, v5 src0_sel:DWORD src1_sel:WORD_1
	s_and_saveexec_b64 s[0:1], s[6:7]
	s_cbranch_execz .LBB89_133
; %bb.132:
	ds_read_u8 v6, v4 offset:256
	s_andn2_b64 s[2:3], s[2:3], exec
	s_waitcnt lgkmcnt(0)
	v_and_b32_e32 v6, 1, v6
	v_cmp_eq_u32_e32 vcc, 1, v6
	s_xor_b64 s[6:7], vcc, -1
	s_and_b64 s[6:7], s[6:7], exec
	s_or_b64 s[2:3], s[2:3], s[6:7]
.LBB89_133:
	s_or_b64 exec, exec, s[0:1]
	s_and_saveexec_b64 s[0:1], s[2:3]
	s_cbranch_execz .LBB89_136
; %bb.134:
	ds_read_u8 v6, v1 offset:257
	s_waitcnt lgkmcnt(0)
	v_cmp_ne_u16_e32 vcc, 0, v6
	s_and_b64 exec, exec, vcc
	s_cbranch_execz .LBB89_136
; %bb.135:
	ds_read_u8 v7, v4 offset:256
	v_alignbit_b32 v5, v5, v5, 16
	ds_write_b32 v3, v5
	ds_write_b8 v4, v6 offset:256
	s_waitcnt lgkmcnt(2)
	ds_write_b8 v1, v7 offset:257
.LBB89_136:
	s_or_b64 exec, exec, s[0:1]
	v_cmp_eq_u32_e32 vcc, 0, v0
	s_waitcnt lgkmcnt(0)
	s_barrier
	s_barrier
	s_and_saveexec_b64 s[0:1], vcc
	s_cbranch_execz .LBB89_138
; %bb.137:
	v_mov_b32_e32 v5, 2
	v_mov_b32_e32 v6, 1
	ds_write_b8 v5, v6 offset:260
	v_mov_b32_e32 v6, 0
	ds_write_b32 v5, v6 offset:256
.LBB89_138:
	s_or_b64 exec, exec, s[0:1]
	v_add_u32_e32 v4, v4, v2
	ds_read_u16 v5, v3
	ds_read_u16 v4, v4 offset:2
	s_add_i32 s10, 2, 0x100
	v_lshl_add_u32 v3, v2, 3, s10
	v_cmp_gt_u32_e64 s[2:3], 63, v0
	s_waitcnt lgkmcnt(0)
	v_cmp_ne_u16_e64 s[0:1], v5, v4
	v_cndmask_b32_e64 v6, 0, 1, s[0:1]
	v_cmp_eq_u16_e64 s[0:1], v5, v4
	v_cndmask_b32_e64 v5, 0, 1, s[0:1]
	ds_write_b8 v3, v6 offset:12
	ds_write_b32 v3, v5 offset:8
	s_and_saveexec_b64 s[6:7], s[2:3]
	s_cbranch_execz .LBB89_140
; %bb.139:
	v_lshl_add_u32 v5, v2, 1, 2
	ds_read_u16 v5, v5 offset:4
	s_waitcnt lgkmcnt(0)
	v_cmp_ne_u16_e64 s[0:1], v4, v5
	v_cndmask_b32_e64 v6, 0, 1, s[0:1]
	v_cmp_eq_u16_e64 s[0:1], v4, v5
	v_cndmask_b32_e64 v4, 0, 1, s[0:1]
	ds_write_b8 v3, v6 offset:20
	ds_write_b32 v3, v4 offset:16
.LBB89_140:
	s_or_b64 exec, exec, s[6:7]
	v_cmp_gt_u32_e64 s[0:1], 64, v0
	v_lshl_add_u32 v4, v2, 3, 2
	s_waitcnt lgkmcnt(0)
	s_barrier
	s_and_saveexec_b64 s[8:9], s[0:1]
	s_cbranch_execz .LBB89_142
; %bb.141:
	ds_read_u8 v5, v3 offset:12
	ds_read_b32 v6, v4 offset:256
	ds_read_b32 v7, v3 offset:8
	ds_read_u8 v8, v4 offset:260
	s_waitcnt lgkmcnt(3)
	v_and_b32_e32 v9, 1, v5
	v_cmp_eq_u32_e64 s[6:7], 1, v9
	s_waitcnt lgkmcnt(2)
	v_cndmask_b32_e64 v6, v6, 0, s[6:7]
	s_waitcnt lgkmcnt(0)
	v_or_b32_e32 v5, v8, v5
	v_add_u32_e32 v6, v6, v7
	v_and_b32_e32 v5, 1, v5
	ds_write2_b32 v3, v6, v5 offset0:2 offset1:3
.LBB89_142:
	s_or_b64 exec, exec, s[8:9]
	v_lshlrev_b32_e32 v5, 1, v1
	v_add_u32_e32 v6, -1, v5
	v_cmp_gt_u32_e64 s[6:7], 32, v0
	s_waitcnt lgkmcnt(0)
	s_barrier
	s_and_saveexec_b64 s[8:9], s[6:7]
	s_cbranch_execz .LBB89_144
; %bb.143:
	v_lshl_add_u32 v7, v6, 3, 2
	ds_read_u8 v8, v7 offset:260
	v_lshl_add_u32 v9, v5, 3, 2
	ds_read_b32 v10, v9 offset:232
	ds_read_b32 v11, v7 offset:256
	ds_read_u8 v9, v9 offset:236
	s_waitcnt lgkmcnt(3)
	v_and_b32_e32 v12, 1, v8
	v_cmp_eq_u32_e64 s[6:7], 1, v12
	s_waitcnt lgkmcnt(2)
	v_cndmask_b32_e64 v10, v10, 0, s[6:7]
	s_waitcnt lgkmcnt(0)
	v_or_b32_e32 v8, v9, v8
	v_add_u32_e32 v10, v10, v11
	v_and_b32_e32 v8, 1, v8
	ds_write2_b32 v7, v10, v8 offset0:64 offset1:65
.LBB89_144:
	s_or_b64 exec, exec, s[8:9]
	v_lshlrev_b32_e32 v7, 2, v1
	v_add_u32_e32 v6, v6, v5
	v_cmp_gt_u32_e64 s[6:7], 16, v0
	s_waitcnt lgkmcnt(0)
	s_barrier
	s_and_saveexec_b64 s[8:9], s[6:7]
	s_cbranch_execz .LBB89_146
; %bb.145:
	v_lshl_add_u32 v8, v6, 3, 2
	ds_read_u8 v9, v8 offset:260
	v_lshl_add_u32 v10, v7, 3, 2
	ds_read_b32 v11, v10 offset:216
	ds_read_b32 v12, v8 offset:256
	ds_read_u8 v10, v10 offset:220
	s_waitcnt lgkmcnt(3)
	v_and_b32_e32 v13, 1, v9
	v_cmp_eq_u32_e64 s[6:7], 1, v13
	s_waitcnt lgkmcnt(2)
	v_cndmask_b32_e64 v11, v11, 0, s[6:7]
	s_waitcnt lgkmcnt(0)
	v_or_b32_e32 v9, v10, v9
	v_add_u32_e32 v11, v11, v12
	v_and_b32_e32 v9, 1, v9
	ds_write2_b32 v8, v11, v9 offset0:64 offset1:65
.LBB89_146:
	s_or_b64 exec, exec, s[8:9]
	v_lshlrev_b32_e32 v9, 3, v1
	v_add_u32_e32 v8, v6, v7
	;; [unrolled: 26-line block ×3, first 2 shown]
	v_cmp_gt_u32_e64 s[6:7], 4, v0
	s_waitcnt lgkmcnt(0)
	s_barrier
	s_and_saveexec_b64 s[8:9], s[6:7]
	s_cbranch_execz .LBB89_150
; %bb.149:
	v_lshl_add_u32 v12, v10, 3, 2
	ds_read_u8 v13, v12 offset:260
	v_lshl_add_u32 v15, v11, 3, 2
	ds_read_b32 v16, v15 offset:120
	ds_read_b32 v17, v12 offset:256
	ds_read_u8 v15, v15 offset:124
	s_waitcnt lgkmcnt(3)
	v_and_b32_e32 v18, 1, v13
	v_cmp_eq_u32_e64 s[6:7], 1, v18
	s_waitcnt lgkmcnt(2)
	v_cndmask_b32_e64 v16, v16, 0, s[6:7]
	s_waitcnt lgkmcnt(0)
	v_or_b32_e32 v13, v15, v13
	v_add_u32_e32 v16, v16, v17
	v_and_b32_e32 v13, 1, v13
	ds_write2_b32 v12, v16, v13 offset0:64 offset1:65
.LBB89_150:
	s_or_b64 exec, exec, s[8:9]
	v_add_u32_e32 v12, v10, v11
	v_cmp_gt_u32_e64 s[6:7], 2, v0
	v_lshl_add_u32 v12, v12, 3, 2
	s_waitcnt lgkmcnt(0)
	s_barrier
	s_and_saveexec_b64 s[8:9], s[6:7]
	s_cbranch_execz .LBB89_152
; %bb.151:
	v_lshl_add_u32 v1, v1, 8, 2
	v_add_u32_e32 v13, -8, v1
	ds_read_u8 v15, v12 offset:260
	ds_read_b32 v13, v13
	v_add_u32_e32 v1, -4, v1
	ds_read_b32 v16, v12 offset:256
	ds_read_u8 v1, v1
	s_waitcnt lgkmcnt(3)
	v_and_b32_e32 v17, 1, v15
	v_cmp_eq_u32_e64 s[6:7], 1, v17
	s_waitcnt lgkmcnt(2)
	v_cndmask_b32_e64 v13, v13, 0, s[6:7]
	s_waitcnt lgkmcnt(0)
	v_or_b32_e32 v1, v1, v15
	v_add_u32_e32 v13, v13, v16
	v_and_b32_e32 v1, 1, v1
	ds_write2_b32 v12, v13, v1 offset0:64 offset1:65
.LBB89_152:
	s_or_b64 exec, exec, s[8:9]
	s_waitcnt lgkmcnt(0)
	s_barrier
	s_and_saveexec_b64 s[8:9], vcc
	s_cbranch_execz .LBB89_154
; %bb.153:
	v_mov_b32_e32 v1, 2
	s_movk_i32 s6, 0xf8
	ds_read_u8 v13, v1 offset:1276
	v_add_u32_e64 v15, s6, 2
	ds_read2st64_b32 v[16:17], v15 offset0:2 offset1:4
	ds_read_u8 v1, v1 offset:764
	s_add_i32 s11, 2, 0x4f8
	s_waitcnt lgkmcnt(2)
	v_and_b32_e32 v15, 1, v13
	v_cmp_eq_u32_e64 s[6:7], 1, v15
	s_waitcnt lgkmcnt(1)
	v_cndmask_b32_e64 v15, v16, 0, s[6:7]
	s_waitcnt lgkmcnt(0)
	v_or_b32_e32 v1, v1, v13
	v_add_u32_e32 v15, v15, v17
	v_and_b32_e32 v1, 1, v1
	v_mov_b32_e32 v13, s11
	ds_write2_b32 v13, v15, v1 offset1:1
.LBB89_154:
	s_or_b64 exec, exec, s[8:9]
	s_waitcnt lgkmcnt(0)
	s_barrier
	s_and_saveexec_b64 s[8:9], vcc
	s_cbranch_execz .LBB89_156
; %bb.155:
	v_mov_b32_e32 v1, 2
	ds_read_u8 v13, v1 offset:1020
	ds_read_b32 v15, v12 offset:256
	ds_read_b32 v16, v1 offset:1016
	ds_read_u8 v12, v12 offset:260
	s_waitcnt lgkmcnt(3)
	v_and_b32_e32 v17, 1, v13
	v_cmp_eq_u32_e64 s[6:7], 1, v17
	s_waitcnt lgkmcnt(2)
	v_cndmask_b32_e64 v15, v15, 0, s[6:7]
	s_waitcnt lgkmcnt(0)
	v_or_b32_e32 v12, v12, v13
	v_add_u32_e32 v15, v15, v16
	v_and_b32_e32 v12, 1, v12
	ds_write2_b32 v1, v15, v12 offset0:254 offset1:255
.LBB89_156:
	s_or_b64 exec, exec, s[8:9]
	v_cmp_gt_u32_e64 s[6:7], 3, v0
	s_waitcnt lgkmcnt(0)
	s_barrier
	s_and_saveexec_b64 s[8:9], s[6:7]
	s_cbranch_execz .LBB89_158
; %bb.157:
	v_lshl_add_u32 v1, v11, 3, s10
	ds_read_u8 v11, v1 offset:124
	v_lshl_add_u32 v10, v10, 3, s10
	ds_read_b32 v12, v10
	ds_read_b32 v13, v1 offset:120
	ds_read_u8 v10, v10 offset:4
	s_waitcnt lgkmcnt(3)
	v_and_b32_e32 v15, 1, v11
	v_cmp_eq_u32_e64 s[6:7], 1, v15
	s_waitcnt lgkmcnt(2)
	v_cndmask_b32_e64 v12, v12, 0, s[6:7]
	s_waitcnt lgkmcnt(0)
	v_or_b32_e32 v10, v10, v11
	v_add_u32_e32 v12, v12, v13
	v_and_b32_e32 v10, 1, v10
	ds_write2_b32 v1, v12, v10 offset0:30 offset1:31
.LBB89_158:
	s_or_b64 exec, exec, s[8:9]
	v_cmp_gt_u32_e64 s[6:7], 7, v0
	s_waitcnt lgkmcnt(0)
	s_barrier
	s_and_saveexec_b64 s[8:9], s[6:7]
	s_cbranch_execz .LBB89_160
; %bb.159:
	v_lshl_add_u32 v1, v9, 3, s10
	ds_read_u8 v9, v1 offset:60
	v_lshl_add_u32 v8, v8, 3, s10
	ds_read_b32 v10, v8
	ds_read_b32 v11, v1 offset:56
	ds_read_u8 v8, v8 offset:4
	s_waitcnt lgkmcnt(3)
	v_and_b32_e32 v12, 1, v9
	v_cmp_eq_u32_e64 s[6:7], 1, v12
	s_waitcnt lgkmcnt(2)
	v_cndmask_b32_e64 v10, v10, 0, s[6:7]
	s_waitcnt lgkmcnt(0)
	v_or_b32_e32 v8, v8, v9
	v_add_u32_e32 v10, v10, v11
	v_and_b32_e32 v8, 1, v8
	ds_write2_b32 v1, v10, v8 offset0:14 offset1:15
.LBB89_160:
	;; [unrolled: 24-line block ×3, first 2 shown]
	s_or_b64 exec, exec, s[8:9]
	v_cmp_gt_u32_e64 s[6:7], 31, v0
	s_waitcnt lgkmcnt(0)
	s_barrier
	s_and_saveexec_b64 s[8:9], s[6:7]
	s_cbranch_execz .LBB89_164
; %bb.163:
	v_lshl_add_u32 v1, v5, 3, s10
	ds_read_u8 v5, v1 offset:12
	v_add_u32_e32 v6, -8, v1
	ds_read_b32 v7, v6
	ds_read_b32 v8, v1 offset:8
	ds_read_u8 v6, v6 offset:4
	s_waitcnt lgkmcnt(3)
	v_and_b32_e32 v9, 1, v5
	v_cmp_eq_u32_e64 s[6:7], 1, v9
	s_waitcnt lgkmcnt(2)
	v_cndmask_b32_e64 v7, v7, 0, s[6:7]
	s_waitcnt lgkmcnt(0)
	v_or_b32_e32 v5, v6, v5
	v_add_u32_e32 v7, v7, v8
	v_and_b32_e32 v5, 1, v5
	ds_write2_b32 v1, v7, v5 offset0:2 offset1:3
.LBB89_164:
	s_or_b64 exec, exec, s[8:9]
	s_waitcnt lgkmcnt(0)
	s_barrier
	s_and_saveexec_b64 s[6:7], s[2:3]
	s_cbranch_execz .LBB89_166
; %bb.165:
	ds_read_u8 v1, v3 offset:20
	ds_read_u8 v5, v3 offset:12
	ds_read2_b32 v[6:7], v3 offset0:2 offset1:4
	s_waitcnt lgkmcnt(2)
	v_and_b32_e32 v8, 1, v1
	v_cmp_eq_u32_e64 s[2:3], 1, v8
	s_waitcnt lgkmcnt(1)
	v_or_b32_e32 v1, v5, v1
	s_waitcnt lgkmcnt(0)
	v_cndmask_b32_e64 v5, v6, 0, s[2:3]
	v_add_u32_e32 v5, v5, v7
	v_and_b32_e32 v1, 1, v1
	ds_write2_b32 v3, v5, v1 offset0:4 offset1:5
.LBB89_166:
	s_or_b64 exec, exec, s[6:7]
	s_waitcnt lgkmcnt(0)
	s_barrier
	ds_read_b32 v1, v4 offset:256
	ds_read_b32 v3, v3 offset:8
	v_cmp_gt_u32_e64 s[2:3], s16, v2
	v_or_b32_e32 v4, 1, v2
	v_cmp_gt_u32_e64 s[6:7], s16, v4
	s_waitcnt lgkmcnt(1)
	v_cndmask_b32_e64 v5, 0, v1, s[2:3]
	v_mbcnt_lo_u32_b32 v1, -1, 0
	v_mbcnt_hi_u32_b32 v12, -1, v1
	v_and_b32_e32 v13, 63, v12
	v_cmp_gt_u32_e64 s[8:9], 32, v13
	v_cndmask_b32_e64 v1, 0, 1, s[8:9]
	s_waitcnt lgkmcnt(0)
	v_cndmask_b32_e64 v3, 0, v3, s[6:7]
	v_lshlrev_b32_e32 v1, 5, v1
	v_cndmask_b32_e64 v6, 0, v2, s[2:3]
	v_max_u32_e32 v7, v3, v5
	v_add_lshl_u32 v1, v1, v12, 2
	v_cndmask_b32_e64 v8, 0, v4, s[6:7]
	v_cmp_gt_u32_e64 s[8:9], v3, v5
	ds_bpermute_b32 v9, v1, v7
	v_cndmask_b32_e64 v3, v6, v8, s[8:9]
	ds_bpermute_b32 v5, v1, v3
	v_cmp_gt_u32_e64 s[8:9], 48, v13
	v_cndmask_b32_e64 v8, 0, 1, s[8:9]
	v_lshlrev_b32_e32 v8, 4, v8
	s_waitcnt lgkmcnt(1)
	v_max_u32_e32 v6, v9, v7
	v_add_lshl_u32 v8, v8, v12, 2
	v_cmp_gt_u32_e64 s[8:9], v9, v7
	ds_bpermute_b32 v10, v8, v6
	s_waitcnt lgkmcnt(1)
	v_cndmask_b32_e64 v3, v3, v5, s[8:9]
	ds_bpermute_b32 v5, v8, v3
	v_cmp_gt_u32_e64 s[8:9], 56, v13
	v_cndmask_b32_e64 v9, 0, 1, s[8:9]
	v_lshlrev_b32_e32 v9, 3, v9
	s_waitcnt lgkmcnt(1)
	v_max_u32_e32 v7, v10, v6
	v_add_lshl_u32 v9, v9, v12, 2
	v_cmp_gt_u32_e64 s[8:9], v10, v6
	ds_bpermute_b32 v11, v9, v7
	s_waitcnt lgkmcnt(1)
	;; [unrolled: 11-line block ×4, first 2 shown]
	v_cndmask_b32_e64 v5, v3, v5, s[8:9]
	ds_bpermute_b32 v6, v11, v5
	s_waitcnt lgkmcnt(0)
	s_barrier
	v_cmp_gt_u32_e64 s[8:9], v16, v7
	v_max_u32_e32 v3, v16, v7
	v_cndmask_b32_e64 v5, v5, v6, s[8:9]
	v_cmp_ne_u32_e64 s[8:9], 63, v13
	v_addc_co_u32_e64 v6, s[8:9], 0, v12, s[8:9]
	v_lshlrev_b32_e32 v12, 2, v6
	ds_bpermute_b32 v6, v12, v5
	ds_bpermute_b32 v7, v12, v3
	v_cmp_eq_u32_e64 s[8:9], 0, v14
	s_waitcnt lgkmcnt(0)
	s_barrier
	s_and_saveexec_b64 s[12:13], s[8:9]
	s_cbranch_execz .LBB89_168
; %bb.167:
	v_lshrrev_b32_e32 v13, 3, v0
	v_cmp_gt_u32_e64 s[10:11], v7, v3
	v_add_u32_e32 v13, 2, v13
	v_cndmask_b32_e64 v5, v5, v6, s[10:11]
	v_max_u32_e32 v3, v7, v3
	ds_write2_b32 v13, v3, v5 offset0:64 offset1:65
.LBB89_168:
	s_or_b64 exec, exec, s[12:13]
	s_lshr_b32 s10, s20, 6
	v_cmp_gt_u32_e64 s[10:11], s10, v0
	v_lshl_add_u32 v13, v14, 3, 2
	v_mov_b32_e32 v3, 0
	v_mov_b32_e32 v5, 0
	s_waitcnt lgkmcnt(0)
	s_barrier
	s_and_saveexec_b64 s[12:13], s[10:11]
	s_cbranch_execnz .LBB89_213
; %bb.169:
	s_or_b64 exec, exec, s[12:13]
	s_and_saveexec_b64 s[12:13], s[10:11]
	s_cbranch_execnz .LBB89_214
.LBB89_170:
	s_or_b64 exec, exec, s[12:13]
	s_and_saveexec_b64 s[20:21], s[0:1]
	s_cbranch_execnz .LBB89_215
.LBB89_171:
	s_or_b64 exec, exec, s[20:21]
	s_and_saveexec_b64 s[12:13], vcc
	s_cbranch_execz .LBB89_173
.LBB89_172:
	s_waitcnt lgkmcnt(0)
	v_lshl_add_u32 v3, v3, 1, 2
	ds_read_u16 v3, v3
	v_mov_b32_e32 v5, 0
	s_waitcnt lgkmcnt(0)
	ds_write_b16 v5, v3
.LBB89_173:
	s_or_b64 exec, exec, s[12:13]
	s_mov_b32 s20, 0
	s_waitcnt lgkmcnt(0)
	v_mov_b32_e32 v3, 0
	s_mov_b32 s21, s20
	v_cmp_gt_i64_e64 s[12:13], s[16:17], v[2:3]
	v_pk_mov_b32 v[6:7], s[20:21], s[20:21] op_sel:[0,1]
	s_barrier
	s_and_saveexec_b64 s[20:21], s[12:13]
	s_cbranch_execz .LBB89_175
; %bb.174:
	v_add_u32_e32 v6, s15, v2
	v_mov_b32_e32 v7, v3
	v_lshlrev_b64 v[6:7], 1, v[6:7]
	v_mov_b32_e32 v5, s19
	v_add_co_u32_e64 v6, s[12:13], s18, v6
	v_addc_co_u32_e64 v7, s[12:13], v5, v7, s[12:13]
	global_load_ushort v5, v[6:7], off
	ds_read_u16 v6, v3
	s_waitcnt vmcnt(0) lgkmcnt(0)
	v_cmp_eq_u16_e64 s[12:13], v5, v6
	v_cndmask_b32_e64 v2, 0, v2, s[12:13]
	v_pk_mov_b32 v[6:7], v[2:3], v[2:3] op_sel:[0,1]
.LBB89_175:
	s_or_b64 exec, exec, s[20:21]
	v_mov_b32_e32 v5, v3
	v_cmp_gt_i64_e64 s[12:13], s[16:17], v[4:5]
	s_and_saveexec_b64 s[16:17], s[12:13]
	s_cbranch_execz .LBB89_177
; %bb.176:
	v_add_u32_e32 v2, s15, v4
	v_mov_b32_e32 v3, 0
	v_lshlrev_b64 v[16:17], 1, v[2:3]
	v_mov_b32_e32 v2, s19
	v_add_co_u32_e64 v16, s[12:13], s18, v16
	v_addc_co_u32_e64 v17, s[12:13], v2, v17, s[12:13]
	global_load_ushort v2, v[16:17], off
	ds_read_u16 v3, v3
	s_waitcnt vmcnt(0) lgkmcnt(0)
	v_cmp_eq_u16_e64 s[12:13], v2, v3
	v_cndmask_b32_e64 v7, 0, v4, s[12:13]
.LBB89_177:
	s_or_b64 exec, exec, s[16:17]
	v_cndmask_b32_e64 v2, 0, v6, s[2:3]
	v_cndmask_b32_e64 v3, 0, v7, s[6:7]
	v_max_u32_e32 v2, v3, v2
	ds_bpermute_b32 v3, v1, v2
	s_waitcnt lgkmcnt(0)
	s_barrier
	v_max_u32_e32 v2, v3, v2
	ds_bpermute_b32 v3, v8, v2
	s_waitcnt lgkmcnt(0)
	v_max_u32_e32 v2, v3, v2
	ds_bpermute_b32 v3, v9, v2
	s_waitcnt lgkmcnt(0)
	;; [unrolled: 3-line block ×4, first 2 shown]
	v_max_u32_e32 v2, v3, v2
	ds_bpermute_b32 v3, v12, v2
	s_and_saveexec_b64 s[2:3], s[8:9]
	s_cbranch_execz .LBB89_179
; %bb.178:
	v_lshrrev_b32_e32 v0, 4, v0
	v_add_u32_e32 v0, 2, v0
	s_waitcnt lgkmcnt(0)
	v_max_u32_e32 v2, v3, v2
	ds_write_b32 v0, v2
.LBB89_179:
	s_or_b64 exec, exec, s[2:3]
	v_mov_b32_e32 v0, 0
	s_waitcnt lgkmcnt(0)
	s_barrier
	s_and_saveexec_b64 s[2:3], s[10:11]
	s_cbranch_execnz .LBB89_216
; %bb.180:
	s_or_b64 exec, exec, s[2:3]
	s_and_saveexec_b64 s[2:3], s[0:1]
	s_cbranch_execnz .LBB89_217
.LBB89_181:
	s_or_b64 exec, exec, s[2:3]
	s_and_saveexec_b64 s[0:1], vcc
	s_cbranch_execnz .LBB89_218
.LBB89_182:
	s_endpgm
.LBB89_183:
	ds_read_u8 v10, v4 offset:256
	s_andn2_b64 s[0:1], s[0:1], exec
	s_mov_b32 s6, 1
	s_waitcnt lgkmcnt(0)
	v_and_b32_e32 v10, 1, v10
	v_cmp_eq_u32_e32 vcc, 1, v10
	s_xor_b64 s[8:9], vcc, -1
	s_and_b64 s[8:9], s[8:9], exec
	s_or_b64 s[0:1], s[0:1], s[8:9]
	s_or_b64 exec, exec, s[2:3]
	v_mov_b32_e32 v10, s6
	s_and_saveexec_b64 s[2:3], s[0:1]
	s_cbranch_execz .LBB89_19
.LBB89_184:
	ds_read_u8 v10, v1 offset:257
	s_waitcnt lgkmcnt(0)
	v_xor_b32_e32 v10, 1, v10
	s_or_b64 exec, exec, s[2:3]
	v_cmp_eq_u32_e32 vcc, v10, v8
	s_and_saveexec_b64 s[0:1], vcc
	s_cbranch_execnz .LBB89_20
	s_branch .LBB89_21
.LBB89_185:
	ds_read_u8 v14, v5 offset:256
	s_andn2_b64 s[0:1], s[0:1], exec
	s_mov_b32 s6, 1
	s_waitcnt lgkmcnt(0)
	v_and_b32_e32 v14, 1, v14
	v_cmp_eq_u32_e32 vcc, 1, v14
	s_xor_b64 s[8:9], vcc, -1
	s_and_b64 s[8:9], s[8:9], exec
	s_or_b64 s[0:1], s[0:1], s[8:9]
	s_or_b64 exec, exec, s[2:3]
	v_mov_b32_e32 v14, s6
	s_and_saveexec_b64 s[2:3], s[0:1]
	s_cbranch_execz .LBB89_29
.LBB89_186:
	ds_read_u8 v14, v5 offset:258
	s_waitcnt lgkmcnt(0)
	v_xor_b32_e32 v14, 1, v14
	s_or_b64 exec, exec, s[2:3]
	v_cmp_eq_u32_e32 vcc, v14, v11
	s_and_saveexec_b64 s[0:1], vcc
	s_cbranch_execnz .LBB89_30
	s_branch .LBB89_31
.LBB89_187:
	ds_read_u8 v13, v4 offset:256
	s_andn2_b64 s[0:1], s[0:1], exec
	s_mov_b32 s6, 1
	s_waitcnt lgkmcnt(0)
	v_and_b32_e32 v13, 1, v13
	v_cmp_eq_u32_e32 vcc, 1, v13
	s_xor_b64 s[8:9], vcc, -1
	s_and_b64 s[8:9], s[8:9], exec
	s_or_b64 s[0:1], s[0:1], s[8:9]
	s_or_b64 exec, exec, s[2:3]
	v_mov_b32_e32 v13, s6
	s_and_saveexec_b64 s[2:3], s[0:1]
	s_cbranch_execz .LBB89_33
.LBB89_188:
	ds_read_u8 v13, v1 offset:257
	s_waitcnt lgkmcnt(0)
	v_xor_b32_e32 v13, 1, v13
	s_or_b64 exec, exec, s[2:3]
	v_cmp_eq_u32_e32 vcc, v13, v11
	s_and_saveexec_b64 s[0:1], vcc
	s_cbranch_execnz .LBB89_34
	s_branch .LBB89_35
.LBB89_189:
	ds_read_u8 v17, v8 offset:256
	s_andn2_b64 s[0:1], s[0:1], exec
	s_mov_b32 s6, 1
	s_waitcnt lgkmcnt(0)
	v_and_b32_e32 v17, 1, v17
	v_cmp_eq_u32_e32 vcc, 1, v17
	s_xor_b64 s[8:9], vcc, -1
	s_and_b64 s[8:9], s[8:9], exec
	s_or_b64 s[0:1], s[0:1], s[8:9]
	s_or_b64 exec, exec, s[2:3]
	v_mov_b32_e32 v17, s6
	s_and_saveexec_b64 s[2:3], s[0:1]
	s_cbranch_execz .LBB89_43
.LBB89_190:
	ds_read_u8 v17, v8 offset:260
	s_waitcnt lgkmcnt(0)
	v_xor_b32_e32 v17, 1, v17
	s_or_b64 exec, exec, s[2:3]
	v_cmp_eq_u32_e32 vcc, v17, v14
	s_and_saveexec_b64 s[0:1], vcc
	s_cbranch_execnz .LBB89_44
	s_branch .LBB89_45
.LBB89_191:
	ds_read_u8 v17, v5 offset:256
	s_andn2_b64 s[0:1], s[0:1], exec
	s_mov_b32 s6, 1
	s_waitcnt lgkmcnt(0)
	v_and_b32_e32 v17, 1, v17
	v_cmp_eq_u32_e32 vcc, 1, v17
	s_xor_b64 s[8:9], vcc, -1
	s_and_b64 s[8:9], s[8:9], exec
	s_or_b64 s[0:1], s[0:1], s[8:9]
	s_or_b64 exec, exec, s[2:3]
	v_mov_b32_e32 v17, s6
	s_and_saveexec_b64 s[2:3], s[0:1]
	s_cbranch_execz .LBB89_47
.LBB89_192:
	ds_read_u8 v17, v5 offset:258
	s_waitcnt lgkmcnt(0)
	v_xor_b32_e32 v17, 1, v17
	s_or_b64 exec, exec, s[2:3]
	v_cmp_eq_u32_e32 vcc, v17, v14
	s_and_saveexec_b64 s[0:1], vcc
	s_cbranch_execnz .LBB89_48
	s_branch .LBB89_49
.LBB89_193:
	ds_read_u8 v16, v4 offset:256
	s_andn2_b64 s[0:1], s[0:1], exec
	s_mov_b32 s6, 1
	s_waitcnt lgkmcnt(0)
	v_and_b32_e32 v16, 1, v16
	v_cmp_eq_u32_e32 vcc, 1, v16
	s_xor_b64 s[8:9], vcc, -1
	s_and_b64 s[8:9], s[8:9], exec
	s_or_b64 s[0:1], s[0:1], s[8:9]
	s_or_b64 exec, exec, s[2:3]
	v_mov_b32_e32 v16, s6
	s_and_saveexec_b64 s[2:3], s[0:1]
	s_cbranch_execz .LBB89_51
.LBB89_194:
	ds_read_u8 v16, v1 offset:257
	s_waitcnt lgkmcnt(0)
	v_xor_b32_e32 v16, 1, v16
	s_or_b64 exec, exec, s[2:3]
	v_cmp_eq_u32_e32 vcc, v16, v14
	s_and_saveexec_b64 s[0:1], vcc
	s_cbranch_execnz .LBB89_52
	s_branch .LBB89_53
.LBB89_195:
	ds_read_u8 v20, v11 offset:256
	s_andn2_b64 s[0:1], s[0:1], exec
	s_mov_b32 s6, 1
	s_waitcnt lgkmcnt(0)
	v_and_b32_e32 v20, 1, v20
	v_cmp_eq_u32_e32 vcc, 1, v20
	s_xor_b64 s[8:9], vcc, -1
	s_and_b64 s[8:9], s[8:9], exec
	s_or_b64 s[0:1], s[0:1], s[8:9]
	s_or_b64 exec, exec, s[2:3]
	v_mov_b32_e32 v20, s6
	s_and_saveexec_b64 s[2:3], s[0:1]
	s_cbranch_execz .LBB89_61
.LBB89_196:
	ds_read_u8 v20, v11 offset:264
	s_waitcnt lgkmcnt(0)
	v_xor_b32_e32 v20, 1, v20
	s_or_b64 exec, exec, s[2:3]
	v_cmp_eq_u32_e32 vcc, v20, v14
	s_and_saveexec_b64 s[0:1], vcc
	s_cbranch_execnz .LBB89_62
	s_branch .LBB89_63
.LBB89_197:
	ds_read_u8 v20, v8 offset:256
	s_andn2_b64 s[0:1], s[0:1], exec
	s_mov_b32 s6, 1
	s_waitcnt lgkmcnt(0)
	v_and_b32_e32 v20, 1, v20
	v_cmp_eq_u32_e32 vcc, 1, v20
	s_xor_b64 s[8:9], vcc, -1
	s_and_b64 s[8:9], s[8:9], exec
	s_or_b64 s[0:1], s[0:1], s[8:9]
	s_or_b64 exec, exec, s[2:3]
	v_mov_b32_e32 v20, s6
	s_and_saveexec_b64 s[2:3], s[0:1]
	s_cbranch_execz .LBB89_65
.LBB89_198:
	ds_read_u8 v20, v8 offset:260
	s_waitcnt lgkmcnt(0)
	v_xor_b32_e32 v20, 1, v20
	s_or_b64 exec, exec, s[2:3]
	v_cmp_eq_u32_e32 vcc, v20, v14
	s_and_saveexec_b64 s[0:1], vcc
	s_cbranch_execnz .LBB89_66
	s_branch .LBB89_67
.LBB89_199:
	ds_read_u8 v20, v5 offset:256
	s_andn2_b64 s[0:1], s[0:1], exec
	s_mov_b32 s6, 1
	s_waitcnt lgkmcnt(0)
	v_and_b32_e32 v20, 1, v20
	v_cmp_eq_u32_e32 vcc, 1, v20
	s_xor_b64 s[8:9], vcc, -1
	s_and_b64 s[8:9], s[8:9], exec
	s_or_b64 s[0:1], s[0:1], s[8:9]
	s_or_b64 exec, exec, s[2:3]
	v_mov_b32_e32 v20, s6
	s_and_saveexec_b64 s[2:3], s[0:1]
	s_cbranch_execz .LBB89_69
.LBB89_200:
	ds_read_u8 v20, v5 offset:258
	s_waitcnt lgkmcnt(0)
	v_xor_b32_e32 v20, 1, v20
	s_or_b64 exec, exec, s[2:3]
	v_cmp_eq_u32_e32 vcc, v20, v14
	s_and_saveexec_b64 s[0:1], vcc
	s_cbranch_execnz .LBB89_70
	s_branch .LBB89_71
.LBB89_201:
	ds_read_u8 v19, v4 offset:256
	s_andn2_b64 s[0:1], s[0:1], exec
	s_mov_b32 s6, 1
	s_waitcnt lgkmcnt(0)
	v_and_b32_e32 v19, 1, v19
	v_cmp_eq_u32_e32 vcc, 1, v19
	s_xor_b64 s[8:9], vcc, -1
	s_and_b64 s[8:9], s[8:9], exec
	s_or_b64 s[0:1], s[0:1], s[8:9]
	s_or_b64 exec, exec, s[2:3]
	v_mov_b32_e32 v19, s6
	s_and_saveexec_b64 s[2:3], s[0:1]
	s_cbranch_execz .LBB89_73
.LBB89_202:
	ds_read_u8 v19, v1 offset:257
	s_waitcnt lgkmcnt(0)
	v_xor_b32_e32 v19, 1, v19
	s_or_b64 exec, exec, s[2:3]
	v_cmp_eq_u32_e32 vcc, v19, v14
	s_and_saveexec_b64 s[0:1], vcc
	s_cbranch_execnz .LBB89_74
	s_branch .LBB89_75
.LBB89_203:
	ds_read_u8 v23, v15 offset:256
	s_andn2_b64 s[0:1], s[0:1], exec
	s_mov_b32 s6, 1
	s_waitcnt lgkmcnt(0)
	v_and_b32_e32 v23, 1, v23
	v_cmp_eq_u32_e32 vcc, 1, v23
	s_xor_b64 s[8:9], vcc, -1
	s_and_b64 s[8:9], s[8:9], exec
	s_or_b64 s[0:1], s[0:1], s[8:9]
	s_or_b64 exec, exec, s[2:3]
	v_mov_b32_e32 v23, s6
	s_and_saveexec_b64 s[2:3], s[0:1]
	s_cbranch_execz .LBB89_83
.LBB89_204:
	ds_read_u8 v23, v15 offset:272
	s_waitcnt lgkmcnt(0)
	v_xor_b32_e32 v23, 1, v23
	s_or_b64 exec, exec, s[2:3]
	v_cmp_eq_u32_e32 vcc, v23, v14
	s_and_saveexec_b64 s[0:1], vcc
	s_cbranch_execnz .LBB89_84
	s_branch .LBB89_85
.LBB89_205:
	ds_read_u8 v23, v11 offset:256
	s_andn2_b64 s[0:1], s[0:1], exec
	s_mov_b32 s6, 1
	s_waitcnt lgkmcnt(0)
	v_and_b32_e32 v23, 1, v23
	v_cmp_eq_u32_e32 vcc, 1, v23
	s_xor_b64 s[8:9], vcc, -1
	s_and_b64 s[8:9], s[8:9], exec
	s_or_b64 s[0:1], s[0:1], s[8:9]
	s_or_b64 exec, exec, s[2:3]
	v_mov_b32_e32 v23, s6
	s_and_saveexec_b64 s[2:3], s[0:1]
	s_cbranch_execz .LBB89_87
.LBB89_206:
	ds_read_u8 v23, v11 offset:264
	s_waitcnt lgkmcnt(0)
	v_xor_b32_e32 v23, 1, v23
	s_or_b64 exec, exec, s[2:3]
	v_cmp_eq_u32_e32 vcc, v23, v14
	s_and_saveexec_b64 s[0:1], vcc
	s_cbranch_execnz .LBB89_88
	s_branch .LBB89_89
.LBB89_207:
	ds_read_u8 v23, v8 offset:256
	s_andn2_b64 s[0:1], s[0:1], exec
	s_mov_b32 s6, 1
	s_waitcnt lgkmcnt(0)
	v_and_b32_e32 v23, 1, v23
	v_cmp_eq_u32_e32 vcc, 1, v23
	s_xor_b64 s[8:9], vcc, -1
	s_and_b64 s[8:9], s[8:9], exec
	s_or_b64 s[0:1], s[0:1], s[8:9]
	s_or_b64 exec, exec, s[2:3]
	v_mov_b32_e32 v23, s6
	s_and_saveexec_b64 s[2:3], s[0:1]
	s_cbranch_execz .LBB89_91
.LBB89_208:
	ds_read_u8 v23, v8 offset:260
	s_waitcnt lgkmcnt(0)
	v_xor_b32_e32 v23, 1, v23
	s_or_b64 exec, exec, s[2:3]
	v_cmp_eq_u32_e32 vcc, v23, v14
	s_and_saveexec_b64 s[0:1], vcc
	s_cbranch_execnz .LBB89_92
	s_branch .LBB89_93
.LBB89_209:
	ds_read_u8 v23, v5 offset:256
	s_andn2_b64 s[0:1], s[0:1], exec
	s_mov_b32 s6, 1
	s_waitcnt lgkmcnt(0)
	v_and_b32_e32 v23, 1, v23
	v_cmp_eq_u32_e32 vcc, 1, v23
	s_xor_b64 s[8:9], vcc, -1
	s_and_b64 s[8:9], s[8:9], exec
	s_or_b64 s[0:1], s[0:1], s[8:9]
	s_or_b64 exec, exec, s[2:3]
	v_mov_b32_e32 v23, s6
	s_and_saveexec_b64 s[2:3], s[0:1]
	s_cbranch_execz .LBB89_95
.LBB89_210:
	ds_read_u8 v23, v5 offset:258
	s_waitcnt lgkmcnt(0)
	v_xor_b32_e32 v23, 1, v23
	s_or_b64 exec, exec, s[2:3]
	v_cmp_eq_u32_e32 vcc, v23, v14
	s_and_saveexec_b64 s[0:1], vcc
	s_cbranch_execnz .LBB89_96
	s_branch .LBB89_97
.LBB89_211:
	ds_read_u8 v22, v4 offset:256
	s_andn2_b64 s[0:1], s[0:1], exec
	s_mov_b32 s6, 1
	s_waitcnt lgkmcnt(0)
	v_and_b32_e32 v22, 1, v22
	v_cmp_eq_u32_e32 vcc, 1, v22
	s_xor_b64 s[8:9], vcc, -1
	s_and_b64 s[8:9], s[8:9], exec
	s_or_b64 s[0:1], s[0:1], s[8:9]
	s_or_b64 exec, exec, s[2:3]
	v_mov_b32_e32 v22, s6
	s_and_saveexec_b64 s[2:3], s[0:1]
	s_cbranch_execz .LBB89_99
.LBB89_212:
	ds_read_u8 v22, v1 offset:257
	s_waitcnt lgkmcnt(0)
	v_xor_b32_e32 v22, 1, v22
	s_or_b64 exec, exec, s[2:3]
	v_cmp_eq_u32_e32 vcc, v22, v14
	s_and_saveexec_b64 s[0:1], vcc
	s_cbranch_execnz .LBB89_100
	s_branch .LBB89_101
.LBB89_213:
	ds_read_b32 v5, v13 offset:256
	s_or_b64 exec, exec, s[12:13]
	s_and_saveexec_b64 s[12:13], s[10:11]
	s_cbranch_execz .LBB89_170
.LBB89_214:
	ds_read_b32 v3, v13 offset:260
	s_or_b64 exec, exec, s[12:13]
	s_and_saveexec_b64 s[20:21], s[0:1]
	s_cbranch_execz .LBB89_171
.LBB89_215:
	s_waitcnt lgkmcnt(0)
	ds_bpermute_b32 v6, v1, v5
	ds_bpermute_b32 v7, v1, v3
	s_waitcnt lgkmcnt(1)
	v_max_u32_e32 v15, v6, v5
	v_cmp_gt_u32_e64 s[12:13], v6, v5
	ds_bpermute_b32 v16, v8, v15
	s_waitcnt lgkmcnt(1)
	v_cndmask_b32_e64 v3, v3, v7, s[12:13]
	ds_bpermute_b32 v5, v8, v3
	s_waitcnt lgkmcnt(1)
	v_max_u32_e32 v6, v16, v15
	v_cmp_gt_u32_e64 s[12:13], v16, v15
	ds_bpermute_b32 v7, v9, v6
	s_waitcnt lgkmcnt(1)
	v_cndmask_b32_e64 v3, v3, v5, s[12:13]
	;; [unrolled: 7-line block ×4, first 2 shown]
	ds_bpermute_b32 v5, v11, v3
	s_waitcnt lgkmcnt(1)
	v_max_u32_e32 v15, v7, v6
	v_cmp_gt_u32_e64 s[12:13], v7, v6
	s_waitcnt lgkmcnt(0)
	v_cndmask_b32_e64 v3, v3, v5, s[12:13]
	ds_bpermute_b32 v5, v12, v15
	ds_bpermute_b32 v6, v12, v3
	s_waitcnt lgkmcnt(1)
	v_cmp_gt_u32_e64 s[12:13], v5, v15
	s_waitcnt lgkmcnt(0)
	v_cndmask_b32_e64 v3, v3, v6, s[12:13]
	s_or_b64 exec, exec, s[20:21]
	s_and_saveexec_b64 s[12:13], vcc
	s_cbranch_execnz .LBB89_172
	s_branch .LBB89_173
.LBB89_216:
	v_lshlrev_b32_e32 v0, 2, v14
	v_sub_u32_e32 v0, v13, v0
	ds_read_b32 v0, v0
	s_or_b64 exec, exec, s[2:3]
	s_and_saveexec_b64 s[2:3], s[0:1]
	s_cbranch_execz .LBB89_181
.LBB89_217:
	s_waitcnt lgkmcnt(0)
	ds_bpermute_b32 v1, v1, v0
	s_waitcnt lgkmcnt(0)
	v_max_u32_e32 v0, v1, v0
	ds_bpermute_b32 v1, v8, v0
	s_waitcnt lgkmcnt(0)
	v_max_u32_e32 v0, v1, v0
	;; [unrolled: 3-line block ×6, first 2 shown]
	s_or_b64 exec, exec, s[2:3]
	s_and_saveexec_b64 s[0:1], vcc
	s_cbranch_execz .LBB89_182
.LBB89_218:
	s_load_dword s6, s[4:5], 0xd8
	s_load_dwordx2 s[0:1], s[4:5], 0xe0
	s_add_u32 s2, s4, 8
	s_addc_u32 s3, s5, 0
	s_mov_b32 s5, 0
	s_waitcnt lgkmcnt(0)
	s_cmp_lt_i32 s6, 2
	s_cbranch_scc1 .LBB89_221
; %bb.219:
	s_add_i32 s4, s6, -1
	s_add_i32 s8, s6, 1
	s_lshl_b64 s[6:7], s[4:5], 2
	s_add_u32 s4, s6, s2
	s_addc_u32 s7, s7, s3
	s_add_u32 s6, s4, 8
	s_addc_u32 s7, s7, 0
.LBB89_220:                             ; =>This Inner Loop Header: Depth=1
	s_load_dword s4, s[6:7], 0x0
	s_load_dword s10, s[6:7], 0x64
	s_mov_b32 s9, s14
	s_waitcnt lgkmcnt(0)
	v_cvt_f32_u32_e32 v1, s4
	s_sub_i32 s11, 0, s4
	v_rcp_iflag_f32_e32 v1, v1
	v_mul_f32_e32 v1, 0x4f7ffffe, v1
	v_cvt_u32_f32_e32 v1, v1
	v_readfirstlane_b32 s12, v1
	s_mul_i32 s11, s11, s12
	s_mul_hi_u32 s11, s12, s11
	s_add_i32 s12, s12, s11
	s_mul_hi_u32 s11, s14, s12
	s_mul_i32 s12, s11, s4
	s_sub_i32 s12, s14, s12
	s_add_i32 s13, s11, 1
	s_sub_i32 s14, s12, s4
	s_cmp_ge_u32 s12, s4
	s_cselect_b32 s11, s13, s11
	s_cselect_b32 s12, s14, s12
	s_add_i32 s13, s11, 1
	s_cmp_ge_u32 s12, s4
	s_cselect_b32 s14, s13, s11
	s_mul_i32 s4, s14, s4
	s_sub_i32 s4, s9, s4
	s_mul_i32 s4, s10, s4
	s_add_i32 s8, s8, -1
	s_add_i32 s5, s4, s5
	s_add_u32 s6, s6, -4
	s_addc_u32 s7, s7, -1
	s_cmp_gt_u32 s8, 2
	s_cbranch_scc1 .LBB89_220
.LBB89_221:
	s_load_dword s4, s[2:3], 0x6c
	v_mov_b32_e32 v1, 0
	s_load_dwordx2 s[2:3], s[2:3], 0x0
	ds_read_u16 v2, v1
	s_mov_b32 s7, 0
	s_waitcnt lgkmcnt(0)
	s_mul_i32 s4, s4, s14
	s_add_i32 s6, s4, s5
	s_lshl_b64 s[4:5], s[6:7], 1
	s_add_u32 s2, s2, s4
	s_addc_u32 s3, s3, s5
	global_store_short v1, v2, s[2:3]
	s_lshl_b64 s[2:3], s[6:7], 3
	s_add_u32 s0, s0, s2
	s_addc_u32 s1, s1, s3
	global_store_dwordx2 v1, v[0:1], s[0:1]
	s_endpgm
	.section	.rodata,"a",@progbits
	.p2align	6, 0x0
	.amdhsa_kernel _ZN2at6native12compute_modeIsLj128EEEvPKT_NS_4cuda6detail10TensorInfoIS2_jEENS7_IljEEll
		.amdhsa_group_segment_fixed_size 2
		.amdhsa_private_segment_fixed_size 0
		.amdhsa_kernarg_size 712
		.amdhsa_user_sgpr_count 6
		.amdhsa_user_sgpr_private_segment_buffer 1
		.amdhsa_user_sgpr_dispatch_ptr 0
		.amdhsa_user_sgpr_queue_ptr 0
		.amdhsa_user_sgpr_kernarg_segment_ptr 1
		.amdhsa_user_sgpr_dispatch_id 0
		.amdhsa_user_sgpr_flat_scratch_init 0
		.amdhsa_user_sgpr_kernarg_preload_length 0
		.amdhsa_user_sgpr_kernarg_preload_offset 0
		.amdhsa_user_sgpr_private_segment_size 0
		.amdhsa_uses_dynamic_stack 0
		.amdhsa_system_sgpr_private_segment_wavefront_offset 0
		.amdhsa_system_sgpr_workgroup_id_x 1
		.amdhsa_system_sgpr_workgroup_id_y 1
		.amdhsa_system_sgpr_workgroup_id_z 1
		.amdhsa_system_sgpr_workgroup_info 0
		.amdhsa_system_vgpr_workitem_id 0
		.amdhsa_next_free_vgpr 28
		.amdhsa_next_free_sgpr 22
		.amdhsa_accum_offset 28
		.amdhsa_reserve_vcc 1
		.amdhsa_reserve_flat_scratch 0
		.amdhsa_float_round_mode_32 0
		.amdhsa_float_round_mode_16_64 0
		.amdhsa_float_denorm_mode_32 3
		.amdhsa_float_denorm_mode_16_64 3
		.amdhsa_dx10_clamp 1
		.amdhsa_ieee_mode 1
		.amdhsa_fp16_overflow 0
		.amdhsa_tg_split 0
		.amdhsa_exception_fp_ieee_invalid_op 0
		.amdhsa_exception_fp_denorm_src 0
		.amdhsa_exception_fp_ieee_div_zero 0
		.amdhsa_exception_fp_ieee_overflow 0
		.amdhsa_exception_fp_ieee_underflow 0
		.amdhsa_exception_fp_ieee_inexact 0
		.amdhsa_exception_int_div_zero 0
	.end_amdhsa_kernel
	.section	.text._ZN2at6native12compute_modeIsLj128EEEvPKT_NS_4cuda6detail10TensorInfoIS2_jEENS7_IljEEll,"axG",@progbits,_ZN2at6native12compute_modeIsLj128EEEvPKT_NS_4cuda6detail10TensorInfoIS2_jEENS7_IljEEll,comdat
.Lfunc_end89:
	.size	_ZN2at6native12compute_modeIsLj128EEEvPKT_NS_4cuda6detail10TensorInfoIS2_jEENS7_IljEEll, .Lfunc_end89-_ZN2at6native12compute_modeIsLj128EEEvPKT_NS_4cuda6detail10TensorInfoIS2_jEENS7_IljEEll
                                        ; -- End function
	.section	.AMDGPU.csdata,"",@progbits
; Kernel info:
; codeLenInByte = 10076
; NumSgprs: 26
; NumVgprs: 28
; NumAgprs: 0
; TotalNumVgprs: 28
; ScratchSize: 0
; MemoryBound: 0
; FloatMode: 240
; IeeeMode: 1
; LDSByteSize: 2 bytes/workgroup (compile time only)
; SGPRBlocks: 3
; VGPRBlocks: 3
; NumSGPRsForWavesPerEU: 26
; NumVGPRsForWavesPerEU: 28
; AccumOffset: 28
; Occupancy: 8
; WaveLimiterHint : 1
; COMPUTE_PGM_RSRC2:SCRATCH_EN: 0
; COMPUTE_PGM_RSRC2:USER_SGPR: 6
; COMPUTE_PGM_RSRC2:TRAP_HANDLER: 0
; COMPUTE_PGM_RSRC2:TGID_X_EN: 1
; COMPUTE_PGM_RSRC2:TGID_Y_EN: 1
; COMPUTE_PGM_RSRC2:TGID_Z_EN: 1
; COMPUTE_PGM_RSRC2:TIDIG_COMP_CNT: 0
; COMPUTE_PGM_RSRC3_GFX90A:ACCUM_OFFSET: 6
; COMPUTE_PGM_RSRC3_GFX90A:TG_SPLIT: 0
	.section	.text._ZN2at6native12compute_modeIdLj2048EEEvPKT_NS_4cuda6detail10TensorInfoIS2_jEENS7_IljEEll,"axG",@progbits,_ZN2at6native12compute_modeIdLj2048EEEvPKT_NS_4cuda6detail10TensorInfoIS2_jEENS7_IljEEll,comdat
	.protected	_ZN2at6native12compute_modeIdLj2048EEEvPKT_NS_4cuda6detail10TensorInfoIS2_jEENS7_IljEEll ; -- Begin function _ZN2at6native12compute_modeIdLj2048EEEvPKT_NS_4cuda6detail10TensorInfoIS2_jEENS7_IljEEll
	.globl	_ZN2at6native12compute_modeIdLj2048EEEvPKT_NS_4cuda6detail10TensorInfoIS2_jEENS7_IljEEll
	.p2align	8
	.type	_ZN2at6native12compute_modeIdLj2048EEEvPKT_NS_4cuda6detail10TensorInfoIS2_jEENS7_IljEEll,@function
_ZN2at6native12compute_modeIdLj2048EEEvPKT_NS_4cuda6detail10TensorInfoIS2_jEENS7_IljEEll: ; @_ZN2at6native12compute_modeIdLj2048EEEvPKT_NS_4cuda6detail10TensorInfoIS2_jEENS7_IljEEll
; %bb.0:
	s_load_dwordx4 s[16:19], s[4:5], 0x1b8
	s_load_dwordx2 s[2:3], s[4:5], 0x1c8
	s_add_u32 s0, s4, 0x1c8
	s_addc_u32 s1, s5, 0
	s_waitcnt lgkmcnt(0)
	v_mov_b32_e32 v2, s18
	s_mul_i32 s3, s3, s8
	s_add_i32 s3, s3, s7
	s_mul_i32 s2, s3, s2
	v_mov_b32_e32 v3, s19
	s_add_i32 s18, s2, s6
	s_mov_b32 s19, 0
	v_cmp_ge_i64_e32 vcc, s[18:19], v[2:3]
	s_cbranch_vccnz .LBB90_134
; %bb.1:
	s_load_dwordx2 s[20:21], s[4:5], 0x0
	s_load_dword s6, s[0:1], 0xc
	v_mov_b32_e32 v3, 0
	v_mov_b32_e32 v1, v3
	s_mul_i32 s19, s18, s16
	v_cmp_gt_i64_e32 vcc, s[16:17], v[0:1]
	s_and_saveexec_b64 s[2:3], vcc
	s_cbranch_execz .LBB90_3
; %bb.2:
	v_add_u32_e32 v2, s19, v0
	v_lshlrev_b64 v[4:5], 3, v[2:3]
	s_waitcnt lgkmcnt(0)
	v_mov_b32_e32 v1, s21
	v_add_co_u32_e64 v4, s[0:1], s20, v4
	v_addc_co_u32_e64 v5, s[0:1], v1, v5, s[0:1]
	global_load_dwordx2 v[4:5], v[4:5], off
	v_lshl_add_u32 v1, v0, 3, 8
	s_waitcnt vmcnt(0)
	ds_write_b64 v1, v[4:5]
.LBB90_3:
	s_or_b64 exec, exec, s[2:3]
	s_load_dwordx2 s[14:15], s[4:5], 0xe0
	s_waitcnt lgkmcnt(0)
	s_and_b32 s22, 0xffff, s6
	v_add_u32_e32 v2, s22, v0
	v_cmp_gt_i64_e64 s[0:1], s[16:17], v[2:3]
	s_and_saveexec_b64 s[6:7], s[0:1]
	s_cbranch_execz .LBB90_5
; %bb.4:
	v_add_u32_e32 v4, s19, v2
	v_mov_b32_e32 v5, 0
	v_lshlrev_b64 v[4:5], 3, v[4:5]
	v_mov_b32_e32 v1, s21
	v_add_co_u32_e64 v4, s[2:3], s20, v4
	v_addc_co_u32_e64 v5, s[2:3], v1, v5, s[2:3]
	global_load_dwordx2 v[4:5], v[4:5], off
	v_lshl_add_u32 v1, v2, 3, 8
	s_waitcnt vmcnt(0)
	ds_write_b64 v1, v[4:5]
.LBB90_5:
	s_or_b64 exec, exec, s[6:7]
	v_add_u32_e32 v1, 8, v0
	v_cndmask_b32_e64 v2, 0, 1, vcc
	ds_write_b8 v1, v2 offset:16384
	v_add_u32_e32 v2, s22, v1
	v_cndmask_b32_e64 v3, 0, 1, s[0:1]
	v_lshlrev_b32_e32 v6, 1, v0
	s_mov_b32 s6, 2
	ds_write_b8 v2, v3 offset:16384
	s_waitcnt lgkmcnt(0)
	s_barrier
	s_branch .LBB90_7
.LBB90_6:                               ;   in Loop: Header=BB90_7 Depth=1
	s_lshl_b32 s0, s6, 2
	s_cmpk_gt_u32 s6, 0x1ff
	s_mov_b32 s6, s0
	s_cbranch_scc1 .LBB90_23
.LBB90_7:                               ; =>This Loop Header: Depth=1
                                        ;     Child Loop BB90_9 Depth 2
                                        ;     Child Loop BB90_17 Depth 2
	s_lshr_b32 s7, s6, 1
	v_and_b32_e32 v2, s7, v0
	v_cmp_ne_u32_e32 vcc, 0, v2
	v_cndmask_b32_e64 v7, 0, 1, vcc
	s_branch .LBB90_9
.LBB90_8:                               ;   in Loop: Header=BB90_9 Depth=2
	s_or_b64 exec, exec, s[0:1]
	s_lshr_b32 s0, s7, 1
	s_cmp_lt_u32 s7, 2
	s_mov_b32 s7, s0
	s_cbranch_scc1 .LBB90_15
.LBB90_9:                               ;   Parent Loop BB90_7 Depth=1
                                        ; =>  This Inner Loop Header: Depth=2
	s_add_i32 s0, s7, -1
	v_and_b32_e32 v2, s0, v0
	v_sub_u32_e32 v10, v6, v2
	v_lshl_add_u32 v8, v10, 3, 8
	s_barrier
	v_lshl_add_u32 v9, s7, 3, v8
	ds_read_b64 v[2:3], v8
	ds_read_b64 v[4:5], v9
	v_add_u32_e32 v10, 8, v10
                                        ; implicit-def: $sgpr8
	s_waitcnt lgkmcnt(0)
	v_cmp_nlt_f64_e64 s[0:1], v[2:3], v[4:5]
	v_cmp_lt_f64_e32 vcc, v[2:3], v[4:5]
	s_and_saveexec_b64 s[2:3], vcc
	s_cbranch_execz .LBB90_11
; %bb.10:                               ;   in Loop: Header=BB90_9 Depth=2
	ds_read_u8 v11, v10 offset:16384
	s_andn2_b64 s[0:1], s[0:1], exec
	s_mov_b32 s8, 1
	s_waitcnt lgkmcnt(0)
	v_and_b32_e32 v11, 1, v11
	v_cmp_eq_u32_e32 vcc, 1, v11
	s_xor_b64 s[10:11], vcc, -1
	s_and_b64 s[10:11], s[10:11], exec
	s_or_b64 s[0:1], s[0:1], s[10:11]
.LBB90_11:                              ;   in Loop: Header=BB90_9 Depth=2
	s_or_b64 exec, exec, s[2:3]
	v_mov_b32_e32 v12, s8
	v_add_u32_e32 v11, s7, v10
	s_and_saveexec_b64 s[2:3], s[0:1]
	s_cbranch_execz .LBB90_13
; %bb.12:                               ;   in Loop: Header=BB90_9 Depth=2
	ds_read_u8 v12, v11 offset:16384
	s_waitcnt lgkmcnt(0)
	v_xor_b32_e32 v12, 1, v12
.LBB90_13:                              ;   in Loop: Header=BB90_9 Depth=2
	s_or_b64 exec, exec, s[2:3]
	v_cmp_eq_u32_e32 vcc, v12, v7
	s_and_saveexec_b64 s[0:1], vcc
	s_cbranch_execz .LBB90_8
; %bb.14:                               ;   in Loop: Header=BB90_9 Depth=2
	ds_read_u8 v12, v11 offset:16384
	ds_read_u8 v13, v10 offset:16384
	ds_write_b64 v8, v[4:5]
	ds_write_b64 v9, v[2:3]
	s_waitcnt lgkmcnt(3)
	ds_write_b8 v10, v12 offset:16384
	s_waitcnt lgkmcnt(3)
	ds_write_b8 v11, v13 offset:16384
	s_branch .LBB90_8
.LBB90_15:                              ;   in Loop: Header=BB90_7 Depth=1
	v_and_b32_e32 v2, s6, v0
	v_cmp_ne_u32_e32 vcc, 0, v2
	v_cndmask_b32_e64 v7, 0, 1, vcc
	s_mov_b32 s7, s6
	s_branch .LBB90_17
.LBB90_16:                              ;   in Loop: Header=BB90_17 Depth=2
	s_or_b64 exec, exec, s[0:1]
	s_lshr_b32 s0, s7, 1
	s_cmp_gt_u32 s7, 1
	s_mov_b32 s7, s0
	s_cbranch_scc0 .LBB90_6
.LBB90_17:                              ;   Parent Loop BB90_7 Depth=1
                                        ; =>  This Inner Loop Header: Depth=2
	s_add_i32 s0, s7, -1
	v_and_b32_e32 v2, s0, v0
	v_sub_u32_e32 v10, v6, v2
	v_lshl_add_u32 v8, v10, 3, 8
	s_waitcnt lgkmcnt(0)
	s_barrier
	v_lshl_add_u32 v9, s7, 3, v8
	ds_read_b64 v[2:3], v8
	ds_read_b64 v[4:5], v9
	v_add_u32_e32 v10, 8, v10
                                        ; implicit-def: $sgpr8
	s_waitcnt lgkmcnt(0)
	v_cmp_nlt_f64_e64 s[0:1], v[2:3], v[4:5]
	v_cmp_lt_f64_e32 vcc, v[2:3], v[4:5]
	s_and_saveexec_b64 s[2:3], vcc
	s_cbranch_execz .LBB90_19
; %bb.18:                               ;   in Loop: Header=BB90_17 Depth=2
	ds_read_u8 v11, v10 offset:16384
	s_andn2_b64 s[0:1], s[0:1], exec
	s_mov_b32 s8, 1
	s_waitcnt lgkmcnt(0)
	v_and_b32_e32 v11, 1, v11
	v_cmp_eq_u32_e32 vcc, 1, v11
	s_xor_b64 s[10:11], vcc, -1
	s_and_b64 s[10:11], s[10:11], exec
	s_or_b64 s[0:1], s[0:1], s[10:11]
.LBB90_19:                              ;   in Loop: Header=BB90_17 Depth=2
	s_or_b64 exec, exec, s[2:3]
	v_mov_b32_e32 v12, s8
	v_add_u32_e32 v11, s7, v10
	s_and_saveexec_b64 s[2:3], s[0:1]
	s_cbranch_execz .LBB90_21
; %bb.20:                               ;   in Loop: Header=BB90_17 Depth=2
	ds_read_u8 v12, v11 offset:16384
	s_waitcnt lgkmcnt(0)
	v_xor_b32_e32 v12, 1, v12
.LBB90_21:                              ;   in Loop: Header=BB90_17 Depth=2
	s_or_b64 exec, exec, s[2:3]
	v_cmp_eq_u32_e32 vcc, v12, v7
	s_and_saveexec_b64 s[0:1], vcc
	s_cbranch_execz .LBB90_16
; %bb.22:                               ;   in Loop: Header=BB90_17 Depth=2
	ds_read_u8 v12, v11 offset:16384
	ds_read_u8 v13, v10 offset:16384
	ds_write_b64 v8, v[4:5]
	ds_write_b64 v9, v[2:3]
	s_waitcnt lgkmcnt(3)
	ds_write_b8 v10, v12 offset:16384
	s_waitcnt lgkmcnt(3)
	ds_write_b8 v11, v13 offset:16384
	s_branch .LBB90_16
.LBB90_23:
	v_mad_u32_u24 v2, v0, 7, v1
	s_waitcnt lgkmcnt(0)
	s_barrier
	ds_read2st64_b64 v[2:5], v2 offset1:16
                                        ; implicit-def: $sgpr6
	s_waitcnt lgkmcnt(0)
	v_cmp_nlt_f64_e64 s[0:1], v[2:3], v[4:5]
	v_cmp_lt_f64_e32 vcc, v[2:3], v[4:5]
	s_and_saveexec_b64 s[2:3], vcc
	s_cbranch_execnz .LBB90_135
; %bb.24:
	s_or_b64 exec, exec, s[2:3]
	v_mov_b32_e32 v7, s6
	s_and_saveexec_b64 s[2:3], s[0:1]
	s_cbranch_execnz .LBB90_136
.LBB90_25:
	s_or_b64 exec, exec, s[2:3]
	v_cmp_eq_u32_e32 vcc, 0, v7
	s_and_saveexec_b64 s[0:1], vcc
	s_cbranch_execz .LBB90_27
.LBB90_26:
	ds_read_u8 v7, v1 offset:17408
	ds_read_u8 v8, v1 offset:16384
	v_mul_u32_u24_e32 v9, 7, v0
	v_add_u32_e32 v9, v1, v9
	ds_write2st64_b64 v9, v[4:5], v[2:3] offset1:16
	s_waitcnt lgkmcnt(2)
	ds_write_b8 v1, v7 offset:16384
	s_waitcnt lgkmcnt(2)
	ds_write_b8 v1, v8 offset:17408
.LBB90_27:
	s_or_b64 exec, exec, s[0:1]
	v_and_b32_e32 v1, 0x1ff, v0
	v_sub_u32_e32 v7, v6, v1
	v_add_u32_e32 v1, 8, v7
	v_lshl_add_u32 v8, v7, 3, 8
	v_mad_i32_i24 v4, v7, 7, v1
	s_waitcnt lgkmcnt(0)
	s_barrier
	ds_read_b64 v[2:3], v8
	ds_read_b64 v[4:5], v4 offset:4096
                                        ; implicit-def: $sgpr6
	s_waitcnt lgkmcnt(0)
	v_cmp_nlt_f64_e64 s[0:1], v[2:3], v[4:5]
	v_cmp_lt_f64_e32 vcc, v[2:3], v[4:5]
	s_and_saveexec_b64 s[2:3], vcc
	s_cbranch_execnz .LBB90_137
; %bb.28:
	s_or_b64 exec, exec, s[2:3]
	v_mov_b32_e32 v9, s6
	s_and_saveexec_b64 s[2:3], s[0:1]
	s_cbranch_execnz .LBB90_138
.LBB90_29:
	s_or_b64 exec, exec, s[2:3]
	v_cmp_eq_u32_e32 vcc, 0, v9
	s_and_saveexec_b64 s[0:1], vcc
	s_cbranch_execz .LBB90_31
.LBB90_30:
	ds_read_u8 v9, v1 offset:16384
	ds_read_u8 v10, v1 offset:16896
	v_mul_i32_i24_e32 v7, 7, v7
	ds_write_b64 v8, v[4:5]
	v_add_u32_e32 v4, v1, v7
	ds_write_b64 v4, v[2:3] offset:4096
	s_waitcnt lgkmcnt(2)
	ds_write_b8 v1, v10 offset:16384
	ds_write_b8 v1, v9 offset:16896
.LBB90_31:
	s_or_b64 exec, exec, s[0:1]
	v_sub_u32_sdwa v7, v6, v0 dst_sel:DWORD dst_unused:UNUSED_PAD src0_sel:DWORD src1_sel:BYTE_0
	v_add_u32_e32 v1, 8, v7
	v_lshl_add_u32 v8, v7, 3, 8
	v_mad_i32_i24 v4, v7, 7, v1
	s_waitcnt lgkmcnt(0)
	s_barrier
	ds_read_b64 v[2:3], v8
	ds_read_b64 v[4:5], v4 offset:2048
                                        ; implicit-def: $sgpr6
	s_waitcnt lgkmcnt(0)
	v_cmp_nlt_f64_e64 s[0:1], v[2:3], v[4:5]
	v_cmp_lt_f64_e32 vcc, v[2:3], v[4:5]
	s_and_saveexec_b64 s[2:3], vcc
	s_cbranch_execnz .LBB90_139
; %bb.32:
	s_or_b64 exec, exec, s[2:3]
	v_mov_b32_e32 v9, s6
	s_and_saveexec_b64 s[2:3], s[0:1]
	s_cbranch_execnz .LBB90_140
.LBB90_33:
	s_or_b64 exec, exec, s[2:3]
	v_cmp_eq_u32_e32 vcc, 0, v9
	s_and_saveexec_b64 s[0:1], vcc
	s_cbranch_execz .LBB90_35
.LBB90_34:
	ds_read_u8 v9, v1 offset:16384
	ds_read_u8 v10, v1 offset:16640
	v_mul_i32_i24_e32 v7, 7, v7
	ds_write_b64 v8, v[4:5]
	v_add_u32_e32 v4, v1, v7
	ds_write_b64 v4, v[2:3] offset:2048
	s_waitcnt lgkmcnt(2)
	ds_write_b8 v1, v10 offset:16384
	ds_write_b8 v1, v9 offset:16640
.LBB90_35:
	s_or_b64 exec, exec, s[0:1]
	v_and_b32_e32 v1, 0x7f, v0
	v_sub_u32_e32 v7, v6, v1
	v_add_u32_e32 v1, 8, v7
	v_lshl_add_u32 v8, v7, 3, 8
	v_mad_i32_i24 v4, v7, 7, v1
	s_waitcnt lgkmcnt(0)
	s_barrier
	ds_read_b64 v[2:3], v8
	ds_read_b64 v[4:5], v4 offset:1024
                                        ; implicit-def: $sgpr6
	s_waitcnt lgkmcnt(0)
	v_cmp_nlt_f64_e64 s[0:1], v[2:3], v[4:5]
	v_cmp_lt_f64_e32 vcc, v[2:3], v[4:5]
	s_and_saveexec_b64 s[2:3], vcc
	s_cbranch_execnz .LBB90_141
; %bb.36:
	s_or_b64 exec, exec, s[2:3]
	v_mov_b32_e32 v9, s6
	s_and_saveexec_b64 s[2:3], s[0:1]
	s_cbranch_execnz .LBB90_142
.LBB90_37:
	s_or_b64 exec, exec, s[2:3]
	v_cmp_eq_u32_e32 vcc, 0, v9
	s_and_saveexec_b64 s[0:1], vcc
	s_cbranch_execz .LBB90_39
.LBB90_38:
	ds_read_u8 v9, v1 offset:16384
	ds_read_u8 v10, v1 offset:16512
	v_mul_i32_i24_e32 v7, 7, v7
	ds_write_b64 v8, v[4:5]
	v_add_u32_e32 v4, v1, v7
	ds_write_b64 v4, v[2:3] offset:1024
	s_waitcnt lgkmcnt(2)
	ds_write_b8 v1, v10 offset:16384
	ds_write_b8 v1, v9 offset:16512
.LBB90_39:
	s_or_b64 exec, exec, s[0:1]
	v_and_b32_e32 v1, 63, v0
	v_sub_u32_e32 v9, v6, v1
	v_add_u32_e32 v7, 8, v9
	v_lshl_add_u32 v8, v9, 3, 8
	v_mad_i32_i24 v4, v9, 7, v7
	s_waitcnt lgkmcnt(0)
	s_barrier
	ds_read_b64 v[2:3], v8
	ds_read_b64 v[4:5], v4 offset:512
	s_waitcnt lgkmcnt(0)
	v_cmp_nlt_f64_e64 s[2:3], v[2:3], v[4:5]
	v_cmp_lt_f64_e32 vcc, v[2:3], v[4:5]
	s_and_saveexec_b64 s[0:1], vcc
	s_cbranch_execz .LBB90_41
; %bb.40:
	ds_read_u8 v10, v7 offset:16384
	s_andn2_b64 s[2:3], s[2:3], exec
	s_waitcnt lgkmcnt(0)
	v_and_b32_e32 v10, 1, v10
	v_cmp_eq_u32_e32 vcc, 1, v10
	s_xor_b64 s[6:7], vcc, -1
	s_and_b64 s[6:7], s[6:7], exec
	s_or_b64 s[2:3], s[2:3], s[6:7]
.LBB90_41:
	s_or_b64 exec, exec, s[0:1]
	s_and_saveexec_b64 s[0:1], s[2:3]
	s_cbranch_execz .LBB90_44
; %bb.42:
	ds_read_u8 v10, v7 offset:16448
	s_waitcnt lgkmcnt(0)
	v_cmp_ne_u16_e32 vcc, 0, v10
	s_and_b64 exec, exec, vcc
	s_cbranch_execz .LBB90_44
; %bb.43:
	ds_read_u8 v11, v7 offset:16384
	v_mul_i32_i24_e32 v9, 7, v9
	ds_write_b64 v8, v[4:5]
	v_add_u32_e32 v4, v7, v9
	ds_write_b64 v4, v[2:3] offset:512
	ds_write_b8 v7, v10 offset:16384
	s_waitcnt lgkmcnt(3)
	ds_write_b8 v7, v11 offset:16448
.LBB90_44:
	s_or_b64 exec, exec, s[0:1]
	v_and_b32_e32 v2, 31, v0
	v_sub_u32_e32 v9, v6, v2
	v_add_u32_e32 v7, 8, v9
	v_lshl_add_u32 v8, v9, 3, 8
	v_mad_i32_i24 v4, v9, 7, v7
	s_waitcnt lgkmcnt(0)
	s_barrier
	ds_read_b64 v[2:3], v8
	ds_read_b64 v[4:5], v4 offset:256
	s_waitcnt lgkmcnt(0)
	v_cmp_nlt_f64_e64 s[2:3], v[2:3], v[4:5]
	v_cmp_lt_f64_e32 vcc, v[2:3], v[4:5]
	s_and_saveexec_b64 s[0:1], vcc
	s_cbranch_execz .LBB90_46
; %bb.45:
	ds_read_u8 v10, v7 offset:16384
	s_andn2_b64 s[2:3], s[2:3], exec
	s_waitcnt lgkmcnt(0)
	v_and_b32_e32 v10, 1, v10
	v_cmp_eq_u32_e32 vcc, 1, v10
	s_xor_b64 s[6:7], vcc, -1
	s_and_b64 s[6:7], s[6:7], exec
	s_or_b64 s[2:3], s[2:3], s[6:7]
.LBB90_46:
	s_or_b64 exec, exec, s[0:1]
	s_and_saveexec_b64 s[0:1], s[2:3]
	s_cbranch_execz .LBB90_49
; %bb.47:
	ds_read_u8 v10, v7 offset:16416
	s_waitcnt lgkmcnt(0)
	v_cmp_ne_u16_e32 vcc, 0, v10
	s_and_b64 exec, exec, vcc
	s_cbranch_execz .LBB90_49
; %bb.48:
	ds_read_u8 v11, v7 offset:16384
	v_mul_i32_i24_e32 v9, 7, v9
	ds_write_b64 v8, v[4:5]
	v_add_u32_e32 v4, v7, v9
	ds_write_b64 v4, v[2:3] offset:256
	ds_write_b8 v7, v10 offset:16384
	s_waitcnt lgkmcnt(3)
	ds_write_b8 v7, v11 offset:16416
.LBB90_49:
	;; [unrolled: 44-line block ×6, first 2 shown]
	s_or_b64 exec, exec, s[0:1]
	v_lshl_add_u32 v9, v6, 3, 8
	s_waitcnt lgkmcnt(0)
	s_barrier
	ds_read2_b64 v[2:5], v9 offset1:1
	v_mad_i32_i24 v8, v0, -14, v9
	s_add_i32 s10, 8, 0x4000
	s_waitcnt lgkmcnt(0)
	v_cmp_nlt_f64_e64 s[2:3], v[2:3], v[4:5]
	v_cmp_lt_f64_e32 vcc, v[2:3], v[4:5]
	s_and_saveexec_b64 s[0:1], vcc
	s_cbranch_execz .LBB90_71
; %bb.70:
	ds_read_u8 v7, v8 offset:16384
	s_andn2_b64 s[2:3], s[2:3], exec
	s_waitcnt lgkmcnt(0)
	v_and_b32_e32 v7, 1, v7
	v_cmp_eq_u32_e32 vcc, 1, v7
	s_xor_b64 s[6:7], vcc, -1
	s_and_b64 s[6:7], s[6:7], exec
	s_or_b64 s[2:3], s[2:3], s[6:7]
.LBB90_71:
	s_or_b64 exec, exec, s[0:1]
	v_mul_u32_u24_e32 v10, 14, v0
	v_add_u32_e32 v7, s10, v6
	s_and_saveexec_b64 s[0:1], s[2:3]
	s_cbranch_execz .LBB90_74
; %bb.72:
	ds_read_u8 v11, v7 offset:1
	s_waitcnt lgkmcnt(0)
	v_cmp_ne_u16_e32 vcc, 0, v11
	s_and_b64 exec, exec, vcc
	s_cbranch_execz .LBB90_74
; %bb.73:
	ds_read_u8 v12, v8 offset:16384
	ds_write_b64 v9, v[4:5]
	v_add_u32_e32 v4, v8, v10
	ds_write_b64 v4, v[2:3] offset:8
	ds_write_b8 v8, v11 offset:16384
	s_waitcnt lgkmcnt(3)
	ds_write_b8 v7, v12 offset:1
.LBB90_74:
	s_or_b64 exec, exec, s[0:1]
	v_cmp_eq_u32_e32 vcc, 0, v0
	s_waitcnt lgkmcnt(0)
	s_barrier
	s_barrier
	s_and_saveexec_b64 s[0:1], vcc
	s_cbranch_execz .LBB90_76
; %bb.75:
	v_mov_b32_e32 v2, 8
	v_mov_b32_e32 v3, 1
	ds_write_b8 v2, v3 offset:16388
	v_mov_b32_e32 v3, 0
	ds_write_b32 v2, v3 offset:16384
.LBB90_76:
	s_or_b64 exec, exec, s[0:1]
	ds_read2_b64 v[2:5], v9 offset1:1
	v_add_u32_e32 v7, v7, v10
	s_waitcnt lgkmcnt(0)
	v_cmp_neq_f64_e64 s[0:1], v[2:3], v[4:5]
	v_cndmask_b32_e64 v11, 0, 1, s[0:1]
	v_cmp_eq_f64_e64 s[0:1], v[2:3], v[4:5]
	v_cndmask_b32_e64 v2, 0, 1, s[0:1]
	s_movk_i32 s0, 0x3ff
	ds_write_b8 v7, v11 offset:12
	ds_write_b32 v7, v2 offset:8
	v_cmp_ne_u32_e64 s[2:3], s0, v0
	v_mov_b32_e32 v2, 0x800
	s_and_saveexec_b64 s[6:7], s[2:3]
	s_cbranch_execz .LBB90_78
; %bb.77:
	ds_read_b64 v[12:13], v9 offset:16
	v_add_u32_e32 v2, 2, v6
	v_lshl_add_u32 v3, v6, 3, s10
	s_waitcnt lgkmcnt(0)
	v_cmp_neq_f64_e64 s[0:1], v[4:5], v[12:13]
	v_cndmask_b32_e64 v9, 0, 1, s[0:1]
	v_cmp_eq_f64_e64 s[0:1], v[4:5], v[12:13]
	v_cndmask_b32_e64 v4, 0, 1, s[0:1]
	ds_write_b8 v3, v9 offset:20
	ds_write_b32 v3, v4 offset:16
.LBB90_78:
	s_or_b64 exec, exec, s[6:7]
	s_waitcnt lgkmcnt(0)
	s_barrier
	ds_read_u8 v4, v7 offset:12
	v_add_u32_e32 v3, v8, v10
	ds_read_b32 v5, v3 offset:16384
	ds_read_b32 v8, v7 offset:8
	ds_read_u8 v9, v3 offset:16388
	s_waitcnt lgkmcnt(3)
	v_and_b32_e32 v10, 1, v4
	v_cmp_eq_u32_e64 s[0:1], 1, v10
	s_waitcnt lgkmcnt(2)
	v_cndmask_b32_e64 v5, v5, 0, s[0:1]
	s_waitcnt lgkmcnt(0)
	v_or_b32_e32 v4, v9, v4
	v_add_u32_e32 v5, v5, v8
	v_and_b32_e32 v4, 1, v4
	ds_write2_b32 v7, v5, v4 offset0:2 offset1:3
	v_lshlrev_b32_e32 v4, 1, v2
	s_movk_i32 s0, 0x200
	v_add_u32_e32 v5, -1, v4
	v_cmp_gt_u32_e64 s[0:1], s0, v0
	s_waitcnt lgkmcnt(0)
	s_barrier
	s_and_saveexec_b64 s[6:7], s[0:1]
	s_cbranch_execz .LBB90_80
; %bb.79:
	v_lshl_add_u32 v8, v5, 3, 8
	ds_read_b32 v9, v8 offset:16384
	ds_read_u8 v10, v8 offset:16388
	v_lshl_add_u32 v11, v4, 3, 8
	ds_read_b32 v12, v11 offset:16360
	ds_read_u8 v11, v11 offset:16364
	v_add_u32_e32 v8, 0x4000, v8
	s_waitcnt lgkmcnt(2)
	v_and_b32_e32 v13, 1, v10
	v_cmp_eq_u32_e64 s[0:1], 1, v13
	s_waitcnt lgkmcnt(1)
	v_cndmask_b32_e64 v12, v12, 0, s[0:1]
	s_waitcnt lgkmcnt(0)
	v_or_b32_e32 v10, v11, v10
	v_add_u32_e32 v9, v12, v9
	v_and_b32_e32 v10, 1, v10
	ds_write2_b32 v8, v9, v10 offset1:1
.LBB90_80:
	s_or_b64 exec, exec, s[6:7]
	s_movk_i32 s0, 0x100
	v_lshlrev_b32_e32 v8, 2, v2
	v_add_u32_e32 v5, v5, v4
	v_cmp_gt_u32_e64 s[0:1], s0, v0
	s_waitcnt lgkmcnt(0)
	s_barrier
	s_and_saveexec_b64 s[6:7], s[0:1]
	s_cbranch_execz .LBB90_82
; %bb.81:
	v_lshl_add_u32 v9, v5, 3, 8
	ds_read_b32 v10, v9 offset:16384
	ds_read_u8 v11, v9 offset:16388
	v_lshl_add_u32 v12, v8, 3, 8
	ds_read_b32 v13, v12 offset:16344
	ds_read_u8 v12, v12 offset:16348
	v_add_u32_e32 v9, 0x4000, v9
	s_waitcnt lgkmcnt(2)
	v_and_b32_e32 v14, 1, v11
	v_cmp_eq_u32_e64 s[0:1], 1, v14
	s_waitcnt lgkmcnt(1)
	v_cndmask_b32_e64 v13, v13, 0, s[0:1]
	s_waitcnt lgkmcnt(0)
	v_or_b32_e32 v11, v12, v11
	v_add_u32_e32 v10, v13, v10
	v_and_b32_e32 v11, 1, v11
	ds_write2_b32 v9, v10, v11 offset1:1
.LBB90_82:
	s_or_b64 exec, exec, s[6:7]
	s_movk_i32 s0, 0x80
	v_lshlrev_b32_e32 v10, 3, v2
	v_add_u32_e32 v9, v5, v8
	v_cmp_gt_u32_e64 s[0:1], s0, v0
	s_waitcnt lgkmcnt(0)
	s_barrier
	s_and_saveexec_b64 s[6:7], s[0:1]
	s_cbranch_execz .LBB90_84
; %bb.83:
	v_lshl_add_u32 v11, v9, 3, 8
	ds_read_b32 v12, v11 offset:16384
	ds_read_u8 v13, v11 offset:16388
	v_lshl_add_u32 v14, v10, 3, 8
	ds_read_b32 v15, v14 offset:16312
	ds_read_u8 v14, v14 offset:16316
	v_add_u32_e32 v11, 0x4000, v11
	s_waitcnt lgkmcnt(2)
	v_and_b32_e32 v16, 1, v13
	v_cmp_eq_u32_e64 s[0:1], 1, v16
	s_waitcnt lgkmcnt(1)
	v_cndmask_b32_e64 v15, v15, 0, s[0:1]
	s_waitcnt lgkmcnt(0)
	v_or_b32_e32 v13, v14, v13
	v_add_u32_e32 v12, v15, v12
	v_and_b32_e32 v13, 1, v13
	ds_write2_b32 v11, v12, v13 offset1:1
.LBB90_84:
	s_or_b64 exec, exec, s[6:7]
	v_lshlrev_b32_e32 v12, 4, v2
	v_add_u32_e32 v11, v9, v10
	v_cmp_gt_u32_e64 s[0:1], 64, v0
	s_waitcnt lgkmcnt(0)
	s_barrier
	s_and_saveexec_b64 s[8:9], s[0:1]
	s_cbranch_execz .LBB90_86
; %bb.85:
	v_lshl_add_u32 v13, v11, 3, 8
	ds_read_b32 v14, v13 offset:16384
	ds_read_u8 v15, v13 offset:16388
	v_lshl_add_u32 v16, v12, 3, 8
	ds_read_b32 v17, v16 offset:16248
	ds_read_u8 v16, v16 offset:16252
	v_add_u32_e32 v13, 0x4000, v13
	s_waitcnt lgkmcnt(2)
	v_and_b32_e32 v18, 1, v15
	v_cmp_eq_u32_e64 s[6:7], 1, v18
	s_waitcnt lgkmcnt(1)
	v_cndmask_b32_e64 v17, v17, 0, s[6:7]
	s_waitcnt lgkmcnt(0)
	v_or_b32_e32 v15, v16, v15
	v_add_u32_e32 v14, v17, v14
	v_and_b32_e32 v15, 1, v15
	ds_write2_b32 v13, v14, v15 offset1:1
.LBB90_86:
	s_or_b64 exec, exec, s[8:9]
	;; [unrolled: 27-line block ×6, first 2 shown]
	v_add_u32_e32 v21, v19, v20
	v_cmp_gt_u32_e64 s[6:7], 2, v0
	v_lshl_add_u32 v21, v21, 3, 8
	s_waitcnt lgkmcnt(0)
	s_barrier
	s_and_saveexec_b64 s[8:9], s[6:7]
	s_cbranch_execz .LBB90_96
; %bb.95:
	ds_read_u8 v23, v21 offset:16388
	v_lshl_add_u32 v24, v2, 12, 8
	ds_read_b32 v25, v24 offset:12280
	ds_read_b32 v26, v21 offset:16384
	ds_read_u8 v24, v24 offset:12284
	v_add_u32_e32 v22, 0x4000, v21
	s_waitcnt lgkmcnt(3)
	v_and_b32_e32 v27, 1, v23
	v_cmp_eq_u32_e64 s[6:7], 1, v27
	s_waitcnt lgkmcnt(2)
	v_cndmask_b32_e64 v25, v25, 0, s[6:7]
	s_waitcnt lgkmcnt(0)
	v_or_b32_e32 v23, v24, v23
	v_add_u32_e32 v25, v25, v26
	v_and_b32_e32 v23, 1, v23
	ds_write2_b32 v22, v25, v23 offset1:1
.LBB90_96:
	s_or_b64 exec, exec, s[8:9]
	s_waitcnt lgkmcnt(0)
	s_barrier
	s_and_saveexec_b64 s[8:9], vcc
	s_cbranch_execz .LBB90_98
; %bb.97:
	v_mov_b32_e32 v24, 8
	s_movk_i32 s6, 0xf8
	ds_read_u8 v25, v24 offset:32764
	v_add_u32_e64 v22, s6, 8
	ds_read2st64_b32 v[22:23], v22 offset0:95 offset1:127
	ds_read_u8 v24, v24 offset:24572
	s_add_i32 s11, 8, 0x7ff8
	s_waitcnt lgkmcnt(2)
	v_and_b32_e32 v26, 1, v25
	v_cmp_eq_u32_e64 s[6:7], 1, v26
	s_waitcnt lgkmcnt(1)
	v_cndmask_b32_e64 v22, v22, 0, s[6:7]
	v_add_u32_e32 v22, v22, v23
	s_waitcnt lgkmcnt(0)
	v_or_b32_e32 v23, v24, v25
	v_and_b32_e32 v23, 1, v23
	v_mov_b32_e32 v24, s11
	ds_write2_b32 v24, v22, v23 offset1:1
.LBB90_98:
	s_or_b64 exec, exec, s[8:9]
	s_waitcnt lgkmcnt(0)
	s_barrier
	s_and_saveexec_b64 s[8:9], vcc
	s_cbranch_execz .LBB90_100
; %bb.99:
	v_mov_b32_e32 v22, 8
	ds_read_u8 v23, v22 offset:28668
	ds_read_b32 v22, v22 offset:28664
	ds_read_b32 v24, v21 offset:16384
	ds_read_u8 v21, v21 offset:16388
	s_add_i32 s11, 8, 0x6ff8
	s_waitcnt lgkmcnt(3)
	v_and_b32_e32 v25, 1, v23
	v_cmp_eq_u32_e64 s[6:7], 1, v25
	s_waitcnt lgkmcnt(1)
	v_cndmask_b32_e64 v24, v24, 0, s[6:7]
	s_waitcnt lgkmcnt(0)
	v_or_b32_e32 v21, v21, v23
	v_add_u32_e32 v22, v24, v22
	v_and_b32_e32 v21, 1, v21
	v_mov_b32_e32 v23, s11
	ds_write2_b32 v23, v22, v21 offset1:1
.LBB90_100:
	s_or_b64 exec, exec, s[8:9]
	v_cmp_gt_u32_e64 s[6:7], 3, v0
	s_waitcnt lgkmcnt(0)
	s_barrier
	s_and_saveexec_b64 s[8:9], s[6:7]
	s_cbranch_execz .LBB90_102
; %bb.101:
	v_lshl_add_u32 v20, v20, 3, s10
	ds_read_b32 v21, v20 offset:2040
	ds_read_u8 v22, v20 offset:2044
	v_lshl_add_u32 v19, v19, 3, s10
	ds_read_b32 v23, v19
	ds_read_u8 v19, v19 offset:4
	v_add_u32_e32 v20, 0x7f8, v20
	s_waitcnt lgkmcnt(2)
	v_and_b32_e32 v24, 1, v22
	v_cmp_eq_u32_e64 s[6:7], 1, v24
	s_waitcnt lgkmcnt(1)
	v_cndmask_b32_e64 v23, v23, 0, s[6:7]
	s_waitcnt lgkmcnt(0)
	v_or_b32_e32 v19, v19, v22
	v_add_u32_e32 v21, v23, v21
	v_and_b32_e32 v19, 1, v19
	ds_write2_b32 v20, v21, v19 offset1:1
.LBB90_102:
	s_or_b64 exec, exec, s[8:9]
	v_cmp_gt_u32_e64 s[6:7], 7, v0
	s_waitcnt lgkmcnt(0)
	s_barrier
	s_and_saveexec_b64 s[8:9], s[6:7]
	s_cbranch_execz .LBB90_104
; %bb.103:
	v_lshl_add_u32 v18, v18, 3, s10
	ds_read_u8 v19, v18 offset:1020
	v_lshl_add_u32 v17, v17, 3, s10
	ds_read_b32 v20, v17
	ds_read_b32 v21, v18 offset:1016
	ds_read_u8 v17, v17 offset:4
	s_waitcnt lgkmcnt(3)
	v_and_b32_e32 v22, 1, v19
	v_cmp_eq_u32_e64 s[6:7], 1, v22
	s_waitcnt lgkmcnt(2)
	v_cndmask_b32_e64 v20, v20, 0, s[6:7]
	s_waitcnt lgkmcnt(0)
	v_or_b32_e32 v17, v17, v19
	v_add_u32_e32 v20, v20, v21
	v_and_b32_e32 v17, 1, v17
	ds_write2_b32 v18, v20, v17 offset0:254 offset1:255
.LBB90_104:
	s_or_b64 exec, exec, s[8:9]
	v_cmp_gt_u32_e64 s[6:7], 15, v0
	s_waitcnt lgkmcnt(0)
	s_barrier
	s_and_saveexec_b64 s[8:9], s[6:7]
	s_cbranch_execz .LBB90_106
; %bb.105:
	v_lshl_add_u32 v16, v16, 3, s10
	ds_read_u8 v17, v16 offset:508
	v_lshl_add_u32 v15, v15, 3, s10
	ds_read_b32 v18, v15
	ds_read_b32 v19, v16 offset:504
	ds_read_u8 v15, v15 offset:4
	s_waitcnt lgkmcnt(3)
	v_and_b32_e32 v20, 1, v17
	v_cmp_eq_u32_e64 s[6:7], 1, v20
	s_waitcnt lgkmcnt(2)
	v_cndmask_b32_e64 v18, v18, 0, s[6:7]
	s_waitcnt lgkmcnt(0)
	v_or_b32_e32 v15, v15, v17
	v_add_u32_e32 v18, v18, v19
	v_and_b32_e32 v15, 1, v15
	ds_write2_b32 v16, v18, v15 offset0:126 offset1:127
.LBB90_106:
	;; [unrolled: 24-line block ×4, first 2 shown]
	s_or_b64 exec, exec, s[8:9]
	s_movk_i32 s6, 0x7f
	v_cmp_gt_u32_e64 s[6:7], s6, v0
	s_waitcnt lgkmcnt(0)
	s_barrier
	s_and_saveexec_b64 s[8:9], s[6:7]
	s_cbranch_execz .LBB90_112
; %bb.111:
	v_lshl_add_u32 v10, v10, 3, s10
	ds_read_u8 v11, v10 offset:60
	v_lshl_add_u32 v9, v9, 3, s10
	ds_read_b32 v12, v9
	ds_read_b32 v13, v10 offset:56
	ds_read_u8 v9, v9 offset:4
	s_waitcnt lgkmcnt(3)
	v_and_b32_e32 v14, 1, v11
	v_cmp_eq_u32_e64 s[6:7], 1, v14
	s_waitcnt lgkmcnt(2)
	v_cndmask_b32_e64 v12, v12, 0, s[6:7]
	s_waitcnt lgkmcnt(0)
	v_or_b32_e32 v9, v9, v11
	v_add_u32_e32 v12, v12, v13
	v_and_b32_e32 v9, 1, v9
	ds_write2_b32 v10, v12, v9 offset0:14 offset1:15
.LBB90_112:
	s_or_b64 exec, exec, s[8:9]
	s_movk_i32 s6, 0xff
	v_cmp_gt_u32_e64 s[6:7], s6, v0
	s_waitcnt lgkmcnt(0)
	s_barrier
	s_and_saveexec_b64 s[8:9], s[6:7]
	s_cbranch_execz .LBB90_114
; %bb.113:
	v_lshl_add_u32 v8, v8, 3, s10
	ds_read_u8 v9, v8 offset:28
	v_lshl_add_u32 v5, v5, 3, s10
	ds_read_b32 v10, v5
	ds_read_b32 v11, v8 offset:24
	ds_read_u8 v5, v5 offset:4
	s_waitcnt lgkmcnt(3)
	v_and_b32_e32 v12, 1, v9
	v_cmp_eq_u32_e64 s[6:7], 1, v12
	s_waitcnt lgkmcnt(2)
	v_cndmask_b32_e64 v10, v10, 0, s[6:7]
	s_waitcnt lgkmcnt(0)
	v_or_b32_e32 v5, v5, v9
	v_add_u32_e32 v10, v10, v11
	v_and_b32_e32 v5, 1, v5
	ds_write2_b32 v8, v10, v5 offset0:6 offset1:7
.LBB90_114:
	s_or_b64 exec, exec, s[8:9]
	s_movk_i32 s6, 0x1ff
	v_cmp_gt_u32_e64 s[6:7], s6, v0
	s_waitcnt lgkmcnt(0)
	s_barrier
	s_and_saveexec_b64 s[8:9], s[6:7]
	s_cbranch_execz .LBB90_116
; %bb.115:
	v_lshl_add_u32 v4, v4, 3, s10
	ds_read_u8 v5, v4 offset:12
	v_add_u32_e32 v8, -8, v4
	ds_read_b32 v9, v8
	ds_read_b32 v10, v4 offset:8
	ds_read_u8 v8, v8 offset:4
	s_waitcnt lgkmcnt(3)
	v_and_b32_e32 v11, 1, v5
	v_cmp_eq_u32_e64 s[6:7], 1, v11
	s_waitcnt lgkmcnt(2)
	v_cndmask_b32_e64 v9, v9, 0, s[6:7]
	s_waitcnt lgkmcnt(0)
	v_or_b32_e32 v5, v8, v5
	v_add_u32_e32 v9, v9, v10
	v_and_b32_e32 v5, 1, v5
	ds_write2_b32 v4, v9, v5 offset0:2 offset1:3
.LBB90_116:
	s_or_b64 exec, exec, s[8:9]
	s_waitcnt lgkmcnt(0)
	s_barrier
	s_and_saveexec_b64 s[6:7], s[2:3]
	s_cbranch_execz .LBB90_118
; %bb.117:
	v_lshl_add_u32 v2, v2, 3, 8
	ds_read_u8 v4, v2 offset:16388
	ds_read_b32 v5, v7 offset:8
	v_add_u32_e32 v8, 0x4000, v2
	ds_read_b32 v2, v2 offset:16384
	ds_read_u8 v9, v7 offset:12
	s_waitcnt lgkmcnt(3)
	v_and_b32_e32 v10, 1, v4
	v_cmp_eq_u32_e64 s[2:3], 1, v10
	s_waitcnt lgkmcnt(2)
	v_cndmask_b32_e64 v5, v5, 0, s[2:3]
	s_waitcnt lgkmcnt(0)
	v_or_b32_e32 v4, v9, v4
	v_add_u32_e32 v2, v5, v2
	v_and_b32_e32 v4, 1, v4
	ds_write2_b32 v8, v2, v4 offset1:1
.LBB90_118:
	s_or_b64 exec, exec, s[6:7]
	s_waitcnt lgkmcnt(0)
	s_barrier
	ds_read_b32 v3, v3 offset:16384
	ds_read_b32 v4, v7 offset:8
	v_mbcnt_lo_u32_b32 v8, -1, 0
	v_mbcnt_hi_u32_b32 v13, -1, v8
	v_and_b32_e32 v14, 63, v13
	v_or_b32_e32 v2, 1, v6
	v_cmp_gt_u32_e64 s[8:9], 32, v14
	v_cmp_gt_u32_e64 s[2:3], s16, v6
	;; [unrolled: 1-line block ×3, first 2 shown]
	v_cndmask_b32_e64 v8, 0, 1, s[8:9]
	s_waitcnt lgkmcnt(1)
	v_cndmask_b32_e64 v3, 0, v3, s[2:3]
	s_waitcnt lgkmcnt(0)
	v_cndmask_b32_e64 v4, 0, v4, s[6:7]
	v_lshlrev_b32_e32 v8, 5, v8
	v_cndmask_b32_e64 v5, 0, v6, s[2:3]
	v_max_u32_e32 v7, v4, v3
	v_add_lshl_u32 v8, v8, v13, 2
	v_cndmask_b32_e64 v9, 0, v2, s[6:7]
	v_cmp_gt_u32_e64 s[8:9], v4, v3
	ds_bpermute_b32 v10, v8, v7
	v_cndmask_b32_e64 v3, v5, v9, s[8:9]
	ds_bpermute_b32 v4, v8, v3
	v_cmp_gt_u32_e64 s[8:9], 48, v14
	v_cndmask_b32_e64 v9, 0, 1, s[8:9]
	v_lshlrev_b32_e32 v9, 4, v9
	s_waitcnt lgkmcnt(1)
	v_max_u32_e32 v5, v10, v7
	v_add_lshl_u32 v9, v9, v13, 2
	v_cmp_gt_u32_e64 s[8:9], v10, v7
	ds_bpermute_b32 v11, v9, v5
	s_waitcnt lgkmcnt(1)
	v_cndmask_b32_e64 v3, v3, v4, s[8:9]
	ds_bpermute_b32 v4, v9, v3
	v_cmp_gt_u32_e64 s[8:9], 56, v14
	v_cndmask_b32_e64 v10, 0, 1, s[8:9]
	v_lshlrev_b32_e32 v10, 3, v10
	s_waitcnt lgkmcnt(1)
	v_max_u32_e32 v7, v11, v5
	v_add_lshl_u32 v10, v10, v13, 2
	v_cmp_gt_u32_e64 s[8:9], v11, v5
	ds_bpermute_b32 v12, v10, v7
	s_waitcnt lgkmcnt(1)
	;; [unrolled: 11-line block ×4, first 2 shown]
	v_cndmask_b32_e64 v4, v3, v4, s[8:9]
	ds_bpermute_b32 v5, v12, v4
	s_waitcnt lgkmcnt(0)
	s_barrier
	v_cmp_gt_u32_e64 s[8:9], v16, v7
	v_max_u32_e32 v3, v16, v7
	v_cndmask_b32_e64 v4, v4, v5, s[8:9]
	v_cmp_ne_u32_e64 s[8:9], 63, v14
	v_addc_co_u32_e64 v5, s[8:9], 0, v13, s[8:9]
	v_lshlrev_b32_e32 v13, 2, v5
	ds_bpermute_b32 v5, v13, v4
	ds_bpermute_b32 v7, v13, v3
	v_cmp_eq_u32_e64 s[8:9], 0, v1
	s_waitcnt lgkmcnt(0)
	s_barrier
	s_and_saveexec_b64 s[12:13], s[8:9]
	s_cbranch_execz .LBB90_120
; %bb.119:
	v_lshrrev_b32_e32 v14, 3, v0
	v_add_u32_e32 v14, 8, v14
	v_cmp_gt_u32_e64 s[10:11], v7, v3
	v_add_u32_e32 v14, 0x4000, v14
	v_cndmask_b32_e64 v4, v4, v5, s[10:11]
	v_max_u32_e32 v3, v7, v3
	ds_write2_b32 v14, v3, v4 offset1:1
.LBB90_120:
	s_or_b64 exec, exec, s[12:13]
	s_lshr_b32 s10, s22, 6
	v_cmp_gt_u32_e64 s[10:11], s10, v0
	v_lshl_add_u32 v14, v1, 3, 8
	v_mov_b32_e32 v3, 0
	v_mov_b32_e32 v4, 0
	s_waitcnt lgkmcnt(0)
	s_barrier
	s_and_saveexec_b64 s[12:13], s[10:11]
	s_cbranch_execnz .LBB90_143
; %bb.121:
	s_or_b64 exec, exec, s[12:13]
	s_and_saveexec_b64 s[12:13], s[10:11]
	s_cbranch_execnz .LBB90_144
.LBB90_122:
	s_or_b64 exec, exec, s[12:13]
	s_and_saveexec_b64 s[22:23], s[0:1]
	s_cbranch_execnz .LBB90_145
.LBB90_123:
	s_or_b64 exec, exec, s[22:23]
	s_and_saveexec_b64 s[12:13], vcc
	s_cbranch_execz .LBB90_125
.LBB90_124:
	s_waitcnt lgkmcnt(0)
	v_lshl_add_u32 v3, v3, 3, 8
	ds_read_b64 v[4:5], v3
	v_mov_b32_e32 v3, 0
	s_waitcnt lgkmcnt(0)
	ds_write_b64 v3, v[4:5]
.LBB90_125:
	s_or_b64 exec, exec, s[12:13]
	s_mov_b32 s22, 0
	v_mov_b32_e32 v7, 0
	s_mov_b32 s23, s22
	v_cmp_gt_i64_e64 s[12:13], s[16:17], v[6:7]
	s_waitcnt lgkmcnt(0)
	v_pk_mov_b32 v[4:5], s[22:23], s[22:23] op_sel:[0,1]
	s_barrier
	s_and_saveexec_b64 s[22:23], s[12:13]
	s_cbranch_execz .LBB90_127
; %bb.126:
	v_add_u32_e32 v4, s19, v6
	v_mov_b32_e32 v5, v7
	v_lshlrev_b64 v[4:5], 3, v[4:5]
	v_mov_b32_e32 v3, s21
	v_add_co_u32_e64 v4, s[12:13], s20, v4
	v_addc_co_u32_e64 v5, s[12:13], v3, v5, s[12:13]
	global_load_dwordx2 v[4:5], v[4:5], off
	ds_read_b64 v[16:17], v7
	s_waitcnt vmcnt(0) lgkmcnt(0)
	v_cmp_eq_f64_e64 s[12:13], v[4:5], v[16:17]
	v_cndmask_b32_e64 v6, 0, v6, s[12:13]
	v_pk_mov_b32 v[4:5], v[6:7], v[6:7] op_sel:[0,1]
.LBB90_127:
	s_or_b64 exec, exec, s[22:23]
	v_mov_b32_e32 v3, v7
	v_cmp_gt_i64_e64 s[12:13], s[16:17], v[2:3]
	s_and_saveexec_b64 s[16:17], s[12:13]
	s_cbranch_execz .LBB90_129
; %bb.128:
	v_add_u32_e32 v6, s19, v2
	v_mov_b32_e32 v7, 0
	v_lshlrev_b64 v[16:17], 3, v[6:7]
	v_mov_b32_e32 v3, s21
	v_add_co_u32_e64 v16, s[12:13], s20, v16
	v_addc_co_u32_e64 v17, s[12:13], v3, v17, s[12:13]
	global_load_dwordx2 v[16:17], v[16:17], off
	ds_read_b64 v[6:7], v7
	s_waitcnt vmcnt(0) lgkmcnt(0)
	v_cmp_eq_f64_e64 s[12:13], v[16:17], v[6:7]
	v_cndmask_b32_e64 v5, 0, v2, s[12:13]
.LBB90_129:
	s_or_b64 exec, exec, s[16:17]
	v_cndmask_b32_e64 v2, 0, v4, s[2:3]
	v_cndmask_b32_e64 v3, 0, v5, s[6:7]
	v_max_u32_e32 v2, v3, v2
	ds_bpermute_b32 v3, v8, v2
	s_waitcnt lgkmcnt(0)
	s_barrier
	v_max_u32_e32 v2, v3, v2
	ds_bpermute_b32 v3, v9, v2
	s_waitcnt lgkmcnt(0)
	v_max_u32_e32 v2, v3, v2
	ds_bpermute_b32 v3, v10, v2
	s_waitcnt lgkmcnt(0)
	;; [unrolled: 3-line block ×4, first 2 shown]
	v_max_u32_e32 v2, v3, v2
	ds_bpermute_b32 v3, v13, v2
	s_and_saveexec_b64 s[2:3], s[8:9]
	s_cbranch_execz .LBB90_131
; %bb.130:
	v_lshrrev_b32_e32 v0, 4, v0
	v_add_u32_e32 v0, 8, v0
	s_waitcnt lgkmcnt(0)
	v_max_u32_e32 v2, v3, v2
	ds_write_b32 v0, v2
.LBB90_131:
	s_or_b64 exec, exec, s[2:3]
	v_mov_b32_e32 v0, 0
	s_waitcnt lgkmcnt(0)
	s_barrier
	s_and_saveexec_b64 s[2:3], s[10:11]
	s_cbranch_execnz .LBB90_146
; %bb.132:
	s_or_b64 exec, exec, s[2:3]
	s_and_saveexec_b64 s[2:3], s[0:1]
	s_cbranch_execnz .LBB90_147
.LBB90_133:
	s_or_b64 exec, exec, s[2:3]
	s_and_saveexec_b64 s[0:1], vcc
	s_cbranch_execnz .LBB90_148
.LBB90_134:
	s_endpgm
.LBB90_135:
	ds_read_u8 v7, v1 offset:16384
	s_andn2_b64 s[0:1], s[0:1], exec
	s_mov_b32 s6, 1
	s_waitcnt lgkmcnt(0)
	v_and_b32_e32 v7, 1, v7
	v_cmp_eq_u32_e32 vcc, 1, v7
	s_xor_b64 s[8:9], vcc, -1
	s_and_b64 s[8:9], s[8:9], exec
	s_or_b64 s[0:1], s[0:1], s[8:9]
	s_or_b64 exec, exec, s[2:3]
	v_mov_b32_e32 v7, s6
	s_and_saveexec_b64 s[2:3], s[0:1]
	s_cbranch_execz .LBB90_25
.LBB90_136:
	ds_read_u8 v7, v1 offset:17408
	s_waitcnt lgkmcnt(0)
	v_xor_b32_e32 v7, 1, v7
	s_or_b64 exec, exec, s[2:3]
	v_cmp_eq_u32_e32 vcc, 0, v7
	s_and_saveexec_b64 s[0:1], vcc
	s_cbranch_execnz .LBB90_26
	s_branch .LBB90_27
.LBB90_137:
	ds_read_u8 v9, v1 offset:16384
	s_andn2_b64 s[0:1], s[0:1], exec
	s_mov_b32 s6, 1
	s_waitcnt lgkmcnt(0)
	v_and_b32_e32 v9, 1, v9
	v_cmp_eq_u32_e32 vcc, 1, v9
	s_xor_b64 s[8:9], vcc, -1
	s_and_b64 s[8:9], s[8:9], exec
	s_or_b64 s[0:1], s[0:1], s[8:9]
	s_or_b64 exec, exec, s[2:3]
	v_mov_b32_e32 v9, s6
	s_and_saveexec_b64 s[2:3], s[0:1]
	s_cbranch_execz .LBB90_29
.LBB90_138:
	ds_read_u8 v9, v1 offset:16896
	s_waitcnt lgkmcnt(0)
	v_xor_b32_e32 v9, 1, v9
	s_or_b64 exec, exec, s[2:3]
	v_cmp_eq_u32_e32 vcc, 0, v9
	s_and_saveexec_b64 s[0:1], vcc
	s_cbranch_execnz .LBB90_30
	s_branch .LBB90_31
.LBB90_139:
	ds_read_u8 v9, v1 offset:16384
	s_andn2_b64 s[0:1], s[0:1], exec
	s_mov_b32 s6, 1
	s_waitcnt lgkmcnt(0)
	v_and_b32_e32 v9, 1, v9
	v_cmp_eq_u32_e32 vcc, 1, v9
	s_xor_b64 s[8:9], vcc, -1
	s_and_b64 s[8:9], s[8:9], exec
	s_or_b64 s[0:1], s[0:1], s[8:9]
	s_or_b64 exec, exec, s[2:3]
	v_mov_b32_e32 v9, s6
	s_and_saveexec_b64 s[2:3], s[0:1]
	s_cbranch_execz .LBB90_33
.LBB90_140:
	ds_read_u8 v9, v1 offset:16640
	s_waitcnt lgkmcnt(0)
	v_xor_b32_e32 v9, 1, v9
	s_or_b64 exec, exec, s[2:3]
	v_cmp_eq_u32_e32 vcc, 0, v9
	s_and_saveexec_b64 s[0:1], vcc
	s_cbranch_execnz .LBB90_34
	s_branch .LBB90_35
.LBB90_141:
	ds_read_u8 v9, v1 offset:16384
	s_andn2_b64 s[0:1], s[0:1], exec
	s_mov_b32 s6, 1
	s_waitcnt lgkmcnt(0)
	v_and_b32_e32 v9, 1, v9
	v_cmp_eq_u32_e32 vcc, 1, v9
	s_xor_b64 s[8:9], vcc, -1
	s_and_b64 s[8:9], s[8:9], exec
	s_or_b64 s[0:1], s[0:1], s[8:9]
	s_or_b64 exec, exec, s[2:3]
	v_mov_b32_e32 v9, s6
	s_and_saveexec_b64 s[2:3], s[0:1]
	s_cbranch_execz .LBB90_37
.LBB90_142:
	ds_read_u8 v9, v1 offset:16512
	s_waitcnt lgkmcnt(0)
	v_xor_b32_e32 v9, 1, v9
	s_or_b64 exec, exec, s[2:3]
	v_cmp_eq_u32_e32 vcc, 0, v9
	s_and_saveexec_b64 s[0:1], vcc
	s_cbranch_execnz .LBB90_38
	s_branch .LBB90_39
.LBB90_143:
	ds_read_b32 v4, v14 offset:16384
	s_or_b64 exec, exec, s[12:13]
	s_and_saveexec_b64 s[12:13], s[10:11]
	s_cbranch_execz .LBB90_122
.LBB90_144:
	ds_read_b32 v3, v14 offset:16388
	s_or_b64 exec, exec, s[12:13]
	s_and_saveexec_b64 s[22:23], s[0:1]
	s_cbranch_execz .LBB90_123
.LBB90_145:
	s_waitcnt lgkmcnt(0)
	ds_bpermute_b32 v5, v8, v4
	ds_bpermute_b32 v7, v8, v3
	s_waitcnt lgkmcnt(1)
	v_max_u32_e32 v15, v5, v4
	v_cmp_gt_u32_e64 s[12:13], v5, v4
	ds_bpermute_b32 v16, v9, v15
	s_waitcnt lgkmcnt(1)
	v_cndmask_b32_e64 v3, v3, v7, s[12:13]
	ds_bpermute_b32 v4, v9, v3
	s_waitcnt lgkmcnt(1)
	v_max_u32_e32 v5, v16, v15
	v_cmp_gt_u32_e64 s[12:13], v16, v15
	ds_bpermute_b32 v7, v10, v5
	s_waitcnt lgkmcnt(1)
	v_cndmask_b32_e64 v3, v3, v4, s[12:13]
	;; [unrolled: 7-line block ×4, first 2 shown]
	ds_bpermute_b32 v4, v12, v3
	s_waitcnt lgkmcnt(1)
	v_max_u32_e32 v15, v7, v5
	v_cmp_gt_u32_e64 s[12:13], v7, v5
	s_waitcnt lgkmcnt(0)
	v_cndmask_b32_e64 v3, v3, v4, s[12:13]
	ds_bpermute_b32 v4, v13, v15
	ds_bpermute_b32 v5, v13, v3
	s_waitcnt lgkmcnt(1)
	v_cmp_gt_u32_e64 s[12:13], v4, v15
	s_waitcnt lgkmcnt(0)
	v_cndmask_b32_e64 v3, v3, v5, s[12:13]
	s_or_b64 exec, exec, s[22:23]
	s_and_saveexec_b64 s[12:13], vcc
	s_cbranch_execnz .LBB90_124
	s_branch .LBB90_125
.LBB90_146:
	v_lshlrev_b32_e32 v0, 2, v1
	v_sub_u32_e32 v0, v14, v0
	ds_read_b32 v0, v0
	s_or_b64 exec, exec, s[2:3]
	s_and_saveexec_b64 s[2:3], s[0:1]
	s_cbranch_execz .LBB90_133
.LBB90_147:
	s_waitcnt lgkmcnt(0)
	ds_bpermute_b32 v1, v8, v0
	s_waitcnt lgkmcnt(0)
	v_max_u32_e32 v0, v1, v0
	ds_bpermute_b32 v1, v9, v0
	s_waitcnt lgkmcnt(0)
	v_max_u32_e32 v0, v1, v0
	;; [unrolled: 3-line block ×6, first 2 shown]
	s_or_b64 exec, exec, s[2:3]
	s_and_saveexec_b64 s[0:1], vcc
	s_cbranch_execz .LBB90_134
.LBB90_148:
	s_load_dword s2, s[4:5], 0xd8
	s_add_u32 s0, s4, 8
	s_addc_u32 s1, s5, 0
	s_mov_b32 s3, 0
	s_waitcnt lgkmcnt(0)
	s_cmp_lt_i32 s2, 2
	s_cbranch_scc1 .LBB90_151
; %bb.149:
	s_add_i32 s6, s2, 1
	s_add_i32 s2, s2, -1
	s_lshl_b64 s[4:5], s[2:3], 2
	s_add_u32 s2, s4, s0
	s_addc_u32 s5, s5, s1
	s_add_u32 s4, s2, 8
	s_addc_u32 s5, s5, 0
.LBB90_150:                             ; =>This Inner Loop Header: Depth=1
	s_load_dword s2, s[4:5], 0x0
	s_load_dword s8, s[4:5], 0x64
	s_mov_b32 s7, s18
	s_waitcnt lgkmcnt(0)
	v_cvt_f32_u32_e32 v1, s2
	s_sub_i32 s9, 0, s2
	v_rcp_iflag_f32_e32 v1, v1
	v_mul_f32_e32 v1, 0x4f7ffffe, v1
	v_cvt_u32_f32_e32 v1, v1
	v_readfirstlane_b32 s10, v1
	s_mul_i32 s9, s9, s10
	s_mul_hi_u32 s9, s10, s9
	s_add_i32 s10, s10, s9
	s_mul_hi_u32 s9, s18, s10
	s_mul_i32 s10, s9, s2
	s_sub_i32 s10, s18, s10
	s_add_i32 s11, s9, 1
	s_sub_i32 s12, s10, s2
	s_cmp_ge_u32 s10, s2
	s_cselect_b32 s9, s11, s9
	s_cselect_b32 s10, s12, s10
	s_add_i32 s11, s9, 1
	s_cmp_ge_u32 s10, s2
	s_cselect_b32 s18, s11, s9
	s_mul_i32 s2, s18, s2
	s_sub_i32 s2, s7, s2
	s_mul_i32 s2, s8, s2
	s_add_i32 s6, s6, -1
	s_add_i32 s3, s2, s3
	s_add_u32 s4, s4, -4
	s_addc_u32 s5, s5, -1
	s_cmp_gt_u32 s6, 2
	s_cbranch_scc1 .LBB90_150
.LBB90_151:
	s_load_dword s2, s[0:1], 0x6c
	v_mov_b32_e32 v1, 0
	s_load_dwordx2 s[0:1], s[0:1], 0x0
	ds_read_b64 v[2:3], v1
	s_mov_b32 s5, 0
	s_waitcnt lgkmcnt(0)
	s_mul_i32 s2, s2, s18
	s_add_i32 s4, s2, s3
	s_lshl_b64 s[2:3], s[4:5], 3
	s_add_u32 s0, s0, s2
	s_addc_u32 s1, s1, s3
	global_store_dwordx2 v1, v[2:3], s[0:1]
	s_add_u32 s0, s14, s2
	s_addc_u32 s1, s15, s3
	global_store_dwordx2 v1, v[0:1], s[0:1]
	s_endpgm
	.section	.rodata,"a",@progbits
	.p2align	6, 0x0
	.amdhsa_kernel _ZN2at6native12compute_modeIdLj2048EEEvPKT_NS_4cuda6detail10TensorInfoIS2_jEENS7_IljEEll
		.amdhsa_group_segment_fixed_size 8
		.amdhsa_private_segment_fixed_size 0
		.amdhsa_kernarg_size 712
		.amdhsa_user_sgpr_count 6
		.amdhsa_user_sgpr_private_segment_buffer 1
		.amdhsa_user_sgpr_dispatch_ptr 0
		.amdhsa_user_sgpr_queue_ptr 0
		.amdhsa_user_sgpr_kernarg_segment_ptr 1
		.amdhsa_user_sgpr_dispatch_id 0
		.amdhsa_user_sgpr_flat_scratch_init 0
		.amdhsa_user_sgpr_kernarg_preload_length 0
		.amdhsa_user_sgpr_kernarg_preload_offset 0
		.amdhsa_user_sgpr_private_segment_size 0
		.amdhsa_uses_dynamic_stack 0
		.amdhsa_system_sgpr_private_segment_wavefront_offset 0
		.amdhsa_system_sgpr_workgroup_id_x 1
		.amdhsa_system_sgpr_workgroup_id_y 1
		.amdhsa_system_sgpr_workgroup_id_z 1
		.amdhsa_system_sgpr_workgroup_info 0
		.amdhsa_system_vgpr_workitem_id 0
		.amdhsa_next_free_vgpr 28
		.amdhsa_next_free_sgpr 24
		.amdhsa_accum_offset 28
		.amdhsa_reserve_vcc 1
		.amdhsa_reserve_flat_scratch 0
		.amdhsa_float_round_mode_32 0
		.amdhsa_float_round_mode_16_64 0
		.amdhsa_float_denorm_mode_32 3
		.amdhsa_float_denorm_mode_16_64 3
		.amdhsa_dx10_clamp 1
		.amdhsa_ieee_mode 1
		.amdhsa_fp16_overflow 0
		.amdhsa_tg_split 0
		.amdhsa_exception_fp_ieee_invalid_op 0
		.amdhsa_exception_fp_denorm_src 0
		.amdhsa_exception_fp_ieee_div_zero 0
		.amdhsa_exception_fp_ieee_overflow 0
		.amdhsa_exception_fp_ieee_underflow 0
		.amdhsa_exception_fp_ieee_inexact 0
		.amdhsa_exception_int_div_zero 0
	.end_amdhsa_kernel
	.section	.text._ZN2at6native12compute_modeIdLj2048EEEvPKT_NS_4cuda6detail10TensorInfoIS2_jEENS7_IljEEll,"axG",@progbits,_ZN2at6native12compute_modeIdLj2048EEEvPKT_NS_4cuda6detail10TensorInfoIS2_jEENS7_IljEEll,comdat
.Lfunc_end90:
	.size	_ZN2at6native12compute_modeIdLj2048EEEvPKT_NS_4cuda6detail10TensorInfoIS2_jEENS7_IljEEll, .Lfunc_end90-_ZN2at6native12compute_modeIdLj2048EEEvPKT_NS_4cuda6detail10TensorInfoIS2_jEENS7_IljEEll
                                        ; -- End function
	.section	.AMDGPU.csdata,"",@progbits
; Kernel info:
; codeLenInByte = 8268
; NumSgprs: 28
; NumVgprs: 28
; NumAgprs: 0
; TotalNumVgprs: 28
; ScratchSize: 0
; MemoryBound: 0
; FloatMode: 240
; IeeeMode: 1
; LDSByteSize: 8 bytes/workgroup (compile time only)
; SGPRBlocks: 3
; VGPRBlocks: 3
; NumSGPRsForWavesPerEU: 28
; NumVGPRsForWavesPerEU: 28
; AccumOffset: 28
; Occupancy: 8
; WaveLimiterHint : 1
; COMPUTE_PGM_RSRC2:SCRATCH_EN: 0
; COMPUTE_PGM_RSRC2:USER_SGPR: 6
; COMPUTE_PGM_RSRC2:TRAP_HANDLER: 0
; COMPUTE_PGM_RSRC2:TGID_X_EN: 1
; COMPUTE_PGM_RSRC2:TGID_Y_EN: 1
; COMPUTE_PGM_RSRC2:TGID_Z_EN: 1
; COMPUTE_PGM_RSRC2:TIDIG_COMP_CNT: 0
; COMPUTE_PGM_RSRC3_GFX90A:ACCUM_OFFSET: 6
; COMPUTE_PGM_RSRC3_GFX90A:TG_SPLIT: 0
	.section	.text._ZN2at6native12compute_modeIdLj1024EEEvPKT_NS_4cuda6detail10TensorInfoIS2_jEENS7_IljEEll,"axG",@progbits,_ZN2at6native12compute_modeIdLj1024EEEvPKT_NS_4cuda6detail10TensorInfoIS2_jEENS7_IljEEll,comdat
	.protected	_ZN2at6native12compute_modeIdLj1024EEEvPKT_NS_4cuda6detail10TensorInfoIS2_jEENS7_IljEEll ; -- Begin function _ZN2at6native12compute_modeIdLj1024EEEvPKT_NS_4cuda6detail10TensorInfoIS2_jEENS7_IljEEll
	.globl	_ZN2at6native12compute_modeIdLj1024EEEvPKT_NS_4cuda6detail10TensorInfoIS2_jEENS7_IljEEll
	.p2align	8
	.type	_ZN2at6native12compute_modeIdLj1024EEEvPKT_NS_4cuda6detail10TensorInfoIS2_jEENS7_IljEEll,@function
_ZN2at6native12compute_modeIdLj1024EEEvPKT_NS_4cuda6detail10TensorInfoIS2_jEENS7_IljEEll: ; @_ZN2at6native12compute_modeIdLj1024EEEvPKT_NS_4cuda6detail10TensorInfoIS2_jEENS7_IljEEll
; %bb.0:
	s_load_dwordx4 s[16:19], s[4:5], 0x1b8
	s_load_dwordx2 s[2:3], s[4:5], 0x1c8
	s_add_u32 s0, s4, 0x1c8
	s_addc_u32 s1, s5, 0
	s_mov_b32 s15, 0
	s_waitcnt lgkmcnt(0)
	v_mov_b32_e32 v2, s18
	s_mul_i32 s3, s3, s8
	s_add_i32 s3, s3, s7
	s_mul_i32 s2, s3, s2
	v_mov_b32_e32 v3, s19
	s_add_i32 s14, s2, s6
	v_cmp_ge_i64_e32 vcc, s[14:15], v[2:3]
	s_cbranch_vccnz .LBB91_308
; %bb.1:
	s_load_dwordx2 s[18:19], s[4:5], 0x0
	s_load_dword s6, s[0:1], 0xc
	v_mov_b32_e32 v3, 0
	v_mov_b32_e32 v1, v3
	s_mul_i32 s15, s14, s16
	v_cmp_gt_i64_e32 vcc, s[16:17], v[0:1]
	s_and_saveexec_b64 s[2:3], vcc
	s_cbranch_execz .LBB91_3
; %bb.2:
	v_add_u32_e32 v2, s15, v0
	v_lshlrev_b64 v[4:5], 3, v[2:3]
	s_waitcnt lgkmcnt(0)
	v_mov_b32_e32 v1, s19
	v_add_co_u32_e64 v4, s[0:1], s18, v4
	v_addc_co_u32_e64 v5, s[0:1], v1, v5, s[0:1]
	global_load_dwordx2 v[4:5], v[4:5], off
	v_lshl_add_u32 v1, v0, 3, 8
	s_waitcnt vmcnt(0)
	ds_write_b64 v1, v[4:5]
.LBB91_3:
	s_or_b64 exec, exec, s[2:3]
	s_waitcnt lgkmcnt(0)
	s_and_b32 s20, 0xffff, s6
	v_add_u32_e32 v2, s20, v0
	v_cmp_gt_i64_e64 s[0:1], s[16:17], v[2:3]
	s_and_saveexec_b64 s[6:7], s[0:1]
	s_cbranch_execz .LBB91_5
; %bb.4:
	v_add_u32_e32 v4, s15, v2
	v_mov_b32_e32 v5, 0
	v_lshlrev_b64 v[4:5], 3, v[4:5]
	v_mov_b32_e32 v1, s19
	v_add_co_u32_e64 v4, s[2:3], s18, v4
	v_addc_co_u32_e64 v5, s[2:3], v1, v5, s[2:3]
	global_load_dwordx2 v[4:5], v[4:5], off
	v_lshl_add_u32 v1, v2, 3, 8
	s_waitcnt vmcnt(0)
	ds_write_b64 v1, v[4:5]
.LBB91_5:
	s_or_b64 exec, exec, s[6:7]
	v_add_u32_e32 v1, 8, v0
	v_cndmask_b32_e64 v2, 0, 1, vcc
	ds_write_b8 v1, v2 offset:8192
	v_add_u32_e32 v2, s20, v1
	v_cndmask_b32_e64 v3, 0, 1, s[0:1]
	v_mad_u32_u24 v1, v0, 15, v1
	ds_write_b8 v2, v3 offset:8192
	s_waitcnt lgkmcnt(0)
	s_barrier
	s_barrier
	ds_read2_b64 v[2:5], v1 offset1:1
	s_mov_b32 s6, 1
	v_mad_i32_i24 v7, v0, -14, v1
	s_waitcnt lgkmcnt(0)
	v_cmp_nlt_f64_e64 s[0:1], v[2:3], v[4:5]
	v_cmp_lt_f64_e32 vcc, v[2:3], v[4:5]
	s_and_saveexec_b64 s[2:3], vcc
	s_cbranch_execz .LBB91_7
; %bb.6:
	ds_read_u8 v6, v7 offset:8192
	s_andn2_b64 s[0:1], s[0:1], exec
	s_waitcnt lgkmcnt(0)
	v_and_b32_e32 v6, 1, v6
	v_cmp_eq_u32_e32 vcc, 1, v6
	s_xor_b64 s[8:9], vcc, -1
	s_and_b64 s[8:9], s[8:9], exec
	s_or_b64 s[0:1], s[0:1], s[8:9]
.LBB91_7:
	s_or_b64 exec, exec, s[2:3]
	v_lshlrev_b32_e32 v6, 1, v0
	v_mov_b32_e32 v11, s6
	v_add_u32_e32 v8, 8, v6
	s_and_saveexec_b64 s[2:3], s[0:1]
	s_cbranch_execz .LBB91_9
; %bb.8:
	ds_read_u8 v9, v8 offset:8193
	s_waitcnt lgkmcnt(0)
	v_xor_b32_e32 v11, 1, v9
.LBB91_9:
	s_or_b64 exec, exec, s[2:3]
	v_and_b32_e32 v10, 1, v0
	v_mul_u32_u24_e32 v9, 14, v0
	v_cmp_eq_u32_e32 vcc, v11, v10
	s_and_saveexec_b64 s[0:1], vcc
	s_cbranch_execz .LBB91_11
; %bb.10:
	ds_read_u8 v11, v8 offset:8193
	ds_read_u8 v12, v7 offset:8192
	ds_write_b64 v1, v[4:5]
	v_add_u32_e32 v4, v7, v9
	ds_write_b64 v4, v[2:3] offset:8
	s_waitcnt lgkmcnt(3)
	ds_write_b8 v7, v11 offset:8192
	s_waitcnt lgkmcnt(3)
	ds_write_b8 v8, v12 offset:8193
.LBB91_11:
	s_or_b64 exec, exec, s[0:1]
	v_sub_u32_e32 v12, v6, v10
	v_add_u32_e32 v10, 8, v12
	v_lshl_add_u32 v11, v12, 3, 8
	v_mad_i32_i24 v4, v12, 7, v10
	s_waitcnt lgkmcnt(0)
	s_barrier
	ds_read_b64 v[2:3], v11
	ds_read_b64 v[4:5], v4 offset:16
	s_mov_b64 s[0:1], -1
                                        ; implicit-def: $sgpr6
	s_waitcnt lgkmcnt(0)
	v_cmp_lt_f64_e32 vcc, v[2:3], v[4:5]
	s_and_saveexec_b64 s[2:3], vcc
	s_xor_b64 s[2:3], exec, s[2:3]
	s_cbranch_execz .LBB91_13
; %bb.12:
	ds_read_u8 v13, v10 offset:8192
	s_mov_b32 s6, 1
	s_waitcnt lgkmcnt(0)
	v_and_b32_e32 v13, 1, v13
	v_cmp_eq_u32_e32 vcc, 1, v13
	s_xor_b64 s[0:1], vcc, -1
	s_orn2_b64 s[0:1], s[0:1], exec
.LBB91_13:
	s_or_b64 exec, exec, s[2:3]
	v_mul_i32_i24_e32 v12, 7, v12
	v_mov_b32_e32 v14, s6
	s_and_saveexec_b64 s[2:3], s[0:1]
	s_cbranch_execz .LBB91_15
; %bb.14:
	ds_read_u8 v13, v10 offset:8194
	s_waitcnt lgkmcnt(0)
	v_xor_b32_e32 v14, 1, v13
.LBB91_15:
	s_or_b64 exec, exec, s[2:3]
	v_bfe_u32 v13, v0, 1, 1
	v_cmp_eq_u32_e32 vcc, v14, v13
	v_add_u32_e32 v12, v10, v12
	s_and_saveexec_b64 s[0:1], vcc
	s_cbranch_execz .LBB91_17
; %bb.16:
	ds_read_u8 v14, v10 offset:8194
	ds_read_u8 v15, v10 offset:8192
	ds_write_b64 v11, v[4:5]
	ds_write_b64 v12, v[2:3] offset:16
	s_waitcnt lgkmcnt(3)
	ds_write_b8 v10, v14 offset:8192
	s_waitcnt lgkmcnt(3)
	ds_write_b8 v10, v15 offset:8194
.LBB91_17:
	s_or_b64 exec, exec, s[0:1]
	s_waitcnt lgkmcnt(0)
	s_barrier
	ds_read2_b64 v[2:5], v1 offset1:1
                                        ; implicit-def: $sgpr6
	s_waitcnt lgkmcnt(0)
	v_cmp_nlt_f64_e64 s[0:1], v[2:3], v[4:5]
	v_cmp_lt_f64_e32 vcc, v[2:3], v[4:5]
	s_and_saveexec_b64 s[2:3], vcc
	s_cbranch_execnz .LBB91_309
; %bb.18:
	s_or_b64 exec, exec, s[2:3]
	v_mov_b32_e32 v14, s6
	s_and_saveexec_b64 s[2:3], s[0:1]
	s_cbranch_execnz .LBB91_310
.LBB91_19:
	s_or_b64 exec, exec, s[2:3]
	v_cmp_eq_u32_e32 vcc, v14, v13
	s_and_saveexec_b64 s[0:1], vcc
	s_cbranch_execz .LBB91_21
.LBB91_20:
	ds_read_u8 v13, v8 offset:8193
	ds_read_u8 v14, v7 offset:8192
	ds_write_b64 v1, v[4:5]
	v_add_u32_e32 v4, v7, v9
	ds_write_b64 v4, v[2:3] offset:8
	s_waitcnt lgkmcnt(3)
	ds_write_b8 v7, v13 offset:8192
	s_waitcnt lgkmcnt(3)
	ds_write_b8 v8, v14 offset:8193
.LBB91_21:
	s_or_b64 exec, exec, s[0:1]
	v_and_b32_e32 v2, 3, v0
	v_sub_u32_e32 v15, v6, v2
	v_add_u32_e32 v13, 8, v15
	v_lshl_add_u32 v14, v15, 3, 8
	v_mad_i32_i24 v4, v15, 7, v13
	s_waitcnt lgkmcnt(0)
	s_barrier
	ds_read_b64 v[2:3], v14
	ds_read_b64 v[4:5], v4 offset:32
                                        ; implicit-def: $sgpr6
	s_waitcnt lgkmcnt(0)
	v_cmp_nlt_f64_e64 s[0:1], v[2:3], v[4:5]
	v_cmp_lt_f64_e32 vcc, v[2:3], v[4:5]
	s_and_saveexec_b64 s[2:3], vcc
	s_cbranch_execz .LBB91_23
; %bb.22:
	ds_read_u8 v16, v13 offset:8192
	s_andn2_b64 s[0:1], s[0:1], exec
	s_mov_b32 s6, 1
	s_waitcnt lgkmcnt(0)
	v_and_b32_e32 v16, 1, v16
	v_cmp_eq_u32_e32 vcc, 1, v16
	s_xor_b64 s[8:9], vcc, -1
	s_and_b64 s[8:9], s[8:9], exec
	s_or_b64 s[0:1], s[0:1], s[8:9]
.LBB91_23:
	s_or_b64 exec, exec, s[2:3]
	v_mul_i32_i24_e32 v15, 7, v15
	v_mov_b32_e32 v17, s6
	s_and_saveexec_b64 s[2:3], s[0:1]
	s_cbranch_execz .LBB91_25
; %bb.24:
	ds_read_u8 v16, v13 offset:8196
	s_waitcnt lgkmcnt(0)
	v_xor_b32_e32 v17, 1, v16
.LBB91_25:
	s_or_b64 exec, exec, s[2:3]
	v_bfe_u32 v16, v0, 2, 1
	v_cmp_eq_u32_e32 vcc, v17, v16
	v_add_u32_e32 v15, v13, v15
	s_and_saveexec_b64 s[0:1], vcc
	s_cbranch_execz .LBB91_27
; %bb.26:
	ds_read_u8 v17, v13 offset:8196
	ds_read_u8 v18, v13 offset:8192
	ds_write_b64 v14, v[4:5]
	ds_write_b64 v15, v[2:3] offset:32
	s_waitcnt lgkmcnt(3)
	ds_write_b8 v13, v17 offset:8192
	s_waitcnt lgkmcnt(3)
	ds_write_b8 v13, v18 offset:8196
.LBB91_27:
	s_or_b64 exec, exec, s[0:1]
	s_waitcnt lgkmcnt(0)
	s_barrier
	ds_read_b64 v[2:3], v11
	ds_read_b64 v[4:5], v12 offset:16
                                        ; implicit-def: $sgpr6
	s_waitcnt lgkmcnt(0)
	v_cmp_nlt_f64_e64 s[0:1], v[2:3], v[4:5]
	v_cmp_lt_f64_e32 vcc, v[2:3], v[4:5]
	s_and_saveexec_b64 s[2:3], vcc
	s_cbranch_execnz .LBB91_311
; %bb.28:
	s_or_b64 exec, exec, s[2:3]
	v_mov_b32_e32 v17, s6
	s_and_saveexec_b64 s[2:3], s[0:1]
	s_cbranch_execnz .LBB91_312
.LBB91_29:
	s_or_b64 exec, exec, s[2:3]
	v_cmp_eq_u32_e32 vcc, v17, v16
	s_and_saveexec_b64 s[0:1], vcc
	s_cbranch_execz .LBB91_31
.LBB91_30:
	ds_read_u8 v17, v10 offset:8194
	ds_read_u8 v18, v10 offset:8192
	ds_write_b64 v11, v[4:5]
	ds_write_b64 v12, v[2:3] offset:16
	s_waitcnt lgkmcnt(3)
	ds_write_b8 v10, v17 offset:8192
	s_waitcnt lgkmcnt(3)
	ds_write_b8 v10, v18 offset:8194
.LBB91_31:
	s_or_b64 exec, exec, s[0:1]
	s_waitcnt lgkmcnt(0)
	s_barrier
	ds_read2_b64 v[2:5], v1 offset1:1
                                        ; implicit-def: $sgpr6
	s_waitcnt lgkmcnt(0)
	v_cmp_nlt_f64_e64 s[0:1], v[2:3], v[4:5]
	v_cmp_lt_f64_e32 vcc, v[2:3], v[4:5]
	s_and_saveexec_b64 s[2:3], vcc
	s_cbranch_execnz .LBB91_313
; %bb.32:
	s_or_b64 exec, exec, s[2:3]
	v_mov_b32_e32 v17, s6
	s_and_saveexec_b64 s[2:3], s[0:1]
	s_cbranch_execnz .LBB91_314
.LBB91_33:
	s_or_b64 exec, exec, s[2:3]
	v_cmp_eq_u32_e32 vcc, v17, v16
	s_and_saveexec_b64 s[0:1], vcc
	s_cbranch_execz .LBB91_35
.LBB91_34:
	ds_read_u8 v16, v8 offset:8193
	ds_read_u8 v17, v7 offset:8192
	ds_write_b64 v1, v[4:5]
	v_add_u32_e32 v4, v7, v9
	ds_write_b64 v4, v[2:3] offset:8
	s_waitcnt lgkmcnt(3)
	ds_write_b8 v7, v16 offset:8192
	s_waitcnt lgkmcnt(3)
	ds_write_b8 v8, v17 offset:8193
.LBB91_35:
	s_or_b64 exec, exec, s[0:1]
	v_and_b32_e32 v2, 7, v0
	v_sub_u32_e32 v16, v6, v2
	v_add_u32_e32 v17, 8, v16
	v_lshl_add_u32 v18, v16, 3, 8
	v_mad_i32_i24 v4, v16, 7, v17
	s_waitcnt lgkmcnt(0)
	s_barrier
	ds_read_b64 v[2:3], v18
	ds_read_b64 v[4:5], v4 offset:64
                                        ; implicit-def: $sgpr6
	s_waitcnt lgkmcnt(0)
	v_cmp_nlt_f64_e64 s[0:1], v[2:3], v[4:5]
	v_cmp_lt_f64_e32 vcc, v[2:3], v[4:5]
	s_and_saveexec_b64 s[2:3], vcc
	s_cbranch_execz .LBB91_37
; %bb.36:
	ds_read_u8 v19, v17 offset:8192
	s_andn2_b64 s[0:1], s[0:1], exec
	s_mov_b32 s6, 1
	s_waitcnt lgkmcnt(0)
	v_and_b32_e32 v19, 1, v19
	v_cmp_eq_u32_e32 vcc, 1, v19
	s_xor_b64 s[8:9], vcc, -1
	s_and_b64 s[8:9], s[8:9], exec
	s_or_b64 s[0:1], s[0:1], s[8:9]
.LBB91_37:
	s_or_b64 exec, exec, s[2:3]
	v_mul_i32_i24_e32 v19, 7, v16
	v_mov_b32_e32 v20, s6
	s_and_saveexec_b64 s[2:3], s[0:1]
	s_cbranch_execz .LBB91_39
; %bb.38:
	ds_read_u8 v16, v17 offset:8200
	s_waitcnt lgkmcnt(0)
	v_xor_b32_e32 v20, 1, v16
.LBB91_39:
	s_or_b64 exec, exec, s[2:3]
	v_bfe_u32 v16, v0, 3, 1
	v_cmp_eq_u32_e32 vcc, v20, v16
	v_add_u32_e32 v19, v17, v19
	s_and_saveexec_b64 s[0:1], vcc
	s_cbranch_execz .LBB91_41
; %bb.40:
	ds_read_u8 v20, v17 offset:8200
	ds_read_u8 v21, v17 offset:8192
	ds_write_b64 v18, v[4:5]
	ds_write_b64 v19, v[2:3] offset:64
	s_waitcnt lgkmcnt(3)
	ds_write_b8 v17, v20 offset:8192
	s_waitcnt lgkmcnt(3)
	ds_write_b8 v17, v21 offset:8200
.LBB91_41:
	s_or_b64 exec, exec, s[0:1]
	s_waitcnt lgkmcnt(0)
	s_barrier
	ds_read_b64 v[2:3], v14
	ds_read_b64 v[4:5], v15 offset:32
                                        ; implicit-def: $sgpr6
	s_waitcnt lgkmcnt(0)
	v_cmp_nlt_f64_e64 s[0:1], v[2:3], v[4:5]
	v_cmp_lt_f64_e32 vcc, v[2:3], v[4:5]
	s_and_saveexec_b64 s[2:3], vcc
	s_cbranch_execnz .LBB91_315
; %bb.42:
	s_or_b64 exec, exec, s[2:3]
	v_mov_b32_e32 v20, s6
	s_and_saveexec_b64 s[2:3], s[0:1]
	s_cbranch_execnz .LBB91_316
.LBB91_43:
	s_or_b64 exec, exec, s[2:3]
	v_cmp_eq_u32_e32 vcc, v20, v16
	s_and_saveexec_b64 s[0:1], vcc
	s_cbranch_execz .LBB91_45
.LBB91_44:
	ds_read_u8 v20, v13 offset:8196
	ds_read_u8 v21, v13 offset:8192
	ds_write_b64 v14, v[4:5]
	ds_write_b64 v15, v[2:3] offset:32
	s_waitcnt lgkmcnt(3)
	ds_write_b8 v13, v20 offset:8192
	s_waitcnt lgkmcnt(3)
	ds_write_b8 v13, v21 offset:8196
.LBB91_45:
	s_or_b64 exec, exec, s[0:1]
	s_waitcnt lgkmcnt(0)
	s_barrier
	ds_read_b64 v[2:3], v11
	ds_read_b64 v[4:5], v12 offset:16
                                        ; implicit-def: $sgpr6
	s_waitcnt lgkmcnt(0)
	v_cmp_nlt_f64_e64 s[0:1], v[2:3], v[4:5]
	v_cmp_lt_f64_e32 vcc, v[2:3], v[4:5]
	s_and_saveexec_b64 s[2:3], vcc
	s_cbranch_execnz .LBB91_317
; %bb.46:
	s_or_b64 exec, exec, s[2:3]
	v_mov_b32_e32 v20, s6
	s_and_saveexec_b64 s[2:3], s[0:1]
	s_cbranch_execnz .LBB91_318
.LBB91_47:
	s_or_b64 exec, exec, s[2:3]
	v_cmp_eq_u32_e32 vcc, v20, v16
	s_and_saveexec_b64 s[0:1], vcc
	s_cbranch_execz .LBB91_49
.LBB91_48:
	ds_read_u8 v20, v10 offset:8194
	ds_read_u8 v21, v10 offset:8192
	ds_write_b64 v11, v[4:5]
	ds_write_b64 v12, v[2:3] offset:16
	s_waitcnt lgkmcnt(3)
	ds_write_b8 v10, v20 offset:8192
	s_waitcnt lgkmcnt(3)
	ds_write_b8 v10, v21 offset:8194
.LBB91_49:
	s_or_b64 exec, exec, s[0:1]
	s_waitcnt lgkmcnt(0)
	s_barrier
	ds_read2_b64 v[2:5], v1 offset1:1
                                        ; implicit-def: $sgpr6
	s_waitcnt lgkmcnt(0)
	v_cmp_nlt_f64_e64 s[0:1], v[2:3], v[4:5]
	v_cmp_lt_f64_e32 vcc, v[2:3], v[4:5]
	s_and_saveexec_b64 s[2:3], vcc
	s_cbranch_execnz .LBB91_319
; %bb.50:
	s_or_b64 exec, exec, s[2:3]
	v_mov_b32_e32 v20, s6
	s_and_saveexec_b64 s[2:3], s[0:1]
	s_cbranch_execnz .LBB91_320
.LBB91_51:
	s_or_b64 exec, exec, s[2:3]
	v_cmp_eq_u32_e32 vcc, v20, v16
	s_and_saveexec_b64 s[0:1], vcc
	s_cbranch_execz .LBB91_53
.LBB91_52:
	ds_read_u8 v16, v8 offset:8193
	ds_read_u8 v20, v7 offset:8192
	ds_write_b64 v1, v[4:5]
	v_add_u32_e32 v4, v7, v9
	ds_write_b64 v4, v[2:3] offset:8
	s_waitcnt lgkmcnt(3)
	ds_write_b8 v7, v16 offset:8192
	s_waitcnt lgkmcnt(3)
	ds_write_b8 v8, v20 offset:8193
.LBB91_53:
	s_or_b64 exec, exec, s[0:1]
	v_and_b32_e32 v2, 15, v0
	v_sub_u32_e32 v16, v6, v2
	v_add_u32_e32 v20, 8, v16
	v_lshl_add_u32 v21, v16, 3, 8
	v_mad_i32_i24 v4, v16, 7, v20
	s_waitcnt lgkmcnt(0)
	s_barrier
	ds_read_b64 v[2:3], v21
	ds_read_b64 v[4:5], v4 offset:128
                                        ; implicit-def: $sgpr6
	s_waitcnt lgkmcnt(0)
	v_cmp_nlt_f64_e64 s[0:1], v[2:3], v[4:5]
	v_cmp_lt_f64_e32 vcc, v[2:3], v[4:5]
	s_and_saveexec_b64 s[2:3], vcc
	s_cbranch_execz .LBB91_55
; %bb.54:
	ds_read_u8 v22, v20 offset:8192
	s_andn2_b64 s[0:1], s[0:1], exec
	s_mov_b32 s6, 1
	s_waitcnt lgkmcnt(0)
	v_and_b32_e32 v22, 1, v22
	v_cmp_eq_u32_e32 vcc, 1, v22
	s_xor_b64 s[8:9], vcc, -1
	s_and_b64 s[8:9], s[8:9], exec
	s_or_b64 s[0:1], s[0:1], s[8:9]
.LBB91_55:
	s_or_b64 exec, exec, s[2:3]
	v_mul_i32_i24_e32 v22, 7, v16
	v_mov_b32_e32 v23, s6
	s_and_saveexec_b64 s[2:3], s[0:1]
	s_cbranch_execz .LBB91_57
; %bb.56:
	ds_read_u8 v16, v20 offset:8208
	s_waitcnt lgkmcnt(0)
	v_xor_b32_e32 v23, 1, v16
.LBB91_57:
	s_or_b64 exec, exec, s[2:3]
	v_bfe_u32 v16, v0, 4, 1
	v_cmp_eq_u32_e32 vcc, v23, v16
	v_add_u32_e32 v22, v20, v22
	s_and_saveexec_b64 s[0:1], vcc
	s_cbranch_execz .LBB91_59
; %bb.58:
	ds_read_u8 v23, v20 offset:8208
	ds_read_u8 v24, v20 offset:8192
	ds_write_b64 v21, v[4:5]
	ds_write_b64 v22, v[2:3] offset:128
	s_waitcnt lgkmcnt(3)
	ds_write_b8 v20, v23 offset:8192
	s_waitcnt lgkmcnt(3)
	ds_write_b8 v20, v24 offset:8208
.LBB91_59:
	s_or_b64 exec, exec, s[0:1]
	s_waitcnt lgkmcnt(0)
	s_barrier
	ds_read_b64 v[2:3], v18
	ds_read_b64 v[4:5], v19 offset:64
                                        ; implicit-def: $sgpr6
	s_waitcnt lgkmcnt(0)
	v_cmp_nlt_f64_e64 s[0:1], v[2:3], v[4:5]
	v_cmp_lt_f64_e32 vcc, v[2:3], v[4:5]
	s_and_saveexec_b64 s[2:3], vcc
	s_cbranch_execnz .LBB91_321
; %bb.60:
	s_or_b64 exec, exec, s[2:3]
	v_mov_b32_e32 v23, s6
	s_and_saveexec_b64 s[2:3], s[0:1]
	s_cbranch_execnz .LBB91_322
.LBB91_61:
	s_or_b64 exec, exec, s[2:3]
	v_cmp_eq_u32_e32 vcc, v23, v16
	s_and_saveexec_b64 s[0:1], vcc
	s_cbranch_execz .LBB91_63
.LBB91_62:
	ds_read_u8 v23, v17 offset:8200
	ds_read_u8 v24, v17 offset:8192
	ds_write_b64 v18, v[4:5]
	ds_write_b64 v19, v[2:3] offset:64
	s_waitcnt lgkmcnt(3)
	ds_write_b8 v17, v23 offset:8192
	s_waitcnt lgkmcnt(3)
	ds_write_b8 v17, v24 offset:8200
.LBB91_63:
	s_or_b64 exec, exec, s[0:1]
	s_waitcnt lgkmcnt(0)
	s_barrier
	ds_read_b64 v[2:3], v14
	ds_read_b64 v[4:5], v15 offset:32
                                        ; implicit-def: $sgpr6
	s_waitcnt lgkmcnt(0)
	v_cmp_nlt_f64_e64 s[0:1], v[2:3], v[4:5]
	v_cmp_lt_f64_e32 vcc, v[2:3], v[4:5]
	s_and_saveexec_b64 s[2:3], vcc
	s_cbranch_execnz .LBB91_323
; %bb.64:
	s_or_b64 exec, exec, s[2:3]
	v_mov_b32_e32 v23, s6
	s_and_saveexec_b64 s[2:3], s[0:1]
	s_cbranch_execnz .LBB91_324
.LBB91_65:
	s_or_b64 exec, exec, s[2:3]
	v_cmp_eq_u32_e32 vcc, v23, v16
	s_and_saveexec_b64 s[0:1], vcc
	s_cbranch_execz .LBB91_67
.LBB91_66:
	ds_read_u8 v23, v13 offset:8196
	ds_read_u8 v24, v13 offset:8192
	ds_write_b64 v14, v[4:5]
	ds_write_b64 v15, v[2:3] offset:32
	s_waitcnt lgkmcnt(3)
	ds_write_b8 v13, v23 offset:8192
	s_waitcnt lgkmcnt(3)
	ds_write_b8 v13, v24 offset:8196
.LBB91_67:
	s_or_b64 exec, exec, s[0:1]
	s_waitcnt lgkmcnt(0)
	s_barrier
	ds_read_b64 v[2:3], v11
	ds_read_b64 v[4:5], v12 offset:16
                                        ; implicit-def: $sgpr6
	s_waitcnt lgkmcnt(0)
	v_cmp_nlt_f64_e64 s[0:1], v[2:3], v[4:5]
	v_cmp_lt_f64_e32 vcc, v[2:3], v[4:5]
	s_and_saveexec_b64 s[2:3], vcc
	s_cbranch_execnz .LBB91_325
; %bb.68:
	s_or_b64 exec, exec, s[2:3]
	v_mov_b32_e32 v23, s6
	s_and_saveexec_b64 s[2:3], s[0:1]
	s_cbranch_execnz .LBB91_326
.LBB91_69:
	s_or_b64 exec, exec, s[2:3]
	v_cmp_eq_u32_e32 vcc, v23, v16
	s_and_saveexec_b64 s[0:1], vcc
	s_cbranch_execz .LBB91_71
.LBB91_70:
	ds_read_u8 v23, v10 offset:8194
	ds_read_u8 v24, v10 offset:8192
	ds_write_b64 v11, v[4:5]
	ds_write_b64 v12, v[2:3] offset:16
	s_waitcnt lgkmcnt(3)
	ds_write_b8 v10, v23 offset:8192
	s_waitcnt lgkmcnt(3)
	ds_write_b8 v10, v24 offset:8194
.LBB91_71:
	s_or_b64 exec, exec, s[0:1]
	s_waitcnt lgkmcnt(0)
	s_barrier
	ds_read2_b64 v[2:5], v1 offset1:1
                                        ; implicit-def: $sgpr6
	s_waitcnt lgkmcnt(0)
	v_cmp_nlt_f64_e64 s[0:1], v[2:3], v[4:5]
	v_cmp_lt_f64_e32 vcc, v[2:3], v[4:5]
	s_and_saveexec_b64 s[2:3], vcc
	s_cbranch_execnz .LBB91_327
; %bb.72:
	s_or_b64 exec, exec, s[2:3]
	v_mov_b32_e32 v23, s6
	s_and_saveexec_b64 s[2:3], s[0:1]
	s_cbranch_execnz .LBB91_328
.LBB91_73:
	s_or_b64 exec, exec, s[2:3]
	v_cmp_eq_u32_e32 vcc, v23, v16
	s_and_saveexec_b64 s[0:1], vcc
	s_cbranch_execz .LBB91_75
.LBB91_74:
	ds_read_u8 v16, v8 offset:8193
	ds_read_u8 v23, v7 offset:8192
	ds_write_b64 v1, v[4:5]
	v_add_u32_e32 v4, v7, v9
	ds_write_b64 v4, v[2:3] offset:8
	s_waitcnt lgkmcnt(3)
	ds_write_b8 v7, v16 offset:8192
	s_waitcnt lgkmcnt(3)
	ds_write_b8 v8, v23 offset:8193
.LBB91_75:
	s_or_b64 exec, exec, s[0:1]
	v_and_b32_e32 v2, 31, v0
	v_sub_u32_e32 v16, v6, v2
	v_add_u32_e32 v23, 8, v16
	v_lshl_add_u32 v24, v16, 3, 8
	v_mad_i32_i24 v4, v16, 7, v23
	s_waitcnt lgkmcnt(0)
	s_barrier
	ds_read_b64 v[2:3], v24
	ds_read_b64 v[4:5], v4 offset:256
                                        ; implicit-def: $sgpr6
	s_waitcnt lgkmcnt(0)
	v_cmp_nlt_f64_e64 s[0:1], v[2:3], v[4:5]
	v_cmp_lt_f64_e32 vcc, v[2:3], v[4:5]
	s_and_saveexec_b64 s[2:3], vcc
	s_cbranch_execz .LBB91_77
; %bb.76:
	ds_read_u8 v25, v23 offset:8192
	s_andn2_b64 s[0:1], s[0:1], exec
	s_mov_b32 s6, 1
	s_waitcnt lgkmcnt(0)
	v_and_b32_e32 v25, 1, v25
	v_cmp_eq_u32_e32 vcc, 1, v25
	s_xor_b64 s[8:9], vcc, -1
	s_and_b64 s[8:9], s[8:9], exec
	s_or_b64 s[0:1], s[0:1], s[8:9]
.LBB91_77:
	s_or_b64 exec, exec, s[2:3]
	v_mul_i32_i24_e32 v25, 7, v16
	v_mov_b32_e32 v26, s6
	s_and_saveexec_b64 s[2:3], s[0:1]
	s_cbranch_execz .LBB91_79
; %bb.78:
	ds_read_u8 v16, v23 offset:8224
	s_waitcnt lgkmcnt(0)
	v_xor_b32_e32 v26, 1, v16
.LBB91_79:
	s_or_b64 exec, exec, s[2:3]
	v_bfe_u32 v16, v0, 5, 1
	v_cmp_eq_u32_e32 vcc, v26, v16
	v_add_u32_e32 v25, v23, v25
	s_and_saveexec_b64 s[0:1], vcc
	s_cbranch_execz .LBB91_81
; %bb.80:
	ds_read_u8 v26, v23 offset:8224
	ds_read_u8 v27, v23 offset:8192
	ds_write_b64 v24, v[4:5]
	ds_write_b64 v25, v[2:3] offset:256
	s_waitcnt lgkmcnt(3)
	ds_write_b8 v23, v26 offset:8192
	s_waitcnt lgkmcnt(3)
	ds_write_b8 v23, v27 offset:8224
.LBB91_81:
	s_or_b64 exec, exec, s[0:1]
	s_waitcnt lgkmcnt(0)
	s_barrier
	ds_read_b64 v[2:3], v21
	ds_read_b64 v[4:5], v22 offset:128
                                        ; implicit-def: $sgpr6
	s_waitcnt lgkmcnt(0)
	v_cmp_nlt_f64_e64 s[0:1], v[2:3], v[4:5]
	v_cmp_lt_f64_e32 vcc, v[2:3], v[4:5]
	s_and_saveexec_b64 s[2:3], vcc
	s_cbranch_execnz .LBB91_329
; %bb.82:
	s_or_b64 exec, exec, s[2:3]
	v_mov_b32_e32 v26, s6
	s_and_saveexec_b64 s[2:3], s[0:1]
	s_cbranch_execnz .LBB91_330
.LBB91_83:
	s_or_b64 exec, exec, s[2:3]
	v_cmp_eq_u32_e32 vcc, v26, v16
	s_and_saveexec_b64 s[0:1], vcc
	s_cbranch_execz .LBB91_85
.LBB91_84:
	ds_read_u8 v26, v20 offset:8208
	ds_read_u8 v27, v20 offset:8192
	ds_write_b64 v21, v[4:5]
	ds_write_b64 v22, v[2:3] offset:128
	s_waitcnt lgkmcnt(3)
	ds_write_b8 v20, v26 offset:8192
	s_waitcnt lgkmcnt(3)
	ds_write_b8 v20, v27 offset:8208
.LBB91_85:
	s_or_b64 exec, exec, s[0:1]
	s_waitcnt lgkmcnt(0)
	s_barrier
	ds_read_b64 v[2:3], v18
	ds_read_b64 v[4:5], v19 offset:64
                                        ; implicit-def: $sgpr6
	s_waitcnt lgkmcnt(0)
	v_cmp_nlt_f64_e64 s[0:1], v[2:3], v[4:5]
	v_cmp_lt_f64_e32 vcc, v[2:3], v[4:5]
	s_and_saveexec_b64 s[2:3], vcc
	s_cbranch_execnz .LBB91_331
; %bb.86:
	s_or_b64 exec, exec, s[2:3]
	v_mov_b32_e32 v26, s6
	s_and_saveexec_b64 s[2:3], s[0:1]
	s_cbranch_execnz .LBB91_332
.LBB91_87:
	s_or_b64 exec, exec, s[2:3]
	v_cmp_eq_u32_e32 vcc, v26, v16
	s_and_saveexec_b64 s[0:1], vcc
	s_cbranch_execz .LBB91_89
.LBB91_88:
	ds_read_u8 v26, v17 offset:8200
	ds_read_u8 v27, v17 offset:8192
	ds_write_b64 v18, v[4:5]
	ds_write_b64 v19, v[2:3] offset:64
	s_waitcnt lgkmcnt(3)
	ds_write_b8 v17, v26 offset:8192
	s_waitcnt lgkmcnt(3)
	ds_write_b8 v17, v27 offset:8200
.LBB91_89:
	s_or_b64 exec, exec, s[0:1]
	s_waitcnt lgkmcnt(0)
	s_barrier
	ds_read_b64 v[2:3], v14
	ds_read_b64 v[4:5], v15 offset:32
                                        ; implicit-def: $sgpr6
	s_waitcnt lgkmcnt(0)
	v_cmp_nlt_f64_e64 s[0:1], v[2:3], v[4:5]
	v_cmp_lt_f64_e32 vcc, v[2:3], v[4:5]
	s_and_saveexec_b64 s[2:3], vcc
	s_cbranch_execnz .LBB91_333
; %bb.90:
	s_or_b64 exec, exec, s[2:3]
	v_mov_b32_e32 v26, s6
	s_and_saveexec_b64 s[2:3], s[0:1]
	s_cbranch_execnz .LBB91_334
.LBB91_91:
	s_or_b64 exec, exec, s[2:3]
	v_cmp_eq_u32_e32 vcc, v26, v16
	s_and_saveexec_b64 s[0:1], vcc
	s_cbranch_execz .LBB91_93
.LBB91_92:
	ds_read_u8 v26, v13 offset:8196
	ds_read_u8 v27, v13 offset:8192
	ds_write_b64 v14, v[4:5]
	ds_write_b64 v15, v[2:3] offset:32
	s_waitcnt lgkmcnt(3)
	ds_write_b8 v13, v26 offset:8192
	s_waitcnt lgkmcnt(3)
	ds_write_b8 v13, v27 offset:8196
.LBB91_93:
	s_or_b64 exec, exec, s[0:1]
	s_waitcnt lgkmcnt(0)
	s_barrier
	ds_read_b64 v[2:3], v11
	ds_read_b64 v[4:5], v12 offset:16
                                        ; implicit-def: $sgpr6
	s_waitcnt lgkmcnt(0)
	v_cmp_nlt_f64_e64 s[0:1], v[2:3], v[4:5]
	v_cmp_lt_f64_e32 vcc, v[2:3], v[4:5]
	s_and_saveexec_b64 s[2:3], vcc
	s_cbranch_execnz .LBB91_335
; %bb.94:
	s_or_b64 exec, exec, s[2:3]
	v_mov_b32_e32 v26, s6
	s_and_saveexec_b64 s[2:3], s[0:1]
	s_cbranch_execnz .LBB91_336
.LBB91_95:
	s_or_b64 exec, exec, s[2:3]
	v_cmp_eq_u32_e32 vcc, v26, v16
	s_and_saveexec_b64 s[0:1], vcc
	s_cbranch_execz .LBB91_97
.LBB91_96:
	ds_read_u8 v26, v10 offset:8194
	ds_read_u8 v27, v10 offset:8192
	ds_write_b64 v11, v[4:5]
	ds_write_b64 v12, v[2:3] offset:16
	s_waitcnt lgkmcnt(3)
	ds_write_b8 v10, v26 offset:8192
	s_waitcnt lgkmcnt(3)
	ds_write_b8 v10, v27 offset:8194
.LBB91_97:
	s_or_b64 exec, exec, s[0:1]
	s_waitcnt lgkmcnt(0)
	s_barrier
	ds_read2_b64 v[2:5], v1 offset1:1
                                        ; implicit-def: $sgpr6
	s_waitcnt lgkmcnt(0)
	v_cmp_nlt_f64_e64 s[0:1], v[2:3], v[4:5]
	v_cmp_lt_f64_e32 vcc, v[2:3], v[4:5]
	s_and_saveexec_b64 s[2:3], vcc
	s_cbranch_execnz .LBB91_337
; %bb.98:
	s_or_b64 exec, exec, s[2:3]
	v_mov_b32_e32 v26, s6
	s_and_saveexec_b64 s[2:3], s[0:1]
	s_cbranch_execnz .LBB91_338
.LBB91_99:
	s_or_b64 exec, exec, s[2:3]
	v_cmp_eq_u32_e32 vcc, v26, v16
	s_and_saveexec_b64 s[0:1], vcc
	s_cbranch_execz .LBB91_101
.LBB91_100:
	ds_read_u8 v16, v8 offset:8193
	ds_read_u8 v26, v7 offset:8192
	ds_write_b64 v1, v[4:5]
	v_add_u32_e32 v4, v7, v9
	ds_write_b64 v4, v[2:3] offset:8
	s_waitcnt lgkmcnt(3)
	ds_write_b8 v7, v16 offset:8192
	s_waitcnt lgkmcnt(3)
	ds_write_b8 v8, v26 offset:8193
.LBB91_101:
	s_or_b64 exec, exec, s[0:1]
	v_and_b32_e32 v16, 63, v0
	v_sub_u32_e32 v28, v6, v16
	v_add_u32_e32 v26, 8, v28
	v_lshl_add_u32 v27, v28, 3, 8
	v_mad_i32_i24 v4, v28, 7, v26
	s_waitcnt lgkmcnt(0)
	s_barrier
	ds_read_b64 v[2:3], v27
	ds_read_b64 v[4:5], v4 offset:512
                                        ; implicit-def: $sgpr6
	s_waitcnt lgkmcnt(0)
	v_cmp_nlt_f64_e64 s[0:1], v[2:3], v[4:5]
	v_cmp_lt_f64_e32 vcc, v[2:3], v[4:5]
	s_and_saveexec_b64 s[2:3], vcc
	s_cbranch_execz .LBB91_103
; %bb.102:
	ds_read_u8 v29, v26 offset:8192
	s_andn2_b64 s[0:1], s[0:1], exec
	s_mov_b32 s6, 1
	s_waitcnt lgkmcnt(0)
	v_and_b32_e32 v29, 1, v29
	v_cmp_eq_u32_e32 vcc, 1, v29
	s_xor_b64 s[8:9], vcc, -1
	s_and_b64 s[8:9], s[8:9], exec
	s_or_b64 s[0:1], s[0:1], s[8:9]
.LBB91_103:
	s_or_b64 exec, exec, s[2:3]
	v_mul_i32_i24_e32 v28, 7, v28
	v_mov_b32_e32 v30, s6
	s_and_saveexec_b64 s[2:3], s[0:1]
	s_cbranch_execz .LBB91_105
; %bb.104:
	ds_read_u8 v29, v26 offset:8256
	s_waitcnt lgkmcnt(0)
	v_xor_b32_e32 v30, 1, v29
.LBB91_105:
	s_or_b64 exec, exec, s[2:3]
	v_bfe_u32 v29, v0, 6, 1
	v_cmp_eq_u32_e32 vcc, v30, v29
	v_add_u32_e32 v28, v26, v28
	s_and_saveexec_b64 s[0:1], vcc
	s_cbranch_execz .LBB91_107
; %bb.106:
	ds_read_u8 v30, v26 offset:8256
	ds_read_u8 v31, v26 offset:8192
	ds_write_b64 v27, v[4:5]
	ds_write_b64 v28, v[2:3] offset:512
	s_waitcnt lgkmcnt(3)
	ds_write_b8 v26, v30 offset:8192
	s_waitcnt lgkmcnt(3)
	ds_write_b8 v26, v31 offset:8256
.LBB91_107:
	s_or_b64 exec, exec, s[0:1]
	s_waitcnt lgkmcnt(0)
	s_barrier
	ds_read_b64 v[2:3], v24
	ds_read_b64 v[4:5], v25 offset:256
                                        ; implicit-def: $sgpr6
	s_waitcnt lgkmcnt(0)
	v_cmp_nlt_f64_e64 s[0:1], v[2:3], v[4:5]
	v_cmp_lt_f64_e32 vcc, v[2:3], v[4:5]
	s_and_saveexec_b64 s[2:3], vcc
	s_cbranch_execnz .LBB91_339
; %bb.108:
	s_or_b64 exec, exec, s[2:3]
	v_mov_b32_e32 v30, s6
	s_and_saveexec_b64 s[2:3], s[0:1]
	s_cbranch_execnz .LBB91_340
.LBB91_109:
	s_or_b64 exec, exec, s[2:3]
	v_cmp_eq_u32_e32 vcc, v30, v29
	s_and_saveexec_b64 s[0:1], vcc
	s_cbranch_execz .LBB91_111
.LBB91_110:
	ds_read_u8 v30, v23 offset:8224
	ds_read_u8 v31, v23 offset:8192
	ds_write_b64 v24, v[4:5]
	ds_write_b64 v25, v[2:3] offset:256
	s_waitcnt lgkmcnt(3)
	ds_write_b8 v23, v30 offset:8192
	s_waitcnt lgkmcnt(3)
	ds_write_b8 v23, v31 offset:8224
.LBB91_111:
	s_or_b64 exec, exec, s[0:1]
	s_waitcnt lgkmcnt(0)
	s_barrier
	ds_read_b64 v[2:3], v21
	ds_read_b64 v[4:5], v22 offset:128
                                        ; implicit-def: $sgpr6
	s_waitcnt lgkmcnt(0)
	v_cmp_nlt_f64_e64 s[0:1], v[2:3], v[4:5]
	v_cmp_lt_f64_e32 vcc, v[2:3], v[4:5]
	s_and_saveexec_b64 s[2:3], vcc
	s_cbranch_execnz .LBB91_341
; %bb.112:
	s_or_b64 exec, exec, s[2:3]
	v_mov_b32_e32 v30, s6
	s_and_saveexec_b64 s[2:3], s[0:1]
	s_cbranch_execnz .LBB91_342
.LBB91_113:
	s_or_b64 exec, exec, s[2:3]
	v_cmp_eq_u32_e32 vcc, v30, v29
	s_and_saveexec_b64 s[0:1], vcc
	s_cbranch_execz .LBB91_115
.LBB91_114:
	ds_read_u8 v30, v20 offset:8208
	ds_read_u8 v31, v20 offset:8192
	ds_write_b64 v21, v[4:5]
	ds_write_b64 v22, v[2:3] offset:128
	s_waitcnt lgkmcnt(3)
	ds_write_b8 v20, v30 offset:8192
	s_waitcnt lgkmcnt(3)
	ds_write_b8 v20, v31 offset:8208
.LBB91_115:
	s_or_b64 exec, exec, s[0:1]
	s_waitcnt lgkmcnt(0)
	s_barrier
	ds_read_b64 v[2:3], v18
	ds_read_b64 v[4:5], v19 offset:64
                                        ; implicit-def: $sgpr6
	s_waitcnt lgkmcnt(0)
	v_cmp_nlt_f64_e64 s[0:1], v[2:3], v[4:5]
	v_cmp_lt_f64_e32 vcc, v[2:3], v[4:5]
	s_and_saveexec_b64 s[2:3], vcc
	s_cbranch_execnz .LBB91_343
; %bb.116:
	s_or_b64 exec, exec, s[2:3]
	v_mov_b32_e32 v30, s6
	s_and_saveexec_b64 s[2:3], s[0:1]
	s_cbranch_execnz .LBB91_344
.LBB91_117:
	s_or_b64 exec, exec, s[2:3]
	v_cmp_eq_u32_e32 vcc, v30, v29
	s_and_saveexec_b64 s[0:1], vcc
	s_cbranch_execz .LBB91_119
.LBB91_118:
	ds_read_u8 v30, v17 offset:8200
	ds_read_u8 v31, v17 offset:8192
	ds_write_b64 v18, v[4:5]
	ds_write_b64 v19, v[2:3] offset:64
	s_waitcnt lgkmcnt(3)
	ds_write_b8 v17, v30 offset:8192
	s_waitcnt lgkmcnt(3)
	ds_write_b8 v17, v31 offset:8200
.LBB91_119:
	s_or_b64 exec, exec, s[0:1]
	s_waitcnt lgkmcnt(0)
	s_barrier
	ds_read_b64 v[2:3], v14
	ds_read_b64 v[4:5], v15 offset:32
                                        ; implicit-def: $sgpr6
	s_waitcnt lgkmcnt(0)
	v_cmp_nlt_f64_e64 s[0:1], v[2:3], v[4:5]
	v_cmp_lt_f64_e32 vcc, v[2:3], v[4:5]
	s_and_saveexec_b64 s[2:3], vcc
	s_cbranch_execnz .LBB91_345
; %bb.120:
	s_or_b64 exec, exec, s[2:3]
	v_mov_b32_e32 v30, s6
	s_and_saveexec_b64 s[2:3], s[0:1]
	s_cbranch_execnz .LBB91_346
.LBB91_121:
	s_or_b64 exec, exec, s[2:3]
	v_cmp_eq_u32_e32 vcc, v30, v29
	s_and_saveexec_b64 s[0:1], vcc
	s_cbranch_execz .LBB91_123
.LBB91_122:
	ds_read_u8 v30, v13 offset:8196
	ds_read_u8 v31, v13 offset:8192
	ds_write_b64 v14, v[4:5]
	ds_write_b64 v15, v[2:3] offset:32
	s_waitcnt lgkmcnt(3)
	ds_write_b8 v13, v30 offset:8192
	s_waitcnt lgkmcnt(3)
	ds_write_b8 v13, v31 offset:8196
.LBB91_123:
	s_or_b64 exec, exec, s[0:1]
	s_waitcnt lgkmcnt(0)
	s_barrier
	ds_read_b64 v[2:3], v11
	ds_read_b64 v[4:5], v12 offset:16
                                        ; implicit-def: $sgpr6
	s_waitcnt lgkmcnt(0)
	v_cmp_nlt_f64_e64 s[0:1], v[2:3], v[4:5]
	v_cmp_lt_f64_e32 vcc, v[2:3], v[4:5]
	s_and_saveexec_b64 s[2:3], vcc
	s_cbranch_execnz .LBB91_347
; %bb.124:
	s_or_b64 exec, exec, s[2:3]
	v_mov_b32_e32 v30, s6
	s_and_saveexec_b64 s[2:3], s[0:1]
	s_cbranch_execnz .LBB91_348
.LBB91_125:
	s_or_b64 exec, exec, s[2:3]
	v_cmp_eq_u32_e32 vcc, v30, v29
	s_and_saveexec_b64 s[0:1], vcc
	s_cbranch_execz .LBB91_127
.LBB91_126:
	ds_read_u8 v30, v10 offset:8194
	ds_read_u8 v31, v10 offset:8192
	ds_write_b64 v11, v[4:5]
	ds_write_b64 v12, v[2:3] offset:16
	s_waitcnt lgkmcnt(3)
	ds_write_b8 v10, v30 offset:8192
	s_waitcnt lgkmcnt(3)
	ds_write_b8 v10, v31 offset:8194
.LBB91_127:
	s_or_b64 exec, exec, s[0:1]
	s_waitcnt lgkmcnt(0)
	s_barrier
	ds_read2_b64 v[2:5], v1 offset1:1
                                        ; implicit-def: $sgpr6
	s_waitcnt lgkmcnt(0)
	v_cmp_nlt_f64_e64 s[0:1], v[2:3], v[4:5]
	v_cmp_lt_f64_e32 vcc, v[2:3], v[4:5]
	s_and_saveexec_b64 s[2:3], vcc
	s_cbranch_execnz .LBB91_349
; %bb.128:
	s_or_b64 exec, exec, s[2:3]
	v_mov_b32_e32 v30, s6
	s_and_saveexec_b64 s[2:3], s[0:1]
	s_cbranch_execnz .LBB91_350
.LBB91_129:
	s_or_b64 exec, exec, s[2:3]
	v_cmp_eq_u32_e32 vcc, v30, v29
	s_and_saveexec_b64 s[0:1], vcc
	s_cbranch_execz .LBB91_131
.LBB91_130:
	ds_read_u8 v29, v8 offset:8193
	ds_read_u8 v30, v7 offset:8192
	ds_write_b64 v1, v[4:5]
	v_add_u32_e32 v4, v7, v9
	ds_write_b64 v4, v[2:3] offset:8
	s_waitcnt lgkmcnt(3)
	ds_write_b8 v7, v29 offset:8192
	s_waitcnt lgkmcnt(3)
	ds_write_b8 v8, v30 offset:8193
.LBB91_131:
	s_or_b64 exec, exec, s[0:1]
	v_and_b32_e32 v2, 0x7f, v0
	v_sub_u32_e32 v31, v6, v2
	v_add_u32_e32 v29, 8, v31
	v_lshl_add_u32 v30, v31, 3, 8
	v_mad_i32_i24 v4, v31, 7, v29
	s_waitcnt lgkmcnt(0)
	s_barrier
	ds_read_b64 v[2:3], v30
	ds_read_b64 v[4:5], v4 offset:1024
                                        ; implicit-def: $sgpr6
	s_waitcnt lgkmcnt(0)
	v_cmp_nlt_f64_e64 s[0:1], v[2:3], v[4:5]
	v_cmp_lt_f64_e32 vcc, v[2:3], v[4:5]
	s_and_saveexec_b64 s[2:3], vcc
	s_cbranch_execz .LBB91_133
; %bb.132:
	ds_read_u8 v32, v29 offset:8192
	s_andn2_b64 s[0:1], s[0:1], exec
	s_mov_b32 s6, 1
	s_waitcnt lgkmcnt(0)
	v_and_b32_e32 v32, 1, v32
	v_cmp_eq_u32_e32 vcc, 1, v32
	s_xor_b64 s[8:9], vcc, -1
	s_and_b64 s[8:9], s[8:9], exec
	s_or_b64 s[0:1], s[0:1], s[8:9]
.LBB91_133:
	s_or_b64 exec, exec, s[2:3]
	v_mul_i32_i24_e32 v31, 7, v31
	v_mov_b32_e32 v33, s6
	s_and_saveexec_b64 s[2:3], s[0:1]
	s_cbranch_execz .LBB91_135
; %bb.134:
	ds_read_u8 v32, v29 offset:8320
	s_waitcnt lgkmcnt(0)
	v_xor_b32_e32 v33, 1, v32
.LBB91_135:
	s_or_b64 exec, exec, s[2:3]
	v_bfe_u32 v32, v0, 7, 1
	v_cmp_eq_u32_e32 vcc, v33, v32
	v_add_u32_e32 v31, v29, v31
	s_and_saveexec_b64 s[0:1], vcc
	s_cbranch_execz .LBB91_137
; %bb.136:
	ds_read_u8 v33, v29 offset:8320
	ds_read_u8 v34, v29 offset:8192
	ds_write_b64 v30, v[4:5]
	ds_write_b64 v31, v[2:3] offset:1024
	s_waitcnt lgkmcnt(3)
	ds_write_b8 v29, v33 offset:8192
	s_waitcnt lgkmcnt(3)
	ds_write_b8 v29, v34 offset:8320
.LBB91_137:
	s_or_b64 exec, exec, s[0:1]
	s_waitcnt lgkmcnt(0)
	s_barrier
	ds_read_b64 v[2:3], v27
	ds_read_b64 v[4:5], v28 offset:512
                                        ; implicit-def: $sgpr6
	s_waitcnt lgkmcnt(0)
	v_cmp_nlt_f64_e64 s[0:1], v[2:3], v[4:5]
	v_cmp_lt_f64_e32 vcc, v[2:3], v[4:5]
	s_and_saveexec_b64 s[2:3], vcc
	s_cbranch_execnz .LBB91_351
; %bb.138:
	s_or_b64 exec, exec, s[2:3]
	v_mov_b32_e32 v33, s6
	s_and_saveexec_b64 s[2:3], s[0:1]
	s_cbranch_execnz .LBB91_352
.LBB91_139:
	s_or_b64 exec, exec, s[2:3]
	v_cmp_eq_u32_e32 vcc, v33, v32
	s_and_saveexec_b64 s[0:1], vcc
	s_cbranch_execz .LBB91_141
.LBB91_140:
	ds_read_u8 v33, v26 offset:8256
	ds_read_u8 v34, v26 offset:8192
	ds_write_b64 v27, v[4:5]
	ds_write_b64 v28, v[2:3] offset:512
	s_waitcnt lgkmcnt(3)
	ds_write_b8 v26, v33 offset:8192
	s_waitcnt lgkmcnt(3)
	ds_write_b8 v26, v34 offset:8256
.LBB91_141:
	s_or_b64 exec, exec, s[0:1]
	s_waitcnt lgkmcnt(0)
	s_barrier
	ds_read_b64 v[2:3], v24
	ds_read_b64 v[4:5], v25 offset:256
                                        ; implicit-def: $sgpr6
	s_waitcnt lgkmcnt(0)
	v_cmp_nlt_f64_e64 s[0:1], v[2:3], v[4:5]
	v_cmp_lt_f64_e32 vcc, v[2:3], v[4:5]
	s_and_saveexec_b64 s[2:3], vcc
	s_cbranch_execnz .LBB91_353
; %bb.142:
	s_or_b64 exec, exec, s[2:3]
	v_mov_b32_e32 v33, s6
	s_and_saveexec_b64 s[2:3], s[0:1]
	s_cbranch_execnz .LBB91_354
.LBB91_143:
	s_or_b64 exec, exec, s[2:3]
	v_cmp_eq_u32_e32 vcc, v33, v32
	s_and_saveexec_b64 s[0:1], vcc
	s_cbranch_execz .LBB91_145
.LBB91_144:
	ds_read_u8 v33, v23 offset:8224
	ds_read_u8 v34, v23 offset:8192
	ds_write_b64 v24, v[4:5]
	ds_write_b64 v25, v[2:3] offset:256
	s_waitcnt lgkmcnt(3)
	ds_write_b8 v23, v33 offset:8192
	s_waitcnt lgkmcnt(3)
	ds_write_b8 v23, v34 offset:8224
.LBB91_145:
	s_or_b64 exec, exec, s[0:1]
	s_waitcnt lgkmcnt(0)
	s_barrier
	ds_read_b64 v[2:3], v21
	ds_read_b64 v[4:5], v22 offset:128
                                        ; implicit-def: $sgpr6
	s_waitcnt lgkmcnt(0)
	v_cmp_nlt_f64_e64 s[0:1], v[2:3], v[4:5]
	v_cmp_lt_f64_e32 vcc, v[2:3], v[4:5]
	s_and_saveexec_b64 s[2:3], vcc
	s_cbranch_execnz .LBB91_355
; %bb.146:
	s_or_b64 exec, exec, s[2:3]
	v_mov_b32_e32 v33, s6
	s_and_saveexec_b64 s[2:3], s[0:1]
	s_cbranch_execnz .LBB91_356
.LBB91_147:
	s_or_b64 exec, exec, s[2:3]
	v_cmp_eq_u32_e32 vcc, v33, v32
	s_and_saveexec_b64 s[0:1], vcc
	s_cbranch_execz .LBB91_149
.LBB91_148:
	ds_read_u8 v33, v20 offset:8208
	ds_read_u8 v34, v20 offset:8192
	ds_write_b64 v21, v[4:5]
	ds_write_b64 v22, v[2:3] offset:128
	s_waitcnt lgkmcnt(3)
	ds_write_b8 v20, v33 offset:8192
	s_waitcnt lgkmcnt(3)
	ds_write_b8 v20, v34 offset:8208
.LBB91_149:
	s_or_b64 exec, exec, s[0:1]
	s_waitcnt lgkmcnt(0)
	s_barrier
	ds_read_b64 v[2:3], v18
	ds_read_b64 v[4:5], v19 offset:64
                                        ; implicit-def: $sgpr6
	s_waitcnt lgkmcnt(0)
	v_cmp_nlt_f64_e64 s[0:1], v[2:3], v[4:5]
	v_cmp_lt_f64_e32 vcc, v[2:3], v[4:5]
	s_and_saveexec_b64 s[2:3], vcc
	s_cbranch_execnz .LBB91_357
; %bb.150:
	s_or_b64 exec, exec, s[2:3]
	v_mov_b32_e32 v33, s6
	s_and_saveexec_b64 s[2:3], s[0:1]
	s_cbranch_execnz .LBB91_358
.LBB91_151:
	s_or_b64 exec, exec, s[2:3]
	v_cmp_eq_u32_e32 vcc, v33, v32
	s_and_saveexec_b64 s[0:1], vcc
	s_cbranch_execz .LBB91_153
.LBB91_152:
	ds_read_u8 v33, v17 offset:8200
	ds_read_u8 v34, v17 offset:8192
	ds_write_b64 v18, v[4:5]
	ds_write_b64 v19, v[2:3] offset:64
	s_waitcnt lgkmcnt(3)
	ds_write_b8 v17, v33 offset:8192
	s_waitcnt lgkmcnt(3)
	ds_write_b8 v17, v34 offset:8200
.LBB91_153:
	s_or_b64 exec, exec, s[0:1]
	s_waitcnt lgkmcnt(0)
	s_barrier
	ds_read_b64 v[2:3], v14
	ds_read_b64 v[4:5], v15 offset:32
                                        ; implicit-def: $sgpr6
	s_waitcnt lgkmcnt(0)
	v_cmp_nlt_f64_e64 s[0:1], v[2:3], v[4:5]
	v_cmp_lt_f64_e32 vcc, v[2:3], v[4:5]
	s_and_saveexec_b64 s[2:3], vcc
	s_cbranch_execnz .LBB91_359
; %bb.154:
	s_or_b64 exec, exec, s[2:3]
	v_mov_b32_e32 v33, s6
	s_and_saveexec_b64 s[2:3], s[0:1]
	s_cbranch_execnz .LBB91_360
.LBB91_155:
	s_or_b64 exec, exec, s[2:3]
	v_cmp_eq_u32_e32 vcc, v33, v32
	s_and_saveexec_b64 s[0:1], vcc
	s_cbranch_execz .LBB91_157
.LBB91_156:
	ds_read_u8 v33, v13 offset:8196
	ds_read_u8 v34, v13 offset:8192
	ds_write_b64 v14, v[4:5]
	ds_write_b64 v15, v[2:3] offset:32
	s_waitcnt lgkmcnt(3)
	ds_write_b8 v13, v33 offset:8192
	s_waitcnt lgkmcnt(3)
	ds_write_b8 v13, v34 offset:8196
.LBB91_157:
	s_or_b64 exec, exec, s[0:1]
	s_waitcnt lgkmcnt(0)
	s_barrier
	ds_read_b64 v[2:3], v11
	ds_read_b64 v[4:5], v12 offset:16
                                        ; implicit-def: $sgpr6
	s_waitcnt lgkmcnt(0)
	v_cmp_nlt_f64_e64 s[0:1], v[2:3], v[4:5]
	v_cmp_lt_f64_e32 vcc, v[2:3], v[4:5]
	s_and_saveexec_b64 s[2:3], vcc
	s_cbranch_execnz .LBB91_361
; %bb.158:
	s_or_b64 exec, exec, s[2:3]
	v_mov_b32_e32 v33, s6
	s_and_saveexec_b64 s[2:3], s[0:1]
	s_cbranch_execnz .LBB91_362
.LBB91_159:
	s_or_b64 exec, exec, s[2:3]
	v_cmp_eq_u32_e32 vcc, v33, v32
	s_and_saveexec_b64 s[0:1], vcc
	s_cbranch_execz .LBB91_161
.LBB91_160:
	ds_read_u8 v33, v10 offset:8194
	ds_read_u8 v34, v10 offset:8192
	ds_write_b64 v11, v[4:5]
	ds_write_b64 v12, v[2:3] offset:16
	s_waitcnt lgkmcnt(3)
	ds_write_b8 v10, v33 offset:8192
	s_waitcnt lgkmcnt(3)
	ds_write_b8 v10, v34 offset:8194
.LBB91_161:
	s_or_b64 exec, exec, s[0:1]
	s_waitcnt lgkmcnt(0)
	s_barrier
	ds_read2_b64 v[2:5], v1 offset1:1
                                        ; implicit-def: $sgpr6
	s_waitcnt lgkmcnt(0)
	v_cmp_nlt_f64_e64 s[0:1], v[2:3], v[4:5]
	v_cmp_lt_f64_e32 vcc, v[2:3], v[4:5]
	s_and_saveexec_b64 s[2:3], vcc
	s_cbranch_execnz .LBB91_363
; %bb.162:
	s_or_b64 exec, exec, s[2:3]
	v_mov_b32_e32 v33, s6
	s_and_saveexec_b64 s[2:3], s[0:1]
	s_cbranch_execnz .LBB91_364
.LBB91_163:
	s_or_b64 exec, exec, s[2:3]
	v_cmp_eq_u32_e32 vcc, v33, v32
	s_and_saveexec_b64 s[0:1], vcc
	s_cbranch_execz .LBB91_165
.LBB91_164:
	ds_read_u8 v32, v8 offset:8193
	ds_read_u8 v33, v7 offset:8192
	ds_write_b64 v1, v[4:5]
	v_add_u32_e32 v4, v7, v9
	ds_write_b64 v4, v[2:3] offset:8
	s_waitcnt lgkmcnt(3)
	ds_write_b8 v7, v32 offset:8192
	s_waitcnt lgkmcnt(3)
	ds_write_b8 v8, v33 offset:8193
.LBB91_165:
	s_or_b64 exec, exec, s[0:1]
	v_sub_u32_sdwa v34, v6, v0 dst_sel:DWORD dst_unused:UNUSED_PAD src0_sel:DWORD src1_sel:BYTE_0
	v_add_u32_e32 v32, 8, v34
	v_lshl_add_u32 v33, v34, 3, 8
	v_mad_i32_i24 v4, v34, 7, v32
	s_waitcnt lgkmcnt(0)
	s_barrier
	ds_read_b64 v[2:3], v33
	ds_read_b64 v[4:5], v4 offset:2048
                                        ; implicit-def: $sgpr6
	s_waitcnt lgkmcnt(0)
	v_cmp_nlt_f64_e64 s[0:1], v[2:3], v[4:5]
	v_cmp_lt_f64_e32 vcc, v[2:3], v[4:5]
	s_and_saveexec_b64 s[2:3], vcc
	s_cbranch_execz .LBB91_167
; %bb.166:
	ds_read_u8 v35, v32 offset:8192
	s_andn2_b64 s[0:1], s[0:1], exec
	s_mov_b32 s6, 1
	s_waitcnt lgkmcnt(0)
	v_and_b32_e32 v35, 1, v35
	v_cmp_eq_u32_e32 vcc, 1, v35
	s_xor_b64 s[8:9], vcc, -1
	s_and_b64 s[8:9], s[8:9], exec
	s_or_b64 s[0:1], s[0:1], s[8:9]
.LBB91_167:
	s_or_b64 exec, exec, s[2:3]
	v_mul_i32_i24_e32 v34, 7, v34
	v_mov_b32_e32 v36, s6
	s_and_saveexec_b64 s[2:3], s[0:1]
	s_cbranch_execz .LBB91_169
; %bb.168:
	ds_read_u8 v35, v32 offset:8448
	s_waitcnt lgkmcnt(0)
	v_xor_b32_e32 v36, 1, v35
.LBB91_169:
	s_or_b64 exec, exec, s[2:3]
	v_bfe_u32 v35, v0, 8, 1
	v_cmp_eq_u32_e32 vcc, v36, v35
	v_add_u32_e32 v34, v32, v34
	s_and_saveexec_b64 s[0:1], vcc
	s_cbranch_execz .LBB91_171
; %bb.170:
	ds_read_u8 v36, v32 offset:8448
	ds_read_u8 v37, v32 offset:8192
	ds_write_b64 v33, v[4:5]
	ds_write_b64 v34, v[2:3] offset:2048
	s_waitcnt lgkmcnt(3)
	ds_write_b8 v32, v36 offset:8192
	s_waitcnt lgkmcnt(3)
	ds_write_b8 v32, v37 offset:8448
.LBB91_171:
	s_or_b64 exec, exec, s[0:1]
	s_waitcnt lgkmcnt(0)
	s_barrier
	ds_read_b64 v[2:3], v30
	ds_read_b64 v[4:5], v31 offset:1024
                                        ; implicit-def: $sgpr6
	s_waitcnt lgkmcnt(0)
	v_cmp_nlt_f64_e64 s[0:1], v[2:3], v[4:5]
	v_cmp_lt_f64_e32 vcc, v[2:3], v[4:5]
	s_and_saveexec_b64 s[2:3], vcc
	s_cbranch_execnz .LBB91_365
; %bb.172:
	s_or_b64 exec, exec, s[2:3]
	v_mov_b32_e32 v36, s6
	s_and_saveexec_b64 s[2:3], s[0:1]
	s_cbranch_execnz .LBB91_366
.LBB91_173:
	s_or_b64 exec, exec, s[2:3]
	v_cmp_eq_u32_e32 vcc, v36, v35
	s_and_saveexec_b64 s[0:1], vcc
	s_cbranch_execz .LBB91_175
.LBB91_174:
	ds_read_u8 v36, v29 offset:8320
	ds_read_u8 v37, v29 offset:8192
	ds_write_b64 v30, v[4:5]
	ds_write_b64 v31, v[2:3] offset:1024
	s_waitcnt lgkmcnt(3)
	ds_write_b8 v29, v36 offset:8192
	s_waitcnt lgkmcnt(3)
	ds_write_b8 v29, v37 offset:8320
.LBB91_175:
	s_or_b64 exec, exec, s[0:1]
	s_waitcnt lgkmcnt(0)
	s_barrier
	ds_read_b64 v[2:3], v27
	ds_read_b64 v[4:5], v28 offset:512
                                        ; implicit-def: $sgpr6
	s_waitcnt lgkmcnt(0)
	v_cmp_nlt_f64_e64 s[0:1], v[2:3], v[4:5]
	v_cmp_lt_f64_e32 vcc, v[2:3], v[4:5]
	s_and_saveexec_b64 s[2:3], vcc
	s_cbranch_execnz .LBB91_367
; %bb.176:
	s_or_b64 exec, exec, s[2:3]
	v_mov_b32_e32 v36, s6
	s_and_saveexec_b64 s[2:3], s[0:1]
	s_cbranch_execnz .LBB91_368
.LBB91_177:
	s_or_b64 exec, exec, s[2:3]
	v_cmp_eq_u32_e32 vcc, v36, v35
	s_and_saveexec_b64 s[0:1], vcc
	s_cbranch_execz .LBB91_179
.LBB91_178:
	ds_read_u8 v36, v26 offset:8256
	ds_read_u8 v37, v26 offset:8192
	ds_write_b64 v27, v[4:5]
	ds_write_b64 v28, v[2:3] offset:512
	s_waitcnt lgkmcnt(3)
	ds_write_b8 v26, v36 offset:8192
	s_waitcnt lgkmcnt(3)
	ds_write_b8 v26, v37 offset:8256
.LBB91_179:
	s_or_b64 exec, exec, s[0:1]
	s_waitcnt lgkmcnt(0)
	s_barrier
	ds_read_b64 v[2:3], v24
	ds_read_b64 v[4:5], v25 offset:256
                                        ; implicit-def: $sgpr6
	s_waitcnt lgkmcnt(0)
	v_cmp_nlt_f64_e64 s[0:1], v[2:3], v[4:5]
	v_cmp_lt_f64_e32 vcc, v[2:3], v[4:5]
	s_and_saveexec_b64 s[2:3], vcc
	s_cbranch_execnz .LBB91_369
; %bb.180:
	s_or_b64 exec, exec, s[2:3]
	v_mov_b32_e32 v36, s6
	s_and_saveexec_b64 s[2:3], s[0:1]
	s_cbranch_execnz .LBB91_370
.LBB91_181:
	s_or_b64 exec, exec, s[2:3]
	v_cmp_eq_u32_e32 vcc, v36, v35
	s_and_saveexec_b64 s[0:1], vcc
	s_cbranch_execz .LBB91_183
.LBB91_182:
	ds_read_u8 v36, v23 offset:8224
	ds_read_u8 v37, v23 offset:8192
	ds_write_b64 v24, v[4:5]
	ds_write_b64 v25, v[2:3] offset:256
	s_waitcnt lgkmcnt(3)
	ds_write_b8 v23, v36 offset:8192
	s_waitcnt lgkmcnt(3)
	ds_write_b8 v23, v37 offset:8224
.LBB91_183:
	s_or_b64 exec, exec, s[0:1]
	s_waitcnt lgkmcnt(0)
	s_barrier
	ds_read_b64 v[2:3], v21
	ds_read_b64 v[4:5], v22 offset:128
                                        ; implicit-def: $sgpr6
	s_waitcnt lgkmcnt(0)
	v_cmp_nlt_f64_e64 s[0:1], v[2:3], v[4:5]
	v_cmp_lt_f64_e32 vcc, v[2:3], v[4:5]
	s_and_saveexec_b64 s[2:3], vcc
	s_cbranch_execnz .LBB91_371
; %bb.184:
	s_or_b64 exec, exec, s[2:3]
	v_mov_b32_e32 v36, s6
	s_and_saveexec_b64 s[2:3], s[0:1]
	s_cbranch_execnz .LBB91_372
.LBB91_185:
	s_or_b64 exec, exec, s[2:3]
	v_cmp_eq_u32_e32 vcc, v36, v35
	s_and_saveexec_b64 s[0:1], vcc
	s_cbranch_execz .LBB91_187
.LBB91_186:
	ds_read_u8 v36, v20 offset:8208
	ds_read_u8 v37, v20 offset:8192
	ds_write_b64 v21, v[4:5]
	ds_write_b64 v22, v[2:3] offset:128
	s_waitcnt lgkmcnt(3)
	ds_write_b8 v20, v36 offset:8192
	s_waitcnt lgkmcnt(3)
	ds_write_b8 v20, v37 offset:8208
.LBB91_187:
	s_or_b64 exec, exec, s[0:1]
	s_waitcnt lgkmcnt(0)
	s_barrier
	ds_read_b64 v[2:3], v18
	ds_read_b64 v[4:5], v19 offset:64
                                        ; implicit-def: $sgpr6
	s_waitcnt lgkmcnt(0)
	v_cmp_nlt_f64_e64 s[0:1], v[2:3], v[4:5]
	v_cmp_lt_f64_e32 vcc, v[2:3], v[4:5]
	s_and_saveexec_b64 s[2:3], vcc
	s_cbranch_execnz .LBB91_373
; %bb.188:
	s_or_b64 exec, exec, s[2:3]
	v_mov_b32_e32 v36, s6
	s_and_saveexec_b64 s[2:3], s[0:1]
	s_cbranch_execnz .LBB91_374
.LBB91_189:
	s_or_b64 exec, exec, s[2:3]
	v_cmp_eq_u32_e32 vcc, v36, v35
	s_and_saveexec_b64 s[0:1], vcc
	s_cbranch_execz .LBB91_191
.LBB91_190:
	ds_read_u8 v36, v17 offset:8200
	ds_read_u8 v37, v17 offset:8192
	ds_write_b64 v18, v[4:5]
	ds_write_b64 v19, v[2:3] offset:64
	s_waitcnt lgkmcnt(3)
	ds_write_b8 v17, v36 offset:8192
	s_waitcnt lgkmcnt(3)
	ds_write_b8 v17, v37 offset:8200
.LBB91_191:
	s_or_b64 exec, exec, s[0:1]
	s_waitcnt lgkmcnt(0)
	s_barrier
	ds_read_b64 v[2:3], v14
	ds_read_b64 v[4:5], v15 offset:32
                                        ; implicit-def: $sgpr6
	s_waitcnt lgkmcnt(0)
	v_cmp_nlt_f64_e64 s[0:1], v[2:3], v[4:5]
	v_cmp_lt_f64_e32 vcc, v[2:3], v[4:5]
	s_and_saveexec_b64 s[2:3], vcc
	s_cbranch_execnz .LBB91_375
; %bb.192:
	s_or_b64 exec, exec, s[2:3]
	v_mov_b32_e32 v36, s6
	s_and_saveexec_b64 s[2:3], s[0:1]
	s_cbranch_execnz .LBB91_376
.LBB91_193:
	s_or_b64 exec, exec, s[2:3]
	v_cmp_eq_u32_e32 vcc, v36, v35
	s_and_saveexec_b64 s[0:1], vcc
	s_cbranch_execz .LBB91_195
.LBB91_194:
	ds_read_u8 v36, v13 offset:8196
	ds_read_u8 v37, v13 offset:8192
	ds_write_b64 v14, v[4:5]
	ds_write_b64 v15, v[2:3] offset:32
	s_waitcnt lgkmcnt(3)
	ds_write_b8 v13, v36 offset:8192
	s_waitcnt lgkmcnt(3)
	ds_write_b8 v13, v37 offset:8196
.LBB91_195:
	s_or_b64 exec, exec, s[0:1]
	s_waitcnt lgkmcnt(0)
	s_barrier
	ds_read_b64 v[2:3], v11
	ds_read_b64 v[4:5], v12 offset:16
                                        ; implicit-def: $sgpr6
	s_waitcnt lgkmcnt(0)
	v_cmp_nlt_f64_e64 s[0:1], v[2:3], v[4:5]
	v_cmp_lt_f64_e32 vcc, v[2:3], v[4:5]
	s_and_saveexec_b64 s[2:3], vcc
	s_cbranch_execnz .LBB91_377
; %bb.196:
	s_or_b64 exec, exec, s[2:3]
	v_mov_b32_e32 v36, s6
	s_and_saveexec_b64 s[2:3], s[0:1]
	s_cbranch_execnz .LBB91_378
.LBB91_197:
	s_or_b64 exec, exec, s[2:3]
	v_cmp_eq_u32_e32 vcc, v36, v35
	s_and_saveexec_b64 s[0:1], vcc
	s_cbranch_execz .LBB91_199
.LBB91_198:
	ds_read_u8 v36, v10 offset:8194
	ds_read_u8 v37, v10 offset:8192
	ds_write_b64 v11, v[4:5]
	ds_write_b64 v12, v[2:3] offset:16
	s_waitcnt lgkmcnt(3)
	ds_write_b8 v10, v36 offset:8192
	s_waitcnt lgkmcnt(3)
	ds_write_b8 v10, v37 offset:8194
.LBB91_199:
	s_or_b64 exec, exec, s[0:1]
	s_waitcnt lgkmcnt(0)
	s_barrier
	ds_read2_b64 v[2:5], v1 offset1:1
                                        ; implicit-def: $sgpr6
	s_waitcnt lgkmcnt(0)
	v_cmp_nlt_f64_e64 s[0:1], v[2:3], v[4:5]
	v_cmp_lt_f64_e32 vcc, v[2:3], v[4:5]
	s_and_saveexec_b64 s[2:3], vcc
	s_cbranch_execnz .LBB91_379
; %bb.200:
	s_or_b64 exec, exec, s[2:3]
	v_mov_b32_e32 v36, s6
	s_and_saveexec_b64 s[2:3], s[0:1]
	s_cbranch_execnz .LBB91_380
.LBB91_201:
	s_or_b64 exec, exec, s[2:3]
	v_cmp_eq_u32_e32 vcc, v36, v35
	s_and_saveexec_b64 s[0:1], vcc
	s_cbranch_execz .LBB91_203
.LBB91_202:
	ds_read_u8 v35, v8 offset:8193
	ds_read_u8 v36, v7 offset:8192
	ds_write_b64 v1, v[4:5]
	v_add_u32_e32 v4, v7, v9
	ds_write_b64 v4, v[2:3] offset:8
	s_waitcnt lgkmcnt(3)
	ds_write_b8 v7, v35 offset:8192
	s_waitcnt lgkmcnt(3)
	ds_write_b8 v8, v36 offset:8193
.LBB91_203:
	s_or_b64 exec, exec, s[0:1]
	v_and_b32_e32 v2, 0x1ff, v0
	v_sub_u32_e32 v36, v6, v2
	v_add_u32_e32 v35, 8, v36
	v_lshl_add_u32 v37, v36, 3, 8
	v_mad_i32_i24 v4, v36, 7, v35
	s_waitcnt lgkmcnt(0)
	s_barrier
	ds_read_b64 v[2:3], v37
	ds_read_b64 v[4:5], v4 offset:4096
                                        ; implicit-def: $sgpr6
	s_waitcnt lgkmcnt(0)
	v_cmp_nlt_f64_e64 s[0:1], v[2:3], v[4:5]
	v_cmp_lt_f64_e32 vcc, v[2:3], v[4:5]
	s_and_saveexec_b64 s[2:3], vcc
	s_cbranch_execnz .LBB91_381
; %bb.204:
	s_or_b64 exec, exec, s[2:3]
	v_mov_b32_e32 v38, s6
	s_and_saveexec_b64 s[2:3], s[0:1]
	s_cbranch_execnz .LBB91_382
.LBB91_205:
	s_or_b64 exec, exec, s[2:3]
	v_cmp_eq_u32_e32 vcc, 0, v38
	s_and_saveexec_b64 s[0:1], vcc
	s_cbranch_execz .LBB91_207
.LBB91_206:
	ds_read_u8 v38, v35 offset:8192
	ds_read_u8 v39, v35 offset:8704
	v_mul_i32_i24_e32 v36, 7, v36
	ds_write_b64 v37, v[4:5]
	v_add_u32_e32 v4, v35, v36
	ds_write_b64 v4, v[2:3] offset:4096
	s_waitcnt lgkmcnt(2)
	ds_write_b8 v35, v39 offset:8192
	ds_write_b8 v35, v38 offset:8704
.LBB91_207:
	s_or_b64 exec, exec, s[0:1]
	s_waitcnt lgkmcnt(0)
	s_barrier
	ds_read_b64 v[2:3], v33
	ds_read_b64 v[4:5], v34 offset:2048
                                        ; implicit-def: $sgpr6
	s_waitcnt lgkmcnt(0)
	v_cmp_nlt_f64_e64 s[0:1], v[2:3], v[4:5]
	v_cmp_lt_f64_e32 vcc, v[2:3], v[4:5]
	s_and_saveexec_b64 s[2:3], vcc
	s_cbranch_execnz .LBB91_383
; %bb.208:
	s_or_b64 exec, exec, s[2:3]
	v_mov_b32_e32 v35, s6
	s_and_saveexec_b64 s[2:3], s[0:1]
	s_cbranch_execnz .LBB91_384
.LBB91_209:
	s_or_b64 exec, exec, s[2:3]
	v_cmp_eq_u32_e32 vcc, 0, v35
	s_and_saveexec_b64 s[0:1], vcc
	s_cbranch_execz .LBB91_211
.LBB91_210:
	ds_read_u8 v35, v32 offset:8448
	ds_read_u8 v36, v32 offset:8192
	ds_write_b64 v33, v[4:5]
	ds_write_b64 v34, v[2:3] offset:2048
	s_waitcnt lgkmcnt(3)
	ds_write_b8 v32, v35 offset:8192
	s_waitcnt lgkmcnt(3)
	ds_write_b8 v32, v36 offset:8448
.LBB91_211:
	s_or_b64 exec, exec, s[0:1]
	s_waitcnt lgkmcnt(0)
	s_barrier
	ds_read_b64 v[2:3], v30
	ds_read_b64 v[4:5], v31 offset:1024
                                        ; implicit-def: $sgpr6
	s_waitcnt lgkmcnt(0)
	v_cmp_nlt_f64_e64 s[0:1], v[2:3], v[4:5]
	v_cmp_lt_f64_e32 vcc, v[2:3], v[4:5]
	s_and_saveexec_b64 s[2:3], vcc
	s_cbranch_execnz .LBB91_385
; %bb.212:
	s_or_b64 exec, exec, s[2:3]
	v_mov_b32_e32 v32, s6
	s_and_saveexec_b64 s[2:3], s[0:1]
	s_cbranch_execnz .LBB91_386
.LBB91_213:
	s_or_b64 exec, exec, s[2:3]
	v_cmp_eq_u32_e32 vcc, 0, v32
	s_and_saveexec_b64 s[0:1], vcc
	s_cbranch_execz .LBB91_215
.LBB91_214:
	ds_read_u8 v32, v29 offset:8320
	ds_read_u8 v33, v29 offset:8192
	ds_write_b64 v30, v[4:5]
	ds_write_b64 v31, v[2:3] offset:1024
	s_waitcnt lgkmcnt(3)
	ds_write_b8 v29, v32 offset:8192
	s_waitcnt lgkmcnt(3)
	ds_write_b8 v29, v33 offset:8320
.LBB91_215:
	s_or_b64 exec, exec, s[0:1]
	s_waitcnt lgkmcnt(0)
	s_barrier
	ds_read_b64 v[2:3], v27
	ds_read_b64 v[4:5], v28 offset:512
	s_waitcnt lgkmcnt(0)
	v_cmp_nlt_f64_e64 s[2:3], v[2:3], v[4:5]
	v_cmp_lt_f64_e32 vcc, v[2:3], v[4:5]
	s_and_saveexec_b64 s[0:1], vcc
	s_cbranch_execz .LBB91_217
; %bb.216:
	ds_read_u8 v29, v26 offset:8192
	s_andn2_b64 s[2:3], s[2:3], exec
	s_waitcnt lgkmcnt(0)
	v_and_b32_e32 v29, 1, v29
	v_cmp_eq_u32_e32 vcc, 1, v29
	s_xor_b64 s[6:7], vcc, -1
	s_and_b64 s[6:7], s[6:7], exec
	s_or_b64 s[2:3], s[2:3], s[6:7]
.LBB91_217:
	s_or_b64 exec, exec, s[0:1]
	s_and_saveexec_b64 s[0:1], s[2:3]
	s_cbranch_execz .LBB91_220
; %bb.218:
	ds_read_u8 v29, v26 offset:8256
	s_waitcnt lgkmcnt(0)
	v_cmp_ne_u16_e32 vcc, 0, v29
	s_and_b64 exec, exec, vcc
	s_cbranch_execz .LBB91_220
; %bb.219:
	ds_read_u8 v30, v26 offset:8192
	ds_write_b64 v27, v[4:5]
	ds_write_b64 v28, v[2:3] offset:512
	ds_write_b8 v26, v29 offset:8192
	s_waitcnt lgkmcnt(3)
	ds_write_b8 v26, v30 offset:8256
.LBB91_220:
	s_or_b64 exec, exec, s[0:1]
	s_waitcnt lgkmcnt(0)
	s_barrier
	ds_read_b64 v[2:3], v24
	ds_read_b64 v[4:5], v25 offset:256
	s_waitcnt lgkmcnt(0)
	v_cmp_nlt_f64_e64 s[2:3], v[2:3], v[4:5]
	v_cmp_lt_f64_e32 vcc, v[2:3], v[4:5]
	s_and_saveexec_b64 s[0:1], vcc
	s_cbranch_execz .LBB91_222
; %bb.221:
	ds_read_u8 v26, v23 offset:8192
	s_andn2_b64 s[2:3], s[2:3], exec
	s_waitcnt lgkmcnt(0)
	v_and_b32_e32 v26, 1, v26
	v_cmp_eq_u32_e32 vcc, 1, v26
	s_xor_b64 s[6:7], vcc, -1
	s_and_b64 s[6:7], s[6:7], exec
	s_or_b64 s[2:3], s[2:3], s[6:7]
.LBB91_222:
	s_or_b64 exec, exec, s[0:1]
	s_and_saveexec_b64 s[0:1], s[2:3]
	s_cbranch_execz .LBB91_225
; %bb.223:
	ds_read_u8 v26, v23 offset:8224
	s_waitcnt lgkmcnt(0)
	v_cmp_ne_u16_e32 vcc, 0, v26
	s_and_b64 exec, exec, vcc
	s_cbranch_execz .LBB91_225
; %bb.224:
	ds_read_u8 v27, v23 offset:8192
	ds_write_b64 v24, v[4:5]
	ds_write_b64 v25, v[2:3] offset:256
	ds_write_b8 v23, v26 offset:8192
	s_waitcnt lgkmcnt(3)
	ds_write_b8 v23, v27 offset:8224
.LBB91_225:
	;; [unrolled: 37-line block ×6, first 2 shown]
	s_or_b64 exec, exec, s[0:1]
	s_waitcnt lgkmcnt(0)
	s_barrier
	ds_read2_b64 v[2:5], v1 offset1:1
	s_waitcnt lgkmcnt(0)
	v_cmp_nlt_f64_e64 s[2:3], v[2:3], v[4:5]
	v_cmp_lt_f64_e32 vcc, v[2:3], v[4:5]
	s_and_saveexec_b64 s[0:1], vcc
	s_cbranch_execz .LBB91_247
; %bb.246:
	ds_read_u8 v10, v7 offset:8192
	s_andn2_b64 s[2:3], s[2:3], exec
	s_waitcnt lgkmcnt(0)
	v_and_b32_e32 v10, 1, v10
	v_cmp_eq_u32_e32 vcc, 1, v10
	s_xor_b64 s[6:7], vcc, -1
	s_and_b64 s[6:7], s[6:7], exec
	s_or_b64 s[2:3], s[2:3], s[6:7]
.LBB91_247:
	s_or_b64 exec, exec, s[0:1]
	s_and_saveexec_b64 s[0:1], s[2:3]
	s_cbranch_execz .LBB91_250
; %bb.248:
	ds_read_u8 v10, v8 offset:8193
	s_waitcnt lgkmcnt(0)
	v_cmp_ne_u16_e32 vcc, 0, v10
	s_and_b64 exec, exec, vcc
	s_cbranch_execz .LBB91_250
; %bb.249:
	ds_read_u8 v11, v7 offset:8192
	ds_write_b64 v1, v[4:5]
	v_add_u32_e32 v4, v7, v9
	ds_write_b64 v4, v[2:3] offset:8
	ds_write_b8 v7, v10 offset:8192
	s_waitcnt lgkmcnt(3)
	ds_write_b8 v8, v11 offset:8193
.LBB91_250:
	s_or_b64 exec, exec, s[0:1]
	v_cmp_eq_u32_e32 vcc, 0, v0
	s_waitcnt lgkmcnt(0)
	s_barrier
	s_barrier
	s_and_saveexec_b64 s[0:1], vcc
	s_cbranch_execz .LBB91_252
; %bb.251:
	v_mov_b32_e32 v2, 8
	v_mov_b32_e32 v3, 1
	ds_write_b8 v2, v3 offset:8196
	v_mov_b32_e32 v3, 0
	ds_write_b32 v2, v3 offset:8192
.LBB91_252:
	s_or_b64 exec, exec, s[0:1]
	ds_read2_b64 v[2:5], v1 offset1:1
	s_add_i32 s10, 8, 0x2000
	v_lshl_add_u32 v1, v6, 3, s10
	s_waitcnt lgkmcnt(0)
	v_cmp_neq_f64_e64 s[0:1], v[2:3], v[4:5]
	v_cndmask_b32_e64 v7, 0, 1, s[0:1]
	v_cmp_eq_f64_e64 s[0:1], v[2:3], v[4:5]
	v_cndmask_b32_e64 v2, 0, 1, s[0:1]
	s_movk_i32 s0, 0x1ff
	ds_write_b32 v1, v2 offset:8
	v_cmp_gt_u32_e64 s[2:3], s0, v0
	v_lshl_add_u32 v2, v6, 3, 8
	ds_write_b8 v1, v7 offset:12
	s_and_saveexec_b64 s[6:7], s[2:3]
	s_cbranch_execz .LBB91_254
; %bb.253:
	ds_read_b64 v[8:9], v2 offset:16
	s_waitcnt lgkmcnt(0)
	v_cmp_neq_f64_e64 s[0:1], v[4:5], v[8:9]
	v_cndmask_b32_e64 v3, 0, 1, s[0:1]
	v_cmp_eq_f64_e64 s[0:1], v[4:5], v[8:9]
	v_cndmask_b32_e64 v4, 0, 1, s[0:1]
	ds_write_b8 v1, v3 offset:20
	ds_write_b32 v1, v4 offset:16
.LBB91_254:
	s_or_b64 exec, exec, s[6:7]
	s_movk_i32 s0, 0x200
	v_cmp_gt_u32_e64 s[0:1], s0, v0
	s_waitcnt lgkmcnt(0)
	s_barrier
	s_and_saveexec_b64 s[6:7], s[0:1]
	s_cbranch_execz .LBB91_256
; %bb.255:
	ds_read_u8 v3, v1 offset:12
	ds_read_b32 v4, v2 offset:8192
	ds_read_b32 v5, v1 offset:8
	ds_read_u8 v7, v2 offset:8196
	s_waitcnt lgkmcnt(3)
	v_and_b32_e32 v8, 1, v3
	v_cmp_eq_u32_e64 s[0:1], 1, v8
	s_waitcnt lgkmcnt(2)
	v_cndmask_b32_e64 v4, v4, 0, s[0:1]
	s_waitcnt lgkmcnt(0)
	v_or_b32_e32 v3, v7, v3
	v_add_u32_e32 v4, v4, v5
	v_and_b32_e32 v3, 1, v3
	ds_write2_b32 v1, v4, v3 offset0:2 offset1:3
.LBB91_256:
	s_or_b64 exec, exec, s[6:7]
	v_add_u32_e32 v13, 2, v6
	v_lshlrev_b32_e32 v3, 1, v13
	s_movk_i32 s0, 0x100
	v_add_u32_e32 v4, -1, v3
	v_cmp_gt_u32_e64 s[0:1], s0, v0
	s_waitcnt lgkmcnt(0)
	s_barrier
	s_and_saveexec_b64 s[6:7], s[0:1]
	s_cbranch_execz .LBB91_258
; %bb.257:
	v_lshl_add_u32 v5, v4, 3, 8
	ds_read_b32 v7, v5 offset:8192
	ds_read_u8 v8, v5 offset:8196
	v_lshl_add_u32 v9, v3, 3, 8
	ds_read_b32 v10, v9 offset:8168
	ds_read_u8 v9, v9 offset:8172
	v_add_u32_e32 v5, 0x2000, v5
	s_waitcnt lgkmcnt(2)
	v_and_b32_e32 v11, 1, v8
	v_cmp_eq_u32_e64 s[0:1], 1, v11
	s_waitcnt lgkmcnt(1)
	v_cndmask_b32_e64 v10, v10, 0, s[0:1]
	s_waitcnt lgkmcnt(0)
	v_or_b32_e32 v8, v9, v8
	v_add_u32_e32 v7, v10, v7
	v_and_b32_e32 v8, 1, v8
	ds_write2_b32 v5, v7, v8 offset1:1
.LBB91_258:
	s_or_b64 exec, exec, s[6:7]
	s_movk_i32 s0, 0x80
	v_lshlrev_b32_e32 v5, 2, v13
	v_add_u32_e32 v4, v4, v3
	v_cmp_gt_u32_e64 s[0:1], s0, v0
	s_waitcnt lgkmcnt(0)
	s_barrier
	s_and_saveexec_b64 s[6:7], s[0:1]
	s_cbranch_execz .LBB91_260
; %bb.259:
	v_lshl_add_u32 v7, v4, 3, 8
	ds_read_b32 v8, v7 offset:8192
	ds_read_u8 v9, v7 offset:8196
	v_lshl_add_u32 v10, v5, 3, 8
	ds_read_b32 v11, v10 offset:8152
	ds_read_u8 v10, v10 offset:8156
	v_add_u32_e32 v7, 0x2000, v7
	s_waitcnt lgkmcnt(2)
	v_and_b32_e32 v12, 1, v9
	v_cmp_eq_u32_e64 s[0:1], 1, v12
	s_waitcnt lgkmcnt(1)
	v_cndmask_b32_e64 v11, v11, 0, s[0:1]
	s_waitcnt lgkmcnt(0)
	v_or_b32_e32 v9, v10, v9
	v_add_u32_e32 v8, v11, v8
	v_and_b32_e32 v9, 1, v9
	ds_write2_b32 v7, v8, v9 offset1:1
.LBB91_260:
	s_or_b64 exec, exec, s[6:7]
	v_lshlrev_b32_e32 v8, 3, v13
	v_add_u32_e32 v7, v4, v5
	v_cmp_gt_u32_e64 s[0:1], 64, v0
	s_waitcnt lgkmcnt(0)
	s_barrier
	s_and_saveexec_b64 s[8:9], s[0:1]
	s_cbranch_execz .LBB91_262
; %bb.261:
	v_lshl_add_u32 v9, v7, 3, 8
	ds_read_b32 v10, v9 offset:8192
	ds_read_u8 v11, v9 offset:8196
	v_lshl_add_u32 v12, v8, 3, 8
	ds_read_b32 v14, v12 offset:8120
	ds_read_u8 v12, v12 offset:8124
	v_add_u32_e32 v9, 0x2000, v9
	s_waitcnt lgkmcnt(2)
	v_and_b32_e32 v15, 1, v11
	v_cmp_eq_u32_e64 s[6:7], 1, v15
	s_waitcnt lgkmcnt(1)
	v_cndmask_b32_e64 v14, v14, 0, s[6:7]
	s_waitcnt lgkmcnt(0)
	v_or_b32_e32 v11, v12, v11
	v_add_u32_e32 v10, v14, v10
	v_and_b32_e32 v11, 1, v11
	ds_write2_b32 v9, v10, v11 offset1:1
.LBB91_262:
	s_or_b64 exec, exec, s[8:9]
	;; [unrolled: 27-line block ×6, first 2 shown]
	v_add_u32_e32 v19, v17, v18
	v_cmp_gt_u32_e64 s[6:7], 2, v0
	v_lshl_add_u32 v19, v19, 3, 8
	s_waitcnt lgkmcnt(0)
	s_barrier
	s_and_saveexec_b64 s[8:9], s[6:7]
	s_cbranch_execz .LBB91_272
; %bb.271:
	ds_read_u8 v21, v19 offset:8196
	v_lshl_add_u32 v13, v13, 11, 8
	ds_read_b32 v22, v13 offset:6136
	ds_read_b32 v23, v19 offset:8192
	ds_read_u8 v13, v13 offset:6140
	v_add_u32_e32 v20, 0x2000, v19
	s_waitcnt lgkmcnt(3)
	v_and_b32_e32 v24, 1, v21
	v_cmp_eq_u32_e64 s[6:7], 1, v24
	s_waitcnt lgkmcnt(2)
	v_cndmask_b32_e64 v22, v22, 0, s[6:7]
	s_waitcnt lgkmcnt(0)
	v_or_b32_e32 v13, v13, v21
	v_add_u32_e32 v22, v22, v23
	v_and_b32_e32 v13, 1, v13
	ds_write2_b32 v20, v22, v13 offset1:1
.LBB91_272:
	s_or_b64 exec, exec, s[8:9]
	s_waitcnt lgkmcnt(0)
	s_barrier
	s_and_saveexec_b64 s[8:9], vcc
	s_cbranch_execz .LBB91_274
; %bb.273:
	v_mov_b32_e32 v13, 8
	s_movk_i32 s6, 0xf8
	ds_read_u8 v22, v13 offset:16380
	v_add_u32_e64 v20, s6, 8
	ds_read2st64_b32 v[20:21], v20 offset0:47 offset1:63
	ds_read_u8 v13, v13 offset:12284
	s_add_i32 s11, 8, 0x3ff8
	s_waitcnt lgkmcnt(2)
	v_and_b32_e32 v23, 1, v22
	v_cmp_eq_u32_e64 s[6:7], 1, v23
	s_waitcnt lgkmcnt(1)
	v_cndmask_b32_e64 v20, v20, 0, s[6:7]
	s_waitcnt lgkmcnt(0)
	v_or_b32_e32 v13, v13, v22
	v_add_u32_e32 v20, v20, v21
	v_and_b32_e32 v13, 1, v13
	v_mov_b32_e32 v21, s11
	ds_write2_b32 v21, v20, v13 offset1:1
.LBB91_274:
	s_or_b64 exec, exec, s[8:9]
	s_waitcnt lgkmcnt(0)
	s_barrier
	s_and_saveexec_b64 s[8:9], vcc
	s_cbranch_execz .LBB91_276
; %bb.275:
	v_mov_b32_e32 v13, 8
	ds_read_u8 v20, v13 offset:14332
	ds_read_b32 v13, v13 offset:14328
	ds_read_b32 v21, v19 offset:8192
	ds_read_u8 v19, v19 offset:8196
	s_add_i32 s11, 8, 0x37f8
	s_waitcnt lgkmcnt(3)
	v_and_b32_e32 v22, 1, v20
	v_cmp_eq_u32_e64 s[6:7], 1, v22
	s_waitcnt lgkmcnt(1)
	v_cndmask_b32_e64 v21, v21, 0, s[6:7]
	s_waitcnt lgkmcnt(0)
	v_or_b32_e32 v19, v19, v20
	v_add_u32_e32 v13, v21, v13
	v_and_b32_e32 v19, 1, v19
	v_mov_b32_e32 v20, s11
	ds_write2_b32 v20, v13, v19 offset1:1
.LBB91_276:
	s_or_b64 exec, exec, s[8:9]
	v_cmp_gt_u32_e64 s[6:7], 3, v0
	s_waitcnt lgkmcnt(0)
	s_barrier
	s_and_saveexec_b64 s[8:9], s[6:7]
	s_cbranch_execz .LBB91_278
; %bb.277:
	v_lshl_add_u32 v13, v18, 3, s10
	ds_read_u8 v18, v13 offset:1020
	v_lshl_add_u32 v17, v17, 3, s10
	ds_read_b32 v19, v17
	ds_read_b32 v20, v13 offset:1016
	ds_read_u8 v17, v17 offset:4
	s_waitcnt lgkmcnt(3)
	v_and_b32_e32 v21, 1, v18
	v_cmp_eq_u32_e64 s[6:7], 1, v21
	s_waitcnt lgkmcnt(2)
	v_cndmask_b32_e64 v19, v19, 0, s[6:7]
	s_waitcnt lgkmcnt(0)
	v_or_b32_e32 v17, v17, v18
	v_add_u32_e32 v19, v19, v20
	v_and_b32_e32 v17, 1, v17
	ds_write2_b32 v13, v19, v17 offset0:254 offset1:255
.LBB91_278:
	s_or_b64 exec, exec, s[8:9]
	v_cmp_gt_u32_e64 s[6:7], 7, v0
	s_waitcnt lgkmcnt(0)
	s_barrier
	s_and_saveexec_b64 s[8:9], s[6:7]
	s_cbranch_execz .LBB91_280
; %bb.279:
	v_lshl_add_u32 v13, v15, 3, s10
	ds_read_u8 v15, v13 offset:508
	v_lshl_add_u32 v14, v14, 3, s10
	ds_read_b32 v17, v14
	ds_read_b32 v18, v13 offset:504
	ds_read_u8 v14, v14 offset:4
	s_waitcnt lgkmcnt(3)
	v_and_b32_e32 v19, 1, v15
	v_cmp_eq_u32_e64 s[6:7], 1, v19
	s_waitcnt lgkmcnt(2)
	v_cndmask_b32_e64 v17, v17, 0, s[6:7]
	s_waitcnt lgkmcnt(0)
	v_or_b32_e32 v14, v14, v15
	v_add_u32_e32 v17, v17, v18
	v_and_b32_e32 v14, 1, v14
	ds_write2_b32 v13, v17, v14 offset0:126 offset1:127
.LBB91_280:
	;; [unrolled: 24-line block ×5, first 2 shown]
	s_or_b64 exec, exec, s[8:9]
	s_movk_i32 s6, 0x7f
	v_cmp_gt_u32_e64 s[6:7], s6, v0
	s_waitcnt lgkmcnt(0)
	s_barrier
	s_and_saveexec_b64 s[8:9], s[6:7]
	s_cbranch_execz .LBB91_288
; %bb.287:
	v_lshl_add_u32 v5, v5, 3, s10
	ds_read_u8 v7, v5 offset:28
	v_lshl_add_u32 v4, v4, 3, s10
	ds_read_b32 v8, v4
	ds_read_b32 v9, v5 offset:24
	ds_read_u8 v4, v4 offset:4
	s_waitcnt lgkmcnt(3)
	v_and_b32_e32 v10, 1, v7
	v_cmp_eq_u32_e64 s[6:7], 1, v10
	s_waitcnt lgkmcnt(2)
	v_cndmask_b32_e64 v8, v8, 0, s[6:7]
	s_waitcnt lgkmcnt(0)
	v_or_b32_e32 v4, v4, v7
	v_add_u32_e32 v8, v8, v9
	v_and_b32_e32 v4, 1, v4
	ds_write2_b32 v5, v8, v4 offset0:6 offset1:7
.LBB91_288:
	s_or_b64 exec, exec, s[8:9]
	s_movk_i32 s6, 0xff
	v_cmp_gt_u32_e64 s[6:7], s6, v0
	s_waitcnt lgkmcnt(0)
	s_barrier
	s_and_saveexec_b64 s[8:9], s[6:7]
	s_cbranch_execz .LBB91_290
; %bb.289:
	v_lshl_add_u32 v3, v3, 3, s10
	ds_read_u8 v4, v3 offset:12
	v_add_u32_e32 v5, -8, v3
	ds_read_b32 v7, v5
	ds_read_b32 v8, v3 offset:8
	ds_read_u8 v5, v5 offset:4
	s_waitcnt lgkmcnt(3)
	v_and_b32_e32 v9, 1, v4
	v_cmp_eq_u32_e64 s[6:7], 1, v9
	s_waitcnt lgkmcnt(2)
	v_cndmask_b32_e64 v7, v7, 0, s[6:7]
	s_waitcnt lgkmcnt(0)
	v_or_b32_e32 v4, v5, v4
	v_add_u32_e32 v7, v7, v8
	v_and_b32_e32 v4, 1, v4
	ds_write2_b32 v3, v7, v4 offset0:2 offset1:3
.LBB91_290:
	s_or_b64 exec, exec, s[8:9]
	s_waitcnt lgkmcnt(0)
	s_barrier
	s_and_saveexec_b64 s[6:7], s[2:3]
	s_cbranch_execz .LBB91_292
; %bb.291:
	ds_read_u8 v3, v1 offset:20
	ds_read_u8 v7, v1 offset:12
	ds_read2_b32 v[4:5], v1 offset0:2 offset1:4
	s_waitcnt lgkmcnt(2)
	v_and_b32_e32 v8, 1, v3
	v_cmp_eq_u32_e64 s[2:3], 1, v8
	s_waitcnt lgkmcnt(1)
	v_or_b32_e32 v3, v7, v3
	s_waitcnt lgkmcnt(0)
	v_cndmask_b32_e64 v4, v4, 0, s[2:3]
	v_add_u32_e32 v4, v4, v5
	v_and_b32_e32 v3, 1, v3
	ds_write2_b32 v1, v4, v3 offset0:4 offset1:5
.LBB91_292:
	s_or_b64 exec, exec, s[6:7]
	s_waitcnt lgkmcnt(0)
	s_barrier
	ds_read_b32 v3, v2 offset:8192
	ds_read_b32 v1, v1 offset:8
	v_or_b32_e32 v2, 1, v6
	v_cmp_gt_u32_e64 s[6:7], s16, v2
	v_cmp_gt_u32_e64 s[2:3], s16, v6
	s_waitcnt lgkmcnt(1)
	v_cndmask_b32_e64 v3, 0, v3, s[2:3]
	s_waitcnt lgkmcnt(0)
	v_cndmask_b32_e64 v5, 0, v1, s[6:7]
	v_mbcnt_lo_u32_b32 v1, -1, 0
	v_mbcnt_hi_u32_b32 v12, -1, v1
	v_and_b32_e32 v13, 63, v12
	v_cmp_gt_u32_e64 s[8:9], 32, v13
	v_cndmask_b32_e64 v1, 0, 1, s[8:9]
	v_lshlrev_b32_e32 v1, 5, v1
	v_cndmask_b32_e64 v4, 0, v6, s[2:3]
	v_max_u32_e32 v7, v5, v3
	v_add_lshl_u32 v1, v1, v12, 2
	v_cndmask_b32_e64 v8, 0, v2, s[6:7]
	v_cmp_gt_u32_e64 s[8:9], v5, v3
	ds_bpermute_b32 v9, v1, v7
	v_cndmask_b32_e64 v3, v4, v8, s[8:9]
	ds_bpermute_b32 v4, v1, v3
	v_cmp_gt_u32_e64 s[8:9], 48, v13
	v_cndmask_b32_e64 v8, 0, 1, s[8:9]
	v_lshlrev_b32_e32 v8, 4, v8
	s_waitcnt lgkmcnt(1)
	v_max_u32_e32 v5, v9, v7
	v_add_lshl_u32 v8, v8, v12, 2
	v_cmp_gt_u32_e64 s[8:9], v9, v7
	ds_bpermute_b32 v10, v8, v5
	s_waitcnt lgkmcnt(1)
	v_cndmask_b32_e64 v3, v3, v4, s[8:9]
	ds_bpermute_b32 v4, v8, v3
	v_cmp_gt_u32_e64 s[8:9], 56, v13
	v_cndmask_b32_e64 v9, 0, 1, s[8:9]
	v_lshlrev_b32_e32 v9, 3, v9
	s_waitcnt lgkmcnt(1)
	v_max_u32_e32 v7, v10, v5
	v_add_lshl_u32 v9, v9, v12, 2
	v_cmp_gt_u32_e64 s[8:9], v10, v5
	ds_bpermute_b32 v11, v9, v7
	s_waitcnt lgkmcnt(1)
	;; [unrolled: 11-line block ×4, first 2 shown]
	v_cndmask_b32_e64 v4, v3, v4, s[8:9]
	ds_bpermute_b32 v5, v11, v4
	s_waitcnt lgkmcnt(0)
	s_barrier
	v_cmp_gt_u32_e64 s[8:9], v15, v7
	v_max_u32_e32 v3, v15, v7
	v_cndmask_b32_e64 v4, v4, v5, s[8:9]
	v_cmp_ne_u32_e64 s[8:9], 63, v13
	v_addc_co_u32_e64 v5, s[8:9], 0, v12, s[8:9]
	v_lshlrev_b32_e32 v12, 2, v5
	ds_bpermute_b32 v5, v12, v4
	ds_bpermute_b32 v7, v12, v3
	v_cmp_eq_u32_e64 s[8:9], 0, v16
	s_waitcnt lgkmcnt(0)
	s_barrier
	s_and_saveexec_b64 s[12:13], s[8:9]
	s_cbranch_execz .LBB91_294
; %bb.293:
	v_lshrrev_b32_e32 v13, 3, v0
	v_add_u32_e32 v13, 8, v13
	v_cmp_gt_u32_e64 s[10:11], v7, v3
	v_add_u32_e32 v13, 0x2000, v13
	v_cndmask_b32_e64 v4, v4, v5, s[10:11]
	v_max_u32_e32 v3, v7, v3
	ds_write2_b32 v13, v3, v4 offset1:1
.LBB91_294:
	s_or_b64 exec, exec, s[12:13]
	s_lshr_b32 s10, s20, 6
	v_cmp_gt_u32_e64 s[10:11], s10, v0
	v_lshl_add_u32 v13, v16, 3, 8
	v_mov_b32_e32 v3, 0
	v_mov_b32_e32 v4, 0
	s_waitcnt lgkmcnt(0)
	s_barrier
	s_and_saveexec_b64 s[12:13], s[10:11]
	s_cbranch_execnz .LBB91_387
; %bb.295:
	s_or_b64 exec, exec, s[12:13]
	s_and_saveexec_b64 s[12:13], s[10:11]
	s_cbranch_execnz .LBB91_388
.LBB91_296:
	s_or_b64 exec, exec, s[12:13]
	s_and_saveexec_b64 s[20:21], s[0:1]
	s_cbranch_execnz .LBB91_389
.LBB91_297:
	s_or_b64 exec, exec, s[20:21]
	s_and_saveexec_b64 s[12:13], vcc
	s_cbranch_execz .LBB91_299
.LBB91_298:
	s_waitcnt lgkmcnt(0)
	v_lshl_add_u32 v3, v3, 3, 8
	ds_read_b64 v[4:5], v3
	v_mov_b32_e32 v3, 0
	s_waitcnt lgkmcnt(0)
	ds_write_b64 v3, v[4:5]
.LBB91_299:
	s_or_b64 exec, exec, s[12:13]
	s_mov_b32 s20, 0
	v_mov_b32_e32 v7, 0
	s_mov_b32 s21, s20
	v_cmp_gt_i64_e64 s[12:13], s[16:17], v[6:7]
	s_waitcnt lgkmcnt(0)
	v_pk_mov_b32 v[4:5], s[20:21], s[20:21] op_sel:[0,1]
	s_barrier
	s_and_saveexec_b64 s[20:21], s[12:13]
	s_cbranch_execz .LBB91_301
; %bb.300:
	v_add_u32_e32 v4, s15, v6
	v_mov_b32_e32 v5, v7
	v_lshlrev_b64 v[4:5], 3, v[4:5]
	v_mov_b32_e32 v3, s19
	v_add_co_u32_e64 v4, s[12:13], s18, v4
	v_addc_co_u32_e64 v5, s[12:13], v3, v5, s[12:13]
	global_load_dwordx2 v[4:5], v[4:5], off
	ds_read_b64 v[14:15], v7
	s_waitcnt vmcnt(0) lgkmcnt(0)
	v_cmp_eq_f64_e64 s[12:13], v[4:5], v[14:15]
	v_cndmask_b32_e64 v6, 0, v6, s[12:13]
	v_pk_mov_b32 v[4:5], v[6:7], v[6:7] op_sel:[0,1]
.LBB91_301:
	s_or_b64 exec, exec, s[20:21]
	v_mov_b32_e32 v3, v7
	v_cmp_gt_i64_e64 s[12:13], s[16:17], v[2:3]
	s_and_saveexec_b64 s[16:17], s[12:13]
	s_cbranch_execz .LBB91_303
; %bb.302:
	v_add_u32_e32 v6, s15, v2
	v_mov_b32_e32 v7, 0
	v_lshlrev_b64 v[14:15], 3, v[6:7]
	v_mov_b32_e32 v3, s19
	v_add_co_u32_e64 v14, s[12:13], s18, v14
	v_addc_co_u32_e64 v15, s[12:13], v3, v15, s[12:13]
	global_load_dwordx2 v[14:15], v[14:15], off
	ds_read_b64 v[6:7], v7
	s_waitcnt vmcnt(0) lgkmcnt(0)
	v_cmp_eq_f64_e64 s[12:13], v[14:15], v[6:7]
	v_cndmask_b32_e64 v5, 0, v2, s[12:13]
.LBB91_303:
	s_or_b64 exec, exec, s[16:17]
	v_cndmask_b32_e64 v2, 0, v4, s[2:3]
	v_cndmask_b32_e64 v3, 0, v5, s[6:7]
	v_max_u32_e32 v2, v3, v2
	ds_bpermute_b32 v3, v1, v2
	s_waitcnt lgkmcnt(0)
	s_barrier
	v_max_u32_e32 v2, v3, v2
	ds_bpermute_b32 v3, v8, v2
	s_waitcnt lgkmcnt(0)
	v_max_u32_e32 v2, v3, v2
	ds_bpermute_b32 v3, v9, v2
	s_waitcnt lgkmcnt(0)
	;; [unrolled: 3-line block ×4, first 2 shown]
	v_max_u32_e32 v2, v3, v2
	ds_bpermute_b32 v3, v12, v2
	s_and_saveexec_b64 s[2:3], s[8:9]
	s_cbranch_execz .LBB91_305
; %bb.304:
	v_lshrrev_b32_e32 v0, 4, v0
	v_add_u32_e32 v0, 8, v0
	s_waitcnt lgkmcnt(0)
	v_max_u32_e32 v2, v3, v2
	ds_write_b32 v0, v2
.LBB91_305:
	s_or_b64 exec, exec, s[2:3]
	v_mov_b32_e32 v0, 0
	s_waitcnt lgkmcnt(0)
	s_barrier
	s_and_saveexec_b64 s[2:3], s[10:11]
	s_cbranch_execnz .LBB91_390
; %bb.306:
	s_or_b64 exec, exec, s[2:3]
	s_and_saveexec_b64 s[2:3], s[0:1]
	s_cbranch_execnz .LBB91_391
.LBB91_307:
	s_or_b64 exec, exec, s[2:3]
	s_and_saveexec_b64 s[0:1], vcc
	s_cbranch_execnz .LBB91_392
.LBB91_308:
	s_endpgm
.LBB91_309:
	ds_read_u8 v14, v7 offset:8192
	s_andn2_b64 s[0:1], s[0:1], exec
	s_mov_b32 s6, 1
	s_waitcnt lgkmcnt(0)
	v_and_b32_e32 v14, 1, v14
	v_cmp_eq_u32_e32 vcc, 1, v14
	s_xor_b64 s[8:9], vcc, -1
	s_and_b64 s[8:9], s[8:9], exec
	s_or_b64 s[0:1], s[0:1], s[8:9]
	s_or_b64 exec, exec, s[2:3]
	v_mov_b32_e32 v14, s6
	s_and_saveexec_b64 s[2:3], s[0:1]
	s_cbranch_execz .LBB91_19
.LBB91_310:
	ds_read_u8 v14, v8 offset:8193
	s_waitcnt lgkmcnt(0)
	v_xor_b32_e32 v14, 1, v14
	s_or_b64 exec, exec, s[2:3]
	v_cmp_eq_u32_e32 vcc, v14, v13
	s_and_saveexec_b64 s[0:1], vcc
	s_cbranch_execnz .LBB91_20
	s_branch .LBB91_21
.LBB91_311:
	ds_read_u8 v17, v10 offset:8192
	s_andn2_b64 s[0:1], s[0:1], exec
	s_mov_b32 s6, 1
	s_waitcnt lgkmcnt(0)
	v_and_b32_e32 v17, 1, v17
	v_cmp_eq_u32_e32 vcc, 1, v17
	s_xor_b64 s[8:9], vcc, -1
	s_and_b64 s[8:9], s[8:9], exec
	s_or_b64 s[0:1], s[0:1], s[8:9]
	s_or_b64 exec, exec, s[2:3]
	v_mov_b32_e32 v17, s6
	s_and_saveexec_b64 s[2:3], s[0:1]
	s_cbranch_execz .LBB91_29
.LBB91_312:
	ds_read_u8 v17, v10 offset:8194
	s_waitcnt lgkmcnt(0)
	v_xor_b32_e32 v17, 1, v17
	s_or_b64 exec, exec, s[2:3]
	v_cmp_eq_u32_e32 vcc, v17, v16
	s_and_saveexec_b64 s[0:1], vcc
	s_cbranch_execnz .LBB91_30
	s_branch .LBB91_31
.LBB91_313:
	ds_read_u8 v17, v7 offset:8192
	s_andn2_b64 s[0:1], s[0:1], exec
	s_mov_b32 s6, 1
	s_waitcnt lgkmcnt(0)
	v_and_b32_e32 v17, 1, v17
	v_cmp_eq_u32_e32 vcc, 1, v17
	s_xor_b64 s[8:9], vcc, -1
	s_and_b64 s[8:9], s[8:9], exec
	s_or_b64 s[0:1], s[0:1], s[8:9]
	s_or_b64 exec, exec, s[2:3]
	v_mov_b32_e32 v17, s6
	s_and_saveexec_b64 s[2:3], s[0:1]
	s_cbranch_execz .LBB91_33
.LBB91_314:
	ds_read_u8 v17, v8 offset:8193
	s_waitcnt lgkmcnt(0)
	v_xor_b32_e32 v17, 1, v17
	s_or_b64 exec, exec, s[2:3]
	v_cmp_eq_u32_e32 vcc, v17, v16
	s_and_saveexec_b64 s[0:1], vcc
	s_cbranch_execnz .LBB91_34
	s_branch .LBB91_35
.LBB91_315:
	ds_read_u8 v20, v13 offset:8192
	s_andn2_b64 s[0:1], s[0:1], exec
	s_mov_b32 s6, 1
	s_waitcnt lgkmcnt(0)
	v_and_b32_e32 v20, 1, v20
	v_cmp_eq_u32_e32 vcc, 1, v20
	s_xor_b64 s[8:9], vcc, -1
	s_and_b64 s[8:9], s[8:9], exec
	s_or_b64 s[0:1], s[0:1], s[8:9]
	s_or_b64 exec, exec, s[2:3]
	v_mov_b32_e32 v20, s6
	s_and_saveexec_b64 s[2:3], s[0:1]
	s_cbranch_execz .LBB91_43
.LBB91_316:
	ds_read_u8 v20, v13 offset:8196
	s_waitcnt lgkmcnt(0)
	v_xor_b32_e32 v20, 1, v20
	s_or_b64 exec, exec, s[2:3]
	v_cmp_eq_u32_e32 vcc, v20, v16
	s_and_saveexec_b64 s[0:1], vcc
	s_cbranch_execnz .LBB91_44
	s_branch .LBB91_45
.LBB91_317:
	ds_read_u8 v20, v10 offset:8192
	s_andn2_b64 s[0:1], s[0:1], exec
	s_mov_b32 s6, 1
	s_waitcnt lgkmcnt(0)
	v_and_b32_e32 v20, 1, v20
	v_cmp_eq_u32_e32 vcc, 1, v20
	s_xor_b64 s[8:9], vcc, -1
	s_and_b64 s[8:9], s[8:9], exec
	s_or_b64 s[0:1], s[0:1], s[8:9]
	s_or_b64 exec, exec, s[2:3]
	v_mov_b32_e32 v20, s6
	s_and_saveexec_b64 s[2:3], s[0:1]
	s_cbranch_execz .LBB91_47
.LBB91_318:
	ds_read_u8 v20, v10 offset:8194
	s_waitcnt lgkmcnt(0)
	v_xor_b32_e32 v20, 1, v20
	s_or_b64 exec, exec, s[2:3]
	v_cmp_eq_u32_e32 vcc, v20, v16
	s_and_saveexec_b64 s[0:1], vcc
	s_cbranch_execnz .LBB91_48
	s_branch .LBB91_49
.LBB91_319:
	ds_read_u8 v20, v7 offset:8192
	s_andn2_b64 s[0:1], s[0:1], exec
	s_mov_b32 s6, 1
	s_waitcnt lgkmcnt(0)
	v_and_b32_e32 v20, 1, v20
	v_cmp_eq_u32_e32 vcc, 1, v20
	s_xor_b64 s[8:9], vcc, -1
	s_and_b64 s[8:9], s[8:9], exec
	s_or_b64 s[0:1], s[0:1], s[8:9]
	s_or_b64 exec, exec, s[2:3]
	v_mov_b32_e32 v20, s6
	s_and_saveexec_b64 s[2:3], s[0:1]
	s_cbranch_execz .LBB91_51
.LBB91_320:
	ds_read_u8 v20, v8 offset:8193
	s_waitcnt lgkmcnt(0)
	v_xor_b32_e32 v20, 1, v20
	s_or_b64 exec, exec, s[2:3]
	v_cmp_eq_u32_e32 vcc, v20, v16
	s_and_saveexec_b64 s[0:1], vcc
	s_cbranch_execnz .LBB91_52
	s_branch .LBB91_53
.LBB91_321:
	ds_read_u8 v23, v17 offset:8192
	s_andn2_b64 s[0:1], s[0:1], exec
	s_mov_b32 s6, 1
	s_waitcnt lgkmcnt(0)
	v_and_b32_e32 v23, 1, v23
	v_cmp_eq_u32_e32 vcc, 1, v23
	s_xor_b64 s[8:9], vcc, -1
	s_and_b64 s[8:9], s[8:9], exec
	s_or_b64 s[0:1], s[0:1], s[8:9]
	s_or_b64 exec, exec, s[2:3]
	v_mov_b32_e32 v23, s6
	s_and_saveexec_b64 s[2:3], s[0:1]
	s_cbranch_execz .LBB91_61
.LBB91_322:
	ds_read_u8 v23, v17 offset:8200
	s_waitcnt lgkmcnt(0)
	v_xor_b32_e32 v23, 1, v23
	s_or_b64 exec, exec, s[2:3]
	v_cmp_eq_u32_e32 vcc, v23, v16
	s_and_saveexec_b64 s[0:1], vcc
	s_cbranch_execnz .LBB91_62
	s_branch .LBB91_63
.LBB91_323:
	ds_read_u8 v23, v13 offset:8192
	s_andn2_b64 s[0:1], s[0:1], exec
	s_mov_b32 s6, 1
	s_waitcnt lgkmcnt(0)
	v_and_b32_e32 v23, 1, v23
	v_cmp_eq_u32_e32 vcc, 1, v23
	s_xor_b64 s[8:9], vcc, -1
	s_and_b64 s[8:9], s[8:9], exec
	s_or_b64 s[0:1], s[0:1], s[8:9]
	s_or_b64 exec, exec, s[2:3]
	v_mov_b32_e32 v23, s6
	s_and_saveexec_b64 s[2:3], s[0:1]
	s_cbranch_execz .LBB91_65
.LBB91_324:
	ds_read_u8 v23, v13 offset:8196
	s_waitcnt lgkmcnt(0)
	v_xor_b32_e32 v23, 1, v23
	s_or_b64 exec, exec, s[2:3]
	v_cmp_eq_u32_e32 vcc, v23, v16
	s_and_saveexec_b64 s[0:1], vcc
	s_cbranch_execnz .LBB91_66
	s_branch .LBB91_67
.LBB91_325:
	ds_read_u8 v23, v10 offset:8192
	s_andn2_b64 s[0:1], s[0:1], exec
	s_mov_b32 s6, 1
	s_waitcnt lgkmcnt(0)
	v_and_b32_e32 v23, 1, v23
	v_cmp_eq_u32_e32 vcc, 1, v23
	s_xor_b64 s[8:9], vcc, -1
	s_and_b64 s[8:9], s[8:9], exec
	s_or_b64 s[0:1], s[0:1], s[8:9]
	s_or_b64 exec, exec, s[2:3]
	v_mov_b32_e32 v23, s6
	s_and_saveexec_b64 s[2:3], s[0:1]
	s_cbranch_execz .LBB91_69
.LBB91_326:
	ds_read_u8 v23, v10 offset:8194
	s_waitcnt lgkmcnt(0)
	v_xor_b32_e32 v23, 1, v23
	s_or_b64 exec, exec, s[2:3]
	v_cmp_eq_u32_e32 vcc, v23, v16
	s_and_saveexec_b64 s[0:1], vcc
	s_cbranch_execnz .LBB91_70
	s_branch .LBB91_71
.LBB91_327:
	ds_read_u8 v23, v7 offset:8192
	s_andn2_b64 s[0:1], s[0:1], exec
	s_mov_b32 s6, 1
	s_waitcnt lgkmcnt(0)
	v_and_b32_e32 v23, 1, v23
	v_cmp_eq_u32_e32 vcc, 1, v23
	s_xor_b64 s[8:9], vcc, -1
	s_and_b64 s[8:9], s[8:9], exec
	s_or_b64 s[0:1], s[0:1], s[8:9]
	s_or_b64 exec, exec, s[2:3]
	v_mov_b32_e32 v23, s6
	s_and_saveexec_b64 s[2:3], s[0:1]
	s_cbranch_execz .LBB91_73
.LBB91_328:
	ds_read_u8 v23, v8 offset:8193
	s_waitcnt lgkmcnt(0)
	v_xor_b32_e32 v23, 1, v23
	s_or_b64 exec, exec, s[2:3]
	v_cmp_eq_u32_e32 vcc, v23, v16
	s_and_saveexec_b64 s[0:1], vcc
	s_cbranch_execnz .LBB91_74
	s_branch .LBB91_75
.LBB91_329:
	ds_read_u8 v26, v20 offset:8192
	s_andn2_b64 s[0:1], s[0:1], exec
	s_mov_b32 s6, 1
	s_waitcnt lgkmcnt(0)
	v_and_b32_e32 v26, 1, v26
	v_cmp_eq_u32_e32 vcc, 1, v26
	s_xor_b64 s[8:9], vcc, -1
	s_and_b64 s[8:9], s[8:9], exec
	s_or_b64 s[0:1], s[0:1], s[8:9]
	s_or_b64 exec, exec, s[2:3]
	v_mov_b32_e32 v26, s6
	s_and_saveexec_b64 s[2:3], s[0:1]
	s_cbranch_execz .LBB91_83
.LBB91_330:
	ds_read_u8 v26, v20 offset:8208
	s_waitcnt lgkmcnt(0)
	v_xor_b32_e32 v26, 1, v26
	s_or_b64 exec, exec, s[2:3]
	v_cmp_eq_u32_e32 vcc, v26, v16
	s_and_saveexec_b64 s[0:1], vcc
	s_cbranch_execnz .LBB91_84
	s_branch .LBB91_85
.LBB91_331:
	ds_read_u8 v26, v17 offset:8192
	s_andn2_b64 s[0:1], s[0:1], exec
	s_mov_b32 s6, 1
	s_waitcnt lgkmcnt(0)
	v_and_b32_e32 v26, 1, v26
	v_cmp_eq_u32_e32 vcc, 1, v26
	s_xor_b64 s[8:9], vcc, -1
	s_and_b64 s[8:9], s[8:9], exec
	s_or_b64 s[0:1], s[0:1], s[8:9]
	s_or_b64 exec, exec, s[2:3]
	v_mov_b32_e32 v26, s6
	s_and_saveexec_b64 s[2:3], s[0:1]
	s_cbranch_execz .LBB91_87
.LBB91_332:
	ds_read_u8 v26, v17 offset:8200
	s_waitcnt lgkmcnt(0)
	v_xor_b32_e32 v26, 1, v26
	s_or_b64 exec, exec, s[2:3]
	v_cmp_eq_u32_e32 vcc, v26, v16
	s_and_saveexec_b64 s[0:1], vcc
	s_cbranch_execnz .LBB91_88
	s_branch .LBB91_89
.LBB91_333:
	ds_read_u8 v26, v13 offset:8192
	s_andn2_b64 s[0:1], s[0:1], exec
	s_mov_b32 s6, 1
	s_waitcnt lgkmcnt(0)
	v_and_b32_e32 v26, 1, v26
	v_cmp_eq_u32_e32 vcc, 1, v26
	s_xor_b64 s[8:9], vcc, -1
	s_and_b64 s[8:9], s[8:9], exec
	s_or_b64 s[0:1], s[0:1], s[8:9]
	s_or_b64 exec, exec, s[2:3]
	v_mov_b32_e32 v26, s6
	s_and_saveexec_b64 s[2:3], s[0:1]
	s_cbranch_execz .LBB91_91
.LBB91_334:
	ds_read_u8 v26, v13 offset:8196
	s_waitcnt lgkmcnt(0)
	v_xor_b32_e32 v26, 1, v26
	s_or_b64 exec, exec, s[2:3]
	v_cmp_eq_u32_e32 vcc, v26, v16
	s_and_saveexec_b64 s[0:1], vcc
	s_cbranch_execnz .LBB91_92
	s_branch .LBB91_93
.LBB91_335:
	ds_read_u8 v26, v10 offset:8192
	s_andn2_b64 s[0:1], s[0:1], exec
	s_mov_b32 s6, 1
	s_waitcnt lgkmcnt(0)
	v_and_b32_e32 v26, 1, v26
	v_cmp_eq_u32_e32 vcc, 1, v26
	s_xor_b64 s[8:9], vcc, -1
	s_and_b64 s[8:9], s[8:9], exec
	s_or_b64 s[0:1], s[0:1], s[8:9]
	s_or_b64 exec, exec, s[2:3]
	v_mov_b32_e32 v26, s6
	s_and_saveexec_b64 s[2:3], s[0:1]
	s_cbranch_execz .LBB91_95
.LBB91_336:
	ds_read_u8 v26, v10 offset:8194
	s_waitcnt lgkmcnt(0)
	v_xor_b32_e32 v26, 1, v26
	s_or_b64 exec, exec, s[2:3]
	v_cmp_eq_u32_e32 vcc, v26, v16
	s_and_saveexec_b64 s[0:1], vcc
	s_cbranch_execnz .LBB91_96
	s_branch .LBB91_97
.LBB91_337:
	ds_read_u8 v26, v7 offset:8192
	s_andn2_b64 s[0:1], s[0:1], exec
	s_mov_b32 s6, 1
	s_waitcnt lgkmcnt(0)
	v_and_b32_e32 v26, 1, v26
	v_cmp_eq_u32_e32 vcc, 1, v26
	s_xor_b64 s[8:9], vcc, -1
	s_and_b64 s[8:9], s[8:9], exec
	s_or_b64 s[0:1], s[0:1], s[8:9]
	s_or_b64 exec, exec, s[2:3]
	v_mov_b32_e32 v26, s6
	s_and_saveexec_b64 s[2:3], s[0:1]
	s_cbranch_execz .LBB91_99
.LBB91_338:
	ds_read_u8 v26, v8 offset:8193
	s_waitcnt lgkmcnt(0)
	v_xor_b32_e32 v26, 1, v26
	s_or_b64 exec, exec, s[2:3]
	v_cmp_eq_u32_e32 vcc, v26, v16
	s_and_saveexec_b64 s[0:1], vcc
	s_cbranch_execnz .LBB91_100
	s_branch .LBB91_101
.LBB91_339:
	ds_read_u8 v30, v23 offset:8192
	s_andn2_b64 s[0:1], s[0:1], exec
	s_mov_b32 s6, 1
	s_waitcnt lgkmcnt(0)
	v_and_b32_e32 v30, 1, v30
	v_cmp_eq_u32_e32 vcc, 1, v30
	s_xor_b64 s[8:9], vcc, -1
	s_and_b64 s[8:9], s[8:9], exec
	s_or_b64 s[0:1], s[0:1], s[8:9]
	s_or_b64 exec, exec, s[2:3]
	v_mov_b32_e32 v30, s6
	s_and_saveexec_b64 s[2:3], s[0:1]
	s_cbranch_execz .LBB91_109
.LBB91_340:
	ds_read_u8 v30, v23 offset:8224
	s_waitcnt lgkmcnt(0)
	v_xor_b32_e32 v30, 1, v30
	s_or_b64 exec, exec, s[2:3]
	v_cmp_eq_u32_e32 vcc, v30, v29
	s_and_saveexec_b64 s[0:1], vcc
	s_cbranch_execnz .LBB91_110
	s_branch .LBB91_111
.LBB91_341:
	ds_read_u8 v30, v20 offset:8192
	s_andn2_b64 s[0:1], s[0:1], exec
	s_mov_b32 s6, 1
	s_waitcnt lgkmcnt(0)
	v_and_b32_e32 v30, 1, v30
	v_cmp_eq_u32_e32 vcc, 1, v30
	s_xor_b64 s[8:9], vcc, -1
	s_and_b64 s[8:9], s[8:9], exec
	s_or_b64 s[0:1], s[0:1], s[8:9]
	s_or_b64 exec, exec, s[2:3]
	v_mov_b32_e32 v30, s6
	s_and_saveexec_b64 s[2:3], s[0:1]
	s_cbranch_execz .LBB91_113
.LBB91_342:
	ds_read_u8 v30, v20 offset:8208
	s_waitcnt lgkmcnt(0)
	v_xor_b32_e32 v30, 1, v30
	s_or_b64 exec, exec, s[2:3]
	v_cmp_eq_u32_e32 vcc, v30, v29
	s_and_saveexec_b64 s[0:1], vcc
	s_cbranch_execnz .LBB91_114
	s_branch .LBB91_115
.LBB91_343:
	ds_read_u8 v30, v17 offset:8192
	s_andn2_b64 s[0:1], s[0:1], exec
	s_mov_b32 s6, 1
	s_waitcnt lgkmcnt(0)
	v_and_b32_e32 v30, 1, v30
	v_cmp_eq_u32_e32 vcc, 1, v30
	s_xor_b64 s[8:9], vcc, -1
	s_and_b64 s[8:9], s[8:9], exec
	s_or_b64 s[0:1], s[0:1], s[8:9]
	s_or_b64 exec, exec, s[2:3]
	v_mov_b32_e32 v30, s6
	s_and_saveexec_b64 s[2:3], s[0:1]
	s_cbranch_execz .LBB91_117
.LBB91_344:
	ds_read_u8 v30, v17 offset:8200
	s_waitcnt lgkmcnt(0)
	v_xor_b32_e32 v30, 1, v30
	s_or_b64 exec, exec, s[2:3]
	v_cmp_eq_u32_e32 vcc, v30, v29
	s_and_saveexec_b64 s[0:1], vcc
	s_cbranch_execnz .LBB91_118
	s_branch .LBB91_119
.LBB91_345:
	ds_read_u8 v30, v13 offset:8192
	s_andn2_b64 s[0:1], s[0:1], exec
	s_mov_b32 s6, 1
	s_waitcnt lgkmcnt(0)
	v_and_b32_e32 v30, 1, v30
	v_cmp_eq_u32_e32 vcc, 1, v30
	s_xor_b64 s[8:9], vcc, -1
	s_and_b64 s[8:9], s[8:9], exec
	s_or_b64 s[0:1], s[0:1], s[8:9]
	s_or_b64 exec, exec, s[2:3]
	v_mov_b32_e32 v30, s6
	s_and_saveexec_b64 s[2:3], s[0:1]
	s_cbranch_execz .LBB91_121
.LBB91_346:
	ds_read_u8 v30, v13 offset:8196
	s_waitcnt lgkmcnt(0)
	v_xor_b32_e32 v30, 1, v30
	s_or_b64 exec, exec, s[2:3]
	v_cmp_eq_u32_e32 vcc, v30, v29
	s_and_saveexec_b64 s[0:1], vcc
	s_cbranch_execnz .LBB91_122
	s_branch .LBB91_123
.LBB91_347:
	ds_read_u8 v30, v10 offset:8192
	s_andn2_b64 s[0:1], s[0:1], exec
	s_mov_b32 s6, 1
	s_waitcnt lgkmcnt(0)
	v_and_b32_e32 v30, 1, v30
	v_cmp_eq_u32_e32 vcc, 1, v30
	s_xor_b64 s[8:9], vcc, -1
	s_and_b64 s[8:9], s[8:9], exec
	s_or_b64 s[0:1], s[0:1], s[8:9]
	s_or_b64 exec, exec, s[2:3]
	v_mov_b32_e32 v30, s6
	s_and_saveexec_b64 s[2:3], s[0:1]
	s_cbranch_execz .LBB91_125
.LBB91_348:
	ds_read_u8 v30, v10 offset:8194
	s_waitcnt lgkmcnt(0)
	v_xor_b32_e32 v30, 1, v30
	s_or_b64 exec, exec, s[2:3]
	v_cmp_eq_u32_e32 vcc, v30, v29
	s_and_saveexec_b64 s[0:1], vcc
	s_cbranch_execnz .LBB91_126
	s_branch .LBB91_127
.LBB91_349:
	ds_read_u8 v30, v7 offset:8192
	s_andn2_b64 s[0:1], s[0:1], exec
	s_mov_b32 s6, 1
	s_waitcnt lgkmcnt(0)
	v_and_b32_e32 v30, 1, v30
	v_cmp_eq_u32_e32 vcc, 1, v30
	s_xor_b64 s[8:9], vcc, -1
	s_and_b64 s[8:9], s[8:9], exec
	s_or_b64 s[0:1], s[0:1], s[8:9]
	s_or_b64 exec, exec, s[2:3]
	v_mov_b32_e32 v30, s6
	s_and_saveexec_b64 s[2:3], s[0:1]
	s_cbranch_execz .LBB91_129
.LBB91_350:
	ds_read_u8 v30, v8 offset:8193
	s_waitcnt lgkmcnt(0)
	v_xor_b32_e32 v30, 1, v30
	s_or_b64 exec, exec, s[2:3]
	v_cmp_eq_u32_e32 vcc, v30, v29
	s_and_saveexec_b64 s[0:1], vcc
	s_cbranch_execnz .LBB91_130
	s_branch .LBB91_131
.LBB91_351:
	ds_read_u8 v33, v26 offset:8192
	s_andn2_b64 s[0:1], s[0:1], exec
	s_mov_b32 s6, 1
	s_waitcnt lgkmcnt(0)
	v_and_b32_e32 v33, 1, v33
	v_cmp_eq_u32_e32 vcc, 1, v33
	s_xor_b64 s[8:9], vcc, -1
	s_and_b64 s[8:9], s[8:9], exec
	s_or_b64 s[0:1], s[0:1], s[8:9]
	s_or_b64 exec, exec, s[2:3]
	v_mov_b32_e32 v33, s6
	s_and_saveexec_b64 s[2:3], s[0:1]
	s_cbranch_execz .LBB91_139
.LBB91_352:
	ds_read_u8 v33, v26 offset:8256
	s_waitcnt lgkmcnt(0)
	v_xor_b32_e32 v33, 1, v33
	s_or_b64 exec, exec, s[2:3]
	v_cmp_eq_u32_e32 vcc, v33, v32
	s_and_saveexec_b64 s[0:1], vcc
	s_cbranch_execnz .LBB91_140
	s_branch .LBB91_141
.LBB91_353:
	ds_read_u8 v33, v23 offset:8192
	s_andn2_b64 s[0:1], s[0:1], exec
	s_mov_b32 s6, 1
	s_waitcnt lgkmcnt(0)
	v_and_b32_e32 v33, 1, v33
	v_cmp_eq_u32_e32 vcc, 1, v33
	s_xor_b64 s[8:9], vcc, -1
	s_and_b64 s[8:9], s[8:9], exec
	s_or_b64 s[0:1], s[0:1], s[8:9]
	s_or_b64 exec, exec, s[2:3]
	v_mov_b32_e32 v33, s6
	s_and_saveexec_b64 s[2:3], s[0:1]
	s_cbranch_execz .LBB91_143
.LBB91_354:
	ds_read_u8 v33, v23 offset:8224
	s_waitcnt lgkmcnt(0)
	v_xor_b32_e32 v33, 1, v33
	s_or_b64 exec, exec, s[2:3]
	v_cmp_eq_u32_e32 vcc, v33, v32
	s_and_saveexec_b64 s[0:1], vcc
	s_cbranch_execnz .LBB91_144
	s_branch .LBB91_145
.LBB91_355:
	ds_read_u8 v33, v20 offset:8192
	s_andn2_b64 s[0:1], s[0:1], exec
	s_mov_b32 s6, 1
	s_waitcnt lgkmcnt(0)
	v_and_b32_e32 v33, 1, v33
	v_cmp_eq_u32_e32 vcc, 1, v33
	s_xor_b64 s[8:9], vcc, -1
	s_and_b64 s[8:9], s[8:9], exec
	s_or_b64 s[0:1], s[0:1], s[8:9]
	s_or_b64 exec, exec, s[2:3]
	v_mov_b32_e32 v33, s6
	s_and_saveexec_b64 s[2:3], s[0:1]
	s_cbranch_execz .LBB91_147
.LBB91_356:
	ds_read_u8 v33, v20 offset:8208
	s_waitcnt lgkmcnt(0)
	v_xor_b32_e32 v33, 1, v33
	s_or_b64 exec, exec, s[2:3]
	v_cmp_eq_u32_e32 vcc, v33, v32
	s_and_saveexec_b64 s[0:1], vcc
	s_cbranch_execnz .LBB91_148
	s_branch .LBB91_149
.LBB91_357:
	ds_read_u8 v33, v17 offset:8192
	s_andn2_b64 s[0:1], s[0:1], exec
	s_mov_b32 s6, 1
	s_waitcnt lgkmcnt(0)
	v_and_b32_e32 v33, 1, v33
	v_cmp_eq_u32_e32 vcc, 1, v33
	s_xor_b64 s[8:9], vcc, -1
	s_and_b64 s[8:9], s[8:9], exec
	s_or_b64 s[0:1], s[0:1], s[8:9]
	s_or_b64 exec, exec, s[2:3]
	v_mov_b32_e32 v33, s6
	s_and_saveexec_b64 s[2:3], s[0:1]
	s_cbranch_execz .LBB91_151
.LBB91_358:
	ds_read_u8 v33, v17 offset:8200
	s_waitcnt lgkmcnt(0)
	v_xor_b32_e32 v33, 1, v33
	s_or_b64 exec, exec, s[2:3]
	v_cmp_eq_u32_e32 vcc, v33, v32
	s_and_saveexec_b64 s[0:1], vcc
	s_cbranch_execnz .LBB91_152
	s_branch .LBB91_153
.LBB91_359:
	ds_read_u8 v33, v13 offset:8192
	s_andn2_b64 s[0:1], s[0:1], exec
	s_mov_b32 s6, 1
	s_waitcnt lgkmcnt(0)
	v_and_b32_e32 v33, 1, v33
	v_cmp_eq_u32_e32 vcc, 1, v33
	s_xor_b64 s[8:9], vcc, -1
	s_and_b64 s[8:9], s[8:9], exec
	s_or_b64 s[0:1], s[0:1], s[8:9]
	s_or_b64 exec, exec, s[2:3]
	v_mov_b32_e32 v33, s6
	s_and_saveexec_b64 s[2:3], s[0:1]
	s_cbranch_execz .LBB91_155
.LBB91_360:
	ds_read_u8 v33, v13 offset:8196
	s_waitcnt lgkmcnt(0)
	v_xor_b32_e32 v33, 1, v33
	s_or_b64 exec, exec, s[2:3]
	v_cmp_eq_u32_e32 vcc, v33, v32
	s_and_saveexec_b64 s[0:1], vcc
	s_cbranch_execnz .LBB91_156
	s_branch .LBB91_157
.LBB91_361:
	ds_read_u8 v33, v10 offset:8192
	s_andn2_b64 s[0:1], s[0:1], exec
	s_mov_b32 s6, 1
	s_waitcnt lgkmcnt(0)
	v_and_b32_e32 v33, 1, v33
	v_cmp_eq_u32_e32 vcc, 1, v33
	s_xor_b64 s[8:9], vcc, -1
	s_and_b64 s[8:9], s[8:9], exec
	s_or_b64 s[0:1], s[0:1], s[8:9]
	s_or_b64 exec, exec, s[2:3]
	v_mov_b32_e32 v33, s6
	s_and_saveexec_b64 s[2:3], s[0:1]
	s_cbranch_execz .LBB91_159
.LBB91_362:
	ds_read_u8 v33, v10 offset:8194
	s_waitcnt lgkmcnt(0)
	v_xor_b32_e32 v33, 1, v33
	s_or_b64 exec, exec, s[2:3]
	v_cmp_eq_u32_e32 vcc, v33, v32
	s_and_saveexec_b64 s[0:1], vcc
	s_cbranch_execnz .LBB91_160
	s_branch .LBB91_161
.LBB91_363:
	ds_read_u8 v33, v7 offset:8192
	s_andn2_b64 s[0:1], s[0:1], exec
	s_mov_b32 s6, 1
	s_waitcnt lgkmcnt(0)
	v_and_b32_e32 v33, 1, v33
	v_cmp_eq_u32_e32 vcc, 1, v33
	s_xor_b64 s[8:9], vcc, -1
	s_and_b64 s[8:9], s[8:9], exec
	s_or_b64 s[0:1], s[0:1], s[8:9]
	s_or_b64 exec, exec, s[2:3]
	v_mov_b32_e32 v33, s6
	s_and_saveexec_b64 s[2:3], s[0:1]
	s_cbranch_execz .LBB91_163
.LBB91_364:
	ds_read_u8 v33, v8 offset:8193
	s_waitcnt lgkmcnt(0)
	v_xor_b32_e32 v33, 1, v33
	s_or_b64 exec, exec, s[2:3]
	v_cmp_eq_u32_e32 vcc, v33, v32
	s_and_saveexec_b64 s[0:1], vcc
	s_cbranch_execnz .LBB91_164
	s_branch .LBB91_165
.LBB91_365:
	ds_read_u8 v36, v29 offset:8192
	s_andn2_b64 s[0:1], s[0:1], exec
	s_mov_b32 s6, 1
	s_waitcnt lgkmcnt(0)
	v_and_b32_e32 v36, 1, v36
	v_cmp_eq_u32_e32 vcc, 1, v36
	s_xor_b64 s[8:9], vcc, -1
	s_and_b64 s[8:9], s[8:9], exec
	s_or_b64 s[0:1], s[0:1], s[8:9]
	s_or_b64 exec, exec, s[2:3]
	v_mov_b32_e32 v36, s6
	s_and_saveexec_b64 s[2:3], s[0:1]
	s_cbranch_execz .LBB91_173
.LBB91_366:
	ds_read_u8 v36, v29 offset:8320
	s_waitcnt lgkmcnt(0)
	v_xor_b32_e32 v36, 1, v36
	s_or_b64 exec, exec, s[2:3]
	v_cmp_eq_u32_e32 vcc, v36, v35
	s_and_saveexec_b64 s[0:1], vcc
	s_cbranch_execnz .LBB91_174
	s_branch .LBB91_175
.LBB91_367:
	ds_read_u8 v36, v26 offset:8192
	s_andn2_b64 s[0:1], s[0:1], exec
	s_mov_b32 s6, 1
	s_waitcnt lgkmcnt(0)
	v_and_b32_e32 v36, 1, v36
	v_cmp_eq_u32_e32 vcc, 1, v36
	s_xor_b64 s[8:9], vcc, -1
	s_and_b64 s[8:9], s[8:9], exec
	s_or_b64 s[0:1], s[0:1], s[8:9]
	s_or_b64 exec, exec, s[2:3]
	v_mov_b32_e32 v36, s6
	s_and_saveexec_b64 s[2:3], s[0:1]
	s_cbranch_execz .LBB91_177
.LBB91_368:
	ds_read_u8 v36, v26 offset:8256
	s_waitcnt lgkmcnt(0)
	v_xor_b32_e32 v36, 1, v36
	s_or_b64 exec, exec, s[2:3]
	v_cmp_eq_u32_e32 vcc, v36, v35
	s_and_saveexec_b64 s[0:1], vcc
	s_cbranch_execnz .LBB91_178
	s_branch .LBB91_179
.LBB91_369:
	ds_read_u8 v36, v23 offset:8192
	s_andn2_b64 s[0:1], s[0:1], exec
	s_mov_b32 s6, 1
	s_waitcnt lgkmcnt(0)
	v_and_b32_e32 v36, 1, v36
	v_cmp_eq_u32_e32 vcc, 1, v36
	s_xor_b64 s[8:9], vcc, -1
	s_and_b64 s[8:9], s[8:9], exec
	s_or_b64 s[0:1], s[0:1], s[8:9]
	s_or_b64 exec, exec, s[2:3]
	v_mov_b32_e32 v36, s6
	s_and_saveexec_b64 s[2:3], s[0:1]
	s_cbranch_execz .LBB91_181
.LBB91_370:
	ds_read_u8 v36, v23 offset:8224
	s_waitcnt lgkmcnt(0)
	v_xor_b32_e32 v36, 1, v36
	s_or_b64 exec, exec, s[2:3]
	v_cmp_eq_u32_e32 vcc, v36, v35
	s_and_saveexec_b64 s[0:1], vcc
	s_cbranch_execnz .LBB91_182
	s_branch .LBB91_183
.LBB91_371:
	ds_read_u8 v36, v20 offset:8192
	s_andn2_b64 s[0:1], s[0:1], exec
	s_mov_b32 s6, 1
	s_waitcnt lgkmcnt(0)
	v_and_b32_e32 v36, 1, v36
	v_cmp_eq_u32_e32 vcc, 1, v36
	s_xor_b64 s[8:9], vcc, -1
	s_and_b64 s[8:9], s[8:9], exec
	s_or_b64 s[0:1], s[0:1], s[8:9]
	s_or_b64 exec, exec, s[2:3]
	v_mov_b32_e32 v36, s6
	s_and_saveexec_b64 s[2:3], s[0:1]
	s_cbranch_execz .LBB91_185
.LBB91_372:
	ds_read_u8 v36, v20 offset:8208
	s_waitcnt lgkmcnt(0)
	v_xor_b32_e32 v36, 1, v36
	s_or_b64 exec, exec, s[2:3]
	v_cmp_eq_u32_e32 vcc, v36, v35
	s_and_saveexec_b64 s[0:1], vcc
	s_cbranch_execnz .LBB91_186
	s_branch .LBB91_187
.LBB91_373:
	ds_read_u8 v36, v17 offset:8192
	s_andn2_b64 s[0:1], s[0:1], exec
	s_mov_b32 s6, 1
	s_waitcnt lgkmcnt(0)
	v_and_b32_e32 v36, 1, v36
	v_cmp_eq_u32_e32 vcc, 1, v36
	s_xor_b64 s[8:9], vcc, -1
	s_and_b64 s[8:9], s[8:9], exec
	s_or_b64 s[0:1], s[0:1], s[8:9]
	s_or_b64 exec, exec, s[2:3]
	v_mov_b32_e32 v36, s6
	s_and_saveexec_b64 s[2:3], s[0:1]
	s_cbranch_execz .LBB91_189
.LBB91_374:
	ds_read_u8 v36, v17 offset:8200
	s_waitcnt lgkmcnt(0)
	v_xor_b32_e32 v36, 1, v36
	s_or_b64 exec, exec, s[2:3]
	v_cmp_eq_u32_e32 vcc, v36, v35
	s_and_saveexec_b64 s[0:1], vcc
	s_cbranch_execnz .LBB91_190
	s_branch .LBB91_191
.LBB91_375:
	ds_read_u8 v36, v13 offset:8192
	s_andn2_b64 s[0:1], s[0:1], exec
	s_mov_b32 s6, 1
	s_waitcnt lgkmcnt(0)
	v_and_b32_e32 v36, 1, v36
	v_cmp_eq_u32_e32 vcc, 1, v36
	s_xor_b64 s[8:9], vcc, -1
	s_and_b64 s[8:9], s[8:9], exec
	s_or_b64 s[0:1], s[0:1], s[8:9]
	s_or_b64 exec, exec, s[2:3]
	v_mov_b32_e32 v36, s6
	s_and_saveexec_b64 s[2:3], s[0:1]
	s_cbranch_execz .LBB91_193
.LBB91_376:
	ds_read_u8 v36, v13 offset:8196
	s_waitcnt lgkmcnt(0)
	v_xor_b32_e32 v36, 1, v36
	s_or_b64 exec, exec, s[2:3]
	v_cmp_eq_u32_e32 vcc, v36, v35
	s_and_saveexec_b64 s[0:1], vcc
	s_cbranch_execnz .LBB91_194
	s_branch .LBB91_195
.LBB91_377:
	ds_read_u8 v36, v10 offset:8192
	s_andn2_b64 s[0:1], s[0:1], exec
	s_mov_b32 s6, 1
	s_waitcnt lgkmcnt(0)
	v_and_b32_e32 v36, 1, v36
	v_cmp_eq_u32_e32 vcc, 1, v36
	s_xor_b64 s[8:9], vcc, -1
	s_and_b64 s[8:9], s[8:9], exec
	s_or_b64 s[0:1], s[0:1], s[8:9]
	s_or_b64 exec, exec, s[2:3]
	v_mov_b32_e32 v36, s6
	s_and_saveexec_b64 s[2:3], s[0:1]
	s_cbranch_execz .LBB91_197
.LBB91_378:
	ds_read_u8 v36, v10 offset:8194
	s_waitcnt lgkmcnt(0)
	v_xor_b32_e32 v36, 1, v36
	s_or_b64 exec, exec, s[2:3]
	v_cmp_eq_u32_e32 vcc, v36, v35
	s_and_saveexec_b64 s[0:1], vcc
	s_cbranch_execnz .LBB91_198
	s_branch .LBB91_199
.LBB91_379:
	ds_read_u8 v36, v7 offset:8192
	s_andn2_b64 s[0:1], s[0:1], exec
	s_mov_b32 s6, 1
	s_waitcnt lgkmcnt(0)
	v_and_b32_e32 v36, 1, v36
	v_cmp_eq_u32_e32 vcc, 1, v36
	s_xor_b64 s[8:9], vcc, -1
	s_and_b64 s[8:9], s[8:9], exec
	s_or_b64 s[0:1], s[0:1], s[8:9]
	s_or_b64 exec, exec, s[2:3]
	v_mov_b32_e32 v36, s6
	s_and_saveexec_b64 s[2:3], s[0:1]
	s_cbranch_execz .LBB91_201
.LBB91_380:
	ds_read_u8 v36, v8 offset:8193
	s_waitcnt lgkmcnt(0)
	v_xor_b32_e32 v36, 1, v36
	s_or_b64 exec, exec, s[2:3]
	v_cmp_eq_u32_e32 vcc, v36, v35
	s_and_saveexec_b64 s[0:1], vcc
	s_cbranch_execnz .LBB91_202
	s_branch .LBB91_203
.LBB91_381:
	ds_read_u8 v38, v35 offset:8192
	s_andn2_b64 s[0:1], s[0:1], exec
	s_mov_b32 s6, 1
	s_waitcnt lgkmcnt(0)
	v_and_b32_e32 v38, 1, v38
	v_cmp_eq_u32_e32 vcc, 1, v38
	s_xor_b64 s[8:9], vcc, -1
	s_and_b64 s[8:9], s[8:9], exec
	s_or_b64 s[0:1], s[0:1], s[8:9]
	s_or_b64 exec, exec, s[2:3]
	v_mov_b32_e32 v38, s6
	s_and_saveexec_b64 s[2:3], s[0:1]
	s_cbranch_execz .LBB91_205
.LBB91_382:
	ds_read_u8 v38, v35 offset:8704
	s_waitcnt lgkmcnt(0)
	v_xor_b32_e32 v38, 1, v38
	s_or_b64 exec, exec, s[2:3]
	v_cmp_eq_u32_e32 vcc, 0, v38
	s_and_saveexec_b64 s[0:1], vcc
	s_cbranch_execnz .LBB91_206
	s_branch .LBB91_207
.LBB91_383:
	ds_read_u8 v35, v32 offset:8192
	s_andn2_b64 s[0:1], s[0:1], exec
	s_mov_b32 s6, 1
	s_waitcnt lgkmcnt(0)
	v_and_b32_e32 v35, 1, v35
	v_cmp_eq_u32_e32 vcc, 1, v35
	s_xor_b64 s[8:9], vcc, -1
	s_and_b64 s[8:9], s[8:9], exec
	s_or_b64 s[0:1], s[0:1], s[8:9]
	s_or_b64 exec, exec, s[2:3]
	v_mov_b32_e32 v35, s6
	s_and_saveexec_b64 s[2:3], s[0:1]
	s_cbranch_execz .LBB91_209
.LBB91_384:
	ds_read_u8 v35, v32 offset:8448
	s_waitcnt lgkmcnt(0)
	v_xor_b32_e32 v35, 1, v35
	s_or_b64 exec, exec, s[2:3]
	v_cmp_eq_u32_e32 vcc, 0, v35
	s_and_saveexec_b64 s[0:1], vcc
	s_cbranch_execnz .LBB91_210
	s_branch .LBB91_211
.LBB91_385:
	ds_read_u8 v32, v29 offset:8192
	s_andn2_b64 s[0:1], s[0:1], exec
	s_mov_b32 s6, 1
	s_waitcnt lgkmcnt(0)
	v_and_b32_e32 v32, 1, v32
	v_cmp_eq_u32_e32 vcc, 1, v32
	s_xor_b64 s[8:9], vcc, -1
	s_and_b64 s[8:9], s[8:9], exec
	s_or_b64 s[0:1], s[0:1], s[8:9]
	s_or_b64 exec, exec, s[2:3]
	v_mov_b32_e32 v32, s6
	s_and_saveexec_b64 s[2:3], s[0:1]
	s_cbranch_execz .LBB91_213
.LBB91_386:
	ds_read_u8 v32, v29 offset:8320
	s_waitcnt lgkmcnt(0)
	v_xor_b32_e32 v32, 1, v32
	s_or_b64 exec, exec, s[2:3]
	v_cmp_eq_u32_e32 vcc, 0, v32
	s_and_saveexec_b64 s[0:1], vcc
	s_cbranch_execnz .LBB91_214
	s_branch .LBB91_215
.LBB91_387:
	ds_read_b32 v4, v13 offset:8192
	s_or_b64 exec, exec, s[12:13]
	s_and_saveexec_b64 s[12:13], s[10:11]
	s_cbranch_execz .LBB91_296
.LBB91_388:
	ds_read_b32 v3, v13 offset:8196
	s_or_b64 exec, exec, s[12:13]
	s_and_saveexec_b64 s[20:21], s[0:1]
	s_cbranch_execz .LBB91_297
.LBB91_389:
	s_waitcnt lgkmcnt(0)
	ds_bpermute_b32 v5, v1, v4
	ds_bpermute_b32 v7, v1, v3
	s_waitcnt lgkmcnt(1)
	v_max_u32_e32 v14, v5, v4
	v_cmp_gt_u32_e64 s[12:13], v5, v4
	ds_bpermute_b32 v15, v8, v14
	s_waitcnt lgkmcnt(1)
	v_cndmask_b32_e64 v3, v3, v7, s[12:13]
	ds_bpermute_b32 v4, v8, v3
	s_waitcnt lgkmcnt(1)
	v_max_u32_e32 v5, v15, v14
	v_cmp_gt_u32_e64 s[12:13], v15, v14
	ds_bpermute_b32 v7, v9, v5
	s_waitcnt lgkmcnt(1)
	v_cndmask_b32_e64 v3, v3, v4, s[12:13]
	ds_bpermute_b32 v4, v9, v3
	s_waitcnt lgkmcnt(1)
	v_max_u32_e32 v14, v7, v5
	v_cmp_gt_u32_e64 s[12:13], v7, v5
	ds_bpermute_b32 v15, v10, v14
	s_waitcnt lgkmcnt(1)
	v_cndmask_b32_e64 v3, v3, v4, s[12:13]
	ds_bpermute_b32 v4, v10, v3
	s_waitcnt lgkmcnt(1)
	v_max_u32_e32 v5, v15, v14
	v_cmp_gt_u32_e64 s[12:13], v15, v14
	ds_bpermute_b32 v7, v11, v5
	s_waitcnt lgkmcnt(1)
	v_cndmask_b32_e64 v3, v3, v4, s[12:13]
	ds_bpermute_b32 v4, v11, v3
	s_waitcnt lgkmcnt(1)
	v_max_u32_e32 v14, v7, v5
	v_cmp_gt_u32_e64 s[12:13], v7, v5
	s_waitcnt lgkmcnt(0)
	v_cndmask_b32_e64 v3, v3, v4, s[12:13]
	ds_bpermute_b32 v4, v12, v14
	ds_bpermute_b32 v5, v12, v3
	s_waitcnt lgkmcnt(1)
	v_cmp_gt_u32_e64 s[12:13], v4, v14
	s_waitcnt lgkmcnt(0)
	v_cndmask_b32_e64 v3, v3, v5, s[12:13]
	s_or_b64 exec, exec, s[20:21]
	s_and_saveexec_b64 s[12:13], vcc
	s_cbranch_execnz .LBB91_298
	s_branch .LBB91_299
.LBB91_390:
	v_lshlrev_b32_e32 v0, 2, v16
	v_sub_u32_e32 v0, v13, v0
	ds_read_b32 v0, v0
	s_or_b64 exec, exec, s[2:3]
	s_and_saveexec_b64 s[2:3], s[0:1]
	s_cbranch_execz .LBB91_307
.LBB91_391:
	s_waitcnt lgkmcnt(0)
	ds_bpermute_b32 v1, v1, v0
	s_waitcnt lgkmcnt(0)
	v_max_u32_e32 v0, v1, v0
	ds_bpermute_b32 v1, v8, v0
	s_waitcnt lgkmcnt(0)
	v_max_u32_e32 v0, v1, v0
	;; [unrolled: 3-line block ×6, first 2 shown]
	s_or_b64 exec, exec, s[2:3]
	s_and_saveexec_b64 s[0:1], vcc
	s_cbranch_execz .LBB91_308
.LBB91_392:
	s_load_dword s6, s[4:5], 0xd8
	s_load_dwordx2 s[0:1], s[4:5], 0xe0
	s_add_u32 s2, s4, 8
	s_addc_u32 s3, s5, 0
	s_mov_b32 s5, 0
	s_waitcnt lgkmcnt(0)
	s_cmp_lt_i32 s6, 2
	s_cbranch_scc1 .LBB91_395
; %bb.393:
	s_add_i32 s4, s6, -1
	s_add_i32 s8, s6, 1
	s_lshl_b64 s[6:7], s[4:5], 2
	s_add_u32 s4, s6, s2
	s_addc_u32 s7, s7, s3
	s_add_u32 s6, s4, 8
	s_addc_u32 s7, s7, 0
.LBB91_394:                             ; =>This Inner Loop Header: Depth=1
	s_load_dword s4, s[6:7], 0x0
	s_load_dword s10, s[6:7], 0x64
	s_mov_b32 s9, s14
	s_waitcnt lgkmcnt(0)
	v_cvt_f32_u32_e32 v1, s4
	s_sub_i32 s11, 0, s4
	v_rcp_iflag_f32_e32 v1, v1
	v_mul_f32_e32 v1, 0x4f7ffffe, v1
	v_cvt_u32_f32_e32 v1, v1
	v_readfirstlane_b32 s12, v1
	s_mul_i32 s11, s11, s12
	s_mul_hi_u32 s11, s12, s11
	s_add_i32 s12, s12, s11
	s_mul_hi_u32 s11, s14, s12
	s_mul_i32 s12, s11, s4
	s_sub_i32 s12, s14, s12
	s_add_i32 s13, s11, 1
	s_sub_i32 s14, s12, s4
	s_cmp_ge_u32 s12, s4
	s_cselect_b32 s11, s13, s11
	s_cselect_b32 s12, s14, s12
	s_add_i32 s13, s11, 1
	s_cmp_ge_u32 s12, s4
	s_cselect_b32 s14, s13, s11
	s_mul_i32 s4, s14, s4
	s_sub_i32 s4, s9, s4
	s_mul_i32 s4, s10, s4
	s_add_i32 s8, s8, -1
	s_add_i32 s5, s4, s5
	s_add_u32 s6, s6, -4
	s_addc_u32 s7, s7, -1
	s_cmp_gt_u32 s8, 2
	s_cbranch_scc1 .LBB91_394
.LBB91_395:
	s_load_dword s4, s[2:3], 0x6c
	s_mov_b32 s7, 0
	s_load_dwordx2 s[2:3], s[2:3], 0x0
	v_mov_b32_e32 v1, 0
	ds_read_b64 v[2:3], v1
	s_waitcnt lgkmcnt(0)
	s_mul_i32 s4, s4, s14
	s_add_i32 s6, s4, s5
	s_lshl_b64 s[4:5], s[6:7], 3
	s_add_u32 s2, s2, s4
	s_addc_u32 s3, s3, s5
	s_add_u32 s0, s0, s4
	s_addc_u32 s1, s1, s5
	global_store_dwordx2 v1, v[2:3], s[2:3]
	global_store_dwordx2 v1, v[0:1], s[0:1]
	s_endpgm
	.section	.rodata,"a",@progbits
	.p2align	6, 0x0
	.amdhsa_kernel _ZN2at6native12compute_modeIdLj1024EEEvPKT_NS_4cuda6detail10TensorInfoIS2_jEENS7_IljEEll
		.amdhsa_group_segment_fixed_size 8
		.amdhsa_private_segment_fixed_size 0
		.amdhsa_kernarg_size 712
		.amdhsa_user_sgpr_count 6
		.amdhsa_user_sgpr_private_segment_buffer 1
		.amdhsa_user_sgpr_dispatch_ptr 0
		.amdhsa_user_sgpr_queue_ptr 0
		.amdhsa_user_sgpr_kernarg_segment_ptr 1
		.amdhsa_user_sgpr_dispatch_id 0
		.amdhsa_user_sgpr_flat_scratch_init 0
		.amdhsa_user_sgpr_kernarg_preload_length 0
		.amdhsa_user_sgpr_kernarg_preload_offset 0
		.amdhsa_user_sgpr_private_segment_size 0
		.amdhsa_uses_dynamic_stack 0
		.amdhsa_system_sgpr_private_segment_wavefront_offset 0
		.amdhsa_system_sgpr_workgroup_id_x 1
		.amdhsa_system_sgpr_workgroup_id_y 1
		.amdhsa_system_sgpr_workgroup_id_z 1
		.amdhsa_system_sgpr_workgroup_info 0
		.amdhsa_system_vgpr_workitem_id 0
		.amdhsa_next_free_vgpr 40
		.amdhsa_next_free_sgpr 22
		.amdhsa_accum_offset 40
		.amdhsa_reserve_vcc 1
		.amdhsa_reserve_flat_scratch 0
		.amdhsa_float_round_mode_32 0
		.amdhsa_float_round_mode_16_64 0
		.amdhsa_float_denorm_mode_32 3
		.amdhsa_float_denorm_mode_16_64 3
		.amdhsa_dx10_clamp 1
		.amdhsa_ieee_mode 1
		.amdhsa_fp16_overflow 0
		.amdhsa_tg_split 0
		.amdhsa_exception_fp_ieee_invalid_op 0
		.amdhsa_exception_fp_denorm_src 0
		.amdhsa_exception_fp_ieee_div_zero 0
		.amdhsa_exception_fp_ieee_overflow 0
		.amdhsa_exception_fp_ieee_underflow 0
		.amdhsa_exception_fp_ieee_inexact 0
		.amdhsa_exception_int_div_zero 0
	.end_amdhsa_kernel
	.section	.text._ZN2at6native12compute_modeIdLj1024EEEvPKT_NS_4cuda6detail10TensorInfoIS2_jEENS7_IljEEll,"axG",@progbits,_ZN2at6native12compute_modeIdLj1024EEEvPKT_NS_4cuda6detail10TensorInfoIS2_jEENS7_IljEEll,comdat
.Lfunc_end91:
	.size	_ZN2at6native12compute_modeIdLj1024EEEvPKT_NS_4cuda6detail10TensorInfoIS2_jEENS7_IljEEll, .Lfunc_end91-_ZN2at6native12compute_modeIdLj1024EEEvPKT_NS_4cuda6detail10TensorInfoIS2_jEENS7_IljEEll
                                        ; -- End function
	.section	.AMDGPU.csdata,"",@progbits
; Kernel info:
; codeLenInByte = 17308
; NumSgprs: 26
; NumVgprs: 40
; NumAgprs: 0
; TotalNumVgprs: 40
; ScratchSize: 0
; MemoryBound: 0
; FloatMode: 240
; IeeeMode: 1
; LDSByteSize: 8 bytes/workgroup (compile time only)
; SGPRBlocks: 3
; VGPRBlocks: 4
; NumSGPRsForWavesPerEU: 26
; NumVGPRsForWavesPerEU: 40
; AccumOffset: 40
; Occupancy: 8
; WaveLimiterHint : 1
; COMPUTE_PGM_RSRC2:SCRATCH_EN: 0
; COMPUTE_PGM_RSRC2:USER_SGPR: 6
; COMPUTE_PGM_RSRC2:TRAP_HANDLER: 0
; COMPUTE_PGM_RSRC2:TGID_X_EN: 1
; COMPUTE_PGM_RSRC2:TGID_Y_EN: 1
; COMPUTE_PGM_RSRC2:TGID_Z_EN: 1
; COMPUTE_PGM_RSRC2:TIDIG_COMP_CNT: 0
; COMPUTE_PGM_RSRC3_GFX90A:ACCUM_OFFSET: 9
; COMPUTE_PGM_RSRC3_GFX90A:TG_SPLIT: 0
	.section	.text._ZN2at6native12compute_modeIdLj128EEEvPKT_NS_4cuda6detail10TensorInfoIS2_jEENS7_IljEEll,"axG",@progbits,_ZN2at6native12compute_modeIdLj128EEEvPKT_NS_4cuda6detail10TensorInfoIS2_jEENS7_IljEEll,comdat
	.protected	_ZN2at6native12compute_modeIdLj128EEEvPKT_NS_4cuda6detail10TensorInfoIS2_jEENS7_IljEEll ; -- Begin function _ZN2at6native12compute_modeIdLj128EEEvPKT_NS_4cuda6detail10TensorInfoIS2_jEENS7_IljEEll
	.globl	_ZN2at6native12compute_modeIdLj128EEEvPKT_NS_4cuda6detail10TensorInfoIS2_jEENS7_IljEEll
	.p2align	8
	.type	_ZN2at6native12compute_modeIdLj128EEEvPKT_NS_4cuda6detail10TensorInfoIS2_jEENS7_IljEEll,@function
_ZN2at6native12compute_modeIdLj128EEEvPKT_NS_4cuda6detail10TensorInfoIS2_jEENS7_IljEEll: ; @_ZN2at6native12compute_modeIdLj128EEEvPKT_NS_4cuda6detail10TensorInfoIS2_jEENS7_IljEEll
; %bb.0:
	s_load_dwordx4 s[16:19], s[4:5], 0x1b8
	s_load_dwordx2 s[2:3], s[4:5], 0x1c8
	s_add_u32 s0, s4, 0x1c8
	s_addc_u32 s1, s5, 0
	s_mov_b32 s15, 0
	s_waitcnt lgkmcnt(0)
	v_mov_b32_e32 v2, s18
	s_mul_i32 s3, s3, s8
	s_add_i32 s3, s3, s7
	s_mul_i32 s2, s3, s2
	v_mov_b32_e32 v3, s19
	s_add_i32 s14, s2, s6
	v_cmp_ge_i64_e32 vcc, s[14:15], v[2:3]
	s_cbranch_vccnz .LBB92_182
; %bb.1:
	s_load_dwordx2 s[18:19], s[4:5], 0x0
	s_load_dword s6, s[0:1], 0xc
	v_mov_b32_e32 v3, 0
	v_mov_b32_e32 v1, v3
	s_mul_i32 s15, s14, s16
	v_cmp_gt_i64_e32 vcc, s[16:17], v[0:1]
	s_and_saveexec_b64 s[2:3], vcc
	s_cbranch_execz .LBB92_3
; %bb.2:
	v_add_u32_e32 v2, s15, v0
	v_lshlrev_b64 v[4:5], 3, v[2:3]
	s_waitcnt lgkmcnt(0)
	v_mov_b32_e32 v1, s19
	v_add_co_u32_e64 v4, s[0:1], s18, v4
	v_addc_co_u32_e64 v5, s[0:1], v1, v5, s[0:1]
	global_load_dwordx2 v[4:5], v[4:5], off
	v_lshl_add_u32 v1, v0, 3, 8
	s_waitcnt vmcnt(0)
	ds_write_b64 v1, v[4:5]
.LBB92_3:
	s_or_b64 exec, exec, s[2:3]
	s_waitcnt lgkmcnt(0)
	s_and_b32 s20, 0xffff, s6
	v_add_u32_e32 v2, s20, v0
	v_cmp_gt_i64_e64 s[0:1], s[16:17], v[2:3]
	s_and_saveexec_b64 s[6:7], s[0:1]
	s_cbranch_execz .LBB92_5
; %bb.4:
	v_add_u32_e32 v4, s15, v2
	v_mov_b32_e32 v5, 0
	v_lshlrev_b64 v[4:5], 3, v[4:5]
	v_mov_b32_e32 v1, s19
	v_add_co_u32_e64 v4, s[2:3], s18, v4
	v_addc_co_u32_e64 v5, s[2:3], v1, v5, s[2:3]
	global_load_dwordx2 v[4:5], v[4:5], off
	v_lshl_add_u32 v1, v2, 3, 8
	s_waitcnt vmcnt(0)
	ds_write_b64 v1, v[4:5]
.LBB92_5:
	s_or_b64 exec, exec, s[6:7]
	v_add_u32_e32 v1, 8, v0
	v_cndmask_b32_e64 v2, 0, 1, vcc
	ds_write_b8 v1, v2 offset:1024
	v_add_u32_e32 v2, s20, v1
	v_cndmask_b32_e64 v3, 0, 1, s[0:1]
	v_mad_u32_u24 v1, v0, 15, v1
	ds_write_b8 v2, v3 offset:1024
	s_waitcnt lgkmcnt(0)
	s_barrier
	s_barrier
	ds_read2_b64 v[2:5], v1 offset1:1
	s_mov_b32 s6, 1
	v_mad_i32_i24 v7, v0, -14, v1
	s_waitcnt lgkmcnt(0)
	v_cmp_nlt_f64_e64 s[0:1], v[2:3], v[4:5]
	v_cmp_lt_f64_e32 vcc, v[2:3], v[4:5]
	s_and_saveexec_b64 s[2:3], vcc
	s_cbranch_execz .LBB92_7
; %bb.6:
	ds_read_u8 v6, v7 offset:1024
	s_andn2_b64 s[0:1], s[0:1], exec
	s_waitcnt lgkmcnt(0)
	v_and_b32_e32 v6, 1, v6
	v_cmp_eq_u32_e32 vcc, 1, v6
	s_xor_b64 s[8:9], vcc, -1
	s_and_b64 s[8:9], s[8:9], exec
	s_or_b64 s[0:1], s[0:1], s[8:9]
.LBB92_7:
	s_or_b64 exec, exec, s[2:3]
	v_lshlrev_b32_e32 v6, 1, v0
	v_mov_b32_e32 v11, s6
	v_add_u32_e32 v8, 8, v6
	s_and_saveexec_b64 s[2:3], s[0:1]
	s_cbranch_execz .LBB92_9
; %bb.8:
	ds_read_u8 v9, v8 offset:1025
	s_waitcnt lgkmcnt(0)
	v_xor_b32_e32 v11, 1, v9
.LBB92_9:
	s_or_b64 exec, exec, s[2:3]
	v_and_b32_e32 v10, 1, v0
	v_mul_u32_u24_e32 v9, 14, v0
	v_cmp_eq_u32_e32 vcc, v11, v10
	s_and_saveexec_b64 s[0:1], vcc
	s_cbranch_execz .LBB92_11
; %bb.10:
	ds_read_u8 v11, v8 offset:1025
	ds_read_u8 v12, v7 offset:1024
	ds_write_b64 v1, v[4:5]
	v_add_u32_e32 v4, v7, v9
	ds_write_b64 v4, v[2:3] offset:8
	s_waitcnt lgkmcnt(3)
	ds_write_b8 v7, v11 offset:1024
	s_waitcnt lgkmcnt(3)
	ds_write_b8 v8, v12 offset:1025
.LBB92_11:
	s_or_b64 exec, exec, s[0:1]
	v_sub_u32_e32 v12, v6, v10
	v_add_u32_e32 v10, 8, v12
	v_lshl_add_u32 v11, v12, 3, 8
	v_mad_i32_i24 v4, v12, 7, v10
	s_waitcnt lgkmcnt(0)
	s_barrier
	ds_read_b64 v[2:3], v11
	ds_read_b64 v[4:5], v4 offset:16
	s_mov_b64 s[0:1], -1
                                        ; implicit-def: $sgpr6
	s_waitcnt lgkmcnt(0)
	v_cmp_lt_f64_e32 vcc, v[2:3], v[4:5]
	s_and_saveexec_b64 s[2:3], vcc
	s_xor_b64 s[2:3], exec, s[2:3]
	s_cbranch_execz .LBB92_13
; %bb.12:
	ds_read_u8 v13, v10 offset:1024
	s_mov_b32 s6, 1
	s_waitcnt lgkmcnt(0)
	v_and_b32_e32 v13, 1, v13
	v_cmp_eq_u32_e32 vcc, 1, v13
	s_xor_b64 s[0:1], vcc, -1
	s_orn2_b64 s[0:1], s[0:1], exec
.LBB92_13:
	s_or_b64 exec, exec, s[2:3]
	v_mul_i32_i24_e32 v12, 7, v12
	v_mov_b32_e32 v14, s6
	s_and_saveexec_b64 s[2:3], s[0:1]
	s_cbranch_execz .LBB92_15
; %bb.14:
	ds_read_u8 v13, v10 offset:1026
	s_waitcnt lgkmcnt(0)
	v_xor_b32_e32 v14, 1, v13
.LBB92_15:
	s_or_b64 exec, exec, s[2:3]
	v_bfe_u32 v13, v0, 1, 1
	v_cmp_eq_u32_e32 vcc, v14, v13
	v_add_u32_e32 v12, v10, v12
	s_and_saveexec_b64 s[0:1], vcc
	s_cbranch_execz .LBB92_17
; %bb.16:
	ds_read_u8 v14, v10 offset:1026
	ds_read_u8 v15, v10 offset:1024
	ds_write_b64 v11, v[4:5]
	ds_write_b64 v12, v[2:3] offset:16
	s_waitcnt lgkmcnt(3)
	ds_write_b8 v10, v14 offset:1024
	s_waitcnt lgkmcnt(3)
	ds_write_b8 v10, v15 offset:1026
.LBB92_17:
	s_or_b64 exec, exec, s[0:1]
	s_waitcnt lgkmcnt(0)
	s_barrier
	ds_read2_b64 v[2:5], v1 offset1:1
                                        ; implicit-def: $sgpr6
	s_waitcnt lgkmcnt(0)
	v_cmp_nlt_f64_e64 s[0:1], v[2:3], v[4:5]
	v_cmp_lt_f64_e32 vcc, v[2:3], v[4:5]
	s_and_saveexec_b64 s[2:3], vcc
	s_cbranch_execnz .LBB92_183
; %bb.18:
	s_or_b64 exec, exec, s[2:3]
	v_mov_b32_e32 v14, s6
	s_and_saveexec_b64 s[2:3], s[0:1]
	s_cbranch_execnz .LBB92_184
.LBB92_19:
	s_or_b64 exec, exec, s[2:3]
	v_cmp_eq_u32_e32 vcc, v14, v13
	s_and_saveexec_b64 s[0:1], vcc
	s_cbranch_execz .LBB92_21
.LBB92_20:
	ds_read_u8 v13, v8 offset:1025
	ds_read_u8 v14, v7 offset:1024
	ds_write_b64 v1, v[4:5]
	v_add_u32_e32 v4, v7, v9
	ds_write_b64 v4, v[2:3] offset:8
	s_waitcnt lgkmcnt(3)
	ds_write_b8 v7, v13 offset:1024
	s_waitcnt lgkmcnt(3)
	ds_write_b8 v8, v14 offset:1025
.LBB92_21:
	s_or_b64 exec, exec, s[0:1]
	v_and_b32_e32 v2, 3, v0
	v_sub_u32_e32 v15, v6, v2
	v_add_u32_e32 v13, 8, v15
	v_lshl_add_u32 v14, v15, 3, 8
	v_mad_i32_i24 v4, v15, 7, v13
	s_waitcnt lgkmcnt(0)
	s_barrier
	ds_read_b64 v[2:3], v14
	ds_read_b64 v[4:5], v4 offset:32
                                        ; implicit-def: $sgpr6
	s_waitcnt lgkmcnt(0)
	v_cmp_nlt_f64_e64 s[0:1], v[2:3], v[4:5]
	v_cmp_lt_f64_e32 vcc, v[2:3], v[4:5]
	s_and_saveexec_b64 s[2:3], vcc
	s_cbranch_execz .LBB92_23
; %bb.22:
	ds_read_u8 v16, v13 offset:1024
	s_andn2_b64 s[0:1], s[0:1], exec
	s_mov_b32 s6, 1
	s_waitcnt lgkmcnt(0)
	v_and_b32_e32 v16, 1, v16
	v_cmp_eq_u32_e32 vcc, 1, v16
	s_xor_b64 s[8:9], vcc, -1
	s_and_b64 s[8:9], s[8:9], exec
	s_or_b64 s[0:1], s[0:1], s[8:9]
.LBB92_23:
	s_or_b64 exec, exec, s[2:3]
	v_mul_i32_i24_e32 v15, 7, v15
	v_mov_b32_e32 v17, s6
	s_and_saveexec_b64 s[2:3], s[0:1]
	s_cbranch_execz .LBB92_25
; %bb.24:
	ds_read_u8 v16, v13 offset:1028
	s_waitcnt lgkmcnt(0)
	v_xor_b32_e32 v17, 1, v16
.LBB92_25:
	s_or_b64 exec, exec, s[2:3]
	v_bfe_u32 v16, v0, 2, 1
	v_cmp_eq_u32_e32 vcc, v17, v16
	v_add_u32_e32 v15, v13, v15
	s_and_saveexec_b64 s[0:1], vcc
	s_cbranch_execz .LBB92_27
; %bb.26:
	ds_read_u8 v17, v13 offset:1028
	ds_read_u8 v18, v13 offset:1024
	ds_write_b64 v14, v[4:5]
	ds_write_b64 v15, v[2:3] offset:32
	s_waitcnt lgkmcnt(3)
	ds_write_b8 v13, v17 offset:1024
	s_waitcnt lgkmcnt(3)
	ds_write_b8 v13, v18 offset:1028
.LBB92_27:
	s_or_b64 exec, exec, s[0:1]
	s_waitcnt lgkmcnt(0)
	s_barrier
	ds_read_b64 v[2:3], v11
	ds_read_b64 v[4:5], v12 offset:16
                                        ; implicit-def: $sgpr6
	s_waitcnt lgkmcnt(0)
	v_cmp_nlt_f64_e64 s[0:1], v[2:3], v[4:5]
	v_cmp_lt_f64_e32 vcc, v[2:3], v[4:5]
	s_and_saveexec_b64 s[2:3], vcc
	s_cbranch_execnz .LBB92_185
; %bb.28:
	s_or_b64 exec, exec, s[2:3]
	v_mov_b32_e32 v17, s6
	s_and_saveexec_b64 s[2:3], s[0:1]
	s_cbranch_execnz .LBB92_186
.LBB92_29:
	s_or_b64 exec, exec, s[2:3]
	v_cmp_eq_u32_e32 vcc, v17, v16
	s_and_saveexec_b64 s[0:1], vcc
	s_cbranch_execz .LBB92_31
.LBB92_30:
	ds_read_u8 v17, v10 offset:1026
	ds_read_u8 v18, v10 offset:1024
	ds_write_b64 v11, v[4:5]
	ds_write_b64 v12, v[2:3] offset:16
	s_waitcnt lgkmcnt(3)
	ds_write_b8 v10, v17 offset:1024
	s_waitcnt lgkmcnt(3)
	ds_write_b8 v10, v18 offset:1026
.LBB92_31:
	s_or_b64 exec, exec, s[0:1]
	s_waitcnt lgkmcnt(0)
	s_barrier
	ds_read2_b64 v[2:5], v1 offset1:1
                                        ; implicit-def: $sgpr6
	s_waitcnt lgkmcnt(0)
	v_cmp_nlt_f64_e64 s[0:1], v[2:3], v[4:5]
	v_cmp_lt_f64_e32 vcc, v[2:3], v[4:5]
	s_and_saveexec_b64 s[2:3], vcc
	s_cbranch_execnz .LBB92_187
; %bb.32:
	s_or_b64 exec, exec, s[2:3]
	v_mov_b32_e32 v17, s6
	s_and_saveexec_b64 s[2:3], s[0:1]
	s_cbranch_execnz .LBB92_188
.LBB92_33:
	s_or_b64 exec, exec, s[2:3]
	v_cmp_eq_u32_e32 vcc, v17, v16
	s_and_saveexec_b64 s[0:1], vcc
	s_cbranch_execz .LBB92_35
.LBB92_34:
	ds_read_u8 v16, v8 offset:1025
	ds_read_u8 v17, v7 offset:1024
	ds_write_b64 v1, v[4:5]
	v_add_u32_e32 v4, v7, v9
	ds_write_b64 v4, v[2:3] offset:8
	s_waitcnt lgkmcnt(3)
	ds_write_b8 v7, v16 offset:1024
	s_waitcnt lgkmcnt(3)
	ds_write_b8 v8, v17 offset:1025
.LBB92_35:
	s_or_b64 exec, exec, s[0:1]
	v_and_b32_e32 v2, 7, v0
	v_sub_u32_e32 v18, v6, v2
	v_add_u32_e32 v16, 8, v18
	v_lshl_add_u32 v17, v18, 3, 8
	v_mad_i32_i24 v4, v18, 7, v16
	s_waitcnt lgkmcnt(0)
	s_barrier
	ds_read_b64 v[2:3], v17
	ds_read_b64 v[4:5], v4 offset:64
                                        ; implicit-def: $sgpr6
	s_waitcnt lgkmcnt(0)
	v_cmp_nlt_f64_e64 s[0:1], v[2:3], v[4:5]
	v_cmp_lt_f64_e32 vcc, v[2:3], v[4:5]
	s_and_saveexec_b64 s[2:3], vcc
	s_cbranch_execz .LBB92_37
; %bb.36:
	ds_read_u8 v19, v16 offset:1024
	s_andn2_b64 s[0:1], s[0:1], exec
	s_mov_b32 s6, 1
	s_waitcnt lgkmcnt(0)
	v_and_b32_e32 v19, 1, v19
	v_cmp_eq_u32_e32 vcc, 1, v19
	s_xor_b64 s[8:9], vcc, -1
	s_and_b64 s[8:9], s[8:9], exec
	s_or_b64 s[0:1], s[0:1], s[8:9]
.LBB92_37:
	s_or_b64 exec, exec, s[2:3]
	v_mul_i32_i24_e32 v18, 7, v18
	v_mov_b32_e32 v20, s6
	s_and_saveexec_b64 s[2:3], s[0:1]
	s_cbranch_execz .LBB92_39
; %bb.38:
	ds_read_u8 v19, v16 offset:1032
	s_waitcnt lgkmcnt(0)
	v_xor_b32_e32 v20, 1, v19
.LBB92_39:
	s_or_b64 exec, exec, s[2:3]
	v_bfe_u32 v19, v0, 3, 1
	v_cmp_eq_u32_e32 vcc, v20, v19
	v_add_u32_e32 v18, v16, v18
	s_and_saveexec_b64 s[0:1], vcc
	s_cbranch_execz .LBB92_41
; %bb.40:
	ds_read_u8 v20, v16 offset:1032
	ds_read_u8 v21, v16 offset:1024
	ds_write_b64 v17, v[4:5]
	ds_write_b64 v18, v[2:3] offset:64
	s_waitcnt lgkmcnt(3)
	ds_write_b8 v16, v20 offset:1024
	s_waitcnt lgkmcnt(3)
	ds_write_b8 v16, v21 offset:1032
.LBB92_41:
	s_or_b64 exec, exec, s[0:1]
	s_waitcnt lgkmcnt(0)
	s_barrier
	ds_read_b64 v[2:3], v14
	ds_read_b64 v[4:5], v15 offset:32
                                        ; implicit-def: $sgpr6
	s_waitcnt lgkmcnt(0)
	v_cmp_nlt_f64_e64 s[0:1], v[2:3], v[4:5]
	v_cmp_lt_f64_e32 vcc, v[2:3], v[4:5]
	s_and_saveexec_b64 s[2:3], vcc
	s_cbranch_execnz .LBB92_189
; %bb.42:
	s_or_b64 exec, exec, s[2:3]
	v_mov_b32_e32 v20, s6
	s_and_saveexec_b64 s[2:3], s[0:1]
	s_cbranch_execnz .LBB92_190
.LBB92_43:
	s_or_b64 exec, exec, s[2:3]
	v_cmp_eq_u32_e32 vcc, v20, v19
	s_and_saveexec_b64 s[0:1], vcc
	s_cbranch_execz .LBB92_45
.LBB92_44:
	ds_read_u8 v20, v13 offset:1028
	ds_read_u8 v21, v13 offset:1024
	ds_write_b64 v14, v[4:5]
	ds_write_b64 v15, v[2:3] offset:32
	s_waitcnt lgkmcnt(3)
	ds_write_b8 v13, v20 offset:1024
	s_waitcnt lgkmcnt(3)
	ds_write_b8 v13, v21 offset:1028
.LBB92_45:
	s_or_b64 exec, exec, s[0:1]
	s_waitcnt lgkmcnt(0)
	s_barrier
	ds_read_b64 v[2:3], v11
	ds_read_b64 v[4:5], v12 offset:16
                                        ; implicit-def: $sgpr6
	s_waitcnt lgkmcnt(0)
	v_cmp_nlt_f64_e64 s[0:1], v[2:3], v[4:5]
	v_cmp_lt_f64_e32 vcc, v[2:3], v[4:5]
	s_and_saveexec_b64 s[2:3], vcc
	s_cbranch_execnz .LBB92_191
; %bb.46:
	s_or_b64 exec, exec, s[2:3]
	v_mov_b32_e32 v20, s6
	s_and_saveexec_b64 s[2:3], s[0:1]
	s_cbranch_execnz .LBB92_192
.LBB92_47:
	s_or_b64 exec, exec, s[2:3]
	v_cmp_eq_u32_e32 vcc, v20, v19
	s_and_saveexec_b64 s[0:1], vcc
	s_cbranch_execz .LBB92_49
.LBB92_48:
	ds_read_u8 v20, v10 offset:1026
	ds_read_u8 v21, v10 offset:1024
	ds_write_b64 v11, v[4:5]
	ds_write_b64 v12, v[2:3] offset:16
	s_waitcnt lgkmcnt(3)
	ds_write_b8 v10, v20 offset:1024
	s_waitcnt lgkmcnt(3)
	ds_write_b8 v10, v21 offset:1026
.LBB92_49:
	s_or_b64 exec, exec, s[0:1]
	s_waitcnt lgkmcnt(0)
	s_barrier
	ds_read2_b64 v[2:5], v1 offset1:1
                                        ; implicit-def: $sgpr6
	s_waitcnt lgkmcnt(0)
	v_cmp_nlt_f64_e64 s[0:1], v[2:3], v[4:5]
	v_cmp_lt_f64_e32 vcc, v[2:3], v[4:5]
	s_and_saveexec_b64 s[2:3], vcc
	s_cbranch_execnz .LBB92_193
; %bb.50:
	s_or_b64 exec, exec, s[2:3]
	v_mov_b32_e32 v20, s6
	s_and_saveexec_b64 s[2:3], s[0:1]
	s_cbranch_execnz .LBB92_194
.LBB92_51:
	s_or_b64 exec, exec, s[2:3]
	v_cmp_eq_u32_e32 vcc, v20, v19
	s_and_saveexec_b64 s[0:1], vcc
	s_cbranch_execz .LBB92_53
.LBB92_52:
	ds_read_u8 v19, v8 offset:1025
	ds_read_u8 v20, v7 offset:1024
	ds_write_b64 v1, v[4:5]
	v_add_u32_e32 v4, v7, v9
	ds_write_b64 v4, v[2:3] offset:8
	s_waitcnt lgkmcnt(3)
	ds_write_b8 v7, v19 offset:1024
	s_waitcnt lgkmcnt(3)
	ds_write_b8 v8, v20 offset:1025
.LBB92_53:
	s_or_b64 exec, exec, s[0:1]
	v_and_b32_e32 v2, 15, v0
	v_sub_u32_e32 v19, v6, v2
	v_add_u32_e32 v20, 8, v19
	v_lshl_add_u32 v21, v19, 3, 8
	v_mad_i32_i24 v4, v19, 7, v20
	s_waitcnt lgkmcnt(0)
	s_barrier
	ds_read_b64 v[2:3], v21
	ds_read_b64 v[4:5], v4 offset:128
                                        ; implicit-def: $sgpr6
	s_waitcnt lgkmcnt(0)
	v_cmp_nlt_f64_e64 s[0:1], v[2:3], v[4:5]
	v_cmp_lt_f64_e32 vcc, v[2:3], v[4:5]
	s_and_saveexec_b64 s[2:3], vcc
	s_cbranch_execz .LBB92_55
; %bb.54:
	ds_read_u8 v22, v20 offset:1024
	s_andn2_b64 s[0:1], s[0:1], exec
	s_mov_b32 s6, 1
	s_waitcnt lgkmcnt(0)
	v_and_b32_e32 v22, 1, v22
	v_cmp_eq_u32_e32 vcc, 1, v22
	s_xor_b64 s[8:9], vcc, -1
	s_and_b64 s[8:9], s[8:9], exec
	s_or_b64 s[0:1], s[0:1], s[8:9]
.LBB92_55:
	s_or_b64 exec, exec, s[2:3]
	v_mul_i32_i24_e32 v22, 7, v19
	v_mov_b32_e32 v23, s6
	s_and_saveexec_b64 s[2:3], s[0:1]
	s_cbranch_execz .LBB92_57
; %bb.56:
	ds_read_u8 v19, v20 offset:1040
	s_waitcnt lgkmcnt(0)
	v_xor_b32_e32 v23, 1, v19
.LBB92_57:
	s_or_b64 exec, exec, s[2:3]
	v_bfe_u32 v19, v0, 4, 1
	v_cmp_eq_u32_e32 vcc, v23, v19
	v_add_u32_e32 v22, v20, v22
	s_and_saveexec_b64 s[0:1], vcc
	s_cbranch_execz .LBB92_59
; %bb.58:
	ds_read_u8 v23, v20 offset:1040
	ds_read_u8 v24, v20 offset:1024
	ds_write_b64 v21, v[4:5]
	ds_write_b64 v22, v[2:3] offset:128
	s_waitcnt lgkmcnt(3)
	ds_write_b8 v20, v23 offset:1024
	s_waitcnt lgkmcnt(3)
	ds_write_b8 v20, v24 offset:1040
.LBB92_59:
	s_or_b64 exec, exec, s[0:1]
	s_waitcnt lgkmcnt(0)
	s_barrier
	ds_read_b64 v[2:3], v17
	ds_read_b64 v[4:5], v18 offset:64
                                        ; implicit-def: $sgpr6
	s_waitcnt lgkmcnt(0)
	v_cmp_nlt_f64_e64 s[0:1], v[2:3], v[4:5]
	v_cmp_lt_f64_e32 vcc, v[2:3], v[4:5]
	s_and_saveexec_b64 s[2:3], vcc
	s_cbranch_execnz .LBB92_195
; %bb.60:
	s_or_b64 exec, exec, s[2:3]
	v_mov_b32_e32 v23, s6
	s_and_saveexec_b64 s[2:3], s[0:1]
	s_cbranch_execnz .LBB92_196
.LBB92_61:
	s_or_b64 exec, exec, s[2:3]
	v_cmp_eq_u32_e32 vcc, v23, v19
	s_and_saveexec_b64 s[0:1], vcc
	s_cbranch_execz .LBB92_63
.LBB92_62:
	ds_read_u8 v23, v16 offset:1032
	ds_read_u8 v24, v16 offset:1024
	ds_write_b64 v17, v[4:5]
	ds_write_b64 v18, v[2:3] offset:64
	s_waitcnt lgkmcnt(3)
	ds_write_b8 v16, v23 offset:1024
	s_waitcnt lgkmcnt(3)
	ds_write_b8 v16, v24 offset:1032
.LBB92_63:
	s_or_b64 exec, exec, s[0:1]
	s_waitcnt lgkmcnt(0)
	s_barrier
	ds_read_b64 v[2:3], v14
	ds_read_b64 v[4:5], v15 offset:32
                                        ; implicit-def: $sgpr6
	s_waitcnt lgkmcnt(0)
	v_cmp_nlt_f64_e64 s[0:1], v[2:3], v[4:5]
	v_cmp_lt_f64_e32 vcc, v[2:3], v[4:5]
	s_and_saveexec_b64 s[2:3], vcc
	s_cbranch_execnz .LBB92_197
; %bb.64:
	s_or_b64 exec, exec, s[2:3]
	v_mov_b32_e32 v23, s6
	s_and_saveexec_b64 s[2:3], s[0:1]
	s_cbranch_execnz .LBB92_198
.LBB92_65:
	s_or_b64 exec, exec, s[2:3]
	v_cmp_eq_u32_e32 vcc, v23, v19
	s_and_saveexec_b64 s[0:1], vcc
	s_cbranch_execz .LBB92_67
.LBB92_66:
	ds_read_u8 v23, v13 offset:1028
	ds_read_u8 v24, v13 offset:1024
	ds_write_b64 v14, v[4:5]
	ds_write_b64 v15, v[2:3] offset:32
	s_waitcnt lgkmcnt(3)
	ds_write_b8 v13, v23 offset:1024
	s_waitcnt lgkmcnt(3)
	ds_write_b8 v13, v24 offset:1028
.LBB92_67:
	s_or_b64 exec, exec, s[0:1]
	s_waitcnt lgkmcnt(0)
	s_barrier
	ds_read_b64 v[2:3], v11
	ds_read_b64 v[4:5], v12 offset:16
                                        ; implicit-def: $sgpr6
	s_waitcnt lgkmcnt(0)
	v_cmp_nlt_f64_e64 s[0:1], v[2:3], v[4:5]
	v_cmp_lt_f64_e32 vcc, v[2:3], v[4:5]
	s_and_saveexec_b64 s[2:3], vcc
	s_cbranch_execnz .LBB92_199
; %bb.68:
	s_or_b64 exec, exec, s[2:3]
	v_mov_b32_e32 v23, s6
	s_and_saveexec_b64 s[2:3], s[0:1]
	s_cbranch_execnz .LBB92_200
.LBB92_69:
	s_or_b64 exec, exec, s[2:3]
	v_cmp_eq_u32_e32 vcc, v23, v19
	s_and_saveexec_b64 s[0:1], vcc
	s_cbranch_execz .LBB92_71
.LBB92_70:
	ds_read_u8 v23, v10 offset:1026
	ds_read_u8 v24, v10 offset:1024
	ds_write_b64 v11, v[4:5]
	ds_write_b64 v12, v[2:3] offset:16
	s_waitcnt lgkmcnt(3)
	ds_write_b8 v10, v23 offset:1024
	s_waitcnt lgkmcnt(3)
	ds_write_b8 v10, v24 offset:1026
.LBB92_71:
	s_or_b64 exec, exec, s[0:1]
	s_waitcnt lgkmcnt(0)
	s_barrier
	ds_read2_b64 v[2:5], v1 offset1:1
                                        ; implicit-def: $sgpr6
	s_waitcnt lgkmcnt(0)
	v_cmp_nlt_f64_e64 s[0:1], v[2:3], v[4:5]
	v_cmp_lt_f64_e32 vcc, v[2:3], v[4:5]
	s_and_saveexec_b64 s[2:3], vcc
	s_cbranch_execnz .LBB92_201
; %bb.72:
	s_or_b64 exec, exec, s[2:3]
	v_mov_b32_e32 v23, s6
	s_and_saveexec_b64 s[2:3], s[0:1]
	s_cbranch_execnz .LBB92_202
.LBB92_73:
	s_or_b64 exec, exec, s[2:3]
	v_cmp_eq_u32_e32 vcc, v23, v19
	s_and_saveexec_b64 s[0:1], vcc
	s_cbranch_execz .LBB92_75
.LBB92_74:
	ds_read_u8 v19, v8 offset:1025
	ds_read_u8 v23, v7 offset:1024
	ds_write_b64 v1, v[4:5]
	v_add_u32_e32 v4, v7, v9
	ds_write_b64 v4, v[2:3] offset:8
	s_waitcnt lgkmcnt(3)
	ds_write_b8 v7, v19 offset:1024
	s_waitcnt lgkmcnt(3)
	ds_write_b8 v8, v23 offset:1025
.LBB92_75:
	s_or_b64 exec, exec, s[0:1]
	v_and_b32_e32 v2, 31, v0
	v_sub_u32_e32 v19, v6, v2
	v_add_u32_e32 v23, 8, v19
	v_lshl_add_u32 v24, v19, 3, 8
	v_mad_i32_i24 v4, v19, 7, v23
	s_waitcnt lgkmcnt(0)
	s_barrier
	ds_read_b64 v[2:3], v24
	ds_read_b64 v[4:5], v4 offset:256
                                        ; implicit-def: $sgpr6
	s_waitcnt lgkmcnt(0)
	v_cmp_nlt_f64_e64 s[0:1], v[2:3], v[4:5]
	v_cmp_lt_f64_e32 vcc, v[2:3], v[4:5]
	s_and_saveexec_b64 s[2:3], vcc
	s_cbranch_execz .LBB92_77
; %bb.76:
	ds_read_u8 v25, v23 offset:1024
	s_andn2_b64 s[0:1], s[0:1], exec
	s_mov_b32 s6, 1
	s_waitcnt lgkmcnt(0)
	v_and_b32_e32 v25, 1, v25
	v_cmp_eq_u32_e32 vcc, 1, v25
	s_xor_b64 s[8:9], vcc, -1
	s_and_b64 s[8:9], s[8:9], exec
	s_or_b64 s[0:1], s[0:1], s[8:9]
.LBB92_77:
	s_or_b64 exec, exec, s[2:3]
	v_mul_i32_i24_e32 v25, 7, v19
	v_mov_b32_e32 v26, s6
	s_and_saveexec_b64 s[2:3], s[0:1]
	s_cbranch_execz .LBB92_79
; %bb.78:
	ds_read_u8 v19, v23 offset:1056
	s_waitcnt lgkmcnt(0)
	v_xor_b32_e32 v26, 1, v19
.LBB92_79:
	s_or_b64 exec, exec, s[2:3]
	v_bfe_u32 v19, v0, 5, 1
	v_cmp_eq_u32_e32 vcc, v26, v19
	v_add_u32_e32 v25, v23, v25
	s_and_saveexec_b64 s[0:1], vcc
	s_cbranch_execz .LBB92_81
; %bb.80:
	ds_read_u8 v26, v23 offset:1056
	ds_read_u8 v27, v23 offset:1024
	ds_write_b64 v24, v[4:5]
	ds_write_b64 v25, v[2:3] offset:256
	s_waitcnt lgkmcnt(3)
	ds_write_b8 v23, v26 offset:1024
	s_waitcnt lgkmcnt(3)
	ds_write_b8 v23, v27 offset:1056
.LBB92_81:
	s_or_b64 exec, exec, s[0:1]
	s_waitcnt lgkmcnt(0)
	s_barrier
	ds_read_b64 v[2:3], v21
	ds_read_b64 v[4:5], v22 offset:128
                                        ; implicit-def: $sgpr6
	s_waitcnt lgkmcnt(0)
	v_cmp_nlt_f64_e64 s[0:1], v[2:3], v[4:5]
	v_cmp_lt_f64_e32 vcc, v[2:3], v[4:5]
	s_and_saveexec_b64 s[2:3], vcc
	s_cbranch_execnz .LBB92_203
; %bb.82:
	s_or_b64 exec, exec, s[2:3]
	v_mov_b32_e32 v26, s6
	s_and_saveexec_b64 s[2:3], s[0:1]
	s_cbranch_execnz .LBB92_204
.LBB92_83:
	s_or_b64 exec, exec, s[2:3]
	v_cmp_eq_u32_e32 vcc, v26, v19
	s_and_saveexec_b64 s[0:1], vcc
	s_cbranch_execz .LBB92_85
.LBB92_84:
	ds_read_u8 v26, v20 offset:1040
	ds_read_u8 v27, v20 offset:1024
	ds_write_b64 v21, v[4:5]
	ds_write_b64 v22, v[2:3] offset:128
	s_waitcnt lgkmcnt(3)
	ds_write_b8 v20, v26 offset:1024
	s_waitcnt lgkmcnt(3)
	ds_write_b8 v20, v27 offset:1040
.LBB92_85:
	s_or_b64 exec, exec, s[0:1]
	s_waitcnt lgkmcnt(0)
	s_barrier
	ds_read_b64 v[2:3], v17
	ds_read_b64 v[4:5], v18 offset:64
                                        ; implicit-def: $sgpr6
	s_waitcnt lgkmcnt(0)
	v_cmp_nlt_f64_e64 s[0:1], v[2:3], v[4:5]
	v_cmp_lt_f64_e32 vcc, v[2:3], v[4:5]
	s_and_saveexec_b64 s[2:3], vcc
	s_cbranch_execnz .LBB92_205
; %bb.86:
	s_or_b64 exec, exec, s[2:3]
	v_mov_b32_e32 v26, s6
	s_and_saveexec_b64 s[2:3], s[0:1]
	s_cbranch_execnz .LBB92_206
.LBB92_87:
	s_or_b64 exec, exec, s[2:3]
	v_cmp_eq_u32_e32 vcc, v26, v19
	s_and_saveexec_b64 s[0:1], vcc
	s_cbranch_execz .LBB92_89
.LBB92_88:
	ds_read_u8 v26, v16 offset:1032
	ds_read_u8 v27, v16 offset:1024
	ds_write_b64 v17, v[4:5]
	ds_write_b64 v18, v[2:3] offset:64
	s_waitcnt lgkmcnt(3)
	ds_write_b8 v16, v26 offset:1024
	s_waitcnt lgkmcnt(3)
	ds_write_b8 v16, v27 offset:1032
.LBB92_89:
	s_or_b64 exec, exec, s[0:1]
	s_waitcnt lgkmcnt(0)
	s_barrier
	ds_read_b64 v[2:3], v14
	ds_read_b64 v[4:5], v15 offset:32
                                        ; implicit-def: $sgpr6
	s_waitcnt lgkmcnt(0)
	v_cmp_nlt_f64_e64 s[0:1], v[2:3], v[4:5]
	v_cmp_lt_f64_e32 vcc, v[2:3], v[4:5]
	s_and_saveexec_b64 s[2:3], vcc
	s_cbranch_execnz .LBB92_207
; %bb.90:
	s_or_b64 exec, exec, s[2:3]
	v_mov_b32_e32 v26, s6
	s_and_saveexec_b64 s[2:3], s[0:1]
	s_cbranch_execnz .LBB92_208
.LBB92_91:
	s_or_b64 exec, exec, s[2:3]
	v_cmp_eq_u32_e32 vcc, v26, v19
	s_and_saveexec_b64 s[0:1], vcc
	s_cbranch_execz .LBB92_93
.LBB92_92:
	ds_read_u8 v26, v13 offset:1028
	ds_read_u8 v27, v13 offset:1024
	ds_write_b64 v14, v[4:5]
	ds_write_b64 v15, v[2:3] offset:32
	s_waitcnt lgkmcnt(3)
	ds_write_b8 v13, v26 offset:1024
	s_waitcnt lgkmcnt(3)
	ds_write_b8 v13, v27 offset:1028
.LBB92_93:
	s_or_b64 exec, exec, s[0:1]
	s_waitcnt lgkmcnt(0)
	s_barrier
	ds_read_b64 v[2:3], v11
	ds_read_b64 v[4:5], v12 offset:16
                                        ; implicit-def: $sgpr6
	s_waitcnt lgkmcnt(0)
	v_cmp_nlt_f64_e64 s[0:1], v[2:3], v[4:5]
	v_cmp_lt_f64_e32 vcc, v[2:3], v[4:5]
	s_and_saveexec_b64 s[2:3], vcc
	s_cbranch_execnz .LBB92_209
; %bb.94:
	s_or_b64 exec, exec, s[2:3]
	v_mov_b32_e32 v26, s6
	s_and_saveexec_b64 s[2:3], s[0:1]
	s_cbranch_execnz .LBB92_210
.LBB92_95:
	s_or_b64 exec, exec, s[2:3]
	v_cmp_eq_u32_e32 vcc, v26, v19
	s_and_saveexec_b64 s[0:1], vcc
	s_cbranch_execz .LBB92_97
.LBB92_96:
	ds_read_u8 v26, v10 offset:1026
	ds_read_u8 v27, v10 offset:1024
	ds_write_b64 v11, v[4:5]
	ds_write_b64 v12, v[2:3] offset:16
	s_waitcnt lgkmcnt(3)
	ds_write_b8 v10, v26 offset:1024
	s_waitcnt lgkmcnt(3)
	ds_write_b8 v10, v27 offset:1026
.LBB92_97:
	s_or_b64 exec, exec, s[0:1]
	s_waitcnt lgkmcnt(0)
	s_barrier
	ds_read2_b64 v[2:5], v1 offset1:1
                                        ; implicit-def: $sgpr6
	s_waitcnt lgkmcnt(0)
	v_cmp_nlt_f64_e64 s[0:1], v[2:3], v[4:5]
	v_cmp_lt_f64_e32 vcc, v[2:3], v[4:5]
	s_and_saveexec_b64 s[2:3], vcc
	s_cbranch_execnz .LBB92_211
; %bb.98:
	s_or_b64 exec, exec, s[2:3]
	v_mov_b32_e32 v26, s6
	s_and_saveexec_b64 s[2:3], s[0:1]
	s_cbranch_execnz .LBB92_212
.LBB92_99:
	s_or_b64 exec, exec, s[2:3]
	v_cmp_eq_u32_e32 vcc, v26, v19
	s_and_saveexec_b64 s[0:1], vcc
	s_cbranch_execz .LBB92_101
.LBB92_100:
	ds_read_u8 v19, v8 offset:1025
	ds_read_u8 v26, v7 offset:1024
	ds_write_b64 v1, v[4:5]
	v_add_u32_e32 v4, v7, v9
	ds_write_b64 v4, v[2:3] offset:8
	s_waitcnt lgkmcnt(3)
	ds_write_b8 v7, v19 offset:1024
	s_waitcnt lgkmcnt(3)
	ds_write_b8 v8, v26 offset:1025
.LBB92_101:
	s_or_b64 exec, exec, s[0:1]
	v_and_b32_e32 v19, 63, v0
	v_sub_u32_e32 v28, v6, v19
	v_add_u32_e32 v26, 8, v28
	v_lshl_add_u32 v27, v28, 3, 8
	v_mad_i32_i24 v4, v28, 7, v26
	s_waitcnt lgkmcnt(0)
	s_barrier
	ds_read_b64 v[2:3], v27
	ds_read_b64 v[4:5], v4 offset:512
	s_waitcnt lgkmcnt(0)
	v_cmp_nlt_f64_e64 s[2:3], v[2:3], v[4:5]
	v_cmp_lt_f64_e32 vcc, v[2:3], v[4:5]
	s_and_saveexec_b64 s[0:1], vcc
	s_cbranch_execz .LBB92_103
; %bb.102:
	ds_read_u8 v29, v26 offset:1024
	s_andn2_b64 s[2:3], s[2:3], exec
	s_waitcnt lgkmcnt(0)
	v_and_b32_e32 v29, 1, v29
	v_cmp_eq_u32_e32 vcc, 1, v29
	s_xor_b64 s[6:7], vcc, -1
	s_and_b64 s[6:7], s[6:7], exec
	s_or_b64 s[2:3], s[2:3], s[6:7]
.LBB92_103:
	s_or_b64 exec, exec, s[0:1]
	s_and_saveexec_b64 s[0:1], s[2:3]
	s_cbranch_execz .LBB92_106
; %bb.104:
	ds_read_u8 v29, v26 offset:1088
	s_waitcnt lgkmcnt(0)
	v_cmp_ne_u16_e32 vcc, 0, v29
	s_and_b64 exec, exec, vcc
	s_cbranch_execz .LBB92_106
; %bb.105:
	ds_read_u8 v30, v26 offset:1024
	v_mul_i32_i24_e32 v28, 7, v28
	ds_write_b64 v27, v[4:5]
	v_add_u32_e32 v4, v26, v28
	ds_write_b64 v4, v[2:3] offset:512
	ds_write_b8 v26, v29 offset:1024
	s_waitcnt lgkmcnt(3)
	ds_write_b8 v26, v30 offset:1088
.LBB92_106:
	s_or_b64 exec, exec, s[0:1]
	s_waitcnt lgkmcnt(0)
	s_barrier
	ds_read_b64 v[2:3], v24
	ds_read_b64 v[4:5], v25 offset:256
	s_waitcnt lgkmcnt(0)
	v_cmp_nlt_f64_e64 s[2:3], v[2:3], v[4:5]
	v_cmp_lt_f64_e32 vcc, v[2:3], v[4:5]
	s_and_saveexec_b64 s[0:1], vcc
	s_cbranch_execz .LBB92_108
; %bb.107:
	ds_read_u8 v26, v23 offset:1024
	s_andn2_b64 s[2:3], s[2:3], exec
	s_waitcnt lgkmcnt(0)
	v_and_b32_e32 v26, 1, v26
	v_cmp_eq_u32_e32 vcc, 1, v26
	s_xor_b64 s[6:7], vcc, -1
	s_and_b64 s[6:7], s[6:7], exec
	s_or_b64 s[2:3], s[2:3], s[6:7]
.LBB92_108:
	s_or_b64 exec, exec, s[0:1]
	s_and_saveexec_b64 s[0:1], s[2:3]
	s_cbranch_execz .LBB92_111
; %bb.109:
	ds_read_u8 v26, v23 offset:1056
	s_waitcnt lgkmcnt(0)
	v_cmp_ne_u16_e32 vcc, 0, v26
	s_and_b64 exec, exec, vcc
	s_cbranch_execz .LBB92_111
; %bb.110:
	ds_read_u8 v27, v23 offset:1024
	ds_write_b64 v24, v[4:5]
	ds_write_b64 v25, v[2:3] offset:256
	ds_write_b8 v23, v26 offset:1024
	s_waitcnt lgkmcnt(3)
	ds_write_b8 v23, v27 offset:1056
.LBB92_111:
	s_or_b64 exec, exec, s[0:1]
	s_waitcnt lgkmcnt(0)
	s_barrier
	ds_read_b64 v[2:3], v21
	ds_read_b64 v[4:5], v22 offset:128
	s_waitcnt lgkmcnt(0)
	v_cmp_nlt_f64_e64 s[2:3], v[2:3], v[4:5]
	v_cmp_lt_f64_e32 vcc, v[2:3], v[4:5]
	s_and_saveexec_b64 s[0:1], vcc
	s_cbranch_execz .LBB92_113
; %bb.112:
	ds_read_u8 v23, v20 offset:1024
	s_andn2_b64 s[2:3], s[2:3], exec
	s_waitcnt lgkmcnt(0)
	v_and_b32_e32 v23, 1, v23
	v_cmp_eq_u32_e32 vcc, 1, v23
	s_xor_b64 s[6:7], vcc, -1
	s_and_b64 s[6:7], s[6:7], exec
	s_or_b64 s[2:3], s[2:3], s[6:7]
.LBB92_113:
	s_or_b64 exec, exec, s[0:1]
	s_and_saveexec_b64 s[0:1], s[2:3]
	s_cbranch_execz .LBB92_116
; %bb.114:
	ds_read_u8 v23, v20 offset:1040
	s_waitcnt lgkmcnt(0)
	v_cmp_ne_u16_e32 vcc, 0, v23
	s_and_b64 exec, exec, vcc
	s_cbranch_execz .LBB92_116
; %bb.115:
	ds_read_u8 v24, v20 offset:1024
	ds_write_b64 v21, v[4:5]
	ds_write_b64 v22, v[2:3] offset:128
	ds_write_b8 v20, v23 offset:1024
	s_waitcnt lgkmcnt(3)
	ds_write_b8 v20, v24 offset:1040
.LBB92_116:
	s_or_b64 exec, exec, s[0:1]
	s_waitcnt lgkmcnt(0)
	s_barrier
	ds_read_b64 v[2:3], v17
	ds_read_b64 v[4:5], v18 offset:64
	s_waitcnt lgkmcnt(0)
	v_cmp_nlt_f64_e64 s[2:3], v[2:3], v[4:5]
	v_cmp_lt_f64_e32 vcc, v[2:3], v[4:5]
	s_and_saveexec_b64 s[0:1], vcc
	s_cbranch_execz .LBB92_118
; %bb.117:
	ds_read_u8 v20, v16 offset:1024
	s_andn2_b64 s[2:3], s[2:3], exec
	s_waitcnt lgkmcnt(0)
	v_and_b32_e32 v20, 1, v20
	v_cmp_eq_u32_e32 vcc, 1, v20
	s_xor_b64 s[6:7], vcc, -1
	s_and_b64 s[6:7], s[6:7], exec
	s_or_b64 s[2:3], s[2:3], s[6:7]
.LBB92_118:
	s_or_b64 exec, exec, s[0:1]
	s_and_saveexec_b64 s[0:1], s[2:3]
	s_cbranch_execz .LBB92_121
; %bb.119:
	ds_read_u8 v20, v16 offset:1032
	s_waitcnt lgkmcnt(0)
	v_cmp_ne_u16_e32 vcc, 0, v20
	s_and_b64 exec, exec, vcc
	s_cbranch_execz .LBB92_121
; %bb.120:
	ds_read_u8 v21, v16 offset:1024
	ds_write_b64 v17, v[4:5]
	ds_write_b64 v18, v[2:3] offset:64
	ds_write_b8 v16, v20 offset:1024
	s_waitcnt lgkmcnt(3)
	ds_write_b8 v16, v21 offset:1032
.LBB92_121:
	s_or_b64 exec, exec, s[0:1]
	s_waitcnt lgkmcnt(0)
	s_barrier
	ds_read_b64 v[2:3], v14
	ds_read_b64 v[4:5], v15 offset:32
	s_waitcnt lgkmcnt(0)
	v_cmp_nlt_f64_e64 s[2:3], v[2:3], v[4:5]
	v_cmp_lt_f64_e32 vcc, v[2:3], v[4:5]
	s_and_saveexec_b64 s[0:1], vcc
	s_cbranch_execz .LBB92_123
; %bb.122:
	ds_read_u8 v16, v13 offset:1024
	s_andn2_b64 s[2:3], s[2:3], exec
	s_waitcnt lgkmcnt(0)
	v_and_b32_e32 v16, 1, v16
	v_cmp_eq_u32_e32 vcc, 1, v16
	s_xor_b64 s[6:7], vcc, -1
	s_and_b64 s[6:7], s[6:7], exec
	s_or_b64 s[2:3], s[2:3], s[6:7]
.LBB92_123:
	s_or_b64 exec, exec, s[0:1]
	s_and_saveexec_b64 s[0:1], s[2:3]
	s_cbranch_execz .LBB92_126
; %bb.124:
	ds_read_u8 v16, v13 offset:1028
	s_waitcnt lgkmcnt(0)
	v_cmp_ne_u16_e32 vcc, 0, v16
	s_and_b64 exec, exec, vcc
	s_cbranch_execz .LBB92_126
; %bb.125:
	ds_read_u8 v17, v13 offset:1024
	ds_write_b64 v14, v[4:5]
	ds_write_b64 v15, v[2:3] offset:32
	ds_write_b8 v13, v16 offset:1024
	s_waitcnt lgkmcnt(3)
	ds_write_b8 v13, v17 offset:1028
.LBB92_126:
	s_or_b64 exec, exec, s[0:1]
	s_waitcnt lgkmcnt(0)
	s_barrier
	ds_read_b64 v[2:3], v11
	ds_read_b64 v[4:5], v12 offset:16
	s_waitcnt lgkmcnt(0)
	v_cmp_nlt_f64_e64 s[2:3], v[2:3], v[4:5]
	v_cmp_lt_f64_e32 vcc, v[2:3], v[4:5]
	s_and_saveexec_b64 s[0:1], vcc
	s_cbranch_execz .LBB92_128
; %bb.127:
	ds_read_u8 v13, v10 offset:1024
	s_andn2_b64 s[2:3], s[2:3], exec
	s_waitcnt lgkmcnt(0)
	v_and_b32_e32 v13, 1, v13
	v_cmp_eq_u32_e32 vcc, 1, v13
	s_xor_b64 s[6:7], vcc, -1
	s_and_b64 s[6:7], s[6:7], exec
	s_or_b64 s[2:3], s[2:3], s[6:7]
.LBB92_128:
	s_or_b64 exec, exec, s[0:1]
	s_and_saveexec_b64 s[0:1], s[2:3]
	s_cbranch_execz .LBB92_131
; %bb.129:
	ds_read_u8 v13, v10 offset:1026
	s_waitcnt lgkmcnt(0)
	v_cmp_ne_u16_e32 vcc, 0, v13
	s_and_b64 exec, exec, vcc
	s_cbranch_execz .LBB92_131
; %bb.130:
	ds_read_u8 v14, v10 offset:1024
	ds_write_b64 v11, v[4:5]
	ds_write_b64 v12, v[2:3] offset:16
	ds_write_b8 v10, v13 offset:1024
	s_waitcnt lgkmcnt(3)
	ds_write_b8 v10, v14 offset:1026
.LBB92_131:
	s_or_b64 exec, exec, s[0:1]
	s_waitcnt lgkmcnt(0)
	s_barrier
	ds_read2_b64 v[2:5], v1 offset1:1
	s_waitcnt lgkmcnt(0)
	v_cmp_nlt_f64_e64 s[2:3], v[2:3], v[4:5]
	v_cmp_lt_f64_e32 vcc, v[2:3], v[4:5]
	s_and_saveexec_b64 s[0:1], vcc
	s_cbranch_execz .LBB92_133
; %bb.132:
	ds_read_u8 v10, v7 offset:1024
	s_andn2_b64 s[2:3], s[2:3], exec
	s_waitcnt lgkmcnt(0)
	v_and_b32_e32 v10, 1, v10
	v_cmp_eq_u32_e32 vcc, 1, v10
	s_xor_b64 s[6:7], vcc, -1
	s_and_b64 s[6:7], s[6:7], exec
	s_or_b64 s[2:3], s[2:3], s[6:7]
.LBB92_133:
	s_or_b64 exec, exec, s[0:1]
	s_and_saveexec_b64 s[0:1], s[2:3]
	s_cbranch_execz .LBB92_136
; %bb.134:
	ds_read_u8 v10, v8 offset:1025
	s_waitcnt lgkmcnt(0)
	v_cmp_ne_u16_e32 vcc, 0, v10
	s_and_b64 exec, exec, vcc
	s_cbranch_execz .LBB92_136
; %bb.135:
	ds_read_u8 v11, v7 offset:1024
	ds_write_b64 v1, v[4:5]
	v_add_u32_e32 v4, v7, v9
	ds_write_b64 v4, v[2:3] offset:8
	ds_write_b8 v7, v10 offset:1024
	s_waitcnt lgkmcnt(3)
	ds_write_b8 v8, v11 offset:1025
.LBB92_136:
	s_or_b64 exec, exec, s[0:1]
	v_cmp_eq_u32_e32 vcc, 0, v0
	s_waitcnt lgkmcnt(0)
	s_barrier
	s_barrier
	s_and_saveexec_b64 s[0:1], vcc
	s_cbranch_execz .LBB92_138
; %bb.137:
	v_mov_b32_e32 v2, 8
	v_mov_b32_e32 v3, 1
	ds_write_b8 v2, v3 offset:1028
	v_mov_b32_e32 v3, 0
	ds_write_b32 v2, v3 offset:1024
.LBB92_138:
	s_or_b64 exec, exec, s[0:1]
	ds_read2_b64 v[2:5], v1 offset1:1
	s_add_i32 s10, 8, 0x400
	v_lshl_add_u32 v1, v6, 3, s10
	v_cmp_gt_u32_e64 s[2:3], 63, v0
	s_waitcnt lgkmcnt(0)
	v_cmp_neq_f64_e64 s[0:1], v[2:3], v[4:5]
	v_cndmask_b32_e64 v7, 0, 1, s[0:1]
	v_cmp_eq_f64_e64 s[0:1], v[2:3], v[4:5]
	v_cndmask_b32_e64 v2, 0, 1, s[0:1]
	ds_write_b32 v1, v2 offset:8
	v_lshl_add_u32 v2, v6, 3, 8
	ds_write_b8 v1, v7 offset:12
	s_and_saveexec_b64 s[6:7], s[2:3]
	s_cbranch_execz .LBB92_140
; %bb.139:
	ds_read_b64 v[8:9], v2 offset:16
	s_waitcnt lgkmcnt(0)
	v_cmp_neq_f64_e64 s[0:1], v[4:5], v[8:9]
	v_cndmask_b32_e64 v3, 0, 1, s[0:1]
	v_cmp_eq_f64_e64 s[0:1], v[4:5], v[8:9]
	v_cndmask_b32_e64 v4, 0, 1, s[0:1]
	ds_write_b8 v1, v3 offset:20
	ds_write_b32 v1, v4 offset:16
.LBB92_140:
	s_or_b64 exec, exec, s[6:7]
	v_cmp_gt_u32_e64 s[0:1], 64, v0
	s_waitcnt lgkmcnt(0)
	s_barrier
	s_and_saveexec_b64 s[8:9], s[0:1]
	s_cbranch_execz .LBB92_142
; %bb.141:
	ds_read_u8 v3, v1 offset:12
	ds_read_b32 v4, v2 offset:1024
	ds_read_b32 v5, v1 offset:8
	ds_read_u8 v7, v2 offset:1028
	s_waitcnt lgkmcnt(3)
	v_and_b32_e32 v8, 1, v3
	v_cmp_eq_u32_e64 s[6:7], 1, v8
	s_waitcnt lgkmcnt(2)
	v_cndmask_b32_e64 v4, v4, 0, s[6:7]
	s_waitcnt lgkmcnt(0)
	v_or_b32_e32 v3, v7, v3
	v_add_u32_e32 v4, v4, v5
	v_and_b32_e32 v3, 1, v3
	ds_write2_b32 v1, v4, v3 offset0:2 offset1:3
.LBB92_142:
	s_or_b64 exec, exec, s[8:9]
	v_add_u32_e32 v9, 2, v6
	v_lshlrev_b32_e32 v3, 1, v9
	v_add_u32_e32 v4, -1, v3
	v_cmp_gt_u32_e64 s[6:7], 32, v0
	s_waitcnt lgkmcnt(0)
	s_barrier
	s_and_saveexec_b64 s[8:9], s[6:7]
	s_cbranch_execz .LBB92_144
; %bb.143:
	v_lshl_add_u32 v5, v4, 3, 8
	ds_read_b32 v7, v5 offset:1024
	ds_read_u8 v8, v5 offset:1028
	v_lshl_add_u32 v10, v3, 3, 8
	ds_read_b32 v11, v10 offset:1000
	ds_read_u8 v10, v10 offset:1004
	v_add_u32_e32 v5, 0x400, v5
	s_waitcnt lgkmcnt(2)
	v_and_b32_e32 v12, 1, v8
	v_cmp_eq_u32_e64 s[6:7], 1, v12
	s_waitcnt lgkmcnt(1)
	v_cndmask_b32_e64 v11, v11, 0, s[6:7]
	s_waitcnt lgkmcnt(0)
	v_or_b32_e32 v8, v10, v8
	v_add_u32_e32 v7, v11, v7
	v_and_b32_e32 v8, 1, v8
	ds_write2_b32 v5, v7, v8 offset1:1
.LBB92_144:
	s_or_b64 exec, exec, s[8:9]
	v_lshlrev_b32_e32 v5, 2, v9
	v_add_u32_e32 v4, v4, v3
	v_cmp_gt_u32_e64 s[6:7], 16, v0
	s_waitcnt lgkmcnt(0)
	s_barrier
	s_and_saveexec_b64 s[8:9], s[6:7]
	s_cbranch_execz .LBB92_146
; %bb.145:
	v_lshl_add_u32 v7, v4, 3, 8
	ds_read_b32 v8, v7 offset:1024
	ds_read_u8 v10, v7 offset:1028
	v_lshl_add_u32 v11, v5, 3, 8
	ds_read_b32 v12, v11 offset:984
	ds_read_u8 v11, v11 offset:988
	v_add_u32_e32 v7, 0x400, v7
	s_waitcnt lgkmcnt(2)
	v_and_b32_e32 v13, 1, v10
	v_cmp_eq_u32_e64 s[6:7], 1, v13
	s_waitcnt lgkmcnt(1)
	v_cndmask_b32_e64 v12, v12, 0, s[6:7]
	s_waitcnt lgkmcnt(0)
	v_or_b32_e32 v10, v11, v10
	v_add_u32_e32 v8, v12, v8
	v_and_b32_e32 v10, 1, v10
	ds_write2_b32 v7, v8, v10 offset1:1
.LBB92_146:
	s_or_b64 exec, exec, s[8:9]
	v_lshlrev_b32_e32 v8, 3, v9
	v_add_u32_e32 v7, v4, v5
	;; [unrolled: 27-line block ×3, first 2 shown]
	v_cmp_gt_u32_e64 s[6:7], 4, v0
	s_waitcnt lgkmcnt(0)
	s_barrier
	s_and_saveexec_b64 s[8:9], s[6:7]
	s_cbranch_execz .LBB92_150
; %bb.149:
	v_lshl_add_u32 v12, v10, 3, 8
	ds_read_b32 v13, v12 offset:1024
	ds_read_u8 v14, v12 offset:1028
	v_lshl_add_u32 v15, v11, 3, 8
	ds_read_b32 v16, v15 offset:888
	ds_read_u8 v15, v15 offset:892
	v_add_u32_e32 v12, 0x400, v12
	s_waitcnt lgkmcnt(2)
	v_and_b32_e32 v17, 1, v14
	v_cmp_eq_u32_e64 s[6:7], 1, v17
	s_waitcnt lgkmcnt(1)
	v_cndmask_b32_e64 v16, v16, 0, s[6:7]
	s_waitcnt lgkmcnt(0)
	v_or_b32_e32 v14, v15, v14
	v_add_u32_e32 v13, v16, v13
	v_and_b32_e32 v14, 1, v14
	ds_write2_b32 v12, v13, v14 offset1:1
.LBB92_150:
	s_or_b64 exec, exec, s[8:9]
	v_add_u32_e32 v12, v10, v11
	v_cmp_gt_u32_e64 s[6:7], 2, v0
	v_lshl_add_u32 v12, v12, 3, 8
	s_waitcnt lgkmcnt(0)
	s_barrier
	s_and_saveexec_b64 s[8:9], s[6:7]
	s_cbranch_execz .LBB92_152
; %bb.151:
	ds_read_u8 v14, v12 offset:1028
	v_lshl_add_u32 v9, v9, 8, 8
	ds_read_b32 v15, v9 offset:760
	ds_read_b32 v16, v12 offset:1024
	ds_read_u8 v9, v9 offset:764
	v_add_u32_e32 v13, 0x400, v12
	s_waitcnt lgkmcnt(3)
	v_and_b32_e32 v17, 1, v14
	v_cmp_eq_u32_e64 s[6:7], 1, v17
	s_waitcnt lgkmcnt(2)
	v_cndmask_b32_e64 v15, v15, 0, s[6:7]
	s_waitcnt lgkmcnt(0)
	v_or_b32_e32 v9, v9, v14
	v_add_u32_e32 v15, v15, v16
	v_and_b32_e32 v9, 1, v9
	ds_write2_b32 v13, v15, v9 offset1:1
.LBB92_152:
	s_or_b64 exec, exec, s[8:9]
	s_waitcnt lgkmcnt(0)
	s_barrier
	s_and_saveexec_b64 s[8:9], vcc
	s_cbranch_execz .LBB92_154
; %bb.153:
	v_mov_b32_e32 v9, 8
	s_movk_i32 s6, 0xf8
	ds_read_u8 v13, v9 offset:2044
	v_add_u32_e64 v14, s6, 8
	ds_read2st64_b32 v[14:15], v14 offset0:5 offset1:7
	ds_read_u8 v9, v9 offset:1532
	s_add_i32 s11, 8, 0x7f8
	s_waitcnt lgkmcnt(2)
	v_and_b32_e32 v16, 1, v13
	v_cmp_eq_u32_e64 s[6:7], 1, v16
	s_waitcnt lgkmcnt(1)
	v_cndmask_b32_e64 v14, v14, 0, s[6:7]
	s_waitcnt lgkmcnt(0)
	v_or_b32_e32 v9, v9, v13
	v_add_u32_e32 v14, v14, v15
	v_and_b32_e32 v9, 1, v9
	v_mov_b32_e32 v13, s11
	ds_write2_b32 v13, v14, v9 offset1:1
.LBB92_154:
	s_or_b64 exec, exec, s[8:9]
	s_waitcnt lgkmcnt(0)
	s_barrier
	s_and_saveexec_b64 s[8:9], vcc
	s_cbranch_execz .LBB92_156
; %bb.155:
	v_mov_b32_e32 v9, 8
	ds_read_u8 v13, v9 offset:1788
	ds_read_b32 v9, v9 offset:1784
	ds_read_b32 v14, v12 offset:1024
	ds_read_u8 v12, v12 offset:1028
	s_add_i32 s11, 8, 0x6f8
	s_waitcnt lgkmcnt(3)
	v_and_b32_e32 v15, 1, v13
	v_cmp_eq_u32_e64 s[6:7], 1, v15
	s_waitcnt lgkmcnt(1)
	v_cndmask_b32_e64 v14, v14, 0, s[6:7]
	s_waitcnt lgkmcnt(0)
	v_or_b32_e32 v12, v12, v13
	v_add_u32_e32 v9, v14, v9
	v_and_b32_e32 v12, 1, v12
	v_mov_b32_e32 v13, s11
	ds_write2_b32 v13, v9, v12 offset1:1
.LBB92_156:
	s_or_b64 exec, exec, s[8:9]
	v_cmp_gt_u32_e64 s[6:7], 3, v0
	s_waitcnt lgkmcnt(0)
	s_barrier
	s_and_saveexec_b64 s[8:9], s[6:7]
	s_cbranch_execz .LBB92_158
; %bb.157:
	v_lshl_add_u32 v9, v11, 3, s10
	ds_read_u8 v11, v9 offset:124
	v_lshl_add_u32 v10, v10, 3, s10
	ds_read_b32 v12, v10
	ds_read_b32 v13, v9 offset:120
	ds_read_u8 v10, v10 offset:4
	s_waitcnt lgkmcnt(3)
	v_and_b32_e32 v14, 1, v11
	v_cmp_eq_u32_e64 s[6:7], 1, v14
	s_waitcnt lgkmcnt(2)
	v_cndmask_b32_e64 v12, v12, 0, s[6:7]
	s_waitcnt lgkmcnt(0)
	v_or_b32_e32 v10, v10, v11
	v_add_u32_e32 v12, v12, v13
	v_and_b32_e32 v10, 1, v10
	ds_write2_b32 v9, v12, v10 offset0:30 offset1:31
.LBB92_158:
	s_or_b64 exec, exec, s[8:9]
	v_cmp_gt_u32_e64 s[6:7], 7, v0
	s_waitcnt lgkmcnt(0)
	s_barrier
	s_and_saveexec_b64 s[8:9], s[6:7]
	s_cbranch_execz .LBB92_160
; %bb.159:
	v_lshl_add_u32 v8, v8, 3, s10
	ds_read_u8 v9, v8 offset:60
	v_lshl_add_u32 v7, v7, 3, s10
	ds_read_b32 v10, v7
	ds_read_b32 v11, v8 offset:56
	ds_read_u8 v7, v7 offset:4
	s_waitcnt lgkmcnt(3)
	v_and_b32_e32 v12, 1, v9
	v_cmp_eq_u32_e64 s[6:7], 1, v12
	s_waitcnt lgkmcnt(2)
	v_cndmask_b32_e64 v10, v10, 0, s[6:7]
	s_waitcnt lgkmcnt(0)
	v_or_b32_e32 v7, v7, v9
	v_add_u32_e32 v10, v10, v11
	v_and_b32_e32 v7, 1, v7
	ds_write2_b32 v8, v10, v7 offset0:14 offset1:15
.LBB92_160:
	;; [unrolled: 24-line block ×3, first 2 shown]
	s_or_b64 exec, exec, s[8:9]
	v_cmp_gt_u32_e64 s[6:7], 31, v0
	s_waitcnt lgkmcnt(0)
	s_barrier
	s_and_saveexec_b64 s[8:9], s[6:7]
	s_cbranch_execz .LBB92_164
; %bb.163:
	v_lshl_add_u32 v3, v3, 3, s10
	ds_read_u8 v4, v3 offset:12
	v_add_u32_e32 v5, -8, v3
	ds_read_b32 v7, v5
	ds_read_b32 v8, v3 offset:8
	ds_read_u8 v5, v5 offset:4
	s_waitcnt lgkmcnt(3)
	v_and_b32_e32 v9, 1, v4
	v_cmp_eq_u32_e64 s[6:7], 1, v9
	s_waitcnt lgkmcnt(2)
	v_cndmask_b32_e64 v7, v7, 0, s[6:7]
	s_waitcnt lgkmcnt(0)
	v_or_b32_e32 v4, v5, v4
	v_add_u32_e32 v7, v7, v8
	v_and_b32_e32 v4, 1, v4
	ds_write2_b32 v3, v7, v4 offset0:2 offset1:3
.LBB92_164:
	s_or_b64 exec, exec, s[8:9]
	s_waitcnt lgkmcnt(0)
	s_barrier
	s_and_saveexec_b64 s[6:7], s[2:3]
	s_cbranch_execz .LBB92_166
; %bb.165:
	ds_read_u8 v3, v1 offset:20
	ds_read_u8 v7, v1 offset:12
	ds_read2_b32 v[4:5], v1 offset0:2 offset1:4
	s_waitcnt lgkmcnt(2)
	v_and_b32_e32 v8, 1, v3
	v_cmp_eq_u32_e64 s[2:3], 1, v8
	s_waitcnt lgkmcnt(1)
	v_or_b32_e32 v3, v7, v3
	s_waitcnt lgkmcnt(0)
	v_cndmask_b32_e64 v4, v4, 0, s[2:3]
	v_add_u32_e32 v4, v4, v5
	v_and_b32_e32 v3, 1, v3
	ds_write2_b32 v1, v4, v3 offset0:4 offset1:5
.LBB92_166:
	s_or_b64 exec, exec, s[6:7]
	s_waitcnt lgkmcnt(0)
	s_barrier
	ds_read_b32 v3, v2 offset:1024
	ds_read_b32 v1, v1 offset:8
	v_or_b32_e32 v2, 1, v6
	v_cmp_gt_u32_e64 s[6:7], s16, v2
	v_cmp_gt_u32_e64 s[2:3], s16, v6
	s_waitcnt lgkmcnt(1)
	v_cndmask_b32_e64 v3, 0, v3, s[2:3]
	s_waitcnt lgkmcnt(0)
	v_cndmask_b32_e64 v5, 0, v1, s[6:7]
	v_mbcnt_lo_u32_b32 v1, -1, 0
	v_mbcnt_hi_u32_b32 v12, -1, v1
	v_and_b32_e32 v13, 63, v12
	v_cmp_gt_u32_e64 s[8:9], 32, v13
	v_cndmask_b32_e64 v1, 0, 1, s[8:9]
	v_lshlrev_b32_e32 v1, 5, v1
	v_cndmask_b32_e64 v4, 0, v6, s[2:3]
	v_max_u32_e32 v7, v5, v3
	v_add_lshl_u32 v1, v1, v12, 2
	v_cndmask_b32_e64 v8, 0, v2, s[6:7]
	v_cmp_gt_u32_e64 s[8:9], v5, v3
	ds_bpermute_b32 v9, v1, v7
	v_cndmask_b32_e64 v3, v4, v8, s[8:9]
	ds_bpermute_b32 v4, v1, v3
	v_cmp_gt_u32_e64 s[8:9], 48, v13
	v_cndmask_b32_e64 v8, 0, 1, s[8:9]
	v_lshlrev_b32_e32 v8, 4, v8
	s_waitcnt lgkmcnt(1)
	v_max_u32_e32 v5, v9, v7
	v_add_lshl_u32 v8, v8, v12, 2
	v_cmp_gt_u32_e64 s[8:9], v9, v7
	ds_bpermute_b32 v10, v8, v5
	s_waitcnt lgkmcnt(1)
	v_cndmask_b32_e64 v3, v3, v4, s[8:9]
	ds_bpermute_b32 v4, v8, v3
	v_cmp_gt_u32_e64 s[8:9], 56, v13
	v_cndmask_b32_e64 v9, 0, 1, s[8:9]
	v_lshlrev_b32_e32 v9, 3, v9
	s_waitcnt lgkmcnt(1)
	v_max_u32_e32 v7, v10, v5
	v_add_lshl_u32 v9, v9, v12, 2
	v_cmp_gt_u32_e64 s[8:9], v10, v5
	ds_bpermute_b32 v11, v9, v7
	s_waitcnt lgkmcnt(1)
	;; [unrolled: 11-line block ×4, first 2 shown]
	v_cndmask_b32_e64 v4, v3, v4, s[8:9]
	ds_bpermute_b32 v5, v11, v4
	s_waitcnt lgkmcnt(0)
	s_barrier
	v_cmp_gt_u32_e64 s[8:9], v15, v7
	v_max_u32_e32 v3, v15, v7
	v_cndmask_b32_e64 v4, v4, v5, s[8:9]
	v_cmp_ne_u32_e64 s[8:9], 63, v13
	v_addc_co_u32_e64 v5, s[8:9], 0, v12, s[8:9]
	v_lshlrev_b32_e32 v12, 2, v5
	ds_bpermute_b32 v5, v12, v4
	ds_bpermute_b32 v7, v12, v3
	v_cmp_eq_u32_e64 s[8:9], 0, v19
	s_waitcnt lgkmcnt(0)
	s_barrier
	s_and_saveexec_b64 s[12:13], s[8:9]
	s_cbranch_execz .LBB92_168
; %bb.167:
	v_lshrrev_b32_e32 v13, 3, v0
	v_add_u32_e32 v13, 8, v13
	v_cmp_gt_u32_e64 s[10:11], v7, v3
	v_add_u32_e32 v13, 0x400, v13
	v_cndmask_b32_e64 v4, v4, v5, s[10:11]
	v_max_u32_e32 v3, v7, v3
	ds_write2_b32 v13, v3, v4 offset1:1
.LBB92_168:
	s_or_b64 exec, exec, s[12:13]
	s_lshr_b32 s10, s20, 6
	v_cmp_gt_u32_e64 s[10:11], s10, v0
	v_lshl_add_u32 v13, v19, 3, 8
	v_mov_b32_e32 v3, 0
	v_mov_b32_e32 v4, 0
	s_waitcnt lgkmcnt(0)
	s_barrier
	s_and_saveexec_b64 s[12:13], s[10:11]
	s_cbranch_execnz .LBB92_213
; %bb.169:
	s_or_b64 exec, exec, s[12:13]
	s_and_saveexec_b64 s[12:13], s[10:11]
	s_cbranch_execnz .LBB92_214
.LBB92_170:
	s_or_b64 exec, exec, s[12:13]
	s_and_saveexec_b64 s[20:21], s[0:1]
	s_cbranch_execnz .LBB92_215
.LBB92_171:
	s_or_b64 exec, exec, s[20:21]
	s_and_saveexec_b64 s[12:13], vcc
	s_cbranch_execz .LBB92_173
.LBB92_172:
	s_waitcnt lgkmcnt(0)
	v_lshl_add_u32 v3, v3, 3, 8
	ds_read_b64 v[4:5], v3
	v_mov_b32_e32 v3, 0
	s_waitcnt lgkmcnt(0)
	ds_write_b64 v3, v[4:5]
.LBB92_173:
	s_or_b64 exec, exec, s[12:13]
	s_mov_b32 s20, 0
	v_mov_b32_e32 v7, 0
	s_mov_b32 s21, s20
	v_cmp_gt_i64_e64 s[12:13], s[16:17], v[6:7]
	s_waitcnt lgkmcnt(0)
	v_pk_mov_b32 v[4:5], s[20:21], s[20:21] op_sel:[0,1]
	s_barrier
	s_and_saveexec_b64 s[20:21], s[12:13]
	s_cbranch_execz .LBB92_175
; %bb.174:
	v_add_u32_e32 v4, s15, v6
	v_mov_b32_e32 v5, v7
	v_lshlrev_b64 v[4:5], 3, v[4:5]
	v_mov_b32_e32 v3, s19
	v_add_co_u32_e64 v4, s[12:13], s18, v4
	v_addc_co_u32_e64 v5, s[12:13], v3, v5, s[12:13]
	global_load_dwordx2 v[4:5], v[4:5], off
	ds_read_b64 v[14:15], v7
	s_waitcnt vmcnt(0) lgkmcnt(0)
	v_cmp_eq_f64_e64 s[12:13], v[4:5], v[14:15]
	v_cndmask_b32_e64 v6, 0, v6, s[12:13]
	v_pk_mov_b32 v[4:5], v[6:7], v[6:7] op_sel:[0,1]
.LBB92_175:
	s_or_b64 exec, exec, s[20:21]
	v_mov_b32_e32 v3, v7
	v_cmp_gt_i64_e64 s[12:13], s[16:17], v[2:3]
	s_and_saveexec_b64 s[16:17], s[12:13]
	s_cbranch_execz .LBB92_177
; %bb.176:
	v_add_u32_e32 v6, s15, v2
	v_mov_b32_e32 v7, 0
	v_lshlrev_b64 v[14:15], 3, v[6:7]
	v_mov_b32_e32 v3, s19
	v_add_co_u32_e64 v14, s[12:13], s18, v14
	v_addc_co_u32_e64 v15, s[12:13], v3, v15, s[12:13]
	global_load_dwordx2 v[14:15], v[14:15], off
	ds_read_b64 v[6:7], v7
	s_waitcnt vmcnt(0) lgkmcnt(0)
	v_cmp_eq_f64_e64 s[12:13], v[14:15], v[6:7]
	v_cndmask_b32_e64 v5, 0, v2, s[12:13]
.LBB92_177:
	s_or_b64 exec, exec, s[16:17]
	v_cndmask_b32_e64 v2, 0, v4, s[2:3]
	v_cndmask_b32_e64 v3, 0, v5, s[6:7]
	v_max_u32_e32 v2, v3, v2
	ds_bpermute_b32 v3, v1, v2
	s_waitcnt lgkmcnt(0)
	s_barrier
	v_max_u32_e32 v2, v3, v2
	ds_bpermute_b32 v3, v8, v2
	s_waitcnt lgkmcnt(0)
	v_max_u32_e32 v2, v3, v2
	ds_bpermute_b32 v3, v9, v2
	s_waitcnt lgkmcnt(0)
	;; [unrolled: 3-line block ×4, first 2 shown]
	v_max_u32_e32 v2, v3, v2
	ds_bpermute_b32 v3, v12, v2
	s_and_saveexec_b64 s[2:3], s[8:9]
	s_cbranch_execz .LBB92_179
; %bb.178:
	v_lshrrev_b32_e32 v0, 4, v0
	v_add_u32_e32 v0, 8, v0
	s_waitcnt lgkmcnt(0)
	v_max_u32_e32 v2, v3, v2
	ds_write_b32 v0, v2
.LBB92_179:
	s_or_b64 exec, exec, s[2:3]
	v_mov_b32_e32 v0, 0
	s_waitcnt lgkmcnt(0)
	s_barrier
	s_and_saveexec_b64 s[2:3], s[10:11]
	s_cbranch_execnz .LBB92_216
; %bb.180:
	s_or_b64 exec, exec, s[2:3]
	s_and_saveexec_b64 s[2:3], s[0:1]
	s_cbranch_execnz .LBB92_217
.LBB92_181:
	s_or_b64 exec, exec, s[2:3]
	s_and_saveexec_b64 s[0:1], vcc
	s_cbranch_execnz .LBB92_218
.LBB92_182:
	s_endpgm
.LBB92_183:
	ds_read_u8 v14, v7 offset:1024
	s_andn2_b64 s[0:1], s[0:1], exec
	s_mov_b32 s6, 1
	s_waitcnt lgkmcnt(0)
	v_and_b32_e32 v14, 1, v14
	v_cmp_eq_u32_e32 vcc, 1, v14
	s_xor_b64 s[8:9], vcc, -1
	s_and_b64 s[8:9], s[8:9], exec
	s_or_b64 s[0:1], s[0:1], s[8:9]
	s_or_b64 exec, exec, s[2:3]
	v_mov_b32_e32 v14, s6
	s_and_saveexec_b64 s[2:3], s[0:1]
	s_cbranch_execz .LBB92_19
.LBB92_184:
	ds_read_u8 v14, v8 offset:1025
	s_waitcnt lgkmcnt(0)
	v_xor_b32_e32 v14, 1, v14
	s_or_b64 exec, exec, s[2:3]
	v_cmp_eq_u32_e32 vcc, v14, v13
	s_and_saveexec_b64 s[0:1], vcc
	s_cbranch_execnz .LBB92_20
	s_branch .LBB92_21
.LBB92_185:
	ds_read_u8 v17, v10 offset:1024
	s_andn2_b64 s[0:1], s[0:1], exec
	s_mov_b32 s6, 1
	s_waitcnt lgkmcnt(0)
	v_and_b32_e32 v17, 1, v17
	v_cmp_eq_u32_e32 vcc, 1, v17
	s_xor_b64 s[8:9], vcc, -1
	s_and_b64 s[8:9], s[8:9], exec
	s_or_b64 s[0:1], s[0:1], s[8:9]
	s_or_b64 exec, exec, s[2:3]
	v_mov_b32_e32 v17, s6
	s_and_saveexec_b64 s[2:3], s[0:1]
	s_cbranch_execz .LBB92_29
.LBB92_186:
	ds_read_u8 v17, v10 offset:1026
	s_waitcnt lgkmcnt(0)
	v_xor_b32_e32 v17, 1, v17
	s_or_b64 exec, exec, s[2:3]
	v_cmp_eq_u32_e32 vcc, v17, v16
	s_and_saveexec_b64 s[0:1], vcc
	s_cbranch_execnz .LBB92_30
	s_branch .LBB92_31
.LBB92_187:
	ds_read_u8 v17, v7 offset:1024
	s_andn2_b64 s[0:1], s[0:1], exec
	s_mov_b32 s6, 1
	s_waitcnt lgkmcnt(0)
	v_and_b32_e32 v17, 1, v17
	v_cmp_eq_u32_e32 vcc, 1, v17
	s_xor_b64 s[8:9], vcc, -1
	s_and_b64 s[8:9], s[8:9], exec
	s_or_b64 s[0:1], s[0:1], s[8:9]
	s_or_b64 exec, exec, s[2:3]
	v_mov_b32_e32 v17, s6
	s_and_saveexec_b64 s[2:3], s[0:1]
	s_cbranch_execz .LBB92_33
.LBB92_188:
	ds_read_u8 v17, v8 offset:1025
	s_waitcnt lgkmcnt(0)
	v_xor_b32_e32 v17, 1, v17
	s_or_b64 exec, exec, s[2:3]
	v_cmp_eq_u32_e32 vcc, v17, v16
	s_and_saveexec_b64 s[0:1], vcc
	s_cbranch_execnz .LBB92_34
	s_branch .LBB92_35
.LBB92_189:
	ds_read_u8 v20, v13 offset:1024
	s_andn2_b64 s[0:1], s[0:1], exec
	s_mov_b32 s6, 1
	s_waitcnt lgkmcnt(0)
	v_and_b32_e32 v20, 1, v20
	v_cmp_eq_u32_e32 vcc, 1, v20
	s_xor_b64 s[8:9], vcc, -1
	s_and_b64 s[8:9], s[8:9], exec
	s_or_b64 s[0:1], s[0:1], s[8:9]
	s_or_b64 exec, exec, s[2:3]
	v_mov_b32_e32 v20, s6
	s_and_saveexec_b64 s[2:3], s[0:1]
	s_cbranch_execz .LBB92_43
.LBB92_190:
	ds_read_u8 v20, v13 offset:1028
	s_waitcnt lgkmcnt(0)
	v_xor_b32_e32 v20, 1, v20
	s_or_b64 exec, exec, s[2:3]
	v_cmp_eq_u32_e32 vcc, v20, v19
	s_and_saveexec_b64 s[0:1], vcc
	s_cbranch_execnz .LBB92_44
	s_branch .LBB92_45
.LBB92_191:
	ds_read_u8 v20, v10 offset:1024
	s_andn2_b64 s[0:1], s[0:1], exec
	s_mov_b32 s6, 1
	s_waitcnt lgkmcnt(0)
	v_and_b32_e32 v20, 1, v20
	v_cmp_eq_u32_e32 vcc, 1, v20
	s_xor_b64 s[8:9], vcc, -1
	s_and_b64 s[8:9], s[8:9], exec
	s_or_b64 s[0:1], s[0:1], s[8:9]
	s_or_b64 exec, exec, s[2:3]
	v_mov_b32_e32 v20, s6
	s_and_saveexec_b64 s[2:3], s[0:1]
	s_cbranch_execz .LBB92_47
.LBB92_192:
	ds_read_u8 v20, v10 offset:1026
	s_waitcnt lgkmcnt(0)
	v_xor_b32_e32 v20, 1, v20
	s_or_b64 exec, exec, s[2:3]
	v_cmp_eq_u32_e32 vcc, v20, v19
	s_and_saveexec_b64 s[0:1], vcc
	s_cbranch_execnz .LBB92_48
	s_branch .LBB92_49
.LBB92_193:
	ds_read_u8 v20, v7 offset:1024
	s_andn2_b64 s[0:1], s[0:1], exec
	s_mov_b32 s6, 1
	s_waitcnt lgkmcnt(0)
	v_and_b32_e32 v20, 1, v20
	v_cmp_eq_u32_e32 vcc, 1, v20
	s_xor_b64 s[8:9], vcc, -1
	s_and_b64 s[8:9], s[8:9], exec
	s_or_b64 s[0:1], s[0:1], s[8:9]
	s_or_b64 exec, exec, s[2:3]
	v_mov_b32_e32 v20, s6
	s_and_saveexec_b64 s[2:3], s[0:1]
	s_cbranch_execz .LBB92_51
.LBB92_194:
	ds_read_u8 v20, v8 offset:1025
	s_waitcnt lgkmcnt(0)
	v_xor_b32_e32 v20, 1, v20
	s_or_b64 exec, exec, s[2:3]
	v_cmp_eq_u32_e32 vcc, v20, v19
	s_and_saveexec_b64 s[0:1], vcc
	s_cbranch_execnz .LBB92_52
	s_branch .LBB92_53
.LBB92_195:
	ds_read_u8 v23, v16 offset:1024
	s_andn2_b64 s[0:1], s[0:1], exec
	s_mov_b32 s6, 1
	s_waitcnt lgkmcnt(0)
	v_and_b32_e32 v23, 1, v23
	v_cmp_eq_u32_e32 vcc, 1, v23
	s_xor_b64 s[8:9], vcc, -1
	s_and_b64 s[8:9], s[8:9], exec
	s_or_b64 s[0:1], s[0:1], s[8:9]
	s_or_b64 exec, exec, s[2:3]
	v_mov_b32_e32 v23, s6
	s_and_saveexec_b64 s[2:3], s[0:1]
	s_cbranch_execz .LBB92_61
.LBB92_196:
	ds_read_u8 v23, v16 offset:1032
	s_waitcnt lgkmcnt(0)
	v_xor_b32_e32 v23, 1, v23
	s_or_b64 exec, exec, s[2:3]
	v_cmp_eq_u32_e32 vcc, v23, v19
	s_and_saveexec_b64 s[0:1], vcc
	s_cbranch_execnz .LBB92_62
	s_branch .LBB92_63
.LBB92_197:
	ds_read_u8 v23, v13 offset:1024
	s_andn2_b64 s[0:1], s[0:1], exec
	s_mov_b32 s6, 1
	s_waitcnt lgkmcnt(0)
	v_and_b32_e32 v23, 1, v23
	v_cmp_eq_u32_e32 vcc, 1, v23
	s_xor_b64 s[8:9], vcc, -1
	s_and_b64 s[8:9], s[8:9], exec
	s_or_b64 s[0:1], s[0:1], s[8:9]
	s_or_b64 exec, exec, s[2:3]
	v_mov_b32_e32 v23, s6
	s_and_saveexec_b64 s[2:3], s[0:1]
	s_cbranch_execz .LBB92_65
.LBB92_198:
	ds_read_u8 v23, v13 offset:1028
	s_waitcnt lgkmcnt(0)
	v_xor_b32_e32 v23, 1, v23
	s_or_b64 exec, exec, s[2:3]
	v_cmp_eq_u32_e32 vcc, v23, v19
	s_and_saveexec_b64 s[0:1], vcc
	s_cbranch_execnz .LBB92_66
	s_branch .LBB92_67
.LBB92_199:
	ds_read_u8 v23, v10 offset:1024
	s_andn2_b64 s[0:1], s[0:1], exec
	s_mov_b32 s6, 1
	s_waitcnt lgkmcnt(0)
	v_and_b32_e32 v23, 1, v23
	v_cmp_eq_u32_e32 vcc, 1, v23
	s_xor_b64 s[8:9], vcc, -1
	s_and_b64 s[8:9], s[8:9], exec
	s_or_b64 s[0:1], s[0:1], s[8:9]
	s_or_b64 exec, exec, s[2:3]
	v_mov_b32_e32 v23, s6
	s_and_saveexec_b64 s[2:3], s[0:1]
	s_cbranch_execz .LBB92_69
.LBB92_200:
	ds_read_u8 v23, v10 offset:1026
	s_waitcnt lgkmcnt(0)
	v_xor_b32_e32 v23, 1, v23
	s_or_b64 exec, exec, s[2:3]
	v_cmp_eq_u32_e32 vcc, v23, v19
	s_and_saveexec_b64 s[0:1], vcc
	s_cbranch_execnz .LBB92_70
	s_branch .LBB92_71
.LBB92_201:
	ds_read_u8 v23, v7 offset:1024
	s_andn2_b64 s[0:1], s[0:1], exec
	s_mov_b32 s6, 1
	s_waitcnt lgkmcnt(0)
	v_and_b32_e32 v23, 1, v23
	v_cmp_eq_u32_e32 vcc, 1, v23
	s_xor_b64 s[8:9], vcc, -1
	s_and_b64 s[8:9], s[8:9], exec
	s_or_b64 s[0:1], s[0:1], s[8:9]
	s_or_b64 exec, exec, s[2:3]
	v_mov_b32_e32 v23, s6
	s_and_saveexec_b64 s[2:3], s[0:1]
	s_cbranch_execz .LBB92_73
.LBB92_202:
	ds_read_u8 v23, v8 offset:1025
	s_waitcnt lgkmcnt(0)
	v_xor_b32_e32 v23, 1, v23
	s_or_b64 exec, exec, s[2:3]
	v_cmp_eq_u32_e32 vcc, v23, v19
	s_and_saveexec_b64 s[0:1], vcc
	s_cbranch_execnz .LBB92_74
	s_branch .LBB92_75
.LBB92_203:
	ds_read_u8 v26, v20 offset:1024
	s_andn2_b64 s[0:1], s[0:1], exec
	s_mov_b32 s6, 1
	s_waitcnt lgkmcnt(0)
	v_and_b32_e32 v26, 1, v26
	v_cmp_eq_u32_e32 vcc, 1, v26
	s_xor_b64 s[8:9], vcc, -1
	s_and_b64 s[8:9], s[8:9], exec
	s_or_b64 s[0:1], s[0:1], s[8:9]
	s_or_b64 exec, exec, s[2:3]
	v_mov_b32_e32 v26, s6
	s_and_saveexec_b64 s[2:3], s[0:1]
	s_cbranch_execz .LBB92_83
.LBB92_204:
	ds_read_u8 v26, v20 offset:1040
	s_waitcnt lgkmcnt(0)
	v_xor_b32_e32 v26, 1, v26
	s_or_b64 exec, exec, s[2:3]
	v_cmp_eq_u32_e32 vcc, v26, v19
	s_and_saveexec_b64 s[0:1], vcc
	s_cbranch_execnz .LBB92_84
	s_branch .LBB92_85
.LBB92_205:
	ds_read_u8 v26, v16 offset:1024
	s_andn2_b64 s[0:1], s[0:1], exec
	s_mov_b32 s6, 1
	s_waitcnt lgkmcnt(0)
	v_and_b32_e32 v26, 1, v26
	v_cmp_eq_u32_e32 vcc, 1, v26
	s_xor_b64 s[8:9], vcc, -1
	s_and_b64 s[8:9], s[8:9], exec
	s_or_b64 s[0:1], s[0:1], s[8:9]
	s_or_b64 exec, exec, s[2:3]
	v_mov_b32_e32 v26, s6
	s_and_saveexec_b64 s[2:3], s[0:1]
	s_cbranch_execz .LBB92_87
.LBB92_206:
	ds_read_u8 v26, v16 offset:1032
	s_waitcnt lgkmcnt(0)
	v_xor_b32_e32 v26, 1, v26
	s_or_b64 exec, exec, s[2:3]
	v_cmp_eq_u32_e32 vcc, v26, v19
	s_and_saveexec_b64 s[0:1], vcc
	s_cbranch_execnz .LBB92_88
	s_branch .LBB92_89
.LBB92_207:
	ds_read_u8 v26, v13 offset:1024
	s_andn2_b64 s[0:1], s[0:1], exec
	s_mov_b32 s6, 1
	s_waitcnt lgkmcnt(0)
	v_and_b32_e32 v26, 1, v26
	v_cmp_eq_u32_e32 vcc, 1, v26
	s_xor_b64 s[8:9], vcc, -1
	s_and_b64 s[8:9], s[8:9], exec
	s_or_b64 s[0:1], s[0:1], s[8:9]
	s_or_b64 exec, exec, s[2:3]
	v_mov_b32_e32 v26, s6
	s_and_saveexec_b64 s[2:3], s[0:1]
	s_cbranch_execz .LBB92_91
.LBB92_208:
	ds_read_u8 v26, v13 offset:1028
	s_waitcnt lgkmcnt(0)
	v_xor_b32_e32 v26, 1, v26
	s_or_b64 exec, exec, s[2:3]
	v_cmp_eq_u32_e32 vcc, v26, v19
	s_and_saveexec_b64 s[0:1], vcc
	s_cbranch_execnz .LBB92_92
	s_branch .LBB92_93
.LBB92_209:
	ds_read_u8 v26, v10 offset:1024
	s_andn2_b64 s[0:1], s[0:1], exec
	s_mov_b32 s6, 1
	s_waitcnt lgkmcnt(0)
	v_and_b32_e32 v26, 1, v26
	v_cmp_eq_u32_e32 vcc, 1, v26
	s_xor_b64 s[8:9], vcc, -1
	s_and_b64 s[8:9], s[8:9], exec
	s_or_b64 s[0:1], s[0:1], s[8:9]
	s_or_b64 exec, exec, s[2:3]
	v_mov_b32_e32 v26, s6
	s_and_saveexec_b64 s[2:3], s[0:1]
	s_cbranch_execz .LBB92_95
.LBB92_210:
	ds_read_u8 v26, v10 offset:1026
	s_waitcnt lgkmcnt(0)
	v_xor_b32_e32 v26, 1, v26
	s_or_b64 exec, exec, s[2:3]
	v_cmp_eq_u32_e32 vcc, v26, v19
	s_and_saveexec_b64 s[0:1], vcc
	s_cbranch_execnz .LBB92_96
	s_branch .LBB92_97
.LBB92_211:
	ds_read_u8 v26, v7 offset:1024
	s_andn2_b64 s[0:1], s[0:1], exec
	s_mov_b32 s6, 1
	s_waitcnt lgkmcnt(0)
	v_and_b32_e32 v26, 1, v26
	v_cmp_eq_u32_e32 vcc, 1, v26
	s_xor_b64 s[8:9], vcc, -1
	s_and_b64 s[8:9], s[8:9], exec
	s_or_b64 s[0:1], s[0:1], s[8:9]
	s_or_b64 exec, exec, s[2:3]
	v_mov_b32_e32 v26, s6
	s_and_saveexec_b64 s[2:3], s[0:1]
	s_cbranch_execz .LBB92_99
.LBB92_212:
	ds_read_u8 v26, v8 offset:1025
	s_waitcnt lgkmcnt(0)
	v_xor_b32_e32 v26, 1, v26
	s_or_b64 exec, exec, s[2:3]
	v_cmp_eq_u32_e32 vcc, v26, v19
	s_and_saveexec_b64 s[0:1], vcc
	s_cbranch_execnz .LBB92_100
	s_branch .LBB92_101
.LBB92_213:
	ds_read_b32 v4, v13 offset:1024
	s_or_b64 exec, exec, s[12:13]
	s_and_saveexec_b64 s[12:13], s[10:11]
	s_cbranch_execz .LBB92_170
.LBB92_214:
	ds_read_b32 v3, v13 offset:1028
	s_or_b64 exec, exec, s[12:13]
	s_and_saveexec_b64 s[20:21], s[0:1]
	s_cbranch_execz .LBB92_171
.LBB92_215:
	s_waitcnt lgkmcnt(0)
	ds_bpermute_b32 v5, v1, v4
	ds_bpermute_b32 v7, v1, v3
	s_waitcnt lgkmcnt(1)
	v_max_u32_e32 v14, v5, v4
	v_cmp_gt_u32_e64 s[12:13], v5, v4
	ds_bpermute_b32 v15, v8, v14
	s_waitcnt lgkmcnt(1)
	v_cndmask_b32_e64 v3, v3, v7, s[12:13]
	ds_bpermute_b32 v4, v8, v3
	s_waitcnt lgkmcnt(1)
	v_max_u32_e32 v5, v15, v14
	v_cmp_gt_u32_e64 s[12:13], v15, v14
	ds_bpermute_b32 v7, v9, v5
	s_waitcnt lgkmcnt(1)
	v_cndmask_b32_e64 v3, v3, v4, s[12:13]
	;; [unrolled: 7-line block ×4, first 2 shown]
	ds_bpermute_b32 v4, v11, v3
	s_waitcnt lgkmcnt(1)
	v_max_u32_e32 v14, v7, v5
	v_cmp_gt_u32_e64 s[12:13], v7, v5
	s_waitcnt lgkmcnt(0)
	v_cndmask_b32_e64 v3, v3, v4, s[12:13]
	ds_bpermute_b32 v4, v12, v14
	ds_bpermute_b32 v5, v12, v3
	s_waitcnt lgkmcnt(1)
	v_cmp_gt_u32_e64 s[12:13], v4, v14
	s_waitcnt lgkmcnt(0)
	v_cndmask_b32_e64 v3, v3, v5, s[12:13]
	s_or_b64 exec, exec, s[20:21]
	s_and_saveexec_b64 s[12:13], vcc
	s_cbranch_execnz .LBB92_172
	s_branch .LBB92_173
.LBB92_216:
	v_lshlrev_b32_e32 v0, 2, v19
	v_sub_u32_e32 v0, v13, v0
	ds_read_b32 v0, v0
	s_or_b64 exec, exec, s[2:3]
	s_and_saveexec_b64 s[2:3], s[0:1]
	s_cbranch_execz .LBB92_181
.LBB92_217:
	s_waitcnt lgkmcnt(0)
	ds_bpermute_b32 v1, v1, v0
	s_waitcnt lgkmcnt(0)
	v_max_u32_e32 v0, v1, v0
	ds_bpermute_b32 v1, v8, v0
	s_waitcnt lgkmcnt(0)
	v_max_u32_e32 v0, v1, v0
	ds_bpermute_b32 v1, v9, v0
	s_waitcnt lgkmcnt(0)
	v_max_u32_e32 v0, v1, v0
	ds_bpermute_b32 v1, v10, v0
	s_waitcnt lgkmcnt(0)
	v_max_u32_e32 v0, v1, v0
	ds_bpermute_b32 v1, v11, v0
	s_waitcnt lgkmcnt(0)
	v_max_u32_e32 v0, v1, v0
	ds_bpermute_b32 v1, v12, v0
	s_waitcnt lgkmcnt(0)
	v_max_u32_e32 v0, v1, v0
	s_or_b64 exec, exec, s[2:3]
	s_and_saveexec_b64 s[0:1], vcc
	s_cbranch_execz .LBB92_182
.LBB92_218:
	s_load_dword s6, s[4:5], 0xd8
	s_load_dwordx2 s[0:1], s[4:5], 0xe0
	s_add_u32 s2, s4, 8
	s_addc_u32 s3, s5, 0
	s_mov_b32 s5, 0
	s_waitcnt lgkmcnt(0)
	s_cmp_lt_i32 s6, 2
	s_cbranch_scc1 .LBB92_221
; %bb.219:
	s_add_i32 s4, s6, -1
	s_add_i32 s8, s6, 1
	s_lshl_b64 s[6:7], s[4:5], 2
	s_add_u32 s4, s6, s2
	s_addc_u32 s7, s7, s3
	s_add_u32 s6, s4, 8
	s_addc_u32 s7, s7, 0
.LBB92_220:                             ; =>This Inner Loop Header: Depth=1
	s_load_dword s4, s[6:7], 0x0
	s_load_dword s10, s[6:7], 0x64
	s_mov_b32 s9, s14
	s_waitcnt lgkmcnt(0)
	v_cvt_f32_u32_e32 v1, s4
	s_sub_i32 s11, 0, s4
	v_rcp_iflag_f32_e32 v1, v1
	v_mul_f32_e32 v1, 0x4f7ffffe, v1
	v_cvt_u32_f32_e32 v1, v1
	v_readfirstlane_b32 s12, v1
	s_mul_i32 s11, s11, s12
	s_mul_hi_u32 s11, s12, s11
	s_add_i32 s12, s12, s11
	s_mul_hi_u32 s11, s14, s12
	s_mul_i32 s12, s11, s4
	s_sub_i32 s12, s14, s12
	s_add_i32 s13, s11, 1
	s_sub_i32 s14, s12, s4
	s_cmp_ge_u32 s12, s4
	s_cselect_b32 s11, s13, s11
	s_cselect_b32 s12, s14, s12
	s_add_i32 s13, s11, 1
	s_cmp_ge_u32 s12, s4
	s_cselect_b32 s14, s13, s11
	s_mul_i32 s4, s14, s4
	s_sub_i32 s4, s9, s4
	s_mul_i32 s4, s10, s4
	s_add_i32 s8, s8, -1
	s_add_i32 s5, s4, s5
	s_add_u32 s6, s6, -4
	s_addc_u32 s7, s7, -1
	s_cmp_gt_u32 s8, 2
	s_cbranch_scc1 .LBB92_220
.LBB92_221:
	s_load_dword s4, s[2:3], 0x6c
	s_mov_b32 s7, 0
	s_load_dwordx2 s[2:3], s[2:3], 0x0
	v_mov_b32_e32 v1, 0
	ds_read_b64 v[2:3], v1
	s_waitcnt lgkmcnt(0)
	s_mul_i32 s4, s4, s14
	s_add_i32 s6, s4, s5
	s_lshl_b64 s[4:5], s[6:7], 3
	s_add_u32 s2, s2, s4
	s_addc_u32 s3, s3, s5
	s_add_u32 s0, s0, s4
	s_addc_u32 s1, s1, s5
	global_store_dwordx2 v1, v[2:3], s[2:3]
	global_store_dwordx2 v1, v[0:1], s[0:1]
	s_endpgm
	.section	.rodata,"a",@progbits
	.p2align	6, 0x0
	.amdhsa_kernel _ZN2at6native12compute_modeIdLj128EEEvPKT_NS_4cuda6detail10TensorInfoIS2_jEENS7_IljEEll
		.amdhsa_group_segment_fixed_size 8
		.amdhsa_private_segment_fixed_size 0
		.amdhsa_kernarg_size 712
		.amdhsa_user_sgpr_count 6
		.amdhsa_user_sgpr_private_segment_buffer 1
		.amdhsa_user_sgpr_dispatch_ptr 0
		.amdhsa_user_sgpr_queue_ptr 0
		.amdhsa_user_sgpr_kernarg_segment_ptr 1
		.amdhsa_user_sgpr_dispatch_id 0
		.amdhsa_user_sgpr_flat_scratch_init 0
		.amdhsa_user_sgpr_kernarg_preload_length 0
		.amdhsa_user_sgpr_kernarg_preload_offset 0
		.amdhsa_user_sgpr_private_segment_size 0
		.amdhsa_uses_dynamic_stack 0
		.amdhsa_system_sgpr_private_segment_wavefront_offset 0
		.amdhsa_system_sgpr_workgroup_id_x 1
		.amdhsa_system_sgpr_workgroup_id_y 1
		.amdhsa_system_sgpr_workgroup_id_z 1
		.amdhsa_system_sgpr_workgroup_info 0
		.amdhsa_system_vgpr_workitem_id 0
		.amdhsa_next_free_vgpr 31
		.amdhsa_next_free_sgpr 22
		.amdhsa_accum_offset 32
		.amdhsa_reserve_vcc 1
		.amdhsa_reserve_flat_scratch 0
		.amdhsa_float_round_mode_32 0
		.amdhsa_float_round_mode_16_64 0
		.amdhsa_float_denorm_mode_32 3
		.amdhsa_float_denorm_mode_16_64 3
		.amdhsa_dx10_clamp 1
		.amdhsa_ieee_mode 1
		.amdhsa_fp16_overflow 0
		.amdhsa_tg_split 0
		.amdhsa_exception_fp_ieee_invalid_op 0
		.amdhsa_exception_fp_denorm_src 0
		.amdhsa_exception_fp_ieee_div_zero 0
		.amdhsa_exception_fp_ieee_overflow 0
		.amdhsa_exception_fp_ieee_underflow 0
		.amdhsa_exception_fp_ieee_inexact 0
		.amdhsa_exception_int_div_zero 0
	.end_amdhsa_kernel
	.section	.text._ZN2at6native12compute_modeIdLj128EEEvPKT_NS_4cuda6detail10TensorInfoIS2_jEENS7_IljEEll,"axG",@progbits,_ZN2at6native12compute_modeIdLj128EEEvPKT_NS_4cuda6detail10TensorInfoIS2_jEENS7_IljEEll,comdat
.Lfunc_end92:
	.size	_ZN2at6native12compute_modeIdLj128EEEvPKT_NS_4cuda6detail10TensorInfoIS2_jEENS7_IljEEll, .Lfunc_end92-_ZN2at6native12compute_modeIdLj128EEEvPKT_NS_4cuda6detail10TensorInfoIS2_jEENS7_IljEEll
                                        ; -- End function
	.section	.AMDGPU.csdata,"",@progbits
; Kernel info:
; codeLenInByte = 10188
; NumSgprs: 26
; NumVgprs: 31
; NumAgprs: 0
; TotalNumVgprs: 31
; ScratchSize: 0
; MemoryBound: 0
; FloatMode: 240
; IeeeMode: 1
; LDSByteSize: 8 bytes/workgroup (compile time only)
; SGPRBlocks: 3
; VGPRBlocks: 3
; NumSGPRsForWavesPerEU: 26
; NumVGPRsForWavesPerEU: 31
; AccumOffset: 32
; Occupancy: 8
; WaveLimiterHint : 1
; COMPUTE_PGM_RSRC2:SCRATCH_EN: 0
; COMPUTE_PGM_RSRC2:USER_SGPR: 6
; COMPUTE_PGM_RSRC2:TRAP_HANDLER: 0
; COMPUTE_PGM_RSRC2:TGID_X_EN: 1
; COMPUTE_PGM_RSRC2:TGID_Y_EN: 1
; COMPUTE_PGM_RSRC2:TGID_Z_EN: 1
; COMPUTE_PGM_RSRC2:TIDIG_COMP_CNT: 0
; COMPUTE_PGM_RSRC3_GFX90A:ACCUM_OFFSET: 7
; COMPUTE_PGM_RSRC3_GFX90A:TG_SPLIT: 0
	.section	.text._ZN2at6native12compute_modeIfLj2048EEEvPKT_NS_4cuda6detail10TensorInfoIS2_jEENS7_IljEEll,"axG",@progbits,_ZN2at6native12compute_modeIfLj2048EEEvPKT_NS_4cuda6detail10TensorInfoIS2_jEENS7_IljEEll,comdat
	.protected	_ZN2at6native12compute_modeIfLj2048EEEvPKT_NS_4cuda6detail10TensorInfoIS2_jEENS7_IljEEll ; -- Begin function _ZN2at6native12compute_modeIfLj2048EEEvPKT_NS_4cuda6detail10TensorInfoIS2_jEENS7_IljEEll
	.globl	_ZN2at6native12compute_modeIfLj2048EEEvPKT_NS_4cuda6detail10TensorInfoIS2_jEENS7_IljEEll
	.p2align	8
	.type	_ZN2at6native12compute_modeIfLj2048EEEvPKT_NS_4cuda6detail10TensorInfoIS2_jEENS7_IljEEll,@function
_ZN2at6native12compute_modeIfLj2048EEEvPKT_NS_4cuda6detail10TensorInfoIS2_jEENS7_IljEEll: ; @_ZN2at6native12compute_modeIfLj2048EEEvPKT_NS_4cuda6detail10TensorInfoIS2_jEENS7_IljEEll
; %bb.0:
	s_load_dwordx4 s[16:19], s[4:5], 0x1b8
	s_load_dwordx2 s[2:3], s[4:5], 0x1c8
	s_add_u32 s0, s4, 0x1c8
	s_addc_u32 s1, s5, 0
	s_waitcnt lgkmcnt(0)
	v_mov_b32_e32 v2, s18
	s_mul_i32 s3, s3, s8
	s_add_i32 s3, s3, s7
	s_mul_i32 s2, s3, s2
	v_mov_b32_e32 v3, s19
	s_add_i32 s18, s2, s6
	s_mov_b32 s19, 0
	v_cmp_ge_i64_e32 vcc, s[18:19], v[2:3]
	s_cbranch_vccnz .LBB93_134
; %bb.1:
	s_load_dwordx2 s[20:21], s[4:5], 0x0
	s_load_dword s6, s[0:1], 0xc
	v_mov_b32_e32 v3, 0
	v_mov_b32_e32 v1, v3
	s_mul_i32 s19, s18, s16
	v_cmp_gt_i64_e32 vcc, s[16:17], v[0:1]
	s_and_saveexec_b64 s[2:3], vcc
	s_cbranch_execz .LBB93_3
; %bb.2:
	v_add_u32_e32 v2, s19, v0
	v_lshlrev_b64 v[4:5], 2, v[2:3]
	s_waitcnt lgkmcnt(0)
	v_mov_b32_e32 v1, s21
	v_add_co_u32_e64 v4, s[0:1], s20, v4
	v_addc_co_u32_e64 v5, s[0:1], v1, v5, s[0:1]
	global_load_dword v1, v[4:5], off
	v_lshl_add_u32 v2, v0, 2, 4
	s_waitcnt vmcnt(0)
	ds_write_b32 v2, v1
.LBB93_3:
	s_or_b64 exec, exec, s[2:3]
	s_load_dwordx2 s[14:15], s[4:5], 0xe0
	s_waitcnt lgkmcnt(0)
	s_and_b32 s22, 0xffff, s6
	v_add_u32_e32 v2, s22, v0
	v_cmp_gt_i64_e64 s[0:1], s[16:17], v[2:3]
	s_and_saveexec_b64 s[6:7], s[0:1]
	s_cbranch_execz .LBB93_5
; %bb.4:
	v_add_u32_e32 v4, s19, v2
	v_mov_b32_e32 v5, 0
	v_lshlrev_b64 v[4:5], 2, v[4:5]
	v_mov_b32_e32 v1, s21
	v_add_co_u32_e64 v4, s[2:3], s20, v4
	v_addc_co_u32_e64 v5, s[2:3], v1, v5, s[2:3]
	global_load_dword v1, v[4:5], off
	v_lshl_add_u32 v2, v2, 2, 4
	s_waitcnt vmcnt(0)
	ds_write_b32 v2, v1
.LBB93_5:
	s_or_b64 exec, exec, s[6:7]
	v_add_u32_e32 v1, 4, v0
	v_cndmask_b32_e64 v2, 0, 1, vcc
	ds_write_b8 v1, v2 offset:8192
	v_add_u32_e32 v2, s22, v1
	v_cndmask_b32_e64 v3, 0, 1, s[0:1]
	ds_write_b8 v2, v3 offset:8192
	v_lshlrev_b32_e32 v2, 1, v0
	s_mov_b32 s6, 2
	s_waitcnt lgkmcnt(0)
	s_barrier
	s_branch .LBB93_7
.LBB93_6:                               ;   in Loop: Header=BB93_7 Depth=1
	s_lshl_b32 s0, s6, 2
	s_cmpk_gt_u32 s6, 0x1ff
	s_mov_b32 s6, s0
	s_cbranch_scc1 .LBB93_23
.LBB93_7:                               ; =>This Loop Header: Depth=1
                                        ;     Child Loop BB93_9 Depth 2
                                        ;     Child Loop BB93_17 Depth 2
	s_lshr_b32 s7, s6, 1
	v_and_b32_e32 v3, s7, v0
	v_cmp_ne_u32_e32 vcc, 0, v3
	v_cndmask_b32_e64 v3, 0, 1, vcc
	s_branch .LBB93_9
.LBB93_8:                               ;   in Loop: Header=BB93_9 Depth=2
	s_or_b64 exec, exec, s[0:1]
	s_lshr_b32 s0, s7, 1
	s_cmp_lt_u32 s7, 2
	s_mov_b32 s7, s0
	s_cbranch_scc1 .LBB93_15
.LBB93_9:                               ;   Parent Loop BB93_7 Depth=1
                                        ; =>  This Inner Loop Header: Depth=2
	s_add_i32 s0, s7, -1
	v_and_b32_e32 v4, s0, v0
	v_sub_u32_e32 v7, v2, v4
	v_lshl_add_u32 v4, v7, 2, 4
	s_barrier
	v_lshl_add_u32 v5, s7, 2, v4
	ds_read_b32 v6, v4
	ds_read_b32 v8, v5
	v_add_u32_e32 v7, 4, v7
                                        ; implicit-def: $sgpr8
	s_waitcnt lgkmcnt(0)
	v_cmp_nlt_f32_e64 s[0:1], v6, v8
	v_cmp_lt_f32_e32 vcc, v6, v8
	s_and_saveexec_b64 s[2:3], vcc
	s_cbranch_execz .LBB93_11
; %bb.10:                               ;   in Loop: Header=BB93_9 Depth=2
	ds_read_u8 v9, v7 offset:8192
	s_andn2_b64 s[0:1], s[0:1], exec
	s_mov_b32 s8, 1
	s_waitcnt lgkmcnt(0)
	v_and_b32_e32 v9, 1, v9
	v_cmp_eq_u32_e32 vcc, 1, v9
	s_xor_b64 s[10:11], vcc, -1
	s_and_b64 s[10:11], s[10:11], exec
	s_or_b64 s[0:1], s[0:1], s[10:11]
.LBB93_11:                              ;   in Loop: Header=BB93_9 Depth=2
	s_or_b64 exec, exec, s[2:3]
	v_mov_b32_e32 v10, s8
	v_add_u32_e32 v9, s7, v7
	s_and_saveexec_b64 s[2:3], s[0:1]
	s_cbranch_execz .LBB93_13
; %bb.12:                               ;   in Loop: Header=BB93_9 Depth=2
	ds_read_u8 v10, v9 offset:8192
	s_waitcnt lgkmcnt(0)
	v_xor_b32_e32 v10, 1, v10
.LBB93_13:                              ;   in Loop: Header=BB93_9 Depth=2
	s_or_b64 exec, exec, s[2:3]
	v_cmp_eq_u32_e32 vcc, v10, v3
	s_and_saveexec_b64 s[0:1], vcc
	s_cbranch_execz .LBB93_8
; %bb.14:                               ;   in Loop: Header=BB93_9 Depth=2
	ds_read_u8 v10, v9 offset:8192
	ds_read_u8 v11, v7 offset:8192
	ds_write_b32 v4, v8
	ds_write_b32 v5, v6
	s_waitcnt lgkmcnt(3)
	ds_write_b8 v7, v10 offset:8192
	s_waitcnt lgkmcnt(3)
	ds_write_b8 v9, v11 offset:8192
	s_branch .LBB93_8
.LBB93_15:                              ;   in Loop: Header=BB93_7 Depth=1
	v_and_b32_e32 v3, s6, v0
	v_cmp_ne_u32_e32 vcc, 0, v3
	v_cndmask_b32_e64 v3, 0, 1, vcc
	s_mov_b32 s7, s6
	s_branch .LBB93_17
.LBB93_16:                              ;   in Loop: Header=BB93_17 Depth=2
	s_or_b64 exec, exec, s[0:1]
	s_lshr_b32 s0, s7, 1
	s_cmp_gt_u32 s7, 1
	s_mov_b32 s7, s0
	s_cbranch_scc0 .LBB93_6
.LBB93_17:                              ;   Parent Loop BB93_7 Depth=1
                                        ; =>  This Inner Loop Header: Depth=2
	s_add_i32 s0, s7, -1
	v_and_b32_e32 v4, s0, v0
	v_sub_u32_e32 v7, v2, v4
	v_lshl_add_u32 v4, v7, 2, 4
	s_waitcnt lgkmcnt(0)
	s_barrier
	v_lshl_add_u32 v5, s7, 2, v4
	ds_read_b32 v6, v4
	ds_read_b32 v8, v5
	v_add_u32_e32 v7, 4, v7
                                        ; implicit-def: $sgpr8
	s_waitcnt lgkmcnt(0)
	v_cmp_nlt_f32_e64 s[0:1], v6, v8
	v_cmp_lt_f32_e32 vcc, v6, v8
	s_and_saveexec_b64 s[2:3], vcc
	s_cbranch_execz .LBB93_19
; %bb.18:                               ;   in Loop: Header=BB93_17 Depth=2
	ds_read_u8 v9, v7 offset:8192
	s_andn2_b64 s[0:1], s[0:1], exec
	s_mov_b32 s8, 1
	s_waitcnt lgkmcnt(0)
	v_and_b32_e32 v9, 1, v9
	v_cmp_eq_u32_e32 vcc, 1, v9
	s_xor_b64 s[10:11], vcc, -1
	s_and_b64 s[10:11], s[10:11], exec
	s_or_b64 s[0:1], s[0:1], s[10:11]
.LBB93_19:                              ;   in Loop: Header=BB93_17 Depth=2
	s_or_b64 exec, exec, s[2:3]
	v_mov_b32_e32 v10, s8
	v_add_u32_e32 v9, s7, v7
	s_and_saveexec_b64 s[2:3], s[0:1]
	s_cbranch_execz .LBB93_21
; %bb.20:                               ;   in Loop: Header=BB93_17 Depth=2
	ds_read_u8 v10, v9 offset:8192
	s_waitcnt lgkmcnt(0)
	v_xor_b32_e32 v10, 1, v10
.LBB93_21:                              ;   in Loop: Header=BB93_17 Depth=2
	s_or_b64 exec, exec, s[2:3]
	v_cmp_eq_u32_e32 vcc, v10, v3
	s_and_saveexec_b64 s[0:1], vcc
	s_cbranch_execz .LBB93_16
; %bb.22:                               ;   in Loop: Header=BB93_17 Depth=2
	ds_read_u8 v10, v9 offset:8192
	ds_read_u8 v11, v7 offset:8192
	ds_write_b32 v4, v8
	ds_write_b32 v5, v6
	s_waitcnt lgkmcnt(3)
	ds_write_b8 v7, v10 offset:8192
	s_waitcnt lgkmcnt(3)
	ds_write_b8 v9, v11 offset:8192
	s_branch .LBB93_16
.LBB93_23:
	v_mad_u32_u24 v3, v0, 3, v1
	s_waitcnt lgkmcnt(0)
	s_barrier
	ds_read2st64_b32 v[4:5], v3 offset1:16
                                        ; implicit-def: $sgpr6
	s_waitcnt lgkmcnt(0)
	v_cmp_nlt_f32_e64 s[0:1], v4, v5
	v_cmp_lt_f32_e32 vcc, v4, v5
	s_and_saveexec_b64 s[2:3], vcc
	s_cbranch_execnz .LBB93_135
; %bb.24:
	s_or_b64 exec, exec, s[2:3]
	v_mov_b32_e32 v3, s6
	s_and_saveexec_b64 s[2:3], s[0:1]
	s_cbranch_execnz .LBB93_136
.LBB93_25:
	s_or_b64 exec, exec, s[2:3]
	v_cmp_eq_u32_e32 vcc, 0, v3
	s_and_saveexec_b64 s[0:1], vcc
	s_cbranch_execz .LBB93_27
.LBB93_26:
	ds_read_u8 v3, v1 offset:9216
	ds_read_u8 v6, v1 offset:8192
	v_mul_u32_u24_e32 v7, 3, v0
	v_add_u32_e32 v7, v1, v7
	ds_write2st64_b32 v7, v5, v4 offset1:16
	s_waitcnt lgkmcnt(2)
	ds_write_b8 v1, v3 offset:8192
	s_waitcnt lgkmcnt(2)
	ds_write_b8 v1, v6 offset:9216
.LBB93_27:
	s_or_b64 exec, exec, s[0:1]
	v_and_b32_e32 v1, 0x1ff, v0
	v_sub_u32_e32 v3, v2, v1
	v_add_u32_e32 v1, 4, v3
	v_lshl_add_u32 v4, v3, 2, 4
	v_mad_i32_i24 v6, v3, 3, v1
	s_waitcnt lgkmcnt(0)
	s_barrier
	ds_read_b32 v5, v4
	ds_read_b32 v6, v6 offset:2048
                                        ; implicit-def: $sgpr6
	s_waitcnt lgkmcnt(0)
	v_cmp_nlt_f32_e64 s[0:1], v5, v6
	v_cmp_lt_f32_e32 vcc, v5, v6
	s_and_saveexec_b64 s[2:3], vcc
	s_cbranch_execnz .LBB93_137
; %bb.28:
	s_or_b64 exec, exec, s[2:3]
	v_mov_b32_e32 v7, s6
	s_and_saveexec_b64 s[2:3], s[0:1]
	s_cbranch_execnz .LBB93_138
.LBB93_29:
	s_or_b64 exec, exec, s[2:3]
	v_cmp_eq_u32_e32 vcc, 0, v7
	s_and_saveexec_b64 s[0:1], vcc
	s_cbranch_execz .LBB93_31
.LBB93_30:
	ds_read_u8 v7, v1 offset:8192
	ds_read_u8 v8, v1 offset:8704
	v_mul_i32_i24_e32 v3, 3, v3
	v_add_u32_e32 v3, v1, v3
	ds_write_b32 v4, v6
	ds_write_b32 v3, v5 offset:2048
	s_waitcnt lgkmcnt(2)
	ds_write_b8 v1, v8 offset:8192
	ds_write_b8 v1, v7 offset:8704
.LBB93_31:
	s_or_b64 exec, exec, s[0:1]
	v_sub_u32_sdwa v3, v2, v0 dst_sel:DWORD dst_unused:UNUSED_PAD src0_sel:DWORD src1_sel:BYTE_0
	v_add_u32_e32 v1, 4, v3
	v_lshl_add_u32 v4, v3, 2, 4
	v_mad_i32_i24 v6, v3, 3, v1
	s_waitcnt lgkmcnt(0)
	s_barrier
	ds_read_b32 v5, v4
	ds_read_b32 v6, v6 offset:1024
                                        ; implicit-def: $sgpr6
	s_waitcnt lgkmcnt(0)
	v_cmp_nlt_f32_e64 s[0:1], v5, v6
	v_cmp_lt_f32_e32 vcc, v5, v6
	s_and_saveexec_b64 s[2:3], vcc
	s_cbranch_execnz .LBB93_139
; %bb.32:
	s_or_b64 exec, exec, s[2:3]
	v_mov_b32_e32 v7, s6
	s_and_saveexec_b64 s[2:3], s[0:1]
	s_cbranch_execnz .LBB93_140
.LBB93_33:
	s_or_b64 exec, exec, s[2:3]
	v_cmp_eq_u32_e32 vcc, 0, v7
	s_and_saveexec_b64 s[0:1], vcc
	s_cbranch_execz .LBB93_35
.LBB93_34:
	ds_read_u8 v7, v1 offset:8192
	ds_read_u8 v8, v1 offset:8448
	v_mul_i32_i24_e32 v3, 3, v3
	v_add_u32_e32 v3, v1, v3
	ds_write_b32 v4, v6
	ds_write_b32 v3, v5 offset:1024
	s_waitcnt lgkmcnt(2)
	ds_write_b8 v1, v8 offset:8192
	ds_write_b8 v1, v7 offset:8448
.LBB93_35:
	s_or_b64 exec, exec, s[0:1]
	v_and_b32_e32 v1, 0x7f, v0
	v_sub_u32_e32 v3, v2, v1
	v_add_u32_e32 v1, 4, v3
	v_lshl_add_u32 v4, v3, 2, 4
	v_mad_i32_i24 v6, v3, 3, v1
	s_waitcnt lgkmcnt(0)
	s_barrier
	ds_read_b32 v5, v4
	ds_read_b32 v6, v6 offset:512
                                        ; implicit-def: $sgpr6
	s_waitcnt lgkmcnt(0)
	v_cmp_nlt_f32_e64 s[0:1], v5, v6
	v_cmp_lt_f32_e32 vcc, v5, v6
	s_and_saveexec_b64 s[2:3], vcc
	s_cbranch_execnz .LBB93_141
; %bb.36:
	s_or_b64 exec, exec, s[2:3]
	v_mov_b32_e32 v7, s6
	s_and_saveexec_b64 s[2:3], s[0:1]
	s_cbranch_execnz .LBB93_142
.LBB93_37:
	s_or_b64 exec, exec, s[2:3]
	v_cmp_eq_u32_e32 vcc, 0, v7
	s_and_saveexec_b64 s[0:1], vcc
	s_cbranch_execz .LBB93_39
.LBB93_38:
	ds_read_u8 v7, v1 offset:8192
	ds_read_u8 v8, v1 offset:8320
	v_mul_i32_i24_e32 v3, 3, v3
	v_add_u32_e32 v3, v1, v3
	ds_write_b32 v4, v6
	ds_write_b32 v3, v5 offset:512
	s_waitcnt lgkmcnt(2)
	ds_write_b8 v1, v8 offset:8192
	ds_write_b8 v1, v7 offset:8320
.LBB93_39:
	s_or_b64 exec, exec, s[0:1]
	v_and_b32_e32 v1, 63, v0
	v_sub_u32_e32 v6, v2, v1
	v_add_u32_e32 v3, 4, v6
	v_lshl_add_u32 v4, v6, 2, 4
	v_mad_i32_i24 v7, v6, 3, v3
	s_waitcnt lgkmcnt(0)
	s_barrier
	ds_read_b32 v5, v4
	ds_read_b32 v7, v7 offset:256
	s_waitcnt lgkmcnt(0)
	v_cmp_nlt_f32_e64 s[2:3], v5, v7
	v_cmp_lt_f32_e32 vcc, v5, v7
	s_and_saveexec_b64 s[0:1], vcc
	s_cbranch_execz .LBB93_41
; %bb.40:
	ds_read_u8 v8, v3 offset:8192
	s_andn2_b64 s[2:3], s[2:3], exec
	s_waitcnt lgkmcnt(0)
	v_and_b32_e32 v8, 1, v8
	v_cmp_eq_u32_e32 vcc, 1, v8
	s_xor_b64 s[6:7], vcc, -1
	s_and_b64 s[6:7], s[6:7], exec
	s_or_b64 s[2:3], s[2:3], s[6:7]
.LBB93_41:
	s_or_b64 exec, exec, s[0:1]
	s_and_saveexec_b64 s[0:1], s[2:3]
	s_cbranch_execz .LBB93_44
; %bb.42:
	ds_read_u8 v8, v3 offset:8256
	s_waitcnt lgkmcnt(0)
	v_cmp_ne_u16_e32 vcc, 0, v8
	s_and_b64 exec, exec, vcc
	s_cbranch_execz .LBB93_44
; %bb.43:
	ds_read_u8 v9, v3 offset:8192
	v_mul_i32_i24_e32 v6, 3, v6
	ds_write_b32 v4, v7
	v_add_u32_e32 v4, v3, v6
	ds_write_b32 v4, v5 offset:256
	ds_write_b8 v3, v8 offset:8192
	s_waitcnt lgkmcnt(3)
	ds_write_b8 v3, v9 offset:8256
.LBB93_44:
	s_or_b64 exec, exec, s[0:1]
	v_and_b32_e32 v3, 31, v0
	v_sub_u32_e32 v6, v2, v3
	v_add_u32_e32 v3, 4, v6
	v_lshl_add_u32 v4, v6, 2, 4
	v_mad_i32_i24 v7, v6, 3, v3
	s_waitcnt lgkmcnt(0)
	s_barrier
	ds_read_b32 v5, v4
	ds_read_b32 v7, v7 offset:128
	s_waitcnt lgkmcnt(0)
	v_cmp_nlt_f32_e64 s[2:3], v5, v7
	v_cmp_lt_f32_e32 vcc, v5, v7
	s_and_saveexec_b64 s[0:1], vcc
	s_cbranch_execz .LBB93_46
; %bb.45:
	ds_read_u8 v8, v3 offset:8192
	s_andn2_b64 s[2:3], s[2:3], exec
	s_waitcnt lgkmcnt(0)
	v_and_b32_e32 v8, 1, v8
	v_cmp_eq_u32_e32 vcc, 1, v8
	s_xor_b64 s[6:7], vcc, -1
	s_and_b64 s[6:7], s[6:7], exec
	s_or_b64 s[2:3], s[2:3], s[6:7]
.LBB93_46:
	s_or_b64 exec, exec, s[0:1]
	s_and_saveexec_b64 s[0:1], s[2:3]
	s_cbranch_execz .LBB93_49
; %bb.47:
	ds_read_u8 v8, v3 offset:8224
	s_waitcnt lgkmcnt(0)
	v_cmp_ne_u16_e32 vcc, 0, v8
	s_and_b64 exec, exec, vcc
	s_cbranch_execz .LBB93_49
; %bb.48:
	ds_read_u8 v9, v3 offset:8192
	v_mul_i32_i24_e32 v6, 3, v6
	ds_write_b32 v4, v7
	v_add_u32_e32 v4, v3, v6
	ds_write_b32 v4, v5 offset:128
	ds_write_b8 v3, v8 offset:8192
	s_waitcnt lgkmcnt(3)
	ds_write_b8 v3, v9 offset:8224
.LBB93_49:
	;; [unrolled: 44-line block ×6, first 2 shown]
	s_or_b64 exec, exec, s[0:1]
	v_lshl_add_u32 v7, v2, 2, 4
	s_waitcnt lgkmcnt(0)
	s_barrier
	ds_read2_b32 v[4:5], v7 offset1:1
	v_mad_i32_i24 v6, v0, -6, v7
	s_add_i32 s10, 4, 0x2000
	s_waitcnt lgkmcnt(0)
	v_cmp_nlt_f32_e64 s[2:3], v4, v5
	v_cmp_lt_f32_e32 vcc, v4, v5
	s_and_saveexec_b64 s[0:1], vcc
	s_cbranch_execz .LBB93_71
; %bb.70:
	ds_read_u8 v3, v6 offset:8192
	s_andn2_b64 s[2:3], s[2:3], exec
	s_waitcnt lgkmcnt(0)
	v_and_b32_e32 v3, 1, v3
	v_cmp_eq_u32_e32 vcc, 1, v3
	s_xor_b64 s[6:7], vcc, -1
	s_and_b64 s[6:7], s[6:7], exec
	s_or_b64 s[2:3], s[2:3], s[6:7]
.LBB93_71:
	s_or_b64 exec, exec, s[0:1]
	v_add_u32_e32 v8, s10, v2
	s_and_saveexec_b64 s[0:1], s[2:3]
	s_cbranch_execz .LBB93_74
; %bb.72:
	ds_read_u8 v3, v8 offset:1
	s_waitcnt lgkmcnt(0)
	v_cmp_ne_u16_e32 vcc, 0, v3
	s_and_b64 exec, exec, vcc
	s_cbranch_execz .LBB93_74
; %bb.73:
	ds_read_u8 v9, v6 offset:8192
	ds_write2_b32 v7, v5, v4 offset1:1
	ds_write_b8 v6, v3 offset:8192
	s_waitcnt lgkmcnt(2)
	ds_write_b8 v8, v9 offset:1
.LBB93_74:
	s_or_b64 exec, exec, s[0:1]
	v_cmp_eq_u32_e32 vcc, 0, v0
	s_waitcnt lgkmcnt(0)
	s_barrier
	s_barrier
	s_and_saveexec_b64 s[0:1], vcc
	s_cbranch_execz .LBB93_76
; %bb.75:
	v_mov_b32_e32 v3, 4
	v_mov_b32_e32 v4, 1
	ds_write_b8 v3, v4 offset:8196
	v_mov_b32_e32 v4, 0
	ds_write_b32 v3, v4 offset:8192
.LBB93_76:
	s_or_b64 exec, exec, s[0:1]
	ds_read2_b32 v[4:5], v7 offset1:1
	v_mad_u32_u24 v3, v0, 14, v8
	v_mul_u32_u24_e32 v9, 14, v0
	s_waitcnt lgkmcnt(0)
	v_cmp_neq_f32_e64 s[0:1], v4, v5
	v_cndmask_b32_e64 v10, 0, 1, s[0:1]
	v_cmp_eq_f32_e64 s[0:1], v4, v5
	v_cndmask_b32_e64 v4, 0, 1, s[0:1]
	s_movk_i32 s0, 0x3ff
	ds_write_b8 v3, v10 offset:12
	ds_write_b32 v3, v4 offset:8
	v_cmp_ne_u32_e64 s[2:3], s0, v0
	v_mov_b32_e32 v3, 0x800
	s_and_saveexec_b64 s[6:7], s[2:3]
	s_cbranch_execz .LBB93_78
; %bb.77:
	ds_read_b32 v4, v7 offset:8
	v_add_u32_e32 v3, 2, v2
	v_lshl_add_u32 v7, v2, 3, s10
	s_waitcnt lgkmcnt(0)
	v_cmp_neq_f32_e64 s[0:1], v5, v4
	v_cndmask_b32_e64 v10, 0, 1, s[0:1]
	v_cmp_eq_f32_e64 s[0:1], v5, v4
	v_cndmask_b32_e64 v4, 0, 1, s[0:1]
	ds_write_b8 v7, v10 offset:20
	ds_write_b32 v7, v4 offset:16
.LBB93_78:
	s_or_b64 exec, exec, s[6:7]
	v_add_u32_e32 v5, v8, v9
	s_waitcnt lgkmcnt(0)
	s_barrier
	ds_read_u8 v7, v5 offset:12
	v_add_u32_e32 v4, v6, v9
	ds_read_b32 v6, v4 offset:8192
	ds_read_b32 v8, v5 offset:8
	ds_read_u8 v9, v4 offset:8196
	s_waitcnt lgkmcnt(3)
	v_and_b32_e32 v10, 1, v7
	v_cmp_eq_u32_e64 s[0:1], 1, v10
	s_waitcnt lgkmcnt(2)
	v_cndmask_b32_e64 v6, v6, 0, s[0:1]
	s_waitcnt lgkmcnt(0)
	v_or_b32_e32 v7, v9, v7
	v_add_u32_e32 v6, v6, v8
	v_and_b32_e32 v7, 1, v7
	ds_write2_b32 v5, v6, v7 offset0:2 offset1:3
	v_lshlrev_b32_e32 v6, 1, v3
	s_movk_i32 s0, 0x200
	v_add_u32_e32 v7, -1, v6
	v_cmp_gt_u32_e64 s[0:1], s0, v0
	s_waitcnt lgkmcnt(0)
	s_barrier
	s_and_saveexec_b64 s[6:7], s[0:1]
	s_cbranch_execz .LBB93_80
; %bb.79:
	v_lshl_add_u32 v8, v7, 3, 4
	ds_read_b32 v9, v8 offset:8192
	ds_read_u8 v10, v8 offset:8196
	v_lshl_add_u32 v11, v6, 3, 4
	ds_read_b32 v12, v11 offset:8168
	ds_read_u8 v11, v11 offset:8172
	v_add_u32_e32 v8, 0x2000, v8
	s_waitcnt lgkmcnt(2)
	v_and_b32_e32 v13, 1, v10
	v_cmp_eq_u32_e64 s[0:1], 1, v13
	s_waitcnt lgkmcnt(1)
	v_cndmask_b32_e64 v12, v12, 0, s[0:1]
	s_waitcnt lgkmcnt(0)
	v_or_b32_e32 v10, v11, v10
	v_add_u32_e32 v9, v12, v9
	v_and_b32_e32 v10, 1, v10
	ds_write2_b32 v8, v9, v10 offset1:1
.LBB93_80:
	s_or_b64 exec, exec, s[6:7]
	s_movk_i32 s0, 0x100
	v_lshlrev_b32_e32 v8, 2, v3
	v_add_u32_e32 v7, v7, v6
	v_cmp_gt_u32_e64 s[0:1], s0, v0
	s_waitcnt lgkmcnt(0)
	s_barrier
	s_and_saveexec_b64 s[6:7], s[0:1]
	s_cbranch_execz .LBB93_82
; %bb.81:
	v_lshl_add_u32 v9, v7, 3, 4
	ds_read_b32 v10, v9 offset:8192
	ds_read_u8 v11, v9 offset:8196
	v_lshl_add_u32 v12, v8, 3, 4
	ds_read_b32 v13, v12 offset:8152
	ds_read_u8 v12, v12 offset:8156
	v_add_u32_e32 v9, 0x2000, v9
	s_waitcnt lgkmcnt(2)
	v_and_b32_e32 v14, 1, v11
	v_cmp_eq_u32_e64 s[0:1], 1, v14
	s_waitcnt lgkmcnt(1)
	v_cndmask_b32_e64 v13, v13, 0, s[0:1]
	s_waitcnt lgkmcnt(0)
	v_or_b32_e32 v11, v12, v11
	v_add_u32_e32 v10, v13, v10
	v_and_b32_e32 v11, 1, v11
	ds_write2_b32 v9, v10, v11 offset1:1
.LBB93_82:
	s_or_b64 exec, exec, s[6:7]
	s_movk_i32 s0, 0x80
	v_lshlrev_b32_e32 v10, 3, v3
	v_add_u32_e32 v9, v7, v8
	v_cmp_gt_u32_e64 s[0:1], s0, v0
	s_waitcnt lgkmcnt(0)
	s_barrier
	s_and_saveexec_b64 s[6:7], s[0:1]
	s_cbranch_execz .LBB93_84
; %bb.83:
	v_lshl_add_u32 v11, v9, 3, 4
	ds_read_b32 v12, v11 offset:8192
	ds_read_u8 v13, v11 offset:8196
	v_lshl_add_u32 v14, v10, 3, 4
	ds_read_b32 v15, v14 offset:8120
	ds_read_u8 v14, v14 offset:8124
	v_add_u32_e32 v11, 0x2000, v11
	s_waitcnt lgkmcnt(2)
	v_and_b32_e32 v16, 1, v13
	v_cmp_eq_u32_e64 s[0:1], 1, v16
	s_waitcnt lgkmcnt(1)
	v_cndmask_b32_e64 v15, v15, 0, s[0:1]
	s_waitcnt lgkmcnt(0)
	v_or_b32_e32 v13, v14, v13
	v_add_u32_e32 v12, v15, v12
	v_and_b32_e32 v13, 1, v13
	ds_write2_b32 v11, v12, v13 offset1:1
.LBB93_84:
	s_or_b64 exec, exec, s[6:7]
	v_lshlrev_b32_e32 v12, 4, v3
	v_add_u32_e32 v11, v9, v10
	v_cmp_gt_u32_e64 s[0:1], 64, v0
	s_waitcnt lgkmcnt(0)
	s_barrier
	s_and_saveexec_b64 s[8:9], s[0:1]
	s_cbranch_execz .LBB93_86
; %bb.85:
	v_lshl_add_u32 v13, v11, 3, 4
	ds_read_b32 v14, v13 offset:8192
	ds_read_u8 v15, v13 offset:8196
	v_lshl_add_u32 v16, v12, 3, 4
	ds_read_b32 v17, v16 offset:8056
	ds_read_u8 v16, v16 offset:8060
	v_add_u32_e32 v13, 0x2000, v13
	s_waitcnt lgkmcnt(2)
	v_and_b32_e32 v18, 1, v15
	v_cmp_eq_u32_e64 s[6:7], 1, v18
	s_waitcnt lgkmcnt(1)
	v_cndmask_b32_e64 v17, v17, 0, s[6:7]
	s_waitcnt lgkmcnt(0)
	v_or_b32_e32 v15, v16, v15
	v_add_u32_e32 v14, v17, v14
	v_and_b32_e32 v15, 1, v15
	ds_write2_b32 v13, v14, v15 offset1:1
.LBB93_86:
	s_or_b64 exec, exec, s[8:9]
	;; [unrolled: 27-line block ×6, first 2 shown]
	v_add_u32_e32 v21, v19, v20
	v_cmp_gt_u32_e64 s[6:7], 2, v0
	v_lshl_add_u32 v21, v21, 3, 4
	s_waitcnt lgkmcnt(0)
	s_barrier
	s_and_saveexec_b64 s[8:9], s[6:7]
	s_cbranch_execz .LBB93_96
; %bb.95:
	ds_read_u8 v23, v21 offset:8196
	v_lshl_add_u32 v24, v3, 12, 4
	ds_read_b32 v25, v24 offset:4088
	ds_read_b32 v26, v21 offset:8192
	ds_read_u8 v24, v24 offset:4092
	v_add_u32_e32 v22, 0x2000, v21
	s_waitcnt lgkmcnt(3)
	v_and_b32_e32 v27, 1, v23
	v_cmp_eq_u32_e64 s[6:7], 1, v27
	s_waitcnt lgkmcnt(2)
	v_cndmask_b32_e64 v25, v25, 0, s[6:7]
	s_waitcnt lgkmcnt(0)
	v_or_b32_e32 v23, v24, v23
	v_add_u32_e32 v25, v25, v26
	v_and_b32_e32 v23, 1, v23
	ds_write2_b32 v22, v25, v23 offset1:1
.LBB93_96:
	s_or_b64 exec, exec, s[8:9]
	s_waitcnt lgkmcnt(0)
	s_barrier
	s_and_saveexec_b64 s[8:9], vcc
	s_cbranch_execz .LBB93_98
; %bb.97:
	v_mov_b32_e32 v24, 4
	s_movk_i32 s6, 0xf8
	ds_read_u8 v25, v24 offset:24572
	v_add_u32_e64 v22, s6, 4
	ds_read2st64_b32 v[22:23], v22 offset0:63 offset1:95
	ds_read_u8 v24, v24 offset:16380
	s_add_i32 s11, 4, 0x5ff8
	s_waitcnt lgkmcnt(2)
	v_and_b32_e32 v26, 1, v25
	v_cmp_eq_u32_e64 s[6:7], 1, v26
	s_waitcnt lgkmcnt(1)
	v_cndmask_b32_e64 v22, v22, 0, s[6:7]
	v_add_u32_e32 v22, v22, v23
	s_waitcnt lgkmcnt(0)
	v_or_b32_e32 v23, v24, v25
	v_and_b32_e32 v23, 1, v23
	v_mov_b32_e32 v24, s11
	ds_write2_b32 v24, v22, v23 offset1:1
.LBB93_98:
	s_or_b64 exec, exec, s[8:9]
	s_waitcnt lgkmcnt(0)
	s_barrier
	s_and_saveexec_b64 s[8:9], vcc
	s_cbranch_execz .LBB93_100
; %bb.99:
	v_mov_b32_e32 v22, 4
	ds_read_u8 v23, v22 offset:20476
	ds_read_b32 v22, v22 offset:20472
	ds_read_b32 v24, v21 offset:8192
	ds_read_u8 v21, v21 offset:8196
	s_add_i32 s11, 4, 0x4ff8
	s_waitcnt lgkmcnt(3)
	v_and_b32_e32 v25, 1, v23
	v_cmp_eq_u32_e64 s[6:7], 1, v25
	s_waitcnt lgkmcnt(1)
	v_cndmask_b32_e64 v24, v24, 0, s[6:7]
	s_waitcnt lgkmcnt(0)
	v_or_b32_e32 v21, v21, v23
	v_add_u32_e32 v22, v24, v22
	v_and_b32_e32 v21, 1, v21
	v_mov_b32_e32 v23, s11
	ds_write2_b32 v23, v22, v21 offset1:1
.LBB93_100:
	s_or_b64 exec, exec, s[8:9]
	v_cmp_gt_u32_e64 s[6:7], 3, v0
	s_waitcnt lgkmcnt(0)
	s_barrier
	s_and_saveexec_b64 s[8:9], s[6:7]
	s_cbranch_execz .LBB93_102
; %bb.101:
	v_lshl_add_u32 v20, v20, 3, s10
	ds_read_b32 v21, v20 offset:2040
	ds_read_u8 v22, v20 offset:2044
	v_lshl_add_u32 v19, v19, 3, s10
	ds_read_b32 v23, v19
	ds_read_u8 v19, v19 offset:4
	v_add_u32_e32 v20, 0x7f8, v20
	s_waitcnt lgkmcnt(2)
	v_and_b32_e32 v24, 1, v22
	v_cmp_eq_u32_e64 s[6:7], 1, v24
	s_waitcnt lgkmcnt(1)
	v_cndmask_b32_e64 v23, v23, 0, s[6:7]
	s_waitcnt lgkmcnt(0)
	v_or_b32_e32 v19, v19, v22
	v_add_u32_e32 v21, v23, v21
	v_and_b32_e32 v19, 1, v19
	ds_write2_b32 v20, v21, v19 offset1:1
.LBB93_102:
	s_or_b64 exec, exec, s[8:9]
	v_cmp_gt_u32_e64 s[6:7], 7, v0
	s_waitcnt lgkmcnt(0)
	s_barrier
	s_and_saveexec_b64 s[8:9], s[6:7]
	s_cbranch_execz .LBB93_104
; %bb.103:
	v_lshl_add_u32 v18, v18, 3, s10
	ds_read_u8 v19, v18 offset:1020
	v_lshl_add_u32 v17, v17, 3, s10
	ds_read_b32 v20, v17
	ds_read_b32 v21, v18 offset:1016
	ds_read_u8 v17, v17 offset:4
	s_waitcnt lgkmcnt(3)
	v_and_b32_e32 v22, 1, v19
	v_cmp_eq_u32_e64 s[6:7], 1, v22
	s_waitcnt lgkmcnt(2)
	v_cndmask_b32_e64 v20, v20, 0, s[6:7]
	s_waitcnt lgkmcnt(0)
	v_or_b32_e32 v17, v17, v19
	v_add_u32_e32 v20, v20, v21
	v_and_b32_e32 v17, 1, v17
	ds_write2_b32 v18, v20, v17 offset0:254 offset1:255
.LBB93_104:
	s_or_b64 exec, exec, s[8:9]
	v_cmp_gt_u32_e64 s[6:7], 15, v0
	s_waitcnt lgkmcnt(0)
	s_barrier
	s_and_saveexec_b64 s[8:9], s[6:7]
	s_cbranch_execz .LBB93_106
; %bb.105:
	v_lshl_add_u32 v16, v16, 3, s10
	ds_read_u8 v17, v16 offset:508
	v_lshl_add_u32 v15, v15, 3, s10
	ds_read_b32 v18, v15
	ds_read_b32 v19, v16 offset:504
	ds_read_u8 v15, v15 offset:4
	s_waitcnt lgkmcnt(3)
	v_and_b32_e32 v20, 1, v17
	v_cmp_eq_u32_e64 s[6:7], 1, v20
	s_waitcnt lgkmcnt(2)
	v_cndmask_b32_e64 v18, v18, 0, s[6:7]
	s_waitcnt lgkmcnt(0)
	v_or_b32_e32 v15, v15, v17
	v_add_u32_e32 v18, v18, v19
	v_and_b32_e32 v15, 1, v15
	ds_write2_b32 v16, v18, v15 offset0:126 offset1:127
.LBB93_106:
	;; [unrolled: 24-line block ×4, first 2 shown]
	s_or_b64 exec, exec, s[8:9]
	s_movk_i32 s6, 0x7f
	v_cmp_gt_u32_e64 s[6:7], s6, v0
	s_waitcnt lgkmcnt(0)
	s_barrier
	s_and_saveexec_b64 s[8:9], s[6:7]
	s_cbranch_execz .LBB93_112
; %bb.111:
	v_lshl_add_u32 v10, v10, 3, s10
	ds_read_u8 v11, v10 offset:60
	v_lshl_add_u32 v9, v9, 3, s10
	ds_read_b32 v12, v9
	ds_read_b32 v13, v10 offset:56
	ds_read_u8 v9, v9 offset:4
	s_waitcnt lgkmcnt(3)
	v_and_b32_e32 v14, 1, v11
	v_cmp_eq_u32_e64 s[6:7], 1, v14
	s_waitcnt lgkmcnt(2)
	v_cndmask_b32_e64 v12, v12, 0, s[6:7]
	s_waitcnt lgkmcnt(0)
	v_or_b32_e32 v9, v9, v11
	v_add_u32_e32 v12, v12, v13
	v_and_b32_e32 v9, 1, v9
	ds_write2_b32 v10, v12, v9 offset0:14 offset1:15
.LBB93_112:
	s_or_b64 exec, exec, s[8:9]
	s_movk_i32 s6, 0xff
	v_cmp_gt_u32_e64 s[6:7], s6, v0
	s_waitcnt lgkmcnt(0)
	s_barrier
	s_and_saveexec_b64 s[8:9], s[6:7]
	s_cbranch_execz .LBB93_114
; %bb.113:
	v_lshl_add_u32 v8, v8, 3, s10
	ds_read_u8 v9, v8 offset:28
	v_lshl_add_u32 v7, v7, 3, s10
	ds_read_b32 v10, v7
	ds_read_b32 v11, v8 offset:24
	ds_read_u8 v7, v7 offset:4
	s_waitcnt lgkmcnt(3)
	v_and_b32_e32 v12, 1, v9
	v_cmp_eq_u32_e64 s[6:7], 1, v12
	s_waitcnt lgkmcnt(2)
	v_cndmask_b32_e64 v10, v10, 0, s[6:7]
	s_waitcnt lgkmcnt(0)
	v_or_b32_e32 v7, v7, v9
	v_add_u32_e32 v10, v10, v11
	v_and_b32_e32 v7, 1, v7
	ds_write2_b32 v8, v10, v7 offset0:6 offset1:7
.LBB93_114:
	s_or_b64 exec, exec, s[8:9]
	s_movk_i32 s6, 0x1ff
	v_cmp_gt_u32_e64 s[6:7], s6, v0
	s_waitcnt lgkmcnt(0)
	s_barrier
	s_and_saveexec_b64 s[8:9], s[6:7]
	s_cbranch_execz .LBB93_116
; %bb.115:
	v_lshl_add_u32 v6, v6, 3, s10
	ds_read_u8 v7, v6 offset:12
	v_add_u32_e32 v8, -8, v6
	ds_read_b32 v9, v8
	ds_read_b32 v10, v6 offset:8
	ds_read_u8 v8, v8 offset:4
	s_waitcnt lgkmcnt(3)
	v_and_b32_e32 v11, 1, v7
	v_cmp_eq_u32_e64 s[6:7], 1, v11
	s_waitcnt lgkmcnt(2)
	v_cndmask_b32_e64 v9, v9, 0, s[6:7]
	s_waitcnt lgkmcnt(0)
	v_or_b32_e32 v7, v8, v7
	v_add_u32_e32 v9, v9, v10
	v_and_b32_e32 v7, 1, v7
	ds_write2_b32 v6, v9, v7 offset0:2 offset1:3
.LBB93_116:
	s_or_b64 exec, exec, s[8:9]
	s_waitcnt lgkmcnt(0)
	s_barrier
	s_and_saveexec_b64 s[6:7], s[2:3]
	s_cbranch_execz .LBB93_118
; %bb.117:
	v_lshl_add_u32 v3, v3, 3, 4
	ds_read_u8 v6, v3 offset:8196
	ds_read_b32 v7, v5 offset:8
	v_add_u32_e32 v8, 0x2000, v3
	ds_read_b32 v3, v3 offset:8192
	ds_read_u8 v9, v5 offset:12
	s_waitcnt lgkmcnt(3)
	v_and_b32_e32 v10, 1, v6
	v_cmp_eq_u32_e64 s[2:3], 1, v10
	s_waitcnt lgkmcnt(2)
	v_cndmask_b32_e64 v7, v7, 0, s[2:3]
	s_waitcnt lgkmcnt(0)
	v_or_b32_e32 v6, v9, v6
	v_add_u32_e32 v3, v7, v3
	v_and_b32_e32 v6, 1, v6
	ds_write2_b32 v8, v3, v6 offset1:1
.LBB93_118:
	s_or_b64 exec, exec, s[6:7]
	s_waitcnt lgkmcnt(0)
	s_barrier
	ds_read_b32 v3, v4 offset:8192
	ds_read_b32 v5, v5 offset:8
	v_mbcnt_lo_u32_b32 v8, -1, 0
	v_mbcnt_hi_u32_b32 v13, -1, v8
	v_and_b32_e32 v14, 63, v13
	v_or_b32_e32 v4, 1, v2
	v_cmp_gt_u32_e64 s[8:9], 32, v14
	v_cmp_gt_u32_e64 s[2:3], s16, v2
	;; [unrolled: 1-line block ×3, first 2 shown]
	v_cndmask_b32_e64 v8, 0, 1, s[8:9]
	s_waitcnt lgkmcnt(1)
	v_cndmask_b32_e64 v3, 0, v3, s[2:3]
	s_waitcnt lgkmcnt(0)
	v_cndmask_b32_e64 v5, 0, v5, s[6:7]
	v_lshlrev_b32_e32 v8, 5, v8
	v_cndmask_b32_e64 v6, 0, v2, s[2:3]
	v_max_u32_e32 v7, v5, v3
	v_add_lshl_u32 v8, v8, v13, 2
	v_cndmask_b32_e64 v9, 0, v4, s[6:7]
	v_cmp_gt_u32_e64 s[8:9], v5, v3
	ds_bpermute_b32 v10, v8, v7
	v_cndmask_b32_e64 v3, v6, v9, s[8:9]
	ds_bpermute_b32 v5, v8, v3
	v_cmp_gt_u32_e64 s[8:9], 48, v14
	v_cndmask_b32_e64 v9, 0, 1, s[8:9]
	v_lshlrev_b32_e32 v9, 4, v9
	s_waitcnt lgkmcnt(1)
	v_max_u32_e32 v6, v10, v7
	v_add_lshl_u32 v9, v9, v13, 2
	v_cmp_gt_u32_e64 s[8:9], v10, v7
	ds_bpermute_b32 v11, v9, v6
	s_waitcnt lgkmcnt(1)
	v_cndmask_b32_e64 v3, v3, v5, s[8:9]
	ds_bpermute_b32 v5, v9, v3
	v_cmp_gt_u32_e64 s[8:9], 56, v14
	v_cndmask_b32_e64 v10, 0, 1, s[8:9]
	v_lshlrev_b32_e32 v10, 3, v10
	s_waitcnt lgkmcnt(1)
	v_max_u32_e32 v7, v11, v6
	v_add_lshl_u32 v10, v10, v13, 2
	v_cmp_gt_u32_e64 s[8:9], v11, v6
	ds_bpermute_b32 v12, v10, v7
	s_waitcnt lgkmcnt(1)
	;; [unrolled: 11-line block ×4, first 2 shown]
	v_cndmask_b32_e64 v5, v3, v5, s[8:9]
	ds_bpermute_b32 v6, v12, v5
	s_waitcnt lgkmcnt(0)
	s_barrier
	v_cmp_gt_u32_e64 s[8:9], v16, v7
	v_max_u32_e32 v3, v16, v7
	v_cndmask_b32_e64 v5, v5, v6, s[8:9]
	v_cmp_ne_u32_e64 s[8:9], 63, v14
	v_addc_co_u32_e64 v6, s[8:9], 0, v13, s[8:9]
	v_lshlrev_b32_e32 v13, 2, v6
	ds_bpermute_b32 v6, v13, v5
	ds_bpermute_b32 v7, v13, v3
	v_cmp_eq_u32_e64 s[8:9], 0, v1
	s_waitcnt lgkmcnt(0)
	s_barrier
	s_and_saveexec_b64 s[12:13], s[8:9]
	s_cbranch_execz .LBB93_120
; %bb.119:
	v_lshrrev_b32_e32 v14, 3, v0
	v_add_u32_e32 v14, 4, v14
	v_cmp_gt_u32_e64 s[10:11], v7, v3
	v_add_u32_e32 v14, 0x2000, v14
	v_cndmask_b32_e64 v5, v5, v6, s[10:11]
	v_max_u32_e32 v3, v7, v3
	ds_write2_b32 v14, v3, v5 offset1:1
.LBB93_120:
	s_or_b64 exec, exec, s[12:13]
	s_lshr_b32 s10, s22, 6
	v_cmp_gt_u32_e64 s[10:11], s10, v0
	v_lshl_add_u32 v14, v1, 3, 4
	v_mov_b32_e32 v3, 0
	v_mov_b32_e32 v5, 0
	s_waitcnt lgkmcnt(0)
	s_barrier
	s_and_saveexec_b64 s[12:13], s[10:11]
	s_cbranch_execnz .LBB93_143
; %bb.121:
	s_or_b64 exec, exec, s[12:13]
	s_and_saveexec_b64 s[12:13], s[10:11]
	s_cbranch_execnz .LBB93_144
.LBB93_122:
	s_or_b64 exec, exec, s[12:13]
	s_and_saveexec_b64 s[22:23], s[0:1]
	s_cbranch_execnz .LBB93_145
.LBB93_123:
	s_or_b64 exec, exec, s[22:23]
	s_and_saveexec_b64 s[12:13], vcc
	s_cbranch_execz .LBB93_125
.LBB93_124:
	s_waitcnt lgkmcnt(0)
	v_lshl_add_u32 v3, v3, 2, 4
	ds_read_b32 v3, v3
	v_mov_b32_e32 v5, 0
	s_waitcnt lgkmcnt(0)
	ds_write_b32 v5, v3
.LBB93_125:
	s_or_b64 exec, exec, s[12:13]
	s_mov_b32 s22, 0
	s_waitcnt lgkmcnt(0)
	v_mov_b32_e32 v3, 0
	s_mov_b32 s23, s22
	v_cmp_gt_i64_e64 s[12:13], s[16:17], v[2:3]
	v_pk_mov_b32 v[6:7], s[22:23], s[22:23] op_sel:[0,1]
	s_barrier
	s_and_saveexec_b64 s[22:23], s[12:13]
	s_cbranch_execz .LBB93_127
; %bb.126:
	v_add_u32_e32 v6, s19, v2
	v_mov_b32_e32 v7, v3
	v_lshlrev_b64 v[6:7], 2, v[6:7]
	v_mov_b32_e32 v5, s21
	v_add_co_u32_e64 v6, s[12:13], s20, v6
	v_addc_co_u32_e64 v7, s[12:13], v5, v7, s[12:13]
	global_load_dword v5, v[6:7], off
	ds_read_b32 v6, v3
	s_waitcnt vmcnt(0) lgkmcnt(0)
	v_cmp_eq_f32_e64 s[12:13], v5, v6
	v_cndmask_b32_e64 v2, 0, v2, s[12:13]
	v_pk_mov_b32 v[6:7], v[2:3], v[2:3] op_sel:[0,1]
.LBB93_127:
	s_or_b64 exec, exec, s[22:23]
	v_mov_b32_e32 v5, v3
	v_cmp_gt_i64_e64 s[12:13], s[16:17], v[4:5]
	s_and_saveexec_b64 s[16:17], s[12:13]
	s_cbranch_execz .LBB93_129
; %bb.128:
	v_add_u32_e32 v2, s19, v4
	v_mov_b32_e32 v3, 0
	v_lshlrev_b64 v[16:17], 2, v[2:3]
	v_mov_b32_e32 v2, s21
	v_add_co_u32_e64 v16, s[12:13], s20, v16
	v_addc_co_u32_e64 v17, s[12:13], v2, v17, s[12:13]
	global_load_dword v2, v[16:17], off
	ds_read_b32 v3, v3
	s_waitcnt vmcnt(0) lgkmcnt(0)
	v_cmp_eq_f32_e64 s[12:13], v2, v3
	v_cndmask_b32_e64 v7, 0, v4, s[12:13]
.LBB93_129:
	s_or_b64 exec, exec, s[16:17]
	v_cndmask_b32_e64 v2, 0, v6, s[2:3]
	v_cndmask_b32_e64 v3, 0, v7, s[6:7]
	v_max_u32_e32 v2, v3, v2
	ds_bpermute_b32 v3, v8, v2
	s_waitcnt lgkmcnt(0)
	s_barrier
	v_max_u32_e32 v2, v3, v2
	ds_bpermute_b32 v3, v9, v2
	s_waitcnt lgkmcnt(0)
	v_max_u32_e32 v2, v3, v2
	ds_bpermute_b32 v3, v10, v2
	s_waitcnt lgkmcnt(0)
	;; [unrolled: 3-line block ×4, first 2 shown]
	v_max_u32_e32 v2, v3, v2
	ds_bpermute_b32 v3, v13, v2
	s_and_saveexec_b64 s[2:3], s[8:9]
	s_cbranch_execz .LBB93_131
; %bb.130:
	v_lshrrev_b32_e32 v0, 4, v0
	v_add_u32_e32 v0, 4, v0
	s_waitcnt lgkmcnt(0)
	v_max_u32_e32 v2, v3, v2
	ds_write_b32 v0, v2
.LBB93_131:
	s_or_b64 exec, exec, s[2:3]
	v_mov_b32_e32 v0, 0
	s_waitcnt lgkmcnt(0)
	s_barrier
	s_and_saveexec_b64 s[2:3], s[10:11]
	s_cbranch_execnz .LBB93_146
; %bb.132:
	s_or_b64 exec, exec, s[2:3]
	s_and_saveexec_b64 s[2:3], s[0:1]
	s_cbranch_execnz .LBB93_147
.LBB93_133:
	s_or_b64 exec, exec, s[2:3]
	s_and_saveexec_b64 s[0:1], vcc
	s_cbranch_execnz .LBB93_148
.LBB93_134:
	s_endpgm
.LBB93_135:
	ds_read_u8 v3, v1 offset:8192
	s_andn2_b64 s[0:1], s[0:1], exec
	s_mov_b32 s6, 1
	s_waitcnt lgkmcnt(0)
	v_and_b32_e32 v3, 1, v3
	v_cmp_eq_u32_e32 vcc, 1, v3
	s_xor_b64 s[8:9], vcc, -1
	s_and_b64 s[8:9], s[8:9], exec
	s_or_b64 s[0:1], s[0:1], s[8:9]
	s_or_b64 exec, exec, s[2:3]
	v_mov_b32_e32 v3, s6
	s_and_saveexec_b64 s[2:3], s[0:1]
	s_cbranch_execz .LBB93_25
.LBB93_136:
	ds_read_u8 v3, v1 offset:9216
	s_waitcnt lgkmcnt(0)
	v_xor_b32_e32 v3, 1, v3
	s_or_b64 exec, exec, s[2:3]
	v_cmp_eq_u32_e32 vcc, 0, v3
	s_and_saveexec_b64 s[0:1], vcc
	s_cbranch_execnz .LBB93_26
	s_branch .LBB93_27
.LBB93_137:
	ds_read_u8 v7, v1 offset:8192
	s_andn2_b64 s[0:1], s[0:1], exec
	s_mov_b32 s6, 1
	s_waitcnt lgkmcnt(0)
	v_and_b32_e32 v7, 1, v7
	v_cmp_eq_u32_e32 vcc, 1, v7
	s_xor_b64 s[8:9], vcc, -1
	s_and_b64 s[8:9], s[8:9], exec
	s_or_b64 s[0:1], s[0:1], s[8:9]
	s_or_b64 exec, exec, s[2:3]
	v_mov_b32_e32 v7, s6
	s_and_saveexec_b64 s[2:3], s[0:1]
	s_cbranch_execz .LBB93_29
.LBB93_138:
	ds_read_u8 v7, v1 offset:8704
	s_waitcnt lgkmcnt(0)
	v_xor_b32_e32 v7, 1, v7
	s_or_b64 exec, exec, s[2:3]
	v_cmp_eq_u32_e32 vcc, 0, v7
	s_and_saveexec_b64 s[0:1], vcc
	s_cbranch_execnz .LBB93_30
	s_branch .LBB93_31
.LBB93_139:
	ds_read_u8 v7, v1 offset:8192
	s_andn2_b64 s[0:1], s[0:1], exec
	s_mov_b32 s6, 1
	s_waitcnt lgkmcnt(0)
	v_and_b32_e32 v7, 1, v7
	v_cmp_eq_u32_e32 vcc, 1, v7
	s_xor_b64 s[8:9], vcc, -1
	s_and_b64 s[8:9], s[8:9], exec
	s_or_b64 s[0:1], s[0:1], s[8:9]
	s_or_b64 exec, exec, s[2:3]
	v_mov_b32_e32 v7, s6
	s_and_saveexec_b64 s[2:3], s[0:1]
	s_cbranch_execz .LBB93_33
.LBB93_140:
	ds_read_u8 v7, v1 offset:8448
	s_waitcnt lgkmcnt(0)
	v_xor_b32_e32 v7, 1, v7
	s_or_b64 exec, exec, s[2:3]
	v_cmp_eq_u32_e32 vcc, 0, v7
	s_and_saveexec_b64 s[0:1], vcc
	s_cbranch_execnz .LBB93_34
	s_branch .LBB93_35
.LBB93_141:
	ds_read_u8 v7, v1 offset:8192
	s_andn2_b64 s[0:1], s[0:1], exec
	s_mov_b32 s6, 1
	s_waitcnt lgkmcnt(0)
	v_and_b32_e32 v7, 1, v7
	v_cmp_eq_u32_e32 vcc, 1, v7
	s_xor_b64 s[8:9], vcc, -1
	s_and_b64 s[8:9], s[8:9], exec
	s_or_b64 s[0:1], s[0:1], s[8:9]
	s_or_b64 exec, exec, s[2:3]
	v_mov_b32_e32 v7, s6
	s_and_saveexec_b64 s[2:3], s[0:1]
	s_cbranch_execz .LBB93_37
.LBB93_142:
	ds_read_u8 v7, v1 offset:8320
	s_waitcnt lgkmcnt(0)
	v_xor_b32_e32 v7, 1, v7
	s_or_b64 exec, exec, s[2:3]
	v_cmp_eq_u32_e32 vcc, 0, v7
	s_and_saveexec_b64 s[0:1], vcc
	s_cbranch_execnz .LBB93_38
	s_branch .LBB93_39
.LBB93_143:
	ds_read_b32 v5, v14 offset:8192
	s_or_b64 exec, exec, s[12:13]
	s_and_saveexec_b64 s[12:13], s[10:11]
	s_cbranch_execz .LBB93_122
.LBB93_144:
	ds_read_b32 v3, v14 offset:8196
	s_or_b64 exec, exec, s[12:13]
	s_and_saveexec_b64 s[22:23], s[0:1]
	s_cbranch_execz .LBB93_123
.LBB93_145:
	s_waitcnt lgkmcnt(0)
	ds_bpermute_b32 v6, v8, v5
	ds_bpermute_b32 v7, v8, v3
	s_waitcnt lgkmcnt(1)
	v_max_u32_e32 v15, v6, v5
	v_cmp_gt_u32_e64 s[12:13], v6, v5
	ds_bpermute_b32 v16, v9, v15
	s_waitcnt lgkmcnt(1)
	v_cndmask_b32_e64 v3, v3, v7, s[12:13]
	ds_bpermute_b32 v5, v9, v3
	s_waitcnt lgkmcnt(1)
	v_max_u32_e32 v6, v16, v15
	v_cmp_gt_u32_e64 s[12:13], v16, v15
	ds_bpermute_b32 v7, v10, v6
	s_waitcnt lgkmcnt(1)
	v_cndmask_b32_e64 v3, v3, v5, s[12:13]
	;; [unrolled: 7-line block ×4, first 2 shown]
	ds_bpermute_b32 v5, v12, v3
	s_waitcnt lgkmcnt(1)
	v_max_u32_e32 v15, v7, v6
	v_cmp_gt_u32_e64 s[12:13], v7, v6
	s_waitcnt lgkmcnt(0)
	v_cndmask_b32_e64 v3, v3, v5, s[12:13]
	ds_bpermute_b32 v5, v13, v15
	ds_bpermute_b32 v6, v13, v3
	s_waitcnt lgkmcnt(1)
	v_cmp_gt_u32_e64 s[12:13], v5, v15
	s_waitcnt lgkmcnt(0)
	v_cndmask_b32_e64 v3, v3, v6, s[12:13]
	s_or_b64 exec, exec, s[22:23]
	s_and_saveexec_b64 s[12:13], vcc
	s_cbranch_execnz .LBB93_124
	s_branch .LBB93_125
.LBB93_146:
	v_lshlrev_b32_e32 v0, 2, v1
	v_sub_u32_e32 v0, v14, v0
	ds_read_b32 v0, v0
	s_or_b64 exec, exec, s[2:3]
	s_and_saveexec_b64 s[2:3], s[0:1]
	s_cbranch_execz .LBB93_133
.LBB93_147:
	s_waitcnt lgkmcnt(0)
	ds_bpermute_b32 v1, v8, v0
	s_waitcnt lgkmcnt(0)
	v_max_u32_e32 v0, v1, v0
	ds_bpermute_b32 v1, v9, v0
	s_waitcnt lgkmcnt(0)
	v_max_u32_e32 v0, v1, v0
	;; [unrolled: 3-line block ×6, first 2 shown]
	s_or_b64 exec, exec, s[2:3]
	s_and_saveexec_b64 s[0:1], vcc
	s_cbranch_execz .LBB93_134
.LBB93_148:
	s_load_dword s2, s[4:5], 0xd8
	s_add_u32 s0, s4, 8
	s_addc_u32 s1, s5, 0
	s_mov_b32 s3, 0
	s_waitcnt lgkmcnt(0)
	s_cmp_lt_i32 s2, 2
	s_cbranch_scc1 .LBB93_151
; %bb.149:
	s_add_i32 s6, s2, 1
	s_add_i32 s2, s2, -1
	s_lshl_b64 s[4:5], s[2:3], 2
	s_add_u32 s2, s4, s0
	s_addc_u32 s5, s5, s1
	s_add_u32 s4, s2, 8
	s_addc_u32 s5, s5, 0
.LBB93_150:                             ; =>This Inner Loop Header: Depth=1
	s_load_dword s2, s[4:5], 0x0
	s_load_dword s8, s[4:5], 0x64
	s_mov_b32 s7, s18
	s_waitcnt lgkmcnt(0)
	v_cvt_f32_u32_e32 v1, s2
	s_sub_i32 s9, 0, s2
	v_rcp_iflag_f32_e32 v1, v1
	v_mul_f32_e32 v1, 0x4f7ffffe, v1
	v_cvt_u32_f32_e32 v1, v1
	v_readfirstlane_b32 s10, v1
	s_mul_i32 s9, s9, s10
	s_mul_hi_u32 s9, s10, s9
	s_add_i32 s10, s10, s9
	s_mul_hi_u32 s9, s18, s10
	s_mul_i32 s10, s9, s2
	s_sub_i32 s10, s18, s10
	s_add_i32 s11, s9, 1
	s_sub_i32 s12, s10, s2
	s_cmp_ge_u32 s10, s2
	s_cselect_b32 s9, s11, s9
	s_cselect_b32 s10, s12, s10
	s_add_i32 s11, s9, 1
	s_cmp_ge_u32 s10, s2
	s_cselect_b32 s18, s11, s9
	s_mul_i32 s2, s18, s2
	s_sub_i32 s2, s7, s2
	s_mul_i32 s2, s8, s2
	s_add_i32 s6, s6, -1
	s_add_i32 s3, s2, s3
	s_add_u32 s4, s4, -4
	s_addc_u32 s5, s5, -1
	s_cmp_gt_u32 s6, 2
	s_cbranch_scc1 .LBB93_150
.LBB93_151:
	s_load_dword s2, s[0:1], 0x6c
	v_mov_b32_e32 v1, 0
	s_load_dwordx2 s[0:1], s[0:1], 0x0
	ds_read_b32 v2, v1
	s_mov_b32 s5, 0
	s_waitcnt lgkmcnt(0)
	s_mul_i32 s2, s2, s18
	s_add_i32 s4, s2, s3
	s_lshl_b64 s[2:3], s[4:5], 2
	s_add_u32 s0, s0, s2
	s_addc_u32 s1, s1, s3
	global_store_dword v1, v2, s[0:1]
	s_lshl_b64 s[0:1], s[4:5], 3
	s_add_u32 s0, s14, s0
	s_addc_u32 s1, s15, s1
	global_store_dwordx2 v1, v[0:1], s[0:1]
	s_endpgm
	.section	.rodata,"a",@progbits
	.p2align	6, 0x0
	.amdhsa_kernel _ZN2at6native12compute_modeIfLj2048EEEvPKT_NS_4cuda6detail10TensorInfoIS2_jEENS7_IljEEll
		.amdhsa_group_segment_fixed_size 4
		.amdhsa_private_segment_fixed_size 0
		.amdhsa_kernarg_size 712
		.amdhsa_user_sgpr_count 6
		.amdhsa_user_sgpr_private_segment_buffer 1
		.amdhsa_user_sgpr_dispatch_ptr 0
		.amdhsa_user_sgpr_queue_ptr 0
		.amdhsa_user_sgpr_kernarg_segment_ptr 1
		.amdhsa_user_sgpr_dispatch_id 0
		.amdhsa_user_sgpr_flat_scratch_init 0
		.amdhsa_user_sgpr_kernarg_preload_length 0
		.amdhsa_user_sgpr_kernarg_preload_offset 0
		.amdhsa_user_sgpr_private_segment_size 0
		.amdhsa_uses_dynamic_stack 0
		.amdhsa_system_sgpr_private_segment_wavefront_offset 0
		.amdhsa_system_sgpr_workgroup_id_x 1
		.amdhsa_system_sgpr_workgroup_id_y 1
		.amdhsa_system_sgpr_workgroup_id_z 1
		.amdhsa_system_sgpr_workgroup_info 0
		.amdhsa_system_vgpr_workitem_id 0
		.amdhsa_next_free_vgpr 28
		.amdhsa_next_free_sgpr 24
		.amdhsa_accum_offset 28
		.amdhsa_reserve_vcc 1
		.amdhsa_reserve_flat_scratch 0
		.amdhsa_float_round_mode_32 0
		.amdhsa_float_round_mode_16_64 0
		.amdhsa_float_denorm_mode_32 3
		.amdhsa_float_denorm_mode_16_64 3
		.amdhsa_dx10_clamp 1
		.amdhsa_ieee_mode 1
		.amdhsa_fp16_overflow 0
		.amdhsa_tg_split 0
		.amdhsa_exception_fp_ieee_invalid_op 0
		.amdhsa_exception_fp_denorm_src 0
		.amdhsa_exception_fp_ieee_div_zero 0
		.amdhsa_exception_fp_ieee_overflow 0
		.amdhsa_exception_fp_ieee_underflow 0
		.amdhsa_exception_fp_ieee_inexact 0
		.amdhsa_exception_int_div_zero 0
	.end_amdhsa_kernel
	.section	.text._ZN2at6native12compute_modeIfLj2048EEEvPKT_NS_4cuda6detail10TensorInfoIS2_jEENS7_IljEEll,"axG",@progbits,_ZN2at6native12compute_modeIfLj2048EEEvPKT_NS_4cuda6detail10TensorInfoIS2_jEENS7_IljEEll,comdat
.Lfunc_end93:
	.size	_ZN2at6native12compute_modeIfLj2048EEEvPKT_NS_4cuda6detail10TensorInfoIS2_jEENS7_IljEEll, .Lfunc_end93-_ZN2at6native12compute_modeIfLj2048EEEvPKT_NS_4cuda6detail10TensorInfoIS2_jEENS7_IljEEll
                                        ; -- End function
	.section	.AMDGPU.csdata,"",@progbits
; Kernel info:
; codeLenInByte = 8268
; NumSgprs: 28
; NumVgprs: 28
; NumAgprs: 0
; TotalNumVgprs: 28
; ScratchSize: 0
; MemoryBound: 0
; FloatMode: 240
; IeeeMode: 1
; LDSByteSize: 4 bytes/workgroup (compile time only)
; SGPRBlocks: 3
; VGPRBlocks: 3
; NumSGPRsForWavesPerEU: 28
; NumVGPRsForWavesPerEU: 28
; AccumOffset: 28
; Occupancy: 8
; WaveLimiterHint : 1
; COMPUTE_PGM_RSRC2:SCRATCH_EN: 0
; COMPUTE_PGM_RSRC2:USER_SGPR: 6
; COMPUTE_PGM_RSRC2:TRAP_HANDLER: 0
; COMPUTE_PGM_RSRC2:TGID_X_EN: 1
; COMPUTE_PGM_RSRC2:TGID_Y_EN: 1
; COMPUTE_PGM_RSRC2:TGID_Z_EN: 1
; COMPUTE_PGM_RSRC2:TIDIG_COMP_CNT: 0
; COMPUTE_PGM_RSRC3_GFX90A:ACCUM_OFFSET: 6
; COMPUTE_PGM_RSRC3_GFX90A:TG_SPLIT: 0
	.section	.text._ZN2at6native12compute_modeIfLj1024EEEvPKT_NS_4cuda6detail10TensorInfoIS2_jEENS7_IljEEll,"axG",@progbits,_ZN2at6native12compute_modeIfLj1024EEEvPKT_NS_4cuda6detail10TensorInfoIS2_jEENS7_IljEEll,comdat
	.protected	_ZN2at6native12compute_modeIfLj1024EEEvPKT_NS_4cuda6detail10TensorInfoIS2_jEENS7_IljEEll ; -- Begin function _ZN2at6native12compute_modeIfLj1024EEEvPKT_NS_4cuda6detail10TensorInfoIS2_jEENS7_IljEEll
	.globl	_ZN2at6native12compute_modeIfLj1024EEEvPKT_NS_4cuda6detail10TensorInfoIS2_jEENS7_IljEEll
	.p2align	8
	.type	_ZN2at6native12compute_modeIfLj1024EEEvPKT_NS_4cuda6detail10TensorInfoIS2_jEENS7_IljEEll,@function
_ZN2at6native12compute_modeIfLj1024EEEvPKT_NS_4cuda6detail10TensorInfoIS2_jEENS7_IljEEll: ; @_ZN2at6native12compute_modeIfLj1024EEEvPKT_NS_4cuda6detail10TensorInfoIS2_jEENS7_IljEEll
; %bb.0:
	s_load_dwordx4 s[16:19], s[4:5], 0x1b8
	s_load_dwordx2 s[2:3], s[4:5], 0x1c8
	s_add_u32 s0, s4, 0x1c8
	s_addc_u32 s1, s5, 0
	s_mov_b32 s15, 0
	s_waitcnt lgkmcnt(0)
	v_mov_b32_e32 v2, s18
	s_mul_i32 s3, s3, s8
	s_add_i32 s3, s3, s7
	s_mul_i32 s2, s3, s2
	v_mov_b32_e32 v3, s19
	s_add_i32 s14, s2, s6
	v_cmp_ge_i64_e32 vcc, s[14:15], v[2:3]
	s_cbranch_vccnz .LBB94_308
; %bb.1:
	s_load_dwordx2 s[18:19], s[4:5], 0x0
	s_load_dword s6, s[0:1], 0xc
	v_mov_b32_e32 v3, 0
	v_mov_b32_e32 v1, v3
	s_mul_i32 s15, s14, s16
	v_cmp_gt_i64_e32 vcc, s[16:17], v[0:1]
	s_and_saveexec_b64 s[2:3], vcc
	s_cbranch_execz .LBB94_3
; %bb.2:
	v_add_u32_e32 v2, s15, v0
	v_lshlrev_b64 v[4:5], 2, v[2:3]
	s_waitcnt lgkmcnt(0)
	v_mov_b32_e32 v1, s19
	v_add_co_u32_e64 v4, s[0:1], s18, v4
	v_addc_co_u32_e64 v5, s[0:1], v1, v5, s[0:1]
	global_load_dword v1, v[4:5], off
	v_lshl_add_u32 v2, v0, 2, 4
	s_waitcnt vmcnt(0)
	ds_write_b32 v2, v1
.LBB94_3:
	s_or_b64 exec, exec, s[2:3]
	s_waitcnt lgkmcnt(0)
	s_and_b32 s20, 0xffff, s6
	v_add_u32_e32 v2, s20, v0
	v_cmp_gt_i64_e64 s[0:1], s[16:17], v[2:3]
	s_and_saveexec_b64 s[6:7], s[0:1]
	s_cbranch_execz .LBB94_5
; %bb.4:
	v_add_u32_e32 v4, s15, v2
	v_mov_b32_e32 v5, 0
	v_lshlrev_b64 v[4:5], 2, v[4:5]
	v_mov_b32_e32 v1, s19
	v_add_co_u32_e64 v4, s[2:3], s18, v4
	v_addc_co_u32_e64 v5, s[2:3], v1, v5, s[2:3]
	global_load_dword v1, v[4:5], off
	v_lshl_add_u32 v2, v2, 2, 4
	s_waitcnt vmcnt(0)
	ds_write_b32 v2, v1
.LBB94_5:
	s_or_b64 exec, exec, s[6:7]
	v_add_u32_e32 v1, 4, v0
	v_cndmask_b32_e64 v2, 0, 1, vcc
	ds_write_b8 v1, v2 offset:4096
	v_add_u32_e32 v2, s20, v1
	v_cndmask_b32_e64 v3, 0, 1, s[0:1]
	v_mad_u32_u24 v1, v0, 7, v1
	ds_write_b8 v2, v3 offset:4096
	s_waitcnt lgkmcnt(0)
	s_barrier
	s_barrier
	ds_read2_b32 v[4:5], v1 offset1:1
	s_mov_b32 s6, 1
	v_mul_i32_i24_e32 v3, -6, v0
	s_waitcnt lgkmcnt(0)
	v_cmp_nlt_f32_e64 s[0:1], v4, v5
	v_cmp_lt_f32_e32 vcc, v4, v5
	s_and_saveexec_b64 s[2:3], vcc
	s_cbranch_execz .LBB94_7
; %bb.6:
	v_add_u32_e32 v2, v1, v3
	ds_read_u8 v2, v2 offset:4096
	s_andn2_b64 s[0:1], s[0:1], exec
	s_waitcnt lgkmcnt(0)
	v_and_b32_e32 v2, 1, v2
	v_cmp_eq_u32_e32 vcc, 1, v2
	s_xor_b64 s[8:9], vcc, -1
	s_and_b64 s[8:9], s[8:9], exec
	s_or_b64 s[0:1], s[0:1], s[8:9]
.LBB94_7:
	s_or_b64 exec, exec, s[2:3]
	v_lshlrev_b32_e32 v2, 1, v0
	v_mov_b32_e32 v8, s6
	v_add_u32_e32 v6, 4, v2
	s_and_saveexec_b64 s[2:3], s[0:1]
	s_cbranch_execz .LBB94_9
; %bb.8:
	ds_read_u8 v7, v6 offset:4097
	s_waitcnt lgkmcnt(0)
	v_xor_b32_e32 v8, 1, v7
.LBB94_9:
	s_or_b64 exec, exec, s[2:3]
	v_and_b32_e32 v7, 1, v0
	v_cmp_eq_u32_e32 vcc, v8, v7
	s_and_saveexec_b64 s[0:1], vcc
	s_cbranch_execz .LBB94_11
; %bb.10:
	v_add_u32_e32 v9, v1, v3
	ds_read_u8 v10, v6 offset:4097
	ds_read_u8 v11, v9 offset:4096
	ds_write2_b32 v1, v5, v4 offset1:1
	s_waitcnt lgkmcnt(2)
	ds_write_b8 v9, v10 offset:4096
	s_waitcnt lgkmcnt(2)
	ds_write_b8 v6, v11 offset:4097
.LBB94_11:
	s_or_b64 exec, exec, s[0:1]
	v_sub_u32_e32 v9, v2, v7
	v_add_u32_e32 v7, 4, v9
	v_lshl_add_u32 v8, v9, 2, 4
	v_mad_i32_i24 v5, v9, 3, v7
	s_waitcnt lgkmcnt(0)
	s_barrier
	ds_read_b32 v4, v8
	ds_read_b32 v5, v5 offset:8
	s_mov_b64 s[0:1], -1
                                        ; implicit-def: $sgpr6
	s_waitcnt lgkmcnt(0)
	v_cmp_lt_f32_e32 vcc, v4, v5
	s_and_saveexec_b64 s[2:3], vcc
	s_xor_b64 s[2:3], exec, s[2:3]
	s_cbranch_execz .LBB94_13
; %bb.12:
	ds_read_u8 v10, v7 offset:4096
	s_mov_b32 s6, 1
	s_waitcnt lgkmcnt(0)
	v_and_b32_e32 v10, 1, v10
	v_cmp_eq_u32_e32 vcc, 1, v10
	s_xor_b64 s[0:1], vcc, -1
	s_orn2_b64 s[0:1], s[0:1], exec
.LBB94_13:
	s_or_b64 exec, exec, s[2:3]
	v_mul_i32_i24_e32 v9, 3, v9
	v_mov_b32_e32 v11, s6
	s_and_saveexec_b64 s[2:3], s[0:1]
	s_cbranch_execz .LBB94_15
; %bb.14:
	ds_read_u8 v10, v7 offset:4098
	s_waitcnt lgkmcnt(0)
	v_xor_b32_e32 v11, 1, v10
.LBB94_15:
	s_or_b64 exec, exec, s[2:3]
	v_bfe_u32 v10, v0, 1, 1
	v_cmp_eq_u32_e32 vcc, v11, v10
	v_add_u32_e32 v9, v7, v9
	s_and_saveexec_b64 s[0:1], vcc
	s_cbranch_execz .LBB94_17
; %bb.16:
	ds_read_u8 v11, v7 offset:4098
	ds_read_u8 v12, v7 offset:4096
	ds_write_b32 v8, v5
	ds_write_b32 v9, v4 offset:8
	s_waitcnt lgkmcnt(3)
	ds_write_b8 v7, v11 offset:4096
	s_waitcnt lgkmcnt(3)
	ds_write_b8 v7, v12 offset:4098
.LBB94_17:
	s_or_b64 exec, exec, s[0:1]
	s_waitcnt lgkmcnt(0)
	s_barrier
	ds_read2_b32 v[4:5], v1 offset1:1
                                        ; implicit-def: $sgpr6
	s_waitcnt lgkmcnt(0)
	v_cmp_nlt_f32_e64 s[0:1], v4, v5
	v_cmp_lt_f32_e32 vcc, v4, v5
	s_and_saveexec_b64 s[2:3], vcc
	s_cbranch_execnz .LBB94_309
; %bb.18:
	s_or_b64 exec, exec, s[2:3]
	v_mov_b32_e32 v11, s6
	s_and_saveexec_b64 s[2:3], s[0:1]
	s_cbranch_execnz .LBB94_310
.LBB94_19:
	s_or_b64 exec, exec, s[2:3]
	v_cmp_eq_u32_e32 vcc, v11, v10
	s_and_saveexec_b64 s[0:1], vcc
	s_cbranch_execz .LBB94_21
.LBB94_20:
	v_add_u32_e32 v11, v1, v3
	ds_read_u8 v12, v6 offset:4097
	ds_read_u8 v13, v11 offset:4096
	ds_write2_b32 v1, v5, v4 offset1:1
	s_waitcnt lgkmcnt(2)
	ds_write_b8 v11, v12 offset:4096
	s_waitcnt lgkmcnt(2)
	ds_write_b8 v6, v13 offset:4097
.LBB94_21:
	s_or_b64 exec, exec, s[0:1]
	v_and_b32_e32 v4, 3, v0
	v_sub_u32_e32 v12, v2, v4
	v_add_u32_e32 v10, 4, v12
	v_lshl_add_u32 v11, v12, 2, 4
	v_mad_i32_i24 v5, v12, 3, v10
	s_waitcnt lgkmcnt(0)
	s_barrier
	ds_read_b32 v4, v11
	ds_read_b32 v5, v5 offset:16
                                        ; implicit-def: $sgpr6
	s_waitcnt lgkmcnt(0)
	v_cmp_nlt_f32_e64 s[0:1], v4, v5
	v_cmp_lt_f32_e32 vcc, v4, v5
	s_and_saveexec_b64 s[2:3], vcc
	s_cbranch_execz .LBB94_23
; %bb.22:
	ds_read_u8 v13, v10 offset:4096
	s_andn2_b64 s[0:1], s[0:1], exec
	s_mov_b32 s6, 1
	s_waitcnt lgkmcnt(0)
	v_and_b32_e32 v13, 1, v13
	v_cmp_eq_u32_e32 vcc, 1, v13
	s_xor_b64 s[8:9], vcc, -1
	s_and_b64 s[8:9], s[8:9], exec
	s_or_b64 s[0:1], s[0:1], s[8:9]
.LBB94_23:
	s_or_b64 exec, exec, s[2:3]
	v_mul_i32_i24_e32 v12, 3, v12
	v_mov_b32_e32 v14, s6
	s_and_saveexec_b64 s[2:3], s[0:1]
	s_cbranch_execz .LBB94_25
; %bb.24:
	ds_read_u8 v13, v10 offset:4100
	s_waitcnt lgkmcnt(0)
	v_xor_b32_e32 v14, 1, v13
.LBB94_25:
	s_or_b64 exec, exec, s[2:3]
	v_bfe_u32 v13, v0, 2, 1
	v_cmp_eq_u32_e32 vcc, v14, v13
	v_add_u32_e32 v12, v10, v12
	s_and_saveexec_b64 s[0:1], vcc
	s_cbranch_execz .LBB94_27
; %bb.26:
	ds_read_u8 v14, v10 offset:4100
	ds_read_u8 v15, v10 offset:4096
	ds_write_b32 v11, v5
	ds_write_b32 v12, v4 offset:16
	s_waitcnt lgkmcnt(3)
	ds_write_b8 v10, v14 offset:4096
	s_waitcnt lgkmcnt(3)
	ds_write_b8 v10, v15 offset:4100
.LBB94_27:
	s_or_b64 exec, exec, s[0:1]
	s_waitcnt lgkmcnt(0)
	s_barrier
	ds_read_b32 v4, v8
	ds_read_b32 v5, v9 offset:8
                                        ; implicit-def: $sgpr6
	s_waitcnt lgkmcnt(0)
	v_cmp_nlt_f32_e64 s[0:1], v4, v5
	v_cmp_lt_f32_e32 vcc, v4, v5
	s_and_saveexec_b64 s[2:3], vcc
	s_cbranch_execnz .LBB94_311
; %bb.28:
	s_or_b64 exec, exec, s[2:3]
	v_mov_b32_e32 v14, s6
	s_and_saveexec_b64 s[2:3], s[0:1]
	s_cbranch_execnz .LBB94_312
.LBB94_29:
	s_or_b64 exec, exec, s[2:3]
	v_cmp_eq_u32_e32 vcc, v14, v13
	s_and_saveexec_b64 s[0:1], vcc
	s_cbranch_execz .LBB94_31
.LBB94_30:
	ds_read_u8 v14, v7 offset:4098
	ds_read_u8 v15, v7 offset:4096
	ds_write_b32 v8, v5
	ds_write_b32 v9, v4 offset:8
	s_waitcnt lgkmcnt(3)
	ds_write_b8 v7, v14 offset:4096
	s_waitcnt lgkmcnt(3)
	ds_write_b8 v7, v15 offset:4098
.LBB94_31:
	s_or_b64 exec, exec, s[0:1]
	s_waitcnt lgkmcnt(0)
	s_barrier
	ds_read2_b32 v[4:5], v1 offset1:1
                                        ; implicit-def: $sgpr6
	s_waitcnt lgkmcnt(0)
	v_cmp_nlt_f32_e64 s[0:1], v4, v5
	v_cmp_lt_f32_e32 vcc, v4, v5
	s_and_saveexec_b64 s[2:3], vcc
	s_cbranch_execnz .LBB94_313
; %bb.32:
	s_or_b64 exec, exec, s[2:3]
	v_mov_b32_e32 v14, s6
	s_and_saveexec_b64 s[2:3], s[0:1]
	s_cbranch_execnz .LBB94_314
.LBB94_33:
	s_or_b64 exec, exec, s[2:3]
	v_cmp_eq_u32_e32 vcc, v14, v13
	s_and_saveexec_b64 s[0:1], vcc
	s_cbranch_execz .LBB94_35
.LBB94_34:
	v_add_u32_e32 v13, v1, v3
	ds_read_u8 v15, v6 offset:4097
	ds_read_u8 v16, v13 offset:4096
	ds_write2_b32 v1, v5, v4 offset1:1
	s_waitcnt lgkmcnt(2)
	ds_write_b8 v13, v15 offset:4096
	s_waitcnt lgkmcnt(2)
	ds_write_b8 v6, v16 offset:4097
.LBB94_35:
	s_or_b64 exec, exec, s[0:1]
	v_and_b32_e32 v4, 7, v0
	v_sub_u32_e32 v13, v2, v4
	v_add_u32_e32 v14, 4, v13
	v_lshl_add_u32 v15, v13, 2, 4
	v_mad_i32_i24 v5, v13, 3, v14
	s_waitcnt lgkmcnt(0)
	s_barrier
	ds_read_b32 v4, v15
	ds_read_b32 v5, v5 offset:32
                                        ; implicit-def: $sgpr6
	s_waitcnt lgkmcnt(0)
	v_cmp_nlt_f32_e64 s[0:1], v4, v5
	v_cmp_lt_f32_e32 vcc, v4, v5
	s_and_saveexec_b64 s[2:3], vcc
	s_cbranch_execz .LBB94_37
; %bb.36:
	ds_read_u8 v16, v14 offset:4096
	s_andn2_b64 s[0:1], s[0:1], exec
	s_mov_b32 s6, 1
	s_waitcnt lgkmcnt(0)
	v_and_b32_e32 v16, 1, v16
	v_cmp_eq_u32_e32 vcc, 1, v16
	s_xor_b64 s[8:9], vcc, -1
	s_and_b64 s[8:9], s[8:9], exec
	s_or_b64 s[0:1], s[0:1], s[8:9]
.LBB94_37:
	s_or_b64 exec, exec, s[2:3]
	v_mul_i32_i24_e32 v16, 3, v13
	v_mov_b32_e32 v17, s6
	s_and_saveexec_b64 s[2:3], s[0:1]
	s_cbranch_execz .LBB94_39
; %bb.38:
	ds_read_u8 v13, v14 offset:4104
	s_waitcnt lgkmcnt(0)
	v_xor_b32_e32 v17, 1, v13
.LBB94_39:
	s_or_b64 exec, exec, s[2:3]
	v_bfe_u32 v13, v0, 3, 1
	v_cmp_eq_u32_e32 vcc, v17, v13
	v_add_u32_e32 v16, v14, v16
	s_and_saveexec_b64 s[0:1], vcc
	s_cbranch_execz .LBB94_41
; %bb.40:
	ds_read_u8 v17, v14 offset:4104
	ds_read_u8 v18, v14 offset:4096
	ds_write_b32 v15, v5
	ds_write_b32 v16, v4 offset:32
	s_waitcnt lgkmcnt(3)
	ds_write_b8 v14, v17 offset:4096
	s_waitcnt lgkmcnt(3)
	ds_write_b8 v14, v18 offset:4104
.LBB94_41:
	s_or_b64 exec, exec, s[0:1]
	s_waitcnt lgkmcnt(0)
	s_barrier
	ds_read_b32 v4, v11
	ds_read_b32 v5, v12 offset:16
                                        ; implicit-def: $sgpr6
	s_waitcnt lgkmcnt(0)
	v_cmp_nlt_f32_e64 s[0:1], v4, v5
	v_cmp_lt_f32_e32 vcc, v4, v5
	s_and_saveexec_b64 s[2:3], vcc
	s_cbranch_execnz .LBB94_315
; %bb.42:
	s_or_b64 exec, exec, s[2:3]
	v_mov_b32_e32 v17, s6
	s_and_saveexec_b64 s[2:3], s[0:1]
	s_cbranch_execnz .LBB94_316
.LBB94_43:
	s_or_b64 exec, exec, s[2:3]
	v_cmp_eq_u32_e32 vcc, v17, v13
	s_and_saveexec_b64 s[0:1], vcc
	s_cbranch_execz .LBB94_45
.LBB94_44:
	ds_read_u8 v17, v10 offset:4100
	ds_read_u8 v18, v10 offset:4096
	ds_write_b32 v11, v5
	ds_write_b32 v12, v4 offset:16
	s_waitcnt lgkmcnt(3)
	ds_write_b8 v10, v17 offset:4096
	s_waitcnt lgkmcnt(3)
	ds_write_b8 v10, v18 offset:4100
.LBB94_45:
	s_or_b64 exec, exec, s[0:1]
	s_waitcnt lgkmcnt(0)
	s_barrier
	ds_read_b32 v4, v8
	ds_read_b32 v5, v9 offset:8
                                        ; implicit-def: $sgpr6
	s_waitcnt lgkmcnt(0)
	v_cmp_nlt_f32_e64 s[0:1], v4, v5
	v_cmp_lt_f32_e32 vcc, v4, v5
	s_and_saveexec_b64 s[2:3], vcc
	s_cbranch_execnz .LBB94_317
; %bb.46:
	s_or_b64 exec, exec, s[2:3]
	v_mov_b32_e32 v17, s6
	s_and_saveexec_b64 s[2:3], s[0:1]
	s_cbranch_execnz .LBB94_318
.LBB94_47:
	s_or_b64 exec, exec, s[2:3]
	v_cmp_eq_u32_e32 vcc, v17, v13
	s_and_saveexec_b64 s[0:1], vcc
	s_cbranch_execz .LBB94_49
.LBB94_48:
	ds_read_u8 v17, v7 offset:4098
	ds_read_u8 v18, v7 offset:4096
	ds_write_b32 v8, v5
	ds_write_b32 v9, v4 offset:8
	s_waitcnt lgkmcnt(3)
	ds_write_b8 v7, v17 offset:4096
	s_waitcnt lgkmcnt(3)
	ds_write_b8 v7, v18 offset:4098
.LBB94_49:
	s_or_b64 exec, exec, s[0:1]
	s_waitcnt lgkmcnt(0)
	s_barrier
	ds_read2_b32 v[4:5], v1 offset1:1
                                        ; implicit-def: $sgpr6
	s_waitcnt lgkmcnt(0)
	v_cmp_nlt_f32_e64 s[0:1], v4, v5
	v_cmp_lt_f32_e32 vcc, v4, v5
	s_and_saveexec_b64 s[2:3], vcc
	s_cbranch_execnz .LBB94_319
; %bb.50:
	s_or_b64 exec, exec, s[2:3]
	v_mov_b32_e32 v17, s6
	s_and_saveexec_b64 s[2:3], s[0:1]
	s_cbranch_execnz .LBB94_320
.LBB94_51:
	s_or_b64 exec, exec, s[2:3]
	v_cmp_eq_u32_e32 vcc, v17, v13
	s_and_saveexec_b64 s[0:1], vcc
	s_cbranch_execz .LBB94_53
.LBB94_52:
	v_add_u32_e32 v13, v1, v3
	ds_read_u8 v17, v6 offset:4097
	ds_read_u8 v19, v13 offset:4096
	ds_write2_b32 v1, v5, v4 offset1:1
	s_waitcnt lgkmcnt(2)
	ds_write_b8 v13, v17 offset:4096
	s_waitcnt lgkmcnt(2)
	ds_write_b8 v6, v19 offset:4097
.LBB94_53:
	s_or_b64 exec, exec, s[0:1]
	v_and_b32_e32 v4, 15, v0
	v_sub_u32_e32 v13, v2, v4
	v_add_u32_e32 v17, 4, v13
	v_lshl_add_u32 v18, v13, 2, 4
	v_mad_i32_i24 v5, v13, 3, v17
	s_waitcnt lgkmcnt(0)
	s_barrier
	ds_read_b32 v4, v18
	ds_read_b32 v5, v5 offset:64
                                        ; implicit-def: $sgpr6
	s_waitcnt lgkmcnt(0)
	v_cmp_nlt_f32_e64 s[0:1], v4, v5
	v_cmp_lt_f32_e32 vcc, v4, v5
	s_and_saveexec_b64 s[2:3], vcc
	s_cbranch_execz .LBB94_55
; %bb.54:
	ds_read_u8 v19, v17 offset:4096
	s_andn2_b64 s[0:1], s[0:1], exec
	s_mov_b32 s6, 1
	s_waitcnt lgkmcnt(0)
	v_and_b32_e32 v19, 1, v19
	v_cmp_eq_u32_e32 vcc, 1, v19
	s_xor_b64 s[8:9], vcc, -1
	s_and_b64 s[8:9], s[8:9], exec
	s_or_b64 s[0:1], s[0:1], s[8:9]
.LBB94_55:
	s_or_b64 exec, exec, s[2:3]
	v_mul_i32_i24_e32 v19, 3, v13
	v_mov_b32_e32 v20, s6
	s_and_saveexec_b64 s[2:3], s[0:1]
	s_cbranch_execz .LBB94_57
; %bb.56:
	ds_read_u8 v13, v17 offset:4112
	s_waitcnt lgkmcnt(0)
	v_xor_b32_e32 v20, 1, v13
.LBB94_57:
	s_or_b64 exec, exec, s[2:3]
	v_bfe_u32 v13, v0, 4, 1
	v_cmp_eq_u32_e32 vcc, v20, v13
	v_add_u32_e32 v19, v17, v19
	s_and_saveexec_b64 s[0:1], vcc
	s_cbranch_execz .LBB94_59
; %bb.58:
	ds_read_u8 v20, v17 offset:4112
	ds_read_u8 v21, v17 offset:4096
	ds_write_b32 v18, v5
	ds_write_b32 v19, v4 offset:64
	s_waitcnt lgkmcnt(3)
	ds_write_b8 v17, v20 offset:4096
	s_waitcnt lgkmcnt(3)
	ds_write_b8 v17, v21 offset:4112
.LBB94_59:
	s_or_b64 exec, exec, s[0:1]
	s_waitcnt lgkmcnt(0)
	s_barrier
	ds_read_b32 v4, v15
	ds_read_b32 v5, v16 offset:32
                                        ; implicit-def: $sgpr6
	s_waitcnt lgkmcnt(0)
	v_cmp_nlt_f32_e64 s[0:1], v4, v5
	v_cmp_lt_f32_e32 vcc, v4, v5
	s_and_saveexec_b64 s[2:3], vcc
	s_cbranch_execnz .LBB94_321
; %bb.60:
	s_or_b64 exec, exec, s[2:3]
	v_mov_b32_e32 v20, s6
	s_and_saveexec_b64 s[2:3], s[0:1]
	s_cbranch_execnz .LBB94_322
.LBB94_61:
	s_or_b64 exec, exec, s[2:3]
	v_cmp_eq_u32_e32 vcc, v20, v13
	s_and_saveexec_b64 s[0:1], vcc
	s_cbranch_execz .LBB94_63
.LBB94_62:
	ds_read_u8 v20, v14 offset:4104
	ds_read_u8 v21, v14 offset:4096
	ds_write_b32 v15, v5
	ds_write_b32 v16, v4 offset:32
	s_waitcnt lgkmcnt(3)
	ds_write_b8 v14, v20 offset:4096
	s_waitcnt lgkmcnt(3)
	ds_write_b8 v14, v21 offset:4104
.LBB94_63:
	s_or_b64 exec, exec, s[0:1]
	s_waitcnt lgkmcnt(0)
	s_barrier
	ds_read_b32 v4, v11
	ds_read_b32 v5, v12 offset:16
                                        ; implicit-def: $sgpr6
	s_waitcnt lgkmcnt(0)
	v_cmp_nlt_f32_e64 s[0:1], v4, v5
	v_cmp_lt_f32_e32 vcc, v4, v5
	s_and_saveexec_b64 s[2:3], vcc
	s_cbranch_execnz .LBB94_323
; %bb.64:
	s_or_b64 exec, exec, s[2:3]
	v_mov_b32_e32 v20, s6
	s_and_saveexec_b64 s[2:3], s[0:1]
	s_cbranch_execnz .LBB94_324
.LBB94_65:
	s_or_b64 exec, exec, s[2:3]
	v_cmp_eq_u32_e32 vcc, v20, v13
	s_and_saveexec_b64 s[0:1], vcc
	s_cbranch_execz .LBB94_67
.LBB94_66:
	ds_read_u8 v20, v10 offset:4100
	ds_read_u8 v21, v10 offset:4096
	ds_write_b32 v11, v5
	ds_write_b32 v12, v4 offset:16
	s_waitcnt lgkmcnt(3)
	ds_write_b8 v10, v20 offset:4096
	s_waitcnt lgkmcnt(3)
	ds_write_b8 v10, v21 offset:4100
.LBB94_67:
	s_or_b64 exec, exec, s[0:1]
	s_waitcnt lgkmcnt(0)
	s_barrier
	ds_read_b32 v4, v8
	ds_read_b32 v5, v9 offset:8
                                        ; implicit-def: $sgpr6
	s_waitcnt lgkmcnt(0)
	v_cmp_nlt_f32_e64 s[0:1], v4, v5
	v_cmp_lt_f32_e32 vcc, v4, v5
	s_and_saveexec_b64 s[2:3], vcc
	s_cbranch_execnz .LBB94_325
; %bb.68:
	s_or_b64 exec, exec, s[2:3]
	v_mov_b32_e32 v20, s6
	s_and_saveexec_b64 s[2:3], s[0:1]
	s_cbranch_execnz .LBB94_326
.LBB94_69:
	s_or_b64 exec, exec, s[2:3]
	v_cmp_eq_u32_e32 vcc, v20, v13
	s_and_saveexec_b64 s[0:1], vcc
	s_cbranch_execz .LBB94_71
.LBB94_70:
	ds_read_u8 v20, v7 offset:4098
	ds_read_u8 v21, v7 offset:4096
	ds_write_b32 v8, v5
	ds_write_b32 v9, v4 offset:8
	s_waitcnt lgkmcnt(3)
	ds_write_b8 v7, v20 offset:4096
	s_waitcnt lgkmcnt(3)
	ds_write_b8 v7, v21 offset:4098
.LBB94_71:
	s_or_b64 exec, exec, s[0:1]
	s_waitcnt lgkmcnt(0)
	s_barrier
	ds_read2_b32 v[4:5], v1 offset1:1
                                        ; implicit-def: $sgpr6
	s_waitcnt lgkmcnt(0)
	v_cmp_nlt_f32_e64 s[0:1], v4, v5
	v_cmp_lt_f32_e32 vcc, v4, v5
	s_and_saveexec_b64 s[2:3], vcc
	s_cbranch_execnz .LBB94_327
; %bb.72:
	s_or_b64 exec, exec, s[2:3]
	v_mov_b32_e32 v20, s6
	s_and_saveexec_b64 s[2:3], s[0:1]
	s_cbranch_execnz .LBB94_328
.LBB94_73:
	s_or_b64 exec, exec, s[2:3]
	v_cmp_eq_u32_e32 vcc, v20, v13
	s_and_saveexec_b64 s[0:1], vcc
	s_cbranch_execz .LBB94_75
.LBB94_74:
	v_add_u32_e32 v13, v1, v3
	ds_read_u8 v21, v6 offset:4097
	ds_read_u8 v22, v13 offset:4096
	ds_write2_b32 v1, v5, v4 offset1:1
	s_waitcnt lgkmcnt(2)
	ds_write_b8 v13, v21 offset:4096
	s_waitcnt lgkmcnt(2)
	ds_write_b8 v6, v22 offset:4097
.LBB94_75:
	s_or_b64 exec, exec, s[0:1]
	v_and_b32_e32 v4, 31, v0
	v_sub_u32_e32 v13, v2, v4
	v_add_u32_e32 v20, 4, v13
	v_lshl_add_u32 v21, v13, 2, 4
	v_mad_i32_i24 v5, v13, 3, v20
	s_waitcnt lgkmcnt(0)
	s_barrier
	ds_read_b32 v4, v21
	ds_read_b32 v5, v5 offset:128
                                        ; implicit-def: $sgpr6
	s_waitcnt lgkmcnt(0)
	v_cmp_nlt_f32_e64 s[0:1], v4, v5
	v_cmp_lt_f32_e32 vcc, v4, v5
	s_and_saveexec_b64 s[2:3], vcc
	s_cbranch_execz .LBB94_77
; %bb.76:
	ds_read_u8 v22, v20 offset:4096
	s_andn2_b64 s[0:1], s[0:1], exec
	s_mov_b32 s6, 1
	s_waitcnt lgkmcnt(0)
	v_and_b32_e32 v22, 1, v22
	v_cmp_eq_u32_e32 vcc, 1, v22
	s_xor_b64 s[8:9], vcc, -1
	s_and_b64 s[8:9], s[8:9], exec
	s_or_b64 s[0:1], s[0:1], s[8:9]
.LBB94_77:
	s_or_b64 exec, exec, s[2:3]
	v_mul_i32_i24_e32 v22, 3, v13
	v_mov_b32_e32 v23, s6
	s_and_saveexec_b64 s[2:3], s[0:1]
	s_cbranch_execz .LBB94_79
; %bb.78:
	ds_read_u8 v13, v20 offset:4128
	s_waitcnt lgkmcnt(0)
	v_xor_b32_e32 v23, 1, v13
.LBB94_79:
	s_or_b64 exec, exec, s[2:3]
	v_bfe_u32 v13, v0, 5, 1
	v_cmp_eq_u32_e32 vcc, v23, v13
	v_add_u32_e32 v22, v20, v22
	s_and_saveexec_b64 s[0:1], vcc
	s_cbranch_execz .LBB94_81
; %bb.80:
	ds_read_u8 v23, v20 offset:4128
	ds_read_u8 v24, v20 offset:4096
	ds_write_b32 v21, v5
	ds_write_b32 v22, v4 offset:128
	s_waitcnt lgkmcnt(3)
	ds_write_b8 v20, v23 offset:4096
	s_waitcnt lgkmcnt(3)
	ds_write_b8 v20, v24 offset:4128
.LBB94_81:
	s_or_b64 exec, exec, s[0:1]
	s_waitcnt lgkmcnt(0)
	s_barrier
	ds_read_b32 v4, v18
	ds_read_b32 v5, v19 offset:64
                                        ; implicit-def: $sgpr6
	s_waitcnt lgkmcnt(0)
	v_cmp_nlt_f32_e64 s[0:1], v4, v5
	v_cmp_lt_f32_e32 vcc, v4, v5
	s_and_saveexec_b64 s[2:3], vcc
	s_cbranch_execnz .LBB94_329
; %bb.82:
	s_or_b64 exec, exec, s[2:3]
	v_mov_b32_e32 v23, s6
	s_and_saveexec_b64 s[2:3], s[0:1]
	s_cbranch_execnz .LBB94_330
.LBB94_83:
	s_or_b64 exec, exec, s[2:3]
	v_cmp_eq_u32_e32 vcc, v23, v13
	s_and_saveexec_b64 s[0:1], vcc
	s_cbranch_execz .LBB94_85
.LBB94_84:
	ds_read_u8 v23, v17 offset:4112
	ds_read_u8 v24, v17 offset:4096
	ds_write_b32 v18, v5
	ds_write_b32 v19, v4 offset:64
	s_waitcnt lgkmcnt(3)
	ds_write_b8 v17, v23 offset:4096
	s_waitcnt lgkmcnt(3)
	ds_write_b8 v17, v24 offset:4112
.LBB94_85:
	s_or_b64 exec, exec, s[0:1]
	s_waitcnt lgkmcnt(0)
	s_barrier
	ds_read_b32 v4, v15
	ds_read_b32 v5, v16 offset:32
                                        ; implicit-def: $sgpr6
	s_waitcnt lgkmcnt(0)
	v_cmp_nlt_f32_e64 s[0:1], v4, v5
	v_cmp_lt_f32_e32 vcc, v4, v5
	s_and_saveexec_b64 s[2:3], vcc
	s_cbranch_execnz .LBB94_331
; %bb.86:
	s_or_b64 exec, exec, s[2:3]
	v_mov_b32_e32 v23, s6
	s_and_saveexec_b64 s[2:3], s[0:1]
	s_cbranch_execnz .LBB94_332
.LBB94_87:
	s_or_b64 exec, exec, s[2:3]
	v_cmp_eq_u32_e32 vcc, v23, v13
	s_and_saveexec_b64 s[0:1], vcc
	s_cbranch_execz .LBB94_89
.LBB94_88:
	ds_read_u8 v23, v14 offset:4104
	ds_read_u8 v24, v14 offset:4096
	ds_write_b32 v15, v5
	ds_write_b32 v16, v4 offset:32
	s_waitcnt lgkmcnt(3)
	ds_write_b8 v14, v23 offset:4096
	s_waitcnt lgkmcnt(3)
	ds_write_b8 v14, v24 offset:4104
.LBB94_89:
	s_or_b64 exec, exec, s[0:1]
	s_waitcnt lgkmcnt(0)
	s_barrier
	ds_read_b32 v4, v11
	ds_read_b32 v5, v12 offset:16
                                        ; implicit-def: $sgpr6
	s_waitcnt lgkmcnt(0)
	v_cmp_nlt_f32_e64 s[0:1], v4, v5
	v_cmp_lt_f32_e32 vcc, v4, v5
	s_and_saveexec_b64 s[2:3], vcc
	s_cbranch_execnz .LBB94_333
; %bb.90:
	s_or_b64 exec, exec, s[2:3]
	v_mov_b32_e32 v23, s6
	s_and_saveexec_b64 s[2:3], s[0:1]
	s_cbranch_execnz .LBB94_334
.LBB94_91:
	s_or_b64 exec, exec, s[2:3]
	v_cmp_eq_u32_e32 vcc, v23, v13
	s_and_saveexec_b64 s[0:1], vcc
	s_cbranch_execz .LBB94_93
.LBB94_92:
	ds_read_u8 v23, v10 offset:4100
	ds_read_u8 v24, v10 offset:4096
	ds_write_b32 v11, v5
	ds_write_b32 v12, v4 offset:16
	s_waitcnt lgkmcnt(3)
	ds_write_b8 v10, v23 offset:4096
	s_waitcnt lgkmcnt(3)
	ds_write_b8 v10, v24 offset:4100
.LBB94_93:
	s_or_b64 exec, exec, s[0:1]
	s_waitcnt lgkmcnt(0)
	s_barrier
	ds_read_b32 v4, v8
	ds_read_b32 v5, v9 offset:8
                                        ; implicit-def: $sgpr6
	s_waitcnt lgkmcnt(0)
	v_cmp_nlt_f32_e64 s[0:1], v4, v5
	v_cmp_lt_f32_e32 vcc, v4, v5
	s_and_saveexec_b64 s[2:3], vcc
	s_cbranch_execnz .LBB94_335
; %bb.94:
	s_or_b64 exec, exec, s[2:3]
	v_mov_b32_e32 v23, s6
	s_and_saveexec_b64 s[2:3], s[0:1]
	s_cbranch_execnz .LBB94_336
.LBB94_95:
	s_or_b64 exec, exec, s[2:3]
	v_cmp_eq_u32_e32 vcc, v23, v13
	s_and_saveexec_b64 s[0:1], vcc
	s_cbranch_execz .LBB94_97
.LBB94_96:
	ds_read_u8 v23, v7 offset:4098
	ds_read_u8 v24, v7 offset:4096
	ds_write_b32 v8, v5
	ds_write_b32 v9, v4 offset:8
	s_waitcnt lgkmcnt(3)
	ds_write_b8 v7, v23 offset:4096
	s_waitcnt lgkmcnt(3)
	ds_write_b8 v7, v24 offset:4098
.LBB94_97:
	s_or_b64 exec, exec, s[0:1]
	s_waitcnt lgkmcnt(0)
	s_barrier
	ds_read2_b32 v[4:5], v1 offset1:1
                                        ; implicit-def: $sgpr6
	s_waitcnt lgkmcnt(0)
	v_cmp_nlt_f32_e64 s[0:1], v4, v5
	v_cmp_lt_f32_e32 vcc, v4, v5
	s_and_saveexec_b64 s[2:3], vcc
	s_cbranch_execnz .LBB94_337
; %bb.98:
	s_or_b64 exec, exec, s[2:3]
	v_mov_b32_e32 v23, s6
	s_and_saveexec_b64 s[2:3], s[0:1]
	s_cbranch_execnz .LBB94_338
.LBB94_99:
	s_or_b64 exec, exec, s[2:3]
	v_cmp_eq_u32_e32 vcc, v23, v13
	s_and_saveexec_b64 s[0:1], vcc
	s_cbranch_execz .LBB94_101
.LBB94_100:
	v_add_u32_e32 v13, v1, v3
	ds_read_u8 v23, v6 offset:4097
	ds_read_u8 v25, v13 offset:4096
	ds_write2_b32 v1, v5, v4 offset1:1
	s_waitcnt lgkmcnt(2)
	ds_write_b8 v13, v23 offset:4096
	s_waitcnt lgkmcnt(2)
	ds_write_b8 v6, v25 offset:4097
.LBB94_101:
	s_or_b64 exec, exec, s[0:1]
	v_and_b32_e32 v13, 63, v0
	v_sub_u32_e32 v25, v2, v13
	v_add_u32_e32 v23, 4, v25
	v_lshl_add_u32 v24, v25, 2, 4
	v_mad_i32_i24 v5, v25, 3, v23
	s_waitcnt lgkmcnt(0)
	s_barrier
	ds_read_b32 v4, v24
	ds_read_b32 v5, v5 offset:256
                                        ; implicit-def: $sgpr6
	s_waitcnt lgkmcnt(0)
	v_cmp_nlt_f32_e64 s[0:1], v4, v5
	v_cmp_lt_f32_e32 vcc, v4, v5
	s_and_saveexec_b64 s[2:3], vcc
	s_cbranch_execz .LBB94_103
; %bb.102:
	ds_read_u8 v26, v23 offset:4096
	s_andn2_b64 s[0:1], s[0:1], exec
	s_mov_b32 s6, 1
	s_waitcnt lgkmcnt(0)
	v_and_b32_e32 v26, 1, v26
	v_cmp_eq_u32_e32 vcc, 1, v26
	s_xor_b64 s[8:9], vcc, -1
	s_and_b64 s[8:9], s[8:9], exec
	s_or_b64 s[0:1], s[0:1], s[8:9]
.LBB94_103:
	s_or_b64 exec, exec, s[2:3]
	v_mul_i32_i24_e32 v25, 3, v25
	v_mov_b32_e32 v27, s6
	s_and_saveexec_b64 s[2:3], s[0:1]
	s_cbranch_execz .LBB94_105
; %bb.104:
	ds_read_u8 v26, v23 offset:4160
	s_waitcnt lgkmcnt(0)
	v_xor_b32_e32 v27, 1, v26
.LBB94_105:
	s_or_b64 exec, exec, s[2:3]
	v_bfe_u32 v26, v0, 6, 1
	v_cmp_eq_u32_e32 vcc, v27, v26
	v_add_u32_e32 v25, v23, v25
	s_and_saveexec_b64 s[0:1], vcc
	s_cbranch_execz .LBB94_107
; %bb.106:
	ds_read_u8 v27, v23 offset:4160
	ds_read_u8 v28, v23 offset:4096
	ds_write_b32 v24, v5
	ds_write_b32 v25, v4 offset:256
	s_waitcnt lgkmcnt(3)
	ds_write_b8 v23, v27 offset:4096
	s_waitcnt lgkmcnt(3)
	ds_write_b8 v23, v28 offset:4160
.LBB94_107:
	s_or_b64 exec, exec, s[0:1]
	s_waitcnt lgkmcnt(0)
	s_barrier
	ds_read_b32 v4, v21
	ds_read_b32 v5, v22 offset:128
                                        ; implicit-def: $sgpr6
	s_waitcnt lgkmcnt(0)
	v_cmp_nlt_f32_e64 s[0:1], v4, v5
	v_cmp_lt_f32_e32 vcc, v4, v5
	s_and_saveexec_b64 s[2:3], vcc
	s_cbranch_execnz .LBB94_339
; %bb.108:
	s_or_b64 exec, exec, s[2:3]
	v_mov_b32_e32 v27, s6
	s_and_saveexec_b64 s[2:3], s[0:1]
	s_cbranch_execnz .LBB94_340
.LBB94_109:
	s_or_b64 exec, exec, s[2:3]
	v_cmp_eq_u32_e32 vcc, v27, v26
	s_and_saveexec_b64 s[0:1], vcc
	s_cbranch_execz .LBB94_111
.LBB94_110:
	ds_read_u8 v27, v20 offset:4128
	ds_read_u8 v28, v20 offset:4096
	ds_write_b32 v21, v5
	ds_write_b32 v22, v4 offset:128
	s_waitcnt lgkmcnt(3)
	ds_write_b8 v20, v27 offset:4096
	s_waitcnt lgkmcnt(3)
	ds_write_b8 v20, v28 offset:4128
.LBB94_111:
	s_or_b64 exec, exec, s[0:1]
	s_waitcnt lgkmcnt(0)
	s_barrier
	ds_read_b32 v4, v18
	ds_read_b32 v5, v19 offset:64
                                        ; implicit-def: $sgpr6
	s_waitcnt lgkmcnt(0)
	v_cmp_nlt_f32_e64 s[0:1], v4, v5
	v_cmp_lt_f32_e32 vcc, v4, v5
	s_and_saveexec_b64 s[2:3], vcc
	s_cbranch_execnz .LBB94_341
; %bb.112:
	s_or_b64 exec, exec, s[2:3]
	v_mov_b32_e32 v27, s6
	s_and_saveexec_b64 s[2:3], s[0:1]
	s_cbranch_execnz .LBB94_342
.LBB94_113:
	s_or_b64 exec, exec, s[2:3]
	v_cmp_eq_u32_e32 vcc, v27, v26
	s_and_saveexec_b64 s[0:1], vcc
	s_cbranch_execz .LBB94_115
.LBB94_114:
	ds_read_u8 v27, v17 offset:4112
	ds_read_u8 v28, v17 offset:4096
	ds_write_b32 v18, v5
	ds_write_b32 v19, v4 offset:64
	s_waitcnt lgkmcnt(3)
	ds_write_b8 v17, v27 offset:4096
	s_waitcnt lgkmcnt(3)
	ds_write_b8 v17, v28 offset:4112
.LBB94_115:
	s_or_b64 exec, exec, s[0:1]
	s_waitcnt lgkmcnt(0)
	s_barrier
	ds_read_b32 v4, v15
	ds_read_b32 v5, v16 offset:32
                                        ; implicit-def: $sgpr6
	s_waitcnt lgkmcnt(0)
	v_cmp_nlt_f32_e64 s[0:1], v4, v5
	v_cmp_lt_f32_e32 vcc, v4, v5
	s_and_saveexec_b64 s[2:3], vcc
	s_cbranch_execnz .LBB94_343
; %bb.116:
	s_or_b64 exec, exec, s[2:3]
	v_mov_b32_e32 v27, s6
	s_and_saveexec_b64 s[2:3], s[0:1]
	s_cbranch_execnz .LBB94_344
.LBB94_117:
	s_or_b64 exec, exec, s[2:3]
	v_cmp_eq_u32_e32 vcc, v27, v26
	s_and_saveexec_b64 s[0:1], vcc
	s_cbranch_execz .LBB94_119
.LBB94_118:
	ds_read_u8 v27, v14 offset:4104
	ds_read_u8 v28, v14 offset:4096
	ds_write_b32 v15, v5
	ds_write_b32 v16, v4 offset:32
	s_waitcnt lgkmcnt(3)
	ds_write_b8 v14, v27 offset:4096
	s_waitcnt lgkmcnt(3)
	ds_write_b8 v14, v28 offset:4104
.LBB94_119:
	s_or_b64 exec, exec, s[0:1]
	s_waitcnt lgkmcnt(0)
	s_barrier
	ds_read_b32 v4, v11
	ds_read_b32 v5, v12 offset:16
                                        ; implicit-def: $sgpr6
	s_waitcnt lgkmcnt(0)
	v_cmp_nlt_f32_e64 s[0:1], v4, v5
	v_cmp_lt_f32_e32 vcc, v4, v5
	s_and_saveexec_b64 s[2:3], vcc
	s_cbranch_execnz .LBB94_345
; %bb.120:
	s_or_b64 exec, exec, s[2:3]
	v_mov_b32_e32 v27, s6
	s_and_saveexec_b64 s[2:3], s[0:1]
	s_cbranch_execnz .LBB94_346
.LBB94_121:
	s_or_b64 exec, exec, s[2:3]
	v_cmp_eq_u32_e32 vcc, v27, v26
	s_and_saveexec_b64 s[0:1], vcc
	s_cbranch_execz .LBB94_123
.LBB94_122:
	ds_read_u8 v27, v10 offset:4100
	ds_read_u8 v28, v10 offset:4096
	ds_write_b32 v11, v5
	ds_write_b32 v12, v4 offset:16
	s_waitcnt lgkmcnt(3)
	ds_write_b8 v10, v27 offset:4096
	s_waitcnt lgkmcnt(3)
	ds_write_b8 v10, v28 offset:4100
.LBB94_123:
	s_or_b64 exec, exec, s[0:1]
	s_waitcnt lgkmcnt(0)
	s_barrier
	ds_read_b32 v4, v8
	ds_read_b32 v5, v9 offset:8
                                        ; implicit-def: $sgpr6
	s_waitcnt lgkmcnt(0)
	v_cmp_nlt_f32_e64 s[0:1], v4, v5
	v_cmp_lt_f32_e32 vcc, v4, v5
	s_and_saveexec_b64 s[2:3], vcc
	s_cbranch_execnz .LBB94_347
; %bb.124:
	s_or_b64 exec, exec, s[2:3]
	v_mov_b32_e32 v27, s6
	s_and_saveexec_b64 s[2:3], s[0:1]
	s_cbranch_execnz .LBB94_348
.LBB94_125:
	s_or_b64 exec, exec, s[2:3]
	v_cmp_eq_u32_e32 vcc, v27, v26
	s_and_saveexec_b64 s[0:1], vcc
	s_cbranch_execz .LBB94_127
.LBB94_126:
	ds_read_u8 v27, v7 offset:4098
	ds_read_u8 v28, v7 offset:4096
	ds_write_b32 v8, v5
	ds_write_b32 v9, v4 offset:8
	s_waitcnt lgkmcnt(3)
	ds_write_b8 v7, v27 offset:4096
	s_waitcnt lgkmcnt(3)
	ds_write_b8 v7, v28 offset:4098
.LBB94_127:
	s_or_b64 exec, exec, s[0:1]
	s_waitcnt lgkmcnt(0)
	s_barrier
	ds_read2_b32 v[4:5], v1 offset1:1
                                        ; implicit-def: $sgpr6
	s_waitcnt lgkmcnt(0)
	v_cmp_nlt_f32_e64 s[0:1], v4, v5
	v_cmp_lt_f32_e32 vcc, v4, v5
	s_and_saveexec_b64 s[2:3], vcc
	s_cbranch_execnz .LBB94_349
; %bb.128:
	s_or_b64 exec, exec, s[2:3]
	v_mov_b32_e32 v27, s6
	s_and_saveexec_b64 s[2:3], s[0:1]
	s_cbranch_execnz .LBB94_350
.LBB94_129:
	s_or_b64 exec, exec, s[2:3]
	v_cmp_eq_u32_e32 vcc, v27, v26
	s_and_saveexec_b64 s[0:1], vcc
	s_cbranch_execz .LBB94_131
.LBB94_130:
	v_add_u32_e32 v27, v1, v3
	ds_read_u8 v28, v6 offset:4097
	ds_read_u8 v29, v27 offset:4096
	ds_write2_b32 v1, v5, v4 offset1:1
	s_waitcnt lgkmcnt(2)
	ds_write_b8 v27, v28 offset:4096
	s_waitcnt lgkmcnt(2)
	ds_write_b8 v6, v29 offset:4097
.LBB94_131:
	s_or_b64 exec, exec, s[0:1]
	v_and_b32_e32 v4, 0x7f, v0
	v_sub_u32_e32 v28, v2, v4
	v_add_u32_e32 v26, 4, v28
	v_lshl_add_u32 v27, v28, 2, 4
	v_mad_i32_i24 v5, v28, 3, v26
	s_waitcnt lgkmcnt(0)
	s_barrier
	ds_read_b32 v4, v27
	ds_read_b32 v5, v5 offset:512
                                        ; implicit-def: $sgpr6
	s_waitcnt lgkmcnt(0)
	v_cmp_nlt_f32_e64 s[0:1], v4, v5
	v_cmp_lt_f32_e32 vcc, v4, v5
	s_and_saveexec_b64 s[2:3], vcc
	s_cbranch_execz .LBB94_133
; %bb.132:
	ds_read_u8 v29, v26 offset:4096
	s_andn2_b64 s[0:1], s[0:1], exec
	s_mov_b32 s6, 1
	s_waitcnt lgkmcnt(0)
	v_and_b32_e32 v29, 1, v29
	v_cmp_eq_u32_e32 vcc, 1, v29
	s_xor_b64 s[8:9], vcc, -1
	s_and_b64 s[8:9], s[8:9], exec
	s_or_b64 s[0:1], s[0:1], s[8:9]
.LBB94_133:
	s_or_b64 exec, exec, s[2:3]
	v_mul_i32_i24_e32 v28, 3, v28
	v_mov_b32_e32 v30, s6
	s_and_saveexec_b64 s[2:3], s[0:1]
	s_cbranch_execz .LBB94_135
; %bb.134:
	ds_read_u8 v29, v26 offset:4224
	s_waitcnt lgkmcnt(0)
	v_xor_b32_e32 v30, 1, v29
.LBB94_135:
	s_or_b64 exec, exec, s[2:3]
	v_bfe_u32 v29, v0, 7, 1
	v_cmp_eq_u32_e32 vcc, v30, v29
	v_add_u32_e32 v28, v26, v28
	s_and_saveexec_b64 s[0:1], vcc
	s_cbranch_execz .LBB94_137
; %bb.136:
	ds_read_u8 v30, v26 offset:4224
	ds_read_u8 v31, v26 offset:4096
	ds_write_b32 v27, v5
	ds_write_b32 v28, v4 offset:512
	s_waitcnt lgkmcnt(3)
	ds_write_b8 v26, v30 offset:4096
	s_waitcnt lgkmcnt(3)
	ds_write_b8 v26, v31 offset:4224
.LBB94_137:
	s_or_b64 exec, exec, s[0:1]
	s_waitcnt lgkmcnt(0)
	s_barrier
	ds_read_b32 v4, v24
	ds_read_b32 v5, v25 offset:256
                                        ; implicit-def: $sgpr6
	s_waitcnt lgkmcnt(0)
	v_cmp_nlt_f32_e64 s[0:1], v4, v5
	v_cmp_lt_f32_e32 vcc, v4, v5
	s_and_saveexec_b64 s[2:3], vcc
	s_cbranch_execnz .LBB94_351
; %bb.138:
	s_or_b64 exec, exec, s[2:3]
	v_mov_b32_e32 v30, s6
	s_and_saveexec_b64 s[2:3], s[0:1]
	s_cbranch_execnz .LBB94_352
.LBB94_139:
	s_or_b64 exec, exec, s[2:3]
	v_cmp_eq_u32_e32 vcc, v30, v29
	s_and_saveexec_b64 s[0:1], vcc
	s_cbranch_execz .LBB94_141
.LBB94_140:
	ds_read_u8 v30, v23 offset:4160
	ds_read_u8 v31, v23 offset:4096
	ds_write_b32 v24, v5
	ds_write_b32 v25, v4 offset:256
	s_waitcnt lgkmcnt(3)
	ds_write_b8 v23, v30 offset:4096
	s_waitcnt lgkmcnt(3)
	ds_write_b8 v23, v31 offset:4160
.LBB94_141:
	s_or_b64 exec, exec, s[0:1]
	s_waitcnt lgkmcnt(0)
	s_barrier
	ds_read_b32 v4, v21
	ds_read_b32 v5, v22 offset:128
                                        ; implicit-def: $sgpr6
	s_waitcnt lgkmcnt(0)
	v_cmp_nlt_f32_e64 s[0:1], v4, v5
	v_cmp_lt_f32_e32 vcc, v4, v5
	s_and_saveexec_b64 s[2:3], vcc
	s_cbranch_execnz .LBB94_353
; %bb.142:
	s_or_b64 exec, exec, s[2:3]
	v_mov_b32_e32 v30, s6
	s_and_saveexec_b64 s[2:3], s[0:1]
	s_cbranch_execnz .LBB94_354
.LBB94_143:
	s_or_b64 exec, exec, s[2:3]
	v_cmp_eq_u32_e32 vcc, v30, v29
	s_and_saveexec_b64 s[0:1], vcc
	s_cbranch_execz .LBB94_145
.LBB94_144:
	ds_read_u8 v30, v20 offset:4128
	ds_read_u8 v31, v20 offset:4096
	ds_write_b32 v21, v5
	ds_write_b32 v22, v4 offset:128
	s_waitcnt lgkmcnt(3)
	ds_write_b8 v20, v30 offset:4096
	s_waitcnt lgkmcnt(3)
	ds_write_b8 v20, v31 offset:4128
.LBB94_145:
	s_or_b64 exec, exec, s[0:1]
	s_waitcnt lgkmcnt(0)
	s_barrier
	ds_read_b32 v4, v18
	ds_read_b32 v5, v19 offset:64
                                        ; implicit-def: $sgpr6
	s_waitcnt lgkmcnt(0)
	v_cmp_nlt_f32_e64 s[0:1], v4, v5
	v_cmp_lt_f32_e32 vcc, v4, v5
	s_and_saveexec_b64 s[2:3], vcc
	s_cbranch_execnz .LBB94_355
; %bb.146:
	s_or_b64 exec, exec, s[2:3]
	v_mov_b32_e32 v30, s6
	s_and_saveexec_b64 s[2:3], s[0:1]
	s_cbranch_execnz .LBB94_356
.LBB94_147:
	s_or_b64 exec, exec, s[2:3]
	v_cmp_eq_u32_e32 vcc, v30, v29
	s_and_saveexec_b64 s[0:1], vcc
	s_cbranch_execz .LBB94_149
.LBB94_148:
	ds_read_u8 v30, v17 offset:4112
	ds_read_u8 v31, v17 offset:4096
	ds_write_b32 v18, v5
	ds_write_b32 v19, v4 offset:64
	s_waitcnt lgkmcnt(3)
	ds_write_b8 v17, v30 offset:4096
	s_waitcnt lgkmcnt(3)
	ds_write_b8 v17, v31 offset:4112
.LBB94_149:
	s_or_b64 exec, exec, s[0:1]
	s_waitcnt lgkmcnt(0)
	s_barrier
	ds_read_b32 v4, v15
	ds_read_b32 v5, v16 offset:32
                                        ; implicit-def: $sgpr6
	s_waitcnt lgkmcnt(0)
	v_cmp_nlt_f32_e64 s[0:1], v4, v5
	v_cmp_lt_f32_e32 vcc, v4, v5
	s_and_saveexec_b64 s[2:3], vcc
	s_cbranch_execnz .LBB94_357
; %bb.150:
	s_or_b64 exec, exec, s[2:3]
	v_mov_b32_e32 v30, s6
	s_and_saveexec_b64 s[2:3], s[0:1]
	s_cbranch_execnz .LBB94_358
.LBB94_151:
	s_or_b64 exec, exec, s[2:3]
	v_cmp_eq_u32_e32 vcc, v30, v29
	s_and_saveexec_b64 s[0:1], vcc
	s_cbranch_execz .LBB94_153
.LBB94_152:
	ds_read_u8 v30, v14 offset:4104
	ds_read_u8 v31, v14 offset:4096
	ds_write_b32 v15, v5
	ds_write_b32 v16, v4 offset:32
	s_waitcnt lgkmcnt(3)
	ds_write_b8 v14, v30 offset:4096
	s_waitcnt lgkmcnt(3)
	ds_write_b8 v14, v31 offset:4104
.LBB94_153:
	s_or_b64 exec, exec, s[0:1]
	s_waitcnt lgkmcnt(0)
	s_barrier
	ds_read_b32 v4, v11
	ds_read_b32 v5, v12 offset:16
                                        ; implicit-def: $sgpr6
	s_waitcnt lgkmcnt(0)
	v_cmp_nlt_f32_e64 s[0:1], v4, v5
	v_cmp_lt_f32_e32 vcc, v4, v5
	s_and_saveexec_b64 s[2:3], vcc
	s_cbranch_execnz .LBB94_359
; %bb.154:
	s_or_b64 exec, exec, s[2:3]
	v_mov_b32_e32 v30, s6
	s_and_saveexec_b64 s[2:3], s[0:1]
	s_cbranch_execnz .LBB94_360
.LBB94_155:
	s_or_b64 exec, exec, s[2:3]
	v_cmp_eq_u32_e32 vcc, v30, v29
	s_and_saveexec_b64 s[0:1], vcc
	s_cbranch_execz .LBB94_157
.LBB94_156:
	ds_read_u8 v30, v10 offset:4100
	ds_read_u8 v31, v10 offset:4096
	ds_write_b32 v11, v5
	ds_write_b32 v12, v4 offset:16
	s_waitcnt lgkmcnt(3)
	ds_write_b8 v10, v30 offset:4096
	s_waitcnt lgkmcnt(3)
	ds_write_b8 v10, v31 offset:4100
.LBB94_157:
	s_or_b64 exec, exec, s[0:1]
	s_waitcnt lgkmcnt(0)
	s_barrier
	ds_read_b32 v4, v8
	ds_read_b32 v5, v9 offset:8
                                        ; implicit-def: $sgpr6
	s_waitcnt lgkmcnt(0)
	v_cmp_nlt_f32_e64 s[0:1], v4, v5
	v_cmp_lt_f32_e32 vcc, v4, v5
	s_and_saveexec_b64 s[2:3], vcc
	s_cbranch_execnz .LBB94_361
; %bb.158:
	s_or_b64 exec, exec, s[2:3]
	v_mov_b32_e32 v30, s6
	s_and_saveexec_b64 s[2:3], s[0:1]
	s_cbranch_execnz .LBB94_362
.LBB94_159:
	s_or_b64 exec, exec, s[2:3]
	v_cmp_eq_u32_e32 vcc, v30, v29
	s_and_saveexec_b64 s[0:1], vcc
	s_cbranch_execz .LBB94_161
.LBB94_160:
	ds_read_u8 v30, v7 offset:4098
	ds_read_u8 v31, v7 offset:4096
	ds_write_b32 v8, v5
	ds_write_b32 v9, v4 offset:8
	s_waitcnt lgkmcnt(3)
	ds_write_b8 v7, v30 offset:4096
	s_waitcnt lgkmcnt(3)
	ds_write_b8 v7, v31 offset:4098
.LBB94_161:
	s_or_b64 exec, exec, s[0:1]
	s_waitcnt lgkmcnt(0)
	s_barrier
	ds_read2_b32 v[4:5], v1 offset1:1
                                        ; implicit-def: $sgpr6
	s_waitcnt lgkmcnt(0)
	v_cmp_nlt_f32_e64 s[0:1], v4, v5
	v_cmp_lt_f32_e32 vcc, v4, v5
	s_and_saveexec_b64 s[2:3], vcc
	s_cbranch_execnz .LBB94_363
; %bb.162:
	s_or_b64 exec, exec, s[2:3]
	v_mov_b32_e32 v30, s6
	s_and_saveexec_b64 s[2:3], s[0:1]
	s_cbranch_execnz .LBB94_364
.LBB94_163:
	s_or_b64 exec, exec, s[2:3]
	v_cmp_eq_u32_e32 vcc, v30, v29
	s_and_saveexec_b64 s[0:1], vcc
	s_cbranch_execz .LBB94_165
.LBB94_164:
	v_add_u32_e32 v29, v1, v3
	ds_read_u8 v31, v6 offset:4097
	ds_read_u8 v32, v29 offset:4096
	ds_write2_b32 v1, v5, v4 offset1:1
	s_waitcnt lgkmcnt(2)
	ds_write_b8 v29, v31 offset:4096
	s_waitcnt lgkmcnt(2)
	ds_write_b8 v6, v32 offset:4097
.LBB94_165:
	s_or_b64 exec, exec, s[0:1]
	v_sub_u32_sdwa v31, v2, v0 dst_sel:DWORD dst_unused:UNUSED_PAD src0_sel:DWORD src1_sel:BYTE_0
	v_add_u32_e32 v29, 4, v31
	v_lshl_add_u32 v30, v31, 2, 4
	v_mad_i32_i24 v5, v31, 3, v29
	s_waitcnt lgkmcnt(0)
	s_barrier
	ds_read_b32 v4, v30
	ds_read_b32 v5, v5 offset:1024
                                        ; implicit-def: $sgpr6
	s_waitcnt lgkmcnt(0)
	v_cmp_nlt_f32_e64 s[0:1], v4, v5
	v_cmp_lt_f32_e32 vcc, v4, v5
	s_and_saveexec_b64 s[2:3], vcc
	s_cbranch_execz .LBB94_167
; %bb.166:
	ds_read_u8 v32, v29 offset:4096
	s_andn2_b64 s[0:1], s[0:1], exec
	s_mov_b32 s6, 1
	s_waitcnt lgkmcnt(0)
	v_and_b32_e32 v32, 1, v32
	v_cmp_eq_u32_e32 vcc, 1, v32
	s_xor_b64 s[8:9], vcc, -1
	s_and_b64 s[8:9], s[8:9], exec
	s_or_b64 s[0:1], s[0:1], s[8:9]
.LBB94_167:
	s_or_b64 exec, exec, s[2:3]
	v_mul_i32_i24_e32 v31, 3, v31
	v_mov_b32_e32 v33, s6
	s_and_saveexec_b64 s[2:3], s[0:1]
	s_cbranch_execz .LBB94_169
; %bb.168:
	ds_read_u8 v32, v29 offset:4352
	s_waitcnt lgkmcnt(0)
	v_xor_b32_e32 v33, 1, v32
.LBB94_169:
	s_or_b64 exec, exec, s[2:3]
	v_bfe_u32 v32, v0, 8, 1
	v_cmp_eq_u32_e32 vcc, v33, v32
	v_add_u32_e32 v31, v29, v31
	s_and_saveexec_b64 s[0:1], vcc
	s_cbranch_execz .LBB94_171
; %bb.170:
	ds_read_u8 v33, v29 offset:4352
	ds_read_u8 v34, v29 offset:4096
	ds_write_b32 v30, v5
	ds_write_b32 v31, v4 offset:1024
	s_waitcnt lgkmcnt(3)
	ds_write_b8 v29, v33 offset:4096
	s_waitcnt lgkmcnt(3)
	ds_write_b8 v29, v34 offset:4352
.LBB94_171:
	s_or_b64 exec, exec, s[0:1]
	s_waitcnt lgkmcnt(0)
	s_barrier
	ds_read_b32 v4, v27
	ds_read_b32 v5, v28 offset:512
                                        ; implicit-def: $sgpr6
	s_waitcnt lgkmcnt(0)
	v_cmp_nlt_f32_e64 s[0:1], v4, v5
	v_cmp_lt_f32_e32 vcc, v4, v5
	s_and_saveexec_b64 s[2:3], vcc
	s_cbranch_execnz .LBB94_365
; %bb.172:
	s_or_b64 exec, exec, s[2:3]
	v_mov_b32_e32 v33, s6
	s_and_saveexec_b64 s[2:3], s[0:1]
	s_cbranch_execnz .LBB94_366
.LBB94_173:
	s_or_b64 exec, exec, s[2:3]
	v_cmp_eq_u32_e32 vcc, v33, v32
	s_and_saveexec_b64 s[0:1], vcc
	s_cbranch_execz .LBB94_175
.LBB94_174:
	ds_read_u8 v33, v26 offset:4224
	ds_read_u8 v34, v26 offset:4096
	ds_write_b32 v27, v5
	ds_write_b32 v28, v4 offset:512
	s_waitcnt lgkmcnt(3)
	ds_write_b8 v26, v33 offset:4096
	s_waitcnt lgkmcnt(3)
	ds_write_b8 v26, v34 offset:4224
.LBB94_175:
	s_or_b64 exec, exec, s[0:1]
	s_waitcnt lgkmcnt(0)
	s_barrier
	ds_read_b32 v4, v24
	ds_read_b32 v5, v25 offset:256
                                        ; implicit-def: $sgpr6
	s_waitcnt lgkmcnt(0)
	v_cmp_nlt_f32_e64 s[0:1], v4, v5
	v_cmp_lt_f32_e32 vcc, v4, v5
	s_and_saveexec_b64 s[2:3], vcc
	s_cbranch_execnz .LBB94_367
; %bb.176:
	s_or_b64 exec, exec, s[2:3]
	v_mov_b32_e32 v33, s6
	s_and_saveexec_b64 s[2:3], s[0:1]
	s_cbranch_execnz .LBB94_368
.LBB94_177:
	s_or_b64 exec, exec, s[2:3]
	v_cmp_eq_u32_e32 vcc, v33, v32
	s_and_saveexec_b64 s[0:1], vcc
	s_cbranch_execz .LBB94_179
.LBB94_178:
	ds_read_u8 v33, v23 offset:4160
	ds_read_u8 v34, v23 offset:4096
	ds_write_b32 v24, v5
	ds_write_b32 v25, v4 offset:256
	s_waitcnt lgkmcnt(3)
	ds_write_b8 v23, v33 offset:4096
	s_waitcnt lgkmcnt(3)
	ds_write_b8 v23, v34 offset:4160
.LBB94_179:
	s_or_b64 exec, exec, s[0:1]
	s_waitcnt lgkmcnt(0)
	s_barrier
	ds_read_b32 v4, v21
	ds_read_b32 v5, v22 offset:128
                                        ; implicit-def: $sgpr6
	s_waitcnt lgkmcnt(0)
	v_cmp_nlt_f32_e64 s[0:1], v4, v5
	v_cmp_lt_f32_e32 vcc, v4, v5
	s_and_saveexec_b64 s[2:3], vcc
	s_cbranch_execnz .LBB94_369
; %bb.180:
	s_or_b64 exec, exec, s[2:3]
	v_mov_b32_e32 v33, s6
	s_and_saveexec_b64 s[2:3], s[0:1]
	s_cbranch_execnz .LBB94_370
.LBB94_181:
	s_or_b64 exec, exec, s[2:3]
	v_cmp_eq_u32_e32 vcc, v33, v32
	s_and_saveexec_b64 s[0:1], vcc
	s_cbranch_execz .LBB94_183
.LBB94_182:
	ds_read_u8 v33, v20 offset:4128
	ds_read_u8 v34, v20 offset:4096
	ds_write_b32 v21, v5
	ds_write_b32 v22, v4 offset:128
	s_waitcnt lgkmcnt(3)
	ds_write_b8 v20, v33 offset:4096
	s_waitcnt lgkmcnt(3)
	ds_write_b8 v20, v34 offset:4128
.LBB94_183:
	s_or_b64 exec, exec, s[0:1]
	s_waitcnt lgkmcnt(0)
	s_barrier
	ds_read_b32 v4, v18
	ds_read_b32 v5, v19 offset:64
                                        ; implicit-def: $sgpr6
	s_waitcnt lgkmcnt(0)
	v_cmp_nlt_f32_e64 s[0:1], v4, v5
	v_cmp_lt_f32_e32 vcc, v4, v5
	s_and_saveexec_b64 s[2:3], vcc
	s_cbranch_execnz .LBB94_371
; %bb.184:
	s_or_b64 exec, exec, s[2:3]
	v_mov_b32_e32 v33, s6
	s_and_saveexec_b64 s[2:3], s[0:1]
	s_cbranch_execnz .LBB94_372
.LBB94_185:
	s_or_b64 exec, exec, s[2:3]
	v_cmp_eq_u32_e32 vcc, v33, v32
	s_and_saveexec_b64 s[0:1], vcc
	s_cbranch_execz .LBB94_187
.LBB94_186:
	ds_read_u8 v33, v17 offset:4112
	ds_read_u8 v34, v17 offset:4096
	ds_write_b32 v18, v5
	ds_write_b32 v19, v4 offset:64
	s_waitcnt lgkmcnt(3)
	ds_write_b8 v17, v33 offset:4096
	s_waitcnt lgkmcnt(3)
	ds_write_b8 v17, v34 offset:4112
.LBB94_187:
	s_or_b64 exec, exec, s[0:1]
	s_waitcnt lgkmcnt(0)
	s_barrier
	ds_read_b32 v4, v15
	ds_read_b32 v5, v16 offset:32
                                        ; implicit-def: $sgpr6
	s_waitcnt lgkmcnt(0)
	v_cmp_nlt_f32_e64 s[0:1], v4, v5
	v_cmp_lt_f32_e32 vcc, v4, v5
	s_and_saveexec_b64 s[2:3], vcc
	s_cbranch_execnz .LBB94_373
; %bb.188:
	s_or_b64 exec, exec, s[2:3]
	v_mov_b32_e32 v33, s6
	s_and_saveexec_b64 s[2:3], s[0:1]
	s_cbranch_execnz .LBB94_374
.LBB94_189:
	s_or_b64 exec, exec, s[2:3]
	v_cmp_eq_u32_e32 vcc, v33, v32
	s_and_saveexec_b64 s[0:1], vcc
	s_cbranch_execz .LBB94_191
.LBB94_190:
	ds_read_u8 v33, v14 offset:4104
	ds_read_u8 v34, v14 offset:4096
	ds_write_b32 v15, v5
	ds_write_b32 v16, v4 offset:32
	s_waitcnt lgkmcnt(3)
	ds_write_b8 v14, v33 offset:4096
	s_waitcnt lgkmcnt(3)
	ds_write_b8 v14, v34 offset:4104
.LBB94_191:
	s_or_b64 exec, exec, s[0:1]
	s_waitcnt lgkmcnt(0)
	s_barrier
	ds_read_b32 v4, v11
	ds_read_b32 v5, v12 offset:16
                                        ; implicit-def: $sgpr6
	s_waitcnt lgkmcnt(0)
	v_cmp_nlt_f32_e64 s[0:1], v4, v5
	v_cmp_lt_f32_e32 vcc, v4, v5
	s_and_saveexec_b64 s[2:3], vcc
	s_cbranch_execnz .LBB94_375
; %bb.192:
	s_or_b64 exec, exec, s[2:3]
	v_mov_b32_e32 v33, s6
	s_and_saveexec_b64 s[2:3], s[0:1]
	s_cbranch_execnz .LBB94_376
.LBB94_193:
	s_or_b64 exec, exec, s[2:3]
	v_cmp_eq_u32_e32 vcc, v33, v32
	s_and_saveexec_b64 s[0:1], vcc
	s_cbranch_execz .LBB94_195
.LBB94_194:
	ds_read_u8 v33, v10 offset:4100
	ds_read_u8 v34, v10 offset:4096
	ds_write_b32 v11, v5
	ds_write_b32 v12, v4 offset:16
	s_waitcnt lgkmcnt(3)
	ds_write_b8 v10, v33 offset:4096
	s_waitcnt lgkmcnt(3)
	ds_write_b8 v10, v34 offset:4100
.LBB94_195:
	s_or_b64 exec, exec, s[0:1]
	s_waitcnt lgkmcnt(0)
	s_barrier
	ds_read_b32 v4, v8
	ds_read_b32 v5, v9 offset:8
                                        ; implicit-def: $sgpr6
	s_waitcnt lgkmcnt(0)
	v_cmp_nlt_f32_e64 s[0:1], v4, v5
	v_cmp_lt_f32_e32 vcc, v4, v5
	s_and_saveexec_b64 s[2:3], vcc
	s_cbranch_execnz .LBB94_377
; %bb.196:
	s_or_b64 exec, exec, s[2:3]
	v_mov_b32_e32 v33, s6
	s_and_saveexec_b64 s[2:3], s[0:1]
	s_cbranch_execnz .LBB94_378
.LBB94_197:
	s_or_b64 exec, exec, s[2:3]
	v_cmp_eq_u32_e32 vcc, v33, v32
	s_and_saveexec_b64 s[0:1], vcc
	s_cbranch_execz .LBB94_199
.LBB94_198:
	ds_read_u8 v33, v7 offset:4098
	ds_read_u8 v34, v7 offset:4096
	ds_write_b32 v8, v5
	ds_write_b32 v9, v4 offset:8
	s_waitcnt lgkmcnt(3)
	ds_write_b8 v7, v33 offset:4096
	s_waitcnt lgkmcnt(3)
	ds_write_b8 v7, v34 offset:4098
.LBB94_199:
	s_or_b64 exec, exec, s[0:1]
	s_waitcnt lgkmcnt(0)
	s_barrier
	ds_read2_b32 v[4:5], v1 offset1:1
                                        ; implicit-def: $sgpr6
	s_waitcnt lgkmcnt(0)
	v_cmp_nlt_f32_e64 s[0:1], v4, v5
	v_cmp_lt_f32_e32 vcc, v4, v5
	s_and_saveexec_b64 s[2:3], vcc
	s_cbranch_execnz .LBB94_379
; %bb.200:
	s_or_b64 exec, exec, s[2:3]
	v_mov_b32_e32 v33, s6
	s_and_saveexec_b64 s[2:3], s[0:1]
	s_cbranch_execnz .LBB94_380
.LBB94_201:
	s_or_b64 exec, exec, s[2:3]
	v_cmp_eq_u32_e32 vcc, v33, v32
	s_and_saveexec_b64 s[0:1], vcc
	s_cbranch_execz .LBB94_203
.LBB94_202:
	v_add_u32_e32 v33, v1, v3
	ds_read_u8 v34, v6 offset:4097
	ds_read_u8 v35, v33 offset:4096
	ds_write2_b32 v1, v5, v4 offset1:1
	s_waitcnt lgkmcnt(2)
	ds_write_b8 v33, v34 offset:4096
	s_waitcnt lgkmcnt(2)
	ds_write_b8 v6, v35 offset:4097
.LBB94_203:
	s_or_b64 exec, exec, s[0:1]
	v_and_b32_e32 v4, 0x1ff, v0
	v_sub_u32_e32 v5, v2, v4
	v_add_u32_e32 v4, 4, v5
	v_lshl_add_u32 v32, v5, 2, 4
	v_mad_i32_i24 v34, v5, 3, v4
	s_waitcnt lgkmcnt(0)
	s_barrier
	ds_read_b32 v33, v32
	ds_read_b32 v34, v34 offset:2048
                                        ; implicit-def: $sgpr6
	s_waitcnt lgkmcnt(0)
	v_cmp_nlt_f32_e64 s[0:1], v33, v34
	v_cmp_lt_f32_e32 vcc, v33, v34
	s_and_saveexec_b64 s[2:3], vcc
	s_cbranch_execnz .LBB94_381
; %bb.204:
	s_or_b64 exec, exec, s[2:3]
	v_mov_b32_e32 v35, s6
	s_and_saveexec_b64 s[2:3], s[0:1]
	s_cbranch_execnz .LBB94_382
.LBB94_205:
	s_or_b64 exec, exec, s[2:3]
	v_cmp_eq_u32_e32 vcc, 0, v35
	s_and_saveexec_b64 s[0:1], vcc
	s_cbranch_execz .LBB94_207
.LBB94_206:
	ds_read_u8 v35, v4 offset:4096
	ds_read_u8 v36, v4 offset:4608
	v_mul_i32_i24_e32 v5, 3, v5
	v_add_u32_e32 v5, v4, v5
	ds_write_b32 v32, v34
	ds_write_b32 v5, v33 offset:2048
	s_waitcnt lgkmcnt(2)
	ds_write_b8 v4, v36 offset:4096
	ds_write_b8 v4, v35 offset:4608
.LBB94_207:
	s_or_b64 exec, exec, s[0:1]
	s_waitcnt lgkmcnt(0)
	s_barrier
	ds_read_b32 v4, v30
	ds_read_b32 v5, v31 offset:1024
                                        ; implicit-def: $sgpr6
	s_waitcnt lgkmcnt(0)
	v_cmp_nlt_f32_e64 s[0:1], v4, v5
	v_cmp_lt_f32_e32 vcc, v4, v5
	s_and_saveexec_b64 s[2:3], vcc
	s_cbranch_execnz .LBB94_383
; %bb.208:
	s_or_b64 exec, exec, s[2:3]
	v_mov_b32_e32 v32, s6
	s_and_saveexec_b64 s[2:3], s[0:1]
	s_cbranch_execnz .LBB94_384
.LBB94_209:
	s_or_b64 exec, exec, s[2:3]
	v_cmp_eq_u32_e32 vcc, 0, v32
	s_and_saveexec_b64 s[0:1], vcc
	s_cbranch_execz .LBB94_211
.LBB94_210:
	ds_read_u8 v32, v29 offset:4352
	ds_read_u8 v33, v29 offset:4096
	ds_write_b32 v30, v5
	ds_write_b32 v31, v4 offset:1024
	s_waitcnt lgkmcnt(3)
	ds_write_b8 v29, v32 offset:4096
	s_waitcnt lgkmcnt(3)
	ds_write_b8 v29, v33 offset:4352
.LBB94_211:
	s_or_b64 exec, exec, s[0:1]
	s_waitcnt lgkmcnt(0)
	s_barrier
	ds_read_b32 v4, v27
	ds_read_b32 v5, v28 offset:512
                                        ; implicit-def: $sgpr6
	s_waitcnt lgkmcnt(0)
	v_cmp_nlt_f32_e64 s[0:1], v4, v5
	v_cmp_lt_f32_e32 vcc, v4, v5
	s_and_saveexec_b64 s[2:3], vcc
	s_cbranch_execnz .LBB94_385
; %bb.212:
	s_or_b64 exec, exec, s[2:3]
	v_mov_b32_e32 v29, s6
	s_and_saveexec_b64 s[2:3], s[0:1]
	s_cbranch_execnz .LBB94_386
.LBB94_213:
	s_or_b64 exec, exec, s[2:3]
	v_cmp_eq_u32_e32 vcc, 0, v29
	s_and_saveexec_b64 s[0:1], vcc
	s_cbranch_execz .LBB94_215
.LBB94_214:
	ds_read_u8 v29, v26 offset:4224
	ds_read_u8 v30, v26 offset:4096
	ds_write_b32 v27, v5
	ds_write_b32 v28, v4 offset:512
	s_waitcnt lgkmcnt(3)
	ds_write_b8 v26, v29 offset:4096
	s_waitcnt lgkmcnt(3)
	ds_write_b8 v26, v30 offset:4224
.LBB94_215:
	s_or_b64 exec, exec, s[0:1]
	s_waitcnt lgkmcnt(0)
	s_barrier
	ds_read_b32 v4, v24
	ds_read_b32 v5, v25 offset:256
	s_waitcnt lgkmcnt(0)
	v_cmp_nlt_f32_e64 s[2:3], v4, v5
	v_cmp_lt_f32_e32 vcc, v4, v5
	s_and_saveexec_b64 s[0:1], vcc
	s_cbranch_execz .LBB94_217
; %bb.216:
	ds_read_u8 v26, v23 offset:4096
	s_andn2_b64 s[2:3], s[2:3], exec
	s_waitcnt lgkmcnt(0)
	v_and_b32_e32 v26, 1, v26
	v_cmp_eq_u32_e32 vcc, 1, v26
	s_xor_b64 s[6:7], vcc, -1
	s_and_b64 s[6:7], s[6:7], exec
	s_or_b64 s[2:3], s[2:3], s[6:7]
.LBB94_217:
	s_or_b64 exec, exec, s[0:1]
	s_and_saveexec_b64 s[0:1], s[2:3]
	s_cbranch_execz .LBB94_220
; %bb.218:
	ds_read_u8 v26, v23 offset:4160
	s_waitcnt lgkmcnt(0)
	v_cmp_ne_u16_e32 vcc, 0, v26
	s_and_b64 exec, exec, vcc
	s_cbranch_execz .LBB94_220
; %bb.219:
	ds_read_u8 v27, v23 offset:4096
	ds_write_b32 v24, v5
	ds_write_b32 v25, v4 offset:256
	ds_write_b8 v23, v26 offset:4096
	s_waitcnt lgkmcnt(3)
	ds_write_b8 v23, v27 offset:4160
.LBB94_220:
	s_or_b64 exec, exec, s[0:1]
	s_waitcnt lgkmcnt(0)
	s_barrier
	ds_read_b32 v4, v21
	ds_read_b32 v5, v22 offset:128
	s_waitcnt lgkmcnt(0)
	v_cmp_nlt_f32_e64 s[2:3], v4, v5
	v_cmp_lt_f32_e32 vcc, v4, v5
	s_and_saveexec_b64 s[0:1], vcc
	s_cbranch_execz .LBB94_222
; %bb.221:
	ds_read_u8 v23, v20 offset:4096
	s_andn2_b64 s[2:3], s[2:3], exec
	s_waitcnt lgkmcnt(0)
	v_and_b32_e32 v23, 1, v23
	v_cmp_eq_u32_e32 vcc, 1, v23
	s_xor_b64 s[6:7], vcc, -1
	s_and_b64 s[6:7], s[6:7], exec
	s_or_b64 s[2:3], s[2:3], s[6:7]
.LBB94_222:
	s_or_b64 exec, exec, s[0:1]
	s_and_saveexec_b64 s[0:1], s[2:3]
	s_cbranch_execz .LBB94_225
; %bb.223:
	ds_read_u8 v23, v20 offset:4128
	s_waitcnt lgkmcnt(0)
	v_cmp_ne_u16_e32 vcc, 0, v23
	s_and_b64 exec, exec, vcc
	s_cbranch_execz .LBB94_225
; %bb.224:
	ds_read_u8 v24, v20 offset:4096
	ds_write_b32 v21, v5
	ds_write_b32 v22, v4 offset:128
	ds_write_b8 v20, v23 offset:4096
	s_waitcnt lgkmcnt(3)
	ds_write_b8 v20, v24 offset:4128
.LBB94_225:
	;; [unrolled: 37-line block ×6, first 2 shown]
	s_or_b64 exec, exec, s[0:1]
	s_waitcnt lgkmcnt(0)
	s_barrier
	ds_read2_b32 v[4:5], v1 offset1:1
	s_waitcnt lgkmcnt(0)
	v_cmp_nlt_f32_e64 s[2:3], v4, v5
	v_cmp_lt_f32_e32 vcc, v4, v5
	s_and_saveexec_b64 s[0:1], vcc
	s_cbranch_execz .LBB94_247
; %bb.246:
	v_add_u32_e32 v7, v1, v3
	ds_read_u8 v7, v7 offset:4096
	s_andn2_b64 s[2:3], s[2:3], exec
	s_waitcnt lgkmcnt(0)
	v_and_b32_e32 v7, 1, v7
	v_cmp_eq_u32_e32 vcc, 1, v7
	s_xor_b64 s[6:7], vcc, -1
	s_and_b64 s[6:7], s[6:7], exec
	s_or_b64 s[2:3], s[2:3], s[6:7]
.LBB94_247:
	s_or_b64 exec, exec, s[0:1]
	s_and_saveexec_b64 s[0:1], s[2:3]
	s_cbranch_execz .LBB94_250
; %bb.248:
	ds_read_u8 v7, v6 offset:4097
	s_waitcnt lgkmcnt(0)
	v_cmp_ne_u16_e32 vcc, 0, v7
	s_and_b64 exec, exec, vcc
	s_cbranch_execz .LBB94_250
; %bb.249:
	v_add_u32_e32 v9, v1, v3
	ds_read_u8 v10, v9 offset:4096
	v_mov_b32_e32 v3, v4
	ds_write2_b32 v1, v5, v4 offset1:1
	ds_write_b8 v9, v7 offset:4096
	s_waitcnt lgkmcnt(2)
	ds_write_b8 v6, v10 offset:4097
.LBB94_250:
	s_or_b64 exec, exec, s[0:1]
	v_cmp_eq_u32_e32 vcc, 0, v0
	s_waitcnt lgkmcnt(0)
	s_barrier
	s_barrier
	s_and_saveexec_b64 s[0:1], vcc
	s_cbranch_execz .LBB94_252
; %bb.251:
	v_mov_b32_e32 v3, 4
	v_mov_b32_e32 v4, 1
	ds_write_b8 v3, v4 offset:4100
	v_mov_b32_e32 v4, 0
	ds_write_b32 v3, v4 offset:4096
.LBB94_252:
	s_or_b64 exec, exec, s[0:1]
	ds_read2_b32 v[4:5], v1 offset1:1
	s_add_i32 s10, 4, 0x1000
	v_lshl_add_u32 v1, v2, 3, s10
	s_waitcnt lgkmcnt(0)
	v_cmp_neq_f32_e64 s[0:1], v4, v5
	v_cndmask_b32_e64 v3, 0, 1, s[0:1]
	v_cmp_eq_f32_e64 s[0:1], v4, v5
	ds_write_b8 v1, v3 offset:12
	v_cndmask_b32_e64 v3, 0, 1, s[0:1]
	s_movk_i32 s0, 0x1ff
	v_cmp_gt_u32_e64 s[2:3], s0, v0
	ds_write_b32 v1, v3 offset:8
	s_and_saveexec_b64 s[6:7], s[2:3]
	s_cbranch_execz .LBB94_254
; %bb.253:
	v_lshl_add_u32 v3, v2, 2, 4
	ds_read_b32 v3, v3 offset:8
	s_waitcnt lgkmcnt(0)
	v_cmp_neq_f32_e64 s[0:1], v5, v3
	v_cndmask_b32_e64 v4, 0, 1, s[0:1]
	v_cmp_eq_f32_e64 s[0:1], v5, v3
	v_cndmask_b32_e64 v3, 0, 1, s[0:1]
	ds_write_b8 v1, v4 offset:20
	ds_write_b32 v1, v3 offset:16
.LBB94_254:
	s_or_b64 exec, exec, s[6:7]
	s_movk_i32 s0, 0x200
	v_cmp_gt_u32_e64 s[0:1], s0, v0
	v_lshl_add_u32 v3, v2, 3, 4
	s_waitcnt lgkmcnt(0)
	s_barrier
	s_and_saveexec_b64 s[6:7], s[0:1]
	s_cbranch_execz .LBB94_256
; %bb.255:
	ds_read_u8 v4, v1 offset:12
	ds_read_b32 v5, v3 offset:4096
	ds_read_b32 v6, v1 offset:8
	ds_read_u8 v7, v3 offset:4100
	s_waitcnt lgkmcnt(3)
	v_and_b32_e32 v8, 1, v4
	v_cmp_eq_u32_e64 s[0:1], 1, v8
	s_waitcnt lgkmcnt(2)
	v_cndmask_b32_e64 v5, v5, 0, s[0:1]
	s_waitcnt lgkmcnt(0)
	v_or_b32_e32 v4, v7, v4
	v_add_u32_e32 v5, v5, v6
	v_and_b32_e32 v4, 1, v4
	ds_write2_b32 v1, v5, v4 offset0:2 offset1:3
.LBB94_256:
	s_or_b64 exec, exec, s[6:7]
	v_add_u32_e32 v14, 2, v2
	v_lshlrev_b32_e32 v4, 1, v14
	s_movk_i32 s0, 0x100
	v_add_u32_e32 v5, -1, v4
	v_cmp_gt_u32_e64 s[0:1], s0, v0
	s_waitcnt lgkmcnt(0)
	s_barrier
	s_and_saveexec_b64 s[6:7], s[0:1]
	s_cbranch_execz .LBB94_258
; %bb.257:
	v_lshl_add_u32 v6, v5, 3, 4
	ds_read_b32 v7, v6 offset:4096
	ds_read_u8 v8, v6 offset:4100
	v_lshl_add_u32 v9, v4, 3, 4
	ds_read_b32 v10, v9 offset:4072
	ds_read_u8 v9, v9 offset:4076
	v_add_u32_e32 v6, 0x1000, v6
	s_waitcnt lgkmcnt(2)
	v_and_b32_e32 v11, 1, v8
	v_cmp_eq_u32_e64 s[0:1], 1, v11
	s_waitcnt lgkmcnt(1)
	v_cndmask_b32_e64 v10, v10, 0, s[0:1]
	s_waitcnt lgkmcnt(0)
	v_or_b32_e32 v8, v9, v8
	v_add_u32_e32 v7, v10, v7
	v_and_b32_e32 v8, 1, v8
	ds_write2_b32 v6, v7, v8 offset1:1
.LBB94_258:
	s_or_b64 exec, exec, s[6:7]
	s_movk_i32 s0, 0x80
	v_lshlrev_b32_e32 v6, 2, v14
	v_add_u32_e32 v5, v5, v4
	v_cmp_gt_u32_e64 s[0:1], s0, v0
	s_waitcnt lgkmcnt(0)
	s_barrier
	s_and_saveexec_b64 s[6:7], s[0:1]
	s_cbranch_execz .LBB94_260
; %bb.259:
	v_lshl_add_u32 v7, v5, 3, 4
	ds_read_b32 v8, v7 offset:4096
	ds_read_u8 v9, v7 offset:4100
	v_lshl_add_u32 v10, v6, 3, 4
	ds_read_b32 v11, v10 offset:4056
	ds_read_u8 v10, v10 offset:4060
	v_add_u32_e32 v7, 0x1000, v7
	s_waitcnt lgkmcnt(2)
	v_and_b32_e32 v12, 1, v9
	v_cmp_eq_u32_e64 s[0:1], 1, v12
	s_waitcnt lgkmcnt(1)
	v_cndmask_b32_e64 v11, v11, 0, s[0:1]
	s_waitcnt lgkmcnt(0)
	v_or_b32_e32 v9, v10, v9
	v_add_u32_e32 v8, v11, v8
	v_and_b32_e32 v9, 1, v9
	ds_write2_b32 v7, v8, v9 offset1:1
.LBB94_260:
	s_or_b64 exec, exec, s[6:7]
	v_lshlrev_b32_e32 v8, 3, v14
	v_add_u32_e32 v7, v5, v6
	v_cmp_gt_u32_e64 s[0:1], 64, v0
	s_waitcnt lgkmcnt(0)
	s_barrier
	s_and_saveexec_b64 s[8:9], s[0:1]
	s_cbranch_execz .LBB94_262
; %bb.261:
	v_lshl_add_u32 v9, v7, 3, 4
	ds_read_b32 v10, v9 offset:4096
	ds_read_u8 v11, v9 offset:4100
	v_lshl_add_u32 v12, v8, 3, 4
	ds_read_b32 v15, v12 offset:4024
	ds_read_u8 v12, v12 offset:4028
	v_add_u32_e32 v9, 0x1000, v9
	s_waitcnt lgkmcnt(2)
	v_and_b32_e32 v16, 1, v11
	v_cmp_eq_u32_e64 s[6:7], 1, v16
	s_waitcnt lgkmcnt(1)
	v_cndmask_b32_e64 v15, v15, 0, s[6:7]
	s_waitcnt lgkmcnt(0)
	v_or_b32_e32 v11, v12, v11
	v_add_u32_e32 v10, v15, v10
	v_and_b32_e32 v11, 1, v11
	ds_write2_b32 v9, v10, v11 offset1:1
.LBB94_262:
	s_or_b64 exec, exec, s[8:9]
	;; [unrolled: 27-line block ×6, first 2 shown]
	v_add_u32_e32 v19, v17, v18
	v_cmp_gt_u32_e64 s[6:7], 2, v0
	v_lshl_add_u32 v19, v19, 3, 4
	s_waitcnt lgkmcnt(0)
	s_barrier
	s_and_saveexec_b64 s[8:9], s[6:7]
	s_cbranch_execz .LBB94_272
; %bb.271:
	ds_read_u8 v21, v19 offset:4100
	v_lshl_add_u32 v14, v14, 11, 4
	ds_read_b32 v22, v14 offset:2040
	ds_read_b32 v23, v19 offset:4096
	ds_read_u8 v14, v14 offset:2044
	v_add_u32_e32 v20, 0x1000, v19
	s_waitcnt lgkmcnt(3)
	v_and_b32_e32 v24, 1, v21
	v_cmp_eq_u32_e64 s[6:7], 1, v24
	s_waitcnt lgkmcnt(2)
	v_cndmask_b32_e64 v22, v22, 0, s[6:7]
	s_waitcnt lgkmcnt(0)
	v_or_b32_e32 v14, v14, v21
	v_add_u32_e32 v22, v22, v23
	v_and_b32_e32 v14, 1, v14
	ds_write2_b32 v20, v22, v14 offset1:1
.LBB94_272:
	s_or_b64 exec, exec, s[8:9]
	s_waitcnt lgkmcnt(0)
	s_barrier
	s_and_saveexec_b64 s[8:9], vcc
	s_cbranch_execz .LBB94_274
; %bb.273:
	v_mov_b32_e32 v14, 4
	s_movk_i32 s6, 0xf8
	ds_read_u8 v22, v14 offset:12284
	v_add_u32_e64 v20, s6, 4
	ds_read2st64_b32 v[20:21], v20 offset0:31 offset1:47
	ds_read_u8 v14, v14 offset:8188
	s_add_i32 s11, 4, 0x2ff8
	s_waitcnt lgkmcnt(2)
	v_and_b32_e32 v23, 1, v22
	v_cmp_eq_u32_e64 s[6:7], 1, v23
	s_waitcnt lgkmcnt(1)
	v_cndmask_b32_e64 v20, v20, 0, s[6:7]
	s_waitcnt lgkmcnt(0)
	v_or_b32_e32 v14, v14, v22
	v_add_u32_e32 v20, v20, v21
	v_and_b32_e32 v14, 1, v14
	v_mov_b32_e32 v21, s11
	ds_write2_b32 v21, v20, v14 offset1:1
.LBB94_274:
	s_or_b64 exec, exec, s[8:9]
	s_waitcnt lgkmcnt(0)
	s_barrier
	s_and_saveexec_b64 s[8:9], vcc
	s_cbranch_execz .LBB94_276
; %bb.275:
	v_mov_b32_e32 v14, 4
	ds_read_u8 v20, v14 offset:10236
	ds_read_b32 v14, v14 offset:10232
	ds_read_b32 v21, v19 offset:4096
	ds_read_u8 v19, v19 offset:4100
	s_add_i32 s11, 4, 0x27f8
	s_waitcnt lgkmcnt(3)
	v_and_b32_e32 v22, 1, v20
	v_cmp_eq_u32_e64 s[6:7], 1, v22
	s_waitcnt lgkmcnt(1)
	v_cndmask_b32_e64 v21, v21, 0, s[6:7]
	s_waitcnt lgkmcnt(0)
	v_or_b32_e32 v19, v19, v20
	v_add_u32_e32 v14, v21, v14
	v_and_b32_e32 v19, 1, v19
	v_mov_b32_e32 v20, s11
	ds_write2_b32 v20, v14, v19 offset1:1
.LBB94_276:
	s_or_b64 exec, exec, s[8:9]
	v_cmp_gt_u32_e64 s[6:7], 3, v0
	s_waitcnt lgkmcnt(0)
	s_barrier
	s_and_saveexec_b64 s[8:9], s[6:7]
	s_cbranch_execz .LBB94_278
; %bb.277:
	v_lshl_add_u32 v14, v18, 3, s10
	ds_read_u8 v18, v14 offset:1020
	v_lshl_add_u32 v17, v17, 3, s10
	ds_read_b32 v19, v17
	ds_read_b32 v20, v14 offset:1016
	ds_read_u8 v17, v17 offset:4
	s_waitcnt lgkmcnt(3)
	v_and_b32_e32 v21, 1, v18
	v_cmp_eq_u32_e64 s[6:7], 1, v21
	s_waitcnt lgkmcnt(2)
	v_cndmask_b32_e64 v19, v19, 0, s[6:7]
	s_waitcnt lgkmcnt(0)
	v_or_b32_e32 v17, v17, v18
	v_add_u32_e32 v19, v19, v20
	v_and_b32_e32 v17, 1, v17
	ds_write2_b32 v14, v19, v17 offset0:254 offset1:255
.LBB94_278:
	s_or_b64 exec, exec, s[8:9]
	v_cmp_gt_u32_e64 s[6:7], 7, v0
	s_waitcnt lgkmcnt(0)
	s_barrier
	s_and_saveexec_b64 s[8:9], s[6:7]
	s_cbranch_execz .LBB94_280
; %bb.279:
	v_lshl_add_u32 v14, v16, 3, s10
	ds_read_u8 v16, v14 offset:508
	v_lshl_add_u32 v15, v15, 3, s10
	ds_read_b32 v17, v15
	ds_read_b32 v18, v14 offset:504
	ds_read_u8 v15, v15 offset:4
	s_waitcnt lgkmcnt(3)
	v_and_b32_e32 v19, 1, v16
	v_cmp_eq_u32_e64 s[6:7], 1, v19
	s_waitcnt lgkmcnt(2)
	v_cndmask_b32_e64 v17, v17, 0, s[6:7]
	s_waitcnt lgkmcnt(0)
	v_or_b32_e32 v15, v15, v16
	v_add_u32_e32 v17, v17, v18
	v_and_b32_e32 v15, 1, v15
	ds_write2_b32 v14, v17, v15 offset0:126 offset1:127
.LBB94_280:
	;; [unrolled: 24-line block ×5, first 2 shown]
	s_or_b64 exec, exec, s[8:9]
	s_movk_i32 s6, 0x7f
	v_cmp_gt_u32_e64 s[6:7], s6, v0
	s_waitcnt lgkmcnt(0)
	s_barrier
	s_and_saveexec_b64 s[8:9], s[6:7]
	s_cbranch_execz .LBB94_288
; %bb.287:
	v_lshl_add_u32 v6, v6, 3, s10
	ds_read_u8 v7, v6 offset:28
	v_lshl_add_u32 v5, v5, 3, s10
	ds_read_b32 v8, v5
	ds_read_b32 v9, v6 offset:24
	ds_read_u8 v5, v5 offset:4
	s_waitcnt lgkmcnt(3)
	v_and_b32_e32 v10, 1, v7
	v_cmp_eq_u32_e64 s[6:7], 1, v10
	s_waitcnt lgkmcnt(2)
	v_cndmask_b32_e64 v8, v8, 0, s[6:7]
	s_waitcnt lgkmcnt(0)
	v_or_b32_e32 v5, v5, v7
	v_add_u32_e32 v8, v8, v9
	v_and_b32_e32 v5, 1, v5
	ds_write2_b32 v6, v8, v5 offset0:6 offset1:7
.LBB94_288:
	s_or_b64 exec, exec, s[8:9]
	s_movk_i32 s6, 0xff
	v_cmp_gt_u32_e64 s[6:7], s6, v0
	s_waitcnt lgkmcnt(0)
	s_barrier
	s_and_saveexec_b64 s[8:9], s[6:7]
	s_cbranch_execz .LBB94_290
; %bb.289:
	v_lshl_add_u32 v4, v4, 3, s10
	ds_read_u8 v5, v4 offset:12
	v_add_u32_e32 v6, -8, v4
	ds_read_b32 v7, v6
	ds_read_b32 v8, v4 offset:8
	ds_read_u8 v6, v6 offset:4
	s_waitcnt lgkmcnt(3)
	v_and_b32_e32 v9, 1, v5
	v_cmp_eq_u32_e64 s[6:7], 1, v9
	s_waitcnt lgkmcnt(2)
	v_cndmask_b32_e64 v7, v7, 0, s[6:7]
	s_waitcnt lgkmcnt(0)
	v_or_b32_e32 v5, v6, v5
	v_add_u32_e32 v7, v7, v8
	v_and_b32_e32 v5, 1, v5
	ds_write2_b32 v4, v7, v5 offset0:2 offset1:3
.LBB94_290:
	s_or_b64 exec, exec, s[8:9]
	s_waitcnt lgkmcnt(0)
	s_barrier
	s_and_saveexec_b64 s[6:7], s[2:3]
	s_cbranch_execz .LBB94_292
; %bb.291:
	ds_read_u8 v6, v1 offset:20
	ds_read_u8 v7, v1 offset:12
	ds_read2_b32 v[4:5], v1 offset0:2 offset1:4
	s_waitcnt lgkmcnt(2)
	v_and_b32_e32 v8, 1, v6
	v_cmp_eq_u32_e64 s[2:3], 1, v8
	s_waitcnt lgkmcnt(1)
	v_or_b32_e32 v6, v7, v6
	s_waitcnt lgkmcnt(0)
	v_cndmask_b32_e64 v4, v4, 0, s[2:3]
	v_add_u32_e32 v4, v4, v5
	v_and_b32_e32 v5, 1, v6
	ds_write2_b32 v1, v4, v5 offset0:4 offset1:5
.LBB94_292:
	s_or_b64 exec, exec, s[6:7]
	s_waitcnt lgkmcnt(0)
	s_barrier
	ds_read_b32 v3, v3 offset:4096
	ds_read_b32 v1, v1 offset:8
	v_or_b32_e32 v4, 1, v2
	v_cmp_gt_u32_e64 s[6:7], s16, v4
	v_cmp_gt_u32_e64 s[2:3], s16, v2
	s_waitcnt lgkmcnt(1)
	v_cndmask_b32_e64 v3, 0, v3, s[2:3]
	s_waitcnt lgkmcnt(0)
	v_cndmask_b32_e64 v6, 0, v1, s[6:7]
	v_mbcnt_lo_u32_b32 v1, -1, 0
	v_mbcnt_hi_u32_b32 v12, -1, v1
	v_and_b32_e32 v14, 63, v12
	v_cmp_gt_u32_e64 s[8:9], 32, v14
	v_cndmask_b32_e64 v1, 0, 1, s[8:9]
	v_lshlrev_b32_e32 v1, 5, v1
	v_cndmask_b32_e64 v5, 0, v2, s[2:3]
	v_max_u32_e32 v7, v6, v3
	v_add_lshl_u32 v1, v1, v12, 2
	v_cndmask_b32_e64 v8, 0, v4, s[6:7]
	v_cmp_gt_u32_e64 s[8:9], v6, v3
	ds_bpermute_b32 v9, v1, v7
	v_cndmask_b32_e64 v3, v5, v8, s[8:9]
	ds_bpermute_b32 v5, v1, v3
	v_cmp_gt_u32_e64 s[8:9], 48, v14
	v_cndmask_b32_e64 v8, 0, 1, s[8:9]
	v_lshlrev_b32_e32 v8, 4, v8
	s_waitcnt lgkmcnt(1)
	v_max_u32_e32 v6, v9, v7
	v_add_lshl_u32 v8, v8, v12, 2
	v_cmp_gt_u32_e64 s[8:9], v9, v7
	ds_bpermute_b32 v10, v8, v6
	s_waitcnt lgkmcnt(1)
	v_cndmask_b32_e64 v3, v3, v5, s[8:9]
	ds_bpermute_b32 v5, v8, v3
	v_cmp_gt_u32_e64 s[8:9], 56, v14
	v_cndmask_b32_e64 v9, 0, 1, s[8:9]
	v_lshlrev_b32_e32 v9, 3, v9
	s_waitcnt lgkmcnt(1)
	v_max_u32_e32 v7, v10, v6
	v_add_lshl_u32 v9, v9, v12, 2
	v_cmp_gt_u32_e64 s[8:9], v10, v6
	ds_bpermute_b32 v11, v9, v7
	s_waitcnt lgkmcnt(1)
	v_cndmask_b32_e64 v3, v3, v5, s[8:9]
	ds_bpermute_b32 v5, v9, v3
	v_cmp_gt_u32_e64 s[8:9], 60, v14
	v_cndmask_b32_e64 v10, 0, 1, s[8:9]
	v_lshlrev_b32_e32 v10, 2, v10
	s_waitcnt lgkmcnt(1)
	v_max_u32_e32 v6, v11, v7
	v_add_lshl_u32 v10, v10, v12, 2
	v_cmp_gt_u32_e64 s[8:9], v11, v7
	ds_bpermute_b32 v15, v10, v6
	s_waitcnt lgkmcnt(1)
	v_cndmask_b32_e64 v3, v3, v5, s[8:9]
	ds_bpermute_b32 v5, v10, v3
	v_cmp_gt_u32_e64 s[8:9], 62, v14
	v_cndmask_b32_e64 v11, 0, 1, s[8:9]
	v_lshlrev_b32_e32 v11, 1, v11
	s_waitcnt lgkmcnt(1)
	v_max_u32_e32 v7, v15, v6
	v_add_lshl_u32 v11, v11, v12, 2
	v_cmp_gt_u32_e64 s[8:9], v15, v6
	ds_bpermute_b32 v16, v11, v7
	s_waitcnt lgkmcnt(1)
	v_cndmask_b32_e64 v5, v3, v5, s[8:9]
	ds_bpermute_b32 v6, v11, v5
	s_waitcnt lgkmcnt(0)
	s_barrier
	v_cmp_gt_u32_e64 s[8:9], v16, v7
	v_max_u32_e32 v3, v16, v7
	v_cndmask_b32_e64 v5, v5, v6, s[8:9]
	v_cmp_ne_u32_e64 s[8:9], 63, v14
	v_addc_co_u32_e64 v6, s[8:9], 0, v12, s[8:9]
	v_lshlrev_b32_e32 v12, 2, v6
	ds_bpermute_b32 v6, v12, v5
	ds_bpermute_b32 v7, v12, v3
	v_cmp_eq_u32_e64 s[8:9], 0, v13
	s_waitcnt lgkmcnt(0)
	s_barrier
	s_and_saveexec_b64 s[12:13], s[8:9]
	s_cbranch_execz .LBB94_294
; %bb.293:
	v_lshrrev_b32_e32 v14, 3, v0
	v_add_u32_e32 v14, 4, v14
	v_cmp_gt_u32_e64 s[10:11], v7, v3
	v_add_u32_e32 v14, 0x1000, v14
	v_cndmask_b32_e64 v5, v5, v6, s[10:11]
	v_max_u32_e32 v3, v7, v3
	ds_write2_b32 v14, v3, v5 offset1:1
.LBB94_294:
	s_or_b64 exec, exec, s[12:13]
	s_lshr_b32 s10, s20, 6
	v_cmp_gt_u32_e64 s[10:11], s10, v0
	v_lshl_add_u32 v14, v13, 3, 4
	v_mov_b32_e32 v3, 0
	v_mov_b32_e32 v5, 0
	s_waitcnt lgkmcnt(0)
	s_barrier
	s_and_saveexec_b64 s[12:13], s[10:11]
	s_cbranch_execnz .LBB94_387
; %bb.295:
	s_or_b64 exec, exec, s[12:13]
	s_and_saveexec_b64 s[12:13], s[10:11]
	s_cbranch_execnz .LBB94_388
.LBB94_296:
	s_or_b64 exec, exec, s[12:13]
	s_and_saveexec_b64 s[20:21], s[0:1]
	s_cbranch_execnz .LBB94_389
.LBB94_297:
	s_or_b64 exec, exec, s[20:21]
	s_and_saveexec_b64 s[12:13], vcc
	s_cbranch_execz .LBB94_299
.LBB94_298:
	s_waitcnt lgkmcnt(0)
	v_lshl_add_u32 v3, v3, 2, 4
	ds_read_b32 v3, v3
	v_mov_b32_e32 v5, 0
	s_waitcnt lgkmcnt(0)
	ds_write_b32 v5, v3
.LBB94_299:
	s_or_b64 exec, exec, s[12:13]
	s_mov_b32 s20, 0
	s_waitcnt lgkmcnt(0)
	v_mov_b32_e32 v3, 0
	s_mov_b32 s21, s20
	v_cmp_gt_i64_e64 s[12:13], s[16:17], v[2:3]
	v_pk_mov_b32 v[6:7], s[20:21], s[20:21] op_sel:[0,1]
	s_barrier
	s_and_saveexec_b64 s[20:21], s[12:13]
	s_cbranch_execz .LBB94_301
; %bb.300:
	v_add_u32_e32 v6, s15, v2
	v_mov_b32_e32 v7, v3
	v_lshlrev_b64 v[6:7], 2, v[6:7]
	v_mov_b32_e32 v5, s19
	v_add_co_u32_e64 v6, s[12:13], s18, v6
	v_addc_co_u32_e64 v7, s[12:13], v5, v7, s[12:13]
	global_load_dword v5, v[6:7], off
	ds_read_b32 v6, v3
	s_waitcnt vmcnt(0) lgkmcnt(0)
	v_cmp_eq_f32_e64 s[12:13], v5, v6
	v_cndmask_b32_e64 v2, 0, v2, s[12:13]
	v_pk_mov_b32 v[6:7], v[2:3], v[2:3] op_sel:[0,1]
.LBB94_301:
	s_or_b64 exec, exec, s[20:21]
	v_mov_b32_e32 v5, v3
	v_cmp_gt_i64_e64 s[12:13], s[16:17], v[4:5]
	s_and_saveexec_b64 s[16:17], s[12:13]
	s_cbranch_execz .LBB94_303
; %bb.302:
	v_add_u32_e32 v2, s15, v4
	v_mov_b32_e32 v3, 0
	v_lshlrev_b64 v[16:17], 2, v[2:3]
	v_mov_b32_e32 v2, s19
	v_add_co_u32_e64 v16, s[12:13], s18, v16
	v_addc_co_u32_e64 v17, s[12:13], v2, v17, s[12:13]
	global_load_dword v2, v[16:17], off
	ds_read_b32 v3, v3
	s_waitcnt vmcnt(0) lgkmcnt(0)
	v_cmp_eq_f32_e64 s[12:13], v2, v3
	v_cndmask_b32_e64 v7, 0, v4, s[12:13]
.LBB94_303:
	s_or_b64 exec, exec, s[16:17]
	v_cndmask_b32_e64 v2, 0, v6, s[2:3]
	v_cndmask_b32_e64 v3, 0, v7, s[6:7]
	v_max_u32_e32 v2, v3, v2
	ds_bpermute_b32 v3, v1, v2
	s_waitcnt lgkmcnt(0)
	s_barrier
	v_max_u32_e32 v2, v3, v2
	ds_bpermute_b32 v3, v8, v2
	s_waitcnt lgkmcnt(0)
	v_max_u32_e32 v2, v3, v2
	ds_bpermute_b32 v3, v9, v2
	s_waitcnt lgkmcnt(0)
	;; [unrolled: 3-line block ×4, first 2 shown]
	v_max_u32_e32 v2, v3, v2
	ds_bpermute_b32 v3, v12, v2
	s_and_saveexec_b64 s[2:3], s[8:9]
	s_cbranch_execz .LBB94_305
; %bb.304:
	v_lshrrev_b32_e32 v0, 4, v0
	v_add_u32_e32 v0, 4, v0
	s_waitcnt lgkmcnt(0)
	v_max_u32_e32 v2, v3, v2
	ds_write_b32 v0, v2
.LBB94_305:
	s_or_b64 exec, exec, s[2:3]
	v_mov_b32_e32 v0, 0
	s_waitcnt lgkmcnt(0)
	s_barrier
	s_and_saveexec_b64 s[2:3], s[10:11]
	s_cbranch_execnz .LBB94_390
; %bb.306:
	s_or_b64 exec, exec, s[2:3]
	s_and_saveexec_b64 s[2:3], s[0:1]
	s_cbranch_execnz .LBB94_391
.LBB94_307:
	s_or_b64 exec, exec, s[2:3]
	s_and_saveexec_b64 s[0:1], vcc
	s_cbranch_execnz .LBB94_392
.LBB94_308:
	s_endpgm
.LBB94_309:
	v_add_u32_e32 v11, v1, v3
	ds_read_u8 v11, v11 offset:4096
	s_andn2_b64 s[0:1], s[0:1], exec
	s_mov_b32 s6, 1
	s_waitcnt lgkmcnt(0)
	v_and_b32_e32 v11, 1, v11
	v_cmp_eq_u32_e32 vcc, 1, v11
	s_xor_b64 s[8:9], vcc, -1
	s_and_b64 s[8:9], s[8:9], exec
	s_or_b64 s[0:1], s[0:1], s[8:9]
	s_or_b64 exec, exec, s[2:3]
	v_mov_b32_e32 v11, s6
	s_and_saveexec_b64 s[2:3], s[0:1]
	s_cbranch_execz .LBB94_19
.LBB94_310:
	ds_read_u8 v11, v6 offset:4097
	s_waitcnt lgkmcnt(0)
	v_xor_b32_e32 v11, 1, v11
	s_or_b64 exec, exec, s[2:3]
	v_cmp_eq_u32_e32 vcc, v11, v10
	s_and_saveexec_b64 s[0:1], vcc
	s_cbranch_execnz .LBB94_20
	s_branch .LBB94_21
.LBB94_311:
	ds_read_u8 v14, v7 offset:4096
	s_andn2_b64 s[0:1], s[0:1], exec
	s_mov_b32 s6, 1
	s_waitcnt lgkmcnt(0)
	v_and_b32_e32 v14, 1, v14
	v_cmp_eq_u32_e32 vcc, 1, v14
	s_xor_b64 s[8:9], vcc, -1
	s_and_b64 s[8:9], s[8:9], exec
	s_or_b64 s[0:1], s[0:1], s[8:9]
	s_or_b64 exec, exec, s[2:3]
	v_mov_b32_e32 v14, s6
	s_and_saveexec_b64 s[2:3], s[0:1]
	s_cbranch_execz .LBB94_29
.LBB94_312:
	ds_read_u8 v14, v7 offset:4098
	s_waitcnt lgkmcnt(0)
	v_xor_b32_e32 v14, 1, v14
	s_or_b64 exec, exec, s[2:3]
	v_cmp_eq_u32_e32 vcc, v14, v13
	s_and_saveexec_b64 s[0:1], vcc
	s_cbranch_execnz .LBB94_30
	s_branch .LBB94_31
.LBB94_313:
	v_add_u32_e32 v14, v1, v3
	ds_read_u8 v14, v14 offset:4096
	s_andn2_b64 s[0:1], s[0:1], exec
	s_mov_b32 s6, 1
	s_waitcnt lgkmcnt(0)
	v_and_b32_e32 v14, 1, v14
	v_cmp_eq_u32_e32 vcc, 1, v14
	s_xor_b64 s[8:9], vcc, -1
	s_and_b64 s[8:9], s[8:9], exec
	s_or_b64 s[0:1], s[0:1], s[8:9]
	s_or_b64 exec, exec, s[2:3]
	v_mov_b32_e32 v14, s6
	s_and_saveexec_b64 s[2:3], s[0:1]
	s_cbranch_execz .LBB94_33
.LBB94_314:
	ds_read_u8 v14, v6 offset:4097
	s_waitcnt lgkmcnt(0)
	v_xor_b32_e32 v14, 1, v14
	s_or_b64 exec, exec, s[2:3]
	v_cmp_eq_u32_e32 vcc, v14, v13
	s_and_saveexec_b64 s[0:1], vcc
	s_cbranch_execnz .LBB94_34
	s_branch .LBB94_35
.LBB94_315:
	ds_read_u8 v17, v10 offset:4096
	s_andn2_b64 s[0:1], s[0:1], exec
	s_mov_b32 s6, 1
	s_waitcnt lgkmcnt(0)
	v_and_b32_e32 v17, 1, v17
	v_cmp_eq_u32_e32 vcc, 1, v17
	s_xor_b64 s[8:9], vcc, -1
	s_and_b64 s[8:9], s[8:9], exec
	s_or_b64 s[0:1], s[0:1], s[8:9]
	s_or_b64 exec, exec, s[2:3]
	v_mov_b32_e32 v17, s6
	s_and_saveexec_b64 s[2:3], s[0:1]
	s_cbranch_execz .LBB94_43
.LBB94_316:
	ds_read_u8 v17, v10 offset:4100
	s_waitcnt lgkmcnt(0)
	v_xor_b32_e32 v17, 1, v17
	s_or_b64 exec, exec, s[2:3]
	v_cmp_eq_u32_e32 vcc, v17, v13
	s_and_saveexec_b64 s[0:1], vcc
	s_cbranch_execnz .LBB94_44
	s_branch .LBB94_45
.LBB94_317:
	ds_read_u8 v17, v7 offset:4096
	s_andn2_b64 s[0:1], s[0:1], exec
	s_mov_b32 s6, 1
	s_waitcnt lgkmcnt(0)
	v_and_b32_e32 v17, 1, v17
	v_cmp_eq_u32_e32 vcc, 1, v17
	s_xor_b64 s[8:9], vcc, -1
	s_and_b64 s[8:9], s[8:9], exec
	s_or_b64 s[0:1], s[0:1], s[8:9]
	s_or_b64 exec, exec, s[2:3]
	v_mov_b32_e32 v17, s6
	s_and_saveexec_b64 s[2:3], s[0:1]
	s_cbranch_execz .LBB94_47
.LBB94_318:
	ds_read_u8 v17, v7 offset:4098
	s_waitcnt lgkmcnt(0)
	v_xor_b32_e32 v17, 1, v17
	s_or_b64 exec, exec, s[2:3]
	v_cmp_eq_u32_e32 vcc, v17, v13
	s_and_saveexec_b64 s[0:1], vcc
	s_cbranch_execnz .LBB94_48
	s_branch .LBB94_49
.LBB94_319:
	v_add_u32_e32 v17, v1, v3
	ds_read_u8 v17, v17 offset:4096
	s_andn2_b64 s[0:1], s[0:1], exec
	s_mov_b32 s6, 1
	s_waitcnt lgkmcnt(0)
	v_and_b32_e32 v17, 1, v17
	v_cmp_eq_u32_e32 vcc, 1, v17
	s_xor_b64 s[8:9], vcc, -1
	s_and_b64 s[8:9], s[8:9], exec
	s_or_b64 s[0:1], s[0:1], s[8:9]
	s_or_b64 exec, exec, s[2:3]
	v_mov_b32_e32 v17, s6
	s_and_saveexec_b64 s[2:3], s[0:1]
	s_cbranch_execz .LBB94_51
.LBB94_320:
	ds_read_u8 v17, v6 offset:4097
	s_waitcnt lgkmcnt(0)
	v_xor_b32_e32 v17, 1, v17
	s_or_b64 exec, exec, s[2:3]
	v_cmp_eq_u32_e32 vcc, v17, v13
	s_and_saveexec_b64 s[0:1], vcc
	s_cbranch_execnz .LBB94_52
	s_branch .LBB94_53
.LBB94_321:
	ds_read_u8 v20, v14 offset:4096
	s_andn2_b64 s[0:1], s[0:1], exec
	s_mov_b32 s6, 1
	s_waitcnt lgkmcnt(0)
	v_and_b32_e32 v20, 1, v20
	v_cmp_eq_u32_e32 vcc, 1, v20
	s_xor_b64 s[8:9], vcc, -1
	s_and_b64 s[8:9], s[8:9], exec
	s_or_b64 s[0:1], s[0:1], s[8:9]
	s_or_b64 exec, exec, s[2:3]
	v_mov_b32_e32 v20, s6
	s_and_saveexec_b64 s[2:3], s[0:1]
	s_cbranch_execz .LBB94_61
.LBB94_322:
	ds_read_u8 v20, v14 offset:4104
	s_waitcnt lgkmcnt(0)
	v_xor_b32_e32 v20, 1, v20
	s_or_b64 exec, exec, s[2:3]
	v_cmp_eq_u32_e32 vcc, v20, v13
	s_and_saveexec_b64 s[0:1], vcc
	s_cbranch_execnz .LBB94_62
	s_branch .LBB94_63
.LBB94_323:
	ds_read_u8 v20, v10 offset:4096
	s_andn2_b64 s[0:1], s[0:1], exec
	s_mov_b32 s6, 1
	s_waitcnt lgkmcnt(0)
	v_and_b32_e32 v20, 1, v20
	v_cmp_eq_u32_e32 vcc, 1, v20
	s_xor_b64 s[8:9], vcc, -1
	s_and_b64 s[8:9], s[8:9], exec
	s_or_b64 s[0:1], s[0:1], s[8:9]
	s_or_b64 exec, exec, s[2:3]
	v_mov_b32_e32 v20, s6
	s_and_saveexec_b64 s[2:3], s[0:1]
	s_cbranch_execz .LBB94_65
.LBB94_324:
	ds_read_u8 v20, v10 offset:4100
	s_waitcnt lgkmcnt(0)
	v_xor_b32_e32 v20, 1, v20
	s_or_b64 exec, exec, s[2:3]
	v_cmp_eq_u32_e32 vcc, v20, v13
	s_and_saveexec_b64 s[0:1], vcc
	s_cbranch_execnz .LBB94_66
	s_branch .LBB94_67
.LBB94_325:
	ds_read_u8 v20, v7 offset:4096
	s_andn2_b64 s[0:1], s[0:1], exec
	s_mov_b32 s6, 1
	s_waitcnt lgkmcnt(0)
	v_and_b32_e32 v20, 1, v20
	v_cmp_eq_u32_e32 vcc, 1, v20
	s_xor_b64 s[8:9], vcc, -1
	s_and_b64 s[8:9], s[8:9], exec
	s_or_b64 s[0:1], s[0:1], s[8:9]
	s_or_b64 exec, exec, s[2:3]
	v_mov_b32_e32 v20, s6
	s_and_saveexec_b64 s[2:3], s[0:1]
	s_cbranch_execz .LBB94_69
.LBB94_326:
	ds_read_u8 v20, v7 offset:4098
	s_waitcnt lgkmcnt(0)
	v_xor_b32_e32 v20, 1, v20
	s_or_b64 exec, exec, s[2:3]
	v_cmp_eq_u32_e32 vcc, v20, v13
	s_and_saveexec_b64 s[0:1], vcc
	s_cbranch_execnz .LBB94_70
	s_branch .LBB94_71
.LBB94_327:
	v_add_u32_e32 v20, v1, v3
	ds_read_u8 v20, v20 offset:4096
	s_andn2_b64 s[0:1], s[0:1], exec
	s_mov_b32 s6, 1
	s_waitcnt lgkmcnt(0)
	v_and_b32_e32 v20, 1, v20
	v_cmp_eq_u32_e32 vcc, 1, v20
	s_xor_b64 s[8:9], vcc, -1
	s_and_b64 s[8:9], s[8:9], exec
	s_or_b64 s[0:1], s[0:1], s[8:9]
	s_or_b64 exec, exec, s[2:3]
	v_mov_b32_e32 v20, s6
	s_and_saveexec_b64 s[2:3], s[0:1]
	s_cbranch_execz .LBB94_73
.LBB94_328:
	ds_read_u8 v20, v6 offset:4097
	s_waitcnt lgkmcnt(0)
	v_xor_b32_e32 v20, 1, v20
	s_or_b64 exec, exec, s[2:3]
	v_cmp_eq_u32_e32 vcc, v20, v13
	s_and_saveexec_b64 s[0:1], vcc
	s_cbranch_execnz .LBB94_74
	s_branch .LBB94_75
.LBB94_329:
	ds_read_u8 v23, v17 offset:4096
	s_andn2_b64 s[0:1], s[0:1], exec
	s_mov_b32 s6, 1
	s_waitcnt lgkmcnt(0)
	v_and_b32_e32 v23, 1, v23
	v_cmp_eq_u32_e32 vcc, 1, v23
	s_xor_b64 s[8:9], vcc, -1
	s_and_b64 s[8:9], s[8:9], exec
	s_or_b64 s[0:1], s[0:1], s[8:9]
	s_or_b64 exec, exec, s[2:3]
	v_mov_b32_e32 v23, s6
	s_and_saveexec_b64 s[2:3], s[0:1]
	s_cbranch_execz .LBB94_83
.LBB94_330:
	ds_read_u8 v23, v17 offset:4112
	s_waitcnt lgkmcnt(0)
	v_xor_b32_e32 v23, 1, v23
	s_or_b64 exec, exec, s[2:3]
	v_cmp_eq_u32_e32 vcc, v23, v13
	s_and_saveexec_b64 s[0:1], vcc
	s_cbranch_execnz .LBB94_84
	s_branch .LBB94_85
.LBB94_331:
	ds_read_u8 v23, v14 offset:4096
	s_andn2_b64 s[0:1], s[0:1], exec
	s_mov_b32 s6, 1
	s_waitcnt lgkmcnt(0)
	v_and_b32_e32 v23, 1, v23
	v_cmp_eq_u32_e32 vcc, 1, v23
	s_xor_b64 s[8:9], vcc, -1
	s_and_b64 s[8:9], s[8:9], exec
	s_or_b64 s[0:1], s[0:1], s[8:9]
	s_or_b64 exec, exec, s[2:3]
	v_mov_b32_e32 v23, s6
	s_and_saveexec_b64 s[2:3], s[0:1]
	s_cbranch_execz .LBB94_87
.LBB94_332:
	ds_read_u8 v23, v14 offset:4104
	s_waitcnt lgkmcnt(0)
	v_xor_b32_e32 v23, 1, v23
	s_or_b64 exec, exec, s[2:3]
	v_cmp_eq_u32_e32 vcc, v23, v13
	s_and_saveexec_b64 s[0:1], vcc
	s_cbranch_execnz .LBB94_88
	s_branch .LBB94_89
.LBB94_333:
	ds_read_u8 v23, v10 offset:4096
	s_andn2_b64 s[0:1], s[0:1], exec
	s_mov_b32 s6, 1
	s_waitcnt lgkmcnt(0)
	v_and_b32_e32 v23, 1, v23
	v_cmp_eq_u32_e32 vcc, 1, v23
	s_xor_b64 s[8:9], vcc, -1
	s_and_b64 s[8:9], s[8:9], exec
	s_or_b64 s[0:1], s[0:1], s[8:9]
	s_or_b64 exec, exec, s[2:3]
	v_mov_b32_e32 v23, s6
	s_and_saveexec_b64 s[2:3], s[0:1]
	s_cbranch_execz .LBB94_91
.LBB94_334:
	ds_read_u8 v23, v10 offset:4100
	s_waitcnt lgkmcnt(0)
	v_xor_b32_e32 v23, 1, v23
	s_or_b64 exec, exec, s[2:3]
	v_cmp_eq_u32_e32 vcc, v23, v13
	s_and_saveexec_b64 s[0:1], vcc
	s_cbranch_execnz .LBB94_92
	s_branch .LBB94_93
.LBB94_335:
	ds_read_u8 v23, v7 offset:4096
	s_andn2_b64 s[0:1], s[0:1], exec
	s_mov_b32 s6, 1
	s_waitcnt lgkmcnt(0)
	v_and_b32_e32 v23, 1, v23
	v_cmp_eq_u32_e32 vcc, 1, v23
	s_xor_b64 s[8:9], vcc, -1
	s_and_b64 s[8:9], s[8:9], exec
	s_or_b64 s[0:1], s[0:1], s[8:9]
	s_or_b64 exec, exec, s[2:3]
	v_mov_b32_e32 v23, s6
	s_and_saveexec_b64 s[2:3], s[0:1]
	s_cbranch_execz .LBB94_95
.LBB94_336:
	ds_read_u8 v23, v7 offset:4098
	s_waitcnt lgkmcnt(0)
	v_xor_b32_e32 v23, 1, v23
	s_or_b64 exec, exec, s[2:3]
	v_cmp_eq_u32_e32 vcc, v23, v13
	s_and_saveexec_b64 s[0:1], vcc
	s_cbranch_execnz .LBB94_96
	s_branch .LBB94_97
.LBB94_337:
	v_add_u32_e32 v23, v1, v3
	ds_read_u8 v23, v23 offset:4096
	s_andn2_b64 s[0:1], s[0:1], exec
	s_mov_b32 s6, 1
	s_waitcnt lgkmcnt(0)
	v_and_b32_e32 v23, 1, v23
	v_cmp_eq_u32_e32 vcc, 1, v23
	s_xor_b64 s[8:9], vcc, -1
	s_and_b64 s[8:9], s[8:9], exec
	s_or_b64 s[0:1], s[0:1], s[8:9]
	s_or_b64 exec, exec, s[2:3]
	v_mov_b32_e32 v23, s6
	s_and_saveexec_b64 s[2:3], s[0:1]
	s_cbranch_execz .LBB94_99
.LBB94_338:
	ds_read_u8 v23, v6 offset:4097
	s_waitcnt lgkmcnt(0)
	v_xor_b32_e32 v23, 1, v23
	s_or_b64 exec, exec, s[2:3]
	v_cmp_eq_u32_e32 vcc, v23, v13
	s_and_saveexec_b64 s[0:1], vcc
	s_cbranch_execnz .LBB94_100
	s_branch .LBB94_101
.LBB94_339:
	ds_read_u8 v27, v20 offset:4096
	s_andn2_b64 s[0:1], s[0:1], exec
	s_mov_b32 s6, 1
	s_waitcnt lgkmcnt(0)
	v_and_b32_e32 v27, 1, v27
	v_cmp_eq_u32_e32 vcc, 1, v27
	s_xor_b64 s[8:9], vcc, -1
	s_and_b64 s[8:9], s[8:9], exec
	s_or_b64 s[0:1], s[0:1], s[8:9]
	s_or_b64 exec, exec, s[2:3]
	v_mov_b32_e32 v27, s6
	s_and_saveexec_b64 s[2:3], s[0:1]
	s_cbranch_execz .LBB94_109
.LBB94_340:
	ds_read_u8 v27, v20 offset:4128
	s_waitcnt lgkmcnt(0)
	v_xor_b32_e32 v27, 1, v27
	s_or_b64 exec, exec, s[2:3]
	v_cmp_eq_u32_e32 vcc, v27, v26
	s_and_saveexec_b64 s[0:1], vcc
	s_cbranch_execnz .LBB94_110
	s_branch .LBB94_111
.LBB94_341:
	ds_read_u8 v27, v17 offset:4096
	s_andn2_b64 s[0:1], s[0:1], exec
	s_mov_b32 s6, 1
	s_waitcnt lgkmcnt(0)
	v_and_b32_e32 v27, 1, v27
	v_cmp_eq_u32_e32 vcc, 1, v27
	s_xor_b64 s[8:9], vcc, -1
	s_and_b64 s[8:9], s[8:9], exec
	s_or_b64 s[0:1], s[0:1], s[8:9]
	s_or_b64 exec, exec, s[2:3]
	v_mov_b32_e32 v27, s6
	s_and_saveexec_b64 s[2:3], s[0:1]
	s_cbranch_execz .LBB94_113
.LBB94_342:
	ds_read_u8 v27, v17 offset:4112
	s_waitcnt lgkmcnt(0)
	v_xor_b32_e32 v27, 1, v27
	s_or_b64 exec, exec, s[2:3]
	v_cmp_eq_u32_e32 vcc, v27, v26
	s_and_saveexec_b64 s[0:1], vcc
	s_cbranch_execnz .LBB94_114
	s_branch .LBB94_115
.LBB94_343:
	ds_read_u8 v27, v14 offset:4096
	s_andn2_b64 s[0:1], s[0:1], exec
	s_mov_b32 s6, 1
	s_waitcnt lgkmcnt(0)
	v_and_b32_e32 v27, 1, v27
	v_cmp_eq_u32_e32 vcc, 1, v27
	s_xor_b64 s[8:9], vcc, -1
	s_and_b64 s[8:9], s[8:9], exec
	s_or_b64 s[0:1], s[0:1], s[8:9]
	s_or_b64 exec, exec, s[2:3]
	v_mov_b32_e32 v27, s6
	s_and_saveexec_b64 s[2:3], s[0:1]
	s_cbranch_execz .LBB94_117
.LBB94_344:
	ds_read_u8 v27, v14 offset:4104
	s_waitcnt lgkmcnt(0)
	v_xor_b32_e32 v27, 1, v27
	s_or_b64 exec, exec, s[2:3]
	v_cmp_eq_u32_e32 vcc, v27, v26
	s_and_saveexec_b64 s[0:1], vcc
	s_cbranch_execnz .LBB94_118
	s_branch .LBB94_119
.LBB94_345:
	ds_read_u8 v27, v10 offset:4096
	s_andn2_b64 s[0:1], s[0:1], exec
	s_mov_b32 s6, 1
	s_waitcnt lgkmcnt(0)
	v_and_b32_e32 v27, 1, v27
	v_cmp_eq_u32_e32 vcc, 1, v27
	s_xor_b64 s[8:9], vcc, -1
	s_and_b64 s[8:9], s[8:9], exec
	s_or_b64 s[0:1], s[0:1], s[8:9]
	s_or_b64 exec, exec, s[2:3]
	v_mov_b32_e32 v27, s6
	s_and_saveexec_b64 s[2:3], s[0:1]
	s_cbranch_execz .LBB94_121
.LBB94_346:
	ds_read_u8 v27, v10 offset:4100
	s_waitcnt lgkmcnt(0)
	v_xor_b32_e32 v27, 1, v27
	s_or_b64 exec, exec, s[2:3]
	v_cmp_eq_u32_e32 vcc, v27, v26
	s_and_saveexec_b64 s[0:1], vcc
	s_cbranch_execnz .LBB94_122
	s_branch .LBB94_123
.LBB94_347:
	ds_read_u8 v27, v7 offset:4096
	s_andn2_b64 s[0:1], s[0:1], exec
	s_mov_b32 s6, 1
	s_waitcnt lgkmcnt(0)
	v_and_b32_e32 v27, 1, v27
	v_cmp_eq_u32_e32 vcc, 1, v27
	s_xor_b64 s[8:9], vcc, -1
	s_and_b64 s[8:9], s[8:9], exec
	s_or_b64 s[0:1], s[0:1], s[8:9]
	s_or_b64 exec, exec, s[2:3]
	v_mov_b32_e32 v27, s6
	s_and_saveexec_b64 s[2:3], s[0:1]
	s_cbranch_execz .LBB94_125
.LBB94_348:
	ds_read_u8 v27, v7 offset:4098
	s_waitcnt lgkmcnt(0)
	v_xor_b32_e32 v27, 1, v27
	s_or_b64 exec, exec, s[2:3]
	v_cmp_eq_u32_e32 vcc, v27, v26
	s_and_saveexec_b64 s[0:1], vcc
	s_cbranch_execnz .LBB94_126
	s_branch .LBB94_127
.LBB94_349:
	v_add_u32_e32 v27, v1, v3
	ds_read_u8 v27, v27 offset:4096
	s_andn2_b64 s[0:1], s[0:1], exec
	s_mov_b32 s6, 1
	s_waitcnt lgkmcnt(0)
	v_and_b32_e32 v27, 1, v27
	v_cmp_eq_u32_e32 vcc, 1, v27
	s_xor_b64 s[8:9], vcc, -1
	s_and_b64 s[8:9], s[8:9], exec
	s_or_b64 s[0:1], s[0:1], s[8:9]
	s_or_b64 exec, exec, s[2:3]
	v_mov_b32_e32 v27, s6
	s_and_saveexec_b64 s[2:3], s[0:1]
	s_cbranch_execz .LBB94_129
.LBB94_350:
	ds_read_u8 v27, v6 offset:4097
	s_waitcnt lgkmcnt(0)
	v_xor_b32_e32 v27, 1, v27
	s_or_b64 exec, exec, s[2:3]
	v_cmp_eq_u32_e32 vcc, v27, v26
	s_and_saveexec_b64 s[0:1], vcc
	s_cbranch_execnz .LBB94_130
	s_branch .LBB94_131
.LBB94_351:
	ds_read_u8 v30, v23 offset:4096
	s_andn2_b64 s[0:1], s[0:1], exec
	s_mov_b32 s6, 1
	s_waitcnt lgkmcnt(0)
	v_and_b32_e32 v30, 1, v30
	v_cmp_eq_u32_e32 vcc, 1, v30
	s_xor_b64 s[8:9], vcc, -1
	s_and_b64 s[8:9], s[8:9], exec
	s_or_b64 s[0:1], s[0:1], s[8:9]
	s_or_b64 exec, exec, s[2:3]
	v_mov_b32_e32 v30, s6
	s_and_saveexec_b64 s[2:3], s[0:1]
	s_cbranch_execz .LBB94_139
.LBB94_352:
	ds_read_u8 v30, v23 offset:4160
	s_waitcnt lgkmcnt(0)
	v_xor_b32_e32 v30, 1, v30
	s_or_b64 exec, exec, s[2:3]
	v_cmp_eq_u32_e32 vcc, v30, v29
	s_and_saveexec_b64 s[0:1], vcc
	s_cbranch_execnz .LBB94_140
	s_branch .LBB94_141
.LBB94_353:
	ds_read_u8 v30, v20 offset:4096
	s_andn2_b64 s[0:1], s[0:1], exec
	s_mov_b32 s6, 1
	s_waitcnt lgkmcnt(0)
	v_and_b32_e32 v30, 1, v30
	v_cmp_eq_u32_e32 vcc, 1, v30
	s_xor_b64 s[8:9], vcc, -1
	s_and_b64 s[8:9], s[8:9], exec
	s_or_b64 s[0:1], s[0:1], s[8:9]
	s_or_b64 exec, exec, s[2:3]
	v_mov_b32_e32 v30, s6
	s_and_saveexec_b64 s[2:3], s[0:1]
	s_cbranch_execz .LBB94_143
.LBB94_354:
	ds_read_u8 v30, v20 offset:4128
	s_waitcnt lgkmcnt(0)
	v_xor_b32_e32 v30, 1, v30
	s_or_b64 exec, exec, s[2:3]
	v_cmp_eq_u32_e32 vcc, v30, v29
	s_and_saveexec_b64 s[0:1], vcc
	s_cbranch_execnz .LBB94_144
	s_branch .LBB94_145
.LBB94_355:
	ds_read_u8 v30, v17 offset:4096
	s_andn2_b64 s[0:1], s[0:1], exec
	s_mov_b32 s6, 1
	s_waitcnt lgkmcnt(0)
	v_and_b32_e32 v30, 1, v30
	v_cmp_eq_u32_e32 vcc, 1, v30
	s_xor_b64 s[8:9], vcc, -1
	s_and_b64 s[8:9], s[8:9], exec
	s_or_b64 s[0:1], s[0:1], s[8:9]
	s_or_b64 exec, exec, s[2:3]
	v_mov_b32_e32 v30, s6
	s_and_saveexec_b64 s[2:3], s[0:1]
	s_cbranch_execz .LBB94_147
.LBB94_356:
	ds_read_u8 v30, v17 offset:4112
	s_waitcnt lgkmcnt(0)
	v_xor_b32_e32 v30, 1, v30
	s_or_b64 exec, exec, s[2:3]
	v_cmp_eq_u32_e32 vcc, v30, v29
	s_and_saveexec_b64 s[0:1], vcc
	s_cbranch_execnz .LBB94_148
	s_branch .LBB94_149
.LBB94_357:
	ds_read_u8 v30, v14 offset:4096
	s_andn2_b64 s[0:1], s[0:1], exec
	s_mov_b32 s6, 1
	s_waitcnt lgkmcnt(0)
	v_and_b32_e32 v30, 1, v30
	v_cmp_eq_u32_e32 vcc, 1, v30
	s_xor_b64 s[8:9], vcc, -1
	s_and_b64 s[8:9], s[8:9], exec
	s_or_b64 s[0:1], s[0:1], s[8:9]
	s_or_b64 exec, exec, s[2:3]
	v_mov_b32_e32 v30, s6
	s_and_saveexec_b64 s[2:3], s[0:1]
	s_cbranch_execz .LBB94_151
.LBB94_358:
	ds_read_u8 v30, v14 offset:4104
	s_waitcnt lgkmcnt(0)
	v_xor_b32_e32 v30, 1, v30
	s_or_b64 exec, exec, s[2:3]
	v_cmp_eq_u32_e32 vcc, v30, v29
	s_and_saveexec_b64 s[0:1], vcc
	s_cbranch_execnz .LBB94_152
	s_branch .LBB94_153
.LBB94_359:
	ds_read_u8 v30, v10 offset:4096
	s_andn2_b64 s[0:1], s[0:1], exec
	s_mov_b32 s6, 1
	s_waitcnt lgkmcnt(0)
	v_and_b32_e32 v30, 1, v30
	v_cmp_eq_u32_e32 vcc, 1, v30
	s_xor_b64 s[8:9], vcc, -1
	s_and_b64 s[8:9], s[8:9], exec
	s_or_b64 s[0:1], s[0:1], s[8:9]
	s_or_b64 exec, exec, s[2:3]
	v_mov_b32_e32 v30, s6
	s_and_saveexec_b64 s[2:3], s[0:1]
	s_cbranch_execz .LBB94_155
.LBB94_360:
	ds_read_u8 v30, v10 offset:4100
	s_waitcnt lgkmcnt(0)
	v_xor_b32_e32 v30, 1, v30
	s_or_b64 exec, exec, s[2:3]
	v_cmp_eq_u32_e32 vcc, v30, v29
	s_and_saveexec_b64 s[0:1], vcc
	s_cbranch_execnz .LBB94_156
	s_branch .LBB94_157
.LBB94_361:
	ds_read_u8 v30, v7 offset:4096
	s_andn2_b64 s[0:1], s[0:1], exec
	s_mov_b32 s6, 1
	s_waitcnt lgkmcnt(0)
	v_and_b32_e32 v30, 1, v30
	v_cmp_eq_u32_e32 vcc, 1, v30
	s_xor_b64 s[8:9], vcc, -1
	s_and_b64 s[8:9], s[8:9], exec
	s_or_b64 s[0:1], s[0:1], s[8:9]
	s_or_b64 exec, exec, s[2:3]
	v_mov_b32_e32 v30, s6
	s_and_saveexec_b64 s[2:3], s[0:1]
	s_cbranch_execz .LBB94_159
.LBB94_362:
	ds_read_u8 v30, v7 offset:4098
	s_waitcnt lgkmcnt(0)
	v_xor_b32_e32 v30, 1, v30
	s_or_b64 exec, exec, s[2:3]
	v_cmp_eq_u32_e32 vcc, v30, v29
	s_and_saveexec_b64 s[0:1], vcc
	s_cbranch_execnz .LBB94_160
	s_branch .LBB94_161
.LBB94_363:
	v_add_u32_e32 v30, v1, v3
	ds_read_u8 v30, v30 offset:4096
	s_andn2_b64 s[0:1], s[0:1], exec
	s_mov_b32 s6, 1
	s_waitcnt lgkmcnt(0)
	v_and_b32_e32 v30, 1, v30
	v_cmp_eq_u32_e32 vcc, 1, v30
	s_xor_b64 s[8:9], vcc, -1
	s_and_b64 s[8:9], s[8:9], exec
	s_or_b64 s[0:1], s[0:1], s[8:9]
	s_or_b64 exec, exec, s[2:3]
	v_mov_b32_e32 v30, s6
	s_and_saveexec_b64 s[2:3], s[0:1]
	s_cbranch_execz .LBB94_163
.LBB94_364:
	ds_read_u8 v30, v6 offset:4097
	s_waitcnt lgkmcnt(0)
	v_xor_b32_e32 v30, 1, v30
	s_or_b64 exec, exec, s[2:3]
	v_cmp_eq_u32_e32 vcc, v30, v29
	s_and_saveexec_b64 s[0:1], vcc
	s_cbranch_execnz .LBB94_164
	s_branch .LBB94_165
.LBB94_365:
	ds_read_u8 v33, v26 offset:4096
	s_andn2_b64 s[0:1], s[0:1], exec
	s_mov_b32 s6, 1
	s_waitcnt lgkmcnt(0)
	v_and_b32_e32 v33, 1, v33
	v_cmp_eq_u32_e32 vcc, 1, v33
	s_xor_b64 s[8:9], vcc, -1
	s_and_b64 s[8:9], s[8:9], exec
	s_or_b64 s[0:1], s[0:1], s[8:9]
	s_or_b64 exec, exec, s[2:3]
	v_mov_b32_e32 v33, s6
	s_and_saveexec_b64 s[2:3], s[0:1]
	s_cbranch_execz .LBB94_173
.LBB94_366:
	ds_read_u8 v33, v26 offset:4224
	s_waitcnt lgkmcnt(0)
	v_xor_b32_e32 v33, 1, v33
	s_or_b64 exec, exec, s[2:3]
	v_cmp_eq_u32_e32 vcc, v33, v32
	s_and_saveexec_b64 s[0:1], vcc
	s_cbranch_execnz .LBB94_174
	s_branch .LBB94_175
.LBB94_367:
	ds_read_u8 v33, v23 offset:4096
	s_andn2_b64 s[0:1], s[0:1], exec
	s_mov_b32 s6, 1
	s_waitcnt lgkmcnt(0)
	v_and_b32_e32 v33, 1, v33
	v_cmp_eq_u32_e32 vcc, 1, v33
	s_xor_b64 s[8:9], vcc, -1
	s_and_b64 s[8:9], s[8:9], exec
	s_or_b64 s[0:1], s[0:1], s[8:9]
	s_or_b64 exec, exec, s[2:3]
	v_mov_b32_e32 v33, s6
	s_and_saveexec_b64 s[2:3], s[0:1]
	s_cbranch_execz .LBB94_177
.LBB94_368:
	ds_read_u8 v33, v23 offset:4160
	s_waitcnt lgkmcnt(0)
	v_xor_b32_e32 v33, 1, v33
	s_or_b64 exec, exec, s[2:3]
	v_cmp_eq_u32_e32 vcc, v33, v32
	s_and_saveexec_b64 s[0:1], vcc
	s_cbranch_execnz .LBB94_178
	s_branch .LBB94_179
.LBB94_369:
	ds_read_u8 v33, v20 offset:4096
	s_andn2_b64 s[0:1], s[0:1], exec
	s_mov_b32 s6, 1
	s_waitcnt lgkmcnt(0)
	v_and_b32_e32 v33, 1, v33
	v_cmp_eq_u32_e32 vcc, 1, v33
	s_xor_b64 s[8:9], vcc, -1
	s_and_b64 s[8:9], s[8:9], exec
	s_or_b64 s[0:1], s[0:1], s[8:9]
	s_or_b64 exec, exec, s[2:3]
	v_mov_b32_e32 v33, s6
	s_and_saveexec_b64 s[2:3], s[0:1]
	s_cbranch_execz .LBB94_181
.LBB94_370:
	ds_read_u8 v33, v20 offset:4128
	s_waitcnt lgkmcnt(0)
	v_xor_b32_e32 v33, 1, v33
	s_or_b64 exec, exec, s[2:3]
	v_cmp_eq_u32_e32 vcc, v33, v32
	s_and_saveexec_b64 s[0:1], vcc
	s_cbranch_execnz .LBB94_182
	s_branch .LBB94_183
.LBB94_371:
	ds_read_u8 v33, v17 offset:4096
	s_andn2_b64 s[0:1], s[0:1], exec
	s_mov_b32 s6, 1
	s_waitcnt lgkmcnt(0)
	v_and_b32_e32 v33, 1, v33
	v_cmp_eq_u32_e32 vcc, 1, v33
	s_xor_b64 s[8:9], vcc, -1
	s_and_b64 s[8:9], s[8:9], exec
	s_or_b64 s[0:1], s[0:1], s[8:9]
	s_or_b64 exec, exec, s[2:3]
	v_mov_b32_e32 v33, s6
	s_and_saveexec_b64 s[2:3], s[0:1]
	s_cbranch_execz .LBB94_185
.LBB94_372:
	ds_read_u8 v33, v17 offset:4112
	s_waitcnt lgkmcnt(0)
	v_xor_b32_e32 v33, 1, v33
	s_or_b64 exec, exec, s[2:3]
	v_cmp_eq_u32_e32 vcc, v33, v32
	s_and_saveexec_b64 s[0:1], vcc
	s_cbranch_execnz .LBB94_186
	s_branch .LBB94_187
.LBB94_373:
	ds_read_u8 v33, v14 offset:4096
	s_andn2_b64 s[0:1], s[0:1], exec
	s_mov_b32 s6, 1
	s_waitcnt lgkmcnt(0)
	v_and_b32_e32 v33, 1, v33
	v_cmp_eq_u32_e32 vcc, 1, v33
	s_xor_b64 s[8:9], vcc, -1
	s_and_b64 s[8:9], s[8:9], exec
	s_or_b64 s[0:1], s[0:1], s[8:9]
	s_or_b64 exec, exec, s[2:3]
	v_mov_b32_e32 v33, s6
	s_and_saveexec_b64 s[2:3], s[0:1]
	s_cbranch_execz .LBB94_189
.LBB94_374:
	ds_read_u8 v33, v14 offset:4104
	s_waitcnt lgkmcnt(0)
	v_xor_b32_e32 v33, 1, v33
	s_or_b64 exec, exec, s[2:3]
	v_cmp_eq_u32_e32 vcc, v33, v32
	s_and_saveexec_b64 s[0:1], vcc
	s_cbranch_execnz .LBB94_190
	s_branch .LBB94_191
.LBB94_375:
	ds_read_u8 v33, v10 offset:4096
	s_andn2_b64 s[0:1], s[0:1], exec
	s_mov_b32 s6, 1
	s_waitcnt lgkmcnt(0)
	v_and_b32_e32 v33, 1, v33
	v_cmp_eq_u32_e32 vcc, 1, v33
	s_xor_b64 s[8:9], vcc, -1
	s_and_b64 s[8:9], s[8:9], exec
	s_or_b64 s[0:1], s[0:1], s[8:9]
	s_or_b64 exec, exec, s[2:3]
	v_mov_b32_e32 v33, s6
	s_and_saveexec_b64 s[2:3], s[0:1]
	s_cbranch_execz .LBB94_193
.LBB94_376:
	ds_read_u8 v33, v10 offset:4100
	s_waitcnt lgkmcnt(0)
	v_xor_b32_e32 v33, 1, v33
	s_or_b64 exec, exec, s[2:3]
	v_cmp_eq_u32_e32 vcc, v33, v32
	s_and_saveexec_b64 s[0:1], vcc
	s_cbranch_execnz .LBB94_194
	s_branch .LBB94_195
.LBB94_377:
	ds_read_u8 v33, v7 offset:4096
	s_andn2_b64 s[0:1], s[0:1], exec
	s_mov_b32 s6, 1
	s_waitcnt lgkmcnt(0)
	v_and_b32_e32 v33, 1, v33
	v_cmp_eq_u32_e32 vcc, 1, v33
	s_xor_b64 s[8:9], vcc, -1
	s_and_b64 s[8:9], s[8:9], exec
	s_or_b64 s[0:1], s[0:1], s[8:9]
	s_or_b64 exec, exec, s[2:3]
	v_mov_b32_e32 v33, s6
	s_and_saveexec_b64 s[2:3], s[0:1]
	s_cbranch_execz .LBB94_197
.LBB94_378:
	ds_read_u8 v33, v7 offset:4098
	s_waitcnt lgkmcnt(0)
	v_xor_b32_e32 v33, 1, v33
	s_or_b64 exec, exec, s[2:3]
	v_cmp_eq_u32_e32 vcc, v33, v32
	s_and_saveexec_b64 s[0:1], vcc
	s_cbranch_execnz .LBB94_198
	s_branch .LBB94_199
.LBB94_379:
	v_add_u32_e32 v33, v1, v3
	ds_read_u8 v33, v33 offset:4096
	s_andn2_b64 s[0:1], s[0:1], exec
	s_mov_b32 s6, 1
	s_waitcnt lgkmcnt(0)
	v_and_b32_e32 v33, 1, v33
	v_cmp_eq_u32_e32 vcc, 1, v33
	s_xor_b64 s[8:9], vcc, -1
	s_and_b64 s[8:9], s[8:9], exec
	s_or_b64 s[0:1], s[0:1], s[8:9]
	s_or_b64 exec, exec, s[2:3]
	v_mov_b32_e32 v33, s6
	s_and_saveexec_b64 s[2:3], s[0:1]
	s_cbranch_execz .LBB94_201
.LBB94_380:
	ds_read_u8 v33, v6 offset:4097
	s_waitcnt lgkmcnt(0)
	v_xor_b32_e32 v33, 1, v33
	s_or_b64 exec, exec, s[2:3]
	v_cmp_eq_u32_e32 vcc, v33, v32
	s_and_saveexec_b64 s[0:1], vcc
	s_cbranch_execnz .LBB94_202
	s_branch .LBB94_203
.LBB94_381:
	ds_read_u8 v35, v4 offset:4096
	s_andn2_b64 s[0:1], s[0:1], exec
	s_mov_b32 s6, 1
	s_waitcnt lgkmcnt(0)
	v_and_b32_e32 v35, 1, v35
	v_cmp_eq_u32_e32 vcc, 1, v35
	s_xor_b64 s[8:9], vcc, -1
	s_and_b64 s[8:9], s[8:9], exec
	s_or_b64 s[0:1], s[0:1], s[8:9]
	s_or_b64 exec, exec, s[2:3]
	v_mov_b32_e32 v35, s6
	s_and_saveexec_b64 s[2:3], s[0:1]
	s_cbranch_execz .LBB94_205
.LBB94_382:
	ds_read_u8 v35, v4 offset:4608
	s_waitcnt lgkmcnt(0)
	v_xor_b32_e32 v35, 1, v35
	s_or_b64 exec, exec, s[2:3]
	v_cmp_eq_u32_e32 vcc, 0, v35
	s_and_saveexec_b64 s[0:1], vcc
	s_cbranch_execnz .LBB94_206
	s_branch .LBB94_207
.LBB94_383:
	ds_read_u8 v32, v29 offset:4096
	s_andn2_b64 s[0:1], s[0:1], exec
	s_mov_b32 s6, 1
	s_waitcnt lgkmcnt(0)
	v_and_b32_e32 v32, 1, v32
	v_cmp_eq_u32_e32 vcc, 1, v32
	s_xor_b64 s[8:9], vcc, -1
	s_and_b64 s[8:9], s[8:9], exec
	s_or_b64 s[0:1], s[0:1], s[8:9]
	s_or_b64 exec, exec, s[2:3]
	v_mov_b32_e32 v32, s6
	s_and_saveexec_b64 s[2:3], s[0:1]
	s_cbranch_execz .LBB94_209
.LBB94_384:
	ds_read_u8 v32, v29 offset:4352
	s_waitcnt lgkmcnt(0)
	v_xor_b32_e32 v32, 1, v32
	s_or_b64 exec, exec, s[2:3]
	v_cmp_eq_u32_e32 vcc, 0, v32
	s_and_saveexec_b64 s[0:1], vcc
	s_cbranch_execnz .LBB94_210
	s_branch .LBB94_211
.LBB94_385:
	ds_read_u8 v29, v26 offset:4096
	s_andn2_b64 s[0:1], s[0:1], exec
	s_mov_b32 s6, 1
	s_waitcnt lgkmcnt(0)
	v_and_b32_e32 v29, 1, v29
	v_cmp_eq_u32_e32 vcc, 1, v29
	s_xor_b64 s[8:9], vcc, -1
	s_and_b64 s[8:9], s[8:9], exec
	s_or_b64 s[0:1], s[0:1], s[8:9]
	s_or_b64 exec, exec, s[2:3]
	v_mov_b32_e32 v29, s6
	s_and_saveexec_b64 s[2:3], s[0:1]
	s_cbranch_execz .LBB94_213
.LBB94_386:
	ds_read_u8 v29, v26 offset:4224
	s_waitcnt lgkmcnt(0)
	v_xor_b32_e32 v29, 1, v29
	s_or_b64 exec, exec, s[2:3]
	v_cmp_eq_u32_e32 vcc, 0, v29
	s_and_saveexec_b64 s[0:1], vcc
	s_cbranch_execnz .LBB94_214
	s_branch .LBB94_215
.LBB94_387:
	ds_read_b32 v5, v14 offset:4096
	s_or_b64 exec, exec, s[12:13]
	s_and_saveexec_b64 s[12:13], s[10:11]
	s_cbranch_execz .LBB94_296
.LBB94_388:
	ds_read_b32 v3, v14 offset:4100
	s_or_b64 exec, exec, s[12:13]
	s_and_saveexec_b64 s[20:21], s[0:1]
	s_cbranch_execz .LBB94_297
.LBB94_389:
	s_waitcnt lgkmcnt(0)
	ds_bpermute_b32 v6, v1, v5
	ds_bpermute_b32 v7, v1, v3
	s_waitcnt lgkmcnt(1)
	v_max_u32_e32 v15, v6, v5
	v_cmp_gt_u32_e64 s[12:13], v6, v5
	ds_bpermute_b32 v16, v8, v15
	s_waitcnt lgkmcnt(1)
	v_cndmask_b32_e64 v3, v3, v7, s[12:13]
	ds_bpermute_b32 v5, v8, v3
	s_waitcnt lgkmcnt(1)
	v_max_u32_e32 v6, v16, v15
	v_cmp_gt_u32_e64 s[12:13], v16, v15
	ds_bpermute_b32 v7, v9, v6
	s_waitcnt lgkmcnt(1)
	v_cndmask_b32_e64 v3, v3, v5, s[12:13]
	;; [unrolled: 7-line block ×4, first 2 shown]
	ds_bpermute_b32 v5, v11, v3
	s_waitcnt lgkmcnt(1)
	v_max_u32_e32 v15, v7, v6
	v_cmp_gt_u32_e64 s[12:13], v7, v6
	s_waitcnt lgkmcnt(0)
	v_cndmask_b32_e64 v3, v3, v5, s[12:13]
	ds_bpermute_b32 v5, v12, v15
	ds_bpermute_b32 v6, v12, v3
	s_waitcnt lgkmcnt(1)
	v_cmp_gt_u32_e64 s[12:13], v5, v15
	s_waitcnt lgkmcnt(0)
	v_cndmask_b32_e64 v3, v3, v6, s[12:13]
	s_or_b64 exec, exec, s[20:21]
	s_and_saveexec_b64 s[12:13], vcc
	s_cbranch_execnz .LBB94_298
	s_branch .LBB94_299
.LBB94_390:
	v_lshlrev_b32_e32 v0, 2, v13
	v_sub_u32_e32 v0, v14, v0
	ds_read_b32 v0, v0
	s_or_b64 exec, exec, s[2:3]
	s_and_saveexec_b64 s[2:3], s[0:1]
	s_cbranch_execz .LBB94_307
.LBB94_391:
	s_waitcnt lgkmcnt(0)
	ds_bpermute_b32 v1, v1, v0
	s_waitcnt lgkmcnt(0)
	v_max_u32_e32 v0, v1, v0
	ds_bpermute_b32 v1, v8, v0
	s_waitcnt lgkmcnt(0)
	v_max_u32_e32 v0, v1, v0
	;; [unrolled: 3-line block ×6, first 2 shown]
	s_or_b64 exec, exec, s[2:3]
	s_and_saveexec_b64 s[0:1], vcc
	s_cbranch_execz .LBB94_308
.LBB94_392:
	s_load_dword s6, s[4:5], 0xd8
	s_load_dwordx2 s[0:1], s[4:5], 0xe0
	s_add_u32 s2, s4, 8
	s_addc_u32 s3, s5, 0
	s_mov_b32 s5, 0
	s_waitcnt lgkmcnt(0)
	s_cmp_lt_i32 s6, 2
	s_cbranch_scc1 .LBB94_395
; %bb.393:
	s_add_i32 s4, s6, -1
	s_add_i32 s8, s6, 1
	s_lshl_b64 s[6:7], s[4:5], 2
	s_add_u32 s4, s6, s2
	s_addc_u32 s7, s7, s3
	s_add_u32 s6, s4, 8
	s_addc_u32 s7, s7, 0
.LBB94_394:                             ; =>This Inner Loop Header: Depth=1
	s_load_dword s4, s[6:7], 0x0
	s_load_dword s10, s[6:7], 0x64
	s_mov_b32 s9, s14
	s_waitcnt lgkmcnt(0)
	v_cvt_f32_u32_e32 v1, s4
	s_sub_i32 s11, 0, s4
	v_rcp_iflag_f32_e32 v1, v1
	v_mul_f32_e32 v1, 0x4f7ffffe, v1
	v_cvt_u32_f32_e32 v1, v1
	v_readfirstlane_b32 s12, v1
	s_mul_i32 s11, s11, s12
	s_mul_hi_u32 s11, s12, s11
	s_add_i32 s12, s12, s11
	s_mul_hi_u32 s11, s14, s12
	s_mul_i32 s12, s11, s4
	s_sub_i32 s12, s14, s12
	s_add_i32 s13, s11, 1
	s_sub_i32 s14, s12, s4
	s_cmp_ge_u32 s12, s4
	s_cselect_b32 s11, s13, s11
	s_cselect_b32 s12, s14, s12
	s_add_i32 s13, s11, 1
	s_cmp_ge_u32 s12, s4
	s_cselect_b32 s14, s13, s11
	s_mul_i32 s4, s14, s4
	s_sub_i32 s4, s9, s4
	s_mul_i32 s4, s10, s4
	s_add_i32 s8, s8, -1
	s_add_i32 s5, s4, s5
	s_add_u32 s6, s6, -4
	s_addc_u32 s7, s7, -1
	s_cmp_gt_u32 s8, 2
	s_cbranch_scc1 .LBB94_394
.LBB94_395:
	s_load_dword s4, s[2:3], 0x6c
	v_mov_b32_e32 v1, 0
	s_load_dwordx2 s[2:3], s[2:3], 0x0
	ds_read_b32 v2, v1
	s_mov_b32 s7, 0
	s_waitcnt lgkmcnt(0)
	s_mul_i32 s4, s4, s14
	s_add_i32 s6, s4, s5
	s_lshl_b64 s[4:5], s[6:7], 2
	s_add_u32 s2, s2, s4
	s_addc_u32 s3, s3, s5
	global_store_dword v1, v2, s[2:3]
	s_lshl_b64 s[2:3], s[6:7], 3
	s_add_u32 s0, s0, s2
	s_addc_u32 s1, s1, s3
	global_store_dwordx2 v1, v[0:1], s[0:1]
	s_endpgm
	.section	.rodata,"a",@progbits
	.p2align	6, 0x0
	.amdhsa_kernel _ZN2at6native12compute_modeIfLj1024EEEvPKT_NS_4cuda6detail10TensorInfoIS2_jEENS7_IljEEll
		.amdhsa_group_segment_fixed_size 4
		.amdhsa_private_segment_fixed_size 0
		.amdhsa_kernarg_size 712
		.amdhsa_user_sgpr_count 6
		.amdhsa_user_sgpr_private_segment_buffer 1
		.amdhsa_user_sgpr_dispatch_ptr 0
		.amdhsa_user_sgpr_queue_ptr 0
		.amdhsa_user_sgpr_kernarg_segment_ptr 1
		.amdhsa_user_sgpr_dispatch_id 0
		.amdhsa_user_sgpr_flat_scratch_init 0
		.amdhsa_user_sgpr_kernarg_preload_length 0
		.amdhsa_user_sgpr_kernarg_preload_offset 0
		.amdhsa_user_sgpr_private_segment_size 0
		.amdhsa_uses_dynamic_stack 0
		.amdhsa_system_sgpr_private_segment_wavefront_offset 0
		.amdhsa_system_sgpr_workgroup_id_x 1
		.amdhsa_system_sgpr_workgroup_id_y 1
		.amdhsa_system_sgpr_workgroup_id_z 1
		.amdhsa_system_sgpr_workgroup_info 0
		.amdhsa_system_vgpr_workitem_id 0
		.amdhsa_next_free_vgpr 37
		.amdhsa_next_free_sgpr 22
		.amdhsa_accum_offset 40
		.amdhsa_reserve_vcc 1
		.amdhsa_reserve_flat_scratch 0
		.amdhsa_float_round_mode_32 0
		.amdhsa_float_round_mode_16_64 0
		.amdhsa_float_denorm_mode_32 3
		.amdhsa_float_denorm_mode_16_64 3
		.amdhsa_dx10_clamp 1
		.amdhsa_ieee_mode 1
		.amdhsa_fp16_overflow 0
		.amdhsa_tg_split 0
		.amdhsa_exception_fp_ieee_invalid_op 0
		.amdhsa_exception_fp_denorm_src 0
		.amdhsa_exception_fp_ieee_div_zero 0
		.amdhsa_exception_fp_ieee_overflow 0
		.amdhsa_exception_fp_ieee_underflow 0
		.amdhsa_exception_fp_ieee_inexact 0
		.amdhsa_exception_int_div_zero 0
	.end_amdhsa_kernel
	.section	.text._ZN2at6native12compute_modeIfLj1024EEEvPKT_NS_4cuda6detail10TensorInfoIS2_jEENS7_IljEEll,"axG",@progbits,_ZN2at6native12compute_modeIfLj1024EEEvPKT_NS_4cuda6detail10TensorInfoIS2_jEENS7_IljEEll,comdat
.Lfunc_end94:
	.size	_ZN2at6native12compute_modeIfLj1024EEEvPKT_NS_4cuda6detail10TensorInfoIS2_jEENS7_IljEEll, .Lfunc_end94-_ZN2at6native12compute_modeIfLj1024EEEvPKT_NS_4cuda6detail10TensorInfoIS2_jEENS7_IljEEll
                                        ; -- End function
	.section	.AMDGPU.csdata,"",@progbits
; Kernel info:
; codeLenInByte = 17276
; NumSgprs: 26
; NumVgprs: 37
; NumAgprs: 0
; TotalNumVgprs: 37
; ScratchSize: 0
; MemoryBound: 0
; FloatMode: 240
; IeeeMode: 1
; LDSByteSize: 4 bytes/workgroup (compile time only)
; SGPRBlocks: 3
; VGPRBlocks: 4
; NumSGPRsForWavesPerEU: 26
; NumVGPRsForWavesPerEU: 37
; AccumOffset: 40
; Occupancy: 8
; WaveLimiterHint : 1
; COMPUTE_PGM_RSRC2:SCRATCH_EN: 0
; COMPUTE_PGM_RSRC2:USER_SGPR: 6
; COMPUTE_PGM_RSRC2:TRAP_HANDLER: 0
; COMPUTE_PGM_RSRC2:TGID_X_EN: 1
; COMPUTE_PGM_RSRC2:TGID_Y_EN: 1
; COMPUTE_PGM_RSRC2:TGID_Z_EN: 1
; COMPUTE_PGM_RSRC2:TIDIG_COMP_CNT: 0
; COMPUTE_PGM_RSRC3_GFX90A:ACCUM_OFFSET: 9
; COMPUTE_PGM_RSRC3_GFX90A:TG_SPLIT: 0
	.section	.text._ZN2at6native12compute_modeIfLj128EEEvPKT_NS_4cuda6detail10TensorInfoIS2_jEENS7_IljEEll,"axG",@progbits,_ZN2at6native12compute_modeIfLj128EEEvPKT_NS_4cuda6detail10TensorInfoIS2_jEENS7_IljEEll,comdat
	.protected	_ZN2at6native12compute_modeIfLj128EEEvPKT_NS_4cuda6detail10TensorInfoIS2_jEENS7_IljEEll ; -- Begin function _ZN2at6native12compute_modeIfLj128EEEvPKT_NS_4cuda6detail10TensorInfoIS2_jEENS7_IljEEll
	.globl	_ZN2at6native12compute_modeIfLj128EEEvPKT_NS_4cuda6detail10TensorInfoIS2_jEENS7_IljEEll
	.p2align	8
	.type	_ZN2at6native12compute_modeIfLj128EEEvPKT_NS_4cuda6detail10TensorInfoIS2_jEENS7_IljEEll,@function
_ZN2at6native12compute_modeIfLj128EEEvPKT_NS_4cuda6detail10TensorInfoIS2_jEENS7_IljEEll: ; @_ZN2at6native12compute_modeIfLj128EEEvPKT_NS_4cuda6detail10TensorInfoIS2_jEENS7_IljEEll
; %bb.0:
	s_load_dwordx4 s[16:19], s[4:5], 0x1b8
	s_load_dwordx2 s[2:3], s[4:5], 0x1c8
	s_add_u32 s0, s4, 0x1c8
	s_addc_u32 s1, s5, 0
	s_mov_b32 s15, 0
	s_waitcnt lgkmcnt(0)
	v_mov_b32_e32 v2, s18
	s_mul_i32 s3, s3, s8
	s_add_i32 s3, s3, s7
	s_mul_i32 s2, s3, s2
	v_mov_b32_e32 v3, s19
	s_add_i32 s14, s2, s6
	v_cmp_ge_i64_e32 vcc, s[14:15], v[2:3]
	s_cbranch_vccnz .LBB95_182
; %bb.1:
	s_load_dwordx2 s[18:19], s[4:5], 0x0
	s_load_dword s6, s[0:1], 0xc
	v_mov_b32_e32 v3, 0
	v_mov_b32_e32 v1, v3
	s_mul_i32 s15, s14, s16
	v_cmp_gt_i64_e32 vcc, s[16:17], v[0:1]
	s_and_saveexec_b64 s[2:3], vcc
	s_cbranch_execz .LBB95_3
; %bb.2:
	v_add_u32_e32 v2, s15, v0
	v_lshlrev_b64 v[4:5], 2, v[2:3]
	s_waitcnt lgkmcnt(0)
	v_mov_b32_e32 v1, s19
	v_add_co_u32_e64 v4, s[0:1], s18, v4
	v_addc_co_u32_e64 v5, s[0:1], v1, v5, s[0:1]
	global_load_dword v1, v[4:5], off
	v_lshl_add_u32 v2, v0, 2, 4
	s_waitcnt vmcnt(0)
	ds_write_b32 v2, v1
.LBB95_3:
	s_or_b64 exec, exec, s[2:3]
	s_waitcnt lgkmcnt(0)
	s_and_b32 s20, 0xffff, s6
	v_add_u32_e32 v2, s20, v0
	v_cmp_gt_i64_e64 s[0:1], s[16:17], v[2:3]
	s_and_saveexec_b64 s[6:7], s[0:1]
	s_cbranch_execz .LBB95_5
; %bb.4:
	v_add_u32_e32 v4, s15, v2
	v_mov_b32_e32 v5, 0
	v_lshlrev_b64 v[4:5], 2, v[4:5]
	v_mov_b32_e32 v1, s19
	v_add_co_u32_e64 v4, s[2:3], s18, v4
	v_addc_co_u32_e64 v5, s[2:3], v1, v5, s[2:3]
	global_load_dword v1, v[4:5], off
	v_lshl_add_u32 v2, v2, 2, 4
	s_waitcnt vmcnt(0)
	ds_write_b32 v2, v1
.LBB95_5:
	s_or_b64 exec, exec, s[6:7]
	v_add_u32_e32 v1, 4, v0
	v_cndmask_b32_e64 v2, 0, 1, vcc
	ds_write_b8 v1, v2 offset:512
	v_add_u32_e32 v2, s20, v1
	v_cndmask_b32_e64 v3, 0, 1, s[0:1]
	v_mad_u32_u24 v1, v0, 7, v1
	ds_write_b8 v2, v3 offset:512
	s_waitcnt lgkmcnt(0)
	s_barrier
	s_barrier
	ds_read2_b32 v[4:5], v1 offset1:1
	s_mov_b32 s6, 1
	v_mul_i32_i24_e32 v3, -6, v0
	s_waitcnt lgkmcnt(0)
	v_cmp_nlt_f32_e64 s[0:1], v4, v5
	v_cmp_lt_f32_e32 vcc, v4, v5
	s_and_saveexec_b64 s[2:3], vcc
	s_cbranch_execz .LBB95_7
; %bb.6:
	v_add_u32_e32 v2, v1, v3
	ds_read_u8 v2, v2 offset:512
	s_andn2_b64 s[0:1], s[0:1], exec
	s_waitcnt lgkmcnt(0)
	v_and_b32_e32 v2, 1, v2
	v_cmp_eq_u32_e32 vcc, 1, v2
	s_xor_b64 s[8:9], vcc, -1
	s_and_b64 s[8:9], s[8:9], exec
	s_or_b64 s[0:1], s[0:1], s[8:9]
.LBB95_7:
	s_or_b64 exec, exec, s[2:3]
	v_lshlrev_b32_e32 v2, 1, v0
	v_mov_b32_e32 v8, s6
	v_add_u32_e32 v6, 4, v2
	s_and_saveexec_b64 s[2:3], s[0:1]
	s_cbranch_execz .LBB95_9
; %bb.8:
	ds_read_u8 v7, v6 offset:513
	s_waitcnt lgkmcnt(0)
	v_xor_b32_e32 v8, 1, v7
.LBB95_9:
	s_or_b64 exec, exec, s[2:3]
	v_and_b32_e32 v7, 1, v0
	v_cmp_eq_u32_e32 vcc, v8, v7
	s_and_saveexec_b64 s[0:1], vcc
	s_cbranch_execz .LBB95_11
; %bb.10:
	v_add_u32_e32 v9, v1, v3
	ds_read_u8 v10, v6 offset:513
	ds_read_u8 v11, v9 offset:512
	ds_write2_b32 v1, v5, v4 offset1:1
	s_waitcnt lgkmcnt(2)
	ds_write_b8 v9, v10 offset:512
	s_waitcnt lgkmcnt(2)
	ds_write_b8 v6, v11 offset:513
.LBB95_11:
	s_or_b64 exec, exec, s[0:1]
	v_sub_u32_e32 v9, v2, v7
	v_add_u32_e32 v7, 4, v9
	v_lshl_add_u32 v8, v9, 2, 4
	v_mad_i32_i24 v5, v9, 3, v7
	s_waitcnt lgkmcnt(0)
	s_barrier
	ds_read_b32 v4, v8
	ds_read_b32 v5, v5 offset:8
	s_mov_b64 s[0:1], -1
                                        ; implicit-def: $sgpr6
	s_waitcnt lgkmcnt(0)
	v_cmp_lt_f32_e32 vcc, v4, v5
	s_and_saveexec_b64 s[2:3], vcc
	s_xor_b64 s[2:3], exec, s[2:3]
	s_cbranch_execz .LBB95_13
; %bb.12:
	ds_read_u8 v10, v7 offset:512
	s_mov_b32 s6, 1
	s_waitcnt lgkmcnt(0)
	v_and_b32_e32 v10, 1, v10
	v_cmp_eq_u32_e32 vcc, 1, v10
	s_xor_b64 s[0:1], vcc, -1
	s_orn2_b64 s[0:1], s[0:1], exec
.LBB95_13:
	s_or_b64 exec, exec, s[2:3]
	v_mul_i32_i24_e32 v9, 3, v9
	v_mov_b32_e32 v11, s6
	s_and_saveexec_b64 s[2:3], s[0:1]
	s_cbranch_execz .LBB95_15
; %bb.14:
	ds_read_u8 v10, v7 offset:514
	s_waitcnt lgkmcnt(0)
	v_xor_b32_e32 v11, 1, v10
.LBB95_15:
	s_or_b64 exec, exec, s[2:3]
	v_bfe_u32 v10, v0, 1, 1
	v_cmp_eq_u32_e32 vcc, v11, v10
	v_add_u32_e32 v9, v7, v9
	s_and_saveexec_b64 s[0:1], vcc
	s_cbranch_execz .LBB95_17
; %bb.16:
	ds_read_u8 v11, v7 offset:514
	ds_read_u8 v12, v7 offset:512
	ds_write_b32 v8, v5
	ds_write_b32 v9, v4 offset:8
	s_waitcnt lgkmcnt(3)
	ds_write_b8 v7, v11 offset:512
	s_waitcnt lgkmcnt(3)
	ds_write_b8 v7, v12 offset:514
.LBB95_17:
	s_or_b64 exec, exec, s[0:1]
	s_waitcnt lgkmcnt(0)
	s_barrier
	ds_read2_b32 v[4:5], v1 offset1:1
                                        ; implicit-def: $sgpr6
	s_waitcnt lgkmcnt(0)
	v_cmp_nlt_f32_e64 s[0:1], v4, v5
	v_cmp_lt_f32_e32 vcc, v4, v5
	s_and_saveexec_b64 s[2:3], vcc
	s_cbranch_execnz .LBB95_183
; %bb.18:
	s_or_b64 exec, exec, s[2:3]
	v_mov_b32_e32 v11, s6
	s_and_saveexec_b64 s[2:3], s[0:1]
	s_cbranch_execnz .LBB95_184
.LBB95_19:
	s_or_b64 exec, exec, s[2:3]
	v_cmp_eq_u32_e32 vcc, v11, v10
	s_and_saveexec_b64 s[0:1], vcc
	s_cbranch_execz .LBB95_21
.LBB95_20:
	v_add_u32_e32 v11, v1, v3
	ds_read_u8 v12, v6 offset:513
	ds_read_u8 v13, v11 offset:512
	ds_write2_b32 v1, v5, v4 offset1:1
	s_waitcnt lgkmcnt(2)
	ds_write_b8 v11, v12 offset:512
	s_waitcnt lgkmcnt(2)
	ds_write_b8 v6, v13 offset:513
.LBB95_21:
	s_or_b64 exec, exec, s[0:1]
	v_and_b32_e32 v4, 3, v0
	v_sub_u32_e32 v12, v2, v4
	v_add_u32_e32 v10, 4, v12
	v_lshl_add_u32 v11, v12, 2, 4
	v_mad_i32_i24 v5, v12, 3, v10
	s_waitcnt lgkmcnt(0)
	s_barrier
	ds_read_b32 v4, v11
	ds_read_b32 v5, v5 offset:16
                                        ; implicit-def: $sgpr6
	s_waitcnt lgkmcnt(0)
	v_cmp_nlt_f32_e64 s[0:1], v4, v5
	v_cmp_lt_f32_e32 vcc, v4, v5
	s_and_saveexec_b64 s[2:3], vcc
	s_cbranch_execz .LBB95_23
; %bb.22:
	ds_read_u8 v13, v10 offset:512
	s_andn2_b64 s[0:1], s[0:1], exec
	s_mov_b32 s6, 1
	s_waitcnt lgkmcnt(0)
	v_and_b32_e32 v13, 1, v13
	v_cmp_eq_u32_e32 vcc, 1, v13
	s_xor_b64 s[8:9], vcc, -1
	s_and_b64 s[8:9], s[8:9], exec
	s_or_b64 s[0:1], s[0:1], s[8:9]
.LBB95_23:
	s_or_b64 exec, exec, s[2:3]
	v_mul_i32_i24_e32 v12, 3, v12
	v_mov_b32_e32 v14, s6
	s_and_saveexec_b64 s[2:3], s[0:1]
	s_cbranch_execz .LBB95_25
; %bb.24:
	ds_read_u8 v13, v10 offset:516
	s_waitcnt lgkmcnt(0)
	v_xor_b32_e32 v14, 1, v13
.LBB95_25:
	s_or_b64 exec, exec, s[2:3]
	v_bfe_u32 v13, v0, 2, 1
	v_cmp_eq_u32_e32 vcc, v14, v13
	v_add_u32_e32 v12, v10, v12
	s_and_saveexec_b64 s[0:1], vcc
	s_cbranch_execz .LBB95_27
; %bb.26:
	ds_read_u8 v14, v10 offset:516
	ds_read_u8 v15, v10 offset:512
	ds_write_b32 v11, v5
	ds_write_b32 v12, v4 offset:16
	s_waitcnt lgkmcnt(3)
	ds_write_b8 v10, v14 offset:512
	s_waitcnt lgkmcnt(3)
	ds_write_b8 v10, v15 offset:516
.LBB95_27:
	s_or_b64 exec, exec, s[0:1]
	s_waitcnt lgkmcnt(0)
	s_barrier
	ds_read_b32 v4, v8
	ds_read_b32 v5, v9 offset:8
                                        ; implicit-def: $sgpr6
	s_waitcnt lgkmcnt(0)
	v_cmp_nlt_f32_e64 s[0:1], v4, v5
	v_cmp_lt_f32_e32 vcc, v4, v5
	s_and_saveexec_b64 s[2:3], vcc
	s_cbranch_execnz .LBB95_185
; %bb.28:
	s_or_b64 exec, exec, s[2:3]
	v_mov_b32_e32 v14, s6
	s_and_saveexec_b64 s[2:3], s[0:1]
	s_cbranch_execnz .LBB95_186
.LBB95_29:
	s_or_b64 exec, exec, s[2:3]
	v_cmp_eq_u32_e32 vcc, v14, v13
	s_and_saveexec_b64 s[0:1], vcc
	s_cbranch_execz .LBB95_31
.LBB95_30:
	ds_read_u8 v14, v7 offset:514
	ds_read_u8 v15, v7 offset:512
	ds_write_b32 v8, v5
	ds_write_b32 v9, v4 offset:8
	s_waitcnt lgkmcnt(3)
	ds_write_b8 v7, v14 offset:512
	s_waitcnt lgkmcnt(3)
	ds_write_b8 v7, v15 offset:514
.LBB95_31:
	s_or_b64 exec, exec, s[0:1]
	s_waitcnt lgkmcnt(0)
	s_barrier
	ds_read2_b32 v[4:5], v1 offset1:1
                                        ; implicit-def: $sgpr6
	s_waitcnt lgkmcnt(0)
	v_cmp_nlt_f32_e64 s[0:1], v4, v5
	v_cmp_lt_f32_e32 vcc, v4, v5
	s_and_saveexec_b64 s[2:3], vcc
	s_cbranch_execnz .LBB95_187
; %bb.32:
	s_or_b64 exec, exec, s[2:3]
	v_mov_b32_e32 v14, s6
	s_and_saveexec_b64 s[2:3], s[0:1]
	s_cbranch_execnz .LBB95_188
.LBB95_33:
	s_or_b64 exec, exec, s[2:3]
	v_cmp_eq_u32_e32 vcc, v14, v13
	s_and_saveexec_b64 s[0:1], vcc
	s_cbranch_execz .LBB95_35
.LBB95_34:
	v_add_u32_e32 v13, v1, v3
	ds_read_u8 v15, v6 offset:513
	ds_read_u8 v16, v13 offset:512
	ds_write2_b32 v1, v5, v4 offset1:1
	s_waitcnt lgkmcnt(2)
	ds_write_b8 v13, v15 offset:512
	s_waitcnt lgkmcnt(2)
	ds_write_b8 v6, v16 offset:513
.LBB95_35:
	s_or_b64 exec, exec, s[0:1]
	v_and_b32_e32 v4, 7, v0
	v_sub_u32_e32 v15, v2, v4
	v_add_u32_e32 v13, 4, v15
	v_lshl_add_u32 v14, v15, 2, 4
	v_mad_i32_i24 v5, v15, 3, v13
	s_waitcnt lgkmcnt(0)
	s_barrier
	ds_read_b32 v4, v14
	ds_read_b32 v5, v5 offset:32
                                        ; implicit-def: $sgpr6
	s_waitcnt lgkmcnt(0)
	v_cmp_nlt_f32_e64 s[0:1], v4, v5
	v_cmp_lt_f32_e32 vcc, v4, v5
	s_and_saveexec_b64 s[2:3], vcc
	s_cbranch_execz .LBB95_37
; %bb.36:
	ds_read_u8 v16, v13 offset:512
	s_andn2_b64 s[0:1], s[0:1], exec
	s_mov_b32 s6, 1
	s_waitcnt lgkmcnt(0)
	v_and_b32_e32 v16, 1, v16
	v_cmp_eq_u32_e32 vcc, 1, v16
	s_xor_b64 s[8:9], vcc, -1
	s_and_b64 s[8:9], s[8:9], exec
	s_or_b64 s[0:1], s[0:1], s[8:9]
.LBB95_37:
	s_or_b64 exec, exec, s[2:3]
	v_mul_i32_i24_e32 v15, 3, v15
	v_mov_b32_e32 v17, s6
	s_and_saveexec_b64 s[2:3], s[0:1]
	s_cbranch_execz .LBB95_39
; %bb.38:
	ds_read_u8 v16, v13 offset:520
	s_waitcnt lgkmcnt(0)
	v_xor_b32_e32 v17, 1, v16
.LBB95_39:
	s_or_b64 exec, exec, s[2:3]
	v_bfe_u32 v16, v0, 3, 1
	v_cmp_eq_u32_e32 vcc, v17, v16
	v_add_u32_e32 v15, v13, v15
	s_and_saveexec_b64 s[0:1], vcc
	s_cbranch_execz .LBB95_41
; %bb.40:
	ds_read_u8 v17, v13 offset:520
	ds_read_u8 v18, v13 offset:512
	ds_write_b32 v14, v5
	ds_write_b32 v15, v4 offset:32
	s_waitcnt lgkmcnt(3)
	ds_write_b8 v13, v17 offset:512
	s_waitcnt lgkmcnt(3)
	ds_write_b8 v13, v18 offset:520
.LBB95_41:
	s_or_b64 exec, exec, s[0:1]
	s_waitcnt lgkmcnt(0)
	s_barrier
	ds_read_b32 v4, v11
	ds_read_b32 v5, v12 offset:16
                                        ; implicit-def: $sgpr6
	s_waitcnt lgkmcnt(0)
	v_cmp_nlt_f32_e64 s[0:1], v4, v5
	v_cmp_lt_f32_e32 vcc, v4, v5
	s_and_saveexec_b64 s[2:3], vcc
	s_cbranch_execnz .LBB95_189
; %bb.42:
	s_or_b64 exec, exec, s[2:3]
	v_mov_b32_e32 v17, s6
	s_and_saveexec_b64 s[2:3], s[0:1]
	s_cbranch_execnz .LBB95_190
.LBB95_43:
	s_or_b64 exec, exec, s[2:3]
	v_cmp_eq_u32_e32 vcc, v17, v16
	s_and_saveexec_b64 s[0:1], vcc
	s_cbranch_execz .LBB95_45
.LBB95_44:
	ds_read_u8 v17, v10 offset:516
	ds_read_u8 v18, v10 offset:512
	ds_write_b32 v11, v5
	ds_write_b32 v12, v4 offset:16
	s_waitcnt lgkmcnt(3)
	ds_write_b8 v10, v17 offset:512
	s_waitcnt lgkmcnt(3)
	ds_write_b8 v10, v18 offset:516
.LBB95_45:
	s_or_b64 exec, exec, s[0:1]
	s_waitcnt lgkmcnt(0)
	s_barrier
	ds_read_b32 v4, v8
	ds_read_b32 v5, v9 offset:8
                                        ; implicit-def: $sgpr6
	s_waitcnt lgkmcnt(0)
	v_cmp_nlt_f32_e64 s[0:1], v4, v5
	v_cmp_lt_f32_e32 vcc, v4, v5
	s_and_saveexec_b64 s[2:3], vcc
	s_cbranch_execnz .LBB95_191
; %bb.46:
	s_or_b64 exec, exec, s[2:3]
	v_mov_b32_e32 v17, s6
	s_and_saveexec_b64 s[2:3], s[0:1]
	s_cbranch_execnz .LBB95_192
.LBB95_47:
	s_or_b64 exec, exec, s[2:3]
	v_cmp_eq_u32_e32 vcc, v17, v16
	s_and_saveexec_b64 s[0:1], vcc
	s_cbranch_execz .LBB95_49
.LBB95_48:
	ds_read_u8 v17, v7 offset:514
	ds_read_u8 v18, v7 offset:512
	ds_write_b32 v8, v5
	ds_write_b32 v9, v4 offset:8
	s_waitcnt lgkmcnt(3)
	ds_write_b8 v7, v17 offset:512
	s_waitcnt lgkmcnt(3)
	ds_write_b8 v7, v18 offset:514
.LBB95_49:
	s_or_b64 exec, exec, s[0:1]
	s_waitcnt lgkmcnt(0)
	s_barrier
	ds_read2_b32 v[4:5], v1 offset1:1
                                        ; implicit-def: $sgpr6
	s_waitcnt lgkmcnt(0)
	v_cmp_nlt_f32_e64 s[0:1], v4, v5
	v_cmp_lt_f32_e32 vcc, v4, v5
	s_and_saveexec_b64 s[2:3], vcc
	s_cbranch_execnz .LBB95_193
; %bb.50:
	s_or_b64 exec, exec, s[2:3]
	v_mov_b32_e32 v17, s6
	s_and_saveexec_b64 s[2:3], s[0:1]
	s_cbranch_execnz .LBB95_194
.LBB95_51:
	s_or_b64 exec, exec, s[2:3]
	v_cmp_eq_u32_e32 vcc, v17, v16
	s_and_saveexec_b64 s[0:1], vcc
	s_cbranch_execz .LBB95_53
.LBB95_52:
	v_add_u32_e32 v17, v1, v3
	ds_read_u8 v18, v6 offset:513
	ds_read_u8 v19, v17 offset:512
	ds_write2_b32 v1, v5, v4 offset1:1
	s_waitcnt lgkmcnt(2)
	ds_write_b8 v17, v18 offset:512
	s_waitcnt lgkmcnt(2)
	ds_write_b8 v6, v19 offset:513
.LBB95_53:
	s_or_b64 exec, exec, s[0:1]
	v_and_b32_e32 v4, 15, v0
	v_sub_u32_e32 v16, v2, v4
	v_add_u32_e32 v17, 4, v16
	v_lshl_add_u32 v18, v16, 2, 4
	v_mad_i32_i24 v5, v16, 3, v17
	s_waitcnt lgkmcnt(0)
	s_barrier
	ds_read_b32 v4, v18
	ds_read_b32 v5, v5 offset:64
                                        ; implicit-def: $sgpr6
	s_waitcnt lgkmcnt(0)
	v_cmp_nlt_f32_e64 s[0:1], v4, v5
	v_cmp_lt_f32_e32 vcc, v4, v5
	s_and_saveexec_b64 s[2:3], vcc
	s_cbranch_execz .LBB95_55
; %bb.54:
	ds_read_u8 v19, v17 offset:512
	s_andn2_b64 s[0:1], s[0:1], exec
	s_mov_b32 s6, 1
	s_waitcnt lgkmcnt(0)
	v_and_b32_e32 v19, 1, v19
	v_cmp_eq_u32_e32 vcc, 1, v19
	s_xor_b64 s[8:9], vcc, -1
	s_and_b64 s[8:9], s[8:9], exec
	s_or_b64 s[0:1], s[0:1], s[8:9]
.LBB95_55:
	s_or_b64 exec, exec, s[2:3]
	v_mul_i32_i24_e32 v19, 3, v16
	v_mov_b32_e32 v20, s6
	s_and_saveexec_b64 s[2:3], s[0:1]
	s_cbranch_execz .LBB95_57
; %bb.56:
	ds_read_u8 v16, v17 offset:528
	s_waitcnt lgkmcnt(0)
	v_xor_b32_e32 v20, 1, v16
.LBB95_57:
	s_or_b64 exec, exec, s[2:3]
	v_bfe_u32 v16, v0, 4, 1
	v_cmp_eq_u32_e32 vcc, v20, v16
	v_add_u32_e32 v19, v17, v19
	s_and_saveexec_b64 s[0:1], vcc
	s_cbranch_execz .LBB95_59
; %bb.58:
	ds_read_u8 v20, v17 offset:528
	ds_read_u8 v21, v17 offset:512
	ds_write_b32 v18, v5
	ds_write_b32 v19, v4 offset:64
	s_waitcnt lgkmcnt(3)
	ds_write_b8 v17, v20 offset:512
	s_waitcnt lgkmcnt(3)
	ds_write_b8 v17, v21 offset:528
.LBB95_59:
	s_or_b64 exec, exec, s[0:1]
	s_waitcnt lgkmcnt(0)
	s_barrier
	ds_read_b32 v4, v14
	ds_read_b32 v5, v15 offset:32
                                        ; implicit-def: $sgpr6
	s_waitcnt lgkmcnt(0)
	v_cmp_nlt_f32_e64 s[0:1], v4, v5
	v_cmp_lt_f32_e32 vcc, v4, v5
	s_and_saveexec_b64 s[2:3], vcc
	s_cbranch_execnz .LBB95_195
; %bb.60:
	s_or_b64 exec, exec, s[2:3]
	v_mov_b32_e32 v20, s6
	s_and_saveexec_b64 s[2:3], s[0:1]
	s_cbranch_execnz .LBB95_196
.LBB95_61:
	s_or_b64 exec, exec, s[2:3]
	v_cmp_eq_u32_e32 vcc, v20, v16
	s_and_saveexec_b64 s[0:1], vcc
	s_cbranch_execz .LBB95_63
.LBB95_62:
	ds_read_u8 v20, v13 offset:520
	ds_read_u8 v21, v13 offset:512
	ds_write_b32 v14, v5
	ds_write_b32 v15, v4 offset:32
	s_waitcnt lgkmcnt(3)
	ds_write_b8 v13, v20 offset:512
	s_waitcnt lgkmcnt(3)
	ds_write_b8 v13, v21 offset:520
.LBB95_63:
	s_or_b64 exec, exec, s[0:1]
	s_waitcnt lgkmcnt(0)
	s_barrier
	ds_read_b32 v4, v11
	ds_read_b32 v5, v12 offset:16
                                        ; implicit-def: $sgpr6
	s_waitcnt lgkmcnt(0)
	v_cmp_nlt_f32_e64 s[0:1], v4, v5
	v_cmp_lt_f32_e32 vcc, v4, v5
	s_and_saveexec_b64 s[2:3], vcc
	s_cbranch_execnz .LBB95_197
; %bb.64:
	s_or_b64 exec, exec, s[2:3]
	v_mov_b32_e32 v20, s6
	s_and_saveexec_b64 s[2:3], s[0:1]
	s_cbranch_execnz .LBB95_198
.LBB95_65:
	s_or_b64 exec, exec, s[2:3]
	v_cmp_eq_u32_e32 vcc, v20, v16
	s_and_saveexec_b64 s[0:1], vcc
	s_cbranch_execz .LBB95_67
.LBB95_66:
	ds_read_u8 v20, v10 offset:516
	ds_read_u8 v21, v10 offset:512
	ds_write_b32 v11, v5
	ds_write_b32 v12, v4 offset:16
	s_waitcnt lgkmcnt(3)
	ds_write_b8 v10, v20 offset:512
	s_waitcnt lgkmcnt(3)
	ds_write_b8 v10, v21 offset:516
.LBB95_67:
	s_or_b64 exec, exec, s[0:1]
	s_waitcnt lgkmcnt(0)
	s_barrier
	ds_read_b32 v4, v8
	ds_read_b32 v5, v9 offset:8
                                        ; implicit-def: $sgpr6
	s_waitcnt lgkmcnt(0)
	v_cmp_nlt_f32_e64 s[0:1], v4, v5
	v_cmp_lt_f32_e32 vcc, v4, v5
	s_and_saveexec_b64 s[2:3], vcc
	s_cbranch_execnz .LBB95_199
; %bb.68:
	s_or_b64 exec, exec, s[2:3]
	v_mov_b32_e32 v20, s6
	s_and_saveexec_b64 s[2:3], s[0:1]
	s_cbranch_execnz .LBB95_200
.LBB95_69:
	s_or_b64 exec, exec, s[2:3]
	v_cmp_eq_u32_e32 vcc, v20, v16
	s_and_saveexec_b64 s[0:1], vcc
	s_cbranch_execz .LBB95_71
.LBB95_70:
	ds_read_u8 v20, v7 offset:514
	ds_read_u8 v21, v7 offset:512
	ds_write_b32 v8, v5
	ds_write_b32 v9, v4 offset:8
	s_waitcnt lgkmcnt(3)
	ds_write_b8 v7, v20 offset:512
	s_waitcnt lgkmcnt(3)
	ds_write_b8 v7, v21 offset:514
.LBB95_71:
	s_or_b64 exec, exec, s[0:1]
	s_waitcnt lgkmcnt(0)
	s_barrier
	ds_read2_b32 v[4:5], v1 offset1:1
                                        ; implicit-def: $sgpr6
	s_waitcnt lgkmcnt(0)
	v_cmp_nlt_f32_e64 s[0:1], v4, v5
	v_cmp_lt_f32_e32 vcc, v4, v5
	s_and_saveexec_b64 s[2:3], vcc
	s_cbranch_execnz .LBB95_201
; %bb.72:
	s_or_b64 exec, exec, s[2:3]
	v_mov_b32_e32 v20, s6
	s_and_saveexec_b64 s[2:3], s[0:1]
	s_cbranch_execnz .LBB95_202
.LBB95_73:
	s_or_b64 exec, exec, s[2:3]
	v_cmp_eq_u32_e32 vcc, v20, v16
	s_and_saveexec_b64 s[0:1], vcc
	s_cbranch_execz .LBB95_75
.LBB95_74:
	v_add_u32_e32 v20, v1, v3
	ds_read_u8 v21, v6 offset:513
	ds_read_u8 v22, v20 offset:512
	ds_write2_b32 v1, v5, v4 offset1:1
	s_waitcnt lgkmcnt(2)
	ds_write_b8 v20, v21 offset:512
	s_waitcnt lgkmcnt(2)
	ds_write_b8 v6, v22 offset:513
.LBB95_75:
	s_or_b64 exec, exec, s[0:1]
	v_and_b32_e32 v4, 31, v0
	v_sub_u32_e32 v16, v2, v4
	v_add_u32_e32 v20, 4, v16
	v_lshl_add_u32 v21, v16, 2, 4
	v_mad_i32_i24 v5, v16, 3, v20
	s_waitcnt lgkmcnt(0)
	s_barrier
	ds_read_b32 v4, v21
	ds_read_b32 v5, v5 offset:128
                                        ; implicit-def: $sgpr6
	s_waitcnt lgkmcnt(0)
	v_cmp_nlt_f32_e64 s[0:1], v4, v5
	v_cmp_lt_f32_e32 vcc, v4, v5
	s_and_saveexec_b64 s[2:3], vcc
	s_cbranch_execz .LBB95_77
; %bb.76:
	ds_read_u8 v22, v20 offset:512
	s_andn2_b64 s[0:1], s[0:1], exec
	s_mov_b32 s6, 1
	s_waitcnt lgkmcnt(0)
	v_and_b32_e32 v22, 1, v22
	v_cmp_eq_u32_e32 vcc, 1, v22
	s_xor_b64 s[8:9], vcc, -1
	s_and_b64 s[8:9], s[8:9], exec
	s_or_b64 s[0:1], s[0:1], s[8:9]
.LBB95_77:
	s_or_b64 exec, exec, s[2:3]
	v_mul_i32_i24_e32 v22, 3, v16
	v_mov_b32_e32 v23, s6
	s_and_saveexec_b64 s[2:3], s[0:1]
	s_cbranch_execz .LBB95_79
; %bb.78:
	ds_read_u8 v16, v20 offset:544
	s_waitcnt lgkmcnt(0)
	v_xor_b32_e32 v23, 1, v16
.LBB95_79:
	s_or_b64 exec, exec, s[2:3]
	v_bfe_u32 v16, v0, 5, 1
	v_cmp_eq_u32_e32 vcc, v23, v16
	v_add_u32_e32 v22, v20, v22
	s_and_saveexec_b64 s[0:1], vcc
	s_cbranch_execz .LBB95_81
; %bb.80:
	ds_read_u8 v23, v20 offset:544
	ds_read_u8 v24, v20 offset:512
	ds_write_b32 v21, v5
	ds_write_b32 v22, v4 offset:128
	s_waitcnt lgkmcnt(3)
	ds_write_b8 v20, v23 offset:512
	s_waitcnt lgkmcnt(3)
	ds_write_b8 v20, v24 offset:544
.LBB95_81:
	s_or_b64 exec, exec, s[0:1]
	s_waitcnt lgkmcnt(0)
	s_barrier
	ds_read_b32 v4, v18
	ds_read_b32 v5, v19 offset:64
                                        ; implicit-def: $sgpr6
	s_waitcnt lgkmcnt(0)
	v_cmp_nlt_f32_e64 s[0:1], v4, v5
	v_cmp_lt_f32_e32 vcc, v4, v5
	s_and_saveexec_b64 s[2:3], vcc
	s_cbranch_execnz .LBB95_203
; %bb.82:
	s_or_b64 exec, exec, s[2:3]
	v_mov_b32_e32 v23, s6
	s_and_saveexec_b64 s[2:3], s[0:1]
	s_cbranch_execnz .LBB95_204
.LBB95_83:
	s_or_b64 exec, exec, s[2:3]
	v_cmp_eq_u32_e32 vcc, v23, v16
	s_and_saveexec_b64 s[0:1], vcc
	s_cbranch_execz .LBB95_85
.LBB95_84:
	ds_read_u8 v23, v17 offset:528
	ds_read_u8 v24, v17 offset:512
	ds_write_b32 v18, v5
	ds_write_b32 v19, v4 offset:64
	s_waitcnt lgkmcnt(3)
	ds_write_b8 v17, v23 offset:512
	s_waitcnt lgkmcnt(3)
	ds_write_b8 v17, v24 offset:528
.LBB95_85:
	s_or_b64 exec, exec, s[0:1]
	s_waitcnt lgkmcnt(0)
	s_barrier
	ds_read_b32 v4, v14
	ds_read_b32 v5, v15 offset:32
                                        ; implicit-def: $sgpr6
	s_waitcnt lgkmcnt(0)
	v_cmp_nlt_f32_e64 s[0:1], v4, v5
	v_cmp_lt_f32_e32 vcc, v4, v5
	s_and_saveexec_b64 s[2:3], vcc
	s_cbranch_execnz .LBB95_205
; %bb.86:
	s_or_b64 exec, exec, s[2:3]
	v_mov_b32_e32 v23, s6
	s_and_saveexec_b64 s[2:3], s[0:1]
	s_cbranch_execnz .LBB95_206
.LBB95_87:
	s_or_b64 exec, exec, s[2:3]
	v_cmp_eq_u32_e32 vcc, v23, v16
	s_and_saveexec_b64 s[0:1], vcc
	s_cbranch_execz .LBB95_89
.LBB95_88:
	ds_read_u8 v23, v13 offset:520
	ds_read_u8 v24, v13 offset:512
	ds_write_b32 v14, v5
	ds_write_b32 v15, v4 offset:32
	s_waitcnt lgkmcnt(3)
	ds_write_b8 v13, v23 offset:512
	s_waitcnt lgkmcnt(3)
	ds_write_b8 v13, v24 offset:520
.LBB95_89:
	s_or_b64 exec, exec, s[0:1]
	s_waitcnt lgkmcnt(0)
	s_barrier
	ds_read_b32 v4, v11
	ds_read_b32 v5, v12 offset:16
                                        ; implicit-def: $sgpr6
	s_waitcnt lgkmcnt(0)
	v_cmp_nlt_f32_e64 s[0:1], v4, v5
	v_cmp_lt_f32_e32 vcc, v4, v5
	s_and_saveexec_b64 s[2:3], vcc
	s_cbranch_execnz .LBB95_207
; %bb.90:
	s_or_b64 exec, exec, s[2:3]
	v_mov_b32_e32 v23, s6
	s_and_saveexec_b64 s[2:3], s[0:1]
	s_cbranch_execnz .LBB95_208
.LBB95_91:
	s_or_b64 exec, exec, s[2:3]
	v_cmp_eq_u32_e32 vcc, v23, v16
	s_and_saveexec_b64 s[0:1], vcc
	s_cbranch_execz .LBB95_93
.LBB95_92:
	ds_read_u8 v23, v10 offset:516
	ds_read_u8 v24, v10 offset:512
	ds_write_b32 v11, v5
	ds_write_b32 v12, v4 offset:16
	s_waitcnt lgkmcnt(3)
	ds_write_b8 v10, v23 offset:512
	s_waitcnt lgkmcnt(3)
	ds_write_b8 v10, v24 offset:516
.LBB95_93:
	s_or_b64 exec, exec, s[0:1]
	s_waitcnt lgkmcnt(0)
	s_barrier
	ds_read_b32 v4, v8
	ds_read_b32 v5, v9 offset:8
                                        ; implicit-def: $sgpr6
	s_waitcnt lgkmcnt(0)
	v_cmp_nlt_f32_e64 s[0:1], v4, v5
	v_cmp_lt_f32_e32 vcc, v4, v5
	s_and_saveexec_b64 s[2:3], vcc
	s_cbranch_execnz .LBB95_209
; %bb.94:
	s_or_b64 exec, exec, s[2:3]
	v_mov_b32_e32 v23, s6
	s_and_saveexec_b64 s[2:3], s[0:1]
	s_cbranch_execnz .LBB95_210
.LBB95_95:
	s_or_b64 exec, exec, s[2:3]
	v_cmp_eq_u32_e32 vcc, v23, v16
	s_and_saveexec_b64 s[0:1], vcc
	s_cbranch_execz .LBB95_97
.LBB95_96:
	ds_read_u8 v23, v7 offset:514
	ds_read_u8 v24, v7 offset:512
	ds_write_b32 v8, v5
	ds_write_b32 v9, v4 offset:8
	s_waitcnt lgkmcnt(3)
	ds_write_b8 v7, v23 offset:512
	s_waitcnt lgkmcnt(3)
	ds_write_b8 v7, v24 offset:514
.LBB95_97:
	s_or_b64 exec, exec, s[0:1]
	s_waitcnt lgkmcnt(0)
	s_barrier
	ds_read2_b32 v[4:5], v1 offset1:1
                                        ; implicit-def: $sgpr6
	s_waitcnt lgkmcnt(0)
	v_cmp_nlt_f32_e64 s[0:1], v4, v5
	v_cmp_lt_f32_e32 vcc, v4, v5
	s_and_saveexec_b64 s[2:3], vcc
	s_cbranch_execnz .LBB95_211
; %bb.98:
	s_or_b64 exec, exec, s[2:3]
	v_mov_b32_e32 v23, s6
	s_and_saveexec_b64 s[2:3], s[0:1]
	s_cbranch_execnz .LBB95_212
.LBB95_99:
	s_or_b64 exec, exec, s[2:3]
	v_cmp_eq_u32_e32 vcc, v23, v16
	s_and_saveexec_b64 s[0:1], vcc
	s_cbranch_execz .LBB95_101
.LBB95_100:
	v_add_u32_e32 v23, v1, v3
	ds_read_u8 v24, v6 offset:513
	ds_read_u8 v25, v23 offset:512
	ds_write2_b32 v1, v5, v4 offset1:1
	s_waitcnt lgkmcnt(2)
	ds_write_b8 v23, v24 offset:512
	s_waitcnt lgkmcnt(2)
	ds_write_b8 v6, v25 offset:513
.LBB95_101:
	s_or_b64 exec, exec, s[0:1]
	v_and_b32_e32 v16, 63, v0
	v_sub_u32_e32 v24, v2, v16
	v_add_u32_e32 v4, 4, v24
	v_lshl_add_u32 v5, v24, 2, 4
	v_mad_i32_i24 v25, v24, 3, v4
	s_waitcnt lgkmcnt(0)
	s_barrier
	ds_read_b32 v23, v5
	ds_read_b32 v25, v25 offset:256
	s_waitcnt lgkmcnt(0)
	v_cmp_nlt_f32_e64 s[2:3], v23, v25
	v_cmp_lt_f32_e32 vcc, v23, v25
	s_and_saveexec_b64 s[0:1], vcc
	s_cbranch_execz .LBB95_103
; %bb.102:
	ds_read_u8 v26, v4 offset:512
	s_andn2_b64 s[2:3], s[2:3], exec
	s_waitcnt lgkmcnt(0)
	v_and_b32_e32 v26, 1, v26
	v_cmp_eq_u32_e32 vcc, 1, v26
	s_xor_b64 s[6:7], vcc, -1
	s_and_b64 s[6:7], s[6:7], exec
	s_or_b64 s[2:3], s[2:3], s[6:7]
.LBB95_103:
	s_or_b64 exec, exec, s[0:1]
	s_and_saveexec_b64 s[0:1], s[2:3]
	s_cbranch_execz .LBB95_106
; %bb.104:
	ds_read_u8 v26, v4 offset:576
	s_waitcnt lgkmcnt(0)
	v_cmp_ne_u16_e32 vcc, 0, v26
	s_and_b64 exec, exec, vcc
	s_cbranch_execz .LBB95_106
; %bb.105:
	ds_read_u8 v27, v4 offset:512
	v_mul_i32_i24_e32 v24, 3, v24
	ds_write_b32 v5, v25
	v_add_u32_e32 v5, v4, v24
	ds_write_b32 v5, v23 offset:256
	ds_write_b8 v4, v26 offset:512
	s_waitcnt lgkmcnt(3)
	ds_write_b8 v4, v27 offset:576
.LBB95_106:
	s_or_b64 exec, exec, s[0:1]
	s_waitcnt lgkmcnt(0)
	s_barrier
	ds_read_b32 v4, v21
	ds_read_b32 v5, v22 offset:128
	s_waitcnt lgkmcnt(0)
	v_cmp_nlt_f32_e64 s[2:3], v4, v5
	v_cmp_lt_f32_e32 vcc, v4, v5
	s_and_saveexec_b64 s[0:1], vcc
	s_cbranch_execz .LBB95_108
; %bb.107:
	ds_read_u8 v23, v20 offset:512
	s_andn2_b64 s[2:3], s[2:3], exec
	s_waitcnt lgkmcnt(0)
	v_and_b32_e32 v23, 1, v23
	v_cmp_eq_u32_e32 vcc, 1, v23
	s_xor_b64 s[6:7], vcc, -1
	s_and_b64 s[6:7], s[6:7], exec
	s_or_b64 s[2:3], s[2:3], s[6:7]
.LBB95_108:
	s_or_b64 exec, exec, s[0:1]
	s_and_saveexec_b64 s[0:1], s[2:3]
	s_cbranch_execz .LBB95_111
; %bb.109:
	ds_read_u8 v23, v20 offset:544
	s_waitcnt lgkmcnt(0)
	v_cmp_ne_u16_e32 vcc, 0, v23
	s_and_b64 exec, exec, vcc
	s_cbranch_execz .LBB95_111
; %bb.110:
	ds_read_u8 v24, v20 offset:512
	ds_write_b32 v21, v5
	ds_write_b32 v22, v4 offset:128
	ds_write_b8 v20, v23 offset:512
	s_waitcnt lgkmcnt(3)
	ds_write_b8 v20, v24 offset:544
.LBB95_111:
	s_or_b64 exec, exec, s[0:1]
	s_waitcnt lgkmcnt(0)
	s_barrier
	ds_read_b32 v4, v18
	ds_read_b32 v5, v19 offset:64
	s_waitcnt lgkmcnt(0)
	v_cmp_nlt_f32_e64 s[2:3], v4, v5
	v_cmp_lt_f32_e32 vcc, v4, v5
	s_and_saveexec_b64 s[0:1], vcc
	s_cbranch_execz .LBB95_113
; %bb.112:
	ds_read_u8 v20, v17 offset:512
	s_andn2_b64 s[2:3], s[2:3], exec
	s_waitcnt lgkmcnt(0)
	v_and_b32_e32 v20, 1, v20
	v_cmp_eq_u32_e32 vcc, 1, v20
	s_xor_b64 s[6:7], vcc, -1
	s_and_b64 s[6:7], s[6:7], exec
	s_or_b64 s[2:3], s[2:3], s[6:7]
.LBB95_113:
	s_or_b64 exec, exec, s[0:1]
	s_and_saveexec_b64 s[0:1], s[2:3]
	s_cbranch_execz .LBB95_116
; %bb.114:
	ds_read_u8 v20, v17 offset:528
	s_waitcnt lgkmcnt(0)
	v_cmp_ne_u16_e32 vcc, 0, v20
	s_and_b64 exec, exec, vcc
	s_cbranch_execz .LBB95_116
; %bb.115:
	ds_read_u8 v21, v17 offset:512
	ds_write_b32 v18, v5
	ds_write_b32 v19, v4 offset:64
	ds_write_b8 v17, v20 offset:512
	s_waitcnt lgkmcnt(3)
	ds_write_b8 v17, v21 offset:528
.LBB95_116:
	;; [unrolled: 37-line block ×5, first 2 shown]
	s_or_b64 exec, exec, s[0:1]
	s_waitcnt lgkmcnt(0)
	s_barrier
	ds_read2_b32 v[4:5], v1 offset1:1
	s_waitcnt lgkmcnt(0)
	v_cmp_nlt_f32_e64 s[2:3], v4, v5
	v_cmp_lt_f32_e32 vcc, v4, v5
	s_and_saveexec_b64 s[0:1], vcc
	s_cbranch_execz .LBB95_133
; %bb.132:
	v_add_u32_e32 v7, v1, v3
	ds_read_u8 v7, v7 offset:512
	s_andn2_b64 s[2:3], s[2:3], exec
	s_waitcnt lgkmcnt(0)
	v_and_b32_e32 v7, 1, v7
	v_cmp_eq_u32_e32 vcc, 1, v7
	s_xor_b64 s[6:7], vcc, -1
	s_and_b64 s[6:7], s[6:7], exec
	s_or_b64 s[2:3], s[2:3], s[6:7]
.LBB95_133:
	s_or_b64 exec, exec, s[0:1]
	s_and_saveexec_b64 s[0:1], s[2:3]
	s_cbranch_execz .LBB95_136
; %bb.134:
	ds_read_u8 v7, v6 offset:513
	s_waitcnt lgkmcnt(0)
	v_cmp_ne_u16_e32 vcc, 0, v7
	s_and_b64 exec, exec, vcc
	s_cbranch_execz .LBB95_136
; %bb.135:
	v_add_u32_e32 v9, v1, v3
	ds_read_u8 v10, v9 offset:512
	v_mov_b32_e32 v3, v4
	ds_write2_b32 v1, v5, v4 offset1:1
	ds_write_b8 v9, v7 offset:512
	s_waitcnt lgkmcnt(2)
	ds_write_b8 v6, v10 offset:513
.LBB95_136:
	s_or_b64 exec, exec, s[0:1]
	v_cmp_eq_u32_e32 vcc, 0, v0
	s_waitcnt lgkmcnt(0)
	s_barrier
	s_barrier
	s_and_saveexec_b64 s[0:1], vcc
	s_cbranch_execz .LBB95_138
; %bb.137:
	v_mov_b32_e32 v3, 4
	v_mov_b32_e32 v4, 1
	ds_write_b8 v3, v4 offset:516
	v_mov_b32_e32 v4, 0
	ds_write_b32 v3, v4 offset:512
.LBB95_138:
	s_or_b64 exec, exec, s[0:1]
	ds_read2_b32 v[4:5], v1 offset1:1
	s_add_i32 s10, 4, 0x200
	v_lshl_add_u32 v1, v2, 3, s10
	v_cmp_gt_u32_e64 s[2:3], 63, v0
	s_waitcnt lgkmcnt(0)
	v_cmp_neq_f32_e64 s[0:1], v4, v5
	v_cndmask_b32_e64 v3, 0, 1, s[0:1]
	v_cmp_eq_f32_e64 s[0:1], v4, v5
	ds_write_b8 v1, v3 offset:12
	v_cndmask_b32_e64 v3, 0, 1, s[0:1]
	ds_write_b32 v1, v3 offset:8
	s_and_saveexec_b64 s[6:7], s[2:3]
	s_cbranch_execz .LBB95_140
; %bb.139:
	v_lshl_add_u32 v3, v2, 2, 4
	ds_read_b32 v3, v3 offset:8
	s_waitcnt lgkmcnt(0)
	v_cmp_neq_f32_e64 s[0:1], v5, v3
	v_cndmask_b32_e64 v4, 0, 1, s[0:1]
	v_cmp_eq_f32_e64 s[0:1], v5, v3
	v_cndmask_b32_e64 v3, 0, 1, s[0:1]
	ds_write_b8 v1, v4 offset:20
	ds_write_b32 v1, v3 offset:16
.LBB95_140:
	s_or_b64 exec, exec, s[6:7]
	v_cmp_gt_u32_e64 s[0:1], 64, v0
	v_lshl_add_u32 v3, v2, 3, 4
	s_waitcnt lgkmcnt(0)
	s_barrier
	s_and_saveexec_b64 s[8:9], s[0:1]
	s_cbranch_execz .LBB95_142
; %bb.141:
	ds_read_u8 v4, v1 offset:12
	ds_read_b32 v5, v3 offset:512
	ds_read_b32 v6, v1 offset:8
	ds_read_u8 v7, v3 offset:516
	s_waitcnt lgkmcnt(3)
	v_and_b32_e32 v8, 1, v4
	v_cmp_eq_u32_e64 s[6:7], 1, v8
	s_waitcnt lgkmcnt(2)
	v_cndmask_b32_e64 v5, v5, 0, s[6:7]
	s_waitcnt lgkmcnt(0)
	v_or_b32_e32 v4, v7, v4
	v_add_u32_e32 v5, v5, v6
	v_and_b32_e32 v4, 1, v4
	ds_write2_b32 v1, v5, v4 offset0:2 offset1:3
.LBB95_142:
	s_or_b64 exec, exec, s[8:9]
	v_add_u32_e32 v9, 2, v2
	v_lshlrev_b32_e32 v4, 1, v9
	v_add_u32_e32 v5, -1, v4
	v_cmp_gt_u32_e64 s[6:7], 32, v0
	s_waitcnt lgkmcnt(0)
	s_barrier
	s_and_saveexec_b64 s[8:9], s[6:7]
	s_cbranch_execz .LBB95_144
; %bb.143:
	v_lshl_add_u32 v6, v5, 3, 4
	ds_read_u8 v7, v6 offset:516
	v_lshl_add_u32 v8, v4, 3, 4
	ds_read_b32 v10, v8 offset:488
	ds_read_b32 v11, v6 offset:512
	ds_read_u8 v8, v8 offset:492
	s_waitcnt lgkmcnt(3)
	v_and_b32_e32 v12, 1, v7
	v_cmp_eq_u32_e64 s[6:7], 1, v12
	s_waitcnt lgkmcnt(2)
	v_cndmask_b32_e64 v10, v10, 0, s[6:7]
	s_waitcnt lgkmcnt(0)
	v_or_b32_e32 v7, v8, v7
	v_add_u32_e32 v10, v10, v11
	v_and_b32_e32 v7, 1, v7
	ds_write2_b32 v6, v10, v7 offset0:128 offset1:129
.LBB95_144:
	s_or_b64 exec, exec, s[8:9]
	v_lshlrev_b32_e32 v6, 2, v9
	v_add_u32_e32 v5, v5, v4
	v_cmp_gt_u32_e64 s[6:7], 16, v0
	s_waitcnt lgkmcnt(0)
	s_barrier
	s_and_saveexec_b64 s[8:9], s[6:7]
	s_cbranch_execz .LBB95_146
; %bb.145:
	v_lshl_add_u32 v7, v5, 3, 4
	ds_read_u8 v8, v7 offset:516
	v_lshl_add_u32 v10, v6, 3, 4
	ds_read_b32 v11, v10 offset:472
	ds_read_b32 v12, v7 offset:512
	ds_read_u8 v10, v10 offset:476
	s_waitcnt lgkmcnt(3)
	v_and_b32_e32 v13, 1, v8
	v_cmp_eq_u32_e64 s[6:7], 1, v13
	s_waitcnt lgkmcnt(2)
	v_cndmask_b32_e64 v11, v11, 0, s[6:7]
	s_waitcnt lgkmcnt(0)
	v_or_b32_e32 v8, v10, v8
	v_add_u32_e32 v11, v11, v12
	v_and_b32_e32 v8, 1, v8
	ds_write2_b32 v7, v11, v8 offset0:128 offset1:129
.LBB95_146:
	s_or_b64 exec, exec, s[8:9]
	v_lshlrev_b32_e32 v8, 3, v9
	v_add_u32_e32 v7, v5, v6
	;; [unrolled: 26-line block ×3, first 2 shown]
	v_cmp_gt_u32_e64 s[6:7], 4, v0
	s_waitcnt lgkmcnt(0)
	s_barrier
	s_and_saveexec_b64 s[8:9], s[6:7]
	s_cbranch_execz .LBB95_150
; %bb.149:
	v_lshl_add_u32 v12, v10, 3, 4
	ds_read_u8 v13, v12 offset:516
	v_lshl_add_u32 v14, v11, 3, 4
	ds_read_b32 v15, v14 offset:376
	ds_read_b32 v17, v12 offset:512
	ds_read_u8 v14, v14 offset:380
	s_waitcnt lgkmcnt(3)
	v_and_b32_e32 v18, 1, v13
	v_cmp_eq_u32_e64 s[6:7], 1, v18
	s_waitcnt lgkmcnt(2)
	v_cndmask_b32_e64 v15, v15, 0, s[6:7]
	s_waitcnt lgkmcnt(0)
	v_or_b32_e32 v13, v14, v13
	v_add_u32_e32 v15, v15, v17
	v_and_b32_e32 v13, 1, v13
	ds_write2_b32 v12, v15, v13 offset0:128 offset1:129
.LBB95_150:
	s_or_b64 exec, exec, s[8:9]
	v_add_u32_e32 v12, v10, v11
	v_cmp_gt_u32_e64 s[6:7], 2, v0
	v_lshl_add_u32 v12, v12, 3, 4
	s_waitcnt lgkmcnt(0)
	s_barrier
	s_and_saveexec_b64 s[8:9], s[6:7]
	s_cbranch_execz .LBB95_152
; %bb.151:
	ds_read_u8 v13, v12 offset:516
	v_lshl_add_u32 v9, v9, 8, 4
	ds_read_b32 v14, v9 offset:248
	ds_read_b32 v15, v12 offset:512
	ds_read_u8 v9, v9 offset:252
	s_waitcnt lgkmcnt(3)
	v_and_b32_e32 v17, 1, v13
	v_cmp_eq_u32_e64 s[6:7], 1, v17
	s_waitcnt lgkmcnt(2)
	v_cndmask_b32_e64 v14, v14, 0, s[6:7]
	s_waitcnt lgkmcnt(0)
	v_or_b32_e32 v9, v9, v13
	v_add_u32_e32 v14, v14, v15
	v_and_b32_e32 v9, 1, v9
	ds_write2_b32 v12, v14, v9 offset0:128 offset1:129
.LBB95_152:
	s_or_b64 exec, exec, s[8:9]
	s_waitcnt lgkmcnt(0)
	s_barrier
	s_and_saveexec_b64 s[8:9], vcc
	s_cbranch_execz .LBB95_154
; %bb.153:
	v_mov_b32_e32 v9, 4
	s_movk_i32 s6, 0xf8
	ds_read_u8 v13, v9 offset:1532
	v_add_u32_e64 v14, s6, 4
	ds_read2st64_b32 v[14:15], v14 offset0:3 offset1:5
	ds_read_u8 v9, v9 offset:1020
	s_add_i32 s11, 4, 0x5f8
	s_waitcnt lgkmcnt(2)
	v_and_b32_e32 v17, 1, v13
	v_cmp_eq_u32_e64 s[6:7], 1, v17
	s_waitcnt lgkmcnt(1)
	v_cndmask_b32_e64 v14, v14, 0, s[6:7]
	s_waitcnt lgkmcnt(0)
	v_or_b32_e32 v9, v9, v13
	v_add_u32_e32 v14, v14, v15
	v_and_b32_e32 v9, 1, v9
	v_mov_b32_e32 v13, s11
	ds_write2_b32 v13, v14, v9 offset1:1
.LBB95_154:
	s_or_b64 exec, exec, s[8:9]
	s_waitcnt lgkmcnt(0)
	s_barrier
	s_and_saveexec_b64 s[8:9], vcc
	s_cbranch_execz .LBB95_156
; %bb.155:
	v_mov_b32_e32 v9, 4
	ds_read_u8 v13, v9 offset:1276
	ds_read_b32 v9, v9 offset:1272
	ds_read_b32 v14, v12 offset:512
	ds_read_u8 v12, v12 offset:516
	s_add_i32 s11, 4, 0x4f8
	s_waitcnt lgkmcnt(3)
	v_and_b32_e32 v15, 1, v13
	v_cmp_eq_u32_e64 s[6:7], 1, v15
	s_waitcnt lgkmcnt(1)
	v_cndmask_b32_e64 v14, v14, 0, s[6:7]
	s_waitcnt lgkmcnt(0)
	v_or_b32_e32 v12, v12, v13
	v_add_u32_e32 v9, v14, v9
	v_and_b32_e32 v12, 1, v12
	v_mov_b32_e32 v13, s11
	ds_write2_b32 v13, v9, v12 offset1:1
.LBB95_156:
	s_or_b64 exec, exec, s[8:9]
	v_cmp_gt_u32_e64 s[6:7], 3, v0
	s_waitcnt lgkmcnt(0)
	s_barrier
	s_and_saveexec_b64 s[8:9], s[6:7]
	s_cbranch_execz .LBB95_158
; %bb.157:
	v_lshl_add_u32 v9, v11, 3, s10
	ds_read_u8 v11, v9 offset:124
	v_lshl_add_u32 v10, v10, 3, s10
	ds_read_b32 v12, v10
	ds_read_b32 v13, v9 offset:120
	ds_read_u8 v10, v10 offset:4
	s_waitcnt lgkmcnt(3)
	v_and_b32_e32 v14, 1, v11
	v_cmp_eq_u32_e64 s[6:7], 1, v14
	s_waitcnt lgkmcnt(2)
	v_cndmask_b32_e64 v12, v12, 0, s[6:7]
	s_waitcnt lgkmcnt(0)
	v_or_b32_e32 v10, v10, v11
	v_add_u32_e32 v12, v12, v13
	v_and_b32_e32 v10, 1, v10
	ds_write2_b32 v9, v12, v10 offset0:30 offset1:31
.LBB95_158:
	s_or_b64 exec, exec, s[8:9]
	v_cmp_gt_u32_e64 s[6:7], 7, v0
	s_waitcnt lgkmcnt(0)
	s_barrier
	s_and_saveexec_b64 s[8:9], s[6:7]
	s_cbranch_execz .LBB95_160
; %bb.159:
	v_lshl_add_u32 v8, v8, 3, s10
	ds_read_u8 v9, v8 offset:60
	v_lshl_add_u32 v7, v7, 3, s10
	ds_read_b32 v10, v7
	ds_read_b32 v11, v8 offset:56
	ds_read_u8 v7, v7 offset:4
	s_waitcnt lgkmcnt(3)
	v_and_b32_e32 v12, 1, v9
	v_cmp_eq_u32_e64 s[6:7], 1, v12
	s_waitcnt lgkmcnt(2)
	v_cndmask_b32_e64 v10, v10, 0, s[6:7]
	s_waitcnt lgkmcnt(0)
	v_or_b32_e32 v7, v7, v9
	v_add_u32_e32 v10, v10, v11
	v_and_b32_e32 v7, 1, v7
	ds_write2_b32 v8, v10, v7 offset0:14 offset1:15
.LBB95_160:
	;; [unrolled: 24-line block ×3, first 2 shown]
	s_or_b64 exec, exec, s[8:9]
	v_cmp_gt_u32_e64 s[6:7], 31, v0
	s_waitcnt lgkmcnt(0)
	s_barrier
	s_and_saveexec_b64 s[8:9], s[6:7]
	s_cbranch_execz .LBB95_164
; %bb.163:
	v_lshl_add_u32 v4, v4, 3, s10
	ds_read_u8 v5, v4 offset:12
	v_add_u32_e32 v6, -8, v4
	ds_read_b32 v7, v6
	ds_read_b32 v8, v4 offset:8
	ds_read_u8 v6, v6 offset:4
	s_waitcnt lgkmcnt(3)
	v_and_b32_e32 v9, 1, v5
	v_cmp_eq_u32_e64 s[6:7], 1, v9
	s_waitcnt lgkmcnt(2)
	v_cndmask_b32_e64 v7, v7, 0, s[6:7]
	s_waitcnt lgkmcnt(0)
	v_or_b32_e32 v5, v6, v5
	v_add_u32_e32 v7, v7, v8
	v_and_b32_e32 v5, 1, v5
	ds_write2_b32 v4, v7, v5 offset0:2 offset1:3
.LBB95_164:
	s_or_b64 exec, exec, s[8:9]
	s_waitcnt lgkmcnt(0)
	s_barrier
	s_and_saveexec_b64 s[6:7], s[2:3]
	s_cbranch_execz .LBB95_166
; %bb.165:
	ds_read_u8 v6, v1 offset:20
	ds_read_u8 v7, v1 offset:12
	ds_read2_b32 v[4:5], v1 offset0:2 offset1:4
	s_waitcnt lgkmcnt(2)
	v_and_b32_e32 v8, 1, v6
	v_cmp_eq_u32_e64 s[2:3], 1, v8
	s_waitcnt lgkmcnt(1)
	v_or_b32_e32 v6, v7, v6
	s_waitcnt lgkmcnt(0)
	v_cndmask_b32_e64 v4, v4, 0, s[2:3]
	v_add_u32_e32 v4, v4, v5
	v_and_b32_e32 v5, 1, v6
	ds_write2_b32 v1, v4, v5 offset0:4 offset1:5
.LBB95_166:
	s_or_b64 exec, exec, s[6:7]
	s_waitcnt lgkmcnt(0)
	s_barrier
	ds_read_b32 v3, v3 offset:512
	ds_read_b32 v1, v1 offset:8
	v_or_b32_e32 v4, 1, v2
	v_cmp_gt_u32_e64 s[6:7], s16, v4
	v_cmp_gt_u32_e64 s[2:3], s16, v2
	s_waitcnt lgkmcnt(1)
	v_cndmask_b32_e64 v3, 0, v3, s[2:3]
	s_waitcnt lgkmcnt(0)
	v_cndmask_b32_e64 v6, 0, v1, s[6:7]
	v_mbcnt_lo_u32_b32 v1, -1, 0
	v_mbcnt_hi_u32_b32 v12, -1, v1
	v_and_b32_e32 v13, 63, v12
	v_cmp_gt_u32_e64 s[8:9], 32, v13
	v_cndmask_b32_e64 v1, 0, 1, s[8:9]
	v_lshlrev_b32_e32 v1, 5, v1
	v_cndmask_b32_e64 v5, 0, v2, s[2:3]
	v_max_u32_e32 v7, v6, v3
	v_add_lshl_u32 v1, v1, v12, 2
	v_cndmask_b32_e64 v8, 0, v4, s[6:7]
	v_cmp_gt_u32_e64 s[8:9], v6, v3
	ds_bpermute_b32 v9, v1, v7
	v_cndmask_b32_e64 v3, v5, v8, s[8:9]
	ds_bpermute_b32 v5, v1, v3
	v_cmp_gt_u32_e64 s[8:9], 48, v13
	v_cndmask_b32_e64 v8, 0, 1, s[8:9]
	v_lshlrev_b32_e32 v8, 4, v8
	s_waitcnt lgkmcnt(1)
	v_max_u32_e32 v6, v9, v7
	v_add_lshl_u32 v8, v8, v12, 2
	v_cmp_gt_u32_e64 s[8:9], v9, v7
	ds_bpermute_b32 v10, v8, v6
	s_waitcnt lgkmcnt(1)
	v_cndmask_b32_e64 v3, v3, v5, s[8:9]
	ds_bpermute_b32 v5, v8, v3
	v_cmp_gt_u32_e64 s[8:9], 56, v13
	v_cndmask_b32_e64 v9, 0, 1, s[8:9]
	v_lshlrev_b32_e32 v9, 3, v9
	s_waitcnt lgkmcnt(1)
	v_max_u32_e32 v7, v10, v6
	v_add_lshl_u32 v9, v9, v12, 2
	v_cmp_gt_u32_e64 s[8:9], v10, v6
	ds_bpermute_b32 v11, v9, v7
	s_waitcnt lgkmcnt(1)
	;; [unrolled: 11-line block ×4, first 2 shown]
	v_cndmask_b32_e64 v5, v3, v5, s[8:9]
	ds_bpermute_b32 v6, v11, v5
	s_waitcnt lgkmcnt(0)
	s_barrier
	v_cmp_gt_u32_e64 s[8:9], v15, v7
	v_max_u32_e32 v3, v15, v7
	v_cndmask_b32_e64 v5, v5, v6, s[8:9]
	v_cmp_ne_u32_e64 s[8:9], 63, v13
	v_addc_co_u32_e64 v6, s[8:9], 0, v12, s[8:9]
	v_lshlrev_b32_e32 v12, 2, v6
	ds_bpermute_b32 v6, v12, v5
	ds_bpermute_b32 v7, v12, v3
	v_cmp_eq_u32_e64 s[8:9], 0, v16
	s_waitcnt lgkmcnt(0)
	s_barrier
	s_and_saveexec_b64 s[12:13], s[8:9]
	s_cbranch_execz .LBB95_168
; %bb.167:
	v_lshrrev_b32_e32 v13, 3, v0
	v_cmp_gt_u32_e64 s[10:11], v7, v3
	v_add_u32_e32 v13, 4, v13
	v_cndmask_b32_e64 v5, v5, v6, s[10:11]
	v_max_u32_e32 v3, v7, v3
	ds_write2_b32 v13, v3, v5 offset0:128 offset1:129
.LBB95_168:
	s_or_b64 exec, exec, s[12:13]
	s_lshr_b32 s10, s20, 6
	v_cmp_gt_u32_e64 s[10:11], s10, v0
	v_lshl_add_u32 v13, v16, 3, 4
	v_mov_b32_e32 v3, 0
	v_mov_b32_e32 v5, 0
	s_waitcnt lgkmcnt(0)
	s_barrier
	s_and_saveexec_b64 s[12:13], s[10:11]
	s_cbranch_execnz .LBB95_213
; %bb.169:
	s_or_b64 exec, exec, s[12:13]
	s_and_saveexec_b64 s[12:13], s[10:11]
	s_cbranch_execnz .LBB95_214
.LBB95_170:
	s_or_b64 exec, exec, s[12:13]
	s_and_saveexec_b64 s[20:21], s[0:1]
	s_cbranch_execnz .LBB95_215
.LBB95_171:
	s_or_b64 exec, exec, s[20:21]
	s_and_saveexec_b64 s[12:13], vcc
	s_cbranch_execz .LBB95_173
.LBB95_172:
	s_waitcnt lgkmcnt(0)
	v_lshl_add_u32 v3, v3, 2, 4
	ds_read_b32 v3, v3
	v_mov_b32_e32 v5, 0
	s_waitcnt lgkmcnt(0)
	ds_write_b32 v5, v3
.LBB95_173:
	s_or_b64 exec, exec, s[12:13]
	s_mov_b32 s20, 0
	s_waitcnt lgkmcnt(0)
	v_mov_b32_e32 v3, 0
	s_mov_b32 s21, s20
	v_cmp_gt_i64_e64 s[12:13], s[16:17], v[2:3]
	v_pk_mov_b32 v[6:7], s[20:21], s[20:21] op_sel:[0,1]
	s_barrier
	s_and_saveexec_b64 s[20:21], s[12:13]
	s_cbranch_execz .LBB95_175
; %bb.174:
	v_add_u32_e32 v6, s15, v2
	v_mov_b32_e32 v7, v3
	v_lshlrev_b64 v[6:7], 2, v[6:7]
	v_mov_b32_e32 v5, s19
	v_add_co_u32_e64 v6, s[12:13], s18, v6
	v_addc_co_u32_e64 v7, s[12:13], v5, v7, s[12:13]
	global_load_dword v5, v[6:7], off
	ds_read_b32 v6, v3
	s_waitcnt vmcnt(0) lgkmcnt(0)
	v_cmp_eq_f32_e64 s[12:13], v5, v6
	v_cndmask_b32_e64 v2, 0, v2, s[12:13]
	v_pk_mov_b32 v[6:7], v[2:3], v[2:3] op_sel:[0,1]
.LBB95_175:
	s_or_b64 exec, exec, s[20:21]
	v_mov_b32_e32 v5, v3
	v_cmp_gt_i64_e64 s[12:13], s[16:17], v[4:5]
	s_and_saveexec_b64 s[16:17], s[12:13]
	s_cbranch_execz .LBB95_177
; %bb.176:
	v_add_u32_e32 v2, s15, v4
	v_mov_b32_e32 v3, 0
	v_lshlrev_b64 v[14:15], 2, v[2:3]
	v_mov_b32_e32 v2, s19
	v_add_co_u32_e64 v14, s[12:13], s18, v14
	v_addc_co_u32_e64 v15, s[12:13], v2, v15, s[12:13]
	global_load_dword v2, v[14:15], off
	ds_read_b32 v3, v3
	s_waitcnt vmcnt(0) lgkmcnt(0)
	v_cmp_eq_f32_e64 s[12:13], v2, v3
	v_cndmask_b32_e64 v7, 0, v4, s[12:13]
.LBB95_177:
	s_or_b64 exec, exec, s[16:17]
	v_cndmask_b32_e64 v2, 0, v6, s[2:3]
	v_cndmask_b32_e64 v3, 0, v7, s[6:7]
	v_max_u32_e32 v2, v3, v2
	ds_bpermute_b32 v3, v1, v2
	s_waitcnt lgkmcnt(0)
	s_barrier
	v_max_u32_e32 v2, v3, v2
	ds_bpermute_b32 v3, v8, v2
	s_waitcnt lgkmcnt(0)
	v_max_u32_e32 v2, v3, v2
	ds_bpermute_b32 v3, v9, v2
	s_waitcnt lgkmcnt(0)
	;; [unrolled: 3-line block ×4, first 2 shown]
	v_max_u32_e32 v2, v3, v2
	ds_bpermute_b32 v3, v12, v2
	s_and_saveexec_b64 s[2:3], s[8:9]
	s_cbranch_execz .LBB95_179
; %bb.178:
	v_lshrrev_b32_e32 v0, 4, v0
	v_add_u32_e32 v0, 4, v0
	s_waitcnt lgkmcnt(0)
	v_max_u32_e32 v2, v3, v2
	ds_write_b32 v0, v2
.LBB95_179:
	s_or_b64 exec, exec, s[2:3]
	v_mov_b32_e32 v0, 0
	s_waitcnt lgkmcnt(0)
	s_barrier
	s_and_saveexec_b64 s[2:3], s[10:11]
	s_cbranch_execnz .LBB95_216
; %bb.180:
	s_or_b64 exec, exec, s[2:3]
	s_and_saveexec_b64 s[2:3], s[0:1]
	s_cbranch_execnz .LBB95_217
.LBB95_181:
	s_or_b64 exec, exec, s[2:3]
	s_and_saveexec_b64 s[0:1], vcc
	s_cbranch_execnz .LBB95_218
.LBB95_182:
	s_endpgm
.LBB95_183:
	v_add_u32_e32 v11, v1, v3
	ds_read_u8 v11, v11 offset:512
	s_andn2_b64 s[0:1], s[0:1], exec
	s_mov_b32 s6, 1
	s_waitcnt lgkmcnt(0)
	v_and_b32_e32 v11, 1, v11
	v_cmp_eq_u32_e32 vcc, 1, v11
	s_xor_b64 s[8:9], vcc, -1
	s_and_b64 s[8:9], s[8:9], exec
	s_or_b64 s[0:1], s[0:1], s[8:9]
	s_or_b64 exec, exec, s[2:3]
	v_mov_b32_e32 v11, s6
	s_and_saveexec_b64 s[2:3], s[0:1]
	s_cbranch_execz .LBB95_19
.LBB95_184:
	ds_read_u8 v11, v6 offset:513
	s_waitcnt lgkmcnt(0)
	v_xor_b32_e32 v11, 1, v11
	s_or_b64 exec, exec, s[2:3]
	v_cmp_eq_u32_e32 vcc, v11, v10
	s_and_saveexec_b64 s[0:1], vcc
	s_cbranch_execnz .LBB95_20
	s_branch .LBB95_21
.LBB95_185:
	ds_read_u8 v14, v7 offset:512
	s_andn2_b64 s[0:1], s[0:1], exec
	s_mov_b32 s6, 1
	s_waitcnt lgkmcnt(0)
	v_and_b32_e32 v14, 1, v14
	v_cmp_eq_u32_e32 vcc, 1, v14
	s_xor_b64 s[8:9], vcc, -1
	s_and_b64 s[8:9], s[8:9], exec
	s_or_b64 s[0:1], s[0:1], s[8:9]
	s_or_b64 exec, exec, s[2:3]
	v_mov_b32_e32 v14, s6
	s_and_saveexec_b64 s[2:3], s[0:1]
	s_cbranch_execz .LBB95_29
.LBB95_186:
	ds_read_u8 v14, v7 offset:514
	s_waitcnt lgkmcnt(0)
	v_xor_b32_e32 v14, 1, v14
	s_or_b64 exec, exec, s[2:3]
	v_cmp_eq_u32_e32 vcc, v14, v13
	s_and_saveexec_b64 s[0:1], vcc
	s_cbranch_execnz .LBB95_30
	s_branch .LBB95_31
.LBB95_187:
	v_add_u32_e32 v14, v1, v3
	ds_read_u8 v14, v14 offset:512
	s_andn2_b64 s[0:1], s[0:1], exec
	s_mov_b32 s6, 1
	s_waitcnt lgkmcnt(0)
	v_and_b32_e32 v14, 1, v14
	v_cmp_eq_u32_e32 vcc, 1, v14
	s_xor_b64 s[8:9], vcc, -1
	s_and_b64 s[8:9], s[8:9], exec
	s_or_b64 s[0:1], s[0:1], s[8:9]
	s_or_b64 exec, exec, s[2:3]
	v_mov_b32_e32 v14, s6
	s_and_saveexec_b64 s[2:3], s[0:1]
	s_cbranch_execz .LBB95_33
.LBB95_188:
	ds_read_u8 v14, v6 offset:513
	s_waitcnt lgkmcnt(0)
	v_xor_b32_e32 v14, 1, v14
	s_or_b64 exec, exec, s[2:3]
	v_cmp_eq_u32_e32 vcc, v14, v13
	s_and_saveexec_b64 s[0:1], vcc
	s_cbranch_execnz .LBB95_34
	s_branch .LBB95_35
.LBB95_189:
	ds_read_u8 v17, v10 offset:512
	s_andn2_b64 s[0:1], s[0:1], exec
	s_mov_b32 s6, 1
	s_waitcnt lgkmcnt(0)
	v_and_b32_e32 v17, 1, v17
	v_cmp_eq_u32_e32 vcc, 1, v17
	s_xor_b64 s[8:9], vcc, -1
	s_and_b64 s[8:9], s[8:9], exec
	s_or_b64 s[0:1], s[0:1], s[8:9]
	s_or_b64 exec, exec, s[2:3]
	v_mov_b32_e32 v17, s6
	s_and_saveexec_b64 s[2:3], s[0:1]
	s_cbranch_execz .LBB95_43
.LBB95_190:
	ds_read_u8 v17, v10 offset:516
	s_waitcnt lgkmcnt(0)
	v_xor_b32_e32 v17, 1, v17
	s_or_b64 exec, exec, s[2:3]
	v_cmp_eq_u32_e32 vcc, v17, v16
	s_and_saveexec_b64 s[0:1], vcc
	s_cbranch_execnz .LBB95_44
	s_branch .LBB95_45
.LBB95_191:
	ds_read_u8 v17, v7 offset:512
	s_andn2_b64 s[0:1], s[0:1], exec
	s_mov_b32 s6, 1
	s_waitcnt lgkmcnt(0)
	v_and_b32_e32 v17, 1, v17
	v_cmp_eq_u32_e32 vcc, 1, v17
	s_xor_b64 s[8:9], vcc, -1
	s_and_b64 s[8:9], s[8:9], exec
	s_or_b64 s[0:1], s[0:1], s[8:9]
	s_or_b64 exec, exec, s[2:3]
	v_mov_b32_e32 v17, s6
	s_and_saveexec_b64 s[2:3], s[0:1]
	s_cbranch_execz .LBB95_47
.LBB95_192:
	ds_read_u8 v17, v7 offset:514
	s_waitcnt lgkmcnt(0)
	v_xor_b32_e32 v17, 1, v17
	s_or_b64 exec, exec, s[2:3]
	v_cmp_eq_u32_e32 vcc, v17, v16
	s_and_saveexec_b64 s[0:1], vcc
	s_cbranch_execnz .LBB95_48
	s_branch .LBB95_49
.LBB95_193:
	v_add_u32_e32 v17, v1, v3
	ds_read_u8 v17, v17 offset:512
	s_andn2_b64 s[0:1], s[0:1], exec
	s_mov_b32 s6, 1
	s_waitcnt lgkmcnt(0)
	v_and_b32_e32 v17, 1, v17
	v_cmp_eq_u32_e32 vcc, 1, v17
	s_xor_b64 s[8:9], vcc, -1
	s_and_b64 s[8:9], s[8:9], exec
	s_or_b64 s[0:1], s[0:1], s[8:9]
	s_or_b64 exec, exec, s[2:3]
	v_mov_b32_e32 v17, s6
	s_and_saveexec_b64 s[2:3], s[0:1]
	s_cbranch_execz .LBB95_51
.LBB95_194:
	ds_read_u8 v17, v6 offset:513
	s_waitcnt lgkmcnt(0)
	v_xor_b32_e32 v17, 1, v17
	s_or_b64 exec, exec, s[2:3]
	v_cmp_eq_u32_e32 vcc, v17, v16
	s_and_saveexec_b64 s[0:1], vcc
	s_cbranch_execnz .LBB95_52
	s_branch .LBB95_53
.LBB95_195:
	ds_read_u8 v20, v13 offset:512
	s_andn2_b64 s[0:1], s[0:1], exec
	s_mov_b32 s6, 1
	s_waitcnt lgkmcnt(0)
	v_and_b32_e32 v20, 1, v20
	v_cmp_eq_u32_e32 vcc, 1, v20
	s_xor_b64 s[8:9], vcc, -1
	s_and_b64 s[8:9], s[8:9], exec
	s_or_b64 s[0:1], s[0:1], s[8:9]
	s_or_b64 exec, exec, s[2:3]
	v_mov_b32_e32 v20, s6
	s_and_saveexec_b64 s[2:3], s[0:1]
	s_cbranch_execz .LBB95_61
.LBB95_196:
	ds_read_u8 v20, v13 offset:520
	s_waitcnt lgkmcnt(0)
	v_xor_b32_e32 v20, 1, v20
	s_or_b64 exec, exec, s[2:3]
	v_cmp_eq_u32_e32 vcc, v20, v16
	s_and_saveexec_b64 s[0:1], vcc
	s_cbranch_execnz .LBB95_62
	s_branch .LBB95_63
.LBB95_197:
	ds_read_u8 v20, v10 offset:512
	s_andn2_b64 s[0:1], s[0:1], exec
	s_mov_b32 s6, 1
	s_waitcnt lgkmcnt(0)
	v_and_b32_e32 v20, 1, v20
	v_cmp_eq_u32_e32 vcc, 1, v20
	s_xor_b64 s[8:9], vcc, -1
	s_and_b64 s[8:9], s[8:9], exec
	s_or_b64 s[0:1], s[0:1], s[8:9]
	s_or_b64 exec, exec, s[2:3]
	v_mov_b32_e32 v20, s6
	s_and_saveexec_b64 s[2:3], s[0:1]
	s_cbranch_execz .LBB95_65
.LBB95_198:
	ds_read_u8 v20, v10 offset:516
	s_waitcnt lgkmcnt(0)
	v_xor_b32_e32 v20, 1, v20
	s_or_b64 exec, exec, s[2:3]
	v_cmp_eq_u32_e32 vcc, v20, v16
	s_and_saveexec_b64 s[0:1], vcc
	s_cbranch_execnz .LBB95_66
	s_branch .LBB95_67
.LBB95_199:
	ds_read_u8 v20, v7 offset:512
	s_andn2_b64 s[0:1], s[0:1], exec
	s_mov_b32 s6, 1
	s_waitcnt lgkmcnt(0)
	v_and_b32_e32 v20, 1, v20
	v_cmp_eq_u32_e32 vcc, 1, v20
	s_xor_b64 s[8:9], vcc, -1
	s_and_b64 s[8:9], s[8:9], exec
	s_or_b64 s[0:1], s[0:1], s[8:9]
	s_or_b64 exec, exec, s[2:3]
	v_mov_b32_e32 v20, s6
	s_and_saveexec_b64 s[2:3], s[0:1]
	s_cbranch_execz .LBB95_69
.LBB95_200:
	ds_read_u8 v20, v7 offset:514
	s_waitcnt lgkmcnt(0)
	v_xor_b32_e32 v20, 1, v20
	s_or_b64 exec, exec, s[2:3]
	v_cmp_eq_u32_e32 vcc, v20, v16
	s_and_saveexec_b64 s[0:1], vcc
	s_cbranch_execnz .LBB95_70
	s_branch .LBB95_71
.LBB95_201:
	v_add_u32_e32 v20, v1, v3
	ds_read_u8 v20, v20 offset:512
	s_andn2_b64 s[0:1], s[0:1], exec
	s_mov_b32 s6, 1
	s_waitcnt lgkmcnt(0)
	v_and_b32_e32 v20, 1, v20
	v_cmp_eq_u32_e32 vcc, 1, v20
	s_xor_b64 s[8:9], vcc, -1
	s_and_b64 s[8:9], s[8:9], exec
	s_or_b64 s[0:1], s[0:1], s[8:9]
	s_or_b64 exec, exec, s[2:3]
	v_mov_b32_e32 v20, s6
	s_and_saveexec_b64 s[2:3], s[0:1]
	s_cbranch_execz .LBB95_73
.LBB95_202:
	ds_read_u8 v20, v6 offset:513
	s_waitcnt lgkmcnt(0)
	v_xor_b32_e32 v20, 1, v20
	s_or_b64 exec, exec, s[2:3]
	v_cmp_eq_u32_e32 vcc, v20, v16
	s_and_saveexec_b64 s[0:1], vcc
	s_cbranch_execnz .LBB95_74
	s_branch .LBB95_75
.LBB95_203:
	ds_read_u8 v23, v17 offset:512
	s_andn2_b64 s[0:1], s[0:1], exec
	s_mov_b32 s6, 1
	s_waitcnt lgkmcnt(0)
	v_and_b32_e32 v23, 1, v23
	v_cmp_eq_u32_e32 vcc, 1, v23
	s_xor_b64 s[8:9], vcc, -1
	s_and_b64 s[8:9], s[8:9], exec
	s_or_b64 s[0:1], s[0:1], s[8:9]
	s_or_b64 exec, exec, s[2:3]
	v_mov_b32_e32 v23, s6
	s_and_saveexec_b64 s[2:3], s[0:1]
	s_cbranch_execz .LBB95_83
.LBB95_204:
	ds_read_u8 v23, v17 offset:528
	s_waitcnt lgkmcnt(0)
	v_xor_b32_e32 v23, 1, v23
	s_or_b64 exec, exec, s[2:3]
	v_cmp_eq_u32_e32 vcc, v23, v16
	s_and_saveexec_b64 s[0:1], vcc
	s_cbranch_execnz .LBB95_84
	s_branch .LBB95_85
.LBB95_205:
	ds_read_u8 v23, v13 offset:512
	s_andn2_b64 s[0:1], s[0:1], exec
	s_mov_b32 s6, 1
	s_waitcnt lgkmcnt(0)
	v_and_b32_e32 v23, 1, v23
	v_cmp_eq_u32_e32 vcc, 1, v23
	s_xor_b64 s[8:9], vcc, -1
	s_and_b64 s[8:9], s[8:9], exec
	s_or_b64 s[0:1], s[0:1], s[8:9]
	s_or_b64 exec, exec, s[2:3]
	v_mov_b32_e32 v23, s6
	s_and_saveexec_b64 s[2:3], s[0:1]
	s_cbranch_execz .LBB95_87
.LBB95_206:
	ds_read_u8 v23, v13 offset:520
	s_waitcnt lgkmcnt(0)
	v_xor_b32_e32 v23, 1, v23
	s_or_b64 exec, exec, s[2:3]
	v_cmp_eq_u32_e32 vcc, v23, v16
	s_and_saveexec_b64 s[0:1], vcc
	s_cbranch_execnz .LBB95_88
	s_branch .LBB95_89
.LBB95_207:
	ds_read_u8 v23, v10 offset:512
	s_andn2_b64 s[0:1], s[0:1], exec
	s_mov_b32 s6, 1
	s_waitcnt lgkmcnt(0)
	v_and_b32_e32 v23, 1, v23
	v_cmp_eq_u32_e32 vcc, 1, v23
	s_xor_b64 s[8:9], vcc, -1
	s_and_b64 s[8:9], s[8:9], exec
	s_or_b64 s[0:1], s[0:1], s[8:9]
	s_or_b64 exec, exec, s[2:3]
	v_mov_b32_e32 v23, s6
	s_and_saveexec_b64 s[2:3], s[0:1]
	s_cbranch_execz .LBB95_91
.LBB95_208:
	ds_read_u8 v23, v10 offset:516
	s_waitcnt lgkmcnt(0)
	v_xor_b32_e32 v23, 1, v23
	s_or_b64 exec, exec, s[2:3]
	v_cmp_eq_u32_e32 vcc, v23, v16
	s_and_saveexec_b64 s[0:1], vcc
	s_cbranch_execnz .LBB95_92
	s_branch .LBB95_93
.LBB95_209:
	ds_read_u8 v23, v7 offset:512
	s_andn2_b64 s[0:1], s[0:1], exec
	s_mov_b32 s6, 1
	s_waitcnt lgkmcnt(0)
	v_and_b32_e32 v23, 1, v23
	v_cmp_eq_u32_e32 vcc, 1, v23
	s_xor_b64 s[8:9], vcc, -1
	s_and_b64 s[8:9], s[8:9], exec
	s_or_b64 s[0:1], s[0:1], s[8:9]
	s_or_b64 exec, exec, s[2:3]
	v_mov_b32_e32 v23, s6
	s_and_saveexec_b64 s[2:3], s[0:1]
	s_cbranch_execz .LBB95_95
.LBB95_210:
	ds_read_u8 v23, v7 offset:514
	s_waitcnt lgkmcnt(0)
	v_xor_b32_e32 v23, 1, v23
	s_or_b64 exec, exec, s[2:3]
	v_cmp_eq_u32_e32 vcc, v23, v16
	s_and_saveexec_b64 s[0:1], vcc
	s_cbranch_execnz .LBB95_96
	s_branch .LBB95_97
.LBB95_211:
	v_add_u32_e32 v23, v1, v3
	ds_read_u8 v23, v23 offset:512
	s_andn2_b64 s[0:1], s[0:1], exec
	s_mov_b32 s6, 1
	s_waitcnt lgkmcnt(0)
	v_and_b32_e32 v23, 1, v23
	v_cmp_eq_u32_e32 vcc, 1, v23
	s_xor_b64 s[8:9], vcc, -1
	s_and_b64 s[8:9], s[8:9], exec
	s_or_b64 s[0:1], s[0:1], s[8:9]
	s_or_b64 exec, exec, s[2:3]
	v_mov_b32_e32 v23, s6
	s_and_saveexec_b64 s[2:3], s[0:1]
	s_cbranch_execz .LBB95_99
.LBB95_212:
	ds_read_u8 v23, v6 offset:513
	s_waitcnt lgkmcnt(0)
	v_xor_b32_e32 v23, 1, v23
	s_or_b64 exec, exec, s[2:3]
	v_cmp_eq_u32_e32 vcc, v23, v16
	s_and_saveexec_b64 s[0:1], vcc
	s_cbranch_execnz .LBB95_100
	s_branch .LBB95_101
.LBB95_213:
	ds_read_b32 v5, v13 offset:512
	s_or_b64 exec, exec, s[12:13]
	s_and_saveexec_b64 s[12:13], s[10:11]
	s_cbranch_execz .LBB95_170
.LBB95_214:
	ds_read_b32 v3, v13 offset:516
	s_or_b64 exec, exec, s[12:13]
	s_and_saveexec_b64 s[20:21], s[0:1]
	s_cbranch_execz .LBB95_171
.LBB95_215:
	s_waitcnt lgkmcnt(0)
	ds_bpermute_b32 v6, v1, v5
	ds_bpermute_b32 v7, v1, v3
	s_waitcnt lgkmcnt(1)
	v_max_u32_e32 v14, v6, v5
	v_cmp_gt_u32_e64 s[12:13], v6, v5
	ds_bpermute_b32 v15, v8, v14
	s_waitcnt lgkmcnt(1)
	v_cndmask_b32_e64 v3, v3, v7, s[12:13]
	ds_bpermute_b32 v5, v8, v3
	s_waitcnt lgkmcnt(1)
	v_max_u32_e32 v6, v15, v14
	v_cmp_gt_u32_e64 s[12:13], v15, v14
	ds_bpermute_b32 v7, v9, v6
	s_waitcnt lgkmcnt(1)
	v_cndmask_b32_e64 v3, v3, v5, s[12:13]
	;; [unrolled: 7-line block ×4, first 2 shown]
	ds_bpermute_b32 v5, v11, v3
	s_waitcnt lgkmcnt(1)
	v_max_u32_e32 v14, v7, v6
	v_cmp_gt_u32_e64 s[12:13], v7, v6
	s_waitcnt lgkmcnt(0)
	v_cndmask_b32_e64 v3, v3, v5, s[12:13]
	ds_bpermute_b32 v5, v12, v14
	ds_bpermute_b32 v6, v12, v3
	s_waitcnt lgkmcnt(1)
	v_cmp_gt_u32_e64 s[12:13], v5, v14
	s_waitcnt lgkmcnt(0)
	v_cndmask_b32_e64 v3, v3, v6, s[12:13]
	s_or_b64 exec, exec, s[20:21]
	s_and_saveexec_b64 s[12:13], vcc
	s_cbranch_execnz .LBB95_172
	s_branch .LBB95_173
.LBB95_216:
	v_lshlrev_b32_e32 v0, 2, v16
	v_sub_u32_e32 v0, v13, v0
	ds_read_b32 v0, v0
	s_or_b64 exec, exec, s[2:3]
	s_and_saveexec_b64 s[2:3], s[0:1]
	s_cbranch_execz .LBB95_181
.LBB95_217:
	s_waitcnt lgkmcnt(0)
	ds_bpermute_b32 v1, v1, v0
	s_waitcnt lgkmcnt(0)
	v_max_u32_e32 v0, v1, v0
	ds_bpermute_b32 v1, v8, v0
	s_waitcnt lgkmcnt(0)
	v_max_u32_e32 v0, v1, v0
	ds_bpermute_b32 v1, v9, v0
	s_waitcnt lgkmcnt(0)
	v_max_u32_e32 v0, v1, v0
	ds_bpermute_b32 v1, v10, v0
	s_waitcnt lgkmcnt(0)
	v_max_u32_e32 v0, v1, v0
	ds_bpermute_b32 v1, v11, v0
	s_waitcnt lgkmcnt(0)
	v_max_u32_e32 v0, v1, v0
	ds_bpermute_b32 v1, v12, v0
	s_waitcnt lgkmcnt(0)
	v_max_u32_e32 v0, v1, v0
	s_or_b64 exec, exec, s[2:3]
	s_and_saveexec_b64 s[0:1], vcc
	s_cbranch_execz .LBB95_182
.LBB95_218:
	s_load_dword s6, s[4:5], 0xd8
	s_load_dwordx2 s[0:1], s[4:5], 0xe0
	s_add_u32 s2, s4, 8
	s_addc_u32 s3, s5, 0
	s_mov_b32 s5, 0
	s_waitcnt lgkmcnt(0)
	s_cmp_lt_i32 s6, 2
	s_cbranch_scc1 .LBB95_221
; %bb.219:
	s_add_i32 s4, s6, -1
	s_add_i32 s8, s6, 1
	s_lshl_b64 s[6:7], s[4:5], 2
	s_add_u32 s4, s6, s2
	s_addc_u32 s7, s7, s3
	s_add_u32 s6, s4, 8
	s_addc_u32 s7, s7, 0
.LBB95_220:                             ; =>This Inner Loop Header: Depth=1
	s_load_dword s4, s[6:7], 0x0
	s_load_dword s10, s[6:7], 0x64
	s_mov_b32 s9, s14
	s_waitcnt lgkmcnt(0)
	v_cvt_f32_u32_e32 v1, s4
	s_sub_i32 s11, 0, s4
	v_rcp_iflag_f32_e32 v1, v1
	v_mul_f32_e32 v1, 0x4f7ffffe, v1
	v_cvt_u32_f32_e32 v1, v1
	v_readfirstlane_b32 s12, v1
	s_mul_i32 s11, s11, s12
	s_mul_hi_u32 s11, s12, s11
	s_add_i32 s12, s12, s11
	s_mul_hi_u32 s11, s14, s12
	s_mul_i32 s12, s11, s4
	s_sub_i32 s12, s14, s12
	s_add_i32 s13, s11, 1
	s_sub_i32 s14, s12, s4
	s_cmp_ge_u32 s12, s4
	s_cselect_b32 s11, s13, s11
	s_cselect_b32 s12, s14, s12
	s_add_i32 s13, s11, 1
	s_cmp_ge_u32 s12, s4
	s_cselect_b32 s14, s13, s11
	s_mul_i32 s4, s14, s4
	s_sub_i32 s4, s9, s4
	s_mul_i32 s4, s10, s4
	s_add_i32 s8, s8, -1
	s_add_i32 s5, s4, s5
	s_add_u32 s6, s6, -4
	s_addc_u32 s7, s7, -1
	s_cmp_gt_u32 s8, 2
	s_cbranch_scc1 .LBB95_220
.LBB95_221:
	s_load_dword s4, s[2:3], 0x6c
	v_mov_b32_e32 v1, 0
	s_load_dwordx2 s[2:3], s[2:3], 0x0
	ds_read_b32 v2, v1
	s_mov_b32 s7, 0
	s_waitcnt lgkmcnt(0)
	s_mul_i32 s4, s4, s14
	s_add_i32 s6, s4, s5
	s_lshl_b64 s[4:5], s[6:7], 2
	s_add_u32 s2, s2, s4
	s_addc_u32 s3, s3, s5
	global_store_dword v1, v2, s[2:3]
	s_lshl_b64 s[2:3], s[6:7], 3
	s_add_u32 s0, s0, s2
	s_addc_u32 s1, s1, s3
	global_store_dwordx2 v1, v[0:1], s[0:1]
	s_endpgm
	.section	.rodata,"a",@progbits
	.p2align	6, 0x0
	.amdhsa_kernel _ZN2at6native12compute_modeIfLj128EEEvPKT_NS_4cuda6detail10TensorInfoIS2_jEENS7_IljEEll
		.amdhsa_group_segment_fixed_size 4
		.amdhsa_private_segment_fixed_size 0
		.amdhsa_kernarg_size 712
		.amdhsa_user_sgpr_count 6
		.amdhsa_user_sgpr_private_segment_buffer 1
		.amdhsa_user_sgpr_dispatch_ptr 0
		.amdhsa_user_sgpr_queue_ptr 0
		.amdhsa_user_sgpr_kernarg_segment_ptr 1
		.amdhsa_user_sgpr_dispatch_id 0
		.amdhsa_user_sgpr_flat_scratch_init 0
		.amdhsa_user_sgpr_kernarg_preload_length 0
		.amdhsa_user_sgpr_kernarg_preload_offset 0
		.amdhsa_user_sgpr_private_segment_size 0
		.amdhsa_uses_dynamic_stack 0
		.amdhsa_system_sgpr_private_segment_wavefront_offset 0
		.amdhsa_system_sgpr_workgroup_id_x 1
		.amdhsa_system_sgpr_workgroup_id_y 1
		.amdhsa_system_sgpr_workgroup_id_z 1
		.amdhsa_system_sgpr_workgroup_info 0
		.amdhsa_system_vgpr_workitem_id 0
		.amdhsa_next_free_vgpr 28
		.amdhsa_next_free_sgpr 22
		.amdhsa_accum_offset 28
		.amdhsa_reserve_vcc 1
		.amdhsa_reserve_flat_scratch 0
		.amdhsa_float_round_mode_32 0
		.amdhsa_float_round_mode_16_64 0
		.amdhsa_float_denorm_mode_32 3
		.amdhsa_float_denorm_mode_16_64 3
		.amdhsa_dx10_clamp 1
		.amdhsa_ieee_mode 1
		.amdhsa_fp16_overflow 0
		.amdhsa_tg_split 0
		.amdhsa_exception_fp_ieee_invalid_op 0
		.amdhsa_exception_fp_denorm_src 0
		.amdhsa_exception_fp_ieee_div_zero 0
		.amdhsa_exception_fp_ieee_overflow 0
		.amdhsa_exception_fp_ieee_underflow 0
		.amdhsa_exception_fp_ieee_inexact 0
		.amdhsa_exception_int_div_zero 0
	.end_amdhsa_kernel
	.section	.text._ZN2at6native12compute_modeIfLj128EEEvPKT_NS_4cuda6detail10TensorInfoIS2_jEENS7_IljEEll,"axG",@progbits,_ZN2at6native12compute_modeIfLj128EEEvPKT_NS_4cuda6detail10TensorInfoIS2_jEENS7_IljEEll,comdat
.Lfunc_end95:
	.size	_ZN2at6native12compute_modeIfLj128EEEvPKT_NS_4cuda6detail10TensorInfoIS2_jEENS7_IljEEll, .Lfunc_end95-_ZN2at6native12compute_modeIfLj128EEEvPKT_NS_4cuda6detail10TensorInfoIS2_jEENS7_IljEEll
                                        ; -- End function
	.section	.AMDGPU.csdata,"",@progbits
; Kernel info:
; codeLenInByte = 10120
; NumSgprs: 26
; NumVgprs: 28
; NumAgprs: 0
; TotalNumVgprs: 28
; ScratchSize: 0
; MemoryBound: 0
; FloatMode: 240
; IeeeMode: 1
; LDSByteSize: 4 bytes/workgroup (compile time only)
; SGPRBlocks: 3
; VGPRBlocks: 3
; NumSGPRsForWavesPerEU: 26
; NumVGPRsForWavesPerEU: 28
; AccumOffset: 28
; Occupancy: 8
; WaveLimiterHint : 1
; COMPUTE_PGM_RSRC2:SCRATCH_EN: 0
; COMPUTE_PGM_RSRC2:USER_SGPR: 6
; COMPUTE_PGM_RSRC2:TRAP_HANDLER: 0
; COMPUTE_PGM_RSRC2:TGID_X_EN: 1
; COMPUTE_PGM_RSRC2:TGID_Y_EN: 1
; COMPUTE_PGM_RSRC2:TGID_Z_EN: 1
; COMPUTE_PGM_RSRC2:TIDIG_COMP_CNT: 0
; COMPUTE_PGM_RSRC3_GFX90A:ACCUM_OFFSET: 6
; COMPUTE_PGM_RSRC3_GFX90A:TG_SPLIT: 0
	.section	.text._ZN2at6native12compute_modeIbLj2048EEEvPKT_NS_4cuda6detail10TensorInfoIS2_jEENS7_IljEEll,"axG",@progbits,_ZN2at6native12compute_modeIbLj2048EEEvPKT_NS_4cuda6detail10TensorInfoIS2_jEENS7_IljEEll,comdat
	.protected	_ZN2at6native12compute_modeIbLj2048EEEvPKT_NS_4cuda6detail10TensorInfoIS2_jEENS7_IljEEll ; -- Begin function _ZN2at6native12compute_modeIbLj2048EEEvPKT_NS_4cuda6detail10TensorInfoIS2_jEENS7_IljEEll
	.globl	_ZN2at6native12compute_modeIbLj2048EEEvPKT_NS_4cuda6detail10TensorInfoIS2_jEENS7_IljEEll
	.p2align	8
	.type	_ZN2at6native12compute_modeIbLj2048EEEvPKT_NS_4cuda6detail10TensorInfoIS2_jEENS7_IljEEll,@function
_ZN2at6native12compute_modeIbLj2048EEEvPKT_NS_4cuda6detail10TensorInfoIS2_jEENS7_IljEEll: ; @_ZN2at6native12compute_modeIbLj2048EEEvPKT_NS_4cuda6detail10TensorInfoIS2_jEENS7_IljEEll
; %bb.0:
	s_load_dwordx4 s[16:19], s[4:5], 0x1b8
	s_load_dwordx2 s[2:3], s[4:5], 0x1c8
	s_add_u32 s0, s4, 0x1c8
	s_addc_u32 s1, s5, 0
	s_waitcnt lgkmcnt(0)
	v_mov_b32_e32 v2, s18
	s_mul_i32 s3, s3, s8
	s_add_i32 s3, s3, s7
	s_mul_i32 s2, s3, s2
	v_mov_b32_e32 v3, s19
	s_add_i32 s18, s2, s6
	s_mov_b32 s19, 0
	v_cmp_ge_i64_e32 vcc, s[18:19], v[2:3]
	s_cbranch_vccnz .LBB96_134
; %bb.1:
	s_load_dwordx2 s[20:21], s[4:5], 0x0
	s_load_dword s6, s[0:1], 0xc
	v_mov_b32_e32 v3, 0
	v_mov_b32_e32 v1, v3
	s_mul_i32 s19, s18, s16
	v_cmp_gt_i64_e32 vcc, s[16:17], v[0:1]
	v_add_u32_e32 v1, 1, v0
	s_and_saveexec_b64 s[2:3], vcc
	s_cbranch_execz .LBB96_3
; %bb.2:
	v_add_u32_e32 v2, s19, v0
	s_waitcnt lgkmcnt(0)
	global_load_ubyte v2, v2, s[20:21]
	s_waitcnt vmcnt(0)
	v_cmp_ne_u16_e64 s[0:1], 0, v2
	v_cndmask_b32_e64 v2, 0, 1, s[0:1]
	ds_write_b8 v1, v2
.LBB96_3:
	s_or_b64 exec, exec, s[2:3]
	s_load_dwordx2 s[14:15], s[4:5], 0xe0
	s_waitcnt lgkmcnt(0)
	s_and_b32 s22, 0xffff, s6
	v_add_u32_e32 v2, s22, v0
	v_cmp_gt_i64_e64 s[0:1], s[16:17], v[2:3]
	s_and_saveexec_b64 s[6:7], s[0:1]
	s_cbranch_execz .LBB96_5
; %bb.4:
	v_add_u32_e32 v3, s19, v2
	global_load_ubyte v3, v3, s[20:21]
	v_add_u32_e32 v2, 1, v2
	s_waitcnt vmcnt(0)
	v_cmp_ne_u16_e64 s[2:3], 0, v3
	v_cndmask_b32_e64 v3, 0, 1, s[2:3]
	ds_write_b8 v2, v3
.LBB96_5:
	s_or_b64 exec, exec, s[6:7]
	v_cndmask_b32_e64 v2, 0, 1, vcc
	ds_write_b8 v1, v2 offset:2048
	v_add_u32_e32 v2, s22, v1
	v_cndmask_b32_e64 v3, 0, 1, s[0:1]
	ds_write_b8 v2, v3 offset:2048
	v_lshlrev_b32_e32 v2, 1, v0
	s_mov_b32 s6, 2
	s_waitcnt lgkmcnt(0)
	s_barrier
	s_branch .LBB96_7
.LBB96_6:                               ;   in Loop: Header=BB96_7 Depth=1
	s_lshl_b32 s0, s6, 2
	s_cmpk_gt_u32 s6, 0x1ff
	s_mov_b32 s6, s0
	s_cbranch_scc1 .LBB96_23
.LBB96_7:                               ; =>This Loop Header: Depth=1
                                        ;     Child Loop BB96_9 Depth 2
                                        ;     Child Loop BB96_17 Depth 2
	s_lshr_b32 s7, s6, 1
	v_and_b32_e32 v3, s7, v0
	v_cmp_ne_u32_e32 vcc, 0, v3
	v_cndmask_b32_e64 v3, 0, 1, vcc
	s_branch .LBB96_9
.LBB96_8:                               ;   in Loop: Header=BB96_9 Depth=2
	s_or_b64 exec, exec, s[0:1]
	s_lshr_b32 s0, s7, 1
	s_cmp_lt_u32 s7, 2
	s_mov_b32 s7, s0
	s_cbranch_scc1 .LBB96_15
.LBB96_9:                               ;   Parent Loop BB96_7 Depth=1
                                        ; =>  This Inner Loop Header: Depth=2
	s_add_i32 s0, s7, -1
	v_and_b32_e32 v4, s0, v0
	v_sub_u32_e32 v4, v2, v4
	v_add_u32_e32 v4, 1, v4
	s_barrier
	v_add_u32_e32 v5, s7, v4
	ds_read_u8 v6, v4
	ds_read_u8 v7, v5
                                        ; implicit-def: $sgpr8
	s_waitcnt lgkmcnt(0)
	v_cmp_ge_u16_e64 s[0:1], v6, v7
	v_cmp_lt_u16_e32 vcc, v6, v7
	s_and_saveexec_b64 s[2:3], vcc
	s_cbranch_execnz .LBB96_12
; %bb.10:                               ;   in Loop: Header=BB96_9 Depth=2
	s_or_b64 exec, exec, s[2:3]
	v_mov_b32_e32 v8, s8
	s_and_saveexec_b64 s[2:3], s[0:1]
	s_cbranch_execnz .LBB96_13
.LBB96_11:                              ;   in Loop: Header=BB96_9 Depth=2
	s_or_b64 exec, exec, s[2:3]
	v_cmp_eq_u32_e32 vcc, v8, v3
	s_and_saveexec_b64 s[0:1], vcc
	s_cbranch_execz .LBB96_8
	s_branch .LBB96_14
.LBB96_12:                              ;   in Loop: Header=BB96_9 Depth=2
	ds_read_u8 v8, v4 offset:2048
	s_andn2_b64 s[0:1], s[0:1], exec
	s_mov_b32 s8, 1
	s_waitcnt lgkmcnt(0)
	v_and_b32_e32 v8, 1, v8
	v_cmp_eq_u32_e32 vcc, 1, v8
	s_xor_b64 s[10:11], vcc, -1
	s_and_b64 s[10:11], s[10:11], exec
	s_or_b64 s[0:1], s[0:1], s[10:11]
	s_or_b64 exec, exec, s[2:3]
	v_mov_b32_e32 v8, s8
	s_and_saveexec_b64 s[2:3], s[0:1]
	s_cbranch_execz .LBB96_11
.LBB96_13:                              ;   in Loop: Header=BB96_9 Depth=2
	ds_read_u8 v8, v5 offset:2048
	s_waitcnt lgkmcnt(0)
	v_xor_b32_e32 v8, 1, v8
	s_or_b64 exec, exec, s[2:3]
	v_cmp_eq_u32_e32 vcc, v8, v3
	s_and_saveexec_b64 s[0:1], vcc
	s_cbranch_execz .LBB96_8
.LBB96_14:                              ;   in Loop: Header=BB96_9 Depth=2
	ds_write_b8 v4, v7
	ds_write_b8 v5, v6
	ds_read_u8 v6, v5 offset:2048
	ds_read_u8 v7, v4 offset:2048
	s_waitcnt lgkmcnt(1)
	ds_write_b8 v4, v6 offset:2048
	s_waitcnt lgkmcnt(1)
	ds_write_b8 v5, v7 offset:2048
	s_branch .LBB96_8
.LBB96_15:                              ;   in Loop: Header=BB96_7 Depth=1
	v_and_b32_e32 v3, s6, v0
	v_cmp_ne_u32_e32 vcc, 0, v3
	v_cndmask_b32_e64 v3, 0, 1, vcc
	s_mov_b32 s7, s6
	s_branch .LBB96_17
.LBB96_16:                              ;   in Loop: Header=BB96_17 Depth=2
	s_or_b64 exec, exec, s[0:1]
	s_lshr_b32 s0, s7, 1
	s_cmp_gt_u32 s7, 1
	s_mov_b32 s7, s0
	s_cbranch_scc0 .LBB96_6
.LBB96_17:                              ;   Parent Loop BB96_7 Depth=1
                                        ; =>  This Inner Loop Header: Depth=2
	s_add_i32 s0, s7, -1
	v_and_b32_e32 v4, s0, v0
	v_sub_u32_e32 v4, v2, v4
	v_add_u32_e32 v4, 1, v4
	s_waitcnt lgkmcnt(0)
	s_barrier
	v_add_u32_e32 v5, s7, v4
	ds_read_u8 v6, v4
	ds_read_u8 v7, v5
                                        ; implicit-def: $sgpr8
	s_waitcnt lgkmcnt(0)
	v_cmp_ge_u16_e64 s[0:1], v6, v7
	v_cmp_lt_u16_e32 vcc, v6, v7
	s_and_saveexec_b64 s[2:3], vcc
	s_cbranch_execnz .LBB96_20
; %bb.18:                               ;   in Loop: Header=BB96_17 Depth=2
	s_or_b64 exec, exec, s[2:3]
	v_mov_b32_e32 v8, s8
	s_and_saveexec_b64 s[2:3], s[0:1]
	s_cbranch_execnz .LBB96_21
.LBB96_19:                              ;   in Loop: Header=BB96_17 Depth=2
	s_or_b64 exec, exec, s[2:3]
	v_cmp_eq_u32_e32 vcc, v8, v3
	s_and_saveexec_b64 s[0:1], vcc
	s_cbranch_execz .LBB96_16
	s_branch .LBB96_22
.LBB96_20:                              ;   in Loop: Header=BB96_17 Depth=2
	ds_read_u8 v8, v4 offset:2048
	s_andn2_b64 s[0:1], s[0:1], exec
	s_mov_b32 s8, 1
	s_waitcnt lgkmcnt(0)
	v_and_b32_e32 v8, 1, v8
	v_cmp_eq_u32_e32 vcc, 1, v8
	s_xor_b64 s[10:11], vcc, -1
	s_and_b64 s[10:11], s[10:11], exec
	s_or_b64 s[0:1], s[0:1], s[10:11]
	s_or_b64 exec, exec, s[2:3]
	v_mov_b32_e32 v8, s8
	s_and_saveexec_b64 s[2:3], s[0:1]
	s_cbranch_execz .LBB96_19
.LBB96_21:                              ;   in Loop: Header=BB96_17 Depth=2
	ds_read_u8 v8, v5 offset:2048
	s_waitcnt lgkmcnt(0)
	v_xor_b32_e32 v8, 1, v8
	s_or_b64 exec, exec, s[2:3]
	v_cmp_eq_u32_e32 vcc, v8, v3
	s_and_saveexec_b64 s[0:1], vcc
	s_cbranch_execz .LBB96_16
.LBB96_22:                              ;   in Loop: Header=BB96_17 Depth=2
	ds_write_b8 v4, v7
	ds_write_b8 v5, v6
	ds_read_u8 v6, v5 offset:2048
	ds_read_u8 v7, v4 offset:2048
	s_waitcnt lgkmcnt(1)
	ds_write_b8 v4, v6 offset:2048
	s_waitcnt lgkmcnt(1)
	ds_write_b8 v5, v7 offset:2048
	s_branch .LBB96_16
.LBB96_23:
	s_waitcnt lgkmcnt(0)
	s_barrier
	ds_read_u8 v3, v1
	ds_read_u8 v4, v1 offset:1024
	s_mov_b32 s6, 1
	s_waitcnt lgkmcnt(0)
	v_cmp_ge_u16_e64 s[0:1], v3, v4
	v_cmp_lt_u16_e32 vcc, v3, v4
	s_and_saveexec_b64 s[2:3], vcc
	s_cbranch_execnz .LBB96_135
; %bb.24:
	s_or_b64 exec, exec, s[2:3]
	v_mov_b32_e32 v5, s6
	s_and_saveexec_b64 s[2:3], s[0:1]
	s_cbranch_execnz .LBB96_136
.LBB96_25:
	s_or_b64 exec, exec, s[2:3]
	v_cmp_eq_u32_e32 vcc, 0, v5
	s_and_saveexec_b64 s[0:1], vcc
	s_cbranch_execz .LBB96_27
.LBB96_26:
	ds_read_u8 v5, v1 offset:3072
	ds_read_u8 v6, v1 offset:2048
	ds_write_b8 v1, v4
	ds_write_b8 v1, v3 offset:1024
	s_waitcnt lgkmcnt(3)
	ds_write_b8 v1, v5 offset:2048
	s_waitcnt lgkmcnt(3)
	ds_write_b8 v1, v6 offset:3072
.LBB96_27:
	s_or_b64 exec, exec, s[0:1]
	v_and_b32_e32 v1, 0x1ff, v0
	v_sub_u32_e32 v1, v2, v1
	v_add_u32_e32 v1, 1, v1
	s_waitcnt lgkmcnt(0)
	s_barrier
	ds_read_u8 v3, v1
	ds_read_u8 v4, v1 offset:512
	s_waitcnt lgkmcnt(0)
	v_cmp_ge_u16_e64 s[0:1], v3, v4
	v_cmp_lt_u16_e32 vcc, v3, v4
	s_and_saveexec_b64 s[2:3], vcc
	s_cbranch_execnz .LBB96_137
; %bb.28:
	s_or_b64 exec, exec, s[2:3]
	v_mov_b32_e32 v5, s6
	s_and_saveexec_b64 s[2:3], s[0:1]
	s_cbranch_execnz .LBB96_138
.LBB96_29:
	s_or_b64 exec, exec, s[2:3]
	v_cmp_eq_u32_e32 vcc, 0, v5
	s_and_saveexec_b64 s[0:1], vcc
	s_cbranch_execz .LBB96_31
.LBB96_30:
	ds_read_u8 v5, v1 offset:2560
	ds_read_u8 v6, v1 offset:2048
	ds_write_b8 v1, v4
	ds_write_b8 v1, v3 offset:512
	s_waitcnt lgkmcnt(3)
	ds_write_b8 v1, v5 offset:2048
	s_waitcnt lgkmcnt(3)
	ds_write_b8 v1, v6 offset:2560
.LBB96_31:
	s_or_b64 exec, exec, s[0:1]
	v_sub_u32_sdwa v1, v2, v0 dst_sel:DWORD dst_unused:UNUSED_PAD src0_sel:DWORD src1_sel:BYTE_0
	v_add_u32_e32 v1, 1, v1
	s_waitcnt lgkmcnt(0)
	s_barrier
	ds_read_u8 v3, v1
	ds_read_u8 v4, v1 offset:256
	s_waitcnt lgkmcnt(0)
	v_cmp_ge_u16_e64 s[0:1], v3, v4
	v_cmp_lt_u16_e32 vcc, v3, v4
	s_and_saveexec_b64 s[2:3], vcc
	s_cbranch_execnz .LBB96_139
; %bb.32:
	s_or_b64 exec, exec, s[2:3]
	v_mov_b32_e32 v5, s6
	s_and_saveexec_b64 s[2:3], s[0:1]
	s_cbranch_execnz .LBB96_140
.LBB96_33:
	s_or_b64 exec, exec, s[2:3]
	v_cmp_eq_u32_e32 vcc, 0, v5
	s_and_saveexec_b64 s[0:1], vcc
	s_cbranch_execz .LBB96_35
.LBB96_34:
	ds_read_u8 v5, v1 offset:2304
	ds_read_u8 v6, v1 offset:2048
	ds_write_b8 v1, v4
	ds_write_b8 v1, v3 offset:256
	s_waitcnt lgkmcnt(3)
	ds_write_b8 v1, v5 offset:2048
	s_waitcnt lgkmcnt(3)
	ds_write_b8 v1, v6 offset:2304
.LBB96_35:
	s_or_b64 exec, exec, s[0:1]
	v_and_b32_e32 v1, 0x7f, v0
	v_sub_u32_e32 v1, v2, v1
	v_add_u32_e32 v1, 1, v1
	s_waitcnt lgkmcnt(0)
	s_barrier
	ds_read_u8 v3, v1
	ds_read_u8 v4, v1 offset:128
	s_waitcnt lgkmcnt(0)
	v_cmp_ge_u16_e64 s[0:1], v3, v4
	v_cmp_lt_u16_e32 vcc, v3, v4
	s_and_saveexec_b64 s[2:3], vcc
	s_cbranch_execnz .LBB96_141
; %bb.36:
	s_or_b64 exec, exec, s[2:3]
	v_mov_b32_e32 v5, s6
	s_and_saveexec_b64 s[2:3], s[0:1]
	s_cbranch_execnz .LBB96_142
.LBB96_37:
	s_or_b64 exec, exec, s[2:3]
	v_cmp_eq_u32_e32 vcc, 0, v5
	s_and_saveexec_b64 s[0:1], vcc
	s_cbranch_execz .LBB96_39
.LBB96_38:
	ds_read_u8 v5, v1 offset:2176
	ds_read_u8 v6, v1 offset:2048
	ds_write_b8 v1, v4
	ds_write_b8 v1, v3 offset:128
	s_waitcnt lgkmcnt(3)
	ds_write_b8 v1, v5 offset:2048
	s_waitcnt lgkmcnt(3)
	ds_write_b8 v1, v6 offset:2176
.LBB96_39:
	s_or_b64 exec, exec, s[0:1]
	v_and_b32_e32 v1, 63, v0
	v_sub_u32_e32 v3, v2, v1
	v_add_u32_e32 v3, 1, v3
	s_waitcnt lgkmcnt(0)
	s_barrier
	ds_read_u8 v4, v3
	ds_read_u8 v5, v3 offset:64
	s_waitcnt lgkmcnt(0)
	v_cmp_ge_u16_e64 s[2:3], v4, v5
	v_cmp_lt_u16_e32 vcc, v4, v5
	s_and_saveexec_b64 s[0:1], vcc
	s_cbranch_execz .LBB96_41
; %bb.40:
	ds_read_u8 v6, v3 offset:2048
	s_andn2_b64 s[2:3], s[2:3], exec
	s_waitcnt lgkmcnt(0)
	v_and_b32_e32 v6, 1, v6
	v_cmp_eq_u32_e32 vcc, 1, v6
	s_xor_b64 s[6:7], vcc, -1
	s_and_b64 s[6:7], s[6:7], exec
	s_or_b64 s[2:3], s[2:3], s[6:7]
.LBB96_41:
	s_or_b64 exec, exec, s[0:1]
	s_and_saveexec_b64 s[0:1], s[2:3]
	s_cbranch_execz .LBB96_44
; %bb.42:
	ds_read_u8 v6, v3 offset:2112
	s_waitcnt lgkmcnt(0)
	v_cmp_ne_u16_e32 vcc, 0, v6
	s_and_b64 exec, exec, vcc
	s_cbranch_execz .LBB96_44
; %bb.43:
	ds_read_u8 v7, v3 offset:2048
	ds_write_b8 v3, v5
	ds_write_b8 v3, v4 offset:64
	ds_write_b8 v3, v6 offset:2048
	s_waitcnt lgkmcnt(3)
	ds_write_b8 v3, v7 offset:2112
.LBB96_44:
	s_or_b64 exec, exec, s[0:1]
	v_and_b32_e32 v3, 31, v0
	v_sub_u32_e32 v3, v2, v3
	v_add_u32_e32 v3, 1, v3
	s_waitcnt lgkmcnt(0)
	s_barrier
	ds_read_u8 v4, v3
	ds_read_u8 v5, v3 offset:32
	s_waitcnt lgkmcnt(0)
	v_cmp_ge_u16_e64 s[2:3], v4, v5
	v_cmp_lt_u16_e32 vcc, v4, v5
	s_and_saveexec_b64 s[0:1], vcc
	s_cbranch_execz .LBB96_46
; %bb.45:
	ds_read_u8 v6, v3 offset:2048
	s_andn2_b64 s[2:3], s[2:3], exec
	s_waitcnt lgkmcnt(0)
	v_and_b32_e32 v6, 1, v6
	v_cmp_eq_u32_e32 vcc, 1, v6
	s_xor_b64 s[6:7], vcc, -1
	s_and_b64 s[6:7], s[6:7], exec
	s_or_b64 s[2:3], s[2:3], s[6:7]
.LBB96_46:
	s_or_b64 exec, exec, s[0:1]
	s_and_saveexec_b64 s[0:1], s[2:3]
	s_cbranch_execz .LBB96_49
; %bb.47:
	ds_read_u8 v6, v3 offset:2080
	s_waitcnt lgkmcnt(0)
	v_cmp_ne_u16_e32 vcc, 0, v6
	s_and_b64 exec, exec, vcc
	s_cbranch_execz .LBB96_49
; %bb.48:
	ds_read_u8 v7, v3 offset:2048
	ds_write_b8 v3, v5
	ds_write_b8 v3, v4 offset:32
	ds_write_b8 v3, v6 offset:2048
	s_waitcnt lgkmcnt(3)
	ds_write_b8 v3, v7 offset:2080
.LBB96_49:
	;; [unrolled: 40-line block ×6, first 2 shown]
	s_or_b64 exec, exec, s[0:1]
	v_add_u32_e32 v4, 1, v2
	s_waitcnt lgkmcnt(0)
	s_barrier
	ds_read_u8 v3, v4
	ds_read_u8 v6, v4 offset:1
	s_add_i32 s10, 1, 0x800
	s_waitcnt lgkmcnt(0)
	v_cmp_ge_u16_e64 s[2:3], v3, v6
	v_cmp_lt_u16_e32 vcc, v3, v6
	s_and_saveexec_b64 s[0:1], vcc
	s_cbranch_execz .LBB96_71
; %bb.70:
	ds_read_u8 v5, v4 offset:2048
	s_andn2_b64 s[2:3], s[2:3], exec
	s_waitcnt lgkmcnt(0)
	v_and_b32_e32 v5, 1, v5
	v_cmp_eq_u32_e32 vcc, 1, v5
	s_xor_b64 s[6:7], vcc, -1
	s_and_b64 s[6:7], s[6:7], exec
	s_or_b64 s[2:3], s[2:3], s[6:7]
.LBB96_71:
	s_or_b64 exec, exec, s[0:1]
	v_add_u32_e32 v5, s10, v2
	s_and_saveexec_b64 s[0:1], s[2:3]
	s_cbranch_execz .LBB96_74
; %bb.72:
	ds_read_u8 v7, v5 offset:1
	s_waitcnt lgkmcnt(0)
	v_cmp_ne_u16_e32 vcc, 0, v7
	s_and_b64 exec, exec, vcc
	s_cbranch_execz .LBB96_74
; %bb.73:
	ds_read_u8 v8, v4 offset:2048
	ds_write_b8 v4, v6
	ds_write_b8 v4, v3 offset:1
	ds_write_b8 v4, v7 offset:2048
	s_waitcnt lgkmcnt(3)
	ds_write_b8 v5, v8 offset:1
.LBB96_74:
	s_or_b64 exec, exec, s[0:1]
	v_cmp_eq_u32_e32 vcc, 0, v0
	s_waitcnt lgkmcnt(0)
	s_barrier
	s_barrier
	s_and_saveexec_b64 s[0:1], vcc
	s_cbranch_execz .LBB96_76
; %bb.75:
	v_mov_b32_e32 v3, 1
	v_mov_b32_e32 v6, 0
	ds_write_b8 v3, v3 offset:2052
	ds_write_b32 v3, v6 offset:2048
.LBB96_76:
	s_or_b64 exec, exec, s[0:1]
	ds_read_u8 v3, v4
	ds_read_u8 v7, v4 offset:1
	v_mad_u32_u24 v8, v0, 14, v5
	v_mul_u32_u24_e32 v6, 14, v0
	s_waitcnt lgkmcnt(0)
	v_cmp_ne_u16_e64 s[0:1], v3, v7
	v_cndmask_b32_e64 v9, 0, 1, s[0:1]
	v_cmp_eq_u16_e64 s[0:1], v3, v7
	v_cndmask_b32_e64 v3, 0, 1, s[0:1]
	s_movk_i32 s0, 0x3ff
	ds_write_b32 v8, v3 offset:8
	v_cmp_ne_u32_e64 s[2:3], s0, v0
	v_mov_b32_e32 v3, 0x800
	ds_write_b8 v8, v9 offset:12
	s_and_saveexec_b64 s[6:7], s[2:3]
	s_cbranch_execz .LBB96_78
; %bb.77:
	ds_read_u8 v8, v4 offset:2
	v_add_u32_e32 v3, 2, v2
	v_lshl_add_u32 v9, v2, 3, s10
	s_waitcnt lgkmcnt(0)
	v_cmp_ne_u16_e64 s[0:1], v7, v8
	v_cndmask_b32_e64 v10, 0, 1, s[0:1]
	v_cmp_eq_u16_e64 s[0:1], v7, v8
	v_cndmask_b32_e64 v7, 0, 1, s[0:1]
	ds_write_b8 v9, v10 offset:20
	ds_write_b32 v9, v7 offset:16
.LBB96_78:
	s_or_b64 exec, exec, s[6:7]
	v_add_u32_e32 v5, v5, v6
	s_waitcnt lgkmcnt(0)
	s_barrier
	ds_read_u8 v7, v5 offset:12
	v_add_u32_e32 v4, v4, v6
	ds_read_b32 v6, v4 offset:2048
	ds_read_b32 v8, v5 offset:8
	ds_read_u8 v9, v4 offset:2052
	s_waitcnt lgkmcnt(3)
	v_and_b32_e32 v10, 1, v7
	v_cmp_eq_u32_e64 s[0:1], 1, v10
	s_waitcnt lgkmcnt(2)
	v_cndmask_b32_e64 v6, v6, 0, s[0:1]
	s_waitcnt lgkmcnt(0)
	v_or_b32_e32 v7, v9, v7
	v_add_u32_e32 v6, v6, v8
	v_and_b32_e32 v7, 1, v7
	ds_write2_b32 v5, v6, v7 offset0:2 offset1:3
	v_lshlrev_b32_e32 v6, 1, v3
	s_movk_i32 s0, 0x200
	v_add_u32_e32 v7, -1, v6
	v_cmp_gt_u32_e64 s[0:1], s0, v0
	s_waitcnt lgkmcnt(0)
	s_barrier
	s_and_saveexec_b64 s[6:7], s[0:1]
	s_cbranch_execz .LBB96_80
; %bb.79:
	v_lshl_add_u32 v8, v7, 3, 1
	ds_read_b32 v9, v8 offset:2048
	ds_read_u8 v10, v8 offset:2052
	v_lshl_add_u32 v11, v6, 3, 1
	ds_read_b32 v12, v11 offset:2024
	ds_read_u8 v11, v11 offset:2028
	v_add_u32_e32 v8, 0x800, v8
	s_waitcnt lgkmcnt(2)
	v_and_b32_e32 v13, 1, v10
	v_cmp_eq_u32_e64 s[0:1], 1, v13
	s_waitcnt lgkmcnt(1)
	v_cndmask_b32_e64 v12, v12, 0, s[0:1]
	s_waitcnt lgkmcnt(0)
	v_or_b32_e32 v10, v11, v10
	v_add_u32_e32 v9, v12, v9
	v_and_b32_e32 v10, 1, v10
	ds_write2_b32 v8, v9, v10 offset1:1
.LBB96_80:
	s_or_b64 exec, exec, s[6:7]
	s_movk_i32 s0, 0x100
	v_lshlrev_b32_e32 v8, 2, v3
	v_add_u32_e32 v7, v7, v6
	v_cmp_gt_u32_e64 s[0:1], s0, v0
	s_waitcnt lgkmcnt(0)
	s_barrier
	s_and_saveexec_b64 s[6:7], s[0:1]
	s_cbranch_execz .LBB96_82
; %bb.81:
	v_lshl_add_u32 v9, v7, 3, 1
	ds_read_b32 v10, v9 offset:2048
	ds_read_u8 v11, v9 offset:2052
	v_lshl_add_u32 v12, v8, 3, 1
	ds_read_b32 v13, v12 offset:2008
	ds_read_u8 v12, v12 offset:2012
	v_add_u32_e32 v9, 0x800, v9
	s_waitcnt lgkmcnt(2)
	v_and_b32_e32 v14, 1, v11
	v_cmp_eq_u32_e64 s[0:1], 1, v14
	s_waitcnt lgkmcnt(1)
	v_cndmask_b32_e64 v13, v13, 0, s[0:1]
	s_waitcnt lgkmcnt(0)
	v_or_b32_e32 v11, v12, v11
	v_add_u32_e32 v10, v13, v10
	v_and_b32_e32 v11, 1, v11
	ds_write2_b32 v9, v10, v11 offset1:1
.LBB96_82:
	s_or_b64 exec, exec, s[6:7]
	s_movk_i32 s0, 0x80
	v_lshlrev_b32_e32 v10, 3, v3
	v_add_u32_e32 v9, v7, v8
	v_cmp_gt_u32_e64 s[0:1], s0, v0
	s_waitcnt lgkmcnt(0)
	s_barrier
	s_and_saveexec_b64 s[6:7], s[0:1]
	s_cbranch_execz .LBB96_84
; %bb.83:
	v_lshl_add_u32 v11, v9, 3, 1
	ds_read_b32 v12, v11 offset:2048
	ds_read_u8 v13, v11 offset:2052
	v_lshl_add_u32 v14, v10, 3, 1
	ds_read_b32 v15, v14 offset:1976
	ds_read_u8 v14, v14 offset:1980
	v_add_u32_e32 v11, 0x800, v11
	s_waitcnt lgkmcnt(2)
	v_and_b32_e32 v16, 1, v13
	v_cmp_eq_u32_e64 s[0:1], 1, v16
	s_waitcnt lgkmcnt(1)
	v_cndmask_b32_e64 v15, v15, 0, s[0:1]
	s_waitcnt lgkmcnt(0)
	v_or_b32_e32 v13, v14, v13
	v_add_u32_e32 v12, v15, v12
	v_and_b32_e32 v13, 1, v13
	ds_write2_b32 v11, v12, v13 offset1:1
.LBB96_84:
	s_or_b64 exec, exec, s[6:7]
	v_lshlrev_b32_e32 v12, 4, v3
	v_add_u32_e32 v11, v9, v10
	v_cmp_gt_u32_e64 s[0:1], 64, v0
	s_waitcnt lgkmcnt(0)
	s_barrier
	s_and_saveexec_b64 s[8:9], s[0:1]
	s_cbranch_execz .LBB96_86
; %bb.85:
	v_lshl_add_u32 v13, v11, 3, 1
	ds_read_b32 v14, v13 offset:2048
	ds_read_u8 v15, v13 offset:2052
	v_lshl_add_u32 v16, v12, 3, 1
	ds_read_b32 v17, v16 offset:1912
	ds_read_u8 v16, v16 offset:1916
	v_add_u32_e32 v13, 0x800, v13
	s_waitcnt lgkmcnt(2)
	v_and_b32_e32 v18, 1, v15
	v_cmp_eq_u32_e64 s[6:7], 1, v18
	s_waitcnt lgkmcnt(1)
	v_cndmask_b32_e64 v17, v17, 0, s[6:7]
	s_waitcnt lgkmcnt(0)
	v_or_b32_e32 v15, v16, v15
	v_add_u32_e32 v14, v17, v14
	v_and_b32_e32 v15, 1, v15
	ds_write2_b32 v13, v14, v15 offset1:1
.LBB96_86:
	s_or_b64 exec, exec, s[8:9]
	;; [unrolled: 27-line block ×5, first 2 shown]
	v_lshlrev_b32_e32 v20, 8, v3
	v_add_u32_e32 v19, v17, v18
	v_cmp_gt_u32_e64 s[6:7], 4, v0
	s_waitcnt lgkmcnt(0)
	s_barrier
	s_and_saveexec_b64 s[8:9], s[6:7]
	s_cbranch_execz .LBB96_94
; %bb.93:
	v_lshl_add_u32 v21, v19, 3, 1
	v_add_u32_e32 v22, 0x800, v21
	v_lshl_add_u32 v23, v20, 3, 1
	ds_read_b32 v24, v21 offset:2048
	ds_read_u8 v21, v21 offset:2052
	v_add_u32_e32 v25, -8, v23
	v_add_u32_e32 v23, -4, v23
	ds_read_b32 v25, v25
	ds_read_u8 v23, v23
	s_waitcnt lgkmcnt(2)
	v_and_b32_e32 v26, 1, v21
	v_cmp_eq_u32_e64 s[6:7], 1, v26
	s_waitcnt lgkmcnt(1)
	v_cndmask_b32_e64 v25, v25, 0, s[6:7]
	s_waitcnt lgkmcnt(0)
	v_or_b32_e32 v21, v23, v21
	v_add_u32_e32 v24, v25, v24
	v_and_b32_e32 v21, 1, v21
	ds_write2_b32 v22, v24, v21 offset1:1
.LBB96_94:
	s_or_b64 exec, exec, s[8:9]
	v_add_u32_e32 v21, v19, v20
	v_cmp_gt_u32_e64 s[6:7], 2, v0
	v_lshl_add_u32 v21, v21, 3, 1
	s_waitcnt lgkmcnt(0)
	s_barrier
	s_and_saveexec_b64 s[8:9], s[6:7]
	s_cbranch_execz .LBB96_96
; %bb.95:
	v_lshl_add_u32 v23, v3, 12, 1
	v_add_u32_e32 v24, 0xfffff7f8, v23
	ds_read_u8 v25, v21 offset:2052
	ds_read_b32 v24, v24
	v_add_u32_e32 v23, 0xfffff7fc, v23
	ds_read_b32 v26, v21 offset:2048
	ds_read_u8 v23, v23
	v_add_u32_e32 v22, 0x800, v21
	s_waitcnt lgkmcnt(3)
	v_and_b32_e32 v27, 1, v25
	v_cmp_eq_u32_e64 s[6:7], 1, v27
	s_waitcnt lgkmcnt(2)
	v_cndmask_b32_e64 v24, v24, 0, s[6:7]
	s_waitcnt lgkmcnt(0)
	v_or_b32_e32 v23, v23, v25
	v_add_u32_e32 v24, v24, v26
	v_and_b32_e32 v23, 1, v23
	ds_write2_b32 v22, v24, v23 offset1:1
.LBB96_96:
	s_or_b64 exec, exec, s[8:9]
	s_waitcnt lgkmcnt(0)
	s_barrier
	s_and_saveexec_b64 s[8:9], vcc
	s_cbranch_execz .LBB96_98
; %bb.97:
	v_mov_b32_e32 v24, 1
	s_movk_i32 s6, 0xf8
	ds_read_u8 v25, v24 offset:18428
	v_add_u32_e64 v22, s6, 1
	ds_read2st64_b32 v[22:23], v22 offset0:39 offset1:71
	ds_read_u8 v24, v24 offset:10236
	s_add_i32 s11, 1, 0x47f8
	s_waitcnt lgkmcnt(2)
	v_and_b32_e32 v26, 1, v25
	v_cmp_eq_u32_e64 s[6:7], 1, v26
	s_waitcnt lgkmcnt(1)
	v_cndmask_b32_e64 v22, v22, 0, s[6:7]
	v_add_u32_e32 v22, v22, v23
	s_waitcnt lgkmcnt(0)
	v_or_b32_e32 v23, v24, v25
	v_and_b32_e32 v23, 1, v23
	v_mov_b32_e32 v24, s11
	ds_write2_b32 v24, v22, v23 offset1:1
.LBB96_98:
	s_or_b64 exec, exec, s[8:9]
	s_waitcnt lgkmcnt(0)
	s_barrier
	s_and_saveexec_b64 s[8:9], vcc
	s_cbranch_execz .LBB96_100
; %bb.99:
	v_mov_b32_e32 v22, 1
	ds_read_u8 v23, v22 offset:14332
	ds_read_b32 v22, v22 offset:14328
	ds_read_b32 v24, v21 offset:2048
	ds_read_u8 v21, v21 offset:2052
	s_add_i32 s11, 1, 0x37f8
	s_waitcnt lgkmcnt(3)
	v_and_b32_e32 v25, 1, v23
	v_cmp_eq_u32_e64 s[6:7], 1, v25
	s_waitcnt lgkmcnt(1)
	v_cndmask_b32_e64 v24, v24, 0, s[6:7]
	s_waitcnt lgkmcnt(0)
	v_or_b32_e32 v21, v21, v23
	v_add_u32_e32 v22, v24, v22
	v_and_b32_e32 v21, 1, v21
	v_mov_b32_e32 v23, s11
	ds_write2_b32 v23, v22, v21 offset1:1
.LBB96_100:
	s_or_b64 exec, exec, s[8:9]
	v_cmp_gt_u32_e64 s[6:7], 3, v0
	s_waitcnt lgkmcnt(0)
	s_barrier
	s_and_saveexec_b64 s[8:9], s[6:7]
	s_cbranch_execz .LBB96_102
; %bb.101:
	v_lshl_add_u32 v20, v20, 3, s10
	ds_read_b32 v21, v20 offset:2040
	ds_read_u8 v22, v20 offset:2044
	v_lshl_add_u32 v19, v19, 3, s10
	ds_read_b32 v23, v19
	ds_read_u8 v19, v19 offset:4
	v_add_u32_e32 v20, 0x7f8, v20
	s_waitcnt lgkmcnt(2)
	v_and_b32_e32 v24, 1, v22
	v_cmp_eq_u32_e64 s[6:7], 1, v24
	s_waitcnt lgkmcnt(1)
	v_cndmask_b32_e64 v23, v23, 0, s[6:7]
	s_waitcnt lgkmcnt(0)
	v_or_b32_e32 v19, v19, v22
	v_add_u32_e32 v21, v23, v21
	v_and_b32_e32 v19, 1, v19
	ds_write2_b32 v20, v21, v19 offset1:1
.LBB96_102:
	s_or_b64 exec, exec, s[8:9]
	v_cmp_gt_u32_e64 s[6:7], 7, v0
	s_waitcnt lgkmcnt(0)
	s_barrier
	s_and_saveexec_b64 s[8:9], s[6:7]
	s_cbranch_execz .LBB96_104
; %bb.103:
	v_lshl_add_u32 v18, v18, 3, s10
	ds_read_u8 v19, v18 offset:1020
	v_lshl_add_u32 v17, v17, 3, s10
	ds_read_b32 v20, v17
	ds_read_b32 v21, v18 offset:1016
	ds_read_u8 v17, v17 offset:4
	s_waitcnt lgkmcnt(3)
	v_and_b32_e32 v22, 1, v19
	v_cmp_eq_u32_e64 s[6:7], 1, v22
	s_waitcnt lgkmcnt(2)
	v_cndmask_b32_e64 v20, v20, 0, s[6:7]
	s_waitcnt lgkmcnt(0)
	v_or_b32_e32 v17, v17, v19
	v_add_u32_e32 v20, v20, v21
	v_and_b32_e32 v17, 1, v17
	ds_write2_b32 v18, v20, v17 offset0:254 offset1:255
.LBB96_104:
	s_or_b64 exec, exec, s[8:9]
	v_cmp_gt_u32_e64 s[6:7], 15, v0
	s_waitcnt lgkmcnt(0)
	s_barrier
	s_and_saveexec_b64 s[8:9], s[6:7]
	s_cbranch_execz .LBB96_106
; %bb.105:
	v_lshl_add_u32 v16, v16, 3, s10
	ds_read_u8 v17, v16 offset:508
	v_lshl_add_u32 v15, v15, 3, s10
	ds_read_b32 v18, v15
	ds_read_b32 v19, v16 offset:504
	ds_read_u8 v15, v15 offset:4
	s_waitcnt lgkmcnt(3)
	v_and_b32_e32 v20, 1, v17
	v_cmp_eq_u32_e64 s[6:7], 1, v20
	s_waitcnt lgkmcnt(2)
	v_cndmask_b32_e64 v18, v18, 0, s[6:7]
	s_waitcnt lgkmcnt(0)
	v_or_b32_e32 v15, v15, v17
	v_add_u32_e32 v18, v18, v19
	v_and_b32_e32 v15, 1, v15
	ds_write2_b32 v16, v18, v15 offset0:126 offset1:127
.LBB96_106:
	;; [unrolled: 24-line block ×4, first 2 shown]
	s_or_b64 exec, exec, s[8:9]
	s_movk_i32 s6, 0x7f
	v_cmp_gt_u32_e64 s[6:7], s6, v0
	s_waitcnt lgkmcnt(0)
	s_barrier
	s_and_saveexec_b64 s[8:9], s[6:7]
	s_cbranch_execz .LBB96_112
; %bb.111:
	v_lshl_add_u32 v10, v10, 3, s10
	ds_read_u8 v11, v10 offset:60
	v_lshl_add_u32 v9, v9, 3, s10
	ds_read_b32 v12, v9
	ds_read_b32 v13, v10 offset:56
	ds_read_u8 v9, v9 offset:4
	s_waitcnt lgkmcnt(3)
	v_and_b32_e32 v14, 1, v11
	v_cmp_eq_u32_e64 s[6:7], 1, v14
	s_waitcnt lgkmcnt(2)
	v_cndmask_b32_e64 v12, v12, 0, s[6:7]
	s_waitcnt lgkmcnt(0)
	v_or_b32_e32 v9, v9, v11
	v_add_u32_e32 v12, v12, v13
	v_and_b32_e32 v9, 1, v9
	ds_write2_b32 v10, v12, v9 offset0:14 offset1:15
.LBB96_112:
	s_or_b64 exec, exec, s[8:9]
	s_movk_i32 s6, 0xff
	v_cmp_gt_u32_e64 s[6:7], s6, v0
	s_waitcnt lgkmcnt(0)
	s_barrier
	s_and_saveexec_b64 s[8:9], s[6:7]
	s_cbranch_execz .LBB96_114
; %bb.113:
	v_lshl_add_u32 v8, v8, 3, s10
	ds_read_u8 v9, v8 offset:28
	v_lshl_add_u32 v7, v7, 3, s10
	ds_read_b32 v10, v7
	ds_read_b32 v11, v8 offset:24
	ds_read_u8 v7, v7 offset:4
	s_waitcnt lgkmcnt(3)
	v_and_b32_e32 v12, 1, v9
	v_cmp_eq_u32_e64 s[6:7], 1, v12
	s_waitcnt lgkmcnt(2)
	v_cndmask_b32_e64 v10, v10, 0, s[6:7]
	s_waitcnt lgkmcnt(0)
	v_or_b32_e32 v7, v7, v9
	v_add_u32_e32 v10, v10, v11
	v_and_b32_e32 v7, 1, v7
	ds_write2_b32 v8, v10, v7 offset0:6 offset1:7
.LBB96_114:
	s_or_b64 exec, exec, s[8:9]
	s_movk_i32 s6, 0x1ff
	v_cmp_gt_u32_e64 s[6:7], s6, v0
	s_waitcnt lgkmcnt(0)
	s_barrier
	s_and_saveexec_b64 s[8:9], s[6:7]
	s_cbranch_execz .LBB96_116
; %bb.115:
	v_lshl_add_u32 v6, v6, 3, s10
	ds_read_u8 v7, v6 offset:12
	v_add_u32_e32 v8, -8, v6
	ds_read_b32 v9, v8
	ds_read_b32 v10, v6 offset:8
	ds_read_u8 v8, v8 offset:4
	s_waitcnt lgkmcnt(3)
	v_and_b32_e32 v11, 1, v7
	v_cmp_eq_u32_e64 s[6:7], 1, v11
	s_waitcnt lgkmcnt(2)
	v_cndmask_b32_e64 v9, v9, 0, s[6:7]
	s_waitcnt lgkmcnt(0)
	v_or_b32_e32 v7, v8, v7
	v_add_u32_e32 v9, v9, v10
	v_and_b32_e32 v7, 1, v7
	ds_write2_b32 v6, v9, v7 offset0:2 offset1:3
.LBB96_116:
	s_or_b64 exec, exec, s[8:9]
	s_waitcnt lgkmcnt(0)
	s_barrier
	s_and_saveexec_b64 s[6:7], s[2:3]
	s_cbranch_execz .LBB96_118
; %bb.117:
	v_lshl_add_u32 v3, v3, 3, 1
	ds_read_u8 v6, v3 offset:2052
	ds_read_b32 v7, v5 offset:8
	v_add_u32_e32 v8, 0x800, v3
	ds_read_b32 v3, v3 offset:2048
	ds_read_u8 v9, v5 offset:12
	s_waitcnt lgkmcnt(3)
	v_and_b32_e32 v10, 1, v6
	v_cmp_eq_u32_e64 s[2:3], 1, v10
	s_waitcnt lgkmcnt(2)
	v_cndmask_b32_e64 v7, v7, 0, s[2:3]
	s_waitcnt lgkmcnt(0)
	v_or_b32_e32 v6, v9, v6
	v_add_u32_e32 v3, v7, v3
	v_and_b32_e32 v6, 1, v6
	ds_write2_b32 v8, v3, v6 offset1:1
.LBB96_118:
	s_or_b64 exec, exec, s[6:7]
	s_waitcnt lgkmcnt(0)
	s_barrier
	ds_read_b32 v3, v4 offset:2048
	ds_read_b32 v5, v5 offset:8
	v_mbcnt_lo_u32_b32 v8, -1, 0
	v_mbcnt_hi_u32_b32 v13, -1, v8
	v_and_b32_e32 v14, 63, v13
	v_or_b32_e32 v4, 1, v2
	v_cmp_gt_u32_e64 s[8:9], 32, v14
	v_cmp_gt_u32_e64 s[2:3], s16, v2
	;; [unrolled: 1-line block ×3, first 2 shown]
	v_cndmask_b32_e64 v8, 0, 1, s[8:9]
	s_waitcnt lgkmcnt(1)
	v_cndmask_b32_e64 v3, 0, v3, s[2:3]
	s_waitcnt lgkmcnt(0)
	v_cndmask_b32_e64 v5, 0, v5, s[6:7]
	v_lshlrev_b32_e32 v8, 5, v8
	v_cndmask_b32_e64 v6, 0, v2, s[2:3]
	v_max_u32_e32 v7, v5, v3
	v_add_lshl_u32 v8, v8, v13, 2
	v_cndmask_b32_e64 v9, 0, v4, s[6:7]
	v_cmp_gt_u32_e64 s[8:9], v5, v3
	ds_bpermute_b32 v10, v8, v7
	v_cndmask_b32_e64 v3, v6, v9, s[8:9]
	ds_bpermute_b32 v5, v8, v3
	v_cmp_gt_u32_e64 s[8:9], 48, v14
	v_cndmask_b32_e64 v9, 0, 1, s[8:9]
	v_lshlrev_b32_e32 v9, 4, v9
	s_waitcnt lgkmcnt(1)
	v_max_u32_e32 v6, v10, v7
	v_add_lshl_u32 v9, v9, v13, 2
	v_cmp_gt_u32_e64 s[8:9], v10, v7
	ds_bpermute_b32 v11, v9, v6
	s_waitcnt lgkmcnt(1)
	v_cndmask_b32_e64 v3, v3, v5, s[8:9]
	ds_bpermute_b32 v5, v9, v3
	v_cmp_gt_u32_e64 s[8:9], 56, v14
	v_cndmask_b32_e64 v10, 0, 1, s[8:9]
	v_lshlrev_b32_e32 v10, 3, v10
	s_waitcnt lgkmcnt(1)
	v_max_u32_e32 v7, v11, v6
	v_add_lshl_u32 v10, v10, v13, 2
	v_cmp_gt_u32_e64 s[8:9], v11, v6
	ds_bpermute_b32 v12, v10, v7
	s_waitcnt lgkmcnt(1)
	;; [unrolled: 11-line block ×4, first 2 shown]
	v_cndmask_b32_e64 v5, v3, v5, s[8:9]
	ds_bpermute_b32 v6, v12, v5
	s_waitcnt lgkmcnt(0)
	s_barrier
	v_cmp_gt_u32_e64 s[8:9], v16, v7
	v_max_u32_e32 v3, v16, v7
	v_cndmask_b32_e64 v5, v5, v6, s[8:9]
	v_cmp_ne_u32_e64 s[8:9], 63, v14
	v_addc_co_u32_e64 v6, s[8:9], 0, v13, s[8:9]
	v_lshlrev_b32_e32 v13, 2, v6
	ds_bpermute_b32 v6, v13, v5
	ds_bpermute_b32 v7, v13, v3
	v_cmp_eq_u32_e64 s[8:9], 0, v1
	s_waitcnt lgkmcnt(0)
	s_barrier
	s_and_saveexec_b64 s[12:13], s[8:9]
	s_cbranch_execz .LBB96_120
; %bb.119:
	v_lshrrev_b32_e32 v14, 3, v0
	v_add_u32_e32 v14, 1, v14
	v_cmp_gt_u32_e64 s[10:11], v7, v3
	v_add_u32_e32 v14, 0x800, v14
	v_cndmask_b32_e64 v5, v5, v6, s[10:11]
	v_max_u32_e32 v3, v7, v3
	ds_write2_b32 v14, v3, v5 offset1:1
.LBB96_120:
	s_or_b64 exec, exec, s[12:13]
	s_lshr_b32 s10, s22, 6
	v_cmp_gt_u32_e64 s[10:11], s10, v0
	v_lshl_add_u32 v14, v1, 3, 1
	v_mov_b32_e32 v3, 0
	v_mov_b32_e32 v5, 0
	s_waitcnt lgkmcnt(0)
	s_barrier
	s_and_saveexec_b64 s[12:13], s[10:11]
	s_cbranch_execnz .LBB96_143
; %bb.121:
	s_or_b64 exec, exec, s[12:13]
	s_and_saveexec_b64 s[12:13], s[10:11]
	s_cbranch_execnz .LBB96_144
.LBB96_122:
	s_or_b64 exec, exec, s[12:13]
	s_and_saveexec_b64 s[22:23], s[0:1]
	s_cbranch_execnz .LBB96_145
.LBB96_123:
	s_or_b64 exec, exec, s[22:23]
	s_and_saveexec_b64 s[12:13], vcc
	s_cbranch_execz .LBB96_125
.LBB96_124:
	s_waitcnt lgkmcnt(0)
	v_add_u32_e32 v3, 1, v3
	ds_read_u8 v3, v3
	v_mov_b32_e32 v5, 0
	s_waitcnt lgkmcnt(0)
	ds_write_b8 v5, v3
.LBB96_125:
	s_or_b64 exec, exec, s[12:13]
	s_mov_b32 s22, 0
	s_waitcnt lgkmcnt(0)
	v_mov_b32_e32 v3, 0
	s_mov_b32 s23, s22
	v_cmp_gt_i64_e64 s[12:13], s[16:17], v[2:3]
	v_pk_mov_b32 v[6:7], s[22:23], s[22:23] op_sel:[0,1]
	s_barrier
	s_and_saveexec_b64 s[22:23], s[12:13]
	s_cbranch_execz .LBB96_127
; %bb.126:
	v_add_u32_e32 v5, s19, v2
	global_load_ubyte v5, v5, s[20:21]
	ds_read_u8 v6, v3
	s_waitcnt vmcnt(0)
	v_cmp_ne_u16_e64 s[12:13], 0, v5
	v_cndmask_b32_e64 v5, 0, 1, s[12:13]
	s_waitcnt lgkmcnt(0)
	v_cmp_eq_u16_e64 s[12:13], v6, v5
	v_cndmask_b32_e64 v2, 0, v2, s[12:13]
	v_pk_mov_b32 v[6:7], v[2:3], v[2:3] op_sel:[0,1]
.LBB96_127:
	s_or_b64 exec, exec, s[22:23]
	v_mov_b32_e32 v5, v3
	v_cmp_gt_i64_e64 s[12:13], s[16:17], v[4:5]
	s_and_saveexec_b64 s[16:17], s[12:13]
	s_cbranch_execz .LBB96_129
; %bb.128:
	v_add_u32_e32 v2, s19, v4
	global_load_ubyte v2, v2, s[20:21]
	v_mov_b32_e32 v3, 0
	ds_read_u8 v3, v3
	s_waitcnt vmcnt(0)
	v_cmp_ne_u16_e64 s[12:13], 0, v2
	v_cndmask_b32_e64 v2, 0, 1, s[12:13]
	s_waitcnt lgkmcnt(0)
	v_cmp_eq_u16_e64 s[12:13], v3, v2
	v_cndmask_b32_e64 v7, 0, v4, s[12:13]
.LBB96_129:
	s_or_b64 exec, exec, s[16:17]
	v_cndmask_b32_e64 v2, 0, v6, s[2:3]
	v_cndmask_b32_e64 v3, 0, v7, s[6:7]
	v_max_u32_e32 v2, v3, v2
	ds_bpermute_b32 v3, v8, v2
	s_waitcnt lgkmcnt(0)
	s_barrier
	v_max_u32_e32 v2, v3, v2
	ds_bpermute_b32 v3, v9, v2
	s_waitcnt lgkmcnt(0)
	v_max_u32_e32 v2, v3, v2
	ds_bpermute_b32 v3, v10, v2
	s_waitcnt lgkmcnt(0)
	;; [unrolled: 3-line block ×4, first 2 shown]
	v_max_u32_e32 v2, v3, v2
	ds_bpermute_b32 v3, v13, v2
	s_and_saveexec_b64 s[2:3], s[8:9]
	s_cbranch_execz .LBB96_131
; %bb.130:
	v_lshrrev_b32_e32 v0, 4, v0
	v_add_u32_e32 v0, 1, v0
	s_waitcnt lgkmcnt(0)
	v_max_u32_e32 v2, v3, v2
	ds_write_b32 v0, v2
.LBB96_131:
	s_or_b64 exec, exec, s[2:3]
	v_mov_b32_e32 v0, 0
	s_waitcnt lgkmcnt(0)
	s_barrier
	s_and_saveexec_b64 s[2:3], s[10:11]
	s_cbranch_execnz .LBB96_146
; %bb.132:
	s_or_b64 exec, exec, s[2:3]
	s_and_saveexec_b64 s[2:3], s[0:1]
	s_cbranch_execnz .LBB96_147
.LBB96_133:
	s_or_b64 exec, exec, s[2:3]
	s_and_saveexec_b64 s[0:1], vcc
	s_cbranch_execnz .LBB96_148
.LBB96_134:
	s_endpgm
.LBB96_135:
	ds_read_u8 v5, v1 offset:2048
	s_andn2_b64 s[0:1], s[0:1], exec
	s_waitcnt lgkmcnt(0)
	v_and_b32_e32 v5, 1, v5
	v_cmp_eq_u32_e32 vcc, 1, v5
	s_xor_b64 s[8:9], vcc, -1
	s_and_b64 s[8:9], s[8:9], exec
	s_or_b64 s[0:1], s[0:1], s[8:9]
	s_or_b64 exec, exec, s[2:3]
	v_mov_b32_e32 v5, s6
	s_and_saveexec_b64 s[2:3], s[0:1]
	s_cbranch_execz .LBB96_25
.LBB96_136:
	ds_read_u8 v5, v1 offset:3072
	s_waitcnt lgkmcnt(0)
	v_xor_b32_e32 v5, 1, v5
	s_or_b64 exec, exec, s[2:3]
	v_cmp_eq_u32_e32 vcc, 0, v5
	s_and_saveexec_b64 s[0:1], vcc
	s_cbranch_execnz .LBB96_26
	s_branch .LBB96_27
.LBB96_137:
	ds_read_u8 v5, v1 offset:2048
	s_andn2_b64 s[0:1], s[0:1], exec
	s_waitcnt lgkmcnt(0)
	v_and_b32_e32 v5, 1, v5
	v_cmp_eq_u32_e32 vcc, 1, v5
	s_xor_b64 s[8:9], vcc, -1
	s_and_b64 s[8:9], s[8:9], exec
	s_or_b64 s[0:1], s[0:1], s[8:9]
	s_or_b64 exec, exec, s[2:3]
	v_mov_b32_e32 v5, s6
	s_and_saveexec_b64 s[2:3], s[0:1]
	s_cbranch_execz .LBB96_29
.LBB96_138:
	ds_read_u8 v5, v1 offset:2560
	s_waitcnt lgkmcnt(0)
	v_xor_b32_e32 v5, 1, v5
	s_or_b64 exec, exec, s[2:3]
	v_cmp_eq_u32_e32 vcc, 0, v5
	s_and_saveexec_b64 s[0:1], vcc
	s_cbranch_execnz .LBB96_30
	s_branch .LBB96_31
.LBB96_139:
	ds_read_u8 v5, v1 offset:2048
	s_andn2_b64 s[0:1], s[0:1], exec
	s_waitcnt lgkmcnt(0)
	v_and_b32_e32 v5, 1, v5
	v_cmp_eq_u32_e32 vcc, 1, v5
	s_xor_b64 s[8:9], vcc, -1
	s_and_b64 s[8:9], s[8:9], exec
	s_or_b64 s[0:1], s[0:1], s[8:9]
	s_or_b64 exec, exec, s[2:3]
	v_mov_b32_e32 v5, s6
	s_and_saveexec_b64 s[2:3], s[0:1]
	s_cbranch_execz .LBB96_33
.LBB96_140:
	ds_read_u8 v5, v1 offset:2304
	s_waitcnt lgkmcnt(0)
	v_xor_b32_e32 v5, 1, v5
	s_or_b64 exec, exec, s[2:3]
	v_cmp_eq_u32_e32 vcc, 0, v5
	s_and_saveexec_b64 s[0:1], vcc
	s_cbranch_execnz .LBB96_34
	s_branch .LBB96_35
.LBB96_141:
	ds_read_u8 v5, v1 offset:2048
	s_andn2_b64 s[0:1], s[0:1], exec
	s_waitcnt lgkmcnt(0)
	v_and_b32_e32 v5, 1, v5
	v_cmp_eq_u32_e32 vcc, 1, v5
	s_xor_b64 s[8:9], vcc, -1
	s_and_b64 s[8:9], s[8:9], exec
	s_or_b64 s[0:1], s[0:1], s[8:9]
	s_or_b64 exec, exec, s[2:3]
	v_mov_b32_e32 v5, s6
	s_and_saveexec_b64 s[2:3], s[0:1]
	s_cbranch_execz .LBB96_37
.LBB96_142:
	ds_read_u8 v5, v1 offset:2176
	s_waitcnt lgkmcnt(0)
	v_xor_b32_e32 v5, 1, v5
	s_or_b64 exec, exec, s[2:3]
	v_cmp_eq_u32_e32 vcc, 0, v5
	s_and_saveexec_b64 s[0:1], vcc
	s_cbranch_execnz .LBB96_38
	s_branch .LBB96_39
.LBB96_143:
	ds_read_b32 v5, v14 offset:2048
	s_or_b64 exec, exec, s[12:13]
	s_and_saveexec_b64 s[12:13], s[10:11]
	s_cbranch_execz .LBB96_122
.LBB96_144:
	ds_read_b32 v3, v14 offset:2052
	s_or_b64 exec, exec, s[12:13]
	s_and_saveexec_b64 s[22:23], s[0:1]
	s_cbranch_execz .LBB96_123
.LBB96_145:
	s_waitcnt lgkmcnt(0)
	ds_bpermute_b32 v6, v8, v5
	ds_bpermute_b32 v7, v8, v3
	s_waitcnt lgkmcnt(1)
	v_max_u32_e32 v15, v6, v5
	v_cmp_gt_u32_e64 s[12:13], v6, v5
	ds_bpermute_b32 v16, v9, v15
	s_waitcnt lgkmcnt(1)
	v_cndmask_b32_e64 v3, v3, v7, s[12:13]
	ds_bpermute_b32 v5, v9, v3
	s_waitcnt lgkmcnt(1)
	v_max_u32_e32 v6, v16, v15
	v_cmp_gt_u32_e64 s[12:13], v16, v15
	ds_bpermute_b32 v7, v10, v6
	s_waitcnt lgkmcnt(1)
	v_cndmask_b32_e64 v3, v3, v5, s[12:13]
	ds_bpermute_b32 v5, v10, v3
	s_waitcnt lgkmcnt(1)
	v_max_u32_e32 v15, v7, v6
	v_cmp_gt_u32_e64 s[12:13], v7, v6
	ds_bpermute_b32 v16, v11, v15
	s_waitcnt lgkmcnt(1)
	v_cndmask_b32_e64 v3, v3, v5, s[12:13]
	ds_bpermute_b32 v5, v11, v3
	s_waitcnt lgkmcnt(1)
	v_max_u32_e32 v6, v16, v15
	v_cmp_gt_u32_e64 s[12:13], v16, v15
	ds_bpermute_b32 v7, v12, v6
	s_waitcnt lgkmcnt(1)
	v_cndmask_b32_e64 v3, v3, v5, s[12:13]
	ds_bpermute_b32 v5, v12, v3
	s_waitcnt lgkmcnt(1)
	v_max_u32_e32 v15, v7, v6
	v_cmp_gt_u32_e64 s[12:13], v7, v6
	s_waitcnt lgkmcnt(0)
	v_cndmask_b32_e64 v3, v3, v5, s[12:13]
	ds_bpermute_b32 v5, v13, v15
	ds_bpermute_b32 v6, v13, v3
	s_waitcnt lgkmcnt(1)
	v_cmp_gt_u32_e64 s[12:13], v5, v15
	s_waitcnt lgkmcnt(0)
	v_cndmask_b32_e64 v3, v3, v6, s[12:13]
	s_or_b64 exec, exec, s[22:23]
	s_and_saveexec_b64 s[12:13], vcc
	s_cbranch_execnz .LBB96_124
	s_branch .LBB96_125
.LBB96_146:
	v_lshlrev_b32_e32 v0, 2, v1
	v_sub_u32_e32 v0, v14, v0
	ds_read_b32 v0, v0
	s_or_b64 exec, exec, s[2:3]
	s_and_saveexec_b64 s[2:3], s[0:1]
	s_cbranch_execz .LBB96_133
.LBB96_147:
	s_waitcnt lgkmcnt(0)
	ds_bpermute_b32 v1, v8, v0
	s_waitcnt lgkmcnt(0)
	v_max_u32_e32 v0, v1, v0
	ds_bpermute_b32 v1, v9, v0
	s_waitcnt lgkmcnt(0)
	v_max_u32_e32 v0, v1, v0
	;; [unrolled: 3-line block ×6, first 2 shown]
	s_or_b64 exec, exec, s[2:3]
	s_and_saveexec_b64 s[0:1], vcc
	s_cbranch_execz .LBB96_134
.LBB96_148:
	s_load_dword s2, s[4:5], 0xd8
	s_add_u32 s0, s4, 8
	s_addc_u32 s1, s5, 0
	s_mov_b32 s3, 0
	s_waitcnt lgkmcnt(0)
	s_cmp_lt_i32 s2, 2
	s_cbranch_scc1 .LBB96_151
; %bb.149:
	s_add_i32 s6, s2, 1
	s_add_i32 s2, s2, -1
	s_lshl_b64 s[4:5], s[2:3], 2
	s_add_u32 s2, s4, s0
	s_addc_u32 s5, s5, s1
	s_add_u32 s4, s2, 8
	s_addc_u32 s5, s5, 0
.LBB96_150:                             ; =>This Inner Loop Header: Depth=1
	s_load_dword s2, s[4:5], 0x0
	s_load_dword s8, s[4:5], 0x64
	s_mov_b32 s7, s18
	s_waitcnt lgkmcnt(0)
	v_cvt_f32_u32_e32 v1, s2
	s_sub_i32 s9, 0, s2
	v_rcp_iflag_f32_e32 v1, v1
	v_mul_f32_e32 v1, 0x4f7ffffe, v1
	v_cvt_u32_f32_e32 v1, v1
	v_readfirstlane_b32 s10, v1
	s_mul_i32 s9, s9, s10
	s_mul_hi_u32 s9, s10, s9
	s_add_i32 s10, s10, s9
	s_mul_hi_u32 s9, s18, s10
	s_mul_i32 s10, s9, s2
	s_sub_i32 s10, s18, s10
	s_add_i32 s11, s9, 1
	s_sub_i32 s12, s10, s2
	s_cmp_ge_u32 s10, s2
	s_cselect_b32 s9, s11, s9
	s_cselect_b32 s10, s12, s10
	s_add_i32 s11, s9, 1
	s_cmp_ge_u32 s10, s2
	s_cselect_b32 s18, s11, s9
	s_mul_i32 s2, s18, s2
	s_sub_i32 s2, s7, s2
	s_mul_i32 s2, s8, s2
	s_add_i32 s6, s6, -1
	s_add_i32 s3, s2, s3
	s_add_u32 s4, s4, -4
	s_addc_u32 s5, s5, -1
	s_cmp_gt_u32 s6, 2
	s_cbranch_scc1 .LBB96_150
.LBB96_151:
	s_load_dword s2, s[0:1], 0x6c
	v_mov_b32_e32 v1, 0
	s_load_dwordx2 s[0:1], s[0:1], 0x0
	ds_read_u8 v2, v1
	s_mov_b32 s5, 0
	s_waitcnt lgkmcnt(0)
	s_mul_i32 s2, s2, s18
	s_add_i32 s4, s2, s3
	v_mov_b32_e32 v3, s4
	global_store_byte v3, v2, s[0:1]
	s_lshl_b64 s[0:1], s[4:5], 3
	s_add_u32 s0, s14, s0
	s_addc_u32 s1, s15, s1
	global_store_dwordx2 v1, v[0:1], s[0:1]
	s_endpgm
	.section	.rodata,"a",@progbits
	.p2align	6, 0x0
	.amdhsa_kernel _ZN2at6native12compute_modeIbLj2048EEEvPKT_NS_4cuda6detail10TensorInfoIS2_jEENS7_IljEEll
		.amdhsa_group_segment_fixed_size 1
		.amdhsa_private_segment_fixed_size 0
		.amdhsa_kernarg_size 712
		.amdhsa_user_sgpr_count 6
		.amdhsa_user_sgpr_private_segment_buffer 1
		.amdhsa_user_sgpr_dispatch_ptr 0
		.amdhsa_user_sgpr_queue_ptr 0
		.amdhsa_user_sgpr_kernarg_segment_ptr 1
		.amdhsa_user_sgpr_dispatch_id 0
		.amdhsa_user_sgpr_flat_scratch_init 0
		.amdhsa_user_sgpr_kernarg_preload_length 0
		.amdhsa_user_sgpr_kernarg_preload_offset 0
		.amdhsa_user_sgpr_private_segment_size 0
		.amdhsa_uses_dynamic_stack 0
		.amdhsa_system_sgpr_private_segment_wavefront_offset 0
		.amdhsa_system_sgpr_workgroup_id_x 1
		.amdhsa_system_sgpr_workgroup_id_y 1
		.amdhsa_system_sgpr_workgroup_id_z 1
		.amdhsa_system_sgpr_workgroup_info 0
		.amdhsa_system_vgpr_workitem_id 0
		.amdhsa_next_free_vgpr 28
		.amdhsa_next_free_sgpr 24
		.amdhsa_accum_offset 28
		.amdhsa_reserve_vcc 1
		.amdhsa_reserve_flat_scratch 0
		.amdhsa_float_round_mode_32 0
		.amdhsa_float_round_mode_16_64 0
		.amdhsa_float_denorm_mode_32 3
		.amdhsa_float_denorm_mode_16_64 3
		.amdhsa_dx10_clamp 1
		.amdhsa_ieee_mode 1
		.amdhsa_fp16_overflow 0
		.amdhsa_tg_split 0
		.amdhsa_exception_fp_ieee_invalid_op 0
		.amdhsa_exception_fp_denorm_src 0
		.amdhsa_exception_fp_ieee_div_zero 0
		.amdhsa_exception_fp_ieee_overflow 0
		.amdhsa_exception_fp_ieee_underflow 0
		.amdhsa_exception_fp_ieee_inexact 0
		.amdhsa_exception_int_div_zero 0
	.end_amdhsa_kernel
	.section	.text._ZN2at6native12compute_modeIbLj2048EEEvPKT_NS_4cuda6detail10TensorInfoIS2_jEENS7_IljEEll,"axG",@progbits,_ZN2at6native12compute_modeIbLj2048EEEvPKT_NS_4cuda6detail10TensorInfoIS2_jEENS7_IljEEll,comdat
.Lfunc_end96:
	.size	_ZN2at6native12compute_modeIbLj2048EEEvPKT_NS_4cuda6detail10TensorInfoIS2_jEENS7_IljEEll, .Lfunc_end96-_ZN2at6native12compute_modeIbLj2048EEEvPKT_NS_4cuda6detail10TensorInfoIS2_jEENS7_IljEEll
                                        ; -- End function
	.section	.AMDGPU.csdata,"",@progbits
; Kernel info:
; codeLenInByte = 8052
; NumSgprs: 28
; NumVgprs: 28
; NumAgprs: 0
; TotalNumVgprs: 28
; ScratchSize: 0
; MemoryBound: 0
; FloatMode: 240
; IeeeMode: 1
; LDSByteSize: 1 bytes/workgroup (compile time only)
; SGPRBlocks: 3
; VGPRBlocks: 3
; NumSGPRsForWavesPerEU: 28
; NumVGPRsForWavesPerEU: 28
; AccumOffset: 28
; Occupancy: 8
; WaveLimiterHint : 1
; COMPUTE_PGM_RSRC2:SCRATCH_EN: 0
; COMPUTE_PGM_RSRC2:USER_SGPR: 6
; COMPUTE_PGM_RSRC2:TRAP_HANDLER: 0
; COMPUTE_PGM_RSRC2:TGID_X_EN: 1
; COMPUTE_PGM_RSRC2:TGID_Y_EN: 1
; COMPUTE_PGM_RSRC2:TGID_Z_EN: 1
; COMPUTE_PGM_RSRC2:TIDIG_COMP_CNT: 0
; COMPUTE_PGM_RSRC3_GFX90A:ACCUM_OFFSET: 6
; COMPUTE_PGM_RSRC3_GFX90A:TG_SPLIT: 0
	.section	.text._ZN2at6native12compute_modeIbLj1024EEEvPKT_NS_4cuda6detail10TensorInfoIS2_jEENS7_IljEEll,"axG",@progbits,_ZN2at6native12compute_modeIbLj1024EEEvPKT_NS_4cuda6detail10TensorInfoIS2_jEENS7_IljEEll,comdat
	.protected	_ZN2at6native12compute_modeIbLj1024EEEvPKT_NS_4cuda6detail10TensorInfoIS2_jEENS7_IljEEll ; -- Begin function _ZN2at6native12compute_modeIbLj1024EEEvPKT_NS_4cuda6detail10TensorInfoIS2_jEENS7_IljEEll
	.globl	_ZN2at6native12compute_modeIbLj1024EEEvPKT_NS_4cuda6detail10TensorInfoIS2_jEENS7_IljEEll
	.p2align	8
	.type	_ZN2at6native12compute_modeIbLj1024EEEvPKT_NS_4cuda6detail10TensorInfoIS2_jEENS7_IljEEll,@function
_ZN2at6native12compute_modeIbLj1024EEEvPKT_NS_4cuda6detail10TensorInfoIS2_jEENS7_IljEEll: ; @_ZN2at6native12compute_modeIbLj1024EEEvPKT_NS_4cuda6detail10TensorInfoIS2_jEENS7_IljEEll
; %bb.0:
	s_load_dwordx4 s[16:19], s[4:5], 0x1b8
	s_load_dwordx2 s[2:3], s[4:5], 0x1c8
	s_add_u32 s0, s4, 0x1c8
	s_addc_u32 s1, s5, 0
	s_mov_b32 s15, 0
	s_waitcnt lgkmcnt(0)
	v_mov_b32_e32 v2, s18
	s_mul_i32 s3, s3, s8
	s_add_i32 s3, s3, s7
	s_mul_i32 s2, s3, s2
	v_mov_b32_e32 v3, s19
	s_add_i32 s14, s2, s6
	v_cmp_ge_i64_e32 vcc, s[14:15], v[2:3]
	s_cbranch_vccnz .LBB97_308
; %bb.1:
	s_load_dwordx2 s[18:19], s[4:5], 0x0
	s_load_dword s6, s[0:1], 0xc
	v_mov_b32_e32 v3, 0
	v_mov_b32_e32 v1, v3
	s_mul_i32 s15, s14, s16
	v_cmp_gt_i64_e32 vcc, s[16:17], v[0:1]
	v_add_u32_e32 v1, 1, v0
	s_and_saveexec_b64 s[2:3], vcc
	s_cbranch_execz .LBB97_3
; %bb.2:
	v_add_u32_e32 v2, s15, v0
	s_waitcnt lgkmcnt(0)
	global_load_ubyte v2, v2, s[18:19]
	s_waitcnt vmcnt(0)
	v_cmp_ne_u16_e64 s[0:1], 0, v2
	v_cndmask_b32_e64 v2, 0, 1, s[0:1]
	ds_write_b8 v1, v2
.LBB97_3:
	s_or_b64 exec, exec, s[2:3]
	s_waitcnt lgkmcnt(0)
	s_and_b32 s20, 0xffff, s6
	v_add_u32_e32 v2, s20, v0
	v_cmp_gt_i64_e64 s[0:1], s[16:17], v[2:3]
	s_and_saveexec_b64 s[6:7], s[0:1]
	s_cbranch_execz .LBB97_5
; %bb.4:
	v_add_u32_e32 v3, s15, v2
	global_load_ubyte v3, v3, s[18:19]
	v_add_u32_e32 v2, 1, v2
	s_waitcnt vmcnt(0)
	v_cmp_ne_u16_e64 s[2:3], 0, v3
	v_cndmask_b32_e64 v3, 0, 1, s[2:3]
	ds_write_b8 v2, v3
.LBB97_5:
	s_or_b64 exec, exec, s[6:7]
	v_cndmask_b32_e64 v2, 0, 1, vcc
	ds_write_b8 v1, v2 offset:1024
	v_add_u32_e32 v2, s20, v1
	v_cndmask_b32_e64 v3, 0, 1, s[0:1]
	v_add_u32_e32 v1, v1, v0
	ds_write_b8 v2, v3 offset:1024
	s_waitcnt lgkmcnt(0)
	s_barrier
	s_barrier
	ds_read_u8 v4, v1
	ds_read_u8 v5, v1 offset:1
	s_mov_b32 s6, 1
	s_waitcnt lgkmcnt(0)
	v_cmp_ge_u16_e64 s[0:1], v4, v5
	v_cmp_lt_u16_e32 vcc, v4, v5
	s_and_saveexec_b64 s[2:3], vcc
	s_cbranch_execz .LBB97_7
; %bb.6:
	ds_read_u8 v2, v1 offset:1024
	s_andn2_b64 s[0:1], s[0:1], exec
	s_waitcnt lgkmcnt(0)
	v_and_b32_e32 v2, 1, v2
	v_cmp_eq_u32_e32 vcc, 1, v2
	s_xor_b64 s[8:9], vcc, -1
	s_and_b64 s[8:9], s[8:9], exec
	s_or_b64 s[0:1], s[0:1], s[8:9]
.LBB97_7:
	s_or_b64 exec, exec, s[2:3]
	v_lshlrev_b32_e32 v2, 1, v0
	v_mov_b32_e32 v7, s6
	v_add_u32_e32 v3, 1, v2
	s_and_saveexec_b64 s[2:3], s[0:1]
	s_cbranch_execz .LBB97_9
; %bb.8:
	ds_read_u8 v6, v3 offset:1025
	s_waitcnt lgkmcnt(0)
	v_xor_b32_e32 v7, 1, v6
.LBB97_9:
	s_or_b64 exec, exec, s[2:3]
	v_and_b32_e32 v6, 1, v0
	v_cmp_eq_u32_e32 vcc, v7, v6
	s_and_saveexec_b64 s[0:1], vcc
	s_cbranch_execz .LBB97_11
; %bb.10:
	ds_read_u8 v7, v3 offset:1025
	ds_read_u8 v8, v1 offset:1024
	ds_write_b8 v1, v5
	ds_write_b8 v1, v4 offset:1
	s_waitcnt lgkmcnt(3)
	ds_write_b8 v1, v7 offset:1024
	s_waitcnt lgkmcnt(3)
	ds_write_b8 v3, v8 offset:1025
.LBB97_11:
	s_or_b64 exec, exec, s[0:1]
	v_sub_u32_e32 v4, v2, v6
	v_add_u32_e32 v4, 1, v4
	s_waitcnt lgkmcnt(0)
	s_barrier
	ds_read_u8 v6, v4
	ds_read_u8 v7, v4 offset:2
	s_mov_b64 s[0:1], -1
                                        ; implicit-def: $sgpr6
	s_waitcnt lgkmcnt(0)
	v_cmp_lt_u16_e32 vcc, v6, v7
	s_and_saveexec_b64 s[2:3], vcc
	s_xor_b64 s[2:3], exec, s[2:3]
	s_cbranch_execz .LBB97_13
; %bb.12:
	ds_read_u8 v5, v4 offset:1024
	s_mov_b32 s6, 1
	s_waitcnt lgkmcnt(0)
	v_and_b32_e32 v5, 1, v5
	v_cmp_eq_u32_e32 vcc, 1, v5
	s_xor_b64 s[0:1], vcc, -1
	s_orn2_b64 s[0:1], s[0:1], exec
.LBB97_13:
	s_or_b64 exec, exec, s[2:3]
	v_mov_b32_e32 v8, s6
	s_and_saveexec_b64 s[2:3], s[0:1]
	s_cbranch_execz .LBB97_15
; %bb.14:
	ds_read_u8 v5, v4 offset:1026
	s_waitcnt lgkmcnt(0)
	v_xor_b32_e32 v8, 1, v5
.LBB97_15:
	s_or_b64 exec, exec, s[2:3]
	v_bfe_u32 v5, v0, 1, 1
	v_cmp_eq_u32_e32 vcc, v8, v5
	s_and_saveexec_b64 s[0:1], vcc
	s_cbranch_execz .LBB97_17
; %bb.16:
	ds_read_u8 v8, v4 offset:1026
	ds_read_u8 v9, v4 offset:1024
	ds_write_b8 v4, v7
	ds_write_b8 v4, v6 offset:2
	s_waitcnt lgkmcnt(3)
	ds_write_b8 v4, v8 offset:1024
	s_waitcnt lgkmcnt(3)
	ds_write_b8 v4, v9 offset:1026
.LBB97_17:
	s_or_b64 exec, exec, s[0:1]
	s_waitcnt lgkmcnt(0)
	s_barrier
	ds_read_u8 v6, v1
	ds_read_u8 v7, v1 offset:1
                                        ; implicit-def: $sgpr6
	s_waitcnt lgkmcnt(0)
	v_cmp_ge_u16_e64 s[0:1], v6, v7
	v_cmp_lt_u16_e32 vcc, v6, v7
	s_and_saveexec_b64 s[2:3], vcc
	s_cbranch_execnz .LBB97_309
; %bb.18:
	s_or_b64 exec, exec, s[2:3]
	v_mov_b32_e32 v8, s6
	s_and_saveexec_b64 s[2:3], s[0:1]
	s_cbranch_execnz .LBB97_310
.LBB97_19:
	s_or_b64 exec, exec, s[2:3]
	v_cmp_eq_u32_e32 vcc, v8, v5
	s_and_saveexec_b64 s[0:1], vcc
	s_cbranch_execz .LBB97_21
.LBB97_20:
	ds_read_u8 v5, v3 offset:1025
	ds_read_u8 v8, v1 offset:1024
	ds_write_b8 v1, v7
	ds_write_b8 v1, v6 offset:1
	s_waitcnt lgkmcnt(3)
	ds_write_b8 v1, v5 offset:1024
	s_waitcnt lgkmcnt(3)
	ds_write_b8 v3, v8 offset:1025
.LBB97_21:
	s_or_b64 exec, exec, s[0:1]
	v_and_b32_e32 v5, 3, v0
	v_sub_u32_e32 v5, v2, v5
	v_add_u32_e32 v5, 1, v5
	s_waitcnt lgkmcnt(0)
	s_barrier
	ds_read_u8 v7, v5
	ds_read_u8 v8, v5 offset:4
	s_mov_b32 s6, 1
	s_waitcnt lgkmcnt(0)
	v_cmp_ge_u16_e64 s[0:1], v7, v8
	v_cmp_lt_u16_e32 vcc, v7, v8
	s_and_saveexec_b64 s[2:3], vcc
	s_cbranch_execz .LBB97_23
; %bb.22:
	ds_read_u8 v6, v5 offset:1024
	s_andn2_b64 s[0:1], s[0:1], exec
	s_waitcnt lgkmcnt(0)
	v_and_b32_e32 v6, 1, v6
	v_cmp_eq_u32_e32 vcc, 1, v6
	s_xor_b64 s[8:9], vcc, -1
	s_and_b64 s[8:9], s[8:9], exec
	s_or_b64 s[0:1], s[0:1], s[8:9]
.LBB97_23:
	s_or_b64 exec, exec, s[2:3]
	v_mov_b32_e32 v9, s6
	s_and_saveexec_b64 s[2:3], s[0:1]
	s_cbranch_execz .LBB97_25
; %bb.24:
	ds_read_u8 v6, v5 offset:1028
	s_waitcnt lgkmcnt(0)
	v_xor_b32_e32 v9, 1, v6
.LBB97_25:
	s_or_b64 exec, exec, s[2:3]
	v_bfe_u32 v6, v0, 2, 1
	v_cmp_eq_u32_e32 vcc, v9, v6
	s_and_saveexec_b64 s[0:1], vcc
	s_cbranch_execz .LBB97_27
; %bb.26:
	ds_read_u8 v9, v5 offset:1028
	ds_read_u8 v10, v5 offset:1024
	ds_write_b8 v5, v8
	ds_write_b8 v5, v7 offset:4
	s_waitcnt lgkmcnt(3)
	ds_write_b8 v5, v9 offset:1024
	s_waitcnt lgkmcnt(3)
	ds_write_b8 v5, v10 offset:1028
.LBB97_27:
	s_or_b64 exec, exec, s[0:1]
	s_waitcnt lgkmcnt(0)
	s_barrier
	ds_read_u8 v7, v4
	ds_read_u8 v8, v4 offset:2
	s_waitcnt lgkmcnt(0)
	v_cmp_ge_u16_e64 s[0:1], v7, v8
	v_cmp_lt_u16_e32 vcc, v7, v8
	s_and_saveexec_b64 s[2:3], vcc
	s_cbranch_execnz .LBB97_311
; %bb.28:
	s_or_b64 exec, exec, s[2:3]
	v_mov_b32_e32 v9, s6
	s_and_saveexec_b64 s[2:3], s[0:1]
	s_cbranch_execnz .LBB97_312
.LBB97_29:
	s_or_b64 exec, exec, s[2:3]
	v_cmp_eq_u32_e32 vcc, v9, v6
	s_and_saveexec_b64 s[0:1], vcc
	s_cbranch_execz .LBB97_31
.LBB97_30:
	ds_read_u8 v9, v4 offset:1026
	ds_read_u8 v10, v4 offset:1024
	ds_write_b8 v4, v8
	ds_write_b8 v4, v7 offset:2
	s_waitcnt lgkmcnt(3)
	ds_write_b8 v4, v9 offset:1024
	s_waitcnt lgkmcnt(3)
	ds_write_b8 v4, v10 offset:1026
.LBB97_31:
	s_or_b64 exec, exec, s[0:1]
	s_waitcnt lgkmcnt(0)
	s_barrier
	ds_read_u8 v7, v1
	ds_read_u8 v8, v1 offset:1
                                        ; implicit-def: $sgpr6
	s_waitcnt lgkmcnt(0)
	v_cmp_ge_u16_e64 s[0:1], v7, v8
	v_cmp_lt_u16_e32 vcc, v7, v8
	s_and_saveexec_b64 s[2:3], vcc
	s_cbranch_execnz .LBB97_313
; %bb.32:
	s_or_b64 exec, exec, s[2:3]
	v_mov_b32_e32 v9, s6
	s_and_saveexec_b64 s[2:3], s[0:1]
	s_cbranch_execnz .LBB97_314
.LBB97_33:
	s_or_b64 exec, exec, s[2:3]
	v_cmp_eq_u32_e32 vcc, v9, v6
	s_and_saveexec_b64 s[0:1], vcc
	s_cbranch_execz .LBB97_35
.LBB97_34:
	ds_read_u8 v6, v3 offset:1025
	ds_read_u8 v9, v1 offset:1024
	ds_write_b8 v1, v8
	ds_write_b8 v1, v7 offset:1
	s_waitcnt lgkmcnt(3)
	ds_write_b8 v1, v6 offset:1024
	s_waitcnt lgkmcnt(3)
	ds_write_b8 v3, v9 offset:1025
.LBB97_35:
	s_or_b64 exec, exec, s[0:1]
	v_and_b32_e32 v6, 7, v0
	v_sub_u32_e32 v6, v2, v6
	v_add_u32_e32 v6, 1, v6
	s_waitcnt lgkmcnt(0)
	s_barrier
	ds_read_u8 v8, v6
	ds_read_u8 v9, v6 offset:8
	s_mov_b32 s6, 1
	s_waitcnt lgkmcnt(0)
	v_cmp_ge_u16_e64 s[0:1], v8, v9
	v_cmp_lt_u16_e32 vcc, v8, v9
	s_and_saveexec_b64 s[2:3], vcc
	s_cbranch_execz .LBB97_37
; %bb.36:
	ds_read_u8 v7, v6 offset:1024
	s_andn2_b64 s[0:1], s[0:1], exec
	s_waitcnt lgkmcnt(0)
	v_and_b32_e32 v7, 1, v7
	v_cmp_eq_u32_e32 vcc, 1, v7
	s_xor_b64 s[8:9], vcc, -1
	s_and_b64 s[8:9], s[8:9], exec
	s_or_b64 s[0:1], s[0:1], s[8:9]
.LBB97_37:
	s_or_b64 exec, exec, s[2:3]
	v_mov_b32_e32 v10, s6
	s_and_saveexec_b64 s[2:3], s[0:1]
	s_cbranch_execz .LBB97_39
; %bb.38:
	ds_read_u8 v7, v6 offset:1032
	s_waitcnt lgkmcnt(0)
	v_xor_b32_e32 v10, 1, v7
.LBB97_39:
	s_or_b64 exec, exec, s[2:3]
	v_bfe_u32 v7, v0, 3, 1
	v_cmp_eq_u32_e32 vcc, v10, v7
	s_and_saveexec_b64 s[0:1], vcc
	s_cbranch_execz .LBB97_41
; %bb.40:
	ds_read_u8 v10, v6 offset:1032
	ds_read_u8 v11, v6 offset:1024
	ds_write_b8 v6, v9
	ds_write_b8 v6, v8 offset:8
	s_waitcnt lgkmcnt(3)
	ds_write_b8 v6, v10 offset:1024
	s_waitcnt lgkmcnt(3)
	ds_write_b8 v6, v11 offset:1032
.LBB97_41:
	s_or_b64 exec, exec, s[0:1]
	s_waitcnt lgkmcnt(0)
	s_barrier
	ds_read_u8 v8, v5
	ds_read_u8 v9, v5 offset:4
	s_waitcnt lgkmcnt(0)
	v_cmp_ge_u16_e64 s[0:1], v8, v9
	v_cmp_lt_u16_e32 vcc, v8, v9
	s_and_saveexec_b64 s[2:3], vcc
	s_cbranch_execnz .LBB97_315
; %bb.42:
	s_or_b64 exec, exec, s[2:3]
	v_mov_b32_e32 v10, s6
	s_and_saveexec_b64 s[2:3], s[0:1]
	s_cbranch_execnz .LBB97_316
.LBB97_43:
	s_or_b64 exec, exec, s[2:3]
	v_cmp_eq_u32_e32 vcc, v10, v7
	s_and_saveexec_b64 s[0:1], vcc
	s_cbranch_execz .LBB97_45
.LBB97_44:
	ds_read_u8 v10, v5 offset:1028
	ds_read_u8 v11, v5 offset:1024
	ds_write_b8 v5, v9
	ds_write_b8 v5, v8 offset:4
	s_waitcnt lgkmcnt(3)
	ds_write_b8 v5, v10 offset:1024
	s_waitcnt lgkmcnt(3)
	ds_write_b8 v5, v11 offset:1028
.LBB97_45:
	s_or_b64 exec, exec, s[0:1]
	s_waitcnt lgkmcnt(0)
	s_barrier
	ds_read_u8 v8, v4
	ds_read_u8 v9, v4 offset:2
	s_waitcnt lgkmcnt(0)
	v_cmp_ge_u16_e64 s[0:1], v8, v9
	v_cmp_lt_u16_e32 vcc, v8, v9
	s_and_saveexec_b64 s[2:3], vcc
	s_cbranch_execnz .LBB97_317
; %bb.46:
	s_or_b64 exec, exec, s[2:3]
	v_mov_b32_e32 v10, s6
	s_and_saveexec_b64 s[2:3], s[0:1]
	s_cbranch_execnz .LBB97_318
.LBB97_47:
	s_or_b64 exec, exec, s[2:3]
	v_cmp_eq_u32_e32 vcc, v10, v7
	s_and_saveexec_b64 s[0:1], vcc
	s_cbranch_execz .LBB97_49
.LBB97_48:
	ds_read_u8 v10, v4 offset:1026
	ds_read_u8 v11, v4 offset:1024
	ds_write_b8 v4, v9
	ds_write_b8 v4, v8 offset:2
	s_waitcnt lgkmcnt(3)
	ds_write_b8 v4, v10 offset:1024
	s_waitcnt lgkmcnt(3)
	ds_write_b8 v4, v11 offset:1026
.LBB97_49:
	s_or_b64 exec, exec, s[0:1]
	s_waitcnt lgkmcnt(0)
	s_barrier
	ds_read_u8 v8, v1
	ds_read_u8 v9, v1 offset:1
                                        ; implicit-def: $sgpr6
	s_waitcnt lgkmcnt(0)
	v_cmp_ge_u16_e64 s[0:1], v8, v9
	v_cmp_lt_u16_e32 vcc, v8, v9
	s_and_saveexec_b64 s[2:3], vcc
	s_cbranch_execnz .LBB97_319
; %bb.50:
	s_or_b64 exec, exec, s[2:3]
	v_mov_b32_e32 v10, s6
	s_and_saveexec_b64 s[2:3], s[0:1]
	s_cbranch_execnz .LBB97_320
.LBB97_51:
	s_or_b64 exec, exec, s[2:3]
	v_cmp_eq_u32_e32 vcc, v10, v7
	s_and_saveexec_b64 s[0:1], vcc
	s_cbranch_execz .LBB97_53
.LBB97_52:
	ds_read_u8 v7, v3 offset:1025
	ds_read_u8 v10, v1 offset:1024
	ds_write_b8 v1, v9
	ds_write_b8 v1, v8 offset:1
	s_waitcnt lgkmcnt(3)
	ds_write_b8 v1, v7 offset:1024
	s_waitcnt lgkmcnt(3)
	ds_write_b8 v3, v10 offset:1025
.LBB97_53:
	s_or_b64 exec, exec, s[0:1]
	v_and_b32_e32 v7, 15, v0
	v_sub_u32_e32 v7, v2, v7
	v_add_u32_e32 v7, 1, v7
	s_waitcnt lgkmcnt(0)
	s_barrier
	ds_read_u8 v9, v7
	ds_read_u8 v10, v7 offset:16
	s_mov_b32 s6, 1
	s_waitcnt lgkmcnt(0)
	v_cmp_ge_u16_e64 s[0:1], v9, v10
	v_cmp_lt_u16_e32 vcc, v9, v10
	s_and_saveexec_b64 s[2:3], vcc
	s_cbranch_execz .LBB97_55
; %bb.54:
	ds_read_u8 v8, v7 offset:1024
	s_andn2_b64 s[0:1], s[0:1], exec
	s_waitcnt lgkmcnt(0)
	v_and_b32_e32 v8, 1, v8
	v_cmp_eq_u32_e32 vcc, 1, v8
	s_xor_b64 s[8:9], vcc, -1
	s_and_b64 s[8:9], s[8:9], exec
	s_or_b64 s[0:1], s[0:1], s[8:9]
.LBB97_55:
	s_or_b64 exec, exec, s[2:3]
	v_mov_b32_e32 v11, s6
	s_and_saveexec_b64 s[2:3], s[0:1]
	s_cbranch_execz .LBB97_57
; %bb.56:
	ds_read_u8 v8, v7 offset:1040
	s_waitcnt lgkmcnt(0)
	v_xor_b32_e32 v11, 1, v8
.LBB97_57:
	s_or_b64 exec, exec, s[2:3]
	v_bfe_u32 v8, v0, 4, 1
	v_cmp_eq_u32_e32 vcc, v11, v8
	s_and_saveexec_b64 s[0:1], vcc
	s_cbranch_execz .LBB97_59
; %bb.58:
	ds_read_u8 v11, v7 offset:1040
	ds_read_u8 v12, v7 offset:1024
	ds_write_b8 v7, v10
	ds_write_b8 v7, v9 offset:16
	s_waitcnt lgkmcnt(3)
	ds_write_b8 v7, v11 offset:1024
	s_waitcnt lgkmcnt(3)
	ds_write_b8 v7, v12 offset:1040
.LBB97_59:
	s_or_b64 exec, exec, s[0:1]
	s_waitcnt lgkmcnt(0)
	s_barrier
	ds_read_u8 v9, v6
	ds_read_u8 v10, v6 offset:8
	s_waitcnt lgkmcnt(0)
	v_cmp_ge_u16_e64 s[0:1], v9, v10
	v_cmp_lt_u16_e32 vcc, v9, v10
	s_and_saveexec_b64 s[2:3], vcc
	s_cbranch_execnz .LBB97_321
; %bb.60:
	s_or_b64 exec, exec, s[2:3]
	v_mov_b32_e32 v11, s6
	s_and_saveexec_b64 s[2:3], s[0:1]
	s_cbranch_execnz .LBB97_322
.LBB97_61:
	s_or_b64 exec, exec, s[2:3]
	v_cmp_eq_u32_e32 vcc, v11, v8
	s_and_saveexec_b64 s[0:1], vcc
	s_cbranch_execz .LBB97_63
.LBB97_62:
	ds_read_u8 v11, v6 offset:1032
	ds_read_u8 v12, v6 offset:1024
	ds_write_b8 v6, v10
	ds_write_b8 v6, v9 offset:8
	s_waitcnt lgkmcnt(3)
	ds_write_b8 v6, v11 offset:1024
	s_waitcnt lgkmcnt(3)
	ds_write_b8 v6, v12 offset:1032
.LBB97_63:
	s_or_b64 exec, exec, s[0:1]
	s_waitcnt lgkmcnt(0)
	s_barrier
	ds_read_u8 v9, v5
	ds_read_u8 v10, v5 offset:4
	s_waitcnt lgkmcnt(0)
	v_cmp_ge_u16_e64 s[0:1], v9, v10
	v_cmp_lt_u16_e32 vcc, v9, v10
	s_and_saveexec_b64 s[2:3], vcc
	s_cbranch_execnz .LBB97_323
; %bb.64:
	s_or_b64 exec, exec, s[2:3]
	v_mov_b32_e32 v11, s6
	s_and_saveexec_b64 s[2:3], s[0:1]
	s_cbranch_execnz .LBB97_324
.LBB97_65:
	s_or_b64 exec, exec, s[2:3]
	v_cmp_eq_u32_e32 vcc, v11, v8
	s_and_saveexec_b64 s[0:1], vcc
	s_cbranch_execz .LBB97_67
.LBB97_66:
	ds_read_u8 v11, v5 offset:1028
	ds_read_u8 v12, v5 offset:1024
	ds_write_b8 v5, v10
	ds_write_b8 v5, v9 offset:4
	s_waitcnt lgkmcnt(3)
	ds_write_b8 v5, v11 offset:1024
	s_waitcnt lgkmcnt(3)
	ds_write_b8 v5, v12 offset:1028
.LBB97_67:
	s_or_b64 exec, exec, s[0:1]
	s_waitcnt lgkmcnt(0)
	s_barrier
	ds_read_u8 v9, v4
	ds_read_u8 v10, v4 offset:2
	s_waitcnt lgkmcnt(0)
	v_cmp_ge_u16_e64 s[0:1], v9, v10
	v_cmp_lt_u16_e32 vcc, v9, v10
	s_and_saveexec_b64 s[2:3], vcc
	s_cbranch_execnz .LBB97_325
; %bb.68:
	s_or_b64 exec, exec, s[2:3]
	v_mov_b32_e32 v11, s6
	s_and_saveexec_b64 s[2:3], s[0:1]
	s_cbranch_execnz .LBB97_326
.LBB97_69:
	s_or_b64 exec, exec, s[2:3]
	v_cmp_eq_u32_e32 vcc, v11, v8
	s_and_saveexec_b64 s[0:1], vcc
	s_cbranch_execz .LBB97_71
.LBB97_70:
	ds_read_u8 v11, v4 offset:1026
	ds_read_u8 v12, v4 offset:1024
	ds_write_b8 v4, v10
	ds_write_b8 v4, v9 offset:2
	s_waitcnt lgkmcnt(3)
	ds_write_b8 v4, v11 offset:1024
	s_waitcnt lgkmcnt(3)
	ds_write_b8 v4, v12 offset:1026
.LBB97_71:
	s_or_b64 exec, exec, s[0:1]
	s_waitcnt lgkmcnt(0)
	s_barrier
	ds_read_u8 v9, v1
	ds_read_u8 v10, v1 offset:1
                                        ; implicit-def: $sgpr6
	s_waitcnt lgkmcnt(0)
	v_cmp_ge_u16_e64 s[0:1], v9, v10
	v_cmp_lt_u16_e32 vcc, v9, v10
	s_and_saveexec_b64 s[2:3], vcc
	s_cbranch_execnz .LBB97_327
; %bb.72:
	s_or_b64 exec, exec, s[2:3]
	v_mov_b32_e32 v11, s6
	s_and_saveexec_b64 s[2:3], s[0:1]
	s_cbranch_execnz .LBB97_328
.LBB97_73:
	s_or_b64 exec, exec, s[2:3]
	v_cmp_eq_u32_e32 vcc, v11, v8
	s_and_saveexec_b64 s[0:1], vcc
	s_cbranch_execz .LBB97_75
.LBB97_74:
	ds_read_u8 v8, v3 offset:1025
	ds_read_u8 v11, v1 offset:1024
	ds_write_b8 v1, v10
	ds_write_b8 v1, v9 offset:1
	s_waitcnt lgkmcnt(3)
	ds_write_b8 v1, v8 offset:1024
	s_waitcnt lgkmcnt(3)
	ds_write_b8 v3, v11 offset:1025
.LBB97_75:
	s_or_b64 exec, exec, s[0:1]
	v_and_b32_e32 v8, 31, v0
	v_sub_u32_e32 v8, v2, v8
	v_add_u32_e32 v9, 1, v8
	s_waitcnt lgkmcnt(0)
	s_barrier
	ds_read_u8 v10, v9
	ds_read_u8 v11, v9 offset:32
	s_mov_b32 s6, 1
	s_waitcnt lgkmcnt(0)
	v_cmp_ge_u16_e64 s[0:1], v10, v11
	v_cmp_lt_u16_e32 vcc, v10, v11
	s_and_saveexec_b64 s[2:3], vcc
	s_cbranch_execz .LBB97_77
; %bb.76:
	ds_read_u8 v8, v9 offset:1024
	s_andn2_b64 s[0:1], s[0:1], exec
	s_waitcnt lgkmcnt(0)
	v_and_b32_e32 v8, 1, v8
	v_cmp_eq_u32_e32 vcc, 1, v8
	s_xor_b64 s[8:9], vcc, -1
	s_and_b64 s[8:9], s[8:9], exec
	s_or_b64 s[0:1], s[0:1], s[8:9]
.LBB97_77:
	s_or_b64 exec, exec, s[2:3]
	v_mov_b32_e32 v12, s6
	s_and_saveexec_b64 s[2:3], s[0:1]
	s_cbranch_execz .LBB97_79
; %bb.78:
	ds_read_u8 v8, v9 offset:1056
	s_waitcnt lgkmcnt(0)
	v_xor_b32_e32 v12, 1, v8
.LBB97_79:
	s_or_b64 exec, exec, s[2:3]
	v_bfe_u32 v8, v0, 5, 1
	v_cmp_eq_u32_e32 vcc, v12, v8
	s_and_saveexec_b64 s[0:1], vcc
	s_cbranch_execz .LBB97_81
; %bb.80:
	ds_read_u8 v12, v9 offset:1056
	ds_read_u8 v13, v9 offset:1024
	ds_write_b8 v9, v11
	ds_write_b8 v9, v10 offset:32
	s_waitcnt lgkmcnt(3)
	ds_write_b8 v9, v12 offset:1024
	s_waitcnt lgkmcnt(3)
	ds_write_b8 v9, v13 offset:1056
.LBB97_81:
	s_or_b64 exec, exec, s[0:1]
	s_waitcnt lgkmcnt(0)
	s_barrier
	ds_read_u8 v10, v7
	ds_read_u8 v11, v7 offset:16
	s_waitcnt lgkmcnt(0)
	v_cmp_ge_u16_e64 s[0:1], v10, v11
	v_cmp_lt_u16_e32 vcc, v10, v11
	s_and_saveexec_b64 s[2:3], vcc
	s_cbranch_execnz .LBB97_329
; %bb.82:
	s_or_b64 exec, exec, s[2:3]
	v_mov_b32_e32 v12, s6
	s_and_saveexec_b64 s[2:3], s[0:1]
	s_cbranch_execnz .LBB97_330
.LBB97_83:
	s_or_b64 exec, exec, s[2:3]
	v_cmp_eq_u32_e32 vcc, v12, v8
	s_and_saveexec_b64 s[0:1], vcc
	s_cbranch_execz .LBB97_85
.LBB97_84:
	ds_read_u8 v12, v7 offset:1040
	ds_read_u8 v13, v7 offset:1024
	ds_write_b8 v7, v11
	ds_write_b8 v7, v10 offset:16
	s_waitcnt lgkmcnt(3)
	ds_write_b8 v7, v12 offset:1024
	s_waitcnt lgkmcnt(3)
	ds_write_b8 v7, v13 offset:1040
.LBB97_85:
	s_or_b64 exec, exec, s[0:1]
	s_waitcnt lgkmcnt(0)
	s_barrier
	ds_read_u8 v10, v6
	ds_read_u8 v11, v6 offset:8
	s_waitcnt lgkmcnt(0)
	v_cmp_ge_u16_e64 s[0:1], v10, v11
	v_cmp_lt_u16_e32 vcc, v10, v11
	s_and_saveexec_b64 s[2:3], vcc
	s_cbranch_execnz .LBB97_331
; %bb.86:
	s_or_b64 exec, exec, s[2:3]
	v_mov_b32_e32 v12, s6
	s_and_saveexec_b64 s[2:3], s[0:1]
	s_cbranch_execnz .LBB97_332
.LBB97_87:
	s_or_b64 exec, exec, s[2:3]
	v_cmp_eq_u32_e32 vcc, v12, v8
	s_and_saveexec_b64 s[0:1], vcc
	s_cbranch_execz .LBB97_89
.LBB97_88:
	ds_read_u8 v12, v6 offset:1032
	ds_read_u8 v13, v6 offset:1024
	ds_write_b8 v6, v11
	ds_write_b8 v6, v10 offset:8
	s_waitcnt lgkmcnt(3)
	ds_write_b8 v6, v12 offset:1024
	s_waitcnt lgkmcnt(3)
	ds_write_b8 v6, v13 offset:1032
.LBB97_89:
	s_or_b64 exec, exec, s[0:1]
	s_waitcnt lgkmcnt(0)
	s_barrier
	ds_read_u8 v10, v5
	ds_read_u8 v11, v5 offset:4
	s_waitcnt lgkmcnt(0)
	v_cmp_ge_u16_e64 s[0:1], v10, v11
	v_cmp_lt_u16_e32 vcc, v10, v11
	s_and_saveexec_b64 s[2:3], vcc
	s_cbranch_execnz .LBB97_333
; %bb.90:
	s_or_b64 exec, exec, s[2:3]
	v_mov_b32_e32 v12, s6
	s_and_saveexec_b64 s[2:3], s[0:1]
	s_cbranch_execnz .LBB97_334
.LBB97_91:
	s_or_b64 exec, exec, s[2:3]
	v_cmp_eq_u32_e32 vcc, v12, v8
	s_and_saveexec_b64 s[0:1], vcc
	s_cbranch_execz .LBB97_93
.LBB97_92:
	ds_read_u8 v12, v5 offset:1028
	ds_read_u8 v13, v5 offset:1024
	ds_write_b8 v5, v11
	ds_write_b8 v5, v10 offset:4
	s_waitcnt lgkmcnt(3)
	ds_write_b8 v5, v12 offset:1024
	s_waitcnt lgkmcnt(3)
	ds_write_b8 v5, v13 offset:1028
.LBB97_93:
	s_or_b64 exec, exec, s[0:1]
	s_waitcnt lgkmcnt(0)
	s_barrier
	ds_read_u8 v10, v4
	ds_read_u8 v11, v4 offset:2
	s_waitcnt lgkmcnt(0)
	v_cmp_ge_u16_e64 s[0:1], v10, v11
	v_cmp_lt_u16_e32 vcc, v10, v11
	s_and_saveexec_b64 s[2:3], vcc
	s_cbranch_execnz .LBB97_335
; %bb.94:
	s_or_b64 exec, exec, s[2:3]
	v_mov_b32_e32 v12, s6
	s_and_saveexec_b64 s[2:3], s[0:1]
	s_cbranch_execnz .LBB97_336
.LBB97_95:
	s_or_b64 exec, exec, s[2:3]
	v_cmp_eq_u32_e32 vcc, v12, v8
	s_and_saveexec_b64 s[0:1], vcc
	s_cbranch_execz .LBB97_97
.LBB97_96:
	ds_read_u8 v12, v4 offset:1026
	ds_read_u8 v13, v4 offset:1024
	ds_write_b8 v4, v11
	ds_write_b8 v4, v10 offset:2
	s_waitcnt lgkmcnt(3)
	ds_write_b8 v4, v12 offset:1024
	s_waitcnt lgkmcnt(3)
	ds_write_b8 v4, v13 offset:1026
.LBB97_97:
	s_or_b64 exec, exec, s[0:1]
	s_waitcnt lgkmcnt(0)
	s_barrier
	ds_read_u8 v10, v1
	ds_read_u8 v11, v1 offset:1
                                        ; implicit-def: $sgpr6
	s_waitcnt lgkmcnt(0)
	v_cmp_ge_u16_e64 s[0:1], v10, v11
	v_cmp_lt_u16_e32 vcc, v10, v11
	s_and_saveexec_b64 s[2:3], vcc
	s_cbranch_execnz .LBB97_337
; %bb.98:
	s_or_b64 exec, exec, s[2:3]
	v_mov_b32_e32 v12, s6
	s_and_saveexec_b64 s[2:3], s[0:1]
	s_cbranch_execnz .LBB97_338
.LBB97_99:
	s_or_b64 exec, exec, s[2:3]
	v_cmp_eq_u32_e32 vcc, v12, v8
	s_and_saveexec_b64 s[0:1], vcc
	s_cbranch_execz .LBB97_101
.LBB97_100:
	ds_read_u8 v8, v3 offset:1025
	ds_read_u8 v12, v1 offset:1024
	ds_write_b8 v1, v11
	ds_write_b8 v1, v10 offset:1
	s_waitcnt lgkmcnt(3)
	ds_write_b8 v1, v8 offset:1024
	s_waitcnt lgkmcnt(3)
	ds_write_b8 v3, v12 offset:1025
.LBB97_101:
	s_or_b64 exec, exec, s[0:1]
	v_and_b32_e32 v8, 63, v0
	v_sub_u32_e32 v10, v2, v8
	v_add_u32_e32 v10, 1, v10
	s_waitcnt lgkmcnt(0)
	s_barrier
	ds_read_u8 v12, v10
	ds_read_u8 v13, v10 offset:64
	s_mov_b32 s6, 1
	s_waitcnt lgkmcnt(0)
	v_cmp_ge_u16_e64 s[0:1], v12, v13
	v_cmp_lt_u16_e32 vcc, v12, v13
	s_and_saveexec_b64 s[2:3], vcc
	s_cbranch_execz .LBB97_103
; %bb.102:
	ds_read_u8 v11, v10 offset:1024
	s_andn2_b64 s[0:1], s[0:1], exec
	s_waitcnt lgkmcnt(0)
	v_and_b32_e32 v11, 1, v11
	v_cmp_eq_u32_e32 vcc, 1, v11
	s_xor_b64 s[8:9], vcc, -1
	s_and_b64 s[8:9], s[8:9], exec
	s_or_b64 s[0:1], s[0:1], s[8:9]
.LBB97_103:
	s_or_b64 exec, exec, s[2:3]
	v_mov_b32_e32 v14, s6
	s_and_saveexec_b64 s[2:3], s[0:1]
	s_cbranch_execz .LBB97_105
; %bb.104:
	ds_read_u8 v11, v10 offset:1088
	s_waitcnt lgkmcnt(0)
	v_xor_b32_e32 v14, 1, v11
.LBB97_105:
	s_or_b64 exec, exec, s[2:3]
	v_bfe_u32 v11, v0, 6, 1
	v_cmp_eq_u32_e32 vcc, v14, v11
	s_and_saveexec_b64 s[0:1], vcc
	s_cbranch_execz .LBB97_107
; %bb.106:
	ds_read_u8 v14, v10 offset:1088
	ds_read_u8 v15, v10 offset:1024
	ds_write_b8 v10, v13
	ds_write_b8 v10, v12 offset:64
	s_waitcnt lgkmcnt(3)
	ds_write_b8 v10, v14 offset:1024
	s_waitcnt lgkmcnt(3)
	ds_write_b8 v10, v15 offset:1088
.LBB97_107:
	s_or_b64 exec, exec, s[0:1]
	s_waitcnt lgkmcnt(0)
	s_barrier
	ds_read_u8 v12, v9
	ds_read_u8 v13, v9 offset:32
	s_waitcnt lgkmcnt(0)
	v_cmp_ge_u16_e64 s[0:1], v12, v13
	v_cmp_lt_u16_e32 vcc, v12, v13
	s_and_saveexec_b64 s[2:3], vcc
	s_cbranch_execnz .LBB97_339
; %bb.108:
	s_or_b64 exec, exec, s[2:3]
	v_mov_b32_e32 v14, s6
	s_and_saveexec_b64 s[2:3], s[0:1]
	s_cbranch_execnz .LBB97_340
.LBB97_109:
	s_or_b64 exec, exec, s[2:3]
	v_cmp_eq_u32_e32 vcc, v14, v11
	s_and_saveexec_b64 s[0:1], vcc
	s_cbranch_execz .LBB97_111
.LBB97_110:
	ds_read_u8 v14, v9 offset:1056
	ds_read_u8 v15, v9 offset:1024
	ds_write_b8 v9, v13
	ds_write_b8 v9, v12 offset:32
	s_waitcnt lgkmcnt(3)
	ds_write_b8 v9, v14 offset:1024
	s_waitcnt lgkmcnt(3)
	ds_write_b8 v9, v15 offset:1056
.LBB97_111:
	s_or_b64 exec, exec, s[0:1]
	s_waitcnt lgkmcnt(0)
	s_barrier
	ds_read_u8 v12, v7
	ds_read_u8 v13, v7 offset:16
	s_waitcnt lgkmcnt(0)
	v_cmp_ge_u16_e64 s[0:1], v12, v13
	v_cmp_lt_u16_e32 vcc, v12, v13
	s_and_saveexec_b64 s[2:3], vcc
	s_cbranch_execnz .LBB97_341
; %bb.112:
	s_or_b64 exec, exec, s[2:3]
	v_mov_b32_e32 v14, s6
	s_and_saveexec_b64 s[2:3], s[0:1]
	s_cbranch_execnz .LBB97_342
.LBB97_113:
	s_or_b64 exec, exec, s[2:3]
	v_cmp_eq_u32_e32 vcc, v14, v11
	s_and_saveexec_b64 s[0:1], vcc
	s_cbranch_execz .LBB97_115
.LBB97_114:
	ds_read_u8 v14, v7 offset:1040
	ds_read_u8 v15, v7 offset:1024
	ds_write_b8 v7, v13
	ds_write_b8 v7, v12 offset:16
	s_waitcnt lgkmcnt(3)
	ds_write_b8 v7, v14 offset:1024
	s_waitcnt lgkmcnt(3)
	ds_write_b8 v7, v15 offset:1040
.LBB97_115:
	s_or_b64 exec, exec, s[0:1]
	s_waitcnt lgkmcnt(0)
	s_barrier
	ds_read_u8 v12, v6
	ds_read_u8 v13, v6 offset:8
	s_waitcnt lgkmcnt(0)
	v_cmp_ge_u16_e64 s[0:1], v12, v13
	v_cmp_lt_u16_e32 vcc, v12, v13
	s_and_saveexec_b64 s[2:3], vcc
	s_cbranch_execnz .LBB97_343
; %bb.116:
	s_or_b64 exec, exec, s[2:3]
	v_mov_b32_e32 v14, s6
	s_and_saveexec_b64 s[2:3], s[0:1]
	s_cbranch_execnz .LBB97_344
.LBB97_117:
	s_or_b64 exec, exec, s[2:3]
	v_cmp_eq_u32_e32 vcc, v14, v11
	s_and_saveexec_b64 s[0:1], vcc
	s_cbranch_execz .LBB97_119
.LBB97_118:
	ds_read_u8 v14, v6 offset:1032
	ds_read_u8 v15, v6 offset:1024
	ds_write_b8 v6, v13
	ds_write_b8 v6, v12 offset:8
	s_waitcnt lgkmcnt(3)
	ds_write_b8 v6, v14 offset:1024
	s_waitcnt lgkmcnt(3)
	ds_write_b8 v6, v15 offset:1032
.LBB97_119:
	s_or_b64 exec, exec, s[0:1]
	s_waitcnt lgkmcnt(0)
	s_barrier
	ds_read_u8 v12, v5
	ds_read_u8 v13, v5 offset:4
	s_waitcnt lgkmcnt(0)
	v_cmp_ge_u16_e64 s[0:1], v12, v13
	v_cmp_lt_u16_e32 vcc, v12, v13
	s_and_saveexec_b64 s[2:3], vcc
	s_cbranch_execnz .LBB97_345
; %bb.120:
	s_or_b64 exec, exec, s[2:3]
	v_mov_b32_e32 v14, s6
	s_and_saveexec_b64 s[2:3], s[0:1]
	s_cbranch_execnz .LBB97_346
.LBB97_121:
	s_or_b64 exec, exec, s[2:3]
	v_cmp_eq_u32_e32 vcc, v14, v11
	s_and_saveexec_b64 s[0:1], vcc
	s_cbranch_execz .LBB97_123
.LBB97_122:
	ds_read_u8 v14, v5 offset:1028
	ds_read_u8 v15, v5 offset:1024
	ds_write_b8 v5, v13
	ds_write_b8 v5, v12 offset:4
	s_waitcnt lgkmcnt(3)
	ds_write_b8 v5, v14 offset:1024
	s_waitcnt lgkmcnt(3)
	ds_write_b8 v5, v15 offset:1028
.LBB97_123:
	s_or_b64 exec, exec, s[0:1]
	s_waitcnt lgkmcnt(0)
	s_barrier
	ds_read_u8 v12, v4
	ds_read_u8 v13, v4 offset:2
	s_waitcnt lgkmcnt(0)
	v_cmp_ge_u16_e64 s[0:1], v12, v13
	v_cmp_lt_u16_e32 vcc, v12, v13
	s_and_saveexec_b64 s[2:3], vcc
	s_cbranch_execnz .LBB97_347
; %bb.124:
	s_or_b64 exec, exec, s[2:3]
	v_mov_b32_e32 v14, s6
	s_and_saveexec_b64 s[2:3], s[0:1]
	s_cbranch_execnz .LBB97_348
.LBB97_125:
	s_or_b64 exec, exec, s[2:3]
	v_cmp_eq_u32_e32 vcc, v14, v11
	s_and_saveexec_b64 s[0:1], vcc
	s_cbranch_execz .LBB97_127
.LBB97_126:
	ds_read_u8 v14, v4 offset:1026
	ds_read_u8 v15, v4 offset:1024
	ds_write_b8 v4, v13
	ds_write_b8 v4, v12 offset:2
	s_waitcnt lgkmcnt(3)
	ds_write_b8 v4, v14 offset:1024
	s_waitcnt lgkmcnt(3)
	ds_write_b8 v4, v15 offset:1026
.LBB97_127:
	s_or_b64 exec, exec, s[0:1]
	s_waitcnt lgkmcnt(0)
	s_barrier
	ds_read_u8 v12, v1
	ds_read_u8 v13, v1 offset:1
                                        ; implicit-def: $sgpr6
	s_waitcnt lgkmcnt(0)
	v_cmp_ge_u16_e64 s[0:1], v12, v13
	v_cmp_lt_u16_e32 vcc, v12, v13
	s_and_saveexec_b64 s[2:3], vcc
	s_cbranch_execnz .LBB97_349
; %bb.128:
	s_or_b64 exec, exec, s[2:3]
	v_mov_b32_e32 v14, s6
	s_and_saveexec_b64 s[2:3], s[0:1]
	s_cbranch_execnz .LBB97_350
.LBB97_129:
	s_or_b64 exec, exec, s[2:3]
	v_cmp_eq_u32_e32 vcc, v14, v11
	s_and_saveexec_b64 s[0:1], vcc
	s_cbranch_execz .LBB97_131
.LBB97_130:
	ds_read_u8 v11, v3 offset:1025
	ds_read_u8 v14, v1 offset:1024
	ds_write_b8 v1, v13
	ds_write_b8 v1, v12 offset:1
	s_waitcnt lgkmcnt(3)
	ds_write_b8 v1, v11 offset:1024
	s_waitcnt lgkmcnt(3)
	ds_write_b8 v3, v14 offset:1025
.LBB97_131:
	s_or_b64 exec, exec, s[0:1]
	v_and_b32_e32 v11, 0x7f, v0
	v_sub_u32_e32 v11, v2, v11
	v_add_u32_e32 v11, 1, v11
	s_waitcnt lgkmcnt(0)
	s_barrier
	ds_read_u8 v13, v11
	ds_read_u8 v14, v11 offset:128
	s_mov_b32 s6, 1
	s_waitcnt lgkmcnt(0)
	v_cmp_ge_u16_e64 s[0:1], v13, v14
	v_cmp_lt_u16_e32 vcc, v13, v14
	s_and_saveexec_b64 s[2:3], vcc
	s_cbranch_execz .LBB97_133
; %bb.132:
	ds_read_u8 v12, v11 offset:1024
	s_andn2_b64 s[0:1], s[0:1], exec
	s_waitcnt lgkmcnt(0)
	v_and_b32_e32 v12, 1, v12
	v_cmp_eq_u32_e32 vcc, 1, v12
	s_xor_b64 s[8:9], vcc, -1
	s_and_b64 s[8:9], s[8:9], exec
	s_or_b64 s[0:1], s[0:1], s[8:9]
.LBB97_133:
	s_or_b64 exec, exec, s[2:3]
	v_mov_b32_e32 v15, s6
	s_and_saveexec_b64 s[2:3], s[0:1]
	s_cbranch_execz .LBB97_135
; %bb.134:
	ds_read_u8 v12, v11 offset:1152
	s_waitcnt lgkmcnt(0)
	v_xor_b32_e32 v15, 1, v12
.LBB97_135:
	s_or_b64 exec, exec, s[2:3]
	v_bfe_u32 v12, v0, 7, 1
	v_cmp_eq_u32_e32 vcc, v15, v12
	s_and_saveexec_b64 s[0:1], vcc
	s_cbranch_execz .LBB97_137
; %bb.136:
	ds_read_u8 v15, v11 offset:1152
	ds_read_u8 v16, v11 offset:1024
	ds_write_b8 v11, v14
	ds_write_b8 v11, v13 offset:128
	s_waitcnt lgkmcnt(3)
	ds_write_b8 v11, v15 offset:1024
	s_waitcnt lgkmcnt(3)
	ds_write_b8 v11, v16 offset:1152
.LBB97_137:
	s_or_b64 exec, exec, s[0:1]
	s_waitcnt lgkmcnt(0)
	s_barrier
	ds_read_u8 v13, v10
	ds_read_u8 v14, v10 offset:64
	s_waitcnt lgkmcnt(0)
	v_cmp_ge_u16_e64 s[0:1], v13, v14
	v_cmp_lt_u16_e32 vcc, v13, v14
	s_and_saveexec_b64 s[2:3], vcc
	s_cbranch_execnz .LBB97_351
; %bb.138:
	s_or_b64 exec, exec, s[2:3]
	v_mov_b32_e32 v15, s6
	s_and_saveexec_b64 s[2:3], s[0:1]
	s_cbranch_execnz .LBB97_352
.LBB97_139:
	s_or_b64 exec, exec, s[2:3]
	v_cmp_eq_u32_e32 vcc, v15, v12
	s_and_saveexec_b64 s[0:1], vcc
	s_cbranch_execz .LBB97_141
.LBB97_140:
	ds_read_u8 v15, v10 offset:1088
	ds_read_u8 v16, v10 offset:1024
	ds_write_b8 v10, v14
	ds_write_b8 v10, v13 offset:64
	s_waitcnt lgkmcnt(3)
	ds_write_b8 v10, v15 offset:1024
	s_waitcnt lgkmcnt(3)
	ds_write_b8 v10, v16 offset:1088
.LBB97_141:
	s_or_b64 exec, exec, s[0:1]
	s_waitcnt lgkmcnt(0)
	s_barrier
	ds_read_u8 v13, v9
	ds_read_u8 v14, v9 offset:32
	s_waitcnt lgkmcnt(0)
	v_cmp_ge_u16_e64 s[0:1], v13, v14
	v_cmp_lt_u16_e32 vcc, v13, v14
	s_and_saveexec_b64 s[2:3], vcc
	s_cbranch_execnz .LBB97_353
; %bb.142:
	s_or_b64 exec, exec, s[2:3]
	v_mov_b32_e32 v15, s6
	s_and_saveexec_b64 s[2:3], s[0:1]
	s_cbranch_execnz .LBB97_354
.LBB97_143:
	s_or_b64 exec, exec, s[2:3]
	v_cmp_eq_u32_e32 vcc, v15, v12
	s_and_saveexec_b64 s[0:1], vcc
	s_cbranch_execz .LBB97_145
.LBB97_144:
	ds_read_u8 v15, v9 offset:1056
	ds_read_u8 v16, v9 offset:1024
	ds_write_b8 v9, v14
	ds_write_b8 v9, v13 offset:32
	s_waitcnt lgkmcnt(3)
	ds_write_b8 v9, v15 offset:1024
	s_waitcnt lgkmcnt(3)
	ds_write_b8 v9, v16 offset:1056
.LBB97_145:
	s_or_b64 exec, exec, s[0:1]
	s_waitcnt lgkmcnt(0)
	s_barrier
	ds_read_u8 v13, v7
	ds_read_u8 v14, v7 offset:16
	s_waitcnt lgkmcnt(0)
	v_cmp_ge_u16_e64 s[0:1], v13, v14
	v_cmp_lt_u16_e32 vcc, v13, v14
	s_and_saveexec_b64 s[2:3], vcc
	s_cbranch_execnz .LBB97_355
; %bb.146:
	s_or_b64 exec, exec, s[2:3]
	v_mov_b32_e32 v15, s6
	s_and_saveexec_b64 s[2:3], s[0:1]
	s_cbranch_execnz .LBB97_356
.LBB97_147:
	s_or_b64 exec, exec, s[2:3]
	v_cmp_eq_u32_e32 vcc, v15, v12
	s_and_saveexec_b64 s[0:1], vcc
	s_cbranch_execz .LBB97_149
.LBB97_148:
	ds_read_u8 v15, v7 offset:1040
	ds_read_u8 v16, v7 offset:1024
	ds_write_b8 v7, v14
	ds_write_b8 v7, v13 offset:16
	s_waitcnt lgkmcnt(3)
	ds_write_b8 v7, v15 offset:1024
	s_waitcnt lgkmcnt(3)
	ds_write_b8 v7, v16 offset:1040
.LBB97_149:
	s_or_b64 exec, exec, s[0:1]
	s_waitcnt lgkmcnt(0)
	s_barrier
	ds_read_u8 v13, v6
	ds_read_u8 v14, v6 offset:8
	s_waitcnt lgkmcnt(0)
	v_cmp_ge_u16_e64 s[0:1], v13, v14
	v_cmp_lt_u16_e32 vcc, v13, v14
	s_and_saveexec_b64 s[2:3], vcc
	s_cbranch_execnz .LBB97_357
; %bb.150:
	s_or_b64 exec, exec, s[2:3]
	v_mov_b32_e32 v15, s6
	s_and_saveexec_b64 s[2:3], s[0:1]
	s_cbranch_execnz .LBB97_358
.LBB97_151:
	s_or_b64 exec, exec, s[2:3]
	v_cmp_eq_u32_e32 vcc, v15, v12
	s_and_saveexec_b64 s[0:1], vcc
	s_cbranch_execz .LBB97_153
.LBB97_152:
	ds_read_u8 v15, v6 offset:1032
	ds_read_u8 v16, v6 offset:1024
	ds_write_b8 v6, v14
	ds_write_b8 v6, v13 offset:8
	s_waitcnt lgkmcnt(3)
	ds_write_b8 v6, v15 offset:1024
	s_waitcnt lgkmcnt(3)
	ds_write_b8 v6, v16 offset:1032
.LBB97_153:
	s_or_b64 exec, exec, s[0:1]
	s_waitcnt lgkmcnt(0)
	s_barrier
	ds_read_u8 v13, v5
	ds_read_u8 v14, v5 offset:4
	s_waitcnt lgkmcnt(0)
	v_cmp_ge_u16_e64 s[0:1], v13, v14
	v_cmp_lt_u16_e32 vcc, v13, v14
	s_and_saveexec_b64 s[2:3], vcc
	s_cbranch_execnz .LBB97_359
; %bb.154:
	s_or_b64 exec, exec, s[2:3]
	v_mov_b32_e32 v15, s6
	s_and_saveexec_b64 s[2:3], s[0:1]
	s_cbranch_execnz .LBB97_360
.LBB97_155:
	s_or_b64 exec, exec, s[2:3]
	v_cmp_eq_u32_e32 vcc, v15, v12
	s_and_saveexec_b64 s[0:1], vcc
	s_cbranch_execz .LBB97_157
.LBB97_156:
	ds_read_u8 v15, v5 offset:1028
	ds_read_u8 v16, v5 offset:1024
	ds_write_b8 v5, v14
	ds_write_b8 v5, v13 offset:4
	s_waitcnt lgkmcnt(3)
	ds_write_b8 v5, v15 offset:1024
	s_waitcnt lgkmcnt(3)
	ds_write_b8 v5, v16 offset:1028
.LBB97_157:
	s_or_b64 exec, exec, s[0:1]
	s_waitcnt lgkmcnt(0)
	s_barrier
	ds_read_u8 v13, v4
	ds_read_u8 v14, v4 offset:2
	s_waitcnt lgkmcnt(0)
	v_cmp_ge_u16_e64 s[0:1], v13, v14
	v_cmp_lt_u16_e32 vcc, v13, v14
	s_and_saveexec_b64 s[2:3], vcc
	s_cbranch_execnz .LBB97_361
; %bb.158:
	s_or_b64 exec, exec, s[2:3]
	v_mov_b32_e32 v15, s6
	s_and_saveexec_b64 s[2:3], s[0:1]
	s_cbranch_execnz .LBB97_362
.LBB97_159:
	s_or_b64 exec, exec, s[2:3]
	v_cmp_eq_u32_e32 vcc, v15, v12
	s_and_saveexec_b64 s[0:1], vcc
	s_cbranch_execz .LBB97_161
.LBB97_160:
	ds_read_u8 v15, v4 offset:1026
	ds_read_u8 v16, v4 offset:1024
	ds_write_b8 v4, v14
	ds_write_b8 v4, v13 offset:2
	s_waitcnt lgkmcnt(3)
	ds_write_b8 v4, v15 offset:1024
	s_waitcnt lgkmcnt(3)
	ds_write_b8 v4, v16 offset:1026
.LBB97_161:
	s_or_b64 exec, exec, s[0:1]
	s_waitcnt lgkmcnt(0)
	s_barrier
	ds_read_u8 v13, v1
	ds_read_u8 v14, v1 offset:1
                                        ; implicit-def: $sgpr6
	s_waitcnt lgkmcnt(0)
	v_cmp_ge_u16_e64 s[0:1], v13, v14
	v_cmp_lt_u16_e32 vcc, v13, v14
	s_and_saveexec_b64 s[2:3], vcc
	s_cbranch_execnz .LBB97_363
; %bb.162:
	s_or_b64 exec, exec, s[2:3]
	v_mov_b32_e32 v15, s6
	s_and_saveexec_b64 s[2:3], s[0:1]
	s_cbranch_execnz .LBB97_364
.LBB97_163:
	s_or_b64 exec, exec, s[2:3]
	v_cmp_eq_u32_e32 vcc, v15, v12
	s_and_saveexec_b64 s[0:1], vcc
	s_cbranch_execz .LBB97_165
.LBB97_164:
	ds_read_u8 v12, v3 offset:1025
	ds_read_u8 v15, v1 offset:1024
	ds_write_b8 v1, v14
	ds_write_b8 v1, v13 offset:1
	s_waitcnt lgkmcnt(3)
	ds_write_b8 v1, v12 offset:1024
	s_waitcnt lgkmcnt(3)
	ds_write_b8 v3, v15 offset:1025
.LBB97_165:
	s_or_b64 exec, exec, s[0:1]
	v_sub_u32_sdwa v12, v2, v0 dst_sel:DWORD dst_unused:UNUSED_PAD src0_sel:DWORD src1_sel:BYTE_0
	v_add_u32_e32 v12, 1, v12
	s_waitcnt lgkmcnt(0)
	s_barrier
	ds_read_u8 v14, v12
	ds_read_u8 v15, v12 offset:256
	s_mov_b32 s6, 1
	s_waitcnt lgkmcnt(0)
	v_cmp_ge_u16_e64 s[0:1], v14, v15
	v_cmp_lt_u16_e32 vcc, v14, v15
	s_and_saveexec_b64 s[2:3], vcc
	s_cbranch_execz .LBB97_167
; %bb.166:
	ds_read_u8 v13, v12 offset:1024
	s_andn2_b64 s[0:1], s[0:1], exec
	s_waitcnt lgkmcnt(0)
	v_and_b32_e32 v13, 1, v13
	v_cmp_eq_u32_e32 vcc, 1, v13
	s_xor_b64 s[8:9], vcc, -1
	s_and_b64 s[8:9], s[8:9], exec
	s_or_b64 s[0:1], s[0:1], s[8:9]
.LBB97_167:
	s_or_b64 exec, exec, s[2:3]
	v_mov_b32_e32 v16, s6
	s_and_saveexec_b64 s[2:3], s[0:1]
	s_cbranch_execz .LBB97_169
; %bb.168:
	ds_read_u8 v13, v12 offset:1280
	s_waitcnt lgkmcnt(0)
	v_xor_b32_e32 v16, 1, v13
.LBB97_169:
	s_or_b64 exec, exec, s[2:3]
	v_bfe_u32 v13, v0, 8, 1
	v_cmp_eq_u32_e32 vcc, v16, v13
	s_and_saveexec_b64 s[0:1], vcc
	s_cbranch_execz .LBB97_171
; %bb.170:
	ds_read_u8 v16, v12 offset:1280
	ds_read_u8 v17, v12 offset:1024
	ds_write_b8 v12, v15
	ds_write_b8 v12, v14 offset:256
	s_waitcnt lgkmcnt(3)
	ds_write_b8 v12, v16 offset:1024
	s_waitcnt lgkmcnt(3)
	ds_write_b8 v12, v17 offset:1280
.LBB97_171:
	s_or_b64 exec, exec, s[0:1]
	s_waitcnt lgkmcnt(0)
	s_barrier
	ds_read_u8 v14, v11
	ds_read_u8 v15, v11 offset:128
	s_waitcnt lgkmcnt(0)
	v_cmp_ge_u16_e64 s[0:1], v14, v15
	v_cmp_lt_u16_e32 vcc, v14, v15
	s_and_saveexec_b64 s[2:3], vcc
	s_cbranch_execnz .LBB97_365
; %bb.172:
	s_or_b64 exec, exec, s[2:3]
	v_mov_b32_e32 v16, s6
	s_and_saveexec_b64 s[2:3], s[0:1]
	s_cbranch_execnz .LBB97_366
.LBB97_173:
	s_or_b64 exec, exec, s[2:3]
	v_cmp_eq_u32_e32 vcc, v16, v13
	s_and_saveexec_b64 s[0:1], vcc
	s_cbranch_execz .LBB97_175
.LBB97_174:
	ds_read_u8 v16, v11 offset:1152
	ds_read_u8 v17, v11 offset:1024
	ds_write_b8 v11, v15
	ds_write_b8 v11, v14 offset:128
	s_waitcnt lgkmcnt(3)
	ds_write_b8 v11, v16 offset:1024
	s_waitcnt lgkmcnt(3)
	ds_write_b8 v11, v17 offset:1152
.LBB97_175:
	s_or_b64 exec, exec, s[0:1]
	s_waitcnt lgkmcnt(0)
	s_barrier
	ds_read_u8 v14, v10
	ds_read_u8 v15, v10 offset:64
	s_waitcnt lgkmcnt(0)
	v_cmp_ge_u16_e64 s[0:1], v14, v15
	v_cmp_lt_u16_e32 vcc, v14, v15
	s_and_saveexec_b64 s[2:3], vcc
	s_cbranch_execnz .LBB97_367
; %bb.176:
	s_or_b64 exec, exec, s[2:3]
	v_mov_b32_e32 v16, s6
	s_and_saveexec_b64 s[2:3], s[0:1]
	s_cbranch_execnz .LBB97_368
.LBB97_177:
	s_or_b64 exec, exec, s[2:3]
	v_cmp_eq_u32_e32 vcc, v16, v13
	s_and_saveexec_b64 s[0:1], vcc
	s_cbranch_execz .LBB97_179
.LBB97_178:
	ds_read_u8 v16, v10 offset:1088
	ds_read_u8 v17, v10 offset:1024
	ds_write_b8 v10, v15
	ds_write_b8 v10, v14 offset:64
	s_waitcnt lgkmcnt(3)
	ds_write_b8 v10, v16 offset:1024
	s_waitcnt lgkmcnt(3)
	ds_write_b8 v10, v17 offset:1088
.LBB97_179:
	s_or_b64 exec, exec, s[0:1]
	s_waitcnt lgkmcnt(0)
	s_barrier
	ds_read_u8 v14, v9
	ds_read_u8 v15, v9 offset:32
	s_waitcnt lgkmcnt(0)
	v_cmp_ge_u16_e64 s[0:1], v14, v15
	v_cmp_lt_u16_e32 vcc, v14, v15
	s_and_saveexec_b64 s[2:3], vcc
	s_cbranch_execnz .LBB97_369
; %bb.180:
	s_or_b64 exec, exec, s[2:3]
	v_mov_b32_e32 v16, s6
	s_and_saveexec_b64 s[2:3], s[0:1]
	s_cbranch_execnz .LBB97_370
.LBB97_181:
	s_or_b64 exec, exec, s[2:3]
	v_cmp_eq_u32_e32 vcc, v16, v13
	s_and_saveexec_b64 s[0:1], vcc
	s_cbranch_execz .LBB97_183
.LBB97_182:
	ds_read_u8 v16, v9 offset:1056
	ds_read_u8 v17, v9 offset:1024
	ds_write_b8 v9, v15
	ds_write_b8 v9, v14 offset:32
	s_waitcnt lgkmcnt(3)
	ds_write_b8 v9, v16 offset:1024
	s_waitcnt lgkmcnt(3)
	ds_write_b8 v9, v17 offset:1056
.LBB97_183:
	s_or_b64 exec, exec, s[0:1]
	s_waitcnt lgkmcnt(0)
	s_barrier
	ds_read_u8 v14, v7
	ds_read_u8 v15, v7 offset:16
	s_waitcnt lgkmcnt(0)
	v_cmp_ge_u16_e64 s[0:1], v14, v15
	v_cmp_lt_u16_e32 vcc, v14, v15
	s_and_saveexec_b64 s[2:3], vcc
	s_cbranch_execnz .LBB97_371
; %bb.184:
	s_or_b64 exec, exec, s[2:3]
	v_mov_b32_e32 v16, s6
	s_and_saveexec_b64 s[2:3], s[0:1]
	s_cbranch_execnz .LBB97_372
.LBB97_185:
	s_or_b64 exec, exec, s[2:3]
	v_cmp_eq_u32_e32 vcc, v16, v13
	s_and_saveexec_b64 s[0:1], vcc
	s_cbranch_execz .LBB97_187
.LBB97_186:
	ds_read_u8 v16, v7 offset:1040
	ds_read_u8 v17, v7 offset:1024
	ds_write_b8 v7, v15
	ds_write_b8 v7, v14 offset:16
	s_waitcnt lgkmcnt(3)
	ds_write_b8 v7, v16 offset:1024
	s_waitcnt lgkmcnt(3)
	ds_write_b8 v7, v17 offset:1040
.LBB97_187:
	s_or_b64 exec, exec, s[0:1]
	s_waitcnt lgkmcnt(0)
	s_barrier
	ds_read_u8 v14, v6
	ds_read_u8 v15, v6 offset:8
	s_waitcnt lgkmcnt(0)
	v_cmp_ge_u16_e64 s[0:1], v14, v15
	v_cmp_lt_u16_e32 vcc, v14, v15
	s_and_saveexec_b64 s[2:3], vcc
	s_cbranch_execnz .LBB97_373
; %bb.188:
	s_or_b64 exec, exec, s[2:3]
	v_mov_b32_e32 v16, s6
	s_and_saveexec_b64 s[2:3], s[0:1]
	s_cbranch_execnz .LBB97_374
.LBB97_189:
	s_or_b64 exec, exec, s[2:3]
	v_cmp_eq_u32_e32 vcc, v16, v13
	s_and_saveexec_b64 s[0:1], vcc
	s_cbranch_execz .LBB97_191
.LBB97_190:
	ds_read_u8 v16, v6 offset:1032
	ds_read_u8 v17, v6 offset:1024
	ds_write_b8 v6, v15
	ds_write_b8 v6, v14 offset:8
	s_waitcnt lgkmcnt(3)
	ds_write_b8 v6, v16 offset:1024
	s_waitcnt lgkmcnt(3)
	ds_write_b8 v6, v17 offset:1032
.LBB97_191:
	s_or_b64 exec, exec, s[0:1]
	s_waitcnt lgkmcnt(0)
	s_barrier
	ds_read_u8 v14, v5
	ds_read_u8 v15, v5 offset:4
	s_waitcnt lgkmcnt(0)
	v_cmp_ge_u16_e64 s[0:1], v14, v15
	v_cmp_lt_u16_e32 vcc, v14, v15
	s_and_saveexec_b64 s[2:3], vcc
	s_cbranch_execnz .LBB97_375
; %bb.192:
	s_or_b64 exec, exec, s[2:3]
	v_mov_b32_e32 v16, s6
	s_and_saveexec_b64 s[2:3], s[0:1]
	s_cbranch_execnz .LBB97_376
.LBB97_193:
	s_or_b64 exec, exec, s[2:3]
	v_cmp_eq_u32_e32 vcc, v16, v13
	s_and_saveexec_b64 s[0:1], vcc
	s_cbranch_execz .LBB97_195
.LBB97_194:
	ds_read_u8 v16, v5 offset:1028
	ds_read_u8 v17, v5 offset:1024
	ds_write_b8 v5, v15
	ds_write_b8 v5, v14 offset:4
	s_waitcnt lgkmcnt(3)
	ds_write_b8 v5, v16 offset:1024
	s_waitcnt lgkmcnt(3)
	ds_write_b8 v5, v17 offset:1028
.LBB97_195:
	s_or_b64 exec, exec, s[0:1]
	s_waitcnt lgkmcnt(0)
	s_barrier
	ds_read_u8 v14, v4
	ds_read_u8 v15, v4 offset:2
	s_waitcnt lgkmcnt(0)
	v_cmp_ge_u16_e64 s[0:1], v14, v15
	v_cmp_lt_u16_e32 vcc, v14, v15
	s_and_saveexec_b64 s[2:3], vcc
	s_cbranch_execnz .LBB97_377
; %bb.196:
	s_or_b64 exec, exec, s[2:3]
	v_mov_b32_e32 v16, s6
	s_and_saveexec_b64 s[2:3], s[0:1]
	s_cbranch_execnz .LBB97_378
.LBB97_197:
	s_or_b64 exec, exec, s[2:3]
	v_cmp_eq_u32_e32 vcc, v16, v13
	s_and_saveexec_b64 s[0:1], vcc
	s_cbranch_execz .LBB97_199
.LBB97_198:
	ds_read_u8 v16, v4 offset:1026
	ds_read_u8 v17, v4 offset:1024
	ds_write_b8 v4, v15
	ds_write_b8 v4, v14 offset:2
	s_waitcnt lgkmcnt(3)
	ds_write_b8 v4, v16 offset:1024
	s_waitcnt lgkmcnt(3)
	ds_write_b8 v4, v17 offset:1026
.LBB97_199:
	s_or_b64 exec, exec, s[0:1]
	s_waitcnt lgkmcnt(0)
	s_barrier
	ds_read_u8 v14, v1
	ds_read_u8 v15, v1 offset:1
                                        ; implicit-def: $sgpr6
	s_waitcnt lgkmcnt(0)
	v_cmp_ge_u16_e64 s[0:1], v14, v15
	v_cmp_lt_u16_e32 vcc, v14, v15
	s_and_saveexec_b64 s[2:3], vcc
	s_cbranch_execnz .LBB97_379
; %bb.200:
	s_or_b64 exec, exec, s[2:3]
	v_mov_b32_e32 v16, s6
	s_and_saveexec_b64 s[2:3], s[0:1]
	s_cbranch_execnz .LBB97_380
.LBB97_201:
	s_or_b64 exec, exec, s[2:3]
	v_cmp_eq_u32_e32 vcc, v16, v13
	s_and_saveexec_b64 s[0:1], vcc
	s_cbranch_execz .LBB97_203
.LBB97_202:
	ds_read_u8 v13, v3 offset:1025
	ds_read_u8 v16, v1 offset:1024
	ds_write_b8 v1, v15
	ds_write_b8 v1, v14 offset:1
	s_waitcnt lgkmcnt(3)
	ds_write_b8 v1, v13 offset:1024
	s_waitcnt lgkmcnt(3)
	ds_write_b8 v3, v16 offset:1025
.LBB97_203:
	s_or_b64 exec, exec, s[0:1]
	v_and_b32_e32 v13, 0x1ff, v0
	v_sub_u32_e32 v13, v2, v13
	v_add_u32_e32 v13, 1, v13
	s_waitcnt lgkmcnt(0)
	s_barrier
	ds_read_u8 v14, v13
	ds_read_u8 v15, v13 offset:512
	s_mov_b32 s6, 1
	s_waitcnt lgkmcnt(0)
	v_cmp_ge_u16_e64 s[0:1], v14, v15
	v_cmp_lt_u16_e32 vcc, v14, v15
	s_and_saveexec_b64 s[2:3], vcc
	s_cbranch_execnz .LBB97_381
; %bb.204:
	s_or_b64 exec, exec, s[2:3]
	v_mov_b32_e32 v16, s6
	s_and_saveexec_b64 s[2:3], s[0:1]
	s_cbranch_execnz .LBB97_382
.LBB97_205:
	s_or_b64 exec, exec, s[2:3]
	v_cmp_eq_u32_e32 vcc, 0, v16
	s_and_saveexec_b64 s[0:1], vcc
	s_cbranch_execz .LBB97_207
.LBB97_206:
	ds_read_u8 v16, v13 offset:1536
	ds_read_u8 v17, v13 offset:1024
	ds_write_b8 v13, v15
	ds_write_b8 v13, v14 offset:512
	s_waitcnt lgkmcnt(3)
	ds_write_b8 v13, v16 offset:1024
	s_waitcnt lgkmcnt(3)
	ds_write_b8 v13, v17 offset:1536
.LBB97_207:
	s_or_b64 exec, exec, s[0:1]
	s_waitcnt lgkmcnt(0)
	s_barrier
	ds_read_u8 v13, v12
	ds_read_u8 v14, v12 offset:256
	s_waitcnt lgkmcnt(0)
	v_cmp_ge_u16_e64 s[0:1], v13, v14
	v_cmp_lt_u16_e32 vcc, v13, v14
	s_and_saveexec_b64 s[2:3], vcc
	s_cbranch_execnz .LBB97_383
; %bb.208:
	s_or_b64 exec, exec, s[2:3]
	v_mov_b32_e32 v15, s6
	s_and_saveexec_b64 s[2:3], s[0:1]
	s_cbranch_execnz .LBB97_384
.LBB97_209:
	s_or_b64 exec, exec, s[2:3]
	v_cmp_eq_u32_e32 vcc, 0, v15
	s_and_saveexec_b64 s[0:1], vcc
	s_cbranch_execz .LBB97_211
.LBB97_210:
	ds_read_u8 v15, v12 offset:1280
	ds_read_u8 v16, v12 offset:1024
	ds_write_b8 v12, v14
	ds_write_b8 v12, v13 offset:256
	s_waitcnt lgkmcnt(3)
	ds_write_b8 v12, v15 offset:1024
	s_waitcnt lgkmcnt(3)
	ds_write_b8 v12, v16 offset:1280
.LBB97_211:
	s_or_b64 exec, exec, s[0:1]
	s_waitcnt lgkmcnt(0)
	s_barrier
	ds_read_u8 v12, v11
	ds_read_u8 v13, v11 offset:128
	s_waitcnt lgkmcnt(0)
	v_cmp_ge_u16_e64 s[0:1], v12, v13
	v_cmp_lt_u16_e32 vcc, v12, v13
	s_and_saveexec_b64 s[2:3], vcc
	s_cbranch_execnz .LBB97_385
; %bb.212:
	s_or_b64 exec, exec, s[2:3]
	v_mov_b32_e32 v14, s6
	s_and_saveexec_b64 s[2:3], s[0:1]
	s_cbranch_execnz .LBB97_386
.LBB97_213:
	s_or_b64 exec, exec, s[2:3]
	v_cmp_eq_u32_e32 vcc, 0, v14
	s_and_saveexec_b64 s[0:1], vcc
	s_cbranch_execz .LBB97_215
.LBB97_214:
	ds_read_u8 v14, v11 offset:1152
	ds_read_u8 v15, v11 offset:1024
	ds_write_b8 v11, v13
	ds_write_b8 v11, v12 offset:128
	s_waitcnt lgkmcnt(3)
	ds_write_b8 v11, v14 offset:1024
	s_waitcnt lgkmcnt(3)
	ds_write_b8 v11, v15 offset:1152
.LBB97_215:
	s_or_b64 exec, exec, s[0:1]
	s_waitcnt lgkmcnt(0)
	s_barrier
	ds_read_u8 v11, v10
	ds_read_u8 v12, v10 offset:64
	s_waitcnt lgkmcnt(0)
	v_cmp_ge_u16_e64 s[2:3], v11, v12
	v_cmp_lt_u16_e32 vcc, v11, v12
	s_and_saveexec_b64 s[0:1], vcc
	s_cbranch_execz .LBB97_217
; %bb.216:
	ds_read_u8 v13, v10 offset:1024
	s_andn2_b64 s[2:3], s[2:3], exec
	s_waitcnt lgkmcnt(0)
	v_and_b32_e32 v13, 1, v13
	v_cmp_eq_u32_e32 vcc, 1, v13
	s_xor_b64 s[6:7], vcc, -1
	s_and_b64 s[6:7], s[6:7], exec
	s_or_b64 s[2:3], s[2:3], s[6:7]
.LBB97_217:
	s_or_b64 exec, exec, s[0:1]
	s_and_saveexec_b64 s[0:1], s[2:3]
	s_cbranch_execz .LBB97_220
; %bb.218:
	ds_read_u8 v13, v10 offset:1088
	s_waitcnt lgkmcnt(0)
	v_cmp_ne_u16_e32 vcc, 0, v13
	s_and_b64 exec, exec, vcc
	s_cbranch_execz .LBB97_220
; %bb.219:
	ds_read_u8 v14, v10 offset:1024
	ds_write_b8 v10, v12
	ds_write_b8 v10, v11 offset:64
	ds_write_b8 v10, v13 offset:1024
	s_waitcnt lgkmcnt(3)
	ds_write_b8 v10, v14 offset:1088
.LBB97_220:
	s_or_b64 exec, exec, s[0:1]
	s_waitcnt lgkmcnt(0)
	s_barrier
	ds_read_u8 v10, v9
	ds_read_u8 v11, v9 offset:32
	s_waitcnt lgkmcnt(0)
	v_cmp_ge_u16_e64 s[2:3], v10, v11
	v_cmp_lt_u16_e32 vcc, v10, v11
	s_and_saveexec_b64 s[0:1], vcc
	s_cbranch_execz .LBB97_222
; %bb.221:
	ds_read_u8 v12, v9 offset:1024
	s_andn2_b64 s[2:3], s[2:3], exec
	s_waitcnt lgkmcnt(0)
	v_and_b32_e32 v12, 1, v12
	v_cmp_eq_u32_e32 vcc, 1, v12
	s_xor_b64 s[6:7], vcc, -1
	s_and_b64 s[6:7], s[6:7], exec
	s_or_b64 s[2:3], s[2:3], s[6:7]
.LBB97_222:
	s_or_b64 exec, exec, s[0:1]
	s_and_saveexec_b64 s[0:1], s[2:3]
	s_cbranch_execz .LBB97_225
; %bb.223:
	ds_read_u8 v12, v9 offset:1056
	s_waitcnt lgkmcnt(0)
	v_cmp_ne_u16_e32 vcc, 0, v12
	s_and_b64 exec, exec, vcc
	s_cbranch_execz .LBB97_225
; %bb.224:
	ds_read_u8 v13, v9 offset:1024
	ds_write_b8 v9, v11
	ds_write_b8 v9, v10 offset:32
	ds_write_b8 v9, v12 offset:1024
	s_waitcnt lgkmcnt(3)
	ds_write_b8 v9, v13 offset:1056
.LBB97_225:
	;; [unrolled: 37-line block ×7, first 2 shown]
	s_or_b64 exec, exec, s[0:1]
	v_cmp_eq_u32_e32 vcc, 0, v0
	s_waitcnt lgkmcnt(0)
	s_barrier
	s_barrier
	s_and_saveexec_b64 s[0:1], vcc
	s_cbranch_execz .LBB97_252
; %bb.251:
	v_mov_b32_e32 v4, 1
	v_mov_b32_e32 v5, 0
	ds_write_b8 v4, v4 offset:1028
	ds_write_b32 v4, v5 offset:1024
.LBB97_252:
	s_or_b64 exec, exec, s[0:1]
	ds_read_u8 v5, v1
	ds_read_u8 v4, v1 offset:1
	s_add_i32 s10, 1, 0x400
	v_lshl_add_u32 v1, v2, 3, s10
	s_waitcnt lgkmcnt(0)
	v_cmp_ne_u16_e64 s[0:1], v5, v4
	v_cndmask_b32_e64 v6, 0, 1, s[0:1]
	v_cmp_eq_u16_e64 s[0:1], v5, v4
	v_cndmask_b32_e64 v5, 0, 1, s[0:1]
	s_movk_i32 s0, 0x1ff
	v_cmp_gt_u32_e64 s[2:3], s0, v0
	ds_write_b8 v1, v6 offset:12
	ds_write_b32 v1, v5 offset:8
	s_and_saveexec_b64 s[6:7], s[2:3]
	s_cbranch_execz .LBB97_254
; %bb.253:
	ds_read_u8 v3, v3 offset:2
	s_waitcnt lgkmcnt(0)
	v_cmp_ne_u16_e64 s[0:1], v4, v3
	v_cndmask_b32_e64 v5, 0, 1, s[0:1]
	v_cmp_eq_u16_e64 s[0:1], v4, v3
	v_cndmask_b32_e64 v3, 0, 1, s[0:1]
	ds_write_b8 v1, v5 offset:20
	ds_write_b32 v1, v3 offset:16
.LBB97_254:
	s_or_b64 exec, exec, s[6:7]
	s_movk_i32 s0, 0x200
	v_cmp_gt_u32_e64 s[0:1], s0, v0
	v_lshl_add_u32 v3, v2, 3, 1
	s_waitcnt lgkmcnt(0)
	s_barrier
	s_and_saveexec_b64 s[6:7], s[0:1]
	s_cbranch_execz .LBB97_256
; %bb.255:
	ds_read_u8 v4, v1 offset:12
	ds_read_b32 v5, v3 offset:1024
	ds_read_b32 v6, v1 offset:8
	ds_read_u8 v7, v3 offset:1028
	s_waitcnt lgkmcnt(3)
	v_and_b32_e32 v9, 1, v4
	v_cmp_eq_u32_e64 s[0:1], 1, v9
	s_waitcnt lgkmcnt(2)
	v_cndmask_b32_e64 v5, v5, 0, s[0:1]
	s_waitcnt lgkmcnt(0)
	v_or_b32_e32 v4, v7, v4
	v_add_u32_e32 v5, v5, v6
	v_and_b32_e32 v4, 1, v4
	ds_write2_b32 v1, v5, v4 offset0:2 offset1:3
.LBB97_256:
	s_or_b64 exec, exec, s[6:7]
	v_add_u32_e32 v14, 2, v2
	v_lshlrev_b32_e32 v4, 1, v14
	s_movk_i32 s0, 0x100
	v_add_u32_e32 v5, -1, v4
	v_cmp_gt_u32_e64 s[0:1], s0, v0
	s_waitcnt lgkmcnt(0)
	s_barrier
	s_and_saveexec_b64 s[6:7], s[0:1]
	s_cbranch_execz .LBB97_258
; %bb.257:
	v_lshl_add_u32 v6, v5, 3, 1
	ds_read_b32 v7, v6 offset:1024
	ds_read_u8 v9, v6 offset:1028
	v_lshl_add_u32 v10, v4, 3, 1
	ds_read_b32 v11, v10 offset:1000
	ds_read_u8 v10, v10 offset:1004
	v_add_u32_e32 v6, 0x400, v6
	s_waitcnt lgkmcnt(2)
	v_and_b32_e32 v12, 1, v9
	v_cmp_eq_u32_e64 s[0:1], 1, v12
	s_waitcnt lgkmcnt(1)
	v_cndmask_b32_e64 v11, v11, 0, s[0:1]
	s_waitcnt lgkmcnt(0)
	v_or_b32_e32 v9, v10, v9
	v_add_u32_e32 v7, v11, v7
	v_and_b32_e32 v9, 1, v9
	ds_write2_b32 v6, v7, v9 offset1:1
.LBB97_258:
	s_or_b64 exec, exec, s[6:7]
	s_movk_i32 s0, 0x80
	v_lshlrev_b32_e32 v6, 2, v14
	v_add_u32_e32 v5, v5, v4
	v_cmp_gt_u32_e64 s[0:1], s0, v0
	s_waitcnt lgkmcnt(0)
	s_barrier
	s_and_saveexec_b64 s[6:7], s[0:1]
	s_cbranch_execz .LBB97_260
; %bb.259:
	v_lshl_add_u32 v7, v5, 3, 1
	ds_read_b32 v9, v7 offset:1024
	ds_read_u8 v10, v7 offset:1028
	v_lshl_add_u32 v11, v6, 3, 1
	ds_read_b32 v12, v11 offset:984
	ds_read_u8 v11, v11 offset:988
	v_add_u32_e32 v7, 0x400, v7
	s_waitcnt lgkmcnt(2)
	v_and_b32_e32 v13, 1, v10
	v_cmp_eq_u32_e64 s[0:1], 1, v13
	s_waitcnt lgkmcnt(1)
	v_cndmask_b32_e64 v12, v12, 0, s[0:1]
	s_waitcnt lgkmcnt(0)
	v_or_b32_e32 v10, v11, v10
	v_add_u32_e32 v9, v12, v9
	v_and_b32_e32 v10, 1, v10
	ds_write2_b32 v7, v9, v10 offset1:1
.LBB97_260:
	s_or_b64 exec, exec, s[6:7]
	v_lshlrev_b32_e32 v9, 3, v14
	v_add_u32_e32 v7, v5, v6
	v_cmp_gt_u32_e64 s[0:1], 64, v0
	s_waitcnt lgkmcnt(0)
	s_barrier
	s_and_saveexec_b64 s[8:9], s[0:1]
	s_cbranch_execz .LBB97_262
; %bb.261:
	v_lshl_add_u32 v10, v7, 3, 1
	ds_read_b32 v11, v10 offset:1024
	ds_read_u8 v12, v10 offset:1028
	v_lshl_add_u32 v13, v9, 3, 1
	ds_read_b32 v15, v13 offset:952
	ds_read_u8 v13, v13 offset:956
	v_add_u32_e32 v10, 0x400, v10
	s_waitcnt lgkmcnt(2)
	v_and_b32_e32 v16, 1, v12
	v_cmp_eq_u32_e64 s[6:7], 1, v16
	s_waitcnt lgkmcnt(1)
	v_cndmask_b32_e64 v15, v15, 0, s[6:7]
	s_waitcnt lgkmcnt(0)
	v_or_b32_e32 v12, v13, v12
	v_add_u32_e32 v11, v15, v11
	v_and_b32_e32 v12, 1, v12
	ds_write2_b32 v10, v11, v12 offset1:1
.LBB97_262:
	s_or_b64 exec, exec, s[8:9]
	;; [unrolled: 27-line block ×5, first 2 shown]
	v_lshlrev_b32_e32 v18, 7, v14
	v_add_u32_e32 v17, v15, v16
	v_cmp_gt_u32_e64 s[6:7], 4, v0
	s_waitcnt lgkmcnt(0)
	s_barrier
	s_and_saveexec_b64 s[8:9], s[6:7]
	s_cbranch_execz .LBB97_270
; %bb.269:
	v_lshl_add_u32 v19, v17, 3, 1
	v_add_u32_e32 v20, 0x400, v19
	v_lshl_add_u32 v21, v18, 3, 1
	ds_read_b32 v22, v19 offset:1024
	ds_read_u8 v19, v19 offset:1028
	v_add_u32_e32 v23, -8, v21
	v_add_u32_e32 v21, -4, v21
	ds_read_b32 v23, v23
	ds_read_u8 v21, v21
	s_waitcnt lgkmcnt(2)
	v_and_b32_e32 v24, 1, v19
	v_cmp_eq_u32_e64 s[6:7], 1, v24
	s_waitcnt lgkmcnt(1)
	v_cndmask_b32_e64 v23, v23, 0, s[6:7]
	s_waitcnt lgkmcnt(0)
	v_or_b32_e32 v19, v21, v19
	v_add_u32_e32 v22, v23, v22
	v_and_b32_e32 v19, 1, v19
	ds_write2_b32 v20, v22, v19 offset1:1
.LBB97_270:
	s_or_b64 exec, exec, s[8:9]
	v_add_u32_e32 v19, v17, v18
	v_cmp_gt_u32_e64 s[6:7], 2, v0
	v_lshl_add_u32 v19, v19, 3, 1
	s_waitcnt lgkmcnt(0)
	s_barrier
	s_and_saveexec_b64 s[8:9], s[6:7]
	s_cbranch_execz .LBB97_272
; %bb.271:
	v_lshl_add_u32 v14, v14, 11, 1
	v_add_u32_e32 v21, 0xfffffbf8, v14
	ds_read_u8 v22, v19 offset:1028
	ds_read_b32 v21, v21
	v_add_u32_e32 v14, 0xfffffbfc, v14
	ds_read_b32 v23, v19 offset:1024
	ds_read_u8 v14, v14
	v_add_u32_e32 v20, 0x400, v19
	s_waitcnt lgkmcnt(3)
	v_and_b32_e32 v24, 1, v22
	v_cmp_eq_u32_e64 s[6:7], 1, v24
	s_waitcnt lgkmcnt(2)
	v_cndmask_b32_e64 v21, v21, 0, s[6:7]
	s_waitcnt lgkmcnt(0)
	v_or_b32_e32 v14, v14, v22
	v_add_u32_e32 v21, v21, v23
	v_and_b32_e32 v14, 1, v14
	ds_write2_b32 v20, v21, v14 offset1:1
.LBB97_272:
	s_or_b64 exec, exec, s[8:9]
	s_waitcnt lgkmcnt(0)
	s_barrier
	s_and_saveexec_b64 s[8:9], vcc
	s_cbranch_execz .LBB97_274
; %bb.273:
	v_mov_b32_e32 v14, 1
	s_movk_i32 s6, 0xf8
	ds_read_u8 v22, v14 offset:9212
	v_add_u32_e64 v20, s6, 1
	ds_read2st64_b32 v[20:21], v20 offset0:19 offset1:35
	ds_read_u8 v14, v14 offset:5116
	s_add_i32 s11, 1, 0x23f8
	s_waitcnt lgkmcnt(2)
	v_and_b32_e32 v23, 1, v22
	v_cmp_eq_u32_e64 s[6:7], 1, v23
	s_waitcnt lgkmcnt(1)
	v_cndmask_b32_e64 v20, v20, 0, s[6:7]
	s_waitcnt lgkmcnt(0)
	v_or_b32_e32 v14, v14, v22
	v_add_u32_e32 v20, v20, v21
	v_and_b32_e32 v14, 1, v14
	v_mov_b32_e32 v21, s11
	ds_write2_b32 v21, v20, v14 offset1:1
.LBB97_274:
	s_or_b64 exec, exec, s[8:9]
	s_waitcnt lgkmcnt(0)
	s_barrier
	s_and_saveexec_b64 s[8:9], vcc
	s_cbranch_execz .LBB97_276
; %bb.275:
	v_mov_b32_e32 v14, 1
	ds_read_u8 v20, v14 offset:7164
	ds_read_b32 v14, v14 offset:7160
	ds_read_b32 v21, v19 offset:1024
	ds_read_u8 v19, v19 offset:1028
	s_add_i32 s11, 1, 0x1bf8
	s_waitcnt lgkmcnt(3)
	v_and_b32_e32 v22, 1, v20
	v_cmp_eq_u32_e64 s[6:7], 1, v22
	s_waitcnt lgkmcnt(1)
	v_cndmask_b32_e64 v21, v21, 0, s[6:7]
	s_waitcnt lgkmcnt(0)
	v_or_b32_e32 v19, v19, v20
	v_add_u32_e32 v14, v21, v14
	v_and_b32_e32 v19, 1, v19
	v_mov_b32_e32 v20, s11
	ds_write2_b32 v20, v14, v19 offset1:1
.LBB97_276:
	s_or_b64 exec, exec, s[8:9]
	v_cmp_gt_u32_e64 s[6:7], 3, v0
	s_waitcnt lgkmcnt(0)
	s_barrier
	s_and_saveexec_b64 s[8:9], s[6:7]
	s_cbranch_execz .LBB97_278
; %bb.277:
	v_lshl_add_u32 v14, v18, 3, s10
	ds_read_u8 v18, v14 offset:1020
	v_lshl_add_u32 v17, v17, 3, s10
	ds_read_b32 v19, v17
	ds_read_b32 v20, v14 offset:1016
	ds_read_u8 v17, v17 offset:4
	s_waitcnt lgkmcnt(3)
	v_and_b32_e32 v21, 1, v18
	v_cmp_eq_u32_e64 s[6:7], 1, v21
	s_waitcnt lgkmcnt(2)
	v_cndmask_b32_e64 v19, v19, 0, s[6:7]
	s_waitcnt lgkmcnt(0)
	v_or_b32_e32 v17, v17, v18
	v_add_u32_e32 v19, v19, v20
	v_and_b32_e32 v17, 1, v17
	ds_write2_b32 v14, v19, v17 offset0:254 offset1:255
.LBB97_278:
	s_or_b64 exec, exec, s[8:9]
	v_cmp_gt_u32_e64 s[6:7], 7, v0
	s_waitcnt lgkmcnt(0)
	s_barrier
	s_and_saveexec_b64 s[8:9], s[6:7]
	s_cbranch_execz .LBB97_280
; %bb.279:
	v_lshl_add_u32 v14, v16, 3, s10
	ds_read_u8 v16, v14 offset:508
	v_lshl_add_u32 v15, v15, 3, s10
	ds_read_b32 v17, v15
	ds_read_b32 v18, v14 offset:504
	ds_read_u8 v15, v15 offset:4
	s_waitcnt lgkmcnt(3)
	v_and_b32_e32 v19, 1, v16
	v_cmp_eq_u32_e64 s[6:7], 1, v19
	s_waitcnt lgkmcnt(2)
	v_cndmask_b32_e64 v17, v17, 0, s[6:7]
	s_waitcnt lgkmcnt(0)
	v_or_b32_e32 v15, v15, v16
	v_add_u32_e32 v17, v17, v18
	v_and_b32_e32 v15, 1, v15
	ds_write2_b32 v14, v17, v15 offset0:126 offset1:127
.LBB97_280:
	;; [unrolled: 24-line block ×5, first 2 shown]
	s_or_b64 exec, exec, s[8:9]
	s_movk_i32 s6, 0x7f
	v_cmp_gt_u32_e64 s[6:7], s6, v0
	s_waitcnt lgkmcnt(0)
	s_barrier
	s_and_saveexec_b64 s[8:9], s[6:7]
	s_cbranch_execz .LBB97_288
; %bb.287:
	v_lshl_add_u32 v6, v6, 3, s10
	ds_read_u8 v7, v6 offset:28
	v_lshl_add_u32 v5, v5, 3, s10
	ds_read_b32 v9, v5
	ds_read_b32 v10, v6 offset:24
	ds_read_u8 v5, v5 offset:4
	s_waitcnt lgkmcnt(3)
	v_and_b32_e32 v11, 1, v7
	v_cmp_eq_u32_e64 s[6:7], 1, v11
	s_waitcnt lgkmcnt(2)
	v_cndmask_b32_e64 v9, v9, 0, s[6:7]
	s_waitcnt lgkmcnt(0)
	v_or_b32_e32 v5, v5, v7
	v_add_u32_e32 v9, v9, v10
	v_and_b32_e32 v5, 1, v5
	ds_write2_b32 v6, v9, v5 offset0:6 offset1:7
.LBB97_288:
	s_or_b64 exec, exec, s[8:9]
	s_movk_i32 s6, 0xff
	v_cmp_gt_u32_e64 s[6:7], s6, v0
	s_waitcnt lgkmcnt(0)
	s_barrier
	s_and_saveexec_b64 s[8:9], s[6:7]
	s_cbranch_execz .LBB97_290
; %bb.289:
	v_lshl_add_u32 v4, v4, 3, s10
	ds_read_u8 v5, v4 offset:12
	v_add_u32_e32 v6, -8, v4
	ds_read_b32 v7, v6
	ds_read_b32 v9, v4 offset:8
	ds_read_u8 v6, v6 offset:4
	s_waitcnt lgkmcnt(3)
	v_and_b32_e32 v10, 1, v5
	v_cmp_eq_u32_e64 s[6:7], 1, v10
	s_waitcnt lgkmcnt(2)
	v_cndmask_b32_e64 v7, v7, 0, s[6:7]
	s_waitcnt lgkmcnt(0)
	v_or_b32_e32 v5, v6, v5
	v_add_u32_e32 v7, v7, v9
	v_and_b32_e32 v5, 1, v5
	ds_write2_b32 v4, v7, v5 offset0:2 offset1:3
.LBB97_290:
	s_or_b64 exec, exec, s[8:9]
	s_waitcnt lgkmcnt(0)
	s_barrier
	s_and_saveexec_b64 s[6:7], s[2:3]
	s_cbranch_execz .LBB97_292
; %bb.291:
	ds_read_u8 v6, v1 offset:20
	ds_read_u8 v7, v1 offset:12
	ds_read2_b32 v[4:5], v1 offset0:2 offset1:4
	s_waitcnt lgkmcnt(2)
	v_and_b32_e32 v9, 1, v6
	v_cmp_eq_u32_e64 s[2:3], 1, v9
	s_waitcnt lgkmcnt(1)
	v_or_b32_e32 v6, v7, v6
	s_waitcnt lgkmcnt(0)
	v_cndmask_b32_e64 v4, v4, 0, s[2:3]
	v_add_u32_e32 v4, v4, v5
	v_and_b32_e32 v5, 1, v6
	ds_write2_b32 v1, v4, v5 offset0:4 offset1:5
.LBB97_292:
	s_or_b64 exec, exec, s[6:7]
	s_waitcnt lgkmcnt(0)
	s_barrier
	ds_read_b32 v3, v3 offset:1024
	ds_read_b32 v1, v1 offset:8
	v_or_b32_e32 v4, 1, v2
	v_cmp_gt_u32_e64 s[6:7], s16, v4
	v_cmp_gt_u32_e64 s[2:3], s16, v2
	s_waitcnt lgkmcnt(1)
	v_cndmask_b32_e64 v3, 0, v3, s[2:3]
	s_waitcnt lgkmcnt(0)
	v_cndmask_b32_e64 v6, 0, v1, s[6:7]
	v_mbcnt_lo_u32_b32 v1, -1, 0
	v_mbcnt_hi_u32_b32 v13, -1, v1
	v_and_b32_e32 v14, 63, v13
	v_cmp_gt_u32_e64 s[8:9], 32, v14
	v_cndmask_b32_e64 v1, 0, 1, s[8:9]
	v_lshlrev_b32_e32 v1, 5, v1
	v_cndmask_b32_e64 v5, 0, v2, s[2:3]
	v_max_u32_e32 v7, v6, v3
	v_add_lshl_u32 v1, v1, v13, 2
	v_cndmask_b32_e64 v9, 0, v4, s[6:7]
	v_cmp_gt_u32_e64 s[8:9], v6, v3
	ds_bpermute_b32 v10, v1, v7
	v_cndmask_b32_e64 v3, v5, v9, s[8:9]
	ds_bpermute_b32 v5, v1, v3
	v_cmp_gt_u32_e64 s[8:9], 48, v14
	v_cndmask_b32_e64 v9, 0, 1, s[8:9]
	v_lshlrev_b32_e32 v9, 4, v9
	s_waitcnt lgkmcnt(1)
	v_max_u32_e32 v6, v10, v7
	v_add_lshl_u32 v9, v9, v13, 2
	v_cmp_gt_u32_e64 s[8:9], v10, v7
	ds_bpermute_b32 v11, v9, v6
	s_waitcnt lgkmcnt(1)
	v_cndmask_b32_e64 v3, v3, v5, s[8:9]
	ds_bpermute_b32 v5, v9, v3
	v_cmp_gt_u32_e64 s[8:9], 56, v14
	v_cndmask_b32_e64 v10, 0, 1, s[8:9]
	v_lshlrev_b32_e32 v10, 3, v10
	s_waitcnt lgkmcnt(1)
	v_max_u32_e32 v7, v11, v6
	v_add_lshl_u32 v10, v10, v13, 2
	v_cmp_gt_u32_e64 s[8:9], v11, v6
	ds_bpermute_b32 v12, v10, v7
	s_waitcnt lgkmcnt(1)
	v_cndmask_b32_e64 v3, v3, v5, s[8:9]
	ds_bpermute_b32 v5, v10, v3
	v_cmp_gt_u32_e64 s[8:9], 60, v14
	v_cndmask_b32_e64 v11, 0, 1, s[8:9]
	v_lshlrev_b32_e32 v11, 2, v11
	s_waitcnt lgkmcnt(1)
	v_max_u32_e32 v6, v12, v7
	v_add_lshl_u32 v11, v11, v13, 2
	v_cmp_gt_u32_e64 s[8:9], v12, v7
	ds_bpermute_b32 v15, v11, v6
	s_waitcnt lgkmcnt(1)
	v_cndmask_b32_e64 v3, v3, v5, s[8:9]
	ds_bpermute_b32 v5, v11, v3
	v_cmp_gt_u32_e64 s[8:9], 62, v14
	v_cndmask_b32_e64 v12, 0, 1, s[8:9]
	v_lshlrev_b32_e32 v12, 1, v12
	s_waitcnt lgkmcnt(1)
	v_max_u32_e32 v7, v15, v6
	v_add_lshl_u32 v12, v12, v13, 2
	v_cmp_gt_u32_e64 s[8:9], v15, v6
	ds_bpermute_b32 v16, v12, v7
	s_waitcnt lgkmcnt(1)
	v_cndmask_b32_e64 v5, v3, v5, s[8:9]
	ds_bpermute_b32 v6, v12, v5
	s_waitcnt lgkmcnt(0)
	s_barrier
	v_cmp_gt_u32_e64 s[8:9], v16, v7
	v_max_u32_e32 v3, v16, v7
	v_cndmask_b32_e64 v5, v5, v6, s[8:9]
	v_cmp_ne_u32_e64 s[8:9], 63, v14
	v_addc_co_u32_e64 v6, s[8:9], 0, v13, s[8:9]
	v_lshlrev_b32_e32 v13, 2, v6
	ds_bpermute_b32 v6, v13, v5
	ds_bpermute_b32 v7, v13, v3
	v_cmp_eq_u32_e64 s[8:9], 0, v8
	s_waitcnt lgkmcnt(0)
	s_barrier
	s_and_saveexec_b64 s[12:13], s[8:9]
	s_cbranch_execz .LBB97_294
; %bb.293:
	v_lshrrev_b32_e32 v14, 3, v0
	v_add_u32_e32 v14, 1, v14
	v_cmp_gt_u32_e64 s[10:11], v7, v3
	v_add_u32_e32 v14, 0x400, v14
	v_cndmask_b32_e64 v5, v5, v6, s[10:11]
	v_max_u32_e32 v3, v7, v3
	ds_write2_b32 v14, v3, v5 offset1:1
.LBB97_294:
	s_or_b64 exec, exec, s[12:13]
	s_lshr_b32 s10, s20, 6
	v_cmp_gt_u32_e64 s[10:11], s10, v0
	v_lshl_add_u32 v14, v8, 3, 1
	v_mov_b32_e32 v3, 0
	v_mov_b32_e32 v5, 0
	s_waitcnt lgkmcnt(0)
	s_barrier
	s_and_saveexec_b64 s[12:13], s[10:11]
	s_cbranch_execnz .LBB97_387
; %bb.295:
	s_or_b64 exec, exec, s[12:13]
	s_and_saveexec_b64 s[12:13], s[10:11]
	s_cbranch_execnz .LBB97_388
.LBB97_296:
	s_or_b64 exec, exec, s[12:13]
	s_and_saveexec_b64 s[20:21], s[0:1]
	s_cbranch_execnz .LBB97_389
.LBB97_297:
	s_or_b64 exec, exec, s[20:21]
	s_and_saveexec_b64 s[12:13], vcc
	s_cbranch_execz .LBB97_299
.LBB97_298:
	s_waitcnt lgkmcnt(0)
	v_add_u32_e32 v3, 1, v3
	ds_read_u8 v3, v3
	v_mov_b32_e32 v5, 0
	s_waitcnt lgkmcnt(0)
	ds_write_b8 v5, v3
.LBB97_299:
	s_or_b64 exec, exec, s[12:13]
	s_mov_b32 s20, 0
	s_waitcnt lgkmcnt(0)
	v_mov_b32_e32 v3, 0
	s_mov_b32 s21, s20
	v_cmp_gt_i64_e64 s[12:13], s[16:17], v[2:3]
	v_pk_mov_b32 v[6:7], s[20:21], s[20:21] op_sel:[0,1]
	s_barrier
	s_and_saveexec_b64 s[20:21], s[12:13]
	s_cbranch_execz .LBB97_301
; %bb.300:
	v_add_u32_e32 v5, s15, v2
	global_load_ubyte v5, v5, s[18:19]
	ds_read_u8 v6, v3
	s_waitcnt vmcnt(0)
	v_cmp_ne_u16_e64 s[12:13], 0, v5
	v_cndmask_b32_e64 v5, 0, 1, s[12:13]
	s_waitcnt lgkmcnt(0)
	v_cmp_eq_u16_e64 s[12:13], v6, v5
	v_cndmask_b32_e64 v2, 0, v2, s[12:13]
	v_pk_mov_b32 v[6:7], v[2:3], v[2:3] op_sel:[0,1]
.LBB97_301:
	s_or_b64 exec, exec, s[20:21]
	v_mov_b32_e32 v5, v3
	v_cmp_gt_i64_e64 s[12:13], s[16:17], v[4:5]
	s_and_saveexec_b64 s[16:17], s[12:13]
	s_cbranch_execz .LBB97_303
; %bb.302:
	v_add_u32_e32 v2, s15, v4
	global_load_ubyte v2, v2, s[18:19]
	v_mov_b32_e32 v3, 0
	ds_read_u8 v3, v3
	s_waitcnt vmcnt(0)
	v_cmp_ne_u16_e64 s[12:13], 0, v2
	v_cndmask_b32_e64 v2, 0, 1, s[12:13]
	s_waitcnt lgkmcnt(0)
	v_cmp_eq_u16_e64 s[12:13], v3, v2
	v_cndmask_b32_e64 v7, 0, v4, s[12:13]
.LBB97_303:
	s_or_b64 exec, exec, s[16:17]
	v_cndmask_b32_e64 v2, 0, v6, s[2:3]
	v_cndmask_b32_e64 v3, 0, v7, s[6:7]
	v_max_u32_e32 v2, v3, v2
	ds_bpermute_b32 v3, v1, v2
	s_waitcnt lgkmcnt(0)
	s_barrier
	v_max_u32_e32 v2, v3, v2
	ds_bpermute_b32 v3, v9, v2
	s_waitcnt lgkmcnt(0)
	v_max_u32_e32 v2, v3, v2
	ds_bpermute_b32 v3, v10, v2
	s_waitcnt lgkmcnt(0)
	;; [unrolled: 3-line block ×4, first 2 shown]
	v_max_u32_e32 v2, v3, v2
	ds_bpermute_b32 v3, v13, v2
	s_and_saveexec_b64 s[2:3], s[8:9]
	s_cbranch_execz .LBB97_305
; %bb.304:
	v_lshrrev_b32_e32 v0, 4, v0
	v_add_u32_e32 v0, 1, v0
	s_waitcnt lgkmcnt(0)
	v_max_u32_e32 v2, v3, v2
	ds_write_b32 v0, v2
.LBB97_305:
	s_or_b64 exec, exec, s[2:3]
	v_mov_b32_e32 v0, 0
	s_waitcnt lgkmcnt(0)
	s_barrier
	s_and_saveexec_b64 s[2:3], s[10:11]
	s_cbranch_execnz .LBB97_390
; %bb.306:
	s_or_b64 exec, exec, s[2:3]
	s_and_saveexec_b64 s[2:3], s[0:1]
	s_cbranch_execnz .LBB97_391
.LBB97_307:
	s_or_b64 exec, exec, s[2:3]
	s_and_saveexec_b64 s[0:1], vcc
	s_cbranch_execnz .LBB97_392
.LBB97_308:
	s_endpgm
.LBB97_309:
	ds_read_u8 v8, v1 offset:1024
	s_andn2_b64 s[0:1], s[0:1], exec
	s_mov_b32 s6, 1
	s_waitcnt lgkmcnt(0)
	v_and_b32_e32 v8, 1, v8
	v_cmp_eq_u32_e32 vcc, 1, v8
	s_xor_b64 s[8:9], vcc, -1
	s_and_b64 s[8:9], s[8:9], exec
	s_or_b64 s[0:1], s[0:1], s[8:9]
	s_or_b64 exec, exec, s[2:3]
	v_mov_b32_e32 v8, s6
	s_and_saveexec_b64 s[2:3], s[0:1]
	s_cbranch_execz .LBB97_19
.LBB97_310:
	ds_read_u8 v8, v3 offset:1025
	s_waitcnt lgkmcnt(0)
	v_xor_b32_e32 v8, 1, v8
	s_or_b64 exec, exec, s[2:3]
	v_cmp_eq_u32_e32 vcc, v8, v5
	s_and_saveexec_b64 s[0:1], vcc
	s_cbranch_execnz .LBB97_20
	s_branch .LBB97_21
.LBB97_311:
	ds_read_u8 v9, v4 offset:1024
	s_andn2_b64 s[0:1], s[0:1], exec
	s_waitcnt lgkmcnt(0)
	v_and_b32_e32 v9, 1, v9
	v_cmp_eq_u32_e32 vcc, 1, v9
	s_xor_b64 s[8:9], vcc, -1
	s_and_b64 s[8:9], s[8:9], exec
	s_or_b64 s[0:1], s[0:1], s[8:9]
	s_or_b64 exec, exec, s[2:3]
	v_mov_b32_e32 v9, s6
	s_and_saveexec_b64 s[2:3], s[0:1]
	s_cbranch_execz .LBB97_29
.LBB97_312:
	ds_read_u8 v9, v4 offset:1026
	s_waitcnt lgkmcnt(0)
	v_xor_b32_e32 v9, 1, v9
	s_or_b64 exec, exec, s[2:3]
	v_cmp_eq_u32_e32 vcc, v9, v6
	s_and_saveexec_b64 s[0:1], vcc
	s_cbranch_execnz .LBB97_30
	s_branch .LBB97_31
.LBB97_313:
	ds_read_u8 v9, v1 offset:1024
	s_andn2_b64 s[0:1], s[0:1], exec
	s_mov_b32 s6, 1
	s_waitcnt lgkmcnt(0)
	v_and_b32_e32 v9, 1, v9
	v_cmp_eq_u32_e32 vcc, 1, v9
	s_xor_b64 s[8:9], vcc, -1
	s_and_b64 s[8:9], s[8:9], exec
	s_or_b64 s[0:1], s[0:1], s[8:9]
	s_or_b64 exec, exec, s[2:3]
	v_mov_b32_e32 v9, s6
	s_and_saveexec_b64 s[2:3], s[0:1]
	s_cbranch_execz .LBB97_33
.LBB97_314:
	ds_read_u8 v9, v3 offset:1025
	s_waitcnt lgkmcnt(0)
	v_xor_b32_e32 v9, 1, v9
	s_or_b64 exec, exec, s[2:3]
	v_cmp_eq_u32_e32 vcc, v9, v6
	s_and_saveexec_b64 s[0:1], vcc
	s_cbranch_execnz .LBB97_34
	s_branch .LBB97_35
.LBB97_315:
	ds_read_u8 v10, v5 offset:1024
	s_andn2_b64 s[0:1], s[0:1], exec
	s_waitcnt lgkmcnt(0)
	v_and_b32_e32 v10, 1, v10
	v_cmp_eq_u32_e32 vcc, 1, v10
	s_xor_b64 s[8:9], vcc, -1
	s_and_b64 s[8:9], s[8:9], exec
	s_or_b64 s[0:1], s[0:1], s[8:9]
	s_or_b64 exec, exec, s[2:3]
	v_mov_b32_e32 v10, s6
	s_and_saveexec_b64 s[2:3], s[0:1]
	s_cbranch_execz .LBB97_43
.LBB97_316:
	ds_read_u8 v10, v5 offset:1028
	s_waitcnt lgkmcnt(0)
	v_xor_b32_e32 v10, 1, v10
	s_or_b64 exec, exec, s[2:3]
	v_cmp_eq_u32_e32 vcc, v10, v7
	s_and_saveexec_b64 s[0:1], vcc
	s_cbranch_execnz .LBB97_44
	s_branch .LBB97_45
.LBB97_317:
	ds_read_u8 v10, v4 offset:1024
	s_andn2_b64 s[0:1], s[0:1], exec
	s_waitcnt lgkmcnt(0)
	v_and_b32_e32 v10, 1, v10
	v_cmp_eq_u32_e32 vcc, 1, v10
	s_xor_b64 s[8:9], vcc, -1
	s_and_b64 s[8:9], s[8:9], exec
	s_or_b64 s[0:1], s[0:1], s[8:9]
	s_or_b64 exec, exec, s[2:3]
	v_mov_b32_e32 v10, s6
	s_and_saveexec_b64 s[2:3], s[0:1]
	s_cbranch_execz .LBB97_47
.LBB97_318:
	ds_read_u8 v10, v4 offset:1026
	s_waitcnt lgkmcnt(0)
	v_xor_b32_e32 v10, 1, v10
	s_or_b64 exec, exec, s[2:3]
	v_cmp_eq_u32_e32 vcc, v10, v7
	s_and_saveexec_b64 s[0:1], vcc
	s_cbranch_execnz .LBB97_48
	s_branch .LBB97_49
.LBB97_319:
	ds_read_u8 v10, v1 offset:1024
	s_andn2_b64 s[0:1], s[0:1], exec
	s_mov_b32 s6, 1
	s_waitcnt lgkmcnt(0)
	v_and_b32_e32 v10, 1, v10
	v_cmp_eq_u32_e32 vcc, 1, v10
	s_xor_b64 s[8:9], vcc, -1
	s_and_b64 s[8:9], s[8:9], exec
	s_or_b64 s[0:1], s[0:1], s[8:9]
	s_or_b64 exec, exec, s[2:3]
	v_mov_b32_e32 v10, s6
	s_and_saveexec_b64 s[2:3], s[0:1]
	s_cbranch_execz .LBB97_51
.LBB97_320:
	ds_read_u8 v10, v3 offset:1025
	s_waitcnt lgkmcnt(0)
	v_xor_b32_e32 v10, 1, v10
	s_or_b64 exec, exec, s[2:3]
	v_cmp_eq_u32_e32 vcc, v10, v7
	s_and_saveexec_b64 s[0:1], vcc
	s_cbranch_execnz .LBB97_52
	s_branch .LBB97_53
.LBB97_321:
	ds_read_u8 v11, v6 offset:1024
	s_andn2_b64 s[0:1], s[0:1], exec
	s_waitcnt lgkmcnt(0)
	v_and_b32_e32 v11, 1, v11
	v_cmp_eq_u32_e32 vcc, 1, v11
	s_xor_b64 s[8:9], vcc, -1
	s_and_b64 s[8:9], s[8:9], exec
	s_or_b64 s[0:1], s[0:1], s[8:9]
	s_or_b64 exec, exec, s[2:3]
	v_mov_b32_e32 v11, s6
	s_and_saveexec_b64 s[2:3], s[0:1]
	s_cbranch_execz .LBB97_61
.LBB97_322:
	ds_read_u8 v11, v6 offset:1032
	s_waitcnt lgkmcnt(0)
	v_xor_b32_e32 v11, 1, v11
	s_or_b64 exec, exec, s[2:3]
	v_cmp_eq_u32_e32 vcc, v11, v8
	s_and_saveexec_b64 s[0:1], vcc
	s_cbranch_execnz .LBB97_62
	s_branch .LBB97_63
.LBB97_323:
	ds_read_u8 v11, v5 offset:1024
	s_andn2_b64 s[0:1], s[0:1], exec
	s_waitcnt lgkmcnt(0)
	v_and_b32_e32 v11, 1, v11
	v_cmp_eq_u32_e32 vcc, 1, v11
	s_xor_b64 s[8:9], vcc, -1
	s_and_b64 s[8:9], s[8:9], exec
	s_or_b64 s[0:1], s[0:1], s[8:9]
	s_or_b64 exec, exec, s[2:3]
	v_mov_b32_e32 v11, s6
	s_and_saveexec_b64 s[2:3], s[0:1]
	s_cbranch_execz .LBB97_65
.LBB97_324:
	ds_read_u8 v11, v5 offset:1028
	s_waitcnt lgkmcnt(0)
	v_xor_b32_e32 v11, 1, v11
	s_or_b64 exec, exec, s[2:3]
	v_cmp_eq_u32_e32 vcc, v11, v8
	s_and_saveexec_b64 s[0:1], vcc
	s_cbranch_execnz .LBB97_66
	s_branch .LBB97_67
.LBB97_325:
	ds_read_u8 v11, v4 offset:1024
	s_andn2_b64 s[0:1], s[0:1], exec
	s_waitcnt lgkmcnt(0)
	v_and_b32_e32 v11, 1, v11
	v_cmp_eq_u32_e32 vcc, 1, v11
	s_xor_b64 s[8:9], vcc, -1
	s_and_b64 s[8:9], s[8:9], exec
	s_or_b64 s[0:1], s[0:1], s[8:9]
	s_or_b64 exec, exec, s[2:3]
	v_mov_b32_e32 v11, s6
	s_and_saveexec_b64 s[2:3], s[0:1]
	s_cbranch_execz .LBB97_69
.LBB97_326:
	ds_read_u8 v11, v4 offset:1026
	s_waitcnt lgkmcnt(0)
	v_xor_b32_e32 v11, 1, v11
	s_or_b64 exec, exec, s[2:3]
	v_cmp_eq_u32_e32 vcc, v11, v8
	s_and_saveexec_b64 s[0:1], vcc
	s_cbranch_execnz .LBB97_70
	s_branch .LBB97_71
.LBB97_327:
	ds_read_u8 v11, v1 offset:1024
	s_andn2_b64 s[0:1], s[0:1], exec
	s_mov_b32 s6, 1
	s_waitcnt lgkmcnt(0)
	v_and_b32_e32 v11, 1, v11
	v_cmp_eq_u32_e32 vcc, 1, v11
	s_xor_b64 s[8:9], vcc, -1
	s_and_b64 s[8:9], s[8:9], exec
	s_or_b64 s[0:1], s[0:1], s[8:9]
	s_or_b64 exec, exec, s[2:3]
	v_mov_b32_e32 v11, s6
	s_and_saveexec_b64 s[2:3], s[0:1]
	s_cbranch_execz .LBB97_73
.LBB97_328:
	ds_read_u8 v11, v3 offset:1025
	s_waitcnt lgkmcnt(0)
	v_xor_b32_e32 v11, 1, v11
	s_or_b64 exec, exec, s[2:3]
	v_cmp_eq_u32_e32 vcc, v11, v8
	s_and_saveexec_b64 s[0:1], vcc
	s_cbranch_execnz .LBB97_74
	s_branch .LBB97_75
.LBB97_329:
	ds_read_u8 v12, v7 offset:1024
	s_andn2_b64 s[0:1], s[0:1], exec
	s_waitcnt lgkmcnt(0)
	v_and_b32_e32 v12, 1, v12
	v_cmp_eq_u32_e32 vcc, 1, v12
	s_xor_b64 s[8:9], vcc, -1
	s_and_b64 s[8:9], s[8:9], exec
	s_or_b64 s[0:1], s[0:1], s[8:9]
	s_or_b64 exec, exec, s[2:3]
	v_mov_b32_e32 v12, s6
	s_and_saveexec_b64 s[2:3], s[0:1]
	s_cbranch_execz .LBB97_83
.LBB97_330:
	ds_read_u8 v12, v7 offset:1040
	s_waitcnt lgkmcnt(0)
	v_xor_b32_e32 v12, 1, v12
	s_or_b64 exec, exec, s[2:3]
	v_cmp_eq_u32_e32 vcc, v12, v8
	s_and_saveexec_b64 s[0:1], vcc
	s_cbranch_execnz .LBB97_84
	s_branch .LBB97_85
.LBB97_331:
	ds_read_u8 v12, v6 offset:1024
	s_andn2_b64 s[0:1], s[0:1], exec
	s_waitcnt lgkmcnt(0)
	v_and_b32_e32 v12, 1, v12
	v_cmp_eq_u32_e32 vcc, 1, v12
	s_xor_b64 s[8:9], vcc, -1
	s_and_b64 s[8:9], s[8:9], exec
	s_or_b64 s[0:1], s[0:1], s[8:9]
	s_or_b64 exec, exec, s[2:3]
	v_mov_b32_e32 v12, s6
	s_and_saveexec_b64 s[2:3], s[0:1]
	s_cbranch_execz .LBB97_87
.LBB97_332:
	ds_read_u8 v12, v6 offset:1032
	s_waitcnt lgkmcnt(0)
	v_xor_b32_e32 v12, 1, v12
	s_or_b64 exec, exec, s[2:3]
	v_cmp_eq_u32_e32 vcc, v12, v8
	s_and_saveexec_b64 s[0:1], vcc
	s_cbranch_execnz .LBB97_88
	s_branch .LBB97_89
.LBB97_333:
	ds_read_u8 v12, v5 offset:1024
	s_andn2_b64 s[0:1], s[0:1], exec
	s_waitcnt lgkmcnt(0)
	v_and_b32_e32 v12, 1, v12
	v_cmp_eq_u32_e32 vcc, 1, v12
	s_xor_b64 s[8:9], vcc, -1
	s_and_b64 s[8:9], s[8:9], exec
	s_or_b64 s[0:1], s[0:1], s[8:9]
	s_or_b64 exec, exec, s[2:3]
	v_mov_b32_e32 v12, s6
	s_and_saveexec_b64 s[2:3], s[0:1]
	s_cbranch_execz .LBB97_91
.LBB97_334:
	ds_read_u8 v12, v5 offset:1028
	s_waitcnt lgkmcnt(0)
	v_xor_b32_e32 v12, 1, v12
	s_or_b64 exec, exec, s[2:3]
	v_cmp_eq_u32_e32 vcc, v12, v8
	s_and_saveexec_b64 s[0:1], vcc
	s_cbranch_execnz .LBB97_92
	s_branch .LBB97_93
.LBB97_335:
	ds_read_u8 v12, v4 offset:1024
	s_andn2_b64 s[0:1], s[0:1], exec
	s_waitcnt lgkmcnt(0)
	v_and_b32_e32 v12, 1, v12
	v_cmp_eq_u32_e32 vcc, 1, v12
	s_xor_b64 s[8:9], vcc, -1
	s_and_b64 s[8:9], s[8:9], exec
	s_or_b64 s[0:1], s[0:1], s[8:9]
	s_or_b64 exec, exec, s[2:3]
	v_mov_b32_e32 v12, s6
	s_and_saveexec_b64 s[2:3], s[0:1]
	s_cbranch_execz .LBB97_95
.LBB97_336:
	ds_read_u8 v12, v4 offset:1026
	s_waitcnt lgkmcnt(0)
	v_xor_b32_e32 v12, 1, v12
	s_or_b64 exec, exec, s[2:3]
	v_cmp_eq_u32_e32 vcc, v12, v8
	s_and_saveexec_b64 s[0:1], vcc
	s_cbranch_execnz .LBB97_96
	s_branch .LBB97_97
.LBB97_337:
	ds_read_u8 v12, v1 offset:1024
	s_andn2_b64 s[0:1], s[0:1], exec
	s_mov_b32 s6, 1
	s_waitcnt lgkmcnt(0)
	v_and_b32_e32 v12, 1, v12
	v_cmp_eq_u32_e32 vcc, 1, v12
	s_xor_b64 s[8:9], vcc, -1
	s_and_b64 s[8:9], s[8:9], exec
	s_or_b64 s[0:1], s[0:1], s[8:9]
	s_or_b64 exec, exec, s[2:3]
	v_mov_b32_e32 v12, s6
	s_and_saveexec_b64 s[2:3], s[0:1]
	s_cbranch_execz .LBB97_99
.LBB97_338:
	ds_read_u8 v12, v3 offset:1025
	s_waitcnt lgkmcnt(0)
	v_xor_b32_e32 v12, 1, v12
	s_or_b64 exec, exec, s[2:3]
	v_cmp_eq_u32_e32 vcc, v12, v8
	s_and_saveexec_b64 s[0:1], vcc
	s_cbranch_execnz .LBB97_100
	s_branch .LBB97_101
.LBB97_339:
	ds_read_u8 v14, v9 offset:1024
	s_andn2_b64 s[0:1], s[0:1], exec
	s_waitcnt lgkmcnt(0)
	v_and_b32_e32 v14, 1, v14
	v_cmp_eq_u32_e32 vcc, 1, v14
	s_xor_b64 s[8:9], vcc, -1
	s_and_b64 s[8:9], s[8:9], exec
	s_or_b64 s[0:1], s[0:1], s[8:9]
	s_or_b64 exec, exec, s[2:3]
	v_mov_b32_e32 v14, s6
	s_and_saveexec_b64 s[2:3], s[0:1]
	s_cbranch_execz .LBB97_109
.LBB97_340:
	ds_read_u8 v14, v9 offset:1056
	s_waitcnt lgkmcnt(0)
	v_xor_b32_e32 v14, 1, v14
	s_or_b64 exec, exec, s[2:3]
	v_cmp_eq_u32_e32 vcc, v14, v11
	s_and_saveexec_b64 s[0:1], vcc
	s_cbranch_execnz .LBB97_110
	s_branch .LBB97_111
.LBB97_341:
	ds_read_u8 v14, v7 offset:1024
	s_andn2_b64 s[0:1], s[0:1], exec
	s_waitcnt lgkmcnt(0)
	v_and_b32_e32 v14, 1, v14
	v_cmp_eq_u32_e32 vcc, 1, v14
	s_xor_b64 s[8:9], vcc, -1
	s_and_b64 s[8:9], s[8:9], exec
	s_or_b64 s[0:1], s[0:1], s[8:9]
	s_or_b64 exec, exec, s[2:3]
	v_mov_b32_e32 v14, s6
	s_and_saveexec_b64 s[2:3], s[0:1]
	s_cbranch_execz .LBB97_113
.LBB97_342:
	ds_read_u8 v14, v7 offset:1040
	s_waitcnt lgkmcnt(0)
	v_xor_b32_e32 v14, 1, v14
	s_or_b64 exec, exec, s[2:3]
	v_cmp_eq_u32_e32 vcc, v14, v11
	s_and_saveexec_b64 s[0:1], vcc
	s_cbranch_execnz .LBB97_114
	s_branch .LBB97_115
.LBB97_343:
	ds_read_u8 v14, v6 offset:1024
	s_andn2_b64 s[0:1], s[0:1], exec
	s_waitcnt lgkmcnt(0)
	v_and_b32_e32 v14, 1, v14
	v_cmp_eq_u32_e32 vcc, 1, v14
	s_xor_b64 s[8:9], vcc, -1
	s_and_b64 s[8:9], s[8:9], exec
	s_or_b64 s[0:1], s[0:1], s[8:9]
	s_or_b64 exec, exec, s[2:3]
	v_mov_b32_e32 v14, s6
	s_and_saveexec_b64 s[2:3], s[0:1]
	s_cbranch_execz .LBB97_117
.LBB97_344:
	ds_read_u8 v14, v6 offset:1032
	s_waitcnt lgkmcnt(0)
	v_xor_b32_e32 v14, 1, v14
	s_or_b64 exec, exec, s[2:3]
	v_cmp_eq_u32_e32 vcc, v14, v11
	s_and_saveexec_b64 s[0:1], vcc
	s_cbranch_execnz .LBB97_118
	s_branch .LBB97_119
.LBB97_345:
	ds_read_u8 v14, v5 offset:1024
	s_andn2_b64 s[0:1], s[0:1], exec
	s_waitcnt lgkmcnt(0)
	v_and_b32_e32 v14, 1, v14
	v_cmp_eq_u32_e32 vcc, 1, v14
	s_xor_b64 s[8:9], vcc, -1
	s_and_b64 s[8:9], s[8:9], exec
	s_or_b64 s[0:1], s[0:1], s[8:9]
	s_or_b64 exec, exec, s[2:3]
	v_mov_b32_e32 v14, s6
	s_and_saveexec_b64 s[2:3], s[0:1]
	s_cbranch_execz .LBB97_121
.LBB97_346:
	ds_read_u8 v14, v5 offset:1028
	s_waitcnt lgkmcnt(0)
	v_xor_b32_e32 v14, 1, v14
	s_or_b64 exec, exec, s[2:3]
	v_cmp_eq_u32_e32 vcc, v14, v11
	s_and_saveexec_b64 s[0:1], vcc
	s_cbranch_execnz .LBB97_122
	s_branch .LBB97_123
.LBB97_347:
	ds_read_u8 v14, v4 offset:1024
	s_andn2_b64 s[0:1], s[0:1], exec
	s_waitcnt lgkmcnt(0)
	v_and_b32_e32 v14, 1, v14
	v_cmp_eq_u32_e32 vcc, 1, v14
	s_xor_b64 s[8:9], vcc, -1
	s_and_b64 s[8:9], s[8:9], exec
	s_or_b64 s[0:1], s[0:1], s[8:9]
	s_or_b64 exec, exec, s[2:3]
	v_mov_b32_e32 v14, s6
	s_and_saveexec_b64 s[2:3], s[0:1]
	s_cbranch_execz .LBB97_125
.LBB97_348:
	ds_read_u8 v14, v4 offset:1026
	s_waitcnt lgkmcnt(0)
	v_xor_b32_e32 v14, 1, v14
	s_or_b64 exec, exec, s[2:3]
	v_cmp_eq_u32_e32 vcc, v14, v11
	s_and_saveexec_b64 s[0:1], vcc
	s_cbranch_execnz .LBB97_126
	s_branch .LBB97_127
.LBB97_349:
	ds_read_u8 v14, v1 offset:1024
	s_andn2_b64 s[0:1], s[0:1], exec
	s_mov_b32 s6, 1
	s_waitcnt lgkmcnt(0)
	v_and_b32_e32 v14, 1, v14
	v_cmp_eq_u32_e32 vcc, 1, v14
	s_xor_b64 s[8:9], vcc, -1
	s_and_b64 s[8:9], s[8:9], exec
	s_or_b64 s[0:1], s[0:1], s[8:9]
	s_or_b64 exec, exec, s[2:3]
	v_mov_b32_e32 v14, s6
	s_and_saveexec_b64 s[2:3], s[0:1]
	s_cbranch_execz .LBB97_129
.LBB97_350:
	ds_read_u8 v14, v3 offset:1025
	s_waitcnt lgkmcnt(0)
	v_xor_b32_e32 v14, 1, v14
	s_or_b64 exec, exec, s[2:3]
	v_cmp_eq_u32_e32 vcc, v14, v11
	s_and_saveexec_b64 s[0:1], vcc
	s_cbranch_execnz .LBB97_130
	s_branch .LBB97_131
.LBB97_351:
	ds_read_u8 v15, v10 offset:1024
	s_andn2_b64 s[0:1], s[0:1], exec
	s_waitcnt lgkmcnt(0)
	v_and_b32_e32 v15, 1, v15
	v_cmp_eq_u32_e32 vcc, 1, v15
	s_xor_b64 s[8:9], vcc, -1
	s_and_b64 s[8:9], s[8:9], exec
	s_or_b64 s[0:1], s[0:1], s[8:9]
	s_or_b64 exec, exec, s[2:3]
	v_mov_b32_e32 v15, s6
	s_and_saveexec_b64 s[2:3], s[0:1]
	s_cbranch_execz .LBB97_139
.LBB97_352:
	ds_read_u8 v15, v10 offset:1088
	s_waitcnt lgkmcnt(0)
	v_xor_b32_e32 v15, 1, v15
	s_or_b64 exec, exec, s[2:3]
	v_cmp_eq_u32_e32 vcc, v15, v12
	s_and_saveexec_b64 s[0:1], vcc
	s_cbranch_execnz .LBB97_140
	s_branch .LBB97_141
.LBB97_353:
	ds_read_u8 v15, v9 offset:1024
	s_andn2_b64 s[0:1], s[0:1], exec
	s_waitcnt lgkmcnt(0)
	v_and_b32_e32 v15, 1, v15
	v_cmp_eq_u32_e32 vcc, 1, v15
	s_xor_b64 s[8:9], vcc, -1
	s_and_b64 s[8:9], s[8:9], exec
	s_or_b64 s[0:1], s[0:1], s[8:9]
	s_or_b64 exec, exec, s[2:3]
	v_mov_b32_e32 v15, s6
	s_and_saveexec_b64 s[2:3], s[0:1]
	s_cbranch_execz .LBB97_143
.LBB97_354:
	ds_read_u8 v15, v9 offset:1056
	s_waitcnt lgkmcnt(0)
	v_xor_b32_e32 v15, 1, v15
	s_or_b64 exec, exec, s[2:3]
	v_cmp_eq_u32_e32 vcc, v15, v12
	s_and_saveexec_b64 s[0:1], vcc
	s_cbranch_execnz .LBB97_144
	s_branch .LBB97_145
.LBB97_355:
	ds_read_u8 v15, v7 offset:1024
	s_andn2_b64 s[0:1], s[0:1], exec
	s_waitcnt lgkmcnt(0)
	v_and_b32_e32 v15, 1, v15
	v_cmp_eq_u32_e32 vcc, 1, v15
	s_xor_b64 s[8:9], vcc, -1
	s_and_b64 s[8:9], s[8:9], exec
	s_or_b64 s[0:1], s[0:1], s[8:9]
	s_or_b64 exec, exec, s[2:3]
	v_mov_b32_e32 v15, s6
	s_and_saveexec_b64 s[2:3], s[0:1]
	s_cbranch_execz .LBB97_147
.LBB97_356:
	ds_read_u8 v15, v7 offset:1040
	s_waitcnt lgkmcnt(0)
	v_xor_b32_e32 v15, 1, v15
	s_or_b64 exec, exec, s[2:3]
	v_cmp_eq_u32_e32 vcc, v15, v12
	s_and_saveexec_b64 s[0:1], vcc
	s_cbranch_execnz .LBB97_148
	s_branch .LBB97_149
.LBB97_357:
	ds_read_u8 v15, v6 offset:1024
	s_andn2_b64 s[0:1], s[0:1], exec
	s_waitcnt lgkmcnt(0)
	v_and_b32_e32 v15, 1, v15
	v_cmp_eq_u32_e32 vcc, 1, v15
	s_xor_b64 s[8:9], vcc, -1
	s_and_b64 s[8:9], s[8:9], exec
	s_or_b64 s[0:1], s[0:1], s[8:9]
	s_or_b64 exec, exec, s[2:3]
	v_mov_b32_e32 v15, s6
	s_and_saveexec_b64 s[2:3], s[0:1]
	s_cbranch_execz .LBB97_151
.LBB97_358:
	ds_read_u8 v15, v6 offset:1032
	s_waitcnt lgkmcnt(0)
	v_xor_b32_e32 v15, 1, v15
	s_or_b64 exec, exec, s[2:3]
	v_cmp_eq_u32_e32 vcc, v15, v12
	s_and_saveexec_b64 s[0:1], vcc
	s_cbranch_execnz .LBB97_152
	s_branch .LBB97_153
.LBB97_359:
	ds_read_u8 v15, v5 offset:1024
	s_andn2_b64 s[0:1], s[0:1], exec
	s_waitcnt lgkmcnt(0)
	v_and_b32_e32 v15, 1, v15
	v_cmp_eq_u32_e32 vcc, 1, v15
	s_xor_b64 s[8:9], vcc, -1
	s_and_b64 s[8:9], s[8:9], exec
	s_or_b64 s[0:1], s[0:1], s[8:9]
	s_or_b64 exec, exec, s[2:3]
	v_mov_b32_e32 v15, s6
	s_and_saveexec_b64 s[2:3], s[0:1]
	s_cbranch_execz .LBB97_155
.LBB97_360:
	ds_read_u8 v15, v5 offset:1028
	s_waitcnt lgkmcnt(0)
	v_xor_b32_e32 v15, 1, v15
	s_or_b64 exec, exec, s[2:3]
	v_cmp_eq_u32_e32 vcc, v15, v12
	s_and_saveexec_b64 s[0:1], vcc
	s_cbranch_execnz .LBB97_156
	s_branch .LBB97_157
.LBB97_361:
	ds_read_u8 v15, v4 offset:1024
	s_andn2_b64 s[0:1], s[0:1], exec
	s_waitcnt lgkmcnt(0)
	v_and_b32_e32 v15, 1, v15
	v_cmp_eq_u32_e32 vcc, 1, v15
	s_xor_b64 s[8:9], vcc, -1
	s_and_b64 s[8:9], s[8:9], exec
	s_or_b64 s[0:1], s[0:1], s[8:9]
	s_or_b64 exec, exec, s[2:3]
	v_mov_b32_e32 v15, s6
	s_and_saveexec_b64 s[2:3], s[0:1]
	s_cbranch_execz .LBB97_159
.LBB97_362:
	ds_read_u8 v15, v4 offset:1026
	s_waitcnt lgkmcnt(0)
	v_xor_b32_e32 v15, 1, v15
	s_or_b64 exec, exec, s[2:3]
	v_cmp_eq_u32_e32 vcc, v15, v12
	s_and_saveexec_b64 s[0:1], vcc
	s_cbranch_execnz .LBB97_160
	s_branch .LBB97_161
.LBB97_363:
	ds_read_u8 v15, v1 offset:1024
	s_andn2_b64 s[0:1], s[0:1], exec
	s_mov_b32 s6, 1
	s_waitcnt lgkmcnt(0)
	v_and_b32_e32 v15, 1, v15
	v_cmp_eq_u32_e32 vcc, 1, v15
	s_xor_b64 s[8:9], vcc, -1
	s_and_b64 s[8:9], s[8:9], exec
	s_or_b64 s[0:1], s[0:1], s[8:9]
	s_or_b64 exec, exec, s[2:3]
	v_mov_b32_e32 v15, s6
	s_and_saveexec_b64 s[2:3], s[0:1]
	s_cbranch_execz .LBB97_163
.LBB97_364:
	ds_read_u8 v15, v3 offset:1025
	s_waitcnt lgkmcnt(0)
	v_xor_b32_e32 v15, 1, v15
	s_or_b64 exec, exec, s[2:3]
	v_cmp_eq_u32_e32 vcc, v15, v12
	s_and_saveexec_b64 s[0:1], vcc
	s_cbranch_execnz .LBB97_164
	s_branch .LBB97_165
.LBB97_365:
	ds_read_u8 v16, v11 offset:1024
	s_andn2_b64 s[0:1], s[0:1], exec
	s_waitcnt lgkmcnt(0)
	v_and_b32_e32 v16, 1, v16
	v_cmp_eq_u32_e32 vcc, 1, v16
	s_xor_b64 s[8:9], vcc, -1
	s_and_b64 s[8:9], s[8:9], exec
	s_or_b64 s[0:1], s[0:1], s[8:9]
	s_or_b64 exec, exec, s[2:3]
	v_mov_b32_e32 v16, s6
	s_and_saveexec_b64 s[2:3], s[0:1]
	s_cbranch_execz .LBB97_173
.LBB97_366:
	ds_read_u8 v16, v11 offset:1152
	s_waitcnt lgkmcnt(0)
	v_xor_b32_e32 v16, 1, v16
	s_or_b64 exec, exec, s[2:3]
	v_cmp_eq_u32_e32 vcc, v16, v13
	s_and_saveexec_b64 s[0:1], vcc
	s_cbranch_execnz .LBB97_174
	s_branch .LBB97_175
.LBB97_367:
	ds_read_u8 v16, v10 offset:1024
	s_andn2_b64 s[0:1], s[0:1], exec
	s_waitcnt lgkmcnt(0)
	v_and_b32_e32 v16, 1, v16
	v_cmp_eq_u32_e32 vcc, 1, v16
	s_xor_b64 s[8:9], vcc, -1
	s_and_b64 s[8:9], s[8:9], exec
	s_or_b64 s[0:1], s[0:1], s[8:9]
	s_or_b64 exec, exec, s[2:3]
	v_mov_b32_e32 v16, s6
	s_and_saveexec_b64 s[2:3], s[0:1]
	s_cbranch_execz .LBB97_177
.LBB97_368:
	ds_read_u8 v16, v10 offset:1088
	s_waitcnt lgkmcnt(0)
	v_xor_b32_e32 v16, 1, v16
	s_or_b64 exec, exec, s[2:3]
	v_cmp_eq_u32_e32 vcc, v16, v13
	s_and_saveexec_b64 s[0:1], vcc
	s_cbranch_execnz .LBB97_178
	s_branch .LBB97_179
.LBB97_369:
	ds_read_u8 v16, v9 offset:1024
	s_andn2_b64 s[0:1], s[0:1], exec
	s_waitcnt lgkmcnt(0)
	v_and_b32_e32 v16, 1, v16
	v_cmp_eq_u32_e32 vcc, 1, v16
	s_xor_b64 s[8:9], vcc, -1
	s_and_b64 s[8:9], s[8:9], exec
	s_or_b64 s[0:1], s[0:1], s[8:9]
	s_or_b64 exec, exec, s[2:3]
	v_mov_b32_e32 v16, s6
	s_and_saveexec_b64 s[2:3], s[0:1]
	s_cbranch_execz .LBB97_181
.LBB97_370:
	ds_read_u8 v16, v9 offset:1056
	s_waitcnt lgkmcnt(0)
	v_xor_b32_e32 v16, 1, v16
	s_or_b64 exec, exec, s[2:3]
	v_cmp_eq_u32_e32 vcc, v16, v13
	s_and_saveexec_b64 s[0:1], vcc
	s_cbranch_execnz .LBB97_182
	s_branch .LBB97_183
.LBB97_371:
	ds_read_u8 v16, v7 offset:1024
	s_andn2_b64 s[0:1], s[0:1], exec
	s_waitcnt lgkmcnt(0)
	v_and_b32_e32 v16, 1, v16
	v_cmp_eq_u32_e32 vcc, 1, v16
	s_xor_b64 s[8:9], vcc, -1
	s_and_b64 s[8:9], s[8:9], exec
	s_or_b64 s[0:1], s[0:1], s[8:9]
	s_or_b64 exec, exec, s[2:3]
	v_mov_b32_e32 v16, s6
	s_and_saveexec_b64 s[2:3], s[0:1]
	s_cbranch_execz .LBB97_185
.LBB97_372:
	ds_read_u8 v16, v7 offset:1040
	s_waitcnt lgkmcnt(0)
	v_xor_b32_e32 v16, 1, v16
	s_or_b64 exec, exec, s[2:3]
	v_cmp_eq_u32_e32 vcc, v16, v13
	s_and_saveexec_b64 s[0:1], vcc
	s_cbranch_execnz .LBB97_186
	s_branch .LBB97_187
.LBB97_373:
	ds_read_u8 v16, v6 offset:1024
	s_andn2_b64 s[0:1], s[0:1], exec
	s_waitcnt lgkmcnt(0)
	v_and_b32_e32 v16, 1, v16
	v_cmp_eq_u32_e32 vcc, 1, v16
	s_xor_b64 s[8:9], vcc, -1
	s_and_b64 s[8:9], s[8:9], exec
	s_or_b64 s[0:1], s[0:1], s[8:9]
	s_or_b64 exec, exec, s[2:3]
	v_mov_b32_e32 v16, s6
	s_and_saveexec_b64 s[2:3], s[0:1]
	s_cbranch_execz .LBB97_189
.LBB97_374:
	ds_read_u8 v16, v6 offset:1032
	s_waitcnt lgkmcnt(0)
	v_xor_b32_e32 v16, 1, v16
	s_or_b64 exec, exec, s[2:3]
	v_cmp_eq_u32_e32 vcc, v16, v13
	s_and_saveexec_b64 s[0:1], vcc
	s_cbranch_execnz .LBB97_190
	s_branch .LBB97_191
.LBB97_375:
	ds_read_u8 v16, v5 offset:1024
	s_andn2_b64 s[0:1], s[0:1], exec
	s_waitcnt lgkmcnt(0)
	v_and_b32_e32 v16, 1, v16
	v_cmp_eq_u32_e32 vcc, 1, v16
	s_xor_b64 s[8:9], vcc, -1
	s_and_b64 s[8:9], s[8:9], exec
	s_or_b64 s[0:1], s[0:1], s[8:9]
	s_or_b64 exec, exec, s[2:3]
	v_mov_b32_e32 v16, s6
	s_and_saveexec_b64 s[2:3], s[0:1]
	s_cbranch_execz .LBB97_193
.LBB97_376:
	ds_read_u8 v16, v5 offset:1028
	s_waitcnt lgkmcnt(0)
	v_xor_b32_e32 v16, 1, v16
	s_or_b64 exec, exec, s[2:3]
	v_cmp_eq_u32_e32 vcc, v16, v13
	s_and_saveexec_b64 s[0:1], vcc
	s_cbranch_execnz .LBB97_194
	s_branch .LBB97_195
.LBB97_377:
	ds_read_u8 v16, v4 offset:1024
	s_andn2_b64 s[0:1], s[0:1], exec
	s_waitcnt lgkmcnt(0)
	v_and_b32_e32 v16, 1, v16
	v_cmp_eq_u32_e32 vcc, 1, v16
	s_xor_b64 s[8:9], vcc, -1
	s_and_b64 s[8:9], s[8:9], exec
	s_or_b64 s[0:1], s[0:1], s[8:9]
	s_or_b64 exec, exec, s[2:3]
	v_mov_b32_e32 v16, s6
	s_and_saveexec_b64 s[2:3], s[0:1]
	s_cbranch_execz .LBB97_197
.LBB97_378:
	ds_read_u8 v16, v4 offset:1026
	s_waitcnt lgkmcnt(0)
	v_xor_b32_e32 v16, 1, v16
	s_or_b64 exec, exec, s[2:3]
	v_cmp_eq_u32_e32 vcc, v16, v13
	s_and_saveexec_b64 s[0:1], vcc
	s_cbranch_execnz .LBB97_198
	s_branch .LBB97_199
.LBB97_379:
	ds_read_u8 v16, v1 offset:1024
	s_andn2_b64 s[0:1], s[0:1], exec
	s_mov_b32 s6, 1
	s_waitcnt lgkmcnt(0)
	v_and_b32_e32 v16, 1, v16
	v_cmp_eq_u32_e32 vcc, 1, v16
	s_xor_b64 s[8:9], vcc, -1
	s_and_b64 s[8:9], s[8:9], exec
	s_or_b64 s[0:1], s[0:1], s[8:9]
	s_or_b64 exec, exec, s[2:3]
	v_mov_b32_e32 v16, s6
	s_and_saveexec_b64 s[2:3], s[0:1]
	s_cbranch_execz .LBB97_201
.LBB97_380:
	ds_read_u8 v16, v3 offset:1025
	s_waitcnt lgkmcnt(0)
	v_xor_b32_e32 v16, 1, v16
	s_or_b64 exec, exec, s[2:3]
	v_cmp_eq_u32_e32 vcc, v16, v13
	s_and_saveexec_b64 s[0:1], vcc
	s_cbranch_execnz .LBB97_202
	s_branch .LBB97_203
.LBB97_381:
	ds_read_u8 v16, v13 offset:1024
	s_andn2_b64 s[0:1], s[0:1], exec
	s_waitcnt lgkmcnt(0)
	v_and_b32_e32 v16, 1, v16
	v_cmp_eq_u32_e32 vcc, 1, v16
	s_xor_b64 s[8:9], vcc, -1
	s_and_b64 s[8:9], s[8:9], exec
	s_or_b64 s[0:1], s[0:1], s[8:9]
	s_or_b64 exec, exec, s[2:3]
	v_mov_b32_e32 v16, s6
	s_and_saveexec_b64 s[2:3], s[0:1]
	s_cbranch_execz .LBB97_205
.LBB97_382:
	ds_read_u8 v16, v13 offset:1536
	s_waitcnt lgkmcnt(0)
	v_xor_b32_e32 v16, 1, v16
	s_or_b64 exec, exec, s[2:3]
	v_cmp_eq_u32_e32 vcc, 0, v16
	s_and_saveexec_b64 s[0:1], vcc
	s_cbranch_execnz .LBB97_206
	s_branch .LBB97_207
.LBB97_383:
	ds_read_u8 v15, v12 offset:1024
	s_andn2_b64 s[0:1], s[0:1], exec
	s_waitcnt lgkmcnt(0)
	v_and_b32_e32 v15, 1, v15
	v_cmp_eq_u32_e32 vcc, 1, v15
	s_xor_b64 s[8:9], vcc, -1
	s_and_b64 s[8:9], s[8:9], exec
	s_or_b64 s[0:1], s[0:1], s[8:9]
	s_or_b64 exec, exec, s[2:3]
	v_mov_b32_e32 v15, s6
	s_and_saveexec_b64 s[2:3], s[0:1]
	s_cbranch_execz .LBB97_209
.LBB97_384:
	ds_read_u8 v15, v12 offset:1280
	s_waitcnt lgkmcnt(0)
	v_xor_b32_e32 v15, 1, v15
	s_or_b64 exec, exec, s[2:3]
	v_cmp_eq_u32_e32 vcc, 0, v15
	s_and_saveexec_b64 s[0:1], vcc
	s_cbranch_execnz .LBB97_210
	s_branch .LBB97_211
.LBB97_385:
	ds_read_u8 v14, v11 offset:1024
	s_andn2_b64 s[0:1], s[0:1], exec
	s_waitcnt lgkmcnt(0)
	v_and_b32_e32 v14, 1, v14
	v_cmp_eq_u32_e32 vcc, 1, v14
	s_xor_b64 s[8:9], vcc, -1
	s_and_b64 s[8:9], s[8:9], exec
	s_or_b64 s[0:1], s[0:1], s[8:9]
	s_or_b64 exec, exec, s[2:3]
	v_mov_b32_e32 v14, s6
	s_and_saveexec_b64 s[2:3], s[0:1]
	s_cbranch_execz .LBB97_213
.LBB97_386:
	ds_read_u8 v14, v11 offset:1152
	s_waitcnt lgkmcnt(0)
	v_xor_b32_e32 v14, 1, v14
	s_or_b64 exec, exec, s[2:3]
	v_cmp_eq_u32_e32 vcc, 0, v14
	s_and_saveexec_b64 s[0:1], vcc
	s_cbranch_execnz .LBB97_214
	s_branch .LBB97_215
.LBB97_387:
	ds_read_b32 v5, v14 offset:1024
	s_or_b64 exec, exec, s[12:13]
	s_and_saveexec_b64 s[12:13], s[10:11]
	s_cbranch_execz .LBB97_296
.LBB97_388:
	ds_read_b32 v3, v14 offset:1028
	s_or_b64 exec, exec, s[12:13]
	s_and_saveexec_b64 s[20:21], s[0:1]
	s_cbranch_execz .LBB97_297
.LBB97_389:
	s_waitcnt lgkmcnt(0)
	ds_bpermute_b32 v6, v1, v5
	ds_bpermute_b32 v7, v1, v3
	s_waitcnt lgkmcnt(1)
	v_max_u32_e32 v15, v6, v5
	v_cmp_gt_u32_e64 s[12:13], v6, v5
	ds_bpermute_b32 v16, v9, v15
	s_waitcnt lgkmcnt(1)
	v_cndmask_b32_e64 v3, v3, v7, s[12:13]
	ds_bpermute_b32 v5, v9, v3
	s_waitcnt lgkmcnt(1)
	v_max_u32_e32 v6, v16, v15
	v_cmp_gt_u32_e64 s[12:13], v16, v15
	ds_bpermute_b32 v7, v10, v6
	s_waitcnt lgkmcnt(1)
	v_cndmask_b32_e64 v3, v3, v5, s[12:13]
	ds_bpermute_b32 v5, v10, v3
	s_waitcnt lgkmcnt(1)
	v_max_u32_e32 v15, v7, v6
	v_cmp_gt_u32_e64 s[12:13], v7, v6
	ds_bpermute_b32 v16, v11, v15
	s_waitcnt lgkmcnt(1)
	v_cndmask_b32_e64 v3, v3, v5, s[12:13]
	ds_bpermute_b32 v5, v11, v3
	s_waitcnt lgkmcnt(1)
	v_max_u32_e32 v6, v16, v15
	v_cmp_gt_u32_e64 s[12:13], v16, v15
	ds_bpermute_b32 v7, v12, v6
	s_waitcnt lgkmcnt(1)
	v_cndmask_b32_e64 v3, v3, v5, s[12:13]
	ds_bpermute_b32 v5, v12, v3
	s_waitcnt lgkmcnt(1)
	v_max_u32_e32 v15, v7, v6
	v_cmp_gt_u32_e64 s[12:13], v7, v6
	s_waitcnt lgkmcnt(0)
	v_cndmask_b32_e64 v3, v3, v5, s[12:13]
	ds_bpermute_b32 v5, v13, v15
	ds_bpermute_b32 v6, v13, v3
	s_waitcnt lgkmcnt(1)
	v_cmp_gt_u32_e64 s[12:13], v5, v15
	s_waitcnt lgkmcnt(0)
	v_cndmask_b32_e64 v3, v3, v6, s[12:13]
	s_or_b64 exec, exec, s[20:21]
	s_and_saveexec_b64 s[12:13], vcc
	s_cbranch_execnz .LBB97_298
	s_branch .LBB97_299
.LBB97_390:
	v_lshlrev_b32_e32 v0, 2, v8
	v_sub_u32_e32 v0, v14, v0
	ds_read_b32 v0, v0
	s_or_b64 exec, exec, s[2:3]
	s_and_saveexec_b64 s[2:3], s[0:1]
	s_cbranch_execz .LBB97_307
.LBB97_391:
	s_waitcnt lgkmcnt(0)
	ds_bpermute_b32 v1, v1, v0
	s_waitcnt lgkmcnt(0)
	v_max_u32_e32 v0, v1, v0
	ds_bpermute_b32 v1, v9, v0
	s_waitcnt lgkmcnt(0)
	v_max_u32_e32 v0, v1, v0
	;; [unrolled: 3-line block ×6, first 2 shown]
	s_or_b64 exec, exec, s[2:3]
	s_and_saveexec_b64 s[0:1], vcc
	s_cbranch_execz .LBB97_308
.LBB97_392:
	s_load_dword s6, s[4:5], 0xd8
	s_load_dwordx2 s[0:1], s[4:5], 0xe0
	s_add_u32 s2, s4, 8
	s_addc_u32 s3, s5, 0
	s_mov_b32 s5, 0
	s_waitcnt lgkmcnt(0)
	s_cmp_lt_i32 s6, 2
	s_cbranch_scc1 .LBB97_395
; %bb.393:
	s_add_i32 s4, s6, -1
	s_add_i32 s8, s6, 1
	s_lshl_b64 s[6:7], s[4:5], 2
	s_add_u32 s4, s6, s2
	s_addc_u32 s7, s7, s3
	s_add_u32 s6, s4, 8
	s_addc_u32 s7, s7, 0
.LBB97_394:                             ; =>This Inner Loop Header: Depth=1
	s_load_dword s4, s[6:7], 0x0
	s_load_dword s10, s[6:7], 0x64
	s_mov_b32 s9, s14
	s_waitcnt lgkmcnt(0)
	v_cvt_f32_u32_e32 v1, s4
	s_sub_i32 s11, 0, s4
	v_rcp_iflag_f32_e32 v1, v1
	v_mul_f32_e32 v1, 0x4f7ffffe, v1
	v_cvt_u32_f32_e32 v1, v1
	v_readfirstlane_b32 s12, v1
	s_mul_i32 s11, s11, s12
	s_mul_hi_u32 s11, s12, s11
	s_add_i32 s12, s12, s11
	s_mul_hi_u32 s11, s14, s12
	s_mul_i32 s12, s11, s4
	s_sub_i32 s12, s14, s12
	s_add_i32 s13, s11, 1
	s_sub_i32 s14, s12, s4
	s_cmp_ge_u32 s12, s4
	s_cselect_b32 s11, s13, s11
	s_cselect_b32 s12, s14, s12
	s_add_i32 s13, s11, 1
	s_cmp_ge_u32 s12, s4
	s_cselect_b32 s14, s13, s11
	s_mul_i32 s4, s14, s4
	s_sub_i32 s4, s9, s4
	s_mul_i32 s4, s10, s4
	s_add_i32 s8, s8, -1
	s_add_i32 s5, s4, s5
	s_add_u32 s6, s6, -4
	s_addc_u32 s7, s7, -1
	s_cmp_gt_u32 s8, 2
	s_cbranch_scc1 .LBB97_394
.LBB97_395:
	s_load_dword s4, s[2:3], 0x6c
	v_mov_b32_e32 v1, 0
	s_load_dwordx2 s[2:3], s[2:3], 0x0
	ds_read_u8 v2, v1
	s_mov_b32 s7, 0
	s_waitcnt lgkmcnt(0)
	s_mul_i32 s4, s4, s14
	s_add_i32 s6, s4, s5
	v_mov_b32_e32 v3, s6
	global_store_byte v3, v2, s[2:3]
	s_lshl_b64 s[2:3], s[6:7], 3
	s_add_u32 s0, s0, s2
	s_addc_u32 s1, s1, s3
	global_store_dwordx2 v1, v[0:1], s[0:1]
	s_endpgm
	.section	.rodata,"a",@progbits
	.p2align	6, 0x0
	.amdhsa_kernel _ZN2at6native12compute_modeIbLj1024EEEvPKT_NS_4cuda6detail10TensorInfoIS2_jEENS7_IljEEll
		.amdhsa_group_segment_fixed_size 1
		.amdhsa_private_segment_fixed_size 0
		.amdhsa_kernarg_size 712
		.amdhsa_user_sgpr_count 6
		.amdhsa_user_sgpr_private_segment_buffer 1
		.amdhsa_user_sgpr_dispatch_ptr 0
		.amdhsa_user_sgpr_queue_ptr 0
		.amdhsa_user_sgpr_kernarg_segment_ptr 1
		.amdhsa_user_sgpr_dispatch_id 0
		.amdhsa_user_sgpr_flat_scratch_init 0
		.amdhsa_user_sgpr_kernarg_preload_length 0
		.amdhsa_user_sgpr_kernarg_preload_offset 0
		.amdhsa_user_sgpr_private_segment_size 0
		.amdhsa_uses_dynamic_stack 0
		.amdhsa_system_sgpr_private_segment_wavefront_offset 0
		.amdhsa_system_sgpr_workgroup_id_x 1
		.amdhsa_system_sgpr_workgroup_id_y 1
		.amdhsa_system_sgpr_workgroup_id_z 1
		.amdhsa_system_sgpr_workgroup_info 0
		.amdhsa_system_vgpr_workitem_id 0
		.amdhsa_next_free_vgpr 25
		.amdhsa_next_free_sgpr 22
		.amdhsa_accum_offset 28
		.amdhsa_reserve_vcc 1
		.amdhsa_reserve_flat_scratch 0
		.amdhsa_float_round_mode_32 0
		.amdhsa_float_round_mode_16_64 0
		.amdhsa_float_denorm_mode_32 3
		.amdhsa_float_denorm_mode_16_64 3
		.amdhsa_dx10_clamp 1
		.amdhsa_ieee_mode 1
		.amdhsa_fp16_overflow 0
		.amdhsa_tg_split 0
		.amdhsa_exception_fp_ieee_invalid_op 0
		.amdhsa_exception_fp_denorm_src 0
		.amdhsa_exception_fp_ieee_div_zero 0
		.amdhsa_exception_fp_ieee_overflow 0
		.amdhsa_exception_fp_ieee_underflow 0
		.amdhsa_exception_fp_ieee_inexact 0
		.amdhsa_exception_int_div_zero 0
	.end_amdhsa_kernel
	.section	.text._ZN2at6native12compute_modeIbLj1024EEEvPKT_NS_4cuda6detail10TensorInfoIS2_jEENS7_IljEEll,"axG",@progbits,_ZN2at6native12compute_modeIbLj1024EEEvPKT_NS_4cuda6detail10TensorInfoIS2_jEENS7_IljEEll,comdat
.Lfunc_end97:
	.size	_ZN2at6native12compute_modeIbLj1024EEEvPKT_NS_4cuda6detail10TensorInfoIS2_jEENS7_IljEEll, .Lfunc_end97-_ZN2at6native12compute_modeIbLj1024EEEvPKT_NS_4cuda6detail10TensorInfoIS2_jEENS7_IljEEll
                                        ; -- End function
	.section	.AMDGPU.csdata,"",@progbits
; Kernel info:
; codeLenInByte = 16960
; NumSgprs: 26
; NumVgprs: 25
; NumAgprs: 0
; TotalNumVgprs: 25
; ScratchSize: 0
; MemoryBound: 0
; FloatMode: 240
; IeeeMode: 1
; LDSByteSize: 1 bytes/workgroup (compile time only)
; SGPRBlocks: 3
; VGPRBlocks: 3
; NumSGPRsForWavesPerEU: 26
; NumVGPRsForWavesPerEU: 25
; AccumOffset: 28
; Occupancy: 8
; WaveLimiterHint : 1
; COMPUTE_PGM_RSRC2:SCRATCH_EN: 0
; COMPUTE_PGM_RSRC2:USER_SGPR: 6
; COMPUTE_PGM_RSRC2:TRAP_HANDLER: 0
; COMPUTE_PGM_RSRC2:TGID_X_EN: 1
; COMPUTE_PGM_RSRC2:TGID_Y_EN: 1
; COMPUTE_PGM_RSRC2:TGID_Z_EN: 1
; COMPUTE_PGM_RSRC2:TIDIG_COMP_CNT: 0
; COMPUTE_PGM_RSRC3_GFX90A:ACCUM_OFFSET: 6
; COMPUTE_PGM_RSRC3_GFX90A:TG_SPLIT: 0
	.section	.text._ZN2at6native12compute_modeIbLj128EEEvPKT_NS_4cuda6detail10TensorInfoIS2_jEENS7_IljEEll,"axG",@progbits,_ZN2at6native12compute_modeIbLj128EEEvPKT_NS_4cuda6detail10TensorInfoIS2_jEENS7_IljEEll,comdat
	.protected	_ZN2at6native12compute_modeIbLj128EEEvPKT_NS_4cuda6detail10TensorInfoIS2_jEENS7_IljEEll ; -- Begin function _ZN2at6native12compute_modeIbLj128EEEvPKT_NS_4cuda6detail10TensorInfoIS2_jEENS7_IljEEll
	.globl	_ZN2at6native12compute_modeIbLj128EEEvPKT_NS_4cuda6detail10TensorInfoIS2_jEENS7_IljEEll
	.p2align	8
	.type	_ZN2at6native12compute_modeIbLj128EEEvPKT_NS_4cuda6detail10TensorInfoIS2_jEENS7_IljEEll,@function
_ZN2at6native12compute_modeIbLj128EEEvPKT_NS_4cuda6detail10TensorInfoIS2_jEENS7_IljEEll: ; @_ZN2at6native12compute_modeIbLj128EEEvPKT_NS_4cuda6detail10TensorInfoIS2_jEENS7_IljEEll
; %bb.0:
	s_load_dwordx4 s[16:19], s[4:5], 0x1b8
	s_load_dwordx2 s[2:3], s[4:5], 0x1c8
	s_add_u32 s0, s4, 0x1c8
	s_addc_u32 s1, s5, 0
	s_mov_b32 s15, 0
	s_waitcnt lgkmcnt(0)
	v_mov_b32_e32 v2, s18
	s_mul_i32 s3, s3, s8
	s_add_i32 s3, s3, s7
	s_mul_i32 s2, s3, s2
	v_mov_b32_e32 v3, s19
	s_add_i32 s14, s2, s6
	v_cmp_ge_i64_e32 vcc, s[14:15], v[2:3]
	s_cbranch_vccnz .LBB98_182
; %bb.1:
	s_load_dwordx2 s[18:19], s[4:5], 0x0
	s_load_dword s6, s[0:1], 0xc
	v_mov_b32_e32 v3, 0
	v_mov_b32_e32 v1, v3
	s_mul_i32 s15, s14, s16
	v_cmp_gt_i64_e32 vcc, s[16:17], v[0:1]
	v_add_u32_e32 v1, 1, v0
	s_and_saveexec_b64 s[2:3], vcc
	s_cbranch_execz .LBB98_3
; %bb.2:
	v_add_u32_e32 v2, s15, v0
	s_waitcnt lgkmcnt(0)
	global_load_ubyte v2, v2, s[18:19]
	s_waitcnt vmcnt(0)
	v_cmp_ne_u16_e64 s[0:1], 0, v2
	v_cndmask_b32_e64 v2, 0, 1, s[0:1]
	ds_write_b8 v1, v2
.LBB98_3:
	s_or_b64 exec, exec, s[2:3]
	s_waitcnt lgkmcnt(0)
	s_and_b32 s20, 0xffff, s6
	v_add_u32_e32 v2, s20, v0
	v_cmp_gt_i64_e64 s[0:1], s[16:17], v[2:3]
	s_and_saveexec_b64 s[6:7], s[0:1]
	s_cbranch_execz .LBB98_5
; %bb.4:
	v_add_u32_e32 v3, s15, v2
	global_load_ubyte v3, v3, s[18:19]
	v_add_u32_e32 v2, 1, v2
	s_waitcnt vmcnt(0)
	v_cmp_ne_u16_e64 s[2:3], 0, v3
	v_cndmask_b32_e64 v3, 0, 1, s[2:3]
	ds_write_b8 v2, v3
.LBB98_5:
	s_or_b64 exec, exec, s[6:7]
	v_cndmask_b32_e64 v2, 0, 1, vcc
	ds_write_b8 v1, v2 offset:128
	v_add_u32_e32 v2, s20, v1
	v_cndmask_b32_e64 v3, 0, 1, s[0:1]
	v_add_u32_e32 v1, v1, v0
	ds_write_b8 v2, v3 offset:128
	s_waitcnt lgkmcnt(0)
	s_barrier
	s_barrier
	ds_read_u8 v4, v1
	ds_read_u8 v5, v1 offset:1
	s_mov_b32 s6, 1
	s_waitcnt lgkmcnt(0)
	v_cmp_ge_u16_e64 s[0:1], v4, v5
	v_cmp_lt_u16_e32 vcc, v4, v5
	s_and_saveexec_b64 s[2:3], vcc
	s_cbranch_execz .LBB98_7
; %bb.6:
	ds_read_u8 v2, v1 offset:128
	s_andn2_b64 s[0:1], s[0:1], exec
	s_waitcnt lgkmcnt(0)
	v_and_b32_e32 v2, 1, v2
	v_cmp_eq_u32_e32 vcc, 1, v2
	s_xor_b64 s[8:9], vcc, -1
	s_and_b64 s[8:9], s[8:9], exec
	s_or_b64 s[0:1], s[0:1], s[8:9]
.LBB98_7:
	s_or_b64 exec, exec, s[2:3]
	v_lshlrev_b32_e32 v2, 1, v0
	v_mov_b32_e32 v7, s6
	v_add_u32_e32 v3, 1, v2
	s_and_saveexec_b64 s[2:3], s[0:1]
	s_cbranch_execz .LBB98_9
; %bb.8:
	ds_read_u8 v6, v3 offset:129
	s_waitcnt lgkmcnt(0)
	v_xor_b32_e32 v7, 1, v6
.LBB98_9:
	s_or_b64 exec, exec, s[2:3]
	v_and_b32_e32 v6, 1, v0
	v_cmp_eq_u32_e32 vcc, v7, v6
	s_and_saveexec_b64 s[0:1], vcc
	s_cbranch_execz .LBB98_11
; %bb.10:
	ds_read_u8 v7, v3 offset:129
	ds_read_u8 v8, v1 offset:128
	ds_write_b8 v1, v5
	ds_write_b8 v1, v4 offset:1
	s_waitcnt lgkmcnt(3)
	ds_write_b8 v1, v7 offset:128
	s_waitcnt lgkmcnt(3)
	ds_write_b8 v3, v8 offset:129
.LBB98_11:
	s_or_b64 exec, exec, s[0:1]
	v_sub_u32_e32 v4, v2, v6
	v_add_u32_e32 v4, 1, v4
	s_waitcnt lgkmcnt(0)
	s_barrier
	ds_read_u8 v6, v4
	ds_read_u8 v7, v4 offset:2
	s_mov_b64 s[0:1], -1
                                        ; implicit-def: $sgpr6
	s_waitcnt lgkmcnt(0)
	v_cmp_lt_u16_e32 vcc, v6, v7
	s_and_saveexec_b64 s[2:3], vcc
	s_xor_b64 s[2:3], exec, s[2:3]
	s_cbranch_execz .LBB98_13
; %bb.12:
	ds_read_u8 v5, v4 offset:128
	s_mov_b32 s6, 1
	s_waitcnt lgkmcnt(0)
	v_and_b32_e32 v5, 1, v5
	v_cmp_eq_u32_e32 vcc, 1, v5
	s_xor_b64 s[0:1], vcc, -1
	s_orn2_b64 s[0:1], s[0:1], exec
.LBB98_13:
	s_or_b64 exec, exec, s[2:3]
	v_mov_b32_e32 v8, s6
	s_and_saveexec_b64 s[2:3], s[0:1]
	s_cbranch_execz .LBB98_15
; %bb.14:
	ds_read_u8 v5, v4 offset:130
	s_waitcnt lgkmcnt(0)
	v_xor_b32_e32 v8, 1, v5
.LBB98_15:
	s_or_b64 exec, exec, s[2:3]
	v_bfe_u32 v5, v0, 1, 1
	v_cmp_eq_u32_e32 vcc, v8, v5
	s_and_saveexec_b64 s[0:1], vcc
	s_cbranch_execz .LBB98_17
; %bb.16:
	ds_read_u8 v8, v4 offset:130
	ds_read_u8 v9, v4 offset:128
	ds_write_b8 v4, v7
	ds_write_b8 v4, v6 offset:2
	s_waitcnt lgkmcnt(3)
	ds_write_b8 v4, v8 offset:128
	s_waitcnt lgkmcnt(3)
	ds_write_b8 v4, v9 offset:130
.LBB98_17:
	s_or_b64 exec, exec, s[0:1]
	s_waitcnt lgkmcnt(0)
	s_barrier
	ds_read_u8 v6, v1
	ds_read_u8 v7, v1 offset:1
                                        ; implicit-def: $sgpr6
	s_waitcnt lgkmcnt(0)
	v_cmp_ge_u16_e64 s[0:1], v6, v7
	v_cmp_lt_u16_e32 vcc, v6, v7
	s_and_saveexec_b64 s[2:3], vcc
	s_cbranch_execnz .LBB98_183
; %bb.18:
	s_or_b64 exec, exec, s[2:3]
	v_mov_b32_e32 v8, s6
	s_and_saveexec_b64 s[2:3], s[0:1]
	s_cbranch_execnz .LBB98_184
.LBB98_19:
	s_or_b64 exec, exec, s[2:3]
	v_cmp_eq_u32_e32 vcc, v8, v5
	s_and_saveexec_b64 s[0:1], vcc
	s_cbranch_execz .LBB98_21
.LBB98_20:
	ds_read_u8 v5, v3 offset:129
	ds_read_u8 v8, v1 offset:128
	ds_write_b8 v1, v7
	ds_write_b8 v1, v6 offset:1
	s_waitcnt lgkmcnt(3)
	ds_write_b8 v1, v5 offset:128
	s_waitcnt lgkmcnt(3)
	ds_write_b8 v3, v8 offset:129
.LBB98_21:
	s_or_b64 exec, exec, s[0:1]
	v_and_b32_e32 v5, 3, v0
	v_sub_u32_e32 v5, v2, v5
	v_add_u32_e32 v5, 1, v5
	s_waitcnt lgkmcnt(0)
	s_barrier
	ds_read_u8 v7, v5
	ds_read_u8 v8, v5 offset:4
	s_mov_b32 s6, 1
	s_waitcnt lgkmcnt(0)
	v_cmp_ge_u16_e64 s[0:1], v7, v8
	v_cmp_lt_u16_e32 vcc, v7, v8
	s_and_saveexec_b64 s[2:3], vcc
	s_cbranch_execz .LBB98_23
; %bb.22:
	ds_read_u8 v6, v5 offset:128
	s_andn2_b64 s[0:1], s[0:1], exec
	s_waitcnt lgkmcnt(0)
	v_and_b32_e32 v6, 1, v6
	v_cmp_eq_u32_e32 vcc, 1, v6
	s_xor_b64 s[8:9], vcc, -1
	s_and_b64 s[8:9], s[8:9], exec
	s_or_b64 s[0:1], s[0:1], s[8:9]
.LBB98_23:
	s_or_b64 exec, exec, s[2:3]
	v_mov_b32_e32 v9, s6
	s_and_saveexec_b64 s[2:3], s[0:1]
	s_cbranch_execz .LBB98_25
; %bb.24:
	ds_read_u8 v6, v5 offset:132
	s_waitcnt lgkmcnt(0)
	v_xor_b32_e32 v9, 1, v6
.LBB98_25:
	s_or_b64 exec, exec, s[2:3]
	v_bfe_u32 v6, v0, 2, 1
	v_cmp_eq_u32_e32 vcc, v9, v6
	s_and_saveexec_b64 s[0:1], vcc
	s_cbranch_execz .LBB98_27
; %bb.26:
	ds_read_u8 v9, v5 offset:132
	ds_read_u8 v10, v5 offset:128
	ds_write_b8 v5, v8
	ds_write_b8 v5, v7 offset:4
	s_waitcnt lgkmcnt(3)
	ds_write_b8 v5, v9 offset:128
	s_waitcnt lgkmcnt(3)
	ds_write_b8 v5, v10 offset:132
.LBB98_27:
	s_or_b64 exec, exec, s[0:1]
	s_waitcnt lgkmcnt(0)
	s_barrier
	ds_read_u8 v7, v4
	ds_read_u8 v8, v4 offset:2
	s_waitcnt lgkmcnt(0)
	v_cmp_ge_u16_e64 s[0:1], v7, v8
	v_cmp_lt_u16_e32 vcc, v7, v8
	s_and_saveexec_b64 s[2:3], vcc
	s_cbranch_execnz .LBB98_185
; %bb.28:
	s_or_b64 exec, exec, s[2:3]
	v_mov_b32_e32 v9, s6
	s_and_saveexec_b64 s[2:3], s[0:1]
	s_cbranch_execnz .LBB98_186
.LBB98_29:
	s_or_b64 exec, exec, s[2:3]
	v_cmp_eq_u32_e32 vcc, v9, v6
	s_and_saveexec_b64 s[0:1], vcc
	s_cbranch_execz .LBB98_31
.LBB98_30:
	ds_read_u8 v9, v4 offset:130
	ds_read_u8 v10, v4 offset:128
	ds_write_b8 v4, v8
	ds_write_b8 v4, v7 offset:2
	s_waitcnt lgkmcnt(3)
	ds_write_b8 v4, v9 offset:128
	s_waitcnt lgkmcnt(3)
	ds_write_b8 v4, v10 offset:130
.LBB98_31:
	s_or_b64 exec, exec, s[0:1]
	s_waitcnt lgkmcnt(0)
	s_barrier
	ds_read_u8 v7, v1
	ds_read_u8 v8, v1 offset:1
                                        ; implicit-def: $sgpr6
	s_waitcnt lgkmcnt(0)
	v_cmp_ge_u16_e64 s[0:1], v7, v8
	v_cmp_lt_u16_e32 vcc, v7, v8
	s_and_saveexec_b64 s[2:3], vcc
	s_cbranch_execnz .LBB98_187
; %bb.32:
	s_or_b64 exec, exec, s[2:3]
	v_mov_b32_e32 v9, s6
	s_and_saveexec_b64 s[2:3], s[0:1]
	s_cbranch_execnz .LBB98_188
.LBB98_33:
	s_or_b64 exec, exec, s[2:3]
	v_cmp_eq_u32_e32 vcc, v9, v6
	s_and_saveexec_b64 s[0:1], vcc
	s_cbranch_execz .LBB98_35
.LBB98_34:
	ds_read_u8 v6, v3 offset:129
	ds_read_u8 v9, v1 offset:128
	ds_write_b8 v1, v8
	ds_write_b8 v1, v7 offset:1
	s_waitcnt lgkmcnt(3)
	ds_write_b8 v1, v6 offset:128
	s_waitcnt lgkmcnt(3)
	ds_write_b8 v3, v9 offset:129
.LBB98_35:
	s_or_b64 exec, exec, s[0:1]
	v_and_b32_e32 v6, 7, v0
	v_sub_u32_e32 v6, v2, v6
	v_add_u32_e32 v6, 1, v6
	s_waitcnt lgkmcnt(0)
	s_barrier
	ds_read_u8 v8, v6
	ds_read_u8 v9, v6 offset:8
	s_mov_b32 s6, 1
	s_waitcnt lgkmcnt(0)
	v_cmp_ge_u16_e64 s[0:1], v8, v9
	v_cmp_lt_u16_e32 vcc, v8, v9
	s_and_saveexec_b64 s[2:3], vcc
	s_cbranch_execz .LBB98_37
; %bb.36:
	ds_read_u8 v7, v6 offset:128
	s_andn2_b64 s[0:1], s[0:1], exec
	s_waitcnt lgkmcnt(0)
	v_and_b32_e32 v7, 1, v7
	v_cmp_eq_u32_e32 vcc, 1, v7
	s_xor_b64 s[8:9], vcc, -1
	s_and_b64 s[8:9], s[8:9], exec
	s_or_b64 s[0:1], s[0:1], s[8:9]
.LBB98_37:
	s_or_b64 exec, exec, s[2:3]
	v_mov_b32_e32 v10, s6
	s_and_saveexec_b64 s[2:3], s[0:1]
	s_cbranch_execz .LBB98_39
; %bb.38:
	ds_read_u8 v7, v6 offset:136
	s_waitcnt lgkmcnt(0)
	v_xor_b32_e32 v10, 1, v7
.LBB98_39:
	s_or_b64 exec, exec, s[2:3]
	v_bfe_u32 v7, v0, 3, 1
	v_cmp_eq_u32_e32 vcc, v10, v7
	s_and_saveexec_b64 s[0:1], vcc
	s_cbranch_execz .LBB98_41
; %bb.40:
	ds_read_u8 v10, v6 offset:136
	ds_read_u8 v11, v6 offset:128
	ds_write_b8 v6, v9
	ds_write_b8 v6, v8 offset:8
	s_waitcnt lgkmcnt(3)
	ds_write_b8 v6, v10 offset:128
	s_waitcnt lgkmcnt(3)
	ds_write_b8 v6, v11 offset:136
.LBB98_41:
	s_or_b64 exec, exec, s[0:1]
	s_waitcnt lgkmcnt(0)
	s_barrier
	ds_read_u8 v8, v5
	ds_read_u8 v9, v5 offset:4
	s_waitcnt lgkmcnt(0)
	v_cmp_ge_u16_e64 s[0:1], v8, v9
	v_cmp_lt_u16_e32 vcc, v8, v9
	s_and_saveexec_b64 s[2:3], vcc
	s_cbranch_execnz .LBB98_189
; %bb.42:
	s_or_b64 exec, exec, s[2:3]
	v_mov_b32_e32 v10, s6
	s_and_saveexec_b64 s[2:3], s[0:1]
	s_cbranch_execnz .LBB98_190
.LBB98_43:
	s_or_b64 exec, exec, s[2:3]
	v_cmp_eq_u32_e32 vcc, v10, v7
	s_and_saveexec_b64 s[0:1], vcc
	s_cbranch_execz .LBB98_45
.LBB98_44:
	ds_read_u8 v10, v5 offset:132
	ds_read_u8 v11, v5 offset:128
	ds_write_b8 v5, v9
	ds_write_b8 v5, v8 offset:4
	s_waitcnt lgkmcnt(3)
	ds_write_b8 v5, v10 offset:128
	s_waitcnt lgkmcnt(3)
	ds_write_b8 v5, v11 offset:132
.LBB98_45:
	s_or_b64 exec, exec, s[0:1]
	s_waitcnt lgkmcnt(0)
	s_barrier
	ds_read_u8 v8, v4
	ds_read_u8 v9, v4 offset:2
	s_waitcnt lgkmcnt(0)
	v_cmp_ge_u16_e64 s[0:1], v8, v9
	v_cmp_lt_u16_e32 vcc, v8, v9
	s_and_saveexec_b64 s[2:3], vcc
	s_cbranch_execnz .LBB98_191
; %bb.46:
	s_or_b64 exec, exec, s[2:3]
	v_mov_b32_e32 v10, s6
	s_and_saveexec_b64 s[2:3], s[0:1]
	s_cbranch_execnz .LBB98_192
.LBB98_47:
	s_or_b64 exec, exec, s[2:3]
	v_cmp_eq_u32_e32 vcc, v10, v7
	s_and_saveexec_b64 s[0:1], vcc
	s_cbranch_execz .LBB98_49
.LBB98_48:
	ds_read_u8 v10, v4 offset:130
	ds_read_u8 v11, v4 offset:128
	ds_write_b8 v4, v9
	ds_write_b8 v4, v8 offset:2
	s_waitcnt lgkmcnt(3)
	ds_write_b8 v4, v10 offset:128
	s_waitcnt lgkmcnt(3)
	ds_write_b8 v4, v11 offset:130
.LBB98_49:
	s_or_b64 exec, exec, s[0:1]
	s_waitcnt lgkmcnt(0)
	s_barrier
	ds_read_u8 v8, v1
	ds_read_u8 v9, v1 offset:1
                                        ; implicit-def: $sgpr6
	s_waitcnt lgkmcnt(0)
	v_cmp_ge_u16_e64 s[0:1], v8, v9
	v_cmp_lt_u16_e32 vcc, v8, v9
	s_and_saveexec_b64 s[2:3], vcc
	s_cbranch_execnz .LBB98_193
; %bb.50:
	s_or_b64 exec, exec, s[2:3]
	v_mov_b32_e32 v10, s6
	s_and_saveexec_b64 s[2:3], s[0:1]
	s_cbranch_execnz .LBB98_194
.LBB98_51:
	s_or_b64 exec, exec, s[2:3]
	v_cmp_eq_u32_e32 vcc, v10, v7
	s_and_saveexec_b64 s[0:1], vcc
	s_cbranch_execz .LBB98_53
.LBB98_52:
	ds_read_u8 v7, v3 offset:129
	ds_read_u8 v10, v1 offset:128
	ds_write_b8 v1, v9
	ds_write_b8 v1, v8 offset:1
	s_waitcnt lgkmcnt(3)
	ds_write_b8 v1, v7 offset:128
	s_waitcnt lgkmcnt(3)
	ds_write_b8 v3, v10 offset:129
.LBB98_53:
	s_or_b64 exec, exec, s[0:1]
	v_and_b32_e32 v7, 15, v0
	v_sub_u32_e32 v7, v2, v7
	v_add_u32_e32 v7, 1, v7
	s_waitcnt lgkmcnt(0)
	s_barrier
	ds_read_u8 v9, v7
	ds_read_u8 v10, v7 offset:16
	s_mov_b32 s6, 1
	s_waitcnt lgkmcnt(0)
	v_cmp_ge_u16_e64 s[0:1], v9, v10
	v_cmp_lt_u16_e32 vcc, v9, v10
	s_and_saveexec_b64 s[2:3], vcc
	s_cbranch_execz .LBB98_55
; %bb.54:
	ds_read_u8 v8, v7 offset:128
	s_andn2_b64 s[0:1], s[0:1], exec
	s_waitcnt lgkmcnt(0)
	v_and_b32_e32 v8, 1, v8
	v_cmp_eq_u32_e32 vcc, 1, v8
	s_xor_b64 s[8:9], vcc, -1
	s_and_b64 s[8:9], s[8:9], exec
	s_or_b64 s[0:1], s[0:1], s[8:9]
.LBB98_55:
	s_or_b64 exec, exec, s[2:3]
	v_mov_b32_e32 v11, s6
	s_and_saveexec_b64 s[2:3], s[0:1]
	s_cbranch_execz .LBB98_57
; %bb.56:
	ds_read_u8 v8, v7 offset:144
	s_waitcnt lgkmcnt(0)
	v_xor_b32_e32 v11, 1, v8
.LBB98_57:
	s_or_b64 exec, exec, s[2:3]
	v_bfe_u32 v8, v0, 4, 1
	v_cmp_eq_u32_e32 vcc, v11, v8
	s_and_saveexec_b64 s[0:1], vcc
	s_cbranch_execz .LBB98_59
; %bb.58:
	ds_read_u8 v11, v7 offset:144
	ds_read_u8 v12, v7 offset:128
	ds_write_b8 v7, v10
	ds_write_b8 v7, v9 offset:16
	s_waitcnt lgkmcnt(3)
	ds_write_b8 v7, v11 offset:128
	s_waitcnt lgkmcnt(3)
	ds_write_b8 v7, v12 offset:144
.LBB98_59:
	s_or_b64 exec, exec, s[0:1]
	s_waitcnt lgkmcnt(0)
	s_barrier
	ds_read_u8 v9, v6
	ds_read_u8 v10, v6 offset:8
	s_waitcnt lgkmcnt(0)
	v_cmp_ge_u16_e64 s[0:1], v9, v10
	v_cmp_lt_u16_e32 vcc, v9, v10
	s_and_saveexec_b64 s[2:3], vcc
	s_cbranch_execnz .LBB98_195
; %bb.60:
	s_or_b64 exec, exec, s[2:3]
	v_mov_b32_e32 v11, s6
	s_and_saveexec_b64 s[2:3], s[0:1]
	s_cbranch_execnz .LBB98_196
.LBB98_61:
	s_or_b64 exec, exec, s[2:3]
	v_cmp_eq_u32_e32 vcc, v11, v8
	s_and_saveexec_b64 s[0:1], vcc
	s_cbranch_execz .LBB98_63
.LBB98_62:
	ds_read_u8 v11, v6 offset:136
	ds_read_u8 v12, v6 offset:128
	ds_write_b8 v6, v10
	ds_write_b8 v6, v9 offset:8
	s_waitcnt lgkmcnt(3)
	ds_write_b8 v6, v11 offset:128
	s_waitcnt lgkmcnt(3)
	ds_write_b8 v6, v12 offset:136
.LBB98_63:
	s_or_b64 exec, exec, s[0:1]
	s_waitcnt lgkmcnt(0)
	s_barrier
	ds_read_u8 v9, v5
	ds_read_u8 v10, v5 offset:4
	s_waitcnt lgkmcnt(0)
	v_cmp_ge_u16_e64 s[0:1], v9, v10
	v_cmp_lt_u16_e32 vcc, v9, v10
	s_and_saveexec_b64 s[2:3], vcc
	s_cbranch_execnz .LBB98_197
; %bb.64:
	s_or_b64 exec, exec, s[2:3]
	v_mov_b32_e32 v11, s6
	s_and_saveexec_b64 s[2:3], s[0:1]
	s_cbranch_execnz .LBB98_198
.LBB98_65:
	s_or_b64 exec, exec, s[2:3]
	v_cmp_eq_u32_e32 vcc, v11, v8
	s_and_saveexec_b64 s[0:1], vcc
	s_cbranch_execz .LBB98_67
.LBB98_66:
	ds_read_u8 v11, v5 offset:132
	ds_read_u8 v12, v5 offset:128
	ds_write_b8 v5, v10
	ds_write_b8 v5, v9 offset:4
	s_waitcnt lgkmcnt(3)
	ds_write_b8 v5, v11 offset:128
	s_waitcnt lgkmcnt(3)
	ds_write_b8 v5, v12 offset:132
.LBB98_67:
	s_or_b64 exec, exec, s[0:1]
	s_waitcnt lgkmcnt(0)
	s_barrier
	ds_read_u8 v9, v4
	ds_read_u8 v10, v4 offset:2
	s_waitcnt lgkmcnt(0)
	v_cmp_ge_u16_e64 s[0:1], v9, v10
	v_cmp_lt_u16_e32 vcc, v9, v10
	s_and_saveexec_b64 s[2:3], vcc
	s_cbranch_execnz .LBB98_199
; %bb.68:
	s_or_b64 exec, exec, s[2:3]
	v_mov_b32_e32 v11, s6
	s_and_saveexec_b64 s[2:3], s[0:1]
	s_cbranch_execnz .LBB98_200
.LBB98_69:
	s_or_b64 exec, exec, s[2:3]
	v_cmp_eq_u32_e32 vcc, v11, v8
	s_and_saveexec_b64 s[0:1], vcc
	s_cbranch_execz .LBB98_71
.LBB98_70:
	ds_read_u8 v11, v4 offset:130
	ds_read_u8 v12, v4 offset:128
	ds_write_b8 v4, v10
	ds_write_b8 v4, v9 offset:2
	s_waitcnt lgkmcnt(3)
	ds_write_b8 v4, v11 offset:128
	s_waitcnt lgkmcnt(3)
	ds_write_b8 v4, v12 offset:130
.LBB98_71:
	s_or_b64 exec, exec, s[0:1]
	s_waitcnt lgkmcnt(0)
	s_barrier
	ds_read_u8 v9, v1
	ds_read_u8 v10, v1 offset:1
                                        ; implicit-def: $sgpr6
	s_waitcnt lgkmcnt(0)
	v_cmp_ge_u16_e64 s[0:1], v9, v10
	v_cmp_lt_u16_e32 vcc, v9, v10
	s_and_saveexec_b64 s[2:3], vcc
	s_cbranch_execnz .LBB98_201
; %bb.72:
	s_or_b64 exec, exec, s[2:3]
	v_mov_b32_e32 v11, s6
	s_and_saveexec_b64 s[2:3], s[0:1]
	s_cbranch_execnz .LBB98_202
.LBB98_73:
	s_or_b64 exec, exec, s[2:3]
	v_cmp_eq_u32_e32 vcc, v11, v8
	s_and_saveexec_b64 s[0:1], vcc
	s_cbranch_execz .LBB98_75
.LBB98_74:
	ds_read_u8 v8, v3 offset:129
	ds_read_u8 v11, v1 offset:128
	ds_write_b8 v1, v10
	ds_write_b8 v1, v9 offset:1
	s_waitcnt lgkmcnt(3)
	ds_write_b8 v1, v8 offset:128
	s_waitcnt lgkmcnt(3)
	ds_write_b8 v3, v11 offset:129
.LBB98_75:
	s_or_b64 exec, exec, s[0:1]
	v_and_b32_e32 v8, 31, v0
	v_sub_u32_e32 v8, v2, v8
	v_add_u32_e32 v9, 1, v8
	s_waitcnt lgkmcnt(0)
	s_barrier
	ds_read_u8 v10, v9
	ds_read_u8 v11, v9 offset:32
	s_mov_b32 s6, 1
	s_waitcnt lgkmcnt(0)
	v_cmp_ge_u16_e64 s[0:1], v10, v11
	v_cmp_lt_u16_e32 vcc, v10, v11
	s_and_saveexec_b64 s[2:3], vcc
	s_cbranch_execz .LBB98_77
; %bb.76:
	ds_read_u8 v8, v9 offset:128
	s_andn2_b64 s[0:1], s[0:1], exec
	s_waitcnt lgkmcnt(0)
	v_and_b32_e32 v8, 1, v8
	v_cmp_eq_u32_e32 vcc, 1, v8
	s_xor_b64 s[8:9], vcc, -1
	s_and_b64 s[8:9], s[8:9], exec
	s_or_b64 s[0:1], s[0:1], s[8:9]
.LBB98_77:
	s_or_b64 exec, exec, s[2:3]
	v_mov_b32_e32 v12, s6
	s_and_saveexec_b64 s[2:3], s[0:1]
	s_cbranch_execz .LBB98_79
; %bb.78:
	ds_read_u8 v8, v9 offset:160
	s_waitcnt lgkmcnt(0)
	v_xor_b32_e32 v12, 1, v8
.LBB98_79:
	s_or_b64 exec, exec, s[2:3]
	v_bfe_u32 v8, v0, 5, 1
	v_cmp_eq_u32_e32 vcc, v12, v8
	s_and_saveexec_b64 s[0:1], vcc
	s_cbranch_execz .LBB98_81
; %bb.80:
	ds_read_u8 v12, v9 offset:160
	ds_read_u8 v13, v9 offset:128
	ds_write_b8 v9, v11
	ds_write_b8 v9, v10 offset:32
	s_waitcnt lgkmcnt(3)
	ds_write_b8 v9, v12 offset:128
	s_waitcnt lgkmcnt(3)
	ds_write_b8 v9, v13 offset:160
.LBB98_81:
	s_or_b64 exec, exec, s[0:1]
	s_waitcnt lgkmcnt(0)
	s_barrier
	ds_read_u8 v10, v7
	ds_read_u8 v11, v7 offset:16
	s_waitcnt lgkmcnt(0)
	v_cmp_ge_u16_e64 s[0:1], v10, v11
	v_cmp_lt_u16_e32 vcc, v10, v11
	s_and_saveexec_b64 s[2:3], vcc
	s_cbranch_execnz .LBB98_203
; %bb.82:
	s_or_b64 exec, exec, s[2:3]
	v_mov_b32_e32 v12, s6
	s_and_saveexec_b64 s[2:3], s[0:1]
	s_cbranch_execnz .LBB98_204
.LBB98_83:
	s_or_b64 exec, exec, s[2:3]
	v_cmp_eq_u32_e32 vcc, v12, v8
	s_and_saveexec_b64 s[0:1], vcc
	s_cbranch_execz .LBB98_85
.LBB98_84:
	ds_read_u8 v12, v7 offset:144
	ds_read_u8 v13, v7 offset:128
	ds_write_b8 v7, v11
	ds_write_b8 v7, v10 offset:16
	s_waitcnt lgkmcnt(3)
	ds_write_b8 v7, v12 offset:128
	s_waitcnt lgkmcnt(3)
	ds_write_b8 v7, v13 offset:144
.LBB98_85:
	s_or_b64 exec, exec, s[0:1]
	s_waitcnt lgkmcnt(0)
	s_barrier
	ds_read_u8 v10, v6
	ds_read_u8 v11, v6 offset:8
	s_waitcnt lgkmcnt(0)
	v_cmp_ge_u16_e64 s[0:1], v10, v11
	v_cmp_lt_u16_e32 vcc, v10, v11
	s_and_saveexec_b64 s[2:3], vcc
	s_cbranch_execnz .LBB98_205
; %bb.86:
	s_or_b64 exec, exec, s[2:3]
	v_mov_b32_e32 v12, s6
	s_and_saveexec_b64 s[2:3], s[0:1]
	s_cbranch_execnz .LBB98_206
.LBB98_87:
	s_or_b64 exec, exec, s[2:3]
	v_cmp_eq_u32_e32 vcc, v12, v8
	s_and_saveexec_b64 s[0:1], vcc
	s_cbranch_execz .LBB98_89
.LBB98_88:
	ds_read_u8 v12, v6 offset:136
	ds_read_u8 v13, v6 offset:128
	ds_write_b8 v6, v11
	ds_write_b8 v6, v10 offset:8
	s_waitcnt lgkmcnt(3)
	ds_write_b8 v6, v12 offset:128
	s_waitcnt lgkmcnt(3)
	ds_write_b8 v6, v13 offset:136
.LBB98_89:
	s_or_b64 exec, exec, s[0:1]
	s_waitcnt lgkmcnt(0)
	s_barrier
	ds_read_u8 v10, v5
	ds_read_u8 v11, v5 offset:4
	s_waitcnt lgkmcnt(0)
	v_cmp_ge_u16_e64 s[0:1], v10, v11
	v_cmp_lt_u16_e32 vcc, v10, v11
	s_and_saveexec_b64 s[2:3], vcc
	s_cbranch_execnz .LBB98_207
; %bb.90:
	s_or_b64 exec, exec, s[2:3]
	v_mov_b32_e32 v12, s6
	s_and_saveexec_b64 s[2:3], s[0:1]
	s_cbranch_execnz .LBB98_208
.LBB98_91:
	s_or_b64 exec, exec, s[2:3]
	v_cmp_eq_u32_e32 vcc, v12, v8
	s_and_saveexec_b64 s[0:1], vcc
	s_cbranch_execz .LBB98_93
.LBB98_92:
	ds_read_u8 v12, v5 offset:132
	ds_read_u8 v13, v5 offset:128
	ds_write_b8 v5, v11
	ds_write_b8 v5, v10 offset:4
	s_waitcnt lgkmcnt(3)
	ds_write_b8 v5, v12 offset:128
	s_waitcnt lgkmcnt(3)
	ds_write_b8 v5, v13 offset:132
.LBB98_93:
	s_or_b64 exec, exec, s[0:1]
	s_waitcnt lgkmcnt(0)
	s_barrier
	ds_read_u8 v10, v4
	ds_read_u8 v11, v4 offset:2
	s_waitcnt lgkmcnt(0)
	v_cmp_ge_u16_e64 s[0:1], v10, v11
	v_cmp_lt_u16_e32 vcc, v10, v11
	s_and_saveexec_b64 s[2:3], vcc
	s_cbranch_execnz .LBB98_209
; %bb.94:
	s_or_b64 exec, exec, s[2:3]
	v_mov_b32_e32 v12, s6
	s_and_saveexec_b64 s[2:3], s[0:1]
	s_cbranch_execnz .LBB98_210
.LBB98_95:
	s_or_b64 exec, exec, s[2:3]
	v_cmp_eq_u32_e32 vcc, v12, v8
	s_and_saveexec_b64 s[0:1], vcc
	s_cbranch_execz .LBB98_97
.LBB98_96:
	ds_read_u8 v12, v4 offset:130
	ds_read_u8 v13, v4 offset:128
	ds_write_b8 v4, v11
	ds_write_b8 v4, v10 offset:2
	s_waitcnt lgkmcnt(3)
	ds_write_b8 v4, v12 offset:128
	s_waitcnt lgkmcnt(3)
	ds_write_b8 v4, v13 offset:130
.LBB98_97:
	s_or_b64 exec, exec, s[0:1]
	s_waitcnt lgkmcnt(0)
	s_barrier
	ds_read_u8 v10, v1
	ds_read_u8 v11, v1 offset:1
                                        ; implicit-def: $sgpr6
	s_waitcnt lgkmcnt(0)
	v_cmp_ge_u16_e64 s[0:1], v10, v11
	v_cmp_lt_u16_e32 vcc, v10, v11
	s_and_saveexec_b64 s[2:3], vcc
	s_cbranch_execnz .LBB98_211
; %bb.98:
	s_or_b64 exec, exec, s[2:3]
	v_mov_b32_e32 v12, s6
	s_and_saveexec_b64 s[2:3], s[0:1]
	s_cbranch_execnz .LBB98_212
.LBB98_99:
	s_or_b64 exec, exec, s[2:3]
	v_cmp_eq_u32_e32 vcc, v12, v8
	s_and_saveexec_b64 s[0:1], vcc
	s_cbranch_execz .LBB98_101
.LBB98_100:
	ds_read_u8 v8, v3 offset:129
	ds_read_u8 v12, v1 offset:128
	ds_write_b8 v1, v11
	ds_write_b8 v1, v10 offset:1
	s_waitcnt lgkmcnt(3)
	ds_write_b8 v1, v8 offset:128
	s_waitcnt lgkmcnt(3)
	ds_write_b8 v3, v12 offset:129
.LBB98_101:
	s_or_b64 exec, exec, s[0:1]
	v_and_b32_e32 v8, 63, v0
	v_sub_u32_e32 v10, v2, v8
	v_add_u32_e32 v10, 1, v10
	s_waitcnt lgkmcnt(0)
	s_barrier
	ds_read_u8 v11, v10
	ds_read_u8 v12, v10 offset:64
	s_waitcnt lgkmcnt(0)
	v_cmp_ge_u16_e64 s[2:3], v11, v12
	v_cmp_lt_u16_e32 vcc, v11, v12
	s_and_saveexec_b64 s[0:1], vcc
	s_cbranch_execz .LBB98_103
; %bb.102:
	ds_read_u8 v13, v10 offset:128
	s_andn2_b64 s[2:3], s[2:3], exec
	s_waitcnt lgkmcnt(0)
	v_and_b32_e32 v13, 1, v13
	v_cmp_eq_u32_e32 vcc, 1, v13
	s_xor_b64 s[6:7], vcc, -1
	s_and_b64 s[6:7], s[6:7], exec
	s_or_b64 s[2:3], s[2:3], s[6:7]
.LBB98_103:
	s_or_b64 exec, exec, s[0:1]
	s_and_saveexec_b64 s[0:1], s[2:3]
	s_cbranch_execz .LBB98_106
; %bb.104:
	ds_read_u8 v13, v10 offset:192
	s_waitcnt lgkmcnt(0)
	v_cmp_ne_u16_e32 vcc, 0, v13
	s_and_b64 exec, exec, vcc
	s_cbranch_execz .LBB98_106
; %bb.105:
	ds_read_u8 v14, v10 offset:128
	ds_write_b8 v10, v12
	ds_write_b8 v10, v11 offset:64
	ds_write_b8 v10, v13 offset:128
	s_waitcnt lgkmcnt(3)
	ds_write_b8 v10, v14 offset:192
.LBB98_106:
	s_or_b64 exec, exec, s[0:1]
	s_waitcnt lgkmcnt(0)
	s_barrier
	ds_read_u8 v10, v9
	ds_read_u8 v11, v9 offset:32
	s_waitcnt lgkmcnt(0)
	v_cmp_ge_u16_e64 s[2:3], v10, v11
	v_cmp_lt_u16_e32 vcc, v10, v11
	s_and_saveexec_b64 s[0:1], vcc
	s_cbranch_execz .LBB98_108
; %bb.107:
	ds_read_u8 v12, v9 offset:128
	s_andn2_b64 s[2:3], s[2:3], exec
	s_waitcnt lgkmcnt(0)
	v_and_b32_e32 v12, 1, v12
	v_cmp_eq_u32_e32 vcc, 1, v12
	s_xor_b64 s[6:7], vcc, -1
	s_and_b64 s[6:7], s[6:7], exec
	s_or_b64 s[2:3], s[2:3], s[6:7]
.LBB98_108:
	s_or_b64 exec, exec, s[0:1]
	s_and_saveexec_b64 s[0:1], s[2:3]
	s_cbranch_execz .LBB98_111
; %bb.109:
	ds_read_u8 v12, v9 offset:160
	s_waitcnt lgkmcnt(0)
	v_cmp_ne_u16_e32 vcc, 0, v12
	s_and_b64 exec, exec, vcc
	s_cbranch_execz .LBB98_111
; %bb.110:
	ds_read_u8 v13, v9 offset:128
	ds_write_b8 v9, v11
	ds_write_b8 v9, v10 offset:32
	ds_write_b8 v9, v12 offset:128
	s_waitcnt lgkmcnt(3)
	ds_write_b8 v9, v13 offset:160
.LBB98_111:
	s_or_b64 exec, exec, s[0:1]
	;; [unrolled: 37-line block ×7, first 2 shown]
	v_cmp_eq_u32_e32 vcc, 0, v0
	s_waitcnt lgkmcnt(0)
	s_barrier
	s_barrier
	s_and_saveexec_b64 s[0:1], vcc
	s_cbranch_execz .LBB98_138
; %bb.137:
	v_mov_b32_e32 v4, 1
	v_mov_b32_e32 v5, 0
	ds_write_b8 v4, v4 offset:132
	ds_write_b32 v4, v5 offset:128
.LBB98_138:
	s_or_b64 exec, exec, s[0:1]
	ds_read_u8 v5, v1
	ds_read_u8 v4, v1 offset:1
	s_add_i32 s10, 1, 0x80
	v_lshl_add_u32 v1, v2, 3, s10
	v_cmp_gt_u32_e64 s[2:3], 63, v0
	s_waitcnt lgkmcnt(0)
	v_cmp_ne_u16_e64 s[0:1], v5, v4
	v_cndmask_b32_e64 v6, 0, 1, s[0:1]
	v_cmp_eq_u16_e64 s[0:1], v5, v4
	v_cndmask_b32_e64 v5, 0, 1, s[0:1]
	ds_write_b8 v1, v6 offset:12
	ds_write_b32 v1, v5 offset:8
	s_and_saveexec_b64 s[6:7], s[2:3]
	s_cbranch_execz .LBB98_140
; %bb.139:
	ds_read_u8 v3, v3 offset:2
	s_waitcnt lgkmcnt(0)
	v_cmp_ne_u16_e64 s[0:1], v4, v3
	v_cndmask_b32_e64 v5, 0, 1, s[0:1]
	v_cmp_eq_u16_e64 s[0:1], v4, v3
	v_cndmask_b32_e64 v3, 0, 1, s[0:1]
	ds_write_b8 v1, v5 offset:20
	ds_write_b32 v1, v3 offset:16
.LBB98_140:
	s_or_b64 exec, exec, s[6:7]
	v_cmp_gt_u32_e64 s[0:1], 64, v0
	v_lshl_add_u32 v3, v2, 3, 1
	s_waitcnt lgkmcnt(0)
	s_barrier
	s_and_saveexec_b64 s[8:9], s[0:1]
	s_cbranch_execz .LBB98_142
; %bb.141:
	ds_read_u8 v4, v1 offset:12
	ds_read_b32 v5, v3 offset:128
	ds_read_b32 v6, v1 offset:8
	ds_read_u8 v7, v3 offset:132
	s_waitcnt lgkmcnt(3)
	v_and_b32_e32 v9, 1, v4
	v_cmp_eq_u32_e64 s[6:7], 1, v9
	s_waitcnt lgkmcnt(2)
	v_cndmask_b32_e64 v5, v5, 0, s[6:7]
	s_waitcnt lgkmcnt(0)
	v_or_b32_e32 v4, v7, v4
	v_add_u32_e32 v5, v5, v6
	v_and_b32_e32 v4, 1, v4
	ds_write2_b32 v1, v5, v4 offset0:2 offset1:3
.LBB98_142:
	s_or_b64 exec, exec, s[8:9]
	v_add_u32_e32 v10, 2, v2
	v_lshlrev_b32_e32 v4, 1, v10
	v_add_u32_e32 v5, -1, v4
	v_cmp_gt_u32_e64 s[6:7], 32, v0
	s_waitcnt lgkmcnt(0)
	s_barrier
	s_and_saveexec_b64 s[8:9], s[6:7]
	s_cbranch_execz .LBB98_144
; %bb.143:
	v_lshl_add_u32 v6, v5, 3, 1
	ds_read_u8 v7, v6 offset:132
	v_lshl_add_u32 v9, v4, 3, 1
	ds_read_b32 v11, v9 offset:104
	ds_read_b32 v12, v6 offset:128
	ds_read_u8 v9, v9 offset:108
	s_waitcnt lgkmcnt(3)
	v_and_b32_e32 v13, 1, v7
	v_cmp_eq_u32_e64 s[6:7], 1, v13
	s_waitcnt lgkmcnt(2)
	v_cndmask_b32_e64 v11, v11, 0, s[6:7]
	s_waitcnt lgkmcnt(0)
	v_or_b32_e32 v7, v9, v7
	v_add_u32_e32 v11, v11, v12
	v_and_b32_e32 v7, 1, v7
	ds_write2_b32 v6, v11, v7 offset0:32 offset1:33
.LBB98_144:
	s_or_b64 exec, exec, s[8:9]
	v_lshlrev_b32_e32 v6, 2, v10
	v_add_u32_e32 v5, v5, v4
	v_cmp_gt_u32_e64 s[6:7], 16, v0
	s_waitcnt lgkmcnt(0)
	s_barrier
	s_and_saveexec_b64 s[8:9], s[6:7]
	s_cbranch_execz .LBB98_146
; %bb.145:
	v_lshl_add_u32 v7, v5, 3, 1
	ds_read_u8 v9, v7 offset:132
	v_lshl_add_u32 v11, v6, 3, 1
	ds_read_b32 v12, v11 offset:88
	ds_read_b32 v13, v7 offset:128
	ds_read_u8 v11, v11 offset:92
	s_waitcnt lgkmcnt(3)
	v_and_b32_e32 v14, 1, v9
	v_cmp_eq_u32_e64 s[6:7], 1, v14
	s_waitcnt lgkmcnt(2)
	v_cndmask_b32_e64 v12, v12, 0, s[6:7]
	s_waitcnt lgkmcnt(0)
	v_or_b32_e32 v9, v11, v9
	v_add_u32_e32 v12, v12, v13
	v_and_b32_e32 v9, 1, v9
	ds_write2_b32 v7, v12, v9 offset0:32 offset1:33
.LBB98_146:
	s_or_b64 exec, exec, s[8:9]
	v_lshlrev_b32_e32 v9, 3, v10
	v_add_u32_e32 v7, v5, v6
	;; [unrolled: 26-line block ×3, first 2 shown]
	v_cmp_gt_u32_e64 s[6:7], 4, v0
	s_waitcnt lgkmcnt(0)
	s_barrier
	s_and_saveexec_b64 s[8:9], s[6:7]
	s_cbranch_execz .LBB98_150
; %bb.149:
	v_lshl_add_u32 v13, v11, 3, 1
	v_lshl_add_u32 v14, v12, 3, 1
	ds_read_b32 v15, v13 offset:128
	ds_read_u8 v16, v13 offset:132
	v_add_u32_e32 v17, -8, v14
	v_add_u32_e32 v14, -4, v14
	ds_read_b32 v17, v17
	ds_read_u8 v14, v14
	s_waitcnt lgkmcnt(2)
	v_and_b32_e32 v18, 1, v16
	v_cmp_eq_u32_e64 s[6:7], 1, v18
	s_waitcnt lgkmcnt(1)
	v_cndmask_b32_e64 v17, v17, 0, s[6:7]
	s_waitcnt lgkmcnt(0)
	v_or_b32_e32 v14, v14, v16
	v_add_u32_e32 v15, v17, v15
	v_and_b32_e32 v14, 1, v14
	ds_write2_b32 v13, v15, v14 offset0:32 offset1:33
.LBB98_150:
	s_or_b64 exec, exec, s[8:9]
	v_add_u32_e32 v13, v11, v12
	v_cmp_gt_u32_e64 s[6:7], 2, v0
	v_lshl_add_u32 v13, v13, 3, 1
	s_waitcnt lgkmcnt(0)
	s_barrier
	s_and_saveexec_b64 s[8:9], s[6:7]
	s_cbranch_execz .LBB98_152
; %bb.151:
	v_lshl_add_u32 v10, v10, 8, 1
	v_add_u32_e32 v14, 0xffffff78, v10
	ds_read_u8 v15, v13 offset:132
	ds_read_b32 v14, v14
	v_add_u32_e32 v10, 0xffffff7c, v10
	ds_read_b32 v16, v13 offset:128
	ds_read_u8 v10, v10
	s_waitcnt lgkmcnt(3)
	v_and_b32_e32 v17, 1, v15
	v_cmp_eq_u32_e64 s[6:7], 1, v17
	s_waitcnt lgkmcnt(2)
	v_cndmask_b32_e64 v14, v14, 0, s[6:7]
	s_waitcnt lgkmcnt(0)
	v_or_b32_e32 v10, v10, v15
	v_add_u32_e32 v14, v14, v16
	v_and_b32_e32 v10, 1, v10
	ds_write2_b32 v13, v14, v10 offset0:32 offset1:33
.LBB98_152:
	s_or_b64 exec, exec, s[8:9]
	s_waitcnt lgkmcnt(0)
	s_barrier
	s_and_saveexec_b64 s[8:9], vcc
	s_cbranch_execz .LBB98_154
; %bb.153:
	v_mov_b32_e32 v10, 1
	s_movk_i32 s6, 0x78
	ds_read_u8 v16, v10 offset:1148
	v_add_u32_e64 v14, s6, 1
	ds_read2st64_b32 v[14:15], v14 offset0:2 offset1:4
	ds_read_u8 v10, v10 offset:636
	s_add_i32 s11, 1, 0x478
	s_waitcnt lgkmcnt(2)
	v_and_b32_e32 v17, 1, v16
	v_cmp_eq_u32_e64 s[6:7], 1, v17
	s_waitcnt lgkmcnt(1)
	v_cndmask_b32_e64 v14, v14, 0, s[6:7]
	s_waitcnt lgkmcnt(0)
	v_or_b32_e32 v10, v10, v16
	v_add_u32_e32 v14, v14, v15
	v_and_b32_e32 v10, 1, v10
	v_mov_b32_e32 v15, s11
	ds_write2_b32 v15, v14, v10 offset1:1
.LBB98_154:
	s_or_b64 exec, exec, s[8:9]
	s_waitcnt lgkmcnt(0)
	s_barrier
	s_and_saveexec_b64 s[8:9], vcc
	s_cbranch_execz .LBB98_156
; %bb.155:
	v_mov_b32_e32 v10, 1
	ds_read_u8 v14, v10 offset:892
	ds_read_b32 v15, v13 offset:128
	ds_read_b32 v16, v10 offset:888
	ds_read_u8 v13, v13 offset:132
	s_waitcnt lgkmcnt(3)
	v_and_b32_e32 v17, 1, v14
	v_cmp_eq_u32_e64 s[6:7], 1, v17
	s_waitcnt lgkmcnt(2)
	v_cndmask_b32_e64 v15, v15, 0, s[6:7]
	s_waitcnt lgkmcnt(0)
	v_or_b32_e32 v13, v13, v14
	v_add_u32_e32 v15, v15, v16
	v_and_b32_e32 v13, 1, v13
	ds_write2_b32 v10, v15, v13 offset0:222 offset1:223
.LBB98_156:
	s_or_b64 exec, exec, s[8:9]
	v_cmp_gt_u32_e64 s[6:7], 3, v0
	s_waitcnt lgkmcnt(0)
	s_barrier
	s_and_saveexec_b64 s[8:9], s[6:7]
	s_cbranch_execz .LBB98_158
; %bb.157:
	v_lshl_add_u32 v10, v12, 3, s10
	ds_read_u8 v12, v10 offset:124
	v_lshl_add_u32 v11, v11, 3, s10
	ds_read_b32 v13, v11
	ds_read_b32 v14, v10 offset:120
	ds_read_u8 v11, v11 offset:4
	s_waitcnt lgkmcnt(3)
	v_and_b32_e32 v15, 1, v12
	v_cmp_eq_u32_e64 s[6:7], 1, v15
	s_waitcnt lgkmcnt(2)
	v_cndmask_b32_e64 v13, v13, 0, s[6:7]
	s_waitcnt lgkmcnt(0)
	v_or_b32_e32 v11, v11, v12
	v_add_u32_e32 v13, v13, v14
	v_and_b32_e32 v11, 1, v11
	ds_write2_b32 v10, v13, v11 offset0:30 offset1:31
.LBB98_158:
	s_or_b64 exec, exec, s[8:9]
	v_cmp_gt_u32_e64 s[6:7], 7, v0
	s_waitcnt lgkmcnt(0)
	s_barrier
	s_and_saveexec_b64 s[8:9], s[6:7]
	s_cbranch_execz .LBB98_160
; %bb.159:
	v_lshl_add_u32 v9, v9, 3, s10
	ds_read_u8 v10, v9 offset:60
	v_lshl_add_u32 v7, v7, 3, s10
	ds_read_b32 v11, v7
	ds_read_b32 v12, v9 offset:56
	ds_read_u8 v7, v7 offset:4
	s_waitcnt lgkmcnt(3)
	v_and_b32_e32 v13, 1, v10
	v_cmp_eq_u32_e64 s[6:7], 1, v13
	s_waitcnt lgkmcnt(2)
	v_cndmask_b32_e64 v11, v11, 0, s[6:7]
	s_waitcnt lgkmcnt(0)
	v_or_b32_e32 v7, v7, v10
	v_add_u32_e32 v11, v11, v12
	v_and_b32_e32 v7, 1, v7
	ds_write2_b32 v9, v11, v7 offset0:14 offset1:15
.LBB98_160:
	;; [unrolled: 24-line block ×3, first 2 shown]
	s_or_b64 exec, exec, s[8:9]
	v_cmp_gt_u32_e64 s[6:7], 31, v0
	s_waitcnt lgkmcnt(0)
	s_barrier
	s_and_saveexec_b64 s[8:9], s[6:7]
	s_cbranch_execz .LBB98_164
; %bb.163:
	v_lshl_add_u32 v4, v4, 3, s10
	ds_read_u8 v5, v4 offset:12
	v_add_u32_e32 v6, -8, v4
	ds_read_b32 v7, v6
	ds_read_b32 v9, v4 offset:8
	ds_read_u8 v6, v6 offset:4
	s_waitcnt lgkmcnt(3)
	v_and_b32_e32 v10, 1, v5
	v_cmp_eq_u32_e64 s[6:7], 1, v10
	s_waitcnt lgkmcnt(2)
	v_cndmask_b32_e64 v7, v7, 0, s[6:7]
	s_waitcnt lgkmcnt(0)
	v_or_b32_e32 v5, v6, v5
	v_add_u32_e32 v7, v7, v9
	v_and_b32_e32 v5, 1, v5
	ds_write2_b32 v4, v7, v5 offset0:2 offset1:3
.LBB98_164:
	s_or_b64 exec, exec, s[8:9]
	s_waitcnt lgkmcnt(0)
	s_barrier
	s_and_saveexec_b64 s[6:7], s[2:3]
	s_cbranch_execz .LBB98_166
; %bb.165:
	ds_read_u8 v6, v1 offset:20
	ds_read_u8 v7, v1 offset:12
	ds_read2_b32 v[4:5], v1 offset0:2 offset1:4
	s_waitcnt lgkmcnt(2)
	v_and_b32_e32 v9, 1, v6
	v_cmp_eq_u32_e64 s[2:3], 1, v9
	s_waitcnt lgkmcnt(1)
	v_or_b32_e32 v6, v7, v6
	s_waitcnt lgkmcnt(0)
	v_cndmask_b32_e64 v4, v4, 0, s[2:3]
	v_add_u32_e32 v4, v4, v5
	v_and_b32_e32 v5, 1, v6
	ds_write2_b32 v1, v4, v5 offset0:4 offset1:5
.LBB98_166:
	s_or_b64 exec, exec, s[6:7]
	s_waitcnt lgkmcnt(0)
	s_barrier
	ds_read_b32 v3, v3 offset:128
	ds_read_b32 v1, v1 offset:8
	v_or_b32_e32 v4, 1, v2
	v_cmp_gt_u32_e64 s[6:7], s16, v4
	v_cmp_gt_u32_e64 s[2:3], s16, v2
	s_waitcnt lgkmcnt(1)
	v_cndmask_b32_e64 v3, 0, v3, s[2:3]
	s_waitcnt lgkmcnt(0)
	v_cndmask_b32_e64 v6, 0, v1, s[6:7]
	v_mbcnt_lo_u32_b32 v1, -1, 0
	v_mbcnt_hi_u32_b32 v13, -1, v1
	v_and_b32_e32 v14, 63, v13
	v_cmp_gt_u32_e64 s[8:9], 32, v14
	v_cndmask_b32_e64 v1, 0, 1, s[8:9]
	v_lshlrev_b32_e32 v1, 5, v1
	v_cndmask_b32_e64 v5, 0, v2, s[2:3]
	v_max_u32_e32 v7, v6, v3
	v_add_lshl_u32 v1, v1, v13, 2
	v_cndmask_b32_e64 v9, 0, v4, s[6:7]
	v_cmp_gt_u32_e64 s[8:9], v6, v3
	ds_bpermute_b32 v10, v1, v7
	v_cndmask_b32_e64 v3, v5, v9, s[8:9]
	ds_bpermute_b32 v5, v1, v3
	v_cmp_gt_u32_e64 s[8:9], 48, v14
	v_cndmask_b32_e64 v9, 0, 1, s[8:9]
	v_lshlrev_b32_e32 v9, 4, v9
	s_waitcnt lgkmcnt(1)
	v_max_u32_e32 v6, v10, v7
	v_add_lshl_u32 v9, v9, v13, 2
	v_cmp_gt_u32_e64 s[8:9], v10, v7
	ds_bpermute_b32 v11, v9, v6
	s_waitcnt lgkmcnt(1)
	v_cndmask_b32_e64 v3, v3, v5, s[8:9]
	ds_bpermute_b32 v5, v9, v3
	v_cmp_gt_u32_e64 s[8:9], 56, v14
	v_cndmask_b32_e64 v10, 0, 1, s[8:9]
	v_lshlrev_b32_e32 v10, 3, v10
	s_waitcnt lgkmcnt(1)
	v_max_u32_e32 v7, v11, v6
	v_add_lshl_u32 v10, v10, v13, 2
	v_cmp_gt_u32_e64 s[8:9], v11, v6
	ds_bpermute_b32 v12, v10, v7
	s_waitcnt lgkmcnt(1)
	;; [unrolled: 11-line block ×4, first 2 shown]
	v_cndmask_b32_e64 v5, v3, v5, s[8:9]
	ds_bpermute_b32 v6, v12, v5
	s_waitcnt lgkmcnt(0)
	s_barrier
	v_cmp_gt_u32_e64 s[8:9], v16, v7
	v_max_u32_e32 v3, v16, v7
	v_cndmask_b32_e64 v5, v5, v6, s[8:9]
	v_cmp_ne_u32_e64 s[8:9], 63, v14
	v_addc_co_u32_e64 v6, s[8:9], 0, v13, s[8:9]
	v_lshlrev_b32_e32 v13, 2, v6
	ds_bpermute_b32 v6, v13, v5
	ds_bpermute_b32 v7, v13, v3
	v_cmp_eq_u32_e64 s[8:9], 0, v8
	s_waitcnt lgkmcnt(0)
	s_barrier
	s_and_saveexec_b64 s[12:13], s[8:9]
	s_cbranch_execz .LBB98_168
; %bb.167:
	v_lshrrev_b32_e32 v14, 3, v0
	v_cmp_gt_u32_e64 s[10:11], v7, v3
	v_add_u32_e32 v14, 1, v14
	v_cndmask_b32_e64 v5, v5, v6, s[10:11]
	v_max_u32_e32 v3, v7, v3
	ds_write2_b32 v14, v3, v5 offset0:32 offset1:33
.LBB98_168:
	s_or_b64 exec, exec, s[12:13]
	s_lshr_b32 s10, s20, 6
	v_cmp_gt_u32_e64 s[10:11], s10, v0
	v_lshl_add_u32 v14, v8, 3, 1
	v_mov_b32_e32 v3, 0
	v_mov_b32_e32 v5, 0
	s_waitcnt lgkmcnt(0)
	s_barrier
	s_and_saveexec_b64 s[12:13], s[10:11]
	s_cbranch_execnz .LBB98_213
; %bb.169:
	s_or_b64 exec, exec, s[12:13]
	s_and_saveexec_b64 s[12:13], s[10:11]
	s_cbranch_execnz .LBB98_214
.LBB98_170:
	s_or_b64 exec, exec, s[12:13]
	s_and_saveexec_b64 s[20:21], s[0:1]
	s_cbranch_execnz .LBB98_215
.LBB98_171:
	s_or_b64 exec, exec, s[20:21]
	s_and_saveexec_b64 s[12:13], vcc
	s_cbranch_execz .LBB98_173
.LBB98_172:
	s_waitcnt lgkmcnt(0)
	v_add_u32_e32 v3, 1, v3
	ds_read_u8 v3, v3
	v_mov_b32_e32 v5, 0
	s_waitcnt lgkmcnt(0)
	ds_write_b8 v5, v3
.LBB98_173:
	s_or_b64 exec, exec, s[12:13]
	s_mov_b32 s20, 0
	s_waitcnt lgkmcnt(0)
	v_mov_b32_e32 v3, 0
	s_mov_b32 s21, s20
	v_cmp_gt_i64_e64 s[12:13], s[16:17], v[2:3]
	v_pk_mov_b32 v[6:7], s[20:21], s[20:21] op_sel:[0,1]
	s_barrier
	s_and_saveexec_b64 s[20:21], s[12:13]
	s_cbranch_execz .LBB98_175
; %bb.174:
	v_add_u32_e32 v5, s15, v2
	global_load_ubyte v5, v5, s[18:19]
	ds_read_u8 v6, v3
	s_waitcnt vmcnt(0)
	v_cmp_ne_u16_e64 s[12:13], 0, v5
	v_cndmask_b32_e64 v5, 0, 1, s[12:13]
	s_waitcnt lgkmcnt(0)
	v_cmp_eq_u16_e64 s[12:13], v6, v5
	v_cndmask_b32_e64 v2, 0, v2, s[12:13]
	v_pk_mov_b32 v[6:7], v[2:3], v[2:3] op_sel:[0,1]
.LBB98_175:
	s_or_b64 exec, exec, s[20:21]
	v_mov_b32_e32 v5, v3
	v_cmp_gt_i64_e64 s[12:13], s[16:17], v[4:5]
	s_and_saveexec_b64 s[16:17], s[12:13]
	s_cbranch_execz .LBB98_177
; %bb.176:
	v_add_u32_e32 v2, s15, v4
	global_load_ubyte v2, v2, s[18:19]
	v_mov_b32_e32 v3, 0
	ds_read_u8 v3, v3
	s_waitcnt vmcnt(0)
	v_cmp_ne_u16_e64 s[12:13], 0, v2
	v_cndmask_b32_e64 v2, 0, 1, s[12:13]
	s_waitcnt lgkmcnt(0)
	v_cmp_eq_u16_e64 s[12:13], v3, v2
	v_cndmask_b32_e64 v7, 0, v4, s[12:13]
.LBB98_177:
	s_or_b64 exec, exec, s[16:17]
	v_cndmask_b32_e64 v2, 0, v6, s[2:3]
	v_cndmask_b32_e64 v3, 0, v7, s[6:7]
	v_max_u32_e32 v2, v3, v2
	ds_bpermute_b32 v3, v1, v2
	s_waitcnt lgkmcnt(0)
	s_barrier
	v_max_u32_e32 v2, v3, v2
	ds_bpermute_b32 v3, v9, v2
	s_waitcnt lgkmcnt(0)
	v_max_u32_e32 v2, v3, v2
	ds_bpermute_b32 v3, v10, v2
	s_waitcnt lgkmcnt(0)
	;; [unrolled: 3-line block ×4, first 2 shown]
	v_max_u32_e32 v2, v3, v2
	ds_bpermute_b32 v3, v13, v2
	s_and_saveexec_b64 s[2:3], s[8:9]
	s_cbranch_execz .LBB98_179
; %bb.178:
	v_lshrrev_b32_e32 v0, 4, v0
	v_add_u32_e32 v0, 1, v0
	s_waitcnt lgkmcnt(0)
	v_max_u32_e32 v2, v3, v2
	ds_write_b32 v0, v2
.LBB98_179:
	s_or_b64 exec, exec, s[2:3]
	v_mov_b32_e32 v0, 0
	s_waitcnt lgkmcnt(0)
	s_barrier
	s_and_saveexec_b64 s[2:3], s[10:11]
	s_cbranch_execnz .LBB98_216
; %bb.180:
	s_or_b64 exec, exec, s[2:3]
	s_and_saveexec_b64 s[2:3], s[0:1]
	s_cbranch_execnz .LBB98_217
.LBB98_181:
	s_or_b64 exec, exec, s[2:3]
	s_and_saveexec_b64 s[0:1], vcc
	s_cbranch_execnz .LBB98_218
.LBB98_182:
	s_endpgm
.LBB98_183:
	ds_read_u8 v8, v1 offset:128
	s_andn2_b64 s[0:1], s[0:1], exec
	s_mov_b32 s6, 1
	s_waitcnt lgkmcnt(0)
	v_and_b32_e32 v8, 1, v8
	v_cmp_eq_u32_e32 vcc, 1, v8
	s_xor_b64 s[8:9], vcc, -1
	s_and_b64 s[8:9], s[8:9], exec
	s_or_b64 s[0:1], s[0:1], s[8:9]
	s_or_b64 exec, exec, s[2:3]
	v_mov_b32_e32 v8, s6
	s_and_saveexec_b64 s[2:3], s[0:1]
	s_cbranch_execz .LBB98_19
.LBB98_184:
	ds_read_u8 v8, v3 offset:129
	s_waitcnt lgkmcnt(0)
	v_xor_b32_e32 v8, 1, v8
	s_or_b64 exec, exec, s[2:3]
	v_cmp_eq_u32_e32 vcc, v8, v5
	s_and_saveexec_b64 s[0:1], vcc
	s_cbranch_execnz .LBB98_20
	s_branch .LBB98_21
.LBB98_185:
	ds_read_u8 v9, v4 offset:128
	s_andn2_b64 s[0:1], s[0:1], exec
	s_waitcnt lgkmcnt(0)
	v_and_b32_e32 v9, 1, v9
	v_cmp_eq_u32_e32 vcc, 1, v9
	s_xor_b64 s[8:9], vcc, -1
	s_and_b64 s[8:9], s[8:9], exec
	s_or_b64 s[0:1], s[0:1], s[8:9]
	s_or_b64 exec, exec, s[2:3]
	v_mov_b32_e32 v9, s6
	s_and_saveexec_b64 s[2:3], s[0:1]
	s_cbranch_execz .LBB98_29
.LBB98_186:
	ds_read_u8 v9, v4 offset:130
	s_waitcnt lgkmcnt(0)
	v_xor_b32_e32 v9, 1, v9
	s_or_b64 exec, exec, s[2:3]
	v_cmp_eq_u32_e32 vcc, v9, v6
	s_and_saveexec_b64 s[0:1], vcc
	s_cbranch_execnz .LBB98_30
	s_branch .LBB98_31
.LBB98_187:
	ds_read_u8 v9, v1 offset:128
	s_andn2_b64 s[0:1], s[0:1], exec
	s_mov_b32 s6, 1
	s_waitcnt lgkmcnt(0)
	v_and_b32_e32 v9, 1, v9
	v_cmp_eq_u32_e32 vcc, 1, v9
	s_xor_b64 s[8:9], vcc, -1
	s_and_b64 s[8:9], s[8:9], exec
	s_or_b64 s[0:1], s[0:1], s[8:9]
	s_or_b64 exec, exec, s[2:3]
	v_mov_b32_e32 v9, s6
	s_and_saveexec_b64 s[2:3], s[0:1]
	s_cbranch_execz .LBB98_33
.LBB98_188:
	ds_read_u8 v9, v3 offset:129
	s_waitcnt lgkmcnt(0)
	v_xor_b32_e32 v9, 1, v9
	s_or_b64 exec, exec, s[2:3]
	v_cmp_eq_u32_e32 vcc, v9, v6
	s_and_saveexec_b64 s[0:1], vcc
	s_cbranch_execnz .LBB98_34
	s_branch .LBB98_35
.LBB98_189:
	ds_read_u8 v10, v5 offset:128
	s_andn2_b64 s[0:1], s[0:1], exec
	s_waitcnt lgkmcnt(0)
	v_and_b32_e32 v10, 1, v10
	v_cmp_eq_u32_e32 vcc, 1, v10
	s_xor_b64 s[8:9], vcc, -1
	s_and_b64 s[8:9], s[8:9], exec
	s_or_b64 s[0:1], s[0:1], s[8:9]
	s_or_b64 exec, exec, s[2:3]
	v_mov_b32_e32 v10, s6
	s_and_saveexec_b64 s[2:3], s[0:1]
	s_cbranch_execz .LBB98_43
.LBB98_190:
	ds_read_u8 v10, v5 offset:132
	s_waitcnt lgkmcnt(0)
	v_xor_b32_e32 v10, 1, v10
	s_or_b64 exec, exec, s[2:3]
	v_cmp_eq_u32_e32 vcc, v10, v7
	s_and_saveexec_b64 s[0:1], vcc
	s_cbranch_execnz .LBB98_44
	s_branch .LBB98_45
.LBB98_191:
	ds_read_u8 v10, v4 offset:128
	s_andn2_b64 s[0:1], s[0:1], exec
	s_waitcnt lgkmcnt(0)
	v_and_b32_e32 v10, 1, v10
	v_cmp_eq_u32_e32 vcc, 1, v10
	s_xor_b64 s[8:9], vcc, -1
	s_and_b64 s[8:9], s[8:9], exec
	s_or_b64 s[0:1], s[0:1], s[8:9]
	s_or_b64 exec, exec, s[2:3]
	v_mov_b32_e32 v10, s6
	s_and_saveexec_b64 s[2:3], s[0:1]
	s_cbranch_execz .LBB98_47
.LBB98_192:
	ds_read_u8 v10, v4 offset:130
	s_waitcnt lgkmcnt(0)
	v_xor_b32_e32 v10, 1, v10
	s_or_b64 exec, exec, s[2:3]
	v_cmp_eq_u32_e32 vcc, v10, v7
	s_and_saveexec_b64 s[0:1], vcc
	s_cbranch_execnz .LBB98_48
	s_branch .LBB98_49
.LBB98_193:
	ds_read_u8 v10, v1 offset:128
	s_andn2_b64 s[0:1], s[0:1], exec
	s_mov_b32 s6, 1
	s_waitcnt lgkmcnt(0)
	v_and_b32_e32 v10, 1, v10
	v_cmp_eq_u32_e32 vcc, 1, v10
	s_xor_b64 s[8:9], vcc, -1
	s_and_b64 s[8:9], s[8:9], exec
	s_or_b64 s[0:1], s[0:1], s[8:9]
	s_or_b64 exec, exec, s[2:3]
	v_mov_b32_e32 v10, s6
	s_and_saveexec_b64 s[2:3], s[0:1]
	s_cbranch_execz .LBB98_51
.LBB98_194:
	ds_read_u8 v10, v3 offset:129
	s_waitcnt lgkmcnt(0)
	v_xor_b32_e32 v10, 1, v10
	s_or_b64 exec, exec, s[2:3]
	v_cmp_eq_u32_e32 vcc, v10, v7
	s_and_saveexec_b64 s[0:1], vcc
	s_cbranch_execnz .LBB98_52
	s_branch .LBB98_53
.LBB98_195:
	ds_read_u8 v11, v6 offset:128
	s_andn2_b64 s[0:1], s[0:1], exec
	s_waitcnt lgkmcnt(0)
	v_and_b32_e32 v11, 1, v11
	v_cmp_eq_u32_e32 vcc, 1, v11
	s_xor_b64 s[8:9], vcc, -1
	s_and_b64 s[8:9], s[8:9], exec
	s_or_b64 s[0:1], s[0:1], s[8:9]
	s_or_b64 exec, exec, s[2:3]
	v_mov_b32_e32 v11, s6
	s_and_saveexec_b64 s[2:3], s[0:1]
	s_cbranch_execz .LBB98_61
.LBB98_196:
	ds_read_u8 v11, v6 offset:136
	s_waitcnt lgkmcnt(0)
	v_xor_b32_e32 v11, 1, v11
	s_or_b64 exec, exec, s[2:3]
	v_cmp_eq_u32_e32 vcc, v11, v8
	s_and_saveexec_b64 s[0:1], vcc
	s_cbranch_execnz .LBB98_62
	s_branch .LBB98_63
.LBB98_197:
	ds_read_u8 v11, v5 offset:128
	s_andn2_b64 s[0:1], s[0:1], exec
	s_waitcnt lgkmcnt(0)
	v_and_b32_e32 v11, 1, v11
	v_cmp_eq_u32_e32 vcc, 1, v11
	s_xor_b64 s[8:9], vcc, -1
	s_and_b64 s[8:9], s[8:9], exec
	s_or_b64 s[0:1], s[0:1], s[8:9]
	s_or_b64 exec, exec, s[2:3]
	v_mov_b32_e32 v11, s6
	s_and_saveexec_b64 s[2:3], s[0:1]
	s_cbranch_execz .LBB98_65
.LBB98_198:
	ds_read_u8 v11, v5 offset:132
	s_waitcnt lgkmcnt(0)
	v_xor_b32_e32 v11, 1, v11
	s_or_b64 exec, exec, s[2:3]
	v_cmp_eq_u32_e32 vcc, v11, v8
	s_and_saveexec_b64 s[0:1], vcc
	s_cbranch_execnz .LBB98_66
	s_branch .LBB98_67
.LBB98_199:
	ds_read_u8 v11, v4 offset:128
	s_andn2_b64 s[0:1], s[0:1], exec
	s_waitcnt lgkmcnt(0)
	v_and_b32_e32 v11, 1, v11
	v_cmp_eq_u32_e32 vcc, 1, v11
	s_xor_b64 s[8:9], vcc, -1
	s_and_b64 s[8:9], s[8:9], exec
	s_or_b64 s[0:1], s[0:1], s[8:9]
	s_or_b64 exec, exec, s[2:3]
	v_mov_b32_e32 v11, s6
	s_and_saveexec_b64 s[2:3], s[0:1]
	s_cbranch_execz .LBB98_69
.LBB98_200:
	ds_read_u8 v11, v4 offset:130
	s_waitcnt lgkmcnt(0)
	v_xor_b32_e32 v11, 1, v11
	s_or_b64 exec, exec, s[2:3]
	v_cmp_eq_u32_e32 vcc, v11, v8
	s_and_saveexec_b64 s[0:1], vcc
	s_cbranch_execnz .LBB98_70
	s_branch .LBB98_71
.LBB98_201:
	ds_read_u8 v11, v1 offset:128
	s_andn2_b64 s[0:1], s[0:1], exec
	s_mov_b32 s6, 1
	s_waitcnt lgkmcnt(0)
	v_and_b32_e32 v11, 1, v11
	v_cmp_eq_u32_e32 vcc, 1, v11
	s_xor_b64 s[8:9], vcc, -1
	s_and_b64 s[8:9], s[8:9], exec
	s_or_b64 s[0:1], s[0:1], s[8:9]
	s_or_b64 exec, exec, s[2:3]
	v_mov_b32_e32 v11, s6
	s_and_saveexec_b64 s[2:3], s[0:1]
	s_cbranch_execz .LBB98_73
.LBB98_202:
	ds_read_u8 v11, v3 offset:129
	s_waitcnt lgkmcnt(0)
	v_xor_b32_e32 v11, 1, v11
	s_or_b64 exec, exec, s[2:3]
	v_cmp_eq_u32_e32 vcc, v11, v8
	s_and_saveexec_b64 s[0:1], vcc
	s_cbranch_execnz .LBB98_74
	s_branch .LBB98_75
.LBB98_203:
	ds_read_u8 v12, v7 offset:128
	s_andn2_b64 s[0:1], s[0:1], exec
	s_waitcnt lgkmcnt(0)
	v_and_b32_e32 v12, 1, v12
	v_cmp_eq_u32_e32 vcc, 1, v12
	s_xor_b64 s[8:9], vcc, -1
	s_and_b64 s[8:9], s[8:9], exec
	s_or_b64 s[0:1], s[0:1], s[8:9]
	s_or_b64 exec, exec, s[2:3]
	v_mov_b32_e32 v12, s6
	s_and_saveexec_b64 s[2:3], s[0:1]
	s_cbranch_execz .LBB98_83
.LBB98_204:
	ds_read_u8 v12, v7 offset:144
	s_waitcnt lgkmcnt(0)
	v_xor_b32_e32 v12, 1, v12
	s_or_b64 exec, exec, s[2:3]
	v_cmp_eq_u32_e32 vcc, v12, v8
	s_and_saveexec_b64 s[0:1], vcc
	s_cbranch_execnz .LBB98_84
	s_branch .LBB98_85
.LBB98_205:
	ds_read_u8 v12, v6 offset:128
	s_andn2_b64 s[0:1], s[0:1], exec
	s_waitcnt lgkmcnt(0)
	v_and_b32_e32 v12, 1, v12
	v_cmp_eq_u32_e32 vcc, 1, v12
	s_xor_b64 s[8:9], vcc, -1
	s_and_b64 s[8:9], s[8:9], exec
	s_or_b64 s[0:1], s[0:1], s[8:9]
	s_or_b64 exec, exec, s[2:3]
	v_mov_b32_e32 v12, s6
	s_and_saveexec_b64 s[2:3], s[0:1]
	s_cbranch_execz .LBB98_87
.LBB98_206:
	ds_read_u8 v12, v6 offset:136
	s_waitcnt lgkmcnt(0)
	v_xor_b32_e32 v12, 1, v12
	s_or_b64 exec, exec, s[2:3]
	v_cmp_eq_u32_e32 vcc, v12, v8
	s_and_saveexec_b64 s[0:1], vcc
	s_cbranch_execnz .LBB98_88
	s_branch .LBB98_89
.LBB98_207:
	ds_read_u8 v12, v5 offset:128
	s_andn2_b64 s[0:1], s[0:1], exec
	s_waitcnt lgkmcnt(0)
	v_and_b32_e32 v12, 1, v12
	v_cmp_eq_u32_e32 vcc, 1, v12
	s_xor_b64 s[8:9], vcc, -1
	s_and_b64 s[8:9], s[8:9], exec
	s_or_b64 s[0:1], s[0:1], s[8:9]
	s_or_b64 exec, exec, s[2:3]
	v_mov_b32_e32 v12, s6
	s_and_saveexec_b64 s[2:3], s[0:1]
	s_cbranch_execz .LBB98_91
.LBB98_208:
	ds_read_u8 v12, v5 offset:132
	s_waitcnt lgkmcnt(0)
	v_xor_b32_e32 v12, 1, v12
	s_or_b64 exec, exec, s[2:3]
	v_cmp_eq_u32_e32 vcc, v12, v8
	s_and_saveexec_b64 s[0:1], vcc
	s_cbranch_execnz .LBB98_92
	s_branch .LBB98_93
.LBB98_209:
	ds_read_u8 v12, v4 offset:128
	s_andn2_b64 s[0:1], s[0:1], exec
	s_waitcnt lgkmcnt(0)
	v_and_b32_e32 v12, 1, v12
	v_cmp_eq_u32_e32 vcc, 1, v12
	s_xor_b64 s[8:9], vcc, -1
	s_and_b64 s[8:9], s[8:9], exec
	s_or_b64 s[0:1], s[0:1], s[8:9]
	s_or_b64 exec, exec, s[2:3]
	v_mov_b32_e32 v12, s6
	s_and_saveexec_b64 s[2:3], s[0:1]
	s_cbranch_execz .LBB98_95
.LBB98_210:
	ds_read_u8 v12, v4 offset:130
	s_waitcnt lgkmcnt(0)
	v_xor_b32_e32 v12, 1, v12
	s_or_b64 exec, exec, s[2:3]
	v_cmp_eq_u32_e32 vcc, v12, v8
	s_and_saveexec_b64 s[0:1], vcc
	s_cbranch_execnz .LBB98_96
	s_branch .LBB98_97
.LBB98_211:
	ds_read_u8 v12, v1 offset:128
	s_andn2_b64 s[0:1], s[0:1], exec
	s_mov_b32 s6, 1
	s_waitcnt lgkmcnt(0)
	v_and_b32_e32 v12, 1, v12
	v_cmp_eq_u32_e32 vcc, 1, v12
	s_xor_b64 s[8:9], vcc, -1
	s_and_b64 s[8:9], s[8:9], exec
	s_or_b64 s[0:1], s[0:1], s[8:9]
	s_or_b64 exec, exec, s[2:3]
	v_mov_b32_e32 v12, s6
	s_and_saveexec_b64 s[2:3], s[0:1]
	s_cbranch_execz .LBB98_99
.LBB98_212:
	ds_read_u8 v12, v3 offset:129
	s_waitcnt lgkmcnt(0)
	v_xor_b32_e32 v12, 1, v12
	s_or_b64 exec, exec, s[2:3]
	v_cmp_eq_u32_e32 vcc, v12, v8
	s_and_saveexec_b64 s[0:1], vcc
	s_cbranch_execnz .LBB98_100
	s_branch .LBB98_101
.LBB98_213:
	ds_read_b32 v5, v14 offset:128
	s_or_b64 exec, exec, s[12:13]
	s_and_saveexec_b64 s[12:13], s[10:11]
	s_cbranch_execz .LBB98_170
.LBB98_214:
	ds_read_b32 v3, v14 offset:132
	s_or_b64 exec, exec, s[12:13]
	s_and_saveexec_b64 s[20:21], s[0:1]
	s_cbranch_execz .LBB98_171
.LBB98_215:
	s_waitcnt lgkmcnt(0)
	ds_bpermute_b32 v6, v1, v5
	ds_bpermute_b32 v7, v1, v3
	s_waitcnt lgkmcnt(1)
	v_max_u32_e32 v15, v6, v5
	v_cmp_gt_u32_e64 s[12:13], v6, v5
	ds_bpermute_b32 v16, v9, v15
	s_waitcnt lgkmcnt(1)
	v_cndmask_b32_e64 v3, v3, v7, s[12:13]
	ds_bpermute_b32 v5, v9, v3
	s_waitcnt lgkmcnt(1)
	v_max_u32_e32 v6, v16, v15
	v_cmp_gt_u32_e64 s[12:13], v16, v15
	ds_bpermute_b32 v7, v10, v6
	s_waitcnt lgkmcnt(1)
	v_cndmask_b32_e64 v3, v3, v5, s[12:13]
	;; [unrolled: 7-line block ×4, first 2 shown]
	ds_bpermute_b32 v5, v12, v3
	s_waitcnt lgkmcnt(1)
	v_max_u32_e32 v15, v7, v6
	v_cmp_gt_u32_e64 s[12:13], v7, v6
	s_waitcnt lgkmcnt(0)
	v_cndmask_b32_e64 v3, v3, v5, s[12:13]
	ds_bpermute_b32 v5, v13, v15
	ds_bpermute_b32 v6, v13, v3
	s_waitcnt lgkmcnt(1)
	v_cmp_gt_u32_e64 s[12:13], v5, v15
	s_waitcnt lgkmcnt(0)
	v_cndmask_b32_e64 v3, v3, v6, s[12:13]
	s_or_b64 exec, exec, s[20:21]
	s_and_saveexec_b64 s[12:13], vcc
	s_cbranch_execnz .LBB98_172
	s_branch .LBB98_173
.LBB98_216:
	v_lshlrev_b32_e32 v0, 2, v8
	v_sub_u32_e32 v0, v14, v0
	ds_read_b32 v0, v0
	s_or_b64 exec, exec, s[2:3]
	s_and_saveexec_b64 s[2:3], s[0:1]
	s_cbranch_execz .LBB98_181
.LBB98_217:
	s_waitcnt lgkmcnt(0)
	ds_bpermute_b32 v1, v1, v0
	s_waitcnt lgkmcnt(0)
	v_max_u32_e32 v0, v1, v0
	ds_bpermute_b32 v1, v9, v0
	s_waitcnt lgkmcnt(0)
	v_max_u32_e32 v0, v1, v0
	;; [unrolled: 3-line block ×6, first 2 shown]
	s_or_b64 exec, exec, s[2:3]
	s_and_saveexec_b64 s[0:1], vcc
	s_cbranch_execz .LBB98_182
.LBB98_218:
	s_load_dword s6, s[4:5], 0xd8
	s_load_dwordx2 s[0:1], s[4:5], 0xe0
	s_add_u32 s2, s4, 8
	s_addc_u32 s3, s5, 0
	s_mov_b32 s5, 0
	s_waitcnt lgkmcnt(0)
	s_cmp_lt_i32 s6, 2
	s_cbranch_scc1 .LBB98_221
; %bb.219:
	s_add_i32 s4, s6, -1
	s_add_i32 s8, s6, 1
	s_lshl_b64 s[6:7], s[4:5], 2
	s_add_u32 s4, s6, s2
	s_addc_u32 s7, s7, s3
	s_add_u32 s6, s4, 8
	s_addc_u32 s7, s7, 0
.LBB98_220:                             ; =>This Inner Loop Header: Depth=1
	s_load_dword s4, s[6:7], 0x0
	s_load_dword s10, s[6:7], 0x64
	s_mov_b32 s9, s14
	s_waitcnt lgkmcnt(0)
	v_cvt_f32_u32_e32 v1, s4
	s_sub_i32 s11, 0, s4
	v_rcp_iflag_f32_e32 v1, v1
	v_mul_f32_e32 v1, 0x4f7ffffe, v1
	v_cvt_u32_f32_e32 v1, v1
	v_readfirstlane_b32 s12, v1
	s_mul_i32 s11, s11, s12
	s_mul_hi_u32 s11, s12, s11
	s_add_i32 s12, s12, s11
	s_mul_hi_u32 s11, s14, s12
	s_mul_i32 s12, s11, s4
	s_sub_i32 s12, s14, s12
	s_add_i32 s13, s11, 1
	s_sub_i32 s14, s12, s4
	s_cmp_ge_u32 s12, s4
	s_cselect_b32 s11, s13, s11
	s_cselect_b32 s12, s14, s12
	s_add_i32 s13, s11, 1
	s_cmp_ge_u32 s12, s4
	s_cselect_b32 s14, s13, s11
	s_mul_i32 s4, s14, s4
	s_sub_i32 s4, s9, s4
	s_mul_i32 s4, s10, s4
	s_add_i32 s8, s8, -1
	s_add_i32 s5, s4, s5
	s_add_u32 s6, s6, -4
	s_addc_u32 s7, s7, -1
	s_cmp_gt_u32 s8, 2
	s_cbranch_scc1 .LBB98_220
.LBB98_221:
	s_load_dword s4, s[2:3], 0x6c
	v_mov_b32_e32 v1, 0
	s_load_dwordx2 s[2:3], s[2:3], 0x0
	ds_read_u8 v2, v1
	s_mov_b32 s7, 0
	s_waitcnt lgkmcnt(0)
	s_mul_i32 s4, s4, s14
	s_add_i32 s6, s4, s5
	v_mov_b32_e32 v3, s6
	global_store_byte v3, v2, s[2:3]
	s_lshl_b64 s[2:3], s[6:7], 3
	s_add_u32 s0, s0, s2
	s_addc_u32 s1, s1, s3
	global_store_dwordx2 v1, v[0:1], s[0:1]
	s_endpgm
	.section	.rodata,"a",@progbits
	.p2align	6, 0x0
	.amdhsa_kernel _ZN2at6native12compute_modeIbLj128EEEvPKT_NS_4cuda6detail10TensorInfoIS2_jEENS7_IljEEll
		.amdhsa_group_segment_fixed_size 1
		.amdhsa_private_segment_fixed_size 0
		.amdhsa_kernarg_size 712
		.amdhsa_user_sgpr_count 6
		.amdhsa_user_sgpr_private_segment_buffer 1
		.amdhsa_user_sgpr_dispatch_ptr 0
		.amdhsa_user_sgpr_queue_ptr 0
		.amdhsa_user_sgpr_kernarg_segment_ptr 1
		.amdhsa_user_sgpr_dispatch_id 0
		.amdhsa_user_sgpr_flat_scratch_init 0
		.amdhsa_user_sgpr_kernarg_preload_length 0
		.amdhsa_user_sgpr_kernarg_preload_offset 0
		.amdhsa_user_sgpr_private_segment_size 0
		.amdhsa_uses_dynamic_stack 0
		.amdhsa_system_sgpr_private_segment_wavefront_offset 0
		.amdhsa_system_sgpr_workgroup_id_x 1
		.amdhsa_system_sgpr_workgroup_id_y 1
		.amdhsa_system_sgpr_workgroup_id_z 1
		.amdhsa_system_sgpr_workgroup_info 0
		.amdhsa_system_vgpr_workitem_id 0
		.amdhsa_next_free_vgpr 19
		.amdhsa_next_free_sgpr 22
		.amdhsa_accum_offset 20
		.amdhsa_reserve_vcc 1
		.amdhsa_reserve_flat_scratch 0
		.amdhsa_float_round_mode_32 0
		.amdhsa_float_round_mode_16_64 0
		.amdhsa_float_denorm_mode_32 3
		.amdhsa_float_denorm_mode_16_64 3
		.amdhsa_dx10_clamp 1
		.amdhsa_ieee_mode 1
		.amdhsa_fp16_overflow 0
		.amdhsa_tg_split 0
		.amdhsa_exception_fp_ieee_invalid_op 0
		.amdhsa_exception_fp_denorm_src 0
		.amdhsa_exception_fp_ieee_div_zero 0
		.amdhsa_exception_fp_ieee_overflow 0
		.amdhsa_exception_fp_ieee_underflow 0
		.amdhsa_exception_fp_ieee_inexact 0
		.amdhsa_exception_int_div_zero 0
	.end_amdhsa_kernel
	.section	.text._ZN2at6native12compute_modeIbLj128EEEvPKT_NS_4cuda6detail10TensorInfoIS2_jEENS7_IljEEll,"axG",@progbits,_ZN2at6native12compute_modeIbLj128EEEvPKT_NS_4cuda6detail10TensorInfoIS2_jEENS7_IljEEll,comdat
.Lfunc_end98:
	.size	_ZN2at6native12compute_modeIbLj128EEEvPKT_NS_4cuda6detail10TensorInfoIS2_jEENS7_IljEEll, .Lfunc_end98-_ZN2at6native12compute_modeIbLj128EEEvPKT_NS_4cuda6detail10TensorInfoIS2_jEENS7_IljEEll
                                        ; -- End function
	.section	.AMDGPU.csdata,"",@progbits
; Kernel info:
; codeLenInByte = 9916
; NumSgprs: 26
; NumVgprs: 19
; NumAgprs: 0
; TotalNumVgprs: 19
; ScratchSize: 0
; MemoryBound: 0
; FloatMode: 240
; IeeeMode: 1
; LDSByteSize: 1 bytes/workgroup (compile time only)
; SGPRBlocks: 3
; VGPRBlocks: 2
; NumSGPRsForWavesPerEU: 26
; NumVGPRsForWavesPerEU: 19
; AccumOffset: 20
; Occupancy: 8
; WaveLimiterHint : 1
; COMPUTE_PGM_RSRC2:SCRATCH_EN: 0
; COMPUTE_PGM_RSRC2:USER_SGPR: 6
; COMPUTE_PGM_RSRC2:TRAP_HANDLER: 0
; COMPUTE_PGM_RSRC2:TGID_X_EN: 1
; COMPUTE_PGM_RSRC2:TGID_Y_EN: 1
; COMPUTE_PGM_RSRC2:TGID_Z_EN: 1
; COMPUTE_PGM_RSRC2:TIDIG_COMP_CNT: 0
; COMPUTE_PGM_RSRC3_GFX90A:ACCUM_OFFSET: 4
; COMPUTE_PGM_RSRC3_GFX90A:TG_SPLIT: 0
	.section	.text._ZN2at6native12compute_modeIN3c108BFloat16ELj2048EEEvPKT_NS_4cuda6detail10TensorInfoIS4_jEENS9_IljEEll,"axG",@progbits,_ZN2at6native12compute_modeIN3c108BFloat16ELj2048EEEvPKT_NS_4cuda6detail10TensorInfoIS4_jEENS9_IljEEll,comdat
	.protected	_ZN2at6native12compute_modeIN3c108BFloat16ELj2048EEEvPKT_NS_4cuda6detail10TensorInfoIS4_jEENS9_IljEEll ; -- Begin function _ZN2at6native12compute_modeIN3c108BFloat16ELj2048EEEvPKT_NS_4cuda6detail10TensorInfoIS4_jEENS9_IljEEll
	.globl	_ZN2at6native12compute_modeIN3c108BFloat16ELj2048EEEvPKT_NS_4cuda6detail10TensorInfoIS4_jEENS9_IljEEll
	.p2align	8
	.type	_ZN2at6native12compute_modeIN3c108BFloat16ELj2048EEEvPKT_NS_4cuda6detail10TensorInfoIS4_jEENS9_IljEEll,@function
_ZN2at6native12compute_modeIN3c108BFloat16ELj2048EEEvPKT_NS_4cuda6detail10TensorInfoIS4_jEENS9_IljEEll: ; @_ZN2at6native12compute_modeIN3c108BFloat16ELj2048EEEvPKT_NS_4cuda6detail10TensorInfoIS4_jEENS9_IljEEll
; %bb.0:
	s_load_dwordx4 s[16:19], s[4:5], 0x1b8
	s_load_dwordx2 s[2:3], s[4:5], 0x1c8
	s_add_u32 s0, s4, 0x1c8
	s_addc_u32 s1, s5, 0
	s_waitcnt lgkmcnt(0)
	v_mov_b32_e32 v2, s18
	s_mul_i32 s3, s3, s8
	s_add_i32 s3, s3, s7
	s_mul_i32 s2, s3, s2
	v_mov_b32_e32 v3, s19
	s_add_i32 s18, s2, s6
	s_mov_b32 s19, 0
	v_cmp_ge_i64_e32 vcc, s[18:19], v[2:3]
	s_cbranch_vccnz .LBB99_134
; %bb.1:
	s_load_dwordx2 s[20:21], s[4:5], 0x0
	s_load_dword s6, s[0:1], 0xc
	v_mov_b32_e32 v3, 0
	v_mov_b32_e32 v1, v3
	s_mul_i32 s19, s18, s16
	v_cmp_gt_i64_e32 vcc, s[16:17], v[0:1]
	s_and_saveexec_b64 s[2:3], vcc
	s_cbranch_execz .LBB99_3
; %bb.2:
	v_add_u32_e32 v2, s19, v0
	v_lshlrev_b64 v[4:5], 1, v[2:3]
	s_waitcnt lgkmcnt(0)
	v_mov_b32_e32 v1, s21
	v_add_co_u32_e64 v4, s[0:1], s20, v4
	v_addc_co_u32_e64 v5, s[0:1], v1, v5, s[0:1]
	global_load_ushort v1, v[4:5], off
	v_lshl_add_u32 v2, v0, 1, 2
	s_waitcnt vmcnt(0)
	ds_write_b16 v2, v1
.LBB99_3:
	s_or_b64 exec, exec, s[2:3]
	s_load_dwordx2 s[14:15], s[4:5], 0xe0
	s_waitcnt lgkmcnt(0)
	s_and_b32 s22, 0xffff, s6
	v_add_u32_e32 v2, s22, v0
	v_cmp_gt_i64_e64 s[0:1], s[16:17], v[2:3]
	s_and_saveexec_b64 s[6:7], s[0:1]
	s_cbranch_execz .LBB99_5
; %bb.4:
	v_add_u32_e32 v4, s19, v2
	v_mov_b32_e32 v5, 0
	v_lshlrev_b64 v[4:5], 1, v[4:5]
	v_mov_b32_e32 v1, s21
	v_add_co_u32_e64 v4, s[2:3], s20, v4
	v_addc_co_u32_e64 v5, s[2:3], v1, v5, s[2:3]
	global_load_ushort v1, v[4:5], off
	v_lshl_add_u32 v2, v2, 1, 2
	s_waitcnt vmcnt(0)
	ds_write_b16 v2, v1
.LBB99_5:
	s_or_b64 exec, exec, s[6:7]
	v_add_u32_e32 v1, 2, v0
	v_cndmask_b32_e64 v2, 0, 1, vcc
	ds_write_b8 v1, v2 offset:4096
	v_add_u32_e32 v2, s22, v1
	v_cndmask_b32_e64 v3, 0, 1, s[0:1]
	s_mov_b32 s6, 2
	ds_write_b8 v2, v3 offset:4096
	v_lshlrev_b32_e32 v2, 1, v0
	s_waitcnt lgkmcnt(0)
	s_barrier
	s_branch .LBB99_7
.LBB99_6:                               ;   in Loop: Header=BB99_7 Depth=1
	s_lshl_b32 s0, s6, 2
	s_cmpk_gt_u32 s6, 0x1ff
	s_mov_b32 s6, s0
	s_cbranch_scc1 .LBB99_23
.LBB99_7:                               ; =>This Loop Header: Depth=1
                                        ;     Child Loop BB99_9 Depth 2
                                        ;     Child Loop BB99_17 Depth 2
	s_lshr_b32 s7, s6, 1
	v_and_b32_e32 v3, s7, v0
	v_cmp_ne_u32_e32 vcc, 0, v3
	v_cndmask_b32_e64 v3, 0, 1, vcc
	s_branch .LBB99_9
.LBB99_8:                               ;   in Loop: Header=BB99_9 Depth=2
	s_or_b64 exec, exec, s[0:1]
	s_lshr_b32 s0, s7, 1
	s_cmp_lt_u32 s7, 2
	s_mov_b32 s7, s0
	s_cbranch_scc1 .LBB99_15
.LBB99_9:                               ;   Parent Loop BB99_7 Depth=1
                                        ; =>  This Inner Loop Header: Depth=2
	s_add_i32 s0, s7, -1
	v_and_b32_e32 v4, s0, v0
	v_sub_u32_e32 v7, v2, v4
	v_lshl_add_u32 v4, v7, 1, 2
	s_barrier
	v_lshl_add_u32 v5, s7, 1, v4
	ds_read_u16 v6, v4
	ds_read_u16 v8, v5
	v_add_u32_e32 v7, 2, v7
                                        ; implicit-def: $sgpr8
	s_waitcnt lgkmcnt(1)
	v_lshlrev_b32_e32 v9, 16, v6
	s_waitcnt lgkmcnt(0)
	v_lshlrev_b32_e32 v10, 16, v8
	v_cmp_nlt_f32_e64 s[0:1], v9, v10
	v_cmp_lt_f32_e32 vcc, v9, v10
	s_and_saveexec_b64 s[2:3], vcc
	s_cbranch_execz .LBB99_11
; %bb.10:                               ;   in Loop: Header=BB99_9 Depth=2
	ds_read_u8 v9, v7 offset:4096
	s_andn2_b64 s[0:1], s[0:1], exec
	s_mov_b32 s8, 1
	s_waitcnt lgkmcnt(0)
	v_and_b32_e32 v9, 1, v9
	v_cmp_eq_u32_e32 vcc, 1, v9
	s_xor_b64 s[10:11], vcc, -1
	s_and_b64 s[10:11], s[10:11], exec
	s_or_b64 s[0:1], s[0:1], s[10:11]
.LBB99_11:                              ;   in Loop: Header=BB99_9 Depth=2
	s_or_b64 exec, exec, s[2:3]
	v_mov_b32_e32 v10, s8
	v_add_u32_e32 v9, s7, v7
	s_and_saveexec_b64 s[2:3], s[0:1]
	s_cbranch_execz .LBB99_13
; %bb.12:                               ;   in Loop: Header=BB99_9 Depth=2
	ds_read_u8 v10, v9 offset:4096
	s_waitcnt lgkmcnt(0)
	v_xor_b32_e32 v10, 1, v10
.LBB99_13:                              ;   in Loop: Header=BB99_9 Depth=2
	s_or_b64 exec, exec, s[2:3]
	v_cmp_eq_u32_e32 vcc, v10, v3
	s_and_saveexec_b64 s[0:1], vcc
	s_cbranch_execz .LBB99_8
; %bb.14:                               ;   in Loop: Header=BB99_9 Depth=2
	ds_read_u8 v10, v9 offset:4096
	ds_read_u8 v11, v7 offset:4096
	ds_write_b16 v4, v8
	ds_write_b16 v5, v6
	s_waitcnt lgkmcnt(3)
	ds_write_b8 v7, v10 offset:4096
	s_waitcnt lgkmcnt(3)
	ds_write_b8 v9, v11 offset:4096
	s_branch .LBB99_8
.LBB99_15:                              ;   in Loop: Header=BB99_7 Depth=1
	v_and_b32_e32 v3, s6, v0
	v_cmp_ne_u32_e32 vcc, 0, v3
	v_cndmask_b32_e64 v3, 0, 1, vcc
	s_mov_b32 s7, s6
	s_branch .LBB99_17
.LBB99_16:                              ;   in Loop: Header=BB99_17 Depth=2
	s_or_b64 exec, exec, s[0:1]
	s_lshr_b32 s0, s7, 1
	s_cmp_gt_u32 s7, 1
	s_mov_b32 s7, s0
	s_cbranch_scc0 .LBB99_6
.LBB99_17:                              ;   Parent Loop BB99_7 Depth=1
                                        ; =>  This Inner Loop Header: Depth=2
	s_add_i32 s0, s7, -1
	v_and_b32_e32 v4, s0, v0
	v_sub_u32_e32 v7, v2, v4
	v_lshl_add_u32 v4, v7, 1, 2
	s_waitcnt lgkmcnt(0)
	s_barrier
	v_lshl_add_u32 v5, s7, 1, v4
	ds_read_u16 v6, v4
	ds_read_u16 v8, v5
	v_add_u32_e32 v7, 2, v7
                                        ; implicit-def: $sgpr8
	s_waitcnt lgkmcnt(1)
	v_lshlrev_b32_e32 v9, 16, v6
	s_waitcnt lgkmcnt(0)
	v_lshlrev_b32_e32 v10, 16, v8
	v_cmp_nlt_f32_e64 s[0:1], v9, v10
	v_cmp_lt_f32_e32 vcc, v9, v10
	s_and_saveexec_b64 s[2:3], vcc
	s_cbranch_execz .LBB99_19
; %bb.18:                               ;   in Loop: Header=BB99_17 Depth=2
	ds_read_u8 v9, v7 offset:4096
	s_andn2_b64 s[0:1], s[0:1], exec
	s_mov_b32 s8, 1
	s_waitcnt lgkmcnt(0)
	v_and_b32_e32 v9, 1, v9
	v_cmp_eq_u32_e32 vcc, 1, v9
	s_xor_b64 s[10:11], vcc, -1
	s_and_b64 s[10:11], s[10:11], exec
	s_or_b64 s[0:1], s[0:1], s[10:11]
.LBB99_19:                              ;   in Loop: Header=BB99_17 Depth=2
	s_or_b64 exec, exec, s[2:3]
	v_mov_b32_e32 v10, s8
	v_add_u32_e32 v9, s7, v7
	s_and_saveexec_b64 s[2:3], s[0:1]
	s_cbranch_execz .LBB99_21
; %bb.20:                               ;   in Loop: Header=BB99_17 Depth=2
	ds_read_u8 v10, v9 offset:4096
	s_waitcnt lgkmcnt(0)
	v_xor_b32_e32 v10, 1, v10
.LBB99_21:                              ;   in Loop: Header=BB99_17 Depth=2
	s_or_b64 exec, exec, s[2:3]
	v_cmp_eq_u32_e32 vcc, v10, v3
	s_and_saveexec_b64 s[0:1], vcc
	s_cbranch_execz .LBB99_16
; %bb.22:                               ;   in Loop: Header=BB99_17 Depth=2
	ds_read_u8 v10, v9 offset:4096
	ds_read_u8 v11, v7 offset:4096
	ds_write_b16 v4, v8
	ds_write_b16 v5, v6
	s_waitcnt lgkmcnt(3)
	ds_write_b8 v7, v10 offset:4096
	s_waitcnt lgkmcnt(3)
	ds_write_b8 v9, v11 offset:4096
	s_branch .LBB99_16
.LBB99_23:
	v_add_u32_e32 v3, v1, v0
	s_waitcnt lgkmcnt(0)
	s_barrier
	ds_read_u16 v5, v3 offset:2048
	ds_read_u16 v4, v3
                                        ; implicit-def: $sgpr6
	s_waitcnt lgkmcnt(1)
	v_lshlrev_b32_e32 v6, 16, v5
	s_waitcnt lgkmcnt(0)
	v_lshlrev_b32_e32 v7, 16, v4
	v_cmp_nlt_f32_e64 s[0:1], v7, v6
	v_cmp_lt_f32_e32 vcc, v7, v6
	s_and_saveexec_b64 s[2:3], vcc
	s_cbranch_execnz .LBB99_135
; %bb.24:
	s_or_b64 exec, exec, s[2:3]
	v_mov_b32_e32 v6, s6
	s_and_saveexec_b64 s[2:3], s[0:1]
	s_cbranch_execnz .LBB99_136
.LBB99_25:
	s_or_b64 exec, exec, s[2:3]
	v_cmp_eq_u32_e32 vcc, 0, v6
	s_and_saveexec_b64 s[0:1], vcc
	s_cbranch_execz .LBB99_27
.LBB99_26:
	ds_read_u8 v6, v1 offset:5120
	ds_read_u8 v7, v1 offset:4096
	ds_write_b16 v3, v5
	ds_write_b16 v3, v4 offset:2048
	s_waitcnt lgkmcnt(3)
	ds_write_b8 v1, v6 offset:4096
	s_waitcnt lgkmcnt(3)
	ds_write_b8 v1, v7 offset:5120
.LBB99_27:
	s_or_b64 exec, exec, s[0:1]
	v_and_b32_e32 v1, 0x1ff, v0
	v_sub_u32_e32 v4, v2, v1
	v_add_u32_e32 v1, 2, v4
	v_lshl_add_u32 v3, v4, 1, 2
	v_add_u32_e32 v4, v1, v4
	s_waitcnt lgkmcnt(0)
	s_barrier
	ds_read_u16 v6, v4 offset:1024
	ds_read_u16 v5, v3
	s_mov_b32 s6, 1
	s_waitcnt lgkmcnt(1)
	v_lshlrev_b32_e32 v7, 16, v6
	s_waitcnt lgkmcnt(0)
	v_lshlrev_b32_e32 v8, 16, v5
	v_cmp_nlt_f32_e64 s[0:1], v8, v7
	v_cmp_lt_f32_e32 vcc, v8, v7
	s_and_saveexec_b64 s[2:3], vcc
	s_cbranch_execnz .LBB99_137
; %bb.28:
	s_or_b64 exec, exec, s[2:3]
	v_mov_b32_e32 v7, s6
	s_and_saveexec_b64 s[2:3], s[0:1]
	s_cbranch_execnz .LBB99_138
.LBB99_29:
	s_or_b64 exec, exec, s[2:3]
	v_cmp_eq_u32_e32 vcc, 0, v7
	s_and_saveexec_b64 s[0:1], vcc
	s_cbranch_execz .LBB99_31
.LBB99_30:
	ds_read_u8 v7, v1 offset:4608
	ds_read_u8 v8, v1 offset:4096
	ds_write_b16 v3, v6
	ds_write_b16 v4, v5 offset:1024
	s_waitcnt lgkmcnt(3)
	ds_write_b8 v1, v7 offset:4096
	s_waitcnt lgkmcnt(3)
	ds_write_b8 v1, v8 offset:4608
.LBB99_31:
	s_or_b64 exec, exec, s[0:1]
	v_sub_u32_sdwa v4, v2, v0 dst_sel:DWORD dst_unused:UNUSED_PAD src0_sel:DWORD src1_sel:BYTE_0
	v_add_u32_e32 v1, 2, v4
	v_lshl_add_u32 v3, v4, 1, 2
	v_add_u32_e32 v4, v1, v4
	s_waitcnt lgkmcnt(0)
	s_barrier
	ds_read_u16 v6, v4 offset:512
	ds_read_u16 v5, v3
	s_waitcnt lgkmcnt(1)
	v_lshlrev_b32_e32 v7, 16, v6
	s_waitcnt lgkmcnt(0)
	v_lshlrev_b32_e32 v8, 16, v5
	v_cmp_nlt_f32_e64 s[0:1], v8, v7
	v_cmp_lt_f32_e32 vcc, v8, v7
	s_and_saveexec_b64 s[2:3], vcc
	s_cbranch_execnz .LBB99_139
; %bb.32:
	s_or_b64 exec, exec, s[2:3]
	v_mov_b32_e32 v7, s6
	s_and_saveexec_b64 s[2:3], s[0:1]
	s_cbranch_execnz .LBB99_140
.LBB99_33:
	s_or_b64 exec, exec, s[2:3]
	v_cmp_eq_u32_e32 vcc, 0, v7
	s_and_saveexec_b64 s[0:1], vcc
	s_cbranch_execz .LBB99_35
.LBB99_34:
	ds_read_u8 v7, v1 offset:4352
	ds_read_u8 v8, v1 offset:4096
	ds_write_b16 v3, v6
	ds_write_b16 v4, v5 offset:512
	s_waitcnt lgkmcnt(3)
	ds_write_b8 v1, v7 offset:4096
	s_waitcnt lgkmcnt(3)
	ds_write_b8 v1, v8 offset:4352
.LBB99_35:
	s_or_b64 exec, exec, s[0:1]
	v_and_b32_e32 v1, 0x7f, v0
	v_sub_u32_e32 v4, v2, v1
	v_add_u32_e32 v1, 2, v4
	v_lshl_add_u32 v3, v4, 1, 2
	v_add_u32_e32 v4, v1, v4
	s_waitcnt lgkmcnt(0)
	s_barrier
	ds_read_u16 v6, v4 offset:256
	ds_read_u16 v5, v3
	s_waitcnt lgkmcnt(1)
	v_lshlrev_b32_e32 v7, 16, v6
	s_waitcnt lgkmcnt(0)
	v_lshlrev_b32_e32 v8, 16, v5
	v_cmp_nlt_f32_e64 s[0:1], v8, v7
	v_cmp_lt_f32_e32 vcc, v8, v7
	s_and_saveexec_b64 s[2:3], vcc
	s_cbranch_execnz .LBB99_141
; %bb.36:
	s_or_b64 exec, exec, s[2:3]
	v_mov_b32_e32 v7, s6
	s_and_saveexec_b64 s[2:3], s[0:1]
	s_cbranch_execnz .LBB99_142
.LBB99_37:
	s_or_b64 exec, exec, s[2:3]
	v_cmp_eq_u32_e32 vcc, 0, v7
	s_and_saveexec_b64 s[0:1], vcc
	s_cbranch_execz .LBB99_39
.LBB99_38:
	ds_read_u8 v7, v1 offset:4224
	ds_read_u8 v8, v1 offset:4096
	ds_write_b16 v3, v6
	ds_write_b16 v4, v5 offset:256
	s_waitcnt lgkmcnt(3)
	ds_write_b8 v1, v7 offset:4096
	s_waitcnt lgkmcnt(3)
	ds_write_b8 v1, v8 offset:4224
.LBB99_39:
	s_or_b64 exec, exec, s[0:1]
	v_and_b32_e32 v1, 63, v0
	v_sub_u32_e32 v5, v2, v1
	v_add_u32_e32 v3, 2, v5
	v_lshl_add_u32 v4, v5, 1, 2
	v_add_u32_e32 v5, v3, v5
	s_waitcnt lgkmcnt(0)
	s_barrier
	ds_read_u16 v7, v5 offset:128
	ds_read_u16 v6, v4
	s_waitcnt lgkmcnt(1)
	v_lshlrev_b32_e32 v8, 16, v7
	s_waitcnt lgkmcnt(0)
	v_lshlrev_b32_e32 v9, 16, v6
	v_cmp_nlt_f32_e64 s[2:3], v9, v8
	v_cmp_lt_f32_e32 vcc, v9, v8
	s_and_saveexec_b64 s[0:1], vcc
	s_cbranch_execz .LBB99_41
; %bb.40:
	ds_read_u8 v8, v3 offset:4096
	s_andn2_b64 s[2:3], s[2:3], exec
	s_waitcnt lgkmcnt(0)
	v_and_b32_e32 v8, 1, v8
	v_cmp_eq_u32_e32 vcc, 1, v8
	s_xor_b64 s[6:7], vcc, -1
	s_and_b64 s[6:7], s[6:7], exec
	s_or_b64 s[2:3], s[2:3], s[6:7]
.LBB99_41:
	s_or_b64 exec, exec, s[0:1]
	s_and_saveexec_b64 s[0:1], s[2:3]
	s_cbranch_execz .LBB99_44
; %bb.42:
	ds_read_u8 v8, v3 offset:4160
	s_waitcnt lgkmcnt(0)
	v_cmp_ne_u16_e32 vcc, 0, v8
	s_and_b64 exec, exec, vcc
	s_cbranch_execz .LBB99_44
; %bb.43:
	ds_read_u8 v9, v3 offset:4096
	ds_write_b16 v4, v7
	ds_write_b16 v5, v6 offset:128
	ds_write_b8 v3, v8 offset:4096
	s_waitcnt lgkmcnt(3)
	ds_write_b8 v3, v9 offset:4160
.LBB99_44:
	s_or_b64 exec, exec, s[0:1]
	v_and_b32_e32 v3, 31, v0
	v_sub_u32_e32 v5, v2, v3
	v_add_u32_e32 v3, 2, v5
	v_lshl_add_u32 v4, v5, 1, 2
	v_add_u32_e32 v5, v3, v5
	s_waitcnt lgkmcnt(0)
	s_barrier
	ds_read_u16 v7, v5 offset:64
	ds_read_u16 v6, v4
	s_waitcnt lgkmcnt(1)
	v_lshlrev_b32_e32 v8, 16, v7
	s_waitcnt lgkmcnt(0)
	v_lshlrev_b32_e32 v9, 16, v6
	v_cmp_nlt_f32_e64 s[2:3], v9, v8
	v_cmp_lt_f32_e32 vcc, v9, v8
	s_and_saveexec_b64 s[0:1], vcc
	s_cbranch_execz .LBB99_46
; %bb.45:
	ds_read_u8 v8, v3 offset:4096
	s_andn2_b64 s[2:3], s[2:3], exec
	s_waitcnt lgkmcnt(0)
	v_and_b32_e32 v8, 1, v8
	v_cmp_eq_u32_e32 vcc, 1, v8
	s_xor_b64 s[6:7], vcc, -1
	s_and_b64 s[6:7], s[6:7], exec
	s_or_b64 s[2:3], s[2:3], s[6:7]
.LBB99_46:
	s_or_b64 exec, exec, s[0:1]
	s_and_saveexec_b64 s[0:1], s[2:3]
	s_cbranch_execz .LBB99_49
; %bb.47:
	ds_read_u8 v8, v3 offset:4128
	s_waitcnt lgkmcnt(0)
	v_cmp_ne_u16_e32 vcc, 0, v8
	s_and_b64 exec, exec, vcc
	s_cbranch_execz .LBB99_49
; %bb.48:
	ds_read_u8 v9, v3 offset:4096
	ds_write_b16 v4, v7
	ds_write_b16 v5, v6 offset:64
	ds_write_b8 v3, v8 offset:4096
	s_waitcnt lgkmcnt(3)
	ds_write_b8 v3, v9 offset:4128
.LBB99_49:
	;; [unrolled: 45-line block ×6, first 2 shown]
	s_or_b64 exec, exec, s[0:1]
	v_lshl_add_u32 v5, v2, 1, 2
	s_waitcnt lgkmcnt(0)
	s_barrier
	ds_read_b32 v3, v5
	v_sub_u32_e32 v4, v5, v2
	s_add_i32 s10, 2, 0x1000
	s_waitcnt lgkmcnt(0)
	v_and_b32_e32 v6, 0xffff0000, v3
	v_lshlrev_b32_e32 v7, 16, v3
	v_cmp_nlt_f32_e64 s[2:3], v7, v6
	v_cmp_lt_f32_e32 vcc, v7, v6
	s_and_saveexec_b64 s[0:1], vcc
	s_cbranch_execz .LBB99_71
; %bb.70:
	ds_read_u8 v6, v4 offset:4096
	s_andn2_b64 s[2:3], s[2:3], exec
	s_waitcnt lgkmcnt(0)
	v_and_b32_e32 v6, 1, v6
	v_cmp_eq_u32_e32 vcc, 1, v6
	s_xor_b64 s[6:7], vcc, -1
	s_and_b64 s[6:7], s[6:7], exec
	s_or_b64 s[2:3], s[2:3], s[6:7]
.LBB99_71:
	s_or_b64 exec, exec, s[0:1]
	v_add_u32_e32 v6, s10, v2
	s_and_saveexec_b64 s[0:1], s[2:3]
	s_cbranch_execz .LBB99_74
; %bb.72:
	ds_read_u8 v7, v6 offset:1
	s_waitcnt lgkmcnt(0)
	v_cmp_ne_u16_e32 vcc, 0, v7
	s_and_b64 exec, exec, vcc
	s_cbranch_execz .LBB99_74
; %bb.73:
	ds_read_u8 v8, v4 offset:4096
	v_alignbit_b32 v3, v3, v3, 16
	ds_write_b32 v5, v3
	ds_write_b8 v4, v7 offset:4096
	s_waitcnt lgkmcnt(2)
	ds_write_b8 v6, v8 offset:1
.LBB99_74:
	s_or_b64 exec, exec, s[0:1]
	v_cmp_eq_u32_e32 vcc, 0, v0
	s_waitcnt lgkmcnt(0)
	s_barrier
	s_barrier
	s_and_saveexec_b64 s[0:1], vcc
	s_cbranch_execz .LBB99_76
; %bb.75:
	v_mov_b32_e32 v3, 2
	v_mov_b32_e32 v7, 1
	ds_write_b8 v3, v7 offset:4100
	v_mov_b32_e32 v7, 0
	ds_write_b32 v3, v7 offset:4096
.LBB99_76:
	s_or_b64 exec, exec, s[0:1]
	ds_read_b32 v3, v5
	v_mad_u32_u24 v9, v0, 14, v6
	v_mul_u32_u24_e32 v7, 14, v0
	s_waitcnt lgkmcnt(0)
	v_and_b32_e32 v8, 0xffff0000, v3
	v_lshlrev_b32_e32 v3, 16, v3
	v_cmp_neq_f32_e64 s[0:1], v3, v8
	v_cndmask_b32_e64 v10, 0, 1, s[0:1]
	v_cmp_eq_f32_e64 s[0:1], v3, v8
	v_cndmask_b32_e64 v3, 0, 1, s[0:1]
	s_movk_i32 s0, 0x3ff
	ds_write_b32 v9, v3 offset:8
	v_cmp_ne_u32_e64 s[2:3], s0, v0
	v_mov_b32_e32 v3, 0x800
	ds_write_b8 v9, v10 offset:12
	s_and_saveexec_b64 s[6:7], s[2:3]
	s_cbranch_execz .LBB99_78
; %bb.77:
	ds_read_u16 v5, v5 offset:4
	v_add_u32_e32 v3, 2, v2
	v_lshl_add_u32 v9, v2, 3, s10
	s_waitcnt lgkmcnt(0)
	v_lshlrev_b32_e32 v5, 16, v5
	v_cmp_neq_f32_e64 s[0:1], v8, v5
	v_cndmask_b32_e64 v10, 0, 1, s[0:1]
	v_cmp_eq_f32_e64 s[0:1], v8, v5
	v_cndmask_b32_e64 v5, 0, 1, s[0:1]
	ds_write_b8 v9, v10 offset:20
	ds_write_b32 v9, v5 offset:16
.LBB99_78:
	s_or_b64 exec, exec, s[6:7]
	v_add_u32_e32 v5, v6, v7
	s_waitcnt lgkmcnt(0)
	s_barrier
	ds_read_u8 v6, v5 offset:12
	v_add_u32_e32 v4, v4, v7
	ds_read_b32 v7, v4 offset:4096
	ds_read_b32 v8, v5 offset:8
	ds_read_u8 v9, v4 offset:4100
	s_waitcnt lgkmcnt(3)
	v_and_b32_e32 v10, 1, v6
	v_cmp_eq_u32_e64 s[0:1], 1, v10
	s_waitcnt lgkmcnt(2)
	v_cndmask_b32_e64 v7, v7, 0, s[0:1]
	s_waitcnt lgkmcnt(0)
	v_or_b32_e32 v6, v9, v6
	v_add_u32_e32 v7, v7, v8
	v_and_b32_e32 v6, 1, v6
	ds_write2_b32 v5, v7, v6 offset0:2 offset1:3
	v_lshlrev_b32_e32 v6, 1, v3
	s_movk_i32 s0, 0x200
	v_add_u32_e32 v7, -1, v6
	v_cmp_gt_u32_e64 s[0:1], s0, v0
	s_waitcnt lgkmcnt(0)
	s_barrier
	s_and_saveexec_b64 s[6:7], s[0:1]
	s_cbranch_execz .LBB99_80
; %bb.79:
	v_lshl_add_u32 v8, v7, 3, 2
	ds_read_b32 v9, v8 offset:4096
	ds_read_u8 v10, v8 offset:4100
	v_lshl_add_u32 v11, v6, 3, 2
	ds_read_b32 v12, v11 offset:4072
	ds_read_u8 v11, v11 offset:4076
	v_add_u32_e32 v8, 0x1000, v8
	s_waitcnt lgkmcnt(2)
	v_and_b32_e32 v13, 1, v10
	v_cmp_eq_u32_e64 s[0:1], 1, v13
	s_waitcnt lgkmcnt(1)
	v_cndmask_b32_e64 v12, v12, 0, s[0:1]
	s_waitcnt lgkmcnt(0)
	v_or_b32_e32 v10, v11, v10
	v_add_u32_e32 v9, v12, v9
	v_and_b32_e32 v10, 1, v10
	ds_write2_b32 v8, v9, v10 offset1:1
.LBB99_80:
	s_or_b64 exec, exec, s[6:7]
	s_movk_i32 s0, 0x100
	v_lshlrev_b32_e32 v8, 2, v3
	v_add_u32_e32 v7, v7, v6
	v_cmp_gt_u32_e64 s[0:1], s0, v0
	s_waitcnt lgkmcnt(0)
	s_barrier
	s_and_saveexec_b64 s[6:7], s[0:1]
	s_cbranch_execz .LBB99_82
; %bb.81:
	v_lshl_add_u32 v9, v7, 3, 2
	ds_read_b32 v10, v9 offset:4096
	ds_read_u8 v11, v9 offset:4100
	v_lshl_add_u32 v12, v8, 3, 2
	ds_read_b32 v13, v12 offset:4056
	ds_read_u8 v12, v12 offset:4060
	v_add_u32_e32 v9, 0x1000, v9
	s_waitcnt lgkmcnt(2)
	v_and_b32_e32 v14, 1, v11
	v_cmp_eq_u32_e64 s[0:1], 1, v14
	s_waitcnt lgkmcnt(1)
	v_cndmask_b32_e64 v13, v13, 0, s[0:1]
	s_waitcnt lgkmcnt(0)
	v_or_b32_e32 v11, v12, v11
	v_add_u32_e32 v10, v13, v10
	v_and_b32_e32 v11, 1, v11
	ds_write2_b32 v9, v10, v11 offset1:1
.LBB99_82:
	s_or_b64 exec, exec, s[6:7]
	s_movk_i32 s0, 0x80
	v_lshlrev_b32_e32 v10, 3, v3
	v_add_u32_e32 v9, v7, v8
	v_cmp_gt_u32_e64 s[0:1], s0, v0
	s_waitcnt lgkmcnt(0)
	s_barrier
	s_and_saveexec_b64 s[6:7], s[0:1]
	s_cbranch_execz .LBB99_84
; %bb.83:
	v_lshl_add_u32 v11, v9, 3, 2
	ds_read_b32 v12, v11 offset:4096
	ds_read_u8 v13, v11 offset:4100
	v_lshl_add_u32 v14, v10, 3, 2
	ds_read_b32 v15, v14 offset:4024
	ds_read_u8 v14, v14 offset:4028
	v_add_u32_e32 v11, 0x1000, v11
	s_waitcnt lgkmcnt(2)
	v_and_b32_e32 v16, 1, v13
	v_cmp_eq_u32_e64 s[0:1], 1, v16
	s_waitcnt lgkmcnt(1)
	v_cndmask_b32_e64 v15, v15, 0, s[0:1]
	s_waitcnt lgkmcnt(0)
	v_or_b32_e32 v13, v14, v13
	v_add_u32_e32 v12, v15, v12
	v_and_b32_e32 v13, 1, v13
	ds_write2_b32 v11, v12, v13 offset1:1
.LBB99_84:
	s_or_b64 exec, exec, s[6:7]
	v_lshlrev_b32_e32 v12, 4, v3
	v_add_u32_e32 v11, v9, v10
	v_cmp_gt_u32_e64 s[0:1], 64, v0
	s_waitcnt lgkmcnt(0)
	s_barrier
	s_and_saveexec_b64 s[8:9], s[0:1]
	s_cbranch_execz .LBB99_86
; %bb.85:
	v_lshl_add_u32 v13, v11, 3, 2
	ds_read_b32 v14, v13 offset:4096
	ds_read_u8 v15, v13 offset:4100
	v_lshl_add_u32 v16, v12, 3, 2
	ds_read_b32 v17, v16 offset:3960
	ds_read_u8 v16, v16 offset:3964
	v_add_u32_e32 v13, 0x1000, v13
	s_waitcnt lgkmcnt(2)
	v_and_b32_e32 v18, 1, v15
	v_cmp_eq_u32_e64 s[6:7], 1, v18
	s_waitcnt lgkmcnt(1)
	v_cndmask_b32_e64 v17, v17, 0, s[6:7]
	s_waitcnt lgkmcnt(0)
	v_or_b32_e32 v15, v16, v15
	v_add_u32_e32 v14, v17, v14
	v_and_b32_e32 v15, 1, v15
	ds_write2_b32 v13, v14, v15 offset1:1
.LBB99_86:
	s_or_b64 exec, exec, s[8:9]
	;; [unrolled: 27-line block ×6, first 2 shown]
	v_add_u32_e32 v21, v19, v20
	v_cmp_gt_u32_e64 s[6:7], 2, v0
	v_lshl_add_u32 v21, v21, 3, 2
	s_waitcnt lgkmcnt(0)
	s_barrier
	s_and_saveexec_b64 s[8:9], s[6:7]
	s_cbranch_execz .LBB99_96
; %bb.95:
	v_lshl_add_u32 v23, v3, 12, 2
	v_add_u32_e32 v24, -8, v23
	ds_read_u8 v25, v21 offset:4100
	ds_read_b32 v24, v24
	v_add_u32_e32 v23, -4, v23
	ds_read_b32 v26, v21 offset:4096
	ds_read_u8 v23, v23
	v_add_u32_e32 v22, 0x1000, v21
	s_waitcnt lgkmcnt(3)
	v_and_b32_e32 v27, 1, v25
	v_cmp_eq_u32_e64 s[6:7], 1, v27
	s_waitcnt lgkmcnt(2)
	v_cndmask_b32_e64 v24, v24, 0, s[6:7]
	s_waitcnt lgkmcnt(0)
	v_or_b32_e32 v23, v23, v25
	v_add_u32_e32 v24, v24, v26
	v_and_b32_e32 v23, 1, v23
	ds_write2_b32 v22, v24, v23 offset1:1
.LBB99_96:
	s_or_b64 exec, exec, s[8:9]
	s_waitcnt lgkmcnt(0)
	s_barrier
	s_and_saveexec_b64 s[8:9], vcc
	s_cbranch_execz .LBB99_98
; %bb.97:
	v_mov_b32_e32 v24, 2
	s_movk_i32 s6, 0xf8
	ds_read_u8 v25, v24 offset:20476
	v_add_u32_e64 v22, s6, 2
	ds_read2st64_b32 v[22:23], v22 offset0:47 offset1:79
	ds_read_u8 v24, v24 offset:12284
	s_add_i32 s11, 2, 0x4ff8
	s_waitcnt lgkmcnt(2)
	v_and_b32_e32 v26, 1, v25
	v_cmp_eq_u32_e64 s[6:7], 1, v26
	s_waitcnt lgkmcnt(1)
	v_cndmask_b32_e64 v22, v22, 0, s[6:7]
	v_add_u32_e32 v22, v22, v23
	s_waitcnt lgkmcnt(0)
	v_or_b32_e32 v23, v24, v25
	v_and_b32_e32 v23, 1, v23
	v_mov_b32_e32 v24, s11
	ds_write2_b32 v24, v22, v23 offset1:1
.LBB99_98:
	s_or_b64 exec, exec, s[8:9]
	s_waitcnt lgkmcnt(0)
	s_barrier
	s_and_saveexec_b64 s[8:9], vcc
	s_cbranch_execz .LBB99_100
; %bb.99:
	v_mov_b32_e32 v22, 2
	ds_read_u8 v23, v22 offset:16380
	ds_read_b32 v22, v22 offset:16376
	ds_read_b32 v24, v21 offset:4096
	ds_read_u8 v21, v21 offset:4100
	s_add_i32 s11, 2, 0x3ff8
	s_waitcnt lgkmcnt(3)
	v_and_b32_e32 v25, 1, v23
	v_cmp_eq_u32_e64 s[6:7], 1, v25
	s_waitcnt lgkmcnt(1)
	v_cndmask_b32_e64 v24, v24, 0, s[6:7]
	s_waitcnt lgkmcnt(0)
	v_or_b32_e32 v21, v21, v23
	v_add_u32_e32 v22, v24, v22
	v_and_b32_e32 v21, 1, v21
	v_mov_b32_e32 v23, s11
	ds_write2_b32 v23, v22, v21 offset1:1
.LBB99_100:
	s_or_b64 exec, exec, s[8:9]
	v_cmp_gt_u32_e64 s[6:7], 3, v0
	s_waitcnt lgkmcnt(0)
	s_barrier
	s_and_saveexec_b64 s[8:9], s[6:7]
	s_cbranch_execz .LBB99_102
; %bb.101:
	v_lshl_add_u32 v20, v20, 3, s10
	ds_read_b32 v21, v20 offset:2040
	ds_read_u8 v22, v20 offset:2044
	v_lshl_add_u32 v19, v19, 3, s10
	ds_read_b32 v23, v19
	ds_read_u8 v19, v19 offset:4
	v_add_u32_e32 v20, 0x7f8, v20
	s_waitcnt lgkmcnt(2)
	v_and_b32_e32 v24, 1, v22
	v_cmp_eq_u32_e64 s[6:7], 1, v24
	s_waitcnt lgkmcnt(1)
	v_cndmask_b32_e64 v23, v23, 0, s[6:7]
	s_waitcnt lgkmcnt(0)
	v_or_b32_e32 v19, v19, v22
	v_add_u32_e32 v21, v23, v21
	v_and_b32_e32 v19, 1, v19
	ds_write2_b32 v20, v21, v19 offset1:1
.LBB99_102:
	s_or_b64 exec, exec, s[8:9]
	v_cmp_gt_u32_e64 s[6:7], 7, v0
	s_waitcnt lgkmcnt(0)
	s_barrier
	s_and_saveexec_b64 s[8:9], s[6:7]
	s_cbranch_execz .LBB99_104
; %bb.103:
	v_lshl_add_u32 v18, v18, 3, s10
	ds_read_u8 v19, v18 offset:1020
	v_lshl_add_u32 v17, v17, 3, s10
	ds_read_b32 v20, v17
	ds_read_b32 v21, v18 offset:1016
	ds_read_u8 v17, v17 offset:4
	s_waitcnt lgkmcnt(3)
	v_and_b32_e32 v22, 1, v19
	v_cmp_eq_u32_e64 s[6:7], 1, v22
	s_waitcnt lgkmcnt(2)
	v_cndmask_b32_e64 v20, v20, 0, s[6:7]
	s_waitcnt lgkmcnt(0)
	v_or_b32_e32 v17, v17, v19
	v_add_u32_e32 v20, v20, v21
	v_and_b32_e32 v17, 1, v17
	ds_write2_b32 v18, v20, v17 offset0:254 offset1:255
.LBB99_104:
	s_or_b64 exec, exec, s[8:9]
	v_cmp_gt_u32_e64 s[6:7], 15, v0
	s_waitcnt lgkmcnt(0)
	s_barrier
	s_and_saveexec_b64 s[8:9], s[6:7]
	s_cbranch_execz .LBB99_106
; %bb.105:
	v_lshl_add_u32 v16, v16, 3, s10
	ds_read_u8 v17, v16 offset:508
	v_lshl_add_u32 v15, v15, 3, s10
	ds_read_b32 v18, v15
	ds_read_b32 v19, v16 offset:504
	ds_read_u8 v15, v15 offset:4
	s_waitcnt lgkmcnt(3)
	v_and_b32_e32 v20, 1, v17
	v_cmp_eq_u32_e64 s[6:7], 1, v20
	s_waitcnt lgkmcnt(2)
	v_cndmask_b32_e64 v18, v18, 0, s[6:7]
	s_waitcnt lgkmcnt(0)
	v_or_b32_e32 v15, v15, v17
	v_add_u32_e32 v18, v18, v19
	v_and_b32_e32 v15, 1, v15
	ds_write2_b32 v16, v18, v15 offset0:126 offset1:127
.LBB99_106:
	;; [unrolled: 24-line block ×4, first 2 shown]
	s_or_b64 exec, exec, s[8:9]
	s_movk_i32 s6, 0x7f
	v_cmp_gt_u32_e64 s[6:7], s6, v0
	s_waitcnt lgkmcnt(0)
	s_barrier
	s_and_saveexec_b64 s[8:9], s[6:7]
	s_cbranch_execz .LBB99_112
; %bb.111:
	v_lshl_add_u32 v10, v10, 3, s10
	ds_read_u8 v11, v10 offset:60
	v_lshl_add_u32 v9, v9, 3, s10
	ds_read_b32 v12, v9
	ds_read_b32 v13, v10 offset:56
	ds_read_u8 v9, v9 offset:4
	s_waitcnt lgkmcnt(3)
	v_and_b32_e32 v14, 1, v11
	v_cmp_eq_u32_e64 s[6:7], 1, v14
	s_waitcnt lgkmcnt(2)
	v_cndmask_b32_e64 v12, v12, 0, s[6:7]
	s_waitcnt lgkmcnt(0)
	v_or_b32_e32 v9, v9, v11
	v_add_u32_e32 v12, v12, v13
	v_and_b32_e32 v9, 1, v9
	ds_write2_b32 v10, v12, v9 offset0:14 offset1:15
.LBB99_112:
	s_or_b64 exec, exec, s[8:9]
	s_movk_i32 s6, 0xff
	v_cmp_gt_u32_e64 s[6:7], s6, v0
	s_waitcnt lgkmcnt(0)
	s_barrier
	s_and_saveexec_b64 s[8:9], s[6:7]
	s_cbranch_execz .LBB99_114
; %bb.113:
	v_lshl_add_u32 v8, v8, 3, s10
	ds_read_u8 v9, v8 offset:28
	v_lshl_add_u32 v7, v7, 3, s10
	ds_read_b32 v10, v7
	ds_read_b32 v11, v8 offset:24
	ds_read_u8 v7, v7 offset:4
	s_waitcnt lgkmcnt(3)
	v_and_b32_e32 v12, 1, v9
	v_cmp_eq_u32_e64 s[6:7], 1, v12
	s_waitcnt lgkmcnt(2)
	v_cndmask_b32_e64 v10, v10, 0, s[6:7]
	s_waitcnt lgkmcnt(0)
	v_or_b32_e32 v7, v7, v9
	v_add_u32_e32 v10, v10, v11
	v_and_b32_e32 v7, 1, v7
	ds_write2_b32 v8, v10, v7 offset0:6 offset1:7
.LBB99_114:
	s_or_b64 exec, exec, s[8:9]
	s_movk_i32 s6, 0x1ff
	v_cmp_gt_u32_e64 s[6:7], s6, v0
	s_waitcnt lgkmcnt(0)
	s_barrier
	s_and_saveexec_b64 s[8:9], s[6:7]
	s_cbranch_execz .LBB99_116
; %bb.115:
	v_lshl_add_u32 v6, v6, 3, s10
	ds_read_u8 v7, v6 offset:12
	v_add_u32_e32 v8, -8, v6
	ds_read_b32 v9, v8
	ds_read_b32 v10, v6 offset:8
	ds_read_u8 v8, v8 offset:4
	s_waitcnt lgkmcnt(3)
	v_and_b32_e32 v11, 1, v7
	v_cmp_eq_u32_e64 s[6:7], 1, v11
	s_waitcnt lgkmcnt(2)
	v_cndmask_b32_e64 v9, v9, 0, s[6:7]
	s_waitcnt lgkmcnt(0)
	v_or_b32_e32 v7, v8, v7
	v_add_u32_e32 v9, v9, v10
	v_and_b32_e32 v7, 1, v7
	ds_write2_b32 v6, v9, v7 offset0:2 offset1:3
.LBB99_116:
	s_or_b64 exec, exec, s[8:9]
	s_waitcnt lgkmcnt(0)
	s_barrier
	s_and_saveexec_b64 s[6:7], s[2:3]
	s_cbranch_execz .LBB99_118
; %bb.117:
	v_lshl_add_u32 v3, v3, 3, 2
	ds_read_u8 v6, v3 offset:4100
	ds_read_b32 v7, v5 offset:8
	v_add_u32_e32 v8, 0x1000, v3
	ds_read_b32 v3, v3 offset:4096
	ds_read_u8 v9, v5 offset:12
	s_waitcnt lgkmcnt(3)
	v_and_b32_e32 v10, 1, v6
	v_cmp_eq_u32_e64 s[2:3], 1, v10
	s_waitcnt lgkmcnt(2)
	v_cndmask_b32_e64 v7, v7, 0, s[2:3]
	s_waitcnt lgkmcnt(0)
	v_or_b32_e32 v6, v9, v6
	v_add_u32_e32 v3, v7, v3
	v_and_b32_e32 v6, 1, v6
	ds_write2_b32 v8, v3, v6 offset1:1
.LBB99_118:
	s_or_b64 exec, exec, s[6:7]
	s_waitcnt lgkmcnt(0)
	s_barrier
	ds_read_b32 v3, v4 offset:4096
	ds_read_b32 v5, v5 offset:8
	v_mbcnt_lo_u32_b32 v8, -1, 0
	v_mbcnt_hi_u32_b32 v13, -1, v8
	v_and_b32_e32 v14, 63, v13
	v_or_b32_e32 v4, 1, v2
	v_cmp_gt_u32_e64 s[8:9], 32, v14
	v_cmp_gt_u32_e64 s[2:3], s16, v2
	v_cmp_gt_u32_e64 s[6:7], s16, v4
	v_cndmask_b32_e64 v8, 0, 1, s[8:9]
	s_waitcnt lgkmcnt(1)
	v_cndmask_b32_e64 v3, 0, v3, s[2:3]
	s_waitcnt lgkmcnt(0)
	v_cndmask_b32_e64 v5, 0, v5, s[6:7]
	v_lshlrev_b32_e32 v8, 5, v8
	v_cndmask_b32_e64 v6, 0, v2, s[2:3]
	v_max_u32_e32 v7, v5, v3
	v_add_lshl_u32 v8, v8, v13, 2
	v_cndmask_b32_e64 v9, 0, v4, s[6:7]
	v_cmp_gt_u32_e64 s[8:9], v5, v3
	ds_bpermute_b32 v10, v8, v7
	v_cndmask_b32_e64 v3, v6, v9, s[8:9]
	ds_bpermute_b32 v5, v8, v3
	v_cmp_gt_u32_e64 s[8:9], 48, v14
	v_cndmask_b32_e64 v9, 0, 1, s[8:9]
	v_lshlrev_b32_e32 v9, 4, v9
	s_waitcnt lgkmcnt(1)
	v_max_u32_e32 v6, v10, v7
	v_add_lshl_u32 v9, v9, v13, 2
	v_cmp_gt_u32_e64 s[8:9], v10, v7
	ds_bpermute_b32 v11, v9, v6
	s_waitcnt lgkmcnt(1)
	v_cndmask_b32_e64 v3, v3, v5, s[8:9]
	ds_bpermute_b32 v5, v9, v3
	v_cmp_gt_u32_e64 s[8:9], 56, v14
	v_cndmask_b32_e64 v10, 0, 1, s[8:9]
	v_lshlrev_b32_e32 v10, 3, v10
	s_waitcnt lgkmcnt(1)
	v_max_u32_e32 v7, v11, v6
	v_add_lshl_u32 v10, v10, v13, 2
	v_cmp_gt_u32_e64 s[8:9], v11, v6
	ds_bpermute_b32 v12, v10, v7
	s_waitcnt lgkmcnt(1)
	;; [unrolled: 11-line block ×4, first 2 shown]
	v_cndmask_b32_e64 v5, v3, v5, s[8:9]
	ds_bpermute_b32 v6, v12, v5
	s_waitcnt lgkmcnt(0)
	s_barrier
	v_cmp_gt_u32_e64 s[8:9], v16, v7
	v_max_u32_e32 v3, v16, v7
	v_cndmask_b32_e64 v5, v5, v6, s[8:9]
	v_cmp_ne_u32_e64 s[8:9], 63, v14
	v_addc_co_u32_e64 v6, s[8:9], 0, v13, s[8:9]
	v_lshlrev_b32_e32 v13, 2, v6
	ds_bpermute_b32 v6, v13, v5
	ds_bpermute_b32 v7, v13, v3
	v_cmp_eq_u32_e64 s[8:9], 0, v1
	s_waitcnt lgkmcnt(0)
	s_barrier
	s_and_saveexec_b64 s[12:13], s[8:9]
	s_cbranch_execz .LBB99_120
; %bb.119:
	v_lshrrev_b32_e32 v14, 3, v0
	v_add_u32_e32 v14, 2, v14
	v_cmp_gt_u32_e64 s[10:11], v7, v3
	v_add_u32_e32 v14, 0x1000, v14
	v_cndmask_b32_e64 v5, v5, v6, s[10:11]
	v_max_u32_e32 v3, v7, v3
	ds_write2_b32 v14, v3, v5 offset1:1
.LBB99_120:
	s_or_b64 exec, exec, s[12:13]
	s_lshr_b32 s10, s22, 6
	v_cmp_gt_u32_e64 s[10:11], s10, v0
	v_lshl_add_u32 v14, v1, 3, 2
	v_mov_b32_e32 v3, 0
	v_mov_b32_e32 v5, 0
	s_waitcnt lgkmcnt(0)
	s_barrier
	s_and_saveexec_b64 s[12:13], s[10:11]
	s_cbranch_execnz .LBB99_143
; %bb.121:
	s_or_b64 exec, exec, s[12:13]
	s_and_saveexec_b64 s[12:13], s[10:11]
	s_cbranch_execnz .LBB99_144
.LBB99_122:
	s_or_b64 exec, exec, s[12:13]
	s_and_saveexec_b64 s[22:23], s[0:1]
	s_cbranch_execnz .LBB99_145
.LBB99_123:
	s_or_b64 exec, exec, s[22:23]
	s_and_saveexec_b64 s[12:13], vcc
	s_cbranch_execz .LBB99_125
.LBB99_124:
	s_waitcnt lgkmcnt(0)
	v_lshl_add_u32 v3, v3, 1, 2
	ds_read_u16 v3, v3
	v_mov_b32_e32 v5, 0
	s_waitcnt lgkmcnt(0)
	ds_write_b16 v5, v3
.LBB99_125:
	s_or_b64 exec, exec, s[12:13]
	s_mov_b32 s22, 0
	s_waitcnt lgkmcnt(0)
	v_mov_b32_e32 v3, 0
	s_mov_b32 s23, s22
	v_cmp_gt_i64_e64 s[12:13], s[16:17], v[2:3]
	v_pk_mov_b32 v[6:7], s[22:23], s[22:23] op_sel:[0,1]
	s_barrier
	s_and_saveexec_b64 s[22:23], s[12:13]
	s_cbranch_execz .LBB99_127
; %bb.126:
	v_add_u32_e32 v6, s19, v2
	v_mov_b32_e32 v7, v3
	v_lshlrev_b64 v[6:7], 1, v[6:7]
	v_mov_b32_e32 v5, s21
	v_add_co_u32_e64 v6, s[12:13], s20, v6
	v_addc_co_u32_e64 v7, s[12:13], v5, v7, s[12:13]
	global_load_ushort v5, v[6:7], off
	ds_read_u16 v6, v3
	s_waitcnt lgkmcnt(0)
	v_lshlrev_b32_e32 v6, 16, v6
	s_waitcnt vmcnt(0)
	v_lshlrev_b32_e32 v5, 16, v5
	v_cmp_eq_f32_e64 s[12:13], v5, v6
	v_cndmask_b32_e64 v2, 0, v2, s[12:13]
	v_pk_mov_b32 v[6:7], v[2:3], v[2:3] op_sel:[0,1]
.LBB99_127:
	s_or_b64 exec, exec, s[22:23]
	v_mov_b32_e32 v5, v3
	v_cmp_gt_i64_e64 s[12:13], s[16:17], v[4:5]
	s_and_saveexec_b64 s[16:17], s[12:13]
	s_cbranch_execz .LBB99_129
; %bb.128:
	v_add_u32_e32 v2, s19, v4
	v_mov_b32_e32 v3, 0
	v_lshlrev_b64 v[16:17], 1, v[2:3]
	v_mov_b32_e32 v2, s21
	v_add_co_u32_e64 v16, s[12:13], s20, v16
	v_addc_co_u32_e64 v17, s[12:13], v2, v17, s[12:13]
	global_load_ushort v2, v[16:17], off
	ds_read_u16 v3, v3
	s_waitcnt lgkmcnt(0)
	v_lshlrev_b32_e32 v3, 16, v3
	s_waitcnt vmcnt(0)
	v_lshlrev_b32_e32 v2, 16, v2
	v_cmp_eq_f32_e64 s[12:13], v2, v3
	v_cndmask_b32_e64 v7, 0, v4, s[12:13]
.LBB99_129:
	s_or_b64 exec, exec, s[16:17]
	v_cndmask_b32_e64 v2, 0, v6, s[2:3]
	v_cndmask_b32_e64 v3, 0, v7, s[6:7]
	v_max_u32_e32 v2, v3, v2
	ds_bpermute_b32 v3, v8, v2
	s_waitcnt lgkmcnt(0)
	s_barrier
	v_max_u32_e32 v2, v3, v2
	ds_bpermute_b32 v3, v9, v2
	s_waitcnt lgkmcnt(0)
	v_max_u32_e32 v2, v3, v2
	ds_bpermute_b32 v3, v10, v2
	s_waitcnt lgkmcnt(0)
	v_max_u32_e32 v2, v3, v2
	ds_bpermute_b32 v3, v11, v2
	s_waitcnt lgkmcnt(0)
	v_max_u32_e32 v2, v3, v2
	ds_bpermute_b32 v3, v12, v2
	s_waitcnt lgkmcnt(0)
	v_max_u32_e32 v2, v3, v2
	ds_bpermute_b32 v3, v13, v2
	s_and_saveexec_b64 s[2:3], s[8:9]
	s_cbranch_execz .LBB99_131
; %bb.130:
	v_lshrrev_b32_e32 v0, 4, v0
	v_add_u32_e32 v0, 2, v0
	s_waitcnt lgkmcnt(0)
	v_max_u32_e32 v2, v3, v2
	ds_write_b32 v0, v2
.LBB99_131:
	s_or_b64 exec, exec, s[2:3]
	v_mov_b32_e32 v0, 0
	s_waitcnt lgkmcnt(0)
	s_barrier
	s_and_saveexec_b64 s[2:3], s[10:11]
	s_cbranch_execnz .LBB99_146
; %bb.132:
	s_or_b64 exec, exec, s[2:3]
	s_and_saveexec_b64 s[2:3], s[0:1]
	s_cbranch_execnz .LBB99_147
.LBB99_133:
	s_or_b64 exec, exec, s[2:3]
	s_and_saveexec_b64 s[0:1], vcc
	s_cbranch_execnz .LBB99_148
.LBB99_134:
	s_endpgm
.LBB99_135:
	ds_read_u8 v6, v1 offset:4096
	s_andn2_b64 s[0:1], s[0:1], exec
	s_mov_b32 s6, 1
	s_waitcnt lgkmcnt(0)
	v_and_b32_e32 v6, 1, v6
	v_cmp_eq_u32_e32 vcc, 1, v6
	s_xor_b64 s[8:9], vcc, -1
	s_and_b64 s[8:9], s[8:9], exec
	s_or_b64 s[0:1], s[0:1], s[8:9]
	s_or_b64 exec, exec, s[2:3]
	v_mov_b32_e32 v6, s6
	s_and_saveexec_b64 s[2:3], s[0:1]
	s_cbranch_execz .LBB99_25
.LBB99_136:
	ds_read_u8 v6, v1 offset:5120
	s_waitcnt lgkmcnt(0)
	v_xor_b32_e32 v6, 1, v6
	s_or_b64 exec, exec, s[2:3]
	v_cmp_eq_u32_e32 vcc, 0, v6
	s_and_saveexec_b64 s[0:1], vcc
	s_cbranch_execnz .LBB99_26
	s_branch .LBB99_27
.LBB99_137:
	ds_read_u8 v7, v1 offset:4096
	s_andn2_b64 s[0:1], s[0:1], exec
	s_waitcnt lgkmcnt(0)
	v_and_b32_e32 v7, 1, v7
	v_cmp_eq_u32_e32 vcc, 1, v7
	s_xor_b64 s[8:9], vcc, -1
	s_and_b64 s[8:9], s[8:9], exec
	s_or_b64 s[0:1], s[0:1], s[8:9]
	s_or_b64 exec, exec, s[2:3]
	v_mov_b32_e32 v7, s6
	s_and_saveexec_b64 s[2:3], s[0:1]
	s_cbranch_execz .LBB99_29
.LBB99_138:
	ds_read_u8 v7, v1 offset:4608
	s_waitcnt lgkmcnt(0)
	v_xor_b32_e32 v7, 1, v7
	s_or_b64 exec, exec, s[2:3]
	v_cmp_eq_u32_e32 vcc, 0, v7
	s_and_saveexec_b64 s[0:1], vcc
	s_cbranch_execnz .LBB99_30
	s_branch .LBB99_31
.LBB99_139:
	ds_read_u8 v7, v1 offset:4096
	s_andn2_b64 s[0:1], s[0:1], exec
	s_waitcnt lgkmcnt(0)
	v_and_b32_e32 v7, 1, v7
	v_cmp_eq_u32_e32 vcc, 1, v7
	s_xor_b64 s[8:9], vcc, -1
	s_and_b64 s[8:9], s[8:9], exec
	s_or_b64 s[0:1], s[0:1], s[8:9]
	s_or_b64 exec, exec, s[2:3]
	v_mov_b32_e32 v7, s6
	s_and_saveexec_b64 s[2:3], s[0:1]
	s_cbranch_execz .LBB99_33
.LBB99_140:
	ds_read_u8 v7, v1 offset:4352
	s_waitcnt lgkmcnt(0)
	v_xor_b32_e32 v7, 1, v7
	s_or_b64 exec, exec, s[2:3]
	v_cmp_eq_u32_e32 vcc, 0, v7
	s_and_saveexec_b64 s[0:1], vcc
	s_cbranch_execnz .LBB99_34
	s_branch .LBB99_35
.LBB99_141:
	ds_read_u8 v7, v1 offset:4096
	s_andn2_b64 s[0:1], s[0:1], exec
	s_waitcnt lgkmcnt(0)
	v_and_b32_e32 v7, 1, v7
	v_cmp_eq_u32_e32 vcc, 1, v7
	s_xor_b64 s[8:9], vcc, -1
	s_and_b64 s[8:9], s[8:9], exec
	s_or_b64 s[0:1], s[0:1], s[8:9]
	s_or_b64 exec, exec, s[2:3]
	v_mov_b32_e32 v7, s6
	s_and_saveexec_b64 s[2:3], s[0:1]
	s_cbranch_execz .LBB99_37
.LBB99_142:
	ds_read_u8 v7, v1 offset:4224
	s_waitcnt lgkmcnt(0)
	v_xor_b32_e32 v7, 1, v7
	s_or_b64 exec, exec, s[2:3]
	v_cmp_eq_u32_e32 vcc, 0, v7
	s_and_saveexec_b64 s[0:1], vcc
	s_cbranch_execnz .LBB99_38
	s_branch .LBB99_39
.LBB99_143:
	ds_read_b32 v5, v14 offset:4096
	s_or_b64 exec, exec, s[12:13]
	s_and_saveexec_b64 s[12:13], s[10:11]
	s_cbranch_execz .LBB99_122
.LBB99_144:
	ds_read_b32 v3, v14 offset:4100
	s_or_b64 exec, exec, s[12:13]
	s_and_saveexec_b64 s[22:23], s[0:1]
	s_cbranch_execz .LBB99_123
.LBB99_145:
	s_waitcnt lgkmcnt(0)
	ds_bpermute_b32 v6, v8, v5
	ds_bpermute_b32 v7, v8, v3
	s_waitcnt lgkmcnt(1)
	v_max_u32_e32 v15, v6, v5
	v_cmp_gt_u32_e64 s[12:13], v6, v5
	ds_bpermute_b32 v16, v9, v15
	s_waitcnt lgkmcnt(1)
	v_cndmask_b32_e64 v3, v3, v7, s[12:13]
	ds_bpermute_b32 v5, v9, v3
	s_waitcnt lgkmcnt(1)
	v_max_u32_e32 v6, v16, v15
	v_cmp_gt_u32_e64 s[12:13], v16, v15
	ds_bpermute_b32 v7, v10, v6
	s_waitcnt lgkmcnt(1)
	v_cndmask_b32_e64 v3, v3, v5, s[12:13]
	;; [unrolled: 7-line block ×4, first 2 shown]
	ds_bpermute_b32 v5, v12, v3
	s_waitcnt lgkmcnt(1)
	v_max_u32_e32 v15, v7, v6
	v_cmp_gt_u32_e64 s[12:13], v7, v6
	s_waitcnt lgkmcnt(0)
	v_cndmask_b32_e64 v3, v3, v5, s[12:13]
	ds_bpermute_b32 v5, v13, v15
	ds_bpermute_b32 v6, v13, v3
	s_waitcnt lgkmcnt(1)
	v_cmp_gt_u32_e64 s[12:13], v5, v15
	s_waitcnt lgkmcnt(0)
	v_cndmask_b32_e64 v3, v3, v6, s[12:13]
	s_or_b64 exec, exec, s[22:23]
	s_and_saveexec_b64 s[12:13], vcc
	s_cbranch_execnz .LBB99_124
	s_branch .LBB99_125
.LBB99_146:
	v_lshlrev_b32_e32 v0, 2, v1
	v_sub_u32_e32 v0, v14, v0
	ds_read_b32 v0, v0
	s_or_b64 exec, exec, s[2:3]
	s_and_saveexec_b64 s[2:3], s[0:1]
	s_cbranch_execz .LBB99_133
.LBB99_147:
	s_waitcnt lgkmcnt(0)
	ds_bpermute_b32 v1, v8, v0
	s_waitcnt lgkmcnt(0)
	v_max_u32_e32 v0, v1, v0
	ds_bpermute_b32 v1, v9, v0
	s_waitcnt lgkmcnt(0)
	v_max_u32_e32 v0, v1, v0
	;; [unrolled: 3-line block ×6, first 2 shown]
	s_or_b64 exec, exec, s[2:3]
	s_and_saveexec_b64 s[0:1], vcc
	s_cbranch_execz .LBB99_134
.LBB99_148:
	s_load_dword s0, s[4:5], 0xd8
	s_add_u32 s2, s4, 8
	s_addc_u32 s3, s5, 0
	s_mov_b32 s1, 0
	s_waitcnt lgkmcnt(0)
	s_cmp_lt_i32 s0, 2
	s_cbranch_scc1 .LBB99_151
; %bb.149:
	s_add_i32 s6, s0, 1
	s_add_i32 s0, s0, -1
	s_lshl_b64 s[4:5], s[0:1], 2
	s_add_u32 s0, s4, s2
	s_addc_u32 s5, s5, s3
	s_add_u32 s4, s0, 8
	s_addc_u32 s5, s5, 0
.LBB99_150:                             ; =>This Inner Loop Header: Depth=1
	s_load_dword s0, s[4:5], 0x0
	s_load_dword s8, s[4:5], 0x64
	s_mov_b32 s7, s18
	s_waitcnt lgkmcnt(0)
	v_cvt_f32_u32_e32 v1, s0
	s_sub_i32 s9, 0, s0
	v_rcp_iflag_f32_e32 v1, v1
	v_mul_f32_e32 v1, 0x4f7ffffe, v1
	v_cvt_u32_f32_e32 v1, v1
	v_readfirstlane_b32 s10, v1
	s_mul_i32 s9, s9, s10
	s_mul_hi_u32 s9, s10, s9
	s_add_i32 s10, s10, s9
	s_mul_hi_u32 s9, s18, s10
	s_mul_i32 s10, s9, s0
	s_sub_i32 s10, s18, s10
	s_add_i32 s11, s9, 1
	s_sub_i32 s12, s10, s0
	s_cmp_ge_u32 s10, s0
	s_cselect_b32 s9, s11, s9
	s_cselect_b32 s10, s12, s10
	s_add_i32 s11, s9, 1
	s_cmp_ge_u32 s10, s0
	s_cselect_b32 s18, s11, s9
	s_mul_i32 s0, s18, s0
	s_sub_i32 s0, s7, s0
	s_mul_i32 s0, s8, s0
	s_add_i32 s6, s6, -1
	s_add_i32 s1, s0, s1
	s_add_u32 s4, s4, -4
	s_addc_u32 s5, s5, -1
	s_cmp_gt_u32 s6, 2
	s_cbranch_scc1 .LBB99_150
.LBB99_151:
	s_load_dword s0, s[2:3], 0x6c
	v_mov_b32_e32 v1, 0
	s_load_dwordx2 s[2:3], s[2:3], 0x0
	ds_read_u16 v2, v1
	s_mov_b32 s5, 0
	s_waitcnt lgkmcnt(0)
	s_mul_i32 s0, s0, s18
	s_add_i32 s4, s0, s1
	s_lshl_b64 s[0:1], s[4:5], 1
	s_add_u32 s0, s2, s0
	s_addc_u32 s1, s3, s1
	global_store_short v1, v2, s[0:1]
	s_lshl_b64 s[0:1], s[4:5], 3
	s_add_u32 s0, s14, s0
	s_addc_u32 s1, s15, s1
	global_store_dwordx2 v1, v[0:1], s[0:1]
	s_endpgm
	.section	.rodata,"a",@progbits
	.p2align	6, 0x0
	.amdhsa_kernel _ZN2at6native12compute_modeIN3c108BFloat16ELj2048EEEvPKT_NS_4cuda6detail10TensorInfoIS4_jEENS9_IljEEll
		.amdhsa_group_segment_fixed_size 2
		.amdhsa_private_segment_fixed_size 0
		.amdhsa_kernarg_size 712
		.amdhsa_user_sgpr_count 6
		.amdhsa_user_sgpr_private_segment_buffer 1
		.amdhsa_user_sgpr_dispatch_ptr 0
		.amdhsa_user_sgpr_queue_ptr 0
		.amdhsa_user_sgpr_kernarg_segment_ptr 1
		.amdhsa_user_sgpr_dispatch_id 0
		.amdhsa_user_sgpr_flat_scratch_init 0
		.amdhsa_user_sgpr_kernarg_preload_length 0
		.amdhsa_user_sgpr_kernarg_preload_offset 0
		.amdhsa_user_sgpr_private_segment_size 0
		.amdhsa_uses_dynamic_stack 0
		.amdhsa_system_sgpr_private_segment_wavefront_offset 0
		.amdhsa_system_sgpr_workgroup_id_x 1
		.amdhsa_system_sgpr_workgroup_id_y 1
		.amdhsa_system_sgpr_workgroup_id_z 1
		.amdhsa_system_sgpr_workgroup_info 0
		.amdhsa_system_vgpr_workitem_id 0
		.amdhsa_next_free_vgpr 28
		.amdhsa_next_free_sgpr 24
		.amdhsa_accum_offset 28
		.amdhsa_reserve_vcc 1
		.amdhsa_reserve_flat_scratch 0
		.amdhsa_float_round_mode_32 0
		.amdhsa_float_round_mode_16_64 0
		.amdhsa_float_denorm_mode_32 3
		.amdhsa_float_denorm_mode_16_64 3
		.amdhsa_dx10_clamp 1
		.amdhsa_ieee_mode 1
		.amdhsa_fp16_overflow 0
		.amdhsa_tg_split 0
		.amdhsa_exception_fp_ieee_invalid_op 0
		.amdhsa_exception_fp_denorm_src 0
		.amdhsa_exception_fp_ieee_div_zero 0
		.amdhsa_exception_fp_ieee_overflow 0
		.amdhsa_exception_fp_ieee_underflow 0
		.amdhsa_exception_fp_ieee_inexact 0
		.amdhsa_exception_int_div_zero 0
	.end_amdhsa_kernel
	.section	.text._ZN2at6native12compute_modeIN3c108BFloat16ELj2048EEEvPKT_NS_4cuda6detail10TensorInfoIS4_jEENS9_IljEEll,"axG",@progbits,_ZN2at6native12compute_modeIN3c108BFloat16ELj2048EEEvPKT_NS_4cuda6detail10TensorInfoIS4_jEENS9_IljEEll,comdat
.Lfunc_end99:
	.size	_ZN2at6native12compute_modeIN3c108BFloat16ELj2048EEEvPKT_NS_4cuda6detail10TensorInfoIS4_jEENS9_IljEEll, .Lfunc_end99-_ZN2at6native12compute_modeIN3c108BFloat16ELj2048EEEvPKT_NS_4cuda6detail10TensorInfoIS4_jEENS9_IljEEll
                                        ; -- End function
	.section	.AMDGPU.csdata,"",@progbits
; Kernel info:
; codeLenInByte = 8376
; NumSgprs: 28
; NumVgprs: 28
; NumAgprs: 0
; TotalNumVgprs: 28
; ScratchSize: 0
; MemoryBound: 0
; FloatMode: 240
; IeeeMode: 1
; LDSByteSize: 2 bytes/workgroup (compile time only)
; SGPRBlocks: 3
; VGPRBlocks: 3
; NumSGPRsForWavesPerEU: 28
; NumVGPRsForWavesPerEU: 28
; AccumOffset: 28
; Occupancy: 8
; WaveLimiterHint : 1
; COMPUTE_PGM_RSRC2:SCRATCH_EN: 0
; COMPUTE_PGM_RSRC2:USER_SGPR: 6
; COMPUTE_PGM_RSRC2:TRAP_HANDLER: 0
; COMPUTE_PGM_RSRC2:TGID_X_EN: 1
; COMPUTE_PGM_RSRC2:TGID_Y_EN: 1
; COMPUTE_PGM_RSRC2:TGID_Z_EN: 1
; COMPUTE_PGM_RSRC2:TIDIG_COMP_CNT: 0
; COMPUTE_PGM_RSRC3_GFX90A:ACCUM_OFFSET: 6
; COMPUTE_PGM_RSRC3_GFX90A:TG_SPLIT: 0
	.section	.text._ZN2at6native12compute_modeIN3c108BFloat16ELj1024EEEvPKT_NS_4cuda6detail10TensorInfoIS4_jEENS9_IljEEll,"axG",@progbits,_ZN2at6native12compute_modeIN3c108BFloat16ELj1024EEEvPKT_NS_4cuda6detail10TensorInfoIS4_jEENS9_IljEEll,comdat
	.protected	_ZN2at6native12compute_modeIN3c108BFloat16ELj1024EEEvPKT_NS_4cuda6detail10TensorInfoIS4_jEENS9_IljEEll ; -- Begin function _ZN2at6native12compute_modeIN3c108BFloat16ELj1024EEEvPKT_NS_4cuda6detail10TensorInfoIS4_jEENS9_IljEEll
	.globl	_ZN2at6native12compute_modeIN3c108BFloat16ELj1024EEEvPKT_NS_4cuda6detail10TensorInfoIS4_jEENS9_IljEEll
	.p2align	8
	.type	_ZN2at6native12compute_modeIN3c108BFloat16ELj1024EEEvPKT_NS_4cuda6detail10TensorInfoIS4_jEENS9_IljEEll,@function
_ZN2at6native12compute_modeIN3c108BFloat16ELj1024EEEvPKT_NS_4cuda6detail10TensorInfoIS4_jEENS9_IljEEll: ; @_ZN2at6native12compute_modeIN3c108BFloat16ELj1024EEEvPKT_NS_4cuda6detail10TensorInfoIS4_jEENS9_IljEEll
; %bb.0:
	s_load_dwordx4 s[16:19], s[4:5], 0x1b8
	s_load_dwordx2 s[2:3], s[4:5], 0x1c8
	s_add_u32 s0, s4, 0x1c8
	s_addc_u32 s1, s5, 0
	s_waitcnt lgkmcnt(0)
	v_mov_b32_e32 v2, s18
	s_mul_i32 s3, s3, s8
	s_add_i32 s3, s3, s7
	s_mul_i32 s2, s3, s2
	v_mov_b32_e32 v3, s19
	s_add_i32 s18, s2, s6
	s_mov_b32 s19, 0
	v_cmp_ge_i64_e32 vcc, s[18:19], v[2:3]
	s_cbranch_vccnz .LBB100_120
; %bb.1:
	s_load_dwordx2 s[20:21], s[4:5], 0x0
	s_load_dword s6, s[0:1], 0xc
	v_mov_b32_e32 v3, 0
	v_mov_b32_e32 v1, v3
	s_mul_i32 s19, s18, s16
	v_cmp_gt_i64_e32 vcc, s[16:17], v[0:1]
	s_and_saveexec_b64 s[2:3], vcc
	s_cbranch_execz .LBB100_3
; %bb.2:
	v_add_u32_e32 v2, s19, v0
	v_lshlrev_b64 v[4:5], 1, v[2:3]
	s_waitcnt lgkmcnt(0)
	v_mov_b32_e32 v1, s21
	v_add_co_u32_e64 v4, s[0:1], s20, v4
	v_addc_co_u32_e64 v5, s[0:1], v1, v5, s[0:1]
	global_load_ushort v1, v[4:5], off
	v_lshl_add_u32 v2, v0, 1, 2
	s_waitcnt vmcnt(0)
	ds_write_b16 v2, v1
.LBB100_3:
	s_or_b64 exec, exec, s[2:3]
	s_load_dwordx2 s[14:15], s[4:5], 0xe0
	s_waitcnt lgkmcnt(0)
	s_and_b32 s22, 0xffff, s6
	v_add_u32_e32 v2, s22, v0
	v_cmp_gt_i64_e64 s[0:1], s[16:17], v[2:3]
	s_and_saveexec_b64 s[6:7], s[0:1]
	s_cbranch_execz .LBB100_5
; %bb.4:
	v_add_u32_e32 v4, s19, v2
	v_mov_b32_e32 v5, 0
	v_lshlrev_b64 v[4:5], 1, v[4:5]
	v_mov_b32_e32 v1, s21
	v_add_co_u32_e64 v4, s[2:3], s20, v4
	v_addc_co_u32_e64 v5, s[2:3], v1, v5, s[2:3]
	global_load_ushort v1, v[4:5], off
	v_lshl_add_u32 v2, v2, 1, 2
	s_waitcnt vmcnt(0)
	ds_write_b16 v2, v1
.LBB100_5:
	s_or_b64 exec, exec, s[6:7]
	v_add_u32_e32 v1, 2, v0
	v_cndmask_b32_e64 v2, 0, 1, vcc
	ds_write_b8 v1, v2 offset:2048
	v_add_u32_e32 v1, s22, v1
	v_cndmask_b32_e64 v2, 0, 1, s[0:1]
	s_mov_b32 s6, 2
	ds_write_b8 v1, v2 offset:2048
	v_lshlrev_b32_e32 v2, 1, v0
	s_waitcnt lgkmcnt(0)
	s_barrier
	s_branch .LBB100_7
.LBB100_6:                              ;   in Loop: Header=BB100_7 Depth=1
	s_lshl_b32 s0, s6, 1
	s_cmpk_gt_u32 s6, 0x1ff
	s_mov_b32 s6, s0
	s_cbranch_scc1 .LBB100_15
.LBB100_7:                              ; =>This Loop Header: Depth=1
                                        ;     Child Loop BB100_9 Depth 2
	s_lshr_b32 s7, s6, 1
	v_and_b32_e32 v1, s7, v0
	v_cmp_ne_u32_e32 vcc, 0, v1
	v_cndmask_b32_e64 v1, 0, 1, vcc
	s_branch .LBB100_9
.LBB100_8:                              ;   in Loop: Header=BB100_9 Depth=2
	s_or_b64 exec, exec, s[0:1]
	s_lshr_b32 s0, s7, 1
	s_cmp_lt_u32 s7, 2
	s_mov_b32 s7, s0
	s_cbranch_scc1 .LBB100_6
.LBB100_9:                              ;   Parent Loop BB100_7 Depth=1
                                        ; =>  This Inner Loop Header: Depth=2
	s_add_i32 s0, s7, -1
	v_and_b32_e32 v3, s0, v0
	v_sub_u32_e32 v6, v2, v3
	v_lshl_add_u32 v3, v6, 1, 2
	s_barrier
	v_lshl_add_u32 v4, s7, 1, v3
	ds_read_u16 v5, v3
	ds_read_u16 v7, v4
	v_add_u32_e32 v6, 2, v6
                                        ; implicit-def: $sgpr8
	s_waitcnt lgkmcnt(1)
	v_lshlrev_b32_e32 v8, 16, v5
	s_waitcnt lgkmcnt(0)
	v_lshlrev_b32_e32 v9, 16, v7
	v_cmp_nlt_f32_e64 s[0:1], v8, v9
	v_cmp_lt_f32_e32 vcc, v8, v9
	s_and_saveexec_b64 s[2:3], vcc
	s_cbranch_execz .LBB100_11
; %bb.10:                               ;   in Loop: Header=BB100_9 Depth=2
	ds_read_u8 v8, v6 offset:2048
	s_andn2_b64 s[0:1], s[0:1], exec
	s_mov_b32 s8, 1
	s_waitcnt lgkmcnt(0)
	v_and_b32_e32 v8, 1, v8
	v_cmp_eq_u32_e32 vcc, 1, v8
	s_xor_b64 s[10:11], vcc, -1
	s_and_b64 s[10:11], s[10:11], exec
	s_or_b64 s[0:1], s[0:1], s[10:11]
.LBB100_11:                             ;   in Loop: Header=BB100_9 Depth=2
	s_or_b64 exec, exec, s[2:3]
	v_mov_b32_e32 v9, s8
	v_add_u32_e32 v8, s7, v6
	s_and_saveexec_b64 s[2:3], s[0:1]
	s_cbranch_execz .LBB100_13
; %bb.12:                               ;   in Loop: Header=BB100_9 Depth=2
	ds_read_u8 v9, v8 offset:2048
	s_waitcnt lgkmcnt(0)
	v_xor_b32_e32 v9, 1, v9
.LBB100_13:                             ;   in Loop: Header=BB100_9 Depth=2
	s_or_b64 exec, exec, s[2:3]
	v_cmp_eq_u32_e32 vcc, v9, v1
	s_and_saveexec_b64 s[0:1], vcc
	s_cbranch_execz .LBB100_8
; %bb.14:                               ;   in Loop: Header=BB100_9 Depth=2
	ds_read_u8 v9, v8 offset:2048
	ds_read_u8 v10, v6 offset:2048
	ds_write_b16 v3, v7
	ds_write_b16 v4, v5
	s_waitcnt lgkmcnt(3)
	ds_write_b8 v6, v9 offset:2048
	s_waitcnt lgkmcnt(3)
	ds_write_b8 v8, v10 offset:2048
	s_branch .LBB100_8
.LBB100_15:
	v_and_b32_e32 v1, 0x1ff, v0
	v_sub_u32_e32 v4, v2, v1
	v_add_u32_e32 v1, 2, v4
	v_lshl_add_u32 v3, v4, 1, 2
	v_add_u32_e32 v4, v1, v4
	s_waitcnt lgkmcnt(0)
	s_barrier
	ds_read_u16 v6, v4 offset:1024
	ds_read_u16 v5, v3
	s_mov_b32 s6, 1
	s_waitcnt lgkmcnt(1)
	v_lshlrev_b32_e32 v7, 16, v6
	s_waitcnt lgkmcnt(0)
	v_lshlrev_b32_e32 v8, 16, v5
	v_cmp_nlt_f32_e64 s[0:1], v8, v7
	v_cmp_lt_f32_e32 vcc, v8, v7
	s_and_saveexec_b64 s[2:3], vcc
	s_cbranch_execnz .LBB100_121
; %bb.16:
	s_or_b64 exec, exec, s[2:3]
	v_mov_b32_e32 v7, s6
	s_and_saveexec_b64 s[2:3], s[0:1]
	s_cbranch_execnz .LBB100_122
.LBB100_17:
	s_or_b64 exec, exec, s[2:3]
	v_cmp_eq_u32_e32 vcc, 0, v7
	s_and_saveexec_b64 s[0:1], vcc
	s_cbranch_execz .LBB100_19
.LBB100_18:
	ds_read_u8 v7, v1 offset:2560
	ds_read_u8 v8, v1 offset:2048
	ds_write_b16 v3, v6
	ds_write_b16 v4, v5 offset:1024
	s_waitcnt lgkmcnt(3)
	ds_write_b8 v1, v7 offset:2048
	s_waitcnt lgkmcnt(3)
	ds_write_b8 v1, v8 offset:2560
.LBB100_19:
	s_or_b64 exec, exec, s[0:1]
	v_sub_u32_sdwa v4, v2, v0 dst_sel:DWORD dst_unused:UNUSED_PAD src0_sel:DWORD src1_sel:BYTE_0
	v_add_u32_e32 v1, 2, v4
	v_lshl_add_u32 v3, v4, 1, 2
	v_add_u32_e32 v4, v1, v4
	s_waitcnt lgkmcnt(0)
	s_barrier
	ds_read_u16 v6, v4 offset:512
	ds_read_u16 v5, v3
	s_waitcnt lgkmcnt(1)
	v_lshlrev_b32_e32 v7, 16, v6
	s_waitcnt lgkmcnt(0)
	v_lshlrev_b32_e32 v8, 16, v5
	v_cmp_nlt_f32_e64 s[0:1], v8, v7
	v_cmp_lt_f32_e32 vcc, v8, v7
	s_and_saveexec_b64 s[2:3], vcc
	s_cbranch_execnz .LBB100_123
; %bb.20:
	s_or_b64 exec, exec, s[2:3]
	v_mov_b32_e32 v7, s6
	s_and_saveexec_b64 s[2:3], s[0:1]
	s_cbranch_execnz .LBB100_124
.LBB100_21:
	s_or_b64 exec, exec, s[2:3]
	v_cmp_eq_u32_e32 vcc, 0, v7
	s_and_saveexec_b64 s[0:1], vcc
	s_cbranch_execz .LBB100_23
.LBB100_22:
	ds_read_u8 v7, v1 offset:2304
	ds_read_u8 v8, v1 offset:2048
	ds_write_b16 v3, v6
	ds_write_b16 v4, v5 offset:512
	s_waitcnt lgkmcnt(3)
	ds_write_b8 v1, v7 offset:2048
	s_waitcnt lgkmcnt(3)
	ds_write_b8 v1, v8 offset:2304
.LBB100_23:
	s_or_b64 exec, exec, s[0:1]
	v_and_b32_e32 v1, 0x7f, v0
	v_sub_u32_e32 v4, v2, v1
	v_add_u32_e32 v1, 2, v4
	v_lshl_add_u32 v3, v4, 1, 2
	v_add_u32_e32 v4, v1, v4
	s_waitcnt lgkmcnt(0)
	s_barrier
	ds_read_u16 v6, v4 offset:256
	ds_read_u16 v5, v3
	s_waitcnt lgkmcnt(1)
	v_lshlrev_b32_e32 v7, 16, v6
	s_waitcnt lgkmcnt(0)
	v_lshlrev_b32_e32 v8, 16, v5
	v_cmp_nlt_f32_e64 s[0:1], v8, v7
	v_cmp_lt_f32_e32 vcc, v8, v7
	s_and_saveexec_b64 s[2:3], vcc
	s_cbranch_execnz .LBB100_125
; %bb.24:
	s_or_b64 exec, exec, s[2:3]
	v_mov_b32_e32 v7, s6
	s_and_saveexec_b64 s[2:3], s[0:1]
	s_cbranch_execnz .LBB100_126
.LBB100_25:
	s_or_b64 exec, exec, s[2:3]
	v_cmp_eq_u32_e32 vcc, 0, v7
	s_and_saveexec_b64 s[0:1], vcc
	s_cbranch_execz .LBB100_27
.LBB100_26:
	ds_read_u8 v7, v1 offset:2176
	ds_read_u8 v8, v1 offset:2048
	ds_write_b16 v3, v6
	ds_write_b16 v4, v5 offset:256
	s_waitcnt lgkmcnt(3)
	ds_write_b8 v1, v7 offset:2048
	s_waitcnt lgkmcnt(3)
	ds_write_b8 v1, v8 offset:2176
.LBB100_27:
	s_or_b64 exec, exec, s[0:1]
	v_and_b32_e32 v1, 63, v0
	v_sub_u32_e32 v5, v2, v1
	v_add_u32_e32 v3, 2, v5
	v_lshl_add_u32 v4, v5, 1, 2
	v_add_u32_e32 v5, v3, v5
	s_waitcnt lgkmcnt(0)
	s_barrier
	ds_read_u16 v7, v5 offset:128
	ds_read_u16 v6, v4
	s_waitcnt lgkmcnt(1)
	v_lshlrev_b32_e32 v8, 16, v7
	s_waitcnt lgkmcnt(0)
	v_lshlrev_b32_e32 v9, 16, v6
	v_cmp_nlt_f32_e64 s[2:3], v9, v8
	v_cmp_lt_f32_e32 vcc, v9, v8
	s_and_saveexec_b64 s[0:1], vcc
	s_cbranch_execz .LBB100_29
; %bb.28:
	ds_read_u8 v8, v3 offset:2048
	s_andn2_b64 s[2:3], s[2:3], exec
	s_waitcnt lgkmcnt(0)
	v_and_b32_e32 v8, 1, v8
	v_cmp_eq_u32_e32 vcc, 1, v8
	s_xor_b64 s[6:7], vcc, -1
	s_and_b64 s[6:7], s[6:7], exec
	s_or_b64 s[2:3], s[2:3], s[6:7]
.LBB100_29:
	s_or_b64 exec, exec, s[0:1]
	s_and_saveexec_b64 s[0:1], s[2:3]
	s_cbranch_execz .LBB100_32
; %bb.30:
	ds_read_u8 v8, v3 offset:2112
	s_waitcnt lgkmcnt(0)
	v_cmp_ne_u16_e32 vcc, 0, v8
	s_and_b64 exec, exec, vcc
	s_cbranch_execz .LBB100_32
; %bb.31:
	ds_read_u8 v9, v3 offset:2048
	ds_write_b16 v4, v7
	ds_write_b16 v5, v6 offset:128
	ds_write_b8 v3, v8 offset:2048
	s_waitcnt lgkmcnt(3)
	ds_write_b8 v3, v9 offset:2112
.LBB100_32:
	s_or_b64 exec, exec, s[0:1]
	v_and_b32_e32 v3, 31, v0
	v_sub_u32_e32 v5, v2, v3
	v_add_u32_e32 v3, 2, v5
	v_lshl_add_u32 v4, v5, 1, 2
	v_add_u32_e32 v5, v3, v5
	s_waitcnt lgkmcnt(0)
	s_barrier
	ds_read_u16 v7, v5 offset:64
	ds_read_u16 v6, v4
	s_waitcnt lgkmcnt(1)
	v_lshlrev_b32_e32 v8, 16, v7
	s_waitcnt lgkmcnt(0)
	v_lshlrev_b32_e32 v9, 16, v6
	v_cmp_nlt_f32_e64 s[2:3], v9, v8
	v_cmp_lt_f32_e32 vcc, v9, v8
	s_and_saveexec_b64 s[0:1], vcc
	s_cbranch_execz .LBB100_34
; %bb.33:
	ds_read_u8 v8, v3 offset:2048
	s_andn2_b64 s[2:3], s[2:3], exec
	s_waitcnt lgkmcnt(0)
	v_and_b32_e32 v8, 1, v8
	v_cmp_eq_u32_e32 vcc, 1, v8
	s_xor_b64 s[6:7], vcc, -1
	s_and_b64 s[6:7], s[6:7], exec
	s_or_b64 s[2:3], s[2:3], s[6:7]
.LBB100_34:
	s_or_b64 exec, exec, s[0:1]
	s_and_saveexec_b64 s[0:1], s[2:3]
	s_cbranch_execz .LBB100_37
; %bb.35:
	ds_read_u8 v8, v3 offset:2080
	s_waitcnt lgkmcnt(0)
	v_cmp_ne_u16_e32 vcc, 0, v8
	s_and_b64 exec, exec, vcc
	s_cbranch_execz .LBB100_37
; %bb.36:
	ds_read_u8 v9, v3 offset:2048
	ds_write_b16 v4, v7
	ds_write_b16 v5, v6 offset:64
	ds_write_b8 v3, v8 offset:2048
	s_waitcnt lgkmcnt(3)
	ds_write_b8 v3, v9 offset:2080
.LBB100_37:
	;; [unrolled: 45-line block ×6, first 2 shown]
	s_or_b64 exec, exec, s[0:1]
	v_lshl_add_u32 v3, v2, 1, 2
	s_waitcnt lgkmcnt(0)
	s_barrier
	ds_read_b32 v6, v3
	v_sub_u32_e32 v4, v3, v2
	s_add_i32 s10, 2, 0x800
	s_waitcnt lgkmcnt(0)
	v_and_b32_e32 v5, 0xffff0000, v6
	v_lshlrev_b32_e32 v7, 16, v6
	v_cmp_nlt_f32_e64 s[2:3], v7, v5
	v_cmp_lt_f32_e32 vcc, v7, v5
	s_and_saveexec_b64 s[0:1], vcc
	s_cbranch_execz .LBB100_59
; %bb.58:
	ds_read_u8 v5, v4 offset:2048
	s_andn2_b64 s[2:3], s[2:3], exec
	s_waitcnt lgkmcnt(0)
	v_and_b32_e32 v5, 1, v5
	v_cmp_eq_u32_e32 vcc, 1, v5
	s_xor_b64 s[6:7], vcc, -1
	s_and_b64 s[6:7], s[6:7], exec
	s_or_b64 s[2:3], s[2:3], s[6:7]
.LBB100_59:
	s_or_b64 exec, exec, s[0:1]
	v_add_u32_e32 v5, s10, v2
	s_and_saveexec_b64 s[0:1], s[2:3]
	s_cbranch_execz .LBB100_62
; %bb.60:
	ds_read_u8 v7, v5 offset:1
	s_waitcnt lgkmcnt(0)
	v_cmp_ne_u16_e32 vcc, 0, v7
	s_and_b64 exec, exec, vcc
	s_cbranch_execz .LBB100_62
; %bb.61:
	ds_read_u8 v8, v4 offset:2048
	v_alignbit_b32 v6, v6, v6, 16
	ds_write_b32 v3, v6
	ds_write_b8 v4, v7 offset:2048
	s_waitcnt lgkmcnt(2)
	ds_write_b8 v5, v8 offset:1
.LBB100_62:
	s_or_b64 exec, exec, s[0:1]
	v_cmp_eq_u32_e32 vcc, 0, v0
	s_waitcnt lgkmcnt(0)
	s_barrier
	s_barrier
	s_and_saveexec_b64 s[0:1], vcc
	s_cbranch_execz .LBB100_64
; %bb.63:
	v_mov_b32_e32 v6, 2
	v_mov_b32_e32 v7, 1
	ds_write_b8 v6, v7 offset:2052
	v_mov_b32_e32 v7, 0
	ds_write_b32 v6, v7 offset:2048
.LBB100_64:
	s_or_b64 exec, exec, s[0:1]
	ds_read_b32 v3, v3
	v_mul_u32_u24_e32 v6, 14, v0
	v_mad_u32_u24 v8, v0, 14, v5
	s_waitcnt lgkmcnt(0)
	v_and_b32_e32 v7, 0xffff0000, v3
	v_lshlrev_b32_e32 v3, 16, v3
	v_cmp_neq_f32_e64 s[0:1], v3, v7
	v_cndmask_b32_e64 v9, 0, 1, s[0:1]
	v_cmp_eq_f32_e64 s[0:1], v3, v7
	v_cndmask_b32_e64 v3, 0, 1, s[0:1]
	s_movk_i32 s0, 0x1ff
	ds_write_b32 v8, v3 offset:8
	v_cmp_gt_u32_e64 s[2:3], s0, v0
	v_add_u32_e32 v3, v5, v6
	ds_write_b8 v8, v9 offset:12
	s_and_saveexec_b64 s[6:7], s[2:3]
	s_cbranch_execz .LBB100_66
; %bb.65:
	v_add_u32_e32 v5, v4, v2
	ds_read_u16 v5, v5 offset:4
	s_waitcnt lgkmcnt(0)
	v_lshlrev_b32_e32 v5, 16, v5
	v_cmp_neq_f32_e64 s[0:1], v7, v5
	v_cndmask_b32_e64 v8, 0, 1, s[0:1]
	v_cmp_eq_f32_e64 s[0:1], v7, v5
	v_cndmask_b32_e64 v5, 0, 1, s[0:1]
	ds_write_b8 v3, v8 offset:20
	ds_write_b32 v3, v5 offset:16
.LBB100_66:
	s_or_b64 exec, exec, s[6:7]
	s_movk_i32 s0, 0x200
	v_cmp_gt_u32_e64 s[0:1], s0, v0
	s_waitcnt lgkmcnt(0)
	s_barrier
	s_and_saveexec_b64 s[6:7], s[0:1]
	s_cbranch_execz .LBB100_68
; %bb.67:
	ds_read_u8 v5, v3 offset:12
	v_add_u32_e32 v4, v4, v6
	ds_read_b32 v6, v4 offset:2048
	ds_read_b32 v7, v3 offset:8
	ds_read_u8 v4, v4 offset:2052
	s_waitcnt lgkmcnt(3)
	v_and_b32_e32 v8, 1, v5
	v_cmp_eq_u32_e64 s[0:1], 1, v8
	s_waitcnt lgkmcnt(2)
	v_cndmask_b32_e64 v6, v6, 0, s[0:1]
	s_waitcnt lgkmcnt(0)
	v_or_b32_e32 v4, v4, v5
	v_add_u32_e32 v6, v6, v7
	v_and_b32_e32 v4, 1, v4
	ds_write2_b32 v3, v6, v4 offset0:2 offset1:3
.LBB100_68:
	s_or_b64 exec, exec, s[6:7]
	v_add_u32_e32 v13, 2, v2
	v_lshlrev_b32_e32 v4, 1, v13
	s_movk_i32 s0, 0x100
	v_add_u32_e32 v5, -1, v4
	v_cmp_gt_u32_e64 s[0:1], s0, v0
	s_waitcnt lgkmcnt(0)
	s_barrier
	s_and_saveexec_b64 s[6:7], s[0:1]
	s_cbranch_execz .LBB100_70
; %bb.69:
	v_lshl_add_u32 v6, v5, 3, 2
	ds_read_b32 v7, v6 offset:2048
	ds_read_u8 v8, v6 offset:2052
	v_lshl_add_u32 v9, v4, 3, 2
	ds_read_b32 v10, v9 offset:2024
	ds_read_u8 v9, v9 offset:2028
	v_add_u32_e32 v6, 0x800, v6
	s_waitcnt lgkmcnt(2)
	v_and_b32_e32 v11, 1, v8
	v_cmp_eq_u32_e64 s[0:1], 1, v11
	s_waitcnt lgkmcnt(1)
	v_cndmask_b32_e64 v10, v10, 0, s[0:1]
	s_waitcnt lgkmcnt(0)
	v_or_b32_e32 v8, v9, v8
	v_add_u32_e32 v7, v10, v7
	v_and_b32_e32 v8, 1, v8
	ds_write2_b32 v6, v7, v8 offset1:1
.LBB100_70:
	s_or_b64 exec, exec, s[6:7]
	s_movk_i32 s0, 0x80
	v_lshlrev_b32_e32 v6, 2, v13
	v_add_u32_e32 v5, v5, v4
	v_cmp_gt_u32_e64 s[0:1], s0, v0
	s_waitcnt lgkmcnt(0)
	s_barrier
	s_and_saveexec_b64 s[6:7], s[0:1]
	s_cbranch_execz .LBB100_72
; %bb.71:
	v_lshl_add_u32 v7, v5, 3, 2
	ds_read_b32 v8, v7 offset:2048
	ds_read_u8 v9, v7 offset:2052
	v_lshl_add_u32 v10, v6, 3, 2
	ds_read_b32 v11, v10 offset:2008
	ds_read_u8 v10, v10 offset:2012
	v_add_u32_e32 v7, 0x800, v7
	s_waitcnt lgkmcnt(2)
	v_and_b32_e32 v12, 1, v9
	v_cmp_eq_u32_e64 s[0:1], 1, v12
	s_waitcnt lgkmcnt(1)
	v_cndmask_b32_e64 v11, v11, 0, s[0:1]
	s_waitcnt lgkmcnt(0)
	v_or_b32_e32 v9, v10, v9
	v_add_u32_e32 v8, v11, v8
	v_and_b32_e32 v9, 1, v9
	ds_write2_b32 v7, v8, v9 offset1:1
.LBB100_72:
	s_or_b64 exec, exec, s[6:7]
	v_lshlrev_b32_e32 v8, 3, v13
	v_add_u32_e32 v7, v5, v6
	v_cmp_gt_u32_e64 s[0:1], 64, v0
	s_waitcnt lgkmcnt(0)
	s_barrier
	s_and_saveexec_b64 s[8:9], s[0:1]
	s_cbranch_execz .LBB100_74
; %bb.73:
	v_lshl_add_u32 v9, v7, 3, 2
	ds_read_b32 v10, v9 offset:2048
	ds_read_u8 v11, v9 offset:2052
	v_lshl_add_u32 v12, v8, 3, 2
	ds_read_b32 v14, v12 offset:1976
	ds_read_u8 v12, v12 offset:1980
	v_add_u32_e32 v9, 0x800, v9
	s_waitcnt lgkmcnt(2)
	v_and_b32_e32 v15, 1, v11
	v_cmp_eq_u32_e64 s[6:7], 1, v15
	s_waitcnt lgkmcnt(1)
	v_cndmask_b32_e64 v14, v14, 0, s[6:7]
	s_waitcnt lgkmcnt(0)
	v_or_b32_e32 v11, v12, v11
	v_add_u32_e32 v10, v14, v10
	v_and_b32_e32 v11, 1, v11
	ds_write2_b32 v9, v10, v11 offset1:1
.LBB100_74:
	s_or_b64 exec, exec, s[8:9]
	;; [unrolled: 27-line block ×6, first 2 shown]
	v_add_u32_e32 v18, v16, v17
	v_cmp_gt_u32_e64 s[6:7], 2, v0
	v_lshl_add_u32 v18, v18, 3, 2
	s_waitcnt lgkmcnt(0)
	s_barrier
	s_and_saveexec_b64 s[8:9], s[6:7]
	s_cbranch_execz .LBB100_84
; %bb.83:
	v_lshl_add_u32 v13, v13, 11, 2
	v_add_u32_e32 v20, -8, v13
	ds_read_u8 v21, v18 offset:2052
	ds_read_b32 v20, v20
	v_add_u32_e32 v13, -4, v13
	ds_read_b32 v22, v18 offset:2048
	ds_read_u8 v13, v13
	v_add_u32_e32 v19, 0x800, v18
	s_waitcnt lgkmcnt(3)
	v_and_b32_e32 v23, 1, v21
	v_cmp_eq_u32_e64 s[6:7], 1, v23
	s_waitcnt lgkmcnt(2)
	v_cndmask_b32_e64 v20, v20, 0, s[6:7]
	s_waitcnt lgkmcnt(0)
	v_or_b32_e32 v13, v13, v21
	v_add_u32_e32 v20, v20, v22
	v_and_b32_e32 v13, 1, v13
	ds_write2_b32 v19, v20, v13 offset1:1
.LBB100_84:
	s_or_b64 exec, exec, s[8:9]
	s_waitcnt lgkmcnt(0)
	s_barrier
	s_and_saveexec_b64 s[8:9], vcc
	s_cbranch_execz .LBB100_86
; %bb.85:
	v_mov_b32_e32 v13, 2
	s_movk_i32 s6, 0xf8
	ds_read_u8 v19, v13 offset:10236
	v_add_u32_e64 v20, s6, 2
	ds_read2st64_b32 v[20:21], v20 offset0:23 offset1:39
	ds_read_u8 v13, v13 offset:6140
	s_add_i32 s11, 2, 0x27f8
	s_waitcnt lgkmcnt(2)
	v_and_b32_e32 v22, 1, v19
	v_cmp_eq_u32_e64 s[6:7], 1, v22
	s_waitcnt lgkmcnt(1)
	v_cndmask_b32_e64 v20, v20, 0, s[6:7]
	s_waitcnt lgkmcnt(0)
	v_or_b32_e32 v13, v13, v19
	v_add_u32_e32 v20, v20, v21
	v_and_b32_e32 v13, 1, v13
	v_mov_b32_e32 v19, s11
	ds_write2_b32 v19, v20, v13 offset1:1
.LBB100_86:
	s_or_b64 exec, exec, s[8:9]
	s_waitcnt lgkmcnt(0)
	s_barrier
	s_and_saveexec_b64 s[8:9], vcc
	s_cbranch_execz .LBB100_88
; %bb.87:
	v_mov_b32_e32 v13, 2
	ds_read_u8 v19, v13 offset:8188
	ds_read_b32 v13, v13 offset:8184
	ds_read_b32 v20, v18 offset:2048
	ds_read_u8 v18, v18 offset:2052
	s_add_i32 s11, 2, 0x1ff8
	s_waitcnt lgkmcnt(3)
	v_and_b32_e32 v21, 1, v19
	v_cmp_eq_u32_e64 s[6:7], 1, v21
	s_waitcnt lgkmcnt(1)
	v_cndmask_b32_e64 v20, v20, 0, s[6:7]
	s_waitcnt lgkmcnt(0)
	v_or_b32_e32 v18, v18, v19
	v_add_u32_e32 v13, v20, v13
	v_and_b32_e32 v18, 1, v18
	v_mov_b32_e32 v19, s11
	ds_write2_b32 v19, v13, v18 offset1:1
.LBB100_88:
	s_or_b64 exec, exec, s[8:9]
	v_cmp_gt_u32_e64 s[6:7], 3, v0
	s_waitcnt lgkmcnt(0)
	s_barrier
	s_and_saveexec_b64 s[8:9], s[6:7]
	s_cbranch_execz .LBB100_90
; %bb.89:
	v_lshl_add_u32 v13, v17, 3, s10
	ds_read_u8 v17, v13 offset:1020
	v_lshl_add_u32 v16, v16, 3, s10
	ds_read_b32 v18, v16
	ds_read_b32 v19, v13 offset:1016
	ds_read_u8 v16, v16 offset:4
	s_waitcnt lgkmcnt(3)
	v_and_b32_e32 v20, 1, v17
	v_cmp_eq_u32_e64 s[6:7], 1, v20
	s_waitcnt lgkmcnt(2)
	v_cndmask_b32_e64 v18, v18, 0, s[6:7]
	s_waitcnt lgkmcnt(0)
	v_or_b32_e32 v16, v16, v17
	v_add_u32_e32 v18, v18, v19
	v_and_b32_e32 v16, 1, v16
	ds_write2_b32 v13, v18, v16 offset0:254 offset1:255
.LBB100_90:
	s_or_b64 exec, exec, s[8:9]
	v_cmp_gt_u32_e64 s[6:7], 7, v0
	s_waitcnt lgkmcnt(0)
	s_barrier
	s_and_saveexec_b64 s[8:9], s[6:7]
	s_cbranch_execz .LBB100_92
; %bb.91:
	v_lshl_add_u32 v13, v15, 3, s10
	ds_read_u8 v15, v13 offset:508
	v_lshl_add_u32 v14, v14, 3, s10
	ds_read_b32 v16, v14
	ds_read_b32 v17, v13 offset:504
	ds_read_u8 v14, v14 offset:4
	s_waitcnt lgkmcnt(3)
	v_and_b32_e32 v18, 1, v15
	v_cmp_eq_u32_e64 s[6:7], 1, v18
	s_waitcnt lgkmcnt(2)
	v_cndmask_b32_e64 v16, v16, 0, s[6:7]
	s_waitcnt lgkmcnt(0)
	v_or_b32_e32 v14, v14, v15
	v_add_u32_e32 v16, v16, v17
	v_and_b32_e32 v14, 1, v14
	ds_write2_b32 v13, v16, v14 offset0:126 offset1:127
.LBB100_92:
	;; [unrolled: 24-line block ×5, first 2 shown]
	s_or_b64 exec, exec, s[8:9]
	s_movk_i32 s6, 0x7f
	v_cmp_gt_u32_e64 s[6:7], s6, v0
	s_waitcnt lgkmcnt(0)
	s_barrier
	s_and_saveexec_b64 s[8:9], s[6:7]
	s_cbranch_execz .LBB100_100
; %bb.99:
	v_lshl_add_u32 v6, v6, 3, s10
	ds_read_u8 v7, v6 offset:28
	v_lshl_add_u32 v5, v5, 3, s10
	ds_read_b32 v8, v5
	ds_read_b32 v9, v6 offset:24
	ds_read_u8 v5, v5 offset:4
	s_waitcnt lgkmcnt(3)
	v_and_b32_e32 v10, 1, v7
	v_cmp_eq_u32_e64 s[6:7], 1, v10
	s_waitcnt lgkmcnt(2)
	v_cndmask_b32_e64 v8, v8, 0, s[6:7]
	s_waitcnt lgkmcnt(0)
	v_or_b32_e32 v5, v5, v7
	v_add_u32_e32 v8, v8, v9
	v_and_b32_e32 v5, 1, v5
	ds_write2_b32 v6, v8, v5 offset0:6 offset1:7
.LBB100_100:
	s_or_b64 exec, exec, s[8:9]
	s_movk_i32 s6, 0xff
	v_cmp_gt_u32_e64 s[6:7], s6, v0
	s_waitcnt lgkmcnt(0)
	s_barrier
	s_and_saveexec_b64 s[8:9], s[6:7]
	s_cbranch_execz .LBB100_102
; %bb.101:
	v_lshl_add_u32 v4, v4, 3, s10
	ds_read_u8 v5, v4 offset:12
	v_add_u32_e32 v6, -8, v4
	ds_read_b32 v7, v6
	ds_read_b32 v8, v4 offset:8
	ds_read_u8 v6, v6 offset:4
	s_waitcnt lgkmcnt(3)
	v_and_b32_e32 v9, 1, v5
	v_cmp_eq_u32_e64 s[6:7], 1, v9
	s_waitcnt lgkmcnt(2)
	v_cndmask_b32_e64 v7, v7, 0, s[6:7]
	s_waitcnt lgkmcnt(0)
	v_or_b32_e32 v5, v6, v5
	v_add_u32_e32 v7, v7, v8
	v_and_b32_e32 v5, 1, v5
	ds_write2_b32 v4, v7, v5 offset0:2 offset1:3
.LBB100_102:
	s_or_b64 exec, exec, s[8:9]
	s_waitcnt lgkmcnt(0)
	s_barrier
	s_and_saveexec_b64 s[6:7], s[2:3]
	s_cbranch_execz .LBB100_104
; %bb.103:
	v_lshl_add_u32 v4, v2, 3, s10
	ds_read_u8 v5, v4 offset:20
	ds_read_b32 v6, v3 offset:8
	ds_read_b32 v7, v4 offset:16
	ds_read_u8 v8, v3 offset:12
	s_waitcnt lgkmcnt(3)
	v_and_b32_e32 v9, 1, v5
	v_cmp_eq_u32_e64 s[2:3], 1, v9
	s_waitcnt lgkmcnt(2)
	v_cndmask_b32_e64 v6, v6, 0, s[2:3]
	s_waitcnt lgkmcnt(0)
	v_or_b32_e32 v5, v8, v5
	v_add_u32_e32 v6, v6, v7
	v_and_b32_e32 v5, 1, v5
	ds_write2_b32 v4, v6, v5 offset0:4 offset1:5
.LBB100_104:
	s_or_b64 exec, exec, s[6:7]
	v_lshl_add_u32 v4, v2, 3, 2
	s_waitcnt lgkmcnt(0)
	s_barrier
	ds_read_b32 v5, v4 offset:2048
	ds_read_b32 v3, v3 offset:8
	v_mbcnt_lo_u32_b32 v8, -1, 0
	v_mbcnt_hi_u32_b32 v13, -1, v8
	v_and_b32_e32 v14, 63, v13
	v_or_b32_e32 v4, 1, v2
	v_cmp_gt_u32_e64 s[8:9], 32, v14
	v_cmp_gt_u32_e64 s[2:3], s16, v2
	;; [unrolled: 1-line block ×3, first 2 shown]
	v_cndmask_b32_e64 v8, 0, 1, s[8:9]
	s_waitcnt lgkmcnt(1)
	v_cndmask_b32_e64 v5, 0, v5, s[2:3]
	s_waitcnt lgkmcnt(0)
	v_cndmask_b32_e64 v3, 0, v3, s[6:7]
	v_lshlrev_b32_e32 v8, 5, v8
	v_cndmask_b32_e64 v6, 0, v2, s[2:3]
	v_max_u32_e32 v7, v3, v5
	v_add_lshl_u32 v8, v8, v13, 2
	v_cndmask_b32_e64 v9, 0, v4, s[6:7]
	v_cmp_gt_u32_e64 s[8:9], v3, v5
	ds_bpermute_b32 v10, v8, v7
	v_cndmask_b32_e64 v3, v6, v9, s[8:9]
	ds_bpermute_b32 v5, v8, v3
	v_cmp_gt_u32_e64 s[8:9], 48, v14
	v_cndmask_b32_e64 v9, 0, 1, s[8:9]
	v_lshlrev_b32_e32 v9, 4, v9
	s_waitcnt lgkmcnt(1)
	v_max_u32_e32 v6, v10, v7
	v_add_lshl_u32 v9, v9, v13, 2
	v_cmp_gt_u32_e64 s[8:9], v10, v7
	ds_bpermute_b32 v11, v9, v6
	s_waitcnt lgkmcnt(1)
	v_cndmask_b32_e64 v3, v3, v5, s[8:9]
	ds_bpermute_b32 v5, v9, v3
	v_cmp_gt_u32_e64 s[8:9], 56, v14
	v_cndmask_b32_e64 v10, 0, 1, s[8:9]
	v_lshlrev_b32_e32 v10, 3, v10
	s_waitcnt lgkmcnt(1)
	v_max_u32_e32 v7, v11, v6
	v_add_lshl_u32 v10, v10, v13, 2
	v_cmp_gt_u32_e64 s[8:9], v11, v6
	ds_bpermute_b32 v12, v10, v7
	s_waitcnt lgkmcnt(1)
	;; [unrolled: 11-line block ×4, first 2 shown]
	v_cndmask_b32_e64 v5, v3, v5, s[8:9]
	ds_bpermute_b32 v6, v12, v5
	s_waitcnt lgkmcnt(0)
	s_barrier
	v_cmp_gt_u32_e64 s[8:9], v16, v7
	v_max_u32_e32 v3, v16, v7
	v_cndmask_b32_e64 v5, v5, v6, s[8:9]
	v_cmp_ne_u32_e64 s[8:9], 63, v14
	v_addc_co_u32_e64 v6, s[8:9], 0, v13, s[8:9]
	v_lshlrev_b32_e32 v13, 2, v6
	ds_bpermute_b32 v6, v13, v5
	ds_bpermute_b32 v7, v13, v3
	v_cmp_eq_u32_e64 s[8:9], 0, v1
	s_waitcnt lgkmcnt(0)
	s_barrier
	s_and_saveexec_b64 s[12:13], s[8:9]
	s_cbranch_execz .LBB100_106
; %bb.105:
	v_lshrrev_b32_e32 v14, 3, v0
	v_add_u32_e32 v14, 2, v14
	v_cmp_gt_u32_e64 s[10:11], v7, v3
	v_add_u32_e32 v14, 0x800, v14
	v_cndmask_b32_e64 v5, v5, v6, s[10:11]
	v_max_u32_e32 v3, v7, v3
	ds_write2_b32 v14, v3, v5 offset1:1
.LBB100_106:
	s_or_b64 exec, exec, s[12:13]
	s_lshr_b32 s10, s22, 6
	v_cmp_gt_u32_e64 s[10:11], s10, v0
	v_lshl_add_u32 v14, v1, 3, 2
	v_mov_b32_e32 v3, 0
	v_mov_b32_e32 v5, 0
	s_waitcnt lgkmcnt(0)
	s_barrier
	s_and_saveexec_b64 s[12:13], s[10:11]
	s_cbranch_execnz .LBB100_127
; %bb.107:
	s_or_b64 exec, exec, s[12:13]
	s_and_saveexec_b64 s[12:13], s[10:11]
	s_cbranch_execnz .LBB100_128
.LBB100_108:
	s_or_b64 exec, exec, s[12:13]
	s_and_saveexec_b64 s[22:23], s[0:1]
	s_cbranch_execnz .LBB100_129
.LBB100_109:
	s_or_b64 exec, exec, s[22:23]
	s_and_saveexec_b64 s[12:13], vcc
	s_cbranch_execz .LBB100_111
.LBB100_110:
	s_waitcnt lgkmcnt(0)
	v_lshl_add_u32 v3, v3, 1, 2
	ds_read_u16 v3, v3
	v_mov_b32_e32 v5, 0
	s_waitcnt lgkmcnt(0)
	ds_write_b16 v5, v3
.LBB100_111:
	s_or_b64 exec, exec, s[12:13]
	s_mov_b32 s22, 0
	s_waitcnt lgkmcnt(0)
	v_mov_b32_e32 v3, 0
	s_mov_b32 s23, s22
	v_cmp_gt_i64_e64 s[12:13], s[16:17], v[2:3]
	v_pk_mov_b32 v[6:7], s[22:23], s[22:23] op_sel:[0,1]
	s_barrier
	s_and_saveexec_b64 s[22:23], s[12:13]
	s_cbranch_execz .LBB100_113
; %bb.112:
	v_add_u32_e32 v6, s19, v2
	v_mov_b32_e32 v7, v3
	v_lshlrev_b64 v[6:7], 1, v[6:7]
	v_mov_b32_e32 v5, s21
	v_add_co_u32_e64 v6, s[12:13], s20, v6
	v_addc_co_u32_e64 v7, s[12:13], v5, v7, s[12:13]
	global_load_ushort v5, v[6:7], off
	ds_read_u16 v6, v3
	s_waitcnt lgkmcnt(0)
	v_lshlrev_b32_e32 v6, 16, v6
	s_waitcnt vmcnt(0)
	v_lshlrev_b32_e32 v5, 16, v5
	v_cmp_eq_f32_e64 s[12:13], v5, v6
	v_cndmask_b32_e64 v2, 0, v2, s[12:13]
	v_pk_mov_b32 v[6:7], v[2:3], v[2:3] op_sel:[0,1]
.LBB100_113:
	s_or_b64 exec, exec, s[22:23]
	v_mov_b32_e32 v5, v3
	v_cmp_gt_i64_e64 s[12:13], s[16:17], v[4:5]
	s_and_saveexec_b64 s[16:17], s[12:13]
	s_cbranch_execz .LBB100_115
; %bb.114:
	v_add_u32_e32 v2, s19, v4
	v_mov_b32_e32 v3, 0
	v_lshlrev_b64 v[16:17], 1, v[2:3]
	v_mov_b32_e32 v2, s21
	v_add_co_u32_e64 v16, s[12:13], s20, v16
	v_addc_co_u32_e64 v17, s[12:13], v2, v17, s[12:13]
	global_load_ushort v2, v[16:17], off
	ds_read_u16 v3, v3
	s_waitcnt lgkmcnt(0)
	v_lshlrev_b32_e32 v3, 16, v3
	s_waitcnt vmcnt(0)
	v_lshlrev_b32_e32 v2, 16, v2
	v_cmp_eq_f32_e64 s[12:13], v2, v3
	v_cndmask_b32_e64 v7, 0, v4, s[12:13]
.LBB100_115:
	s_or_b64 exec, exec, s[16:17]
	v_cndmask_b32_e64 v2, 0, v6, s[2:3]
	v_cndmask_b32_e64 v3, 0, v7, s[6:7]
	v_max_u32_e32 v2, v3, v2
	ds_bpermute_b32 v3, v8, v2
	s_waitcnt lgkmcnt(0)
	s_barrier
	v_max_u32_e32 v2, v3, v2
	ds_bpermute_b32 v3, v9, v2
	s_waitcnt lgkmcnt(0)
	v_max_u32_e32 v2, v3, v2
	ds_bpermute_b32 v3, v10, v2
	s_waitcnt lgkmcnt(0)
	;; [unrolled: 3-line block ×4, first 2 shown]
	v_max_u32_e32 v2, v3, v2
	ds_bpermute_b32 v3, v13, v2
	s_and_saveexec_b64 s[2:3], s[8:9]
	s_cbranch_execz .LBB100_117
; %bb.116:
	v_lshrrev_b32_e32 v0, 4, v0
	v_add_u32_e32 v0, 2, v0
	s_waitcnt lgkmcnt(0)
	v_max_u32_e32 v2, v3, v2
	ds_write_b32 v0, v2
.LBB100_117:
	s_or_b64 exec, exec, s[2:3]
	v_mov_b32_e32 v0, 0
	s_waitcnt lgkmcnt(0)
	s_barrier
	s_and_saveexec_b64 s[2:3], s[10:11]
	s_cbranch_execnz .LBB100_130
; %bb.118:
	s_or_b64 exec, exec, s[2:3]
	s_and_saveexec_b64 s[2:3], s[0:1]
	s_cbranch_execnz .LBB100_131
.LBB100_119:
	s_or_b64 exec, exec, s[2:3]
	s_and_saveexec_b64 s[0:1], vcc
	s_cbranch_execnz .LBB100_132
.LBB100_120:
	s_endpgm
.LBB100_121:
	ds_read_u8 v7, v1 offset:2048
	s_andn2_b64 s[0:1], s[0:1], exec
	s_waitcnt lgkmcnt(0)
	v_and_b32_e32 v7, 1, v7
	v_cmp_eq_u32_e32 vcc, 1, v7
	s_xor_b64 s[8:9], vcc, -1
	s_and_b64 s[8:9], s[8:9], exec
	s_or_b64 s[0:1], s[0:1], s[8:9]
	s_or_b64 exec, exec, s[2:3]
	v_mov_b32_e32 v7, s6
	s_and_saveexec_b64 s[2:3], s[0:1]
	s_cbranch_execz .LBB100_17
.LBB100_122:
	ds_read_u8 v7, v1 offset:2560
	s_waitcnt lgkmcnt(0)
	v_xor_b32_e32 v7, 1, v7
	s_or_b64 exec, exec, s[2:3]
	v_cmp_eq_u32_e32 vcc, 0, v7
	s_and_saveexec_b64 s[0:1], vcc
	s_cbranch_execnz .LBB100_18
	s_branch .LBB100_19
.LBB100_123:
	ds_read_u8 v7, v1 offset:2048
	s_andn2_b64 s[0:1], s[0:1], exec
	s_waitcnt lgkmcnt(0)
	v_and_b32_e32 v7, 1, v7
	v_cmp_eq_u32_e32 vcc, 1, v7
	s_xor_b64 s[8:9], vcc, -1
	s_and_b64 s[8:9], s[8:9], exec
	s_or_b64 s[0:1], s[0:1], s[8:9]
	s_or_b64 exec, exec, s[2:3]
	v_mov_b32_e32 v7, s6
	s_and_saveexec_b64 s[2:3], s[0:1]
	s_cbranch_execz .LBB100_21
.LBB100_124:
	ds_read_u8 v7, v1 offset:2304
	s_waitcnt lgkmcnt(0)
	v_xor_b32_e32 v7, 1, v7
	s_or_b64 exec, exec, s[2:3]
	v_cmp_eq_u32_e32 vcc, 0, v7
	s_and_saveexec_b64 s[0:1], vcc
	s_cbranch_execnz .LBB100_22
	s_branch .LBB100_23
.LBB100_125:
	ds_read_u8 v7, v1 offset:2048
	s_andn2_b64 s[0:1], s[0:1], exec
	s_waitcnt lgkmcnt(0)
	v_and_b32_e32 v7, 1, v7
	v_cmp_eq_u32_e32 vcc, 1, v7
	s_xor_b64 s[8:9], vcc, -1
	s_and_b64 s[8:9], s[8:9], exec
	s_or_b64 s[0:1], s[0:1], s[8:9]
	s_or_b64 exec, exec, s[2:3]
	v_mov_b32_e32 v7, s6
	s_and_saveexec_b64 s[2:3], s[0:1]
	s_cbranch_execz .LBB100_25
.LBB100_126:
	ds_read_u8 v7, v1 offset:2176
	s_waitcnt lgkmcnt(0)
	v_xor_b32_e32 v7, 1, v7
	s_or_b64 exec, exec, s[2:3]
	v_cmp_eq_u32_e32 vcc, 0, v7
	s_and_saveexec_b64 s[0:1], vcc
	s_cbranch_execnz .LBB100_26
	s_branch .LBB100_27
.LBB100_127:
	ds_read_b32 v5, v14 offset:2048
	s_or_b64 exec, exec, s[12:13]
	s_and_saveexec_b64 s[12:13], s[10:11]
	s_cbranch_execz .LBB100_108
.LBB100_128:
	ds_read_b32 v3, v14 offset:2052
	s_or_b64 exec, exec, s[12:13]
	s_and_saveexec_b64 s[22:23], s[0:1]
	s_cbranch_execz .LBB100_109
.LBB100_129:
	s_waitcnt lgkmcnt(0)
	ds_bpermute_b32 v6, v8, v5
	ds_bpermute_b32 v7, v8, v3
	s_waitcnt lgkmcnt(1)
	v_max_u32_e32 v15, v6, v5
	v_cmp_gt_u32_e64 s[12:13], v6, v5
	ds_bpermute_b32 v16, v9, v15
	s_waitcnt lgkmcnt(1)
	v_cndmask_b32_e64 v3, v3, v7, s[12:13]
	ds_bpermute_b32 v5, v9, v3
	s_waitcnt lgkmcnt(1)
	v_max_u32_e32 v6, v16, v15
	v_cmp_gt_u32_e64 s[12:13], v16, v15
	ds_bpermute_b32 v7, v10, v6
	s_waitcnt lgkmcnt(1)
	v_cndmask_b32_e64 v3, v3, v5, s[12:13]
	;; [unrolled: 7-line block ×4, first 2 shown]
	ds_bpermute_b32 v5, v12, v3
	s_waitcnt lgkmcnt(1)
	v_max_u32_e32 v15, v7, v6
	v_cmp_gt_u32_e64 s[12:13], v7, v6
	s_waitcnt lgkmcnt(0)
	v_cndmask_b32_e64 v3, v3, v5, s[12:13]
	ds_bpermute_b32 v5, v13, v15
	ds_bpermute_b32 v6, v13, v3
	s_waitcnt lgkmcnt(1)
	v_cmp_gt_u32_e64 s[12:13], v5, v15
	s_waitcnt lgkmcnt(0)
	v_cndmask_b32_e64 v3, v3, v6, s[12:13]
	s_or_b64 exec, exec, s[22:23]
	s_and_saveexec_b64 s[12:13], vcc
	s_cbranch_execnz .LBB100_110
	s_branch .LBB100_111
.LBB100_130:
	v_lshlrev_b32_e32 v0, 2, v1
	v_sub_u32_e32 v0, v14, v0
	ds_read_b32 v0, v0
	s_or_b64 exec, exec, s[2:3]
	s_and_saveexec_b64 s[2:3], s[0:1]
	s_cbranch_execz .LBB100_119
.LBB100_131:
	s_waitcnt lgkmcnt(0)
	ds_bpermute_b32 v1, v8, v0
	s_waitcnt lgkmcnt(0)
	v_max_u32_e32 v0, v1, v0
	ds_bpermute_b32 v1, v9, v0
	s_waitcnt lgkmcnt(0)
	v_max_u32_e32 v0, v1, v0
	;; [unrolled: 3-line block ×6, first 2 shown]
	s_or_b64 exec, exec, s[2:3]
	s_and_saveexec_b64 s[0:1], vcc
	s_cbranch_execz .LBB100_120
.LBB100_132:
	s_load_dword s0, s[4:5], 0xd8
	s_add_u32 s2, s4, 8
	s_addc_u32 s3, s5, 0
	s_mov_b32 s1, 0
	s_waitcnt lgkmcnt(0)
	s_cmp_lt_i32 s0, 2
	s_cbranch_scc1 .LBB100_135
; %bb.133:
	s_add_i32 s6, s0, 1
	s_add_i32 s0, s0, -1
	s_lshl_b64 s[4:5], s[0:1], 2
	s_add_u32 s0, s4, s2
	s_addc_u32 s5, s5, s3
	s_add_u32 s4, s0, 8
	s_addc_u32 s5, s5, 0
.LBB100_134:                            ; =>This Inner Loop Header: Depth=1
	s_load_dword s0, s[4:5], 0x0
	s_load_dword s8, s[4:5], 0x64
	s_mov_b32 s7, s18
	s_waitcnt lgkmcnt(0)
	v_cvt_f32_u32_e32 v1, s0
	s_sub_i32 s9, 0, s0
	v_rcp_iflag_f32_e32 v1, v1
	v_mul_f32_e32 v1, 0x4f7ffffe, v1
	v_cvt_u32_f32_e32 v1, v1
	v_readfirstlane_b32 s10, v1
	s_mul_i32 s9, s9, s10
	s_mul_hi_u32 s9, s10, s9
	s_add_i32 s10, s10, s9
	s_mul_hi_u32 s9, s18, s10
	s_mul_i32 s10, s9, s0
	s_sub_i32 s10, s18, s10
	s_add_i32 s11, s9, 1
	s_sub_i32 s12, s10, s0
	s_cmp_ge_u32 s10, s0
	s_cselect_b32 s9, s11, s9
	s_cselect_b32 s10, s12, s10
	s_add_i32 s11, s9, 1
	s_cmp_ge_u32 s10, s0
	s_cselect_b32 s18, s11, s9
	s_mul_i32 s0, s18, s0
	s_sub_i32 s0, s7, s0
	s_mul_i32 s0, s8, s0
	s_add_i32 s6, s6, -1
	s_add_i32 s1, s0, s1
	s_add_u32 s4, s4, -4
	s_addc_u32 s5, s5, -1
	s_cmp_gt_u32 s6, 2
	s_cbranch_scc1 .LBB100_134
.LBB100_135:
	s_load_dword s0, s[2:3], 0x6c
	v_mov_b32_e32 v1, 0
	s_load_dwordx2 s[2:3], s[2:3], 0x0
	ds_read_u16 v2, v1
	s_mov_b32 s5, 0
	s_waitcnt lgkmcnt(0)
	s_mul_i32 s0, s0, s18
	s_add_i32 s4, s0, s1
	s_lshl_b64 s[0:1], s[4:5], 1
	s_add_u32 s0, s2, s0
	s_addc_u32 s1, s3, s1
	global_store_short v1, v2, s[0:1]
	s_lshl_b64 s[0:1], s[4:5], 3
	s_add_u32 s0, s14, s0
	s_addc_u32 s1, s15, s1
	global_store_dwordx2 v1, v[0:1], s[0:1]
	s_endpgm
	.section	.rodata,"a",@progbits
	.p2align	6, 0x0
	.amdhsa_kernel _ZN2at6native12compute_modeIN3c108BFloat16ELj1024EEEvPKT_NS_4cuda6detail10TensorInfoIS4_jEENS9_IljEEll
		.amdhsa_group_segment_fixed_size 2
		.amdhsa_private_segment_fixed_size 0
		.amdhsa_kernarg_size 712
		.amdhsa_user_sgpr_count 6
		.amdhsa_user_sgpr_private_segment_buffer 1
		.amdhsa_user_sgpr_dispatch_ptr 0
		.amdhsa_user_sgpr_queue_ptr 0
		.amdhsa_user_sgpr_kernarg_segment_ptr 1
		.amdhsa_user_sgpr_dispatch_id 0
		.amdhsa_user_sgpr_flat_scratch_init 0
		.amdhsa_user_sgpr_kernarg_preload_length 0
		.amdhsa_user_sgpr_kernarg_preload_offset 0
		.amdhsa_user_sgpr_private_segment_size 0
		.amdhsa_uses_dynamic_stack 0
		.amdhsa_system_sgpr_private_segment_wavefront_offset 0
		.amdhsa_system_sgpr_workgroup_id_x 1
		.amdhsa_system_sgpr_workgroup_id_y 1
		.amdhsa_system_sgpr_workgroup_id_z 1
		.amdhsa_system_sgpr_workgroup_info 0
		.amdhsa_system_vgpr_workitem_id 0
		.amdhsa_next_free_vgpr 24
		.amdhsa_next_free_sgpr 24
		.amdhsa_accum_offset 24
		.amdhsa_reserve_vcc 1
		.amdhsa_reserve_flat_scratch 0
		.amdhsa_float_round_mode_32 0
		.amdhsa_float_round_mode_16_64 0
		.amdhsa_float_denorm_mode_32 3
		.amdhsa_float_denorm_mode_16_64 3
		.amdhsa_dx10_clamp 1
		.amdhsa_ieee_mode 1
		.amdhsa_fp16_overflow 0
		.amdhsa_tg_split 0
		.amdhsa_exception_fp_ieee_invalid_op 0
		.amdhsa_exception_fp_denorm_src 0
		.amdhsa_exception_fp_ieee_div_zero 0
		.amdhsa_exception_fp_ieee_overflow 0
		.amdhsa_exception_fp_ieee_underflow 0
		.amdhsa_exception_fp_ieee_inexact 0
		.amdhsa_exception_int_div_zero 0
	.end_amdhsa_kernel
	.section	.text._ZN2at6native12compute_modeIN3c108BFloat16ELj1024EEEvPKT_NS_4cuda6detail10TensorInfoIS4_jEENS9_IljEEll,"axG",@progbits,_ZN2at6native12compute_modeIN3c108BFloat16ELj1024EEEvPKT_NS_4cuda6detail10TensorInfoIS4_jEENS9_IljEEll,comdat
.Lfunc_end100:
	.size	_ZN2at6native12compute_modeIN3c108BFloat16ELj1024EEEvPKT_NS_4cuda6detail10TensorInfoIS4_jEENS9_IljEEll, .Lfunc_end100-_ZN2at6native12compute_modeIN3c108BFloat16ELj1024EEEvPKT_NS_4cuda6detail10TensorInfoIS4_jEENS9_IljEEll
                                        ; -- End function
	.section	.AMDGPU.csdata,"",@progbits
; Kernel info:
; codeLenInByte = 7564
; NumSgprs: 28
; NumVgprs: 24
; NumAgprs: 0
; TotalNumVgprs: 24
; ScratchSize: 0
; MemoryBound: 0
; FloatMode: 240
; IeeeMode: 1
; LDSByteSize: 2 bytes/workgroup (compile time only)
; SGPRBlocks: 3
; VGPRBlocks: 2
; NumSGPRsForWavesPerEU: 28
; NumVGPRsForWavesPerEU: 24
; AccumOffset: 24
; Occupancy: 8
; WaveLimiterHint : 1
; COMPUTE_PGM_RSRC2:SCRATCH_EN: 0
; COMPUTE_PGM_RSRC2:USER_SGPR: 6
; COMPUTE_PGM_RSRC2:TRAP_HANDLER: 0
; COMPUTE_PGM_RSRC2:TGID_X_EN: 1
; COMPUTE_PGM_RSRC2:TGID_Y_EN: 1
; COMPUTE_PGM_RSRC2:TGID_Z_EN: 1
; COMPUTE_PGM_RSRC2:TIDIG_COMP_CNT: 0
; COMPUTE_PGM_RSRC3_GFX90A:ACCUM_OFFSET: 5
; COMPUTE_PGM_RSRC3_GFX90A:TG_SPLIT: 0
	.section	.text._ZN2at6native12compute_modeIN3c108BFloat16ELj128EEEvPKT_NS_4cuda6detail10TensorInfoIS4_jEENS9_IljEEll,"axG",@progbits,_ZN2at6native12compute_modeIN3c108BFloat16ELj128EEEvPKT_NS_4cuda6detail10TensorInfoIS4_jEENS9_IljEEll,comdat
	.protected	_ZN2at6native12compute_modeIN3c108BFloat16ELj128EEEvPKT_NS_4cuda6detail10TensorInfoIS4_jEENS9_IljEEll ; -- Begin function _ZN2at6native12compute_modeIN3c108BFloat16ELj128EEEvPKT_NS_4cuda6detail10TensorInfoIS4_jEENS9_IljEEll
	.globl	_ZN2at6native12compute_modeIN3c108BFloat16ELj128EEEvPKT_NS_4cuda6detail10TensorInfoIS4_jEENS9_IljEEll
	.p2align	8
	.type	_ZN2at6native12compute_modeIN3c108BFloat16ELj128EEEvPKT_NS_4cuda6detail10TensorInfoIS4_jEENS9_IljEEll,@function
_ZN2at6native12compute_modeIN3c108BFloat16ELj128EEEvPKT_NS_4cuda6detail10TensorInfoIS4_jEENS9_IljEEll: ; @_ZN2at6native12compute_modeIN3c108BFloat16ELj128EEEvPKT_NS_4cuda6detail10TensorInfoIS4_jEENS9_IljEEll
; %bb.0:
	s_load_dwordx4 s[16:19], s[4:5], 0x1b8
	s_load_dwordx2 s[2:3], s[4:5], 0x1c8
	s_add_u32 s0, s4, 0x1c8
	s_addc_u32 s1, s5, 0
	s_mov_b32 s15, 0
	s_waitcnt lgkmcnt(0)
	v_mov_b32_e32 v2, s18
	s_mul_i32 s3, s3, s8
	s_add_i32 s3, s3, s7
	s_mul_i32 s2, s3, s2
	v_mov_b32_e32 v3, s19
	s_add_i32 s14, s2, s6
	v_cmp_ge_i64_e32 vcc, s[14:15], v[2:3]
	s_cbranch_vccnz .LBB101_182
; %bb.1:
	s_load_dwordx2 s[18:19], s[4:5], 0x0
	s_load_dword s6, s[0:1], 0xc
	v_mov_b32_e32 v3, 0
	v_mov_b32_e32 v1, v3
	s_mul_i32 s15, s14, s16
	v_cmp_gt_i64_e32 vcc, s[16:17], v[0:1]
	s_and_saveexec_b64 s[2:3], vcc
	s_cbranch_execz .LBB101_3
; %bb.2:
	v_add_u32_e32 v2, s15, v0
	v_lshlrev_b64 v[4:5], 1, v[2:3]
	s_waitcnt lgkmcnt(0)
	v_mov_b32_e32 v1, s19
	v_add_co_u32_e64 v4, s[0:1], s18, v4
	v_addc_co_u32_e64 v5, s[0:1], v1, v5, s[0:1]
	global_load_ushort v1, v[4:5], off
	v_lshl_add_u32 v2, v0, 1, 2
	s_waitcnt vmcnt(0)
	ds_write_b16 v2, v1
.LBB101_3:
	s_or_b64 exec, exec, s[2:3]
	s_waitcnt lgkmcnt(0)
	s_and_b32 s20, 0xffff, s6
	v_add_u32_e32 v2, s20, v0
	v_cmp_gt_i64_e64 s[0:1], s[16:17], v[2:3]
	s_and_saveexec_b64 s[6:7], s[0:1]
	s_cbranch_execz .LBB101_5
; %bb.4:
	v_add_u32_e32 v4, s15, v2
	v_mov_b32_e32 v5, 0
	v_lshlrev_b64 v[4:5], 1, v[4:5]
	v_mov_b32_e32 v1, s19
	v_add_co_u32_e64 v4, s[2:3], s18, v4
	v_addc_co_u32_e64 v5, s[2:3], v1, v5, s[2:3]
	global_load_ushort v1, v[4:5], off
	v_lshl_add_u32 v2, v2, 1, 2
	s_waitcnt vmcnt(0)
	ds_write_b16 v2, v1
.LBB101_5:
	s_or_b64 exec, exec, s[6:7]
	v_add_u32_e32 v1, 2, v0
	v_cndmask_b32_e64 v2, 0, 1, vcc
	ds_write_b8 v1, v2 offset:256
	v_add_u32_e32 v2, s20, v1
	v_cndmask_b32_e64 v3, 0, 1, s[0:1]
	ds_write_b8 v2, v3 offset:256
	v_mad_u32_u24 v3, v0, 3, v1
	s_waitcnt lgkmcnt(0)
	s_barrier
	s_barrier
	ds_read_b32 v5, v3
	v_lshlrev_b32_e32 v2, 1, v0
	s_mov_b32 s6, 1
	v_sub_u32_e32 v4, 0, v2
	s_waitcnt lgkmcnt(0)
	v_and_b32_e32 v1, 0xffff0000, v5
	v_lshlrev_b32_e32 v6, 16, v5
	v_cmp_nlt_f32_e64 s[0:1], v6, v1
	v_cmp_lt_f32_e32 vcc, v6, v1
	s_and_saveexec_b64 s[2:3], vcc
	s_cbranch_execz .LBB101_7
; %bb.6:
	v_add_u32_e32 v1, v3, v4
	ds_read_u8 v1, v1 offset:256
	s_andn2_b64 s[0:1], s[0:1], exec
	s_waitcnt lgkmcnt(0)
	v_and_b32_e32 v1, 1, v1
	v_cmp_eq_u32_e32 vcc, 1, v1
	s_xor_b64 s[8:9], vcc, -1
	s_and_b64 s[8:9], s[8:9], exec
	s_or_b64 s[0:1], s[0:1], s[8:9]
.LBB101_7:
	s_or_b64 exec, exec, s[2:3]
	v_mov_b32_e32 v7, s6
	v_add_u32_e32 v1, 2, v2
	s_and_saveexec_b64 s[2:3], s[0:1]
	s_cbranch_execz .LBB101_9
; %bb.8:
	ds_read_u8 v6, v1 offset:257
	s_waitcnt lgkmcnt(0)
	v_xor_b32_e32 v7, 1, v6
.LBB101_9:
	s_or_b64 exec, exec, s[2:3]
	v_and_b32_e32 v6, 1, v0
	v_cmp_eq_u32_e32 vcc, v7, v6
	s_and_saveexec_b64 s[0:1], vcc
	s_cbranch_execz .LBB101_11
; %bb.10:
	v_add_u32_e32 v7, v3, v4
	ds_read_u8 v8, v1 offset:257
	ds_read_u8 v9, v7 offset:256
	v_alignbit_b32 v5, v5, v5, 16
	ds_write_b32 v3, v5
	s_waitcnt lgkmcnt(2)
	ds_write_b8 v7, v8 offset:256
	s_waitcnt lgkmcnt(2)
	ds_write_b8 v1, v9 offset:257
.LBB101_11:
	s_or_b64 exec, exec, s[0:1]
	v_sub_u32_e32 v7, v2, v6
	v_add_u32_e32 v5, 2, v7
	v_lshl_add_u32 v6, v7, 1, 2
	v_add_u32_e32 v7, v5, v7
	s_waitcnt lgkmcnt(0)
	s_barrier
	ds_read_u16 v10, v7 offset:4
	ds_read_u16 v9, v6
	s_mov_b64 s[0:1], -1
                                        ; implicit-def: $sgpr6
	s_waitcnt lgkmcnt(1)
	v_lshlrev_b32_e32 v8, 16, v10
	s_waitcnt lgkmcnt(0)
	v_lshlrev_b32_e32 v11, 16, v9
	v_cmp_lt_f32_e32 vcc, v11, v8
	s_and_saveexec_b64 s[2:3], vcc
	s_xor_b64 s[2:3], exec, s[2:3]
	s_cbranch_execz .LBB101_13
; %bb.12:
	ds_read_u8 v8, v5 offset:256
	s_mov_b32 s6, 1
	s_waitcnt lgkmcnt(0)
	v_and_b32_e32 v8, 1, v8
	v_cmp_eq_u32_e32 vcc, 1, v8
	s_xor_b64 s[0:1], vcc, -1
	s_orn2_b64 s[0:1], s[0:1], exec
.LBB101_13:
	s_or_b64 exec, exec, s[2:3]
	v_mov_b32_e32 v11, s6
	s_and_saveexec_b64 s[2:3], s[0:1]
	s_cbranch_execz .LBB101_15
; %bb.14:
	ds_read_u8 v8, v5 offset:258
	s_waitcnt lgkmcnt(0)
	v_xor_b32_e32 v11, 1, v8
.LBB101_15:
	s_or_b64 exec, exec, s[2:3]
	v_bfe_u32 v8, v0, 1, 1
	v_cmp_eq_u32_e32 vcc, v11, v8
	s_and_saveexec_b64 s[0:1], vcc
	s_cbranch_execz .LBB101_17
; %bb.16:
	ds_read_u8 v11, v5 offset:258
	ds_read_u8 v12, v5 offset:256
	ds_write_b16 v6, v10
	ds_write_b16 v7, v9 offset:4
	s_waitcnt lgkmcnt(3)
	ds_write_b8 v5, v11 offset:256
	s_waitcnt lgkmcnt(3)
	ds_write_b8 v5, v12 offset:258
.LBB101_17:
	s_or_b64 exec, exec, s[0:1]
	s_waitcnt lgkmcnt(0)
	s_barrier
	ds_read_b32 v9, v3
                                        ; implicit-def: $sgpr6
	s_waitcnt lgkmcnt(0)
	v_and_b32_e32 v10, 0xffff0000, v9
	v_lshlrev_b32_e32 v11, 16, v9
	v_cmp_nlt_f32_e64 s[0:1], v11, v10
	v_cmp_lt_f32_e32 vcc, v11, v10
	s_and_saveexec_b64 s[2:3], vcc
	s_cbranch_execnz .LBB101_183
; %bb.18:
	s_or_b64 exec, exec, s[2:3]
	v_mov_b32_e32 v10, s6
	s_and_saveexec_b64 s[2:3], s[0:1]
	s_cbranch_execnz .LBB101_184
.LBB101_19:
	s_or_b64 exec, exec, s[2:3]
	v_cmp_eq_u32_e32 vcc, v10, v8
	s_and_saveexec_b64 s[0:1], vcc
	s_cbranch_execz .LBB101_21
.LBB101_20:
	v_add_u32_e32 v8, v3, v4
	ds_read_u8 v10, v1 offset:257
	ds_read_u8 v11, v8 offset:256
	v_alignbit_b32 v9, v9, v9, 16
	ds_write_b32 v3, v9
	s_waitcnt lgkmcnt(2)
	ds_write_b8 v8, v10 offset:256
	s_waitcnt lgkmcnt(2)
	ds_write_b8 v1, v11 offset:257
.LBB101_21:
	s_or_b64 exec, exec, s[0:1]
	v_and_b32_e32 v8, 3, v0
	v_sub_u32_e32 v10, v2, v8
	v_add_u32_e32 v8, 2, v10
	v_lshl_add_u32 v9, v10, 1, 2
	v_add_u32_e32 v10, v8, v10
	s_waitcnt lgkmcnt(0)
	s_barrier
	ds_read_u16 v13, v10 offset:8
	ds_read_u16 v12, v9
	s_mov_b32 s6, 1
	s_waitcnt lgkmcnt(1)
	v_lshlrev_b32_e32 v11, 16, v13
	s_waitcnt lgkmcnt(0)
	v_lshlrev_b32_e32 v14, 16, v12
	v_cmp_nlt_f32_e64 s[0:1], v14, v11
	v_cmp_lt_f32_e32 vcc, v14, v11
	s_and_saveexec_b64 s[2:3], vcc
	s_cbranch_execz .LBB101_23
; %bb.22:
	ds_read_u8 v11, v8 offset:256
	s_andn2_b64 s[0:1], s[0:1], exec
	s_waitcnt lgkmcnt(0)
	v_and_b32_e32 v11, 1, v11
	v_cmp_eq_u32_e32 vcc, 1, v11
	s_xor_b64 s[8:9], vcc, -1
	s_and_b64 s[8:9], s[8:9], exec
	s_or_b64 s[0:1], s[0:1], s[8:9]
.LBB101_23:
	s_or_b64 exec, exec, s[2:3]
	v_mov_b32_e32 v14, s6
	s_and_saveexec_b64 s[2:3], s[0:1]
	s_cbranch_execz .LBB101_25
; %bb.24:
	ds_read_u8 v11, v8 offset:260
	s_waitcnt lgkmcnt(0)
	v_xor_b32_e32 v14, 1, v11
.LBB101_25:
	s_or_b64 exec, exec, s[2:3]
	v_bfe_u32 v11, v0, 2, 1
	v_cmp_eq_u32_e32 vcc, v14, v11
	s_and_saveexec_b64 s[0:1], vcc
	s_cbranch_execz .LBB101_27
; %bb.26:
	ds_read_u8 v14, v8 offset:260
	ds_read_u8 v15, v8 offset:256
	ds_write_b16 v9, v13
	ds_write_b16 v10, v12 offset:8
	s_waitcnt lgkmcnt(3)
	ds_write_b8 v8, v14 offset:256
	s_waitcnt lgkmcnt(3)
	ds_write_b8 v8, v15 offset:260
.LBB101_27:
	s_or_b64 exec, exec, s[0:1]
	s_waitcnt lgkmcnt(0)
	s_barrier
	ds_read_u16 v13, v7 offset:4
	ds_read_u16 v12, v6
                                        ; implicit-def: $sgpr6
	s_waitcnt lgkmcnt(1)
	v_lshlrev_b32_e32 v14, 16, v13
	s_waitcnt lgkmcnt(0)
	v_lshlrev_b32_e32 v15, 16, v12
	v_cmp_nlt_f32_e64 s[0:1], v15, v14
	v_cmp_lt_f32_e32 vcc, v15, v14
	s_and_saveexec_b64 s[2:3], vcc
	s_cbranch_execnz .LBB101_185
; %bb.28:
	s_or_b64 exec, exec, s[2:3]
	v_mov_b32_e32 v14, s6
	s_and_saveexec_b64 s[2:3], s[0:1]
	s_cbranch_execnz .LBB101_186
.LBB101_29:
	s_or_b64 exec, exec, s[2:3]
	v_cmp_eq_u32_e32 vcc, v14, v11
	s_and_saveexec_b64 s[0:1], vcc
	s_cbranch_execz .LBB101_31
.LBB101_30:
	ds_read_u8 v14, v5 offset:258
	ds_read_u8 v15, v5 offset:256
	ds_write_b16 v6, v13
	ds_write_b16 v7, v12 offset:4
	s_waitcnt lgkmcnt(3)
	ds_write_b8 v5, v14 offset:256
	s_waitcnt lgkmcnt(3)
	ds_write_b8 v5, v15 offset:258
.LBB101_31:
	s_or_b64 exec, exec, s[0:1]
	s_waitcnt lgkmcnt(0)
	s_barrier
	ds_read_b32 v12, v3
                                        ; implicit-def: $sgpr6
	s_waitcnt lgkmcnt(0)
	v_and_b32_e32 v13, 0xffff0000, v12
	v_lshlrev_b32_e32 v14, 16, v12
	v_cmp_nlt_f32_e64 s[0:1], v14, v13
	v_cmp_lt_f32_e32 vcc, v14, v13
	s_and_saveexec_b64 s[2:3], vcc
	s_cbranch_execnz .LBB101_187
; %bb.32:
	s_or_b64 exec, exec, s[2:3]
	v_mov_b32_e32 v13, s6
	s_and_saveexec_b64 s[2:3], s[0:1]
	s_cbranch_execnz .LBB101_188
.LBB101_33:
	s_or_b64 exec, exec, s[2:3]
	v_cmp_eq_u32_e32 vcc, v13, v11
	s_and_saveexec_b64 s[0:1], vcc
	s_cbranch_execz .LBB101_35
.LBB101_34:
	v_add_u32_e32 v11, v3, v4
	ds_read_u8 v13, v1 offset:257
	ds_read_u8 v14, v11 offset:256
	v_alignbit_b32 v12, v12, v12, 16
	ds_write_b32 v3, v12
	s_waitcnt lgkmcnt(2)
	ds_write_b8 v11, v13 offset:256
	s_waitcnt lgkmcnt(2)
	ds_write_b8 v1, v14 offset:257
.LBB101_35:
	s_or_b64 exec, exec, s[0:1]
	v_and_b32_e32 v11, 7, v0
	v_sub_u32_e32 v13, v2, v11
	v_add_u32_e32 v11, 2, v13
	v_lshl_add_u32 v12, v13, 1, 2
	v_add_u32_e32 v13, v11, v13
	s_waitcnt lgkmcnt(0)
	s_barrier
	ds_read_u16 v16, v13 offset:16
	ds_read_u16 v15, v12
	s_mov_b32 s6, 1
	s_waitcnt lgkmcnt(1)
	v_lshlrev_b32_e32 v14, 16, v16
	s_waitcnt lgkmcnt(0)
	v_lshlrev_b32_e32 v17, 16, v15
	v_cmp_nlt_f32_e64 s[0:1], v17, v14
	v_cmp_lt_f32_e32 vcc, v17, v14
	s_and_saveexec_b64 s[2:3], vcc
	s_cbranch_execz .LBB101_37
; %bb.36:
	ds_read_u8 v14, v11 offset:256
	s_andn2_b64 s[0:1], s[0:1], exec
	s_waitcnt lgkmcnt(0)
	v_and_b32_e32 v14, 1, v14
	v_cmp_eq_u32_e32 vcc, 1, v14
	s_xor_b64 s[8:9], vcc, -1
	s_and_b64 s[8:9], s[8:9], exec
	s_or_b64 s[0:1], s[0:1], s[8:9]
.LBB101_37:
	s_or_b64 exec, exec, s[2:3]
	v_mov_b32_e32 v17, s6
	s_and_saveexec_b64 s[2:3], s[0:1]
	s_cbranch_execz .LBB101_39
; %bb.38:
	ds_read_u8 v14, v11 offset:264
	s_waitcnt lgkmcnt(0)
	v_xor_b32_e32 v17, 1, v14
.LBB101_39:
	s_or_b64 exec, exec, s[2:3]
	v_bfe_u32 v14, v0, 3, 1
	v_cmp_eq_u32_e32 vcc, v17, v14
	s_and_saveexec_b64 s[0:1], vcc
	s_cbranch_execz .LBB101_41
; %bb.40:
	ds_read_u8 v17, v11 offset:264
	ds_read_u8 v18, v11 offset:256
	ds_write_b16 v12, v16
	ds_write_b16 v13, v15 offset:16
	s_waitcnt lgkmcnt(3)
	ds_write_b8 v11, v17 offset:256
	s_waitcnt lgkmcnt(3)
	ds_write_b8 v11, v18 offset:264
.LBB101_41:
	s_or_b64 exec, exec, s[0:1]
	s_waitcnt lgkmcnt(0)
	s_barrier
	ds_read_u16 v16, v10 offset:8
	ds_read_u16 v15, v9
                                        ; implicit-def: $sgpr6
	s_waitcnt lgkmcnt(1)
	v_lshlrev_b32_e32 v17, 16, v16
	s_waitcnt lgkmcnt(0)
	v_lshlrev_b32_e32 v18, 16, v15
	v_cmp_nlt_f32_e64 s[0:1], v18, v17
	v_cmp_lt_f32_e32 vcc, v18, v17
	s_and_saveexec_b64 s[2:3], vcc
	s_cbranch_execnz .LBB101_189
; %bb.42:
	s_or_b64 exec, exec, s[2:3]
	v_mov_b32_e32 v17, s6
	s_and_saveexec_b64 s[2:3], s[0:1]
	s_cbranch_execnz .LBB101_190
.LBB101_43:
	s_or_b64 exec, exec, s[2:3]
	v_cmp_eq_u32_e32 vcc, v17, v14
	s_and_saveexec_b64 s[0:1], vcc
	s_cbranch_execz .LBB101_45
.LBB101_44:
	ds_read_u8 v17, v8 offset:260
	ds_read_u8 v18, v8 offset:256
	ds_write_b16 v9, v16
	ds_write_b16 v10, v15 offset:8
	s_waitcnt lgkmcnt(3)
	ds_write_b8 v8, v17 offset:256
	s_waitcnt lgkmcnt(3)
	ds_write_b8 v8, v18 offset:260
.LBB101_45:
	s_or_b64 exec, exec, s[0:1]
	s_waitcnt lgkmcnt(0)
	s_barrier
	ds_read_u16 v16, v7 offset:4
	ds_read_u16 v15, v6
                                        ; implicit-def: $sgpr6
	s_waitcnt lgkmcnt(1)
	v_lshlrev_b32_e32 v17, 16, v16
	s_waitcnt lgkmcnt(0)
	v_lshlrev_b32_e32 v18, 16, v15
	v_cmp_nlt_f32_e64 s[0:1], v18, v17
	v_cmp_lt_f32_e32 vcc, v18, v17
	s_and_saveexec_b64 s[2:3], vcc
	s_cbranch_execnz .LBB101_191
; %bb.46:
	s_or_b64 exec, exec, s[2:3]
	v_mov_b32_e32 v17, s6
	s_and_saveexec_b64 s[2:3], s[0:1]
	s_cbranch_execnz .LBB101_192
.LBB101_47:
	s_or_b64 exec, exec, s[2:3]
	v_cmp_eq_u32_e32 vcc, v17, v14
	s_and_saveexec_b64 s[0:1], vcc
	s_cbranch_execz .LBB101_49
.LBB101_48:
	ds_read_u8 v17, v5 offset:258
	ds_read_u8 v18, v5 offset:256
	ds_write_b16 v6, v16
	ds_write_b16 v7, v15 offset:4
	s_waitcnt lgkmcnt(3)
	ds_write_b8 v5, v17 offset:256
	s_waitcnt lgkmcnt(3)
	ds_write_b8 v5, v18 offset:258
.LBB101_49:
	s_or_b64 exec, exec, s[0:1]
	s_waitcnt lgkmcnt(0)
	s_barrier
	ds_read_b32 v15, v3
                                        ; implicit-def: $sgpr6
	s_waitcnt lgkmcnt(0)
	v_and_b32_e32 v16, 0xffff0000, v15
	v_lshlrev_b32_e32 v17, 16, v15
	v_cmp_nlt_f32_e64 s[0:1], v17, v16
	v_cmp_lt_f32_e32 vcc, v17, v16
	s_and_saveexec_b64 s[2:3], vcc
	s_cbranch_execnz .LBB101_193
; %bb.50:
	s_or_b64 exec, exec, s[2:3]
	v_mov_b32_e32 v16, s6
	s_and_saveexec_b64 s[2:3], s[0:1]
	s_cbranch_execnz .LBB101_194
.LBB101_51:
	s_or_b64 exec, exec, s[2:3]
	v_cmp_eq_u32_e32 vcc, v16, v14
	s_and_saveexec_b64 s[0:1], vcc
	s_cbranch_execz .LBB101_53
.LBB101_52:
	v_add_u32_e32 v14, v3, v4
	ds_read_u8 v16, v1 offset:257
	ds_read_u8 v17, v14 offset:256
	v_alignbit_b32 v15, v15, v15, 16
	ds_write_b32 v3, v15
	s_waitcnt lgkmcnt(2)
	ds_write_b8 v14, v16 offset:256
	s_waitcnt lgkmcnt(2)
	ds_write_b8 v1, v17 offset:257
.LBB101_53:
	s_or_b64 exec, exec, s[0:1]
	v_and_b32_e32 v14, 15, v0
	v_sub_u32_e32 v14, v2, v14
	v_add_u32_e32 v15, 2, v14
	v_add_u32_e32 v17, v15, v14
	s_waitcnt lgkmcnt(0)
	s_barrier
	v_lshl_add_u32 v16, v14, 1, 2
	ds_read_u16 v19, v17 offset:32
	ds_read_u16 v18, v16
	s_mov_b32 s6, 1
	s_waitcnt lgkmcnt(1)
	v_lshlrev_b32_e32 v14, 16, v19
	s_waitcnt lgkmcnt(0)
	v_lshlrev_b32_e32 v20, 16, v18
	v_cmp_nlt_f32_e64 s[0:1], v20, v14
	v_cmp_lt_f32_e32 vcc, v20, v14
	s_and_saveexec_b64 s[2:3], vcc
	s_cbranch_execz .LBB101_55
; %bb.54:
	ds_read_u8 v14, v15 offset:256
	s_andn2_b64 s[0:1], s[0:1], exec
	s_waitcnt lgkmcnt(0)
	v_and_b32_e32 v14, 1, v14
	v_cmp_eq_u32_e32 vcc, 1, v14
	s_xor_b64 s[8:9], vcc, -1
	s_and_b64 s[8:9], s[8:9], exec
	s_or_b64 s[0:1], s[0:1], s[8:9]
.LBB101_55:
	s_or_b64 exec, exec, s[2:3]
	v_mov_b32_e32 v20, s6
	s_and_saveexec_b64 s[2:3], s[0:1]
	s_cbranch_execz .LBB101_57
; %bb.56:
	ds_read_u8 v14, v15 offset:272
	s_waitcnt lgkmcnt(0)
	v_xor_b32_e32 v20, 1, v14
.LBB101_57:
	s_or_b64 exec, exec, s[2:3]
	v_bfe_u32 v14, v0, 4, 1
	v_cmp_eq_u32_e32 vcc, v20, v14
	s_and_saveexec_b64 s[0:1], vcc
	s_cbranch_execz .LBB101_59
; %bb.58:
	ds_read_u8 v20, v15 offset:272
	ds_read_u8 v21, v15 offset:256
	ds_write_b16 v16, v19
	ds_write_b16 v17, v18 offset:32
	s_waitcnt lgkmcnt(3)
	ds_write_b8 v15, v20 offset:256
	s_waitcnt lgkmcnt(3)
	ds_write_b8 v15, v21 offset:272
.LBB101_59:
	s_or_b64 exec, exec, s[0:1]
	s_waitcnt lgkmcnt(0)
	s_barrier
	ds_read_u16 v19, v13 offset:16
	ds_read_u16 v18, v12
                                        ; implicit-def: $sgpr6
	s_waitcnt lgkmcnt(1)
	v_lshlrev_b32_e32 v20, 16, v19
	s_waitcnt lgkmcnt(0)
	v_lshlrev_b32_e32 v21, 16, v18
	v_cmp_nlt_f32_e64 s[0:1], v21, v20
	v_cmp_lt_f32_e32 vcc, v21, v20
	s_and_saveexec_b64 s[2:3], vcc
	s_cbranch_execnz .LBB101_195
; %bb.60:
	s_or_b64 exec, exec, s[2:3]
	v_mov_b32_e32 v20, s6
	s_and_saveexec_b64 s[2:3], s[0:1]
	s_cbranch_execnz .LBB101_196
.LBB101_61:
	s_or_b64 exec, exec, s[2:3]
	v_cmp_eq_u32_e32 vcc, v20, v14
	s_and_saveexec_b64 s[0:1], vcc
	s_cbranch_execz .LBB101_63
.LBB101_62:
	ds_read_u8 v20, v11 offset:264
	ds_read_u8 v21, v11 offset:256
	ds_write_b16 v12, v19
	ds_write_b16 v13, v18 offset:16
	s_waitcnt lgkmcnt(3)
	ds_write_b8 v11, v20 offset:256
	s_waitcnt lgkmcnt(3)
	ds_write_b8 v11, v21 offset:264
.LBB101_63:
	s_or_b64 exec, exec, s[0:1]
	s_waitcnt lgkmcnt(0)
	s_barrier
	ds_read_u16 v19, v10 offset:8
	ds_read_u16 v18, v9
                                        ; implicit-def: $sgpr6
	s_waitcnt lgkmcnt(1)
	v_lshlrev_b32_e32 v20, 16, v19
	s_waitcnt lgkmcnt(0)
	v_lshlrev_b32_e32 v21, 16, v18
	v_cmp_nlt_f32_e64 s[0:1], v21, v20
	v_cmp_lt_f32_e32 vcc, v21, v20
	s_and_saveexec_b64 s[2:3], vcc
	s_cbranch_execnz .LBB101_197
; %bb.64:
	s_or_b64 exec, exec, s[2:3]
	v_mov_b32_e32 v20, s6
	s_and_saveexec_b64 s[2:3], s[0:1]
	s_cbranch_execnz .LBB101_198
.LBB101_65:
	s_or_b64 exec, exec, s[2:3]
	v_cmp_eq_u32_e32 vcc, v20, v14
	s_and_saveexec_b64 s[0:1], vcc
	s_cbranch_execz .LBB101_67
.LBB101_66:
	ds_read_u8 v20, v8 offset:260
	ds_read_u8 v21, v8 offset:256
	ds_write_b16 v9, v19
	ds_write_b16 v10, v18 offset:8
	s_waitcnt lgkmcnt(3)
	ds_write_b8 v8, v20 offset:256
	s_waitcnt lgkmcnt(3)
	ds_write_b8 v8, v21 offset:260
.LBB101_67:
	s_or_b64 exec, exec, s[0:1]
	s_waitcnt lgkmcnt(0)
	s_barrier
	ds_read_u16 v19, v7 offset:4
	ds_read_u16 v18, v6
                                        ; implicit-def: $sgpr6
	s_waitcnt lgkmcnt(1)
	v_lshlrev_b32_e32 v20, 16, v19
	s_waitcnt lgkmcnt(0)
	v_lshlrev_b32_e32 v21, 16, v18
	v_cmp_nlt_f32_e64 s[0:1], v21, v20
	v_cmp_lt_f32_e32 vcc, v21, v20
	s_and_saveexec_b64 s[2:3], vcc
	s_cbranch_execnz .LBB101_199
; %bb.68:
	s_or_b64 exec, exec, s[2:3]
	v_mov_b32_e32 v20, s6
	s_and_saveexec_b64 s[2:3], s[0:1]
	s_cbranch_execnz .LBB101_200
.LBB101_69:
	s_or_b64 exec, exec, s[2:3]
	v_cmp_eq_u32_e32 vcc, v20, v14
	s_and_saveexec_b64 s[0:1], vcc
	s_cbranch_execz .LBB101_71
.LBB101_70:
	ds_read_u8 v20, v5 offset:258
	ds_read_u8 v21, v5 offset:256
	ds_write_b16 v6, v19
	ds_write_b16 v7, v18 offset:4
	s_waitcnt lgkmcnt(3)
	ds_write_b8 v5, v20 offset:256
	s_waitcnt lgkmcnt(3)
	ds_write_b8 v5, v21 offset:258
.LBB101_71:
	s_or_b64 exec, exec, s[0:1]
	s_waitcnt lgkmcnt(0)
	s_barrier
	ds_read_b32 v18, v3
                                        ; implicit-def: $sgpr6
	s_waitcnt lgkmcnt(0)
	v_and_b32_e32 v19, 0xffff0000, v18
	v_lshlrev_b32_e32 v20, 16, v18
	v_cmp_nlt_f32_e64 s[0:1], v20, v19
	v_cmp_lt_f32_e32 vcc, v20, v19
	s_and_saveexec_b64 s[2:3], vcc
	s_cbranch_execnz .LBB101_201
; %bb.72:
	s_or_b64 exec, exec, s[2:3]
	v_mov_b32_e32 v19, s6
	s_and_saveexec_b64 s[2:3], s[0:1]
	s_cbranch_execnz .LBB101_202
.LBB101_73:
	s_or_b64 exec, exec, s[2:3]
	v_cmp_eq_u32_e32 vcc, v19, v14
	s_and_saveexec_b64 s[0:1], vcc
	s_cbranch_execz .LBB101_75
.LBB101_74:
	v_add_u32_e32 v14, v3, v4
	ds_read_u8 v19, v1 offset:257
	ds_read_u8 v20, v14 offset:256
	v_alignbit_b32 v18, v18, v18, 16
	ds_write_b32 v3, v18
	s_waitcnt lgkmcnt(2)
	ds_write_b8 v14, v19 offset:256
	s_waitcnt lgkmcnt(2)
	ds_write_b8 v1, v20 offset:257
.LBB101_75:
	s_or_b64 exec, exec, s[0:1]
	v_and_b32_e32 v14, 31, v0
	v_sub_u32_e32 v14, v2, v14
	v_add_u32_e32 v18, 2, v14
	v_add_u32_e32 v20, v18, v14
	s_waitcnt lgkmcnt(0)
	s_barrier
	v_lshl_add_u32 v19, v14, 1, 2
	ds_read_u16 v22, v20 offset:64
	ds_read_u16 v21, v19
	s_mov_b32 s6, 1
	s_waitcnt lgkmcnt(1)
	v_lshlrev_b32_e32 v14, 16, v22
	s_waitcnt lgkmcnt(0)
	v_lshlrev_b32_e32 v23, 16, v21
	v_cmp_nlt_f32_e64 s[0:1], v23, v14
	v_cmp_lt_f32_e32 vcc, v23, v14
	s_and_saveexec_b64 s[2:3], vcc
	s_cbranch_execz .LBB101_77
; %bb.76:
	ds_read_u8 v14, v18 offset:256
	s_andn2_b64 s[0:1], s[0:1], exec
	s_waitcnt lgkmcnt(0)
	v_and_b32_e32 v14, 1, v14
	v_cmp_eq_u32_e32 vcc, 1, v14
	s_xor_b64 s[8:9], vcc, -1
	s_and_b64 s[8:9], s[8:9], exec
	s_or_b64 s[0:1], s[0:1], s[8:9]
.LBB101_77:
	s_or_b64 exec, exec, s[2:3]
	v_mov_b32_e32 v23, s6
	s_and_saveexec_b64 s[2:3], s[0:1]
	s_cbranch_execz .LBB101_79
; %bb.78:
	ds_read_u8 v14, v18 offset:288
	s_waitcnt lgkmcnt(0)
	v_xor_b32_e32 v23, 1, v14
.LBB101_79:
	s_or_b64 exec, exec, s[2:3]
	v_bfe_u32 v14, v0, 5, 1
	v_cmp_eq_u32_e32 vcc, v23, v14
	s_and_saveexec_b64 s[0:1], vcc
	s_cbranch_execz .LBB101_81
; %bb.80:
	ds_read_u8 v23, v18 offset:288
	ds_read_u8 v24, v18 offset:256
	ds_write_b16 v19, v22
	ds_write_b16 v20, v21 offset:64
	s_waitcnt lgkmcnt(3)
	ds_write_b8 v18, v23 offset:256
	s_waitcnt lgkmcnt(3)
	ds_write_b8 v18, v24 offset:288
.LBB101_81:
	s_or_b64 exec, exec, s[0:1]
	s_waitcnt lgkmcnt(0)
	s_barrier
	ds_read_u16 v22, v17 offset:32
	ds_read_u16 v21, v16
                                        ; implicit-def: $sgpr6
	s_waitcnt lgkmcnt(1)
	v_lshlrev_b32_e32 v23, 16, v22
	s_waitcnt lgkmcnt(0)
	v_lshlrev_b32_e32 v24, 16, v21
	v_cmp_nlt_f32_e64 s[0:1], v24, v23
	v_cmp_lt_f32_e32 vcc, v24, v23
	s_and_saveexec_b64 s[2:3], vcc
	s_cbranch_execnz .LBB101_203
; %bb.82:
	s_or_b64 exec, exec, s[2:3]
	v_mov_b32_e32 v23, s6
	s_and_saveexec_b64 s[2:3], s[0:1]
	s_cbranch_execnz .LBB101_204
.LBB101_83:
	s_or_b64 exec, exec, s[2:3]
	v_cmp_eq_u32_e32 vcc, v23, v14
	s_and_saveexec_b64 s[0:1], vcc
	s_cbranch_execz .LBB101_85
.LBB101_84:
	ds_read_u8 v23, v15 offset:272
	ds_read_u8 v24, v15 offset:256
	ds_write_b16 v16, v22
	ds_write_b16 v17, v21 offset:32
	s_waitcnt lgkmcnt(3)
	ds_write_b8 v15, v23 offset:256
	s_waitcnt lgkmcnt(3)
	ds_write_b8 v15, v24 offset:272
.LBB101_85:
	s_or_b64 exec, exec, s[0:1]
	s_waitcnt lgkmcnt(0)
	s_barrier
	ds_read_u16 v22, v13 offset:16
	ds_read_u16 v21, v12
                                        ; implicit-def: $sgpr6
	s_waitcnt lgkmcnt(1)
	v_lshlrev_b32_e32 v23, 16, v22
	s_waitcnt lgkmcnt(0)
	v_lshlrev_b32_e32 v24, 16, v21
	v_cmp_nlt_f32_e64 s[0:1], v24, v23
	v_cmp_lt_f32_e32 vcc, v24, v23
	s_and_saveexec_b64 s[2:3], vcc
	s_cbranch_execnz .LBB101_205
; %bb.86:
	s_or_b64 exec, exec, s[2:3]
	v_mov_b32_e32 v23, s6
	s_and_saveexec_b64 s[2:3], s[0:1]
	s_cbranch_execnz .LBB101_206
.LBB101_87:
	s_or_b64 exec, exec, s[2:3]
	v_cmp_eq_u32_e32 vcc, v23, v14
	s_and_saveexec_b64 s[0:1], vcc
	s_cbranch_execz .LBB101_89
.LBB101_88:
	ds_read_u8 v23, v11 offset:264
	ds_read_u8 v24, v11 offset:256
	ds_write_b16 v12, v22
	ds_write_b16 v13, v21 offset:16
	s_waitcnt lgkmcnt(3)
	ds_write_b8 v11, v23 offset:256
	s_waitcnt lgkmcnt(3)
	ds_write_b8 v11, v24 offset:264
.LBB101_89:
	s_or_b64 exec, exec, s[0:1]
	s_waitcnt lgkmcnt(0)
	s_barrier
	ds_read_u16 v22, v10 offset:8
	ds_read_u16 v21, v9
                                        ; implicit-def: $sgpr6
	s_waitcnt lgkmcnt(1)
	v_lshlrev_b32_e32 v23, 16, v22
	s_waitcnt lgkmcnt(0)
	v_lshlrev_b32_e32 v24, 16, v21
	v_cmp_nlt_f32_e64 s[0:1], v24, v23
	v_cmp_lt_f32_e32 vcc, v24, v23
	s_and_saveexec_b64 s[2:3], vcc
	s_cbranch_execnz .LBB101_207
; %bb.90:
	s_or_b64 exec, exec, s[2:3]
	v_mov_b32_e32 v23, s6
	s_and_saveexec_b64 s[2:3], s[0:1]
	s_cbranch_execnz .LBB101_208
.LBB101_91:
	s_or_b64 exec, exec, s[2:3]
	v_cmp_eq_u32_e32 vcc, v23, v14
	s_and_saveexec_b64 s[0:1], vcc
	s_cbranch_execz .LBB101_93
.LBB101_92:
	ds_read_u8 v23, v8 offset:260
	ds_read_u8 v24, v8 offset:256
	ds_write_b16 v9, v22
	ds_write_b16 v10, v21 offset:8
	s_waitcnt lgkmcnt(3)
	ds_write_b8 v8, v23 offset:256
	s_waitcnt lgkmcnt(3)
	ds_write_b8 v8, v24 offset:260
.LBB101_93:
	s_or_b64 exec, exec, s[0:1]
	s_waitcnt lgkmcnt(0)
	s_barrier
	ds_read_u16 v22, v7 offset:4
	ds_read_u16 v21, v6
                                        ; implicit-def: $sgpr6
	s_waitcnt lgkmcnt(1)
	v_lshlrev_b32_e32 v23, 16, v22
	s_waitcnt lgkmcnt(0)
	v_lshlrev_b32_e32 v24, 16, v21
	v_cmp_nlt_f32_e64 s[0:1], v24, v23
	v_cmp_lt_f32_e32 vcc, v24, v23
	s_and_saveexec_b64 s[2:3], vcc
	s_cbranch_execnz .LBB101_209
; %bb.94:
	s_or_b64 exec, exec, s[2:3]
	v_mov_b32_e32 v23, s6
	s_and_saveexec_b64 s[2:3], s[0:1]
	s_cbranch_execnz .LBB101_210
.LBB101_95:
	s_or_b64 exec, exec, s[2:3]
	v_cmp_eq_u32_e32 vcc, v23, v14
	s_and_saveexec_b64 s[0:1], vcc
	s_cbranch_execz .LBB101_97
.LBB101_96:
	ds_read_u8 v23, v5 offset:258
	ds_read_u8 v24, v5 offset:256
	ds_write_b16 v6, v22
	ds_write_b16 v7, v21 offset:4
	s_waitcnt lgkmcnt(3)
	ds_write_b8 v5, v23 offset:256
	s_waitcnt lgkmcnt(3)
	ds_write_b8 v5, v24 offset:258
.LBB101_97:
	s_or_b64 exec, exec, s[0:1]
	s_waitcnt lgkmcnt(0)
	s_barrier
	ds_read_b32 v21, v3
                                        ; implicit-def: $sgpr6
	s_waitcnt lgkmcnt(0)
	v_and_b32_e32 v22, 0xffff0000, v21
	v_lshlrev_b32_e32 v23, 16, v21
	v_cmp_nlt_f32_e64 s[0:1], v23, v22
	v_cmp_lt_f32_e32 vcc, v23, v22
	s_and_saveexec_b64 s[2:3], vcc
	s_cbranch_execnz .LBB101_211
; %bb.98:
	s_or_b64 exec, exec, s[2:3]
	v_mov_b32_e32 v22, s6
	s_and_saveexec_b64 s[2:3], s[0:1]
	s_cbranch_execnz .LBB101_212
.LBB101_99:
	s_or_b64 exec, exec, s[2:3]
	v_cmp_eq_u32_e32 vcc, v22, v14
	s_and_saveexec_b64 s[0:1], vcc
	s_cbranch_execz .LBB101_101
.LBB101_100:
	v_add_u32_e32 v14, v3, v4
	ds_read_u8 v22, v1 offset:257
	ds_read_u8 v23, v14 offset:256
	v_alignbit_b32 v21, v21, v21, 16
	ds_write_b32 v3, v21
	s_waitcnt lgkmcnt(2)
	ds_write_b8 v14, v22 offset:256
	s_waitcnt lgkmcnt(2)
	ds_write_b8 v1, v23 offset:257
.LBB101_101:
	s_or_b64 exec, exec, s[0:1]
	v_and_b32_e32 v14, 63, v0
	v_sub_u32_e32 v23, v2, v14
	v_add_u32_e32 v21, 2, v23
	v_lshl_add_u32 v22, v23, 1, 2
	v_add_u32_e32 v23, v21, v23
	s_waitcnt lgkmcnt(0)
	s_barrier
	ds_read_u16 v25, v23 offset:128
	ds_read_u16 v24, v22
	s_waitcnt lgkmcnt(1)
	v_lshlrev_b32_e32 v26, 16, v25
	s_waitcnt lgkmcnt(0)
	v_lshlrev_b32_e32 v27, 16, v24
	v_cmp_nlt_f32_e64 s[2:3], v27, v26
	v_cmp_lt_f32_e32 vcc, v27, v26
	s_and_saveexec_b64 s[0:1], vcc
	s_cbranch_execz .LBB101_103
; %bb.102:
	ds_read_u8 v26, v21 offset:256
	s_andn2_b64 s[2:3], s[2:3], exec
	s_waitcnt lgkmcnt(0)
	v_and_b32_e32 v26, 1, v26
	v_cmp_eq_u32_e32 vcc, 1, v26
	s_xor_b64 s[6:7], vcc, -1
	s_and_b64 s[6:7], s[6:7], exec
	s_or_b64 s[2:3], s[2:3], s[6:7]
.LBB101_103:
	s_or_b64 exec, exec, s[0:1]
	s_and_saveexec_b64 s[0:1], s[2:3]
	s_cbranch_execz .LBB101_106
; %bb.104:
	ds_read_u8 v26, v21 offset:320
	s_waitcnt lgkmcnt(0)
	v_cmp_ne_u16_e32 vcc, 0, v26
	s_and_b64 exec, exec, vcc
	s_cbranch_execz .LBB101_106
; %bb.105:
	ds_read_u8 v27, v21 offset:256
	ds_write_b16 v22, v25
	ds_write_b16 v23, v24 offset:128
	ds_write_b8 v21, v26 offset:256
	s_waitcnt lgkmcnt(3)
	ds_write_b8 v21, v27 offset:320
.LBB101_106:
	s_or_b64 exec, exec, s[0:1]
	s_waitcnt lgkmcnt(0)
	s_barrier
	ds_read_u16 v22, v20 offset:64
	ds_read_u16 v21, v19
	s_waitcnt lgkmcnt(1)
	v_lshlrev_b32_e32 v23, 16, v22
	s_waitcnt lgkmcnt(0)
	v_lshlrev_b32_e32 v24, 16, v21
	v_cmp_nlt_f32_e64 s[2:3], v24, v23
	v_cmp_lt_f32_e32 vcc, v24, v23
	s_and_saveexec_b64 s[0:1], vcc
	s_cbranch_execz .LBB101_108
; %bb.107:
	ds_read_u8 v23, v18 offset:256
	s_andn2_b64 s[2:3], s[2:3], exec
	s_waitcnt lgkmcnt(0)
	v_and_b32_e32 v23, 1, v23
	v_cmp_eq_u32_e32 vcc, 1, v23
	s_xor_b64 s[6:7], vcc, -1
	s_and_b64 s[6:7], s[6:7], exec
	s_or_b64 s[2:3], s[2:3], s[6:7]
.LBB101_108:
	s_or_b64 exec, exec, s[0:1]
	s_and_saveexec_b64 s[0:1], s[2:3]
	s_cbranch_execz .LBB101_111
; %bb.109:
	ds_read_u8 v23, v18 offset:288
	s_waitcnt lgkmcnt(0)
	v_cmp_ne_u16_e32 vcc, 0, v23
	s_and_b64 exec, exec, vcc
	s_cbranch_execz .LBB101_111
; %bb.110:
	ds_read_u8 v24, v18 offset:256
	ds_write_b16 v19, v22
	ds_write_b16 v20, v21 offset:64
	ds_write_b8 v18, v23 offset:256
	s_waitcnt lgkmcnt(3)
	ds_write_b8 v18, v24 offset:288
.LBB101_111:
	s_or_b64 exec, exec, s[0:1]
	;; [unrolled: 40-line block ×6, first 2 shown]
	s_waitcnt lgkmcnt(0)
	s_barrier
	ds_read_b32 v5, v3
	s_waitcnt lgkmcnt(0)
	v_and_b32_e32 v6, 0xffff0000, v5
	v_lshlrev_b32_e32 v7, 16, v5
	v_cmp_nlt_f32_e64 s[2:3], v7, v6
	v_cmp_lt_f32_e32 vcc, v7, v6
	s_and_saveexec_b64 s[0:1], vcc
	s_cbranch_execz .LBB101_133
; %bb.132:
	v_add_u32_e32 v6, v3, v4
	ds_read_u8 v6, v6 offset:256
	s_andn2_b64 s[2:3], s[2:3], exec
	s_waitcnt lgkmcnt(0)
	v_and_b32_e32 v6, 1, v6
	v_cmp_eq_u32_e32 vcc, 1, v6
	s_xor_b64 s[6:7], vcc, -1
	s_and_b64 s[6:7], s[6:7], exec
	s_or_b64 s[2:3], s[2:3], s[6:7]
.LBB101_133:
	s_or_b64 exec, exec, s[0:1]
	s_and_saveexec_b64 s[0:1], s[2:3]
	s_cbranch_execz .LBB101_136
; %bb.134:
	ds_read_u8 v6, v1 offset:257
	s_waitcnt lgkmcnt(0)
	v_cmp_ne_u16_e32 vcc, 0, v6
	s_and_b64 exec, exec, vcc
	s_cbranch_execz .LBB101_136
; %bb.135:
	v_add_u32_e32 v4, v3, v4
	ds_read_u8 v7, v4 offset:256
	v_alignbit_b32 v5, v5, v5, 16
	ds_write_b32 v3, v5
	ds_write_b8 v4, v6 offset:256
	s_waitcnt lgkmcnt(2)
	ds_write_b8 v1, v7 offset:257
.LBB101_136:
	s_or_b64 exec, exec, s[0:1]
	v_cmp_eq_u32_e32 vcc, 0, v0
	s_waitcnt lgkmcnt(0)
	s_barrier
	s_barrier
	s_and_saveexec_b64 s[0:1], vcc
	s_cbranch_execz .LBB101_138
; %bb.137:
	v_mov_b32_e32 v4, 2
	v_mov_b32_e32 v5, 1
	ds_write_b8 v4, v5 offset:260
	v_mov_b32_e32 v5, 0
	ds_write_b32 v4, v5 offset:256
.LBB101_138:
	s_or_b64 exec, exec, s[0:1]
	ds_read_b32 v5, v3
	s_add_i32 s10, 2, 0x100
	v_lshl_add_u32 v3, v2, 3, s10
	v_cmp_gt_u32_e64 s[2:3], 63, v0
	s_waitcnt lgkmcnt(0)
	v_and_b32_e32 v4, 0xffff0000, v5
	v_lshlrev_b32_e32 v5, 16, v5
	v_cmp_neq_f32_e64 s[0:1], v5, v4
	v_cndmask_b32_e64 v6, 0, 1, s[0:1]
	v_cmp_eq_f32_e64 s[0:1], v5, v4
	v_cndmask_b32_e64 v5, 0, 1, s[0:1]
	ds_write_b8 v3, v6 offset:12
	ds_write_b32 v3, v5 offset:8
	s_and_saveexec_b64 s[6:7], s[2:3]
	s_cbranch_execz .LBB101_140
; %bb.139:
	v_lshl_add_u32 v5, v2, 1, 2
	ds_read_u16 v5, v5 offset:4
	s_waitcnt lgkmcnt(0)
	v_lshlrev_b32_e32 v5, 16, v5
	v_cmp_neq_f32_e64 s[0:1], v4, v5
	v_cndmask_b32_e64 v6, 0, 1, s[0:1]
	v_cmp_eq_f32_e64 s[0:1], v4, v5
	v_cndmask_b32_e64 v4, 0, 1, s[0:1]
	ds_write_b8 v3, v6 offset:20
	ds_write_b32 v3, v4 offset:16
.LBB101_140:
	s_or_b64 exec, exec, s[6:7]
	v_cmp_gt_u32_e64 s[0:1], 64, v0
	v_lshl_add_u32 v4, v2, 3, 2
	s_waitcnt lgkmcnt(0)
	s_barrier
	s_and_saveexec_b64 s[8:9], s[0:1]
	s_cbranch_execz .LBB101_142
; %bb.141:
	ds_read_u8 v5, v3 offset:12
	ds_read_b32 v6, v4 offset:256
	ds_read_b32 v7, v3 offset:8
	ds_read_u8 v8, v4 offset:260
	s_waitcnt lgkmcnt(3)
	v_and_b32_e32 v9, 1, v5
	v_cmp_eq_u32_e64 s[6:7], 1, v9
	s_waitcnt lgkmcnt(2)
	v_cndmask_b32_e64 v6, v6, 0, s[6:7]
	s_waitcnt lgkmcnt(0)
	v_or_b32_e32 v5, v8, v5
	v_add_u32_e32 v6, v6, v7
	v_and_b32_e32 v5, 1, v5
	ds_write2_b32 v3, v6, v5 offset0:2 offset1:3
.LBB101_142:
	s_or_b64 exec, exec, s[8:9]
	v_lshlrev_b32_e32 v5, 1, v1
	v_add_u32_e32 v6, -1, v5
	v_cmp_gt_u32_e64 s[6:7], 32, v0
	s_waitcnt lgkmcnt(0)
	s_barrier
	s_and_saveexec_b64 s[8:9], s[6:7]
	s_cbranch_execz .LBB101_144
; %bb.143:
	v_lshl_add_u32 v7, v6, 3, 2
	ds_read_u8 v8, v7 offset:260
	v_lshl_add_u32 v9, v5, 3, 2
	ds_read_b32 v10, v9 offset:232
	ds_read_b32 v11, v7 offset:256
	ds_read_u8 v9, v9 offset:236
	s_waitcnt lgkmcnt(3)
	v_and_b32_e32 v12, 1, v8
	v_cmp_eq_u32_e64 s[6:7], 1, v12
	s_waitcnt lgkmcnt(2)
	v_cndmask_b32_e64 v10, v10, 0, s[6:7]
	s_waitcnt lgkmcnt(0)
	v_or_b32_e32 v8, v9, v8
	v_add_u32_e32 v10, v10, v11
	v_and_b32_e32 v8, 1, v8
	ds_write2_b32 v7, v10, v8 offset0:64 offset1:65
.LBB101_144:
	s_or_b64 exec, exec, s[8:9]
	v_lshlrev_b32_e32 v7, 2, v1
	v_add_u32_e32 v6, v6, v5
	v_cmp_gt_u32_e64 s[6:7], 16, v0
	s_waitcnt lgkmcnt(0)
	s_barrier
	s_and_saveexec_b64 s[8:9], s[6:7]
	s_cbranch_execz .LBB101_146
; %bb.145:
	v_lshl_add_u32 v8, v6, 3, 2
	ds_read_u8 v9, v8 offset:260
	v_lshl_add_u32 v10, v7, 3, 2
	ds_read_b32 v11, v10 offset:216
	ds_read_b32 v12, v8 offset:256
	ds_read_u8 v10, v10 offset:220
	s_waitcnt lgkmcnt(3)
	v_and_b32_e32 v13, 1, v9
	v_cmp_eq_u32_e64 s[6:7], 1, v13
	s_waitcnt lgkmcnt(2)
	v_cndmask_b32_e64 v11, v11, 0, s[6:7]
	s_waitcnt lgkmcnt(0)
	v_or_b32_e32 v9, v10, v9
	v_add_u32_e32 v11, v11, v12
	v_and_b32_e32 v9, 1, v9
	ds_write2_b32 v8, v11, v9 offset0:64 offset1:65
.LBB101_146:
	s_or_b64 exec, exec, s[8:9]
	v_lshlrev_b32_e32 v9, 3, v1
	v_add_u32_e32 v8, v6, v7
	;; [unrolled: 26-line block ×3, first 2 shown]
	v_cmp_gt_u32_e64 s[6:7], 4, v0
	s_waitcnt lgkmcnt(0)
	s_barrier
	s_and_saveexec_b64 s[8:9], s[6:7]
	s_cbranch_execz .LBB101_150
; %bb.149:
	v_lshl_add_u32 v12, v10, 3, 2
	ds_read_u8 v13, v12 offset:260
	v_lshl_add_u32 v15, v11, 3, 2
	ds_read_b32 v16, v15 offset:120
	ds_read_b32 v17, v12 offset:256
	ds_read_u8 v15, v15 offset:124
	s_waitcnt lgkmcnt(3)
	v_and_b32_e32 v18, 1, v13
	v_cmp_eq_u32_e64 s[6:7], 1, v18
	s_waitcnt lgkmcnt(2)
	v_cndmask_b32_e64 v16, v16, 0, s[6:7]
	s_waitcnt lgkmcnt(0)
	v_or_b32_e32 v13, v15, v13
	v_add_u32_e32 v16, v16, v17
	v_and_b32_e32 v13, 1, v13
	ds_write2_b32 v12, v16, v13 offset0:64 offset1:65
.LBB101_150:
	s_or_b64 exec, exec, s[8:9]
	v_add_u32_e32 v12, v10, v11
	v_cmp_gt_u32_e64 s[6:7], 2, v0
	v_lshl_add_u32 v12, v12, 3, 2
	s_waitcnt lgkmcnt(0)
	s_barrier
	s_and_saveexec_b64 s[8:9], s[6:7]
	s_cbranch_execz .LBB101_152
; %bb.151:
	v_lshl_add_u32 v1, v1, 8, 2
	v_add_u32_e32 v13, -8, v1
	ds_read_u8 v15, v12 offset:260
	ds_read_b32 v13, v13
	v_add_u32_e32 v1, -4, v1
	ds_read_b32 v16, v12 offset:256
	ds_read_u8 v1, v1
	s_waitcnt lgkmcnt(3)
	v_and_b32_e32 v17, 1, v15
	v_cmp_eq_u32_e64 s[6:7], 1, v17
	s_waitcnt lgkmcnt(2)
	v_cndmask_b32_e64 v13, v13, 0, s[6:7]
	s_waitcnt lgkmcnt(0)
	v_or_b32_e32 v1, v1, v15
	v_add_u32_e32 v13, v13, v16
	v_and_b32_e32 v1, 1, v1
	ds_write2_b32 v12, v13, v1 offset0:64 offset1:65
.LBB101_152:
	s_or_b64 exec, exec, s[8:9]
	s_waitcnt lgkmcnt(0)
	s_barrier
	s_and_saveexec_b64 s[8:9], vcc
	s_cbranch_execz .LBB101_154
; %bb.153:
	v_mov_b32_e32 v1, 2
	s_movk_i32 s6, 0xf8
	ds_read_u8 v13, v1 offset:1276
	v_add_u32_e64 v15, s6, 2
	ds_read2st64_b32 v[16:17], v15 offset0:2 offset1:4
	ds_read_u8 v1, v1 offset:764
	s_add_i32 s11, 2, 0x4f8
	s_waitcnt lgkmcnt(2)
	v_and_b32_e32 v15, 1, v13
	v_cmp_eq_u32_e64 s[6:7], 1, v15
	s_waitcnt lgkmcnt(1)
	v_cndmask_b32_e64 v15, v16, 0, s[6:7]
	s_waitcnt lgkmcnt(0)
	v_or_b32_e32 v1, v1, v13
	v_add_u32_e32 v15, v15, v17
	v_and_b32_e32 v1, 1, v1
	v_mov_b32_e32 v13, s11
	ds_write2_b32 v13, v15, v1 offset1:1
.LBB101_154:
	s_or_b64 exec, exec, s[8:9]
	s_waitcnt lgkmcnt(0)
	s_barrier
	s_and_saveexec_b64 s[8:9], vcc
	s_cbranch_execz .LBB101_156
; %bb.155:
	v_mov_b32_e32 v1, 2
	ds_read_u8 v13, v1 offset:1020
	ds_read_b32 v15, v12 offset:256
	ds_read_b32 v16, v1 offset:1016
	ds_read_u8 v12, v12 offset:260
	s_waitcnt lgkmcnt(3)
	v_and_b32_e32 v17, 1, v13
	v_cmp_eq_u32_e64 s[6:7], 1, v17
	s_waitcnt lgkmcnt(2)
	v_cndmask_b32_e64 v15, v15, 0, s[6:7]
	s_waitcnt lgkmcnt(0)
	v_or_b32_e32 v12, v12, v13
	v_add_u32_e32 v15, v15, v16
	v_and_b32_e32 v12, 1, v12
	ds_write2_b32 v1, v15, v12 offset0:254 offset1:255
.LBB101_156:
	s_or_b64 exec, exec, s[8:9]
	v_cmp_gt_u32_e64 s[6:7], 3, v0
	s_waitcnt lgkmcnt(0)
	s_barrier
	s_and_saveexec_b64 s[8:9], s[6:7]
	s_cbranch_execz .LBB101_158
; %bb.157:
	v_lshl_add_u32 v1, v11, 3, s10
	ds_read_u8 v11, v1 offset:124
	v_lshl_add_u32 v10, v10, 3, s10
	ds_read_b32 v12, v10
	ds_read_b32 v13, v1 offset:120
	ds_read_u8 v10, v10 offset:4
	s_waitcnt lgkmcnt(3)
	v_and_b32_e32 v15, 1, v11
	v_cmp_eq_u32_e64 s[6:7], 1, v15
	s_waitcnt lgkmcnt(2)
	v_cndmask_b32_e64 v12, v12, 0, s[6:7]
	s_waitcnt lgkmcnt(0)
	v_or_b32_e32 v10, v10, v11
	v_add_u32_e32 v12, v12, v13
	v_and_b32_e32 v10, 1, v10
	ds_write2_b32 v1, v12, v10 offset0:30 offset1:31
.LBB101_158:
	s_or_b64 exec, exec, s[8:9]
	v_cmp_gt_u32_e64 s[6:7], 7, v0
	s_waitcnt lgkmcnt(0)
	s_barrier
	s_and_saveexec_b64 s[8:9], s[6:7]
	s_cbranch_execz .LBB101_160
; %bb.159:
	v_lshl_add_u32 v1, v9, 3, s10
	ds_read_u8 v9, v1 offset:60
	v_lshl_add_u32 v8, v8, 3, s10
	ds_read_b32 v10, v8
	ds_read_b32 v11, v1 offset:56
	ds_read_u8 v8, v8 offset:4
	s_waitcnt lgkmcnt(3)
	v_and_b32_e32 v12, 1, v9
	v_cmp_eq_u32_e64 s[6:7], 1, v12
	s_waitcnt lgkmcnt(2)
	v_cndmask_b32_e64 v10, v10, 0, s[6:7]
	s_waitcnt lgkmcnt(0)
	v_or_b32_e32 v8, v8, v9
	v_add_u32_e32 v10, v10, v11
	v_and_b32_e32 v8, 1, v8
	ds_write2_b32 v1, v10, v8 offset0:14 offset1:15
.LBB101_160:
	;; [unrolled: 24-line block ×3, first 2 shown]
	s_or_b64 exec, exec, s[8:9]
	v_cmp_gt_u32_e64 s[6:7], 31, v0
	s_waitcnt lgkmcnt(0)
	s_barrier
	s_and_saveexec_b64 s[8:9], s[6:7]
	s_cbranch_execz .LBB101_164
; %bb.163:
	v_lshl_add_u32 v1, v5, 3, s10
	ds_read_u8 v5, v1 offset:12
	v_add_u32_e32 v6, -8, v1
	ds_read_b32 v7, v6
	ds_read_b32 v8, v1 offset:8
	ds_read_u8 v6, v6 offset:4
	s_waitcnt lgkmcnt(3)
	v_and_b32_e32 v9, 1, v5
	v_cmp_eq_u32_e64 s[6:7], 1, v9
	s_waitcnt lgkmcnt(2)
	v_cndmask_b32_e64 v7, v7, 0, s[6:7]
	s_waitcnt lgkmcnt(0)
	v_or_b32_e32 v5, v6, v5
	v_add_u32_e32 v7, v7, v8
	v_and_b32_e32 v5, 1, v5
	ds_write2_b32 v1, v7, v5 offset0:2 offset1:3
.LBB101_164:
	s_or_b64 exec, exec, s[8:9]
	s_waitcnt lgkmcnt(0)
	s_barrier
	s_and_saveexec_b64 s[6:7], s[2:3]
	s_cbranch_execz .LBB101_166
; %bb.165:
	ds_read_u8 v1, v3 offset:20
	ds_read_u8 v5, v3 offset:12
	ds_read2_b32 v[6:7], v3 offset0:2 offset1:4
	s_waitcnt lgkmcnt(2)
	v_and_b32_e32 v8, 1, v1
	v_cmp_eq_u32_e64 s[2:3], 1, v8
	s_waitcnt lgkmcnt(1)
	v_or_b32_e32 v1, v5, v1
	s_waitcnt lgkmcnt(0)
	v_cndmask_b32_e64 v5, v6, 0, s[2:3]
	v_add_u32_e32 v5, v5, v7
	v_and_b32_e32 v1, 1, v1
	ds_write2_b32 v3, v5, v1 offset0:4 offset1:5
.LBB101_166:
	s_or_b64 exec, exec, s[6:7]
	s_waitcnt lgkmcnt(0)
	s_barrier
	ds_read_b32 v1, v4 offset:256
	ds_read_b32 v3, v3 offset:8
	v_cmp_gt_u32_e64 s[2:3], s16, v2
	v_or_b32_e32 v4, 1, v2
	v_cmp_gt_u32_e64 s[6:7], s16, v4
	s_waitcnt lgkmcnt(1)
	v_cndmask_b32_e64 v5, 0, v1, s[2:3]
	v_mbcnt_lo_u32_b32 v1, -1, 0
	v_mbcnt_hi_u32_b32 v12, -1, v1
	v_and_b32_e32 v13, 63, v12
	v_cmp_gt_u32_e64 s[8:9], 32, v13
	v_cndmask_b32_e64 v1, 0, 1, s[8:9]
	s_waitcnt lgkmcnt(0)
	v_cndmask_b32_e64 v3, 0, v3, s[6:7]
	v_lshlrev_b32_e32 v1, 5, v1
	v_cndmask_b32_e64 v6, 0, v2, s[2:3]
	v_max_u32_e32 v7, v3, v5
	v_add_lshl_u32 v1, v1, v12, 2
	v_cndmask_b32_e64 v8, 0, v4, s[6:7]
	v_cmp_gt_u32_e64 s[8:9], v3, v5
	ds_bpermute_b32 v9, v1, v7
	v_cndmask_b32_e64 v3, v6, v8, s[8:9]
	ds_bpermute_b32 v5, v1, v3
	v_cmp_gt_u32_e64 s[8:9], 48, v13
	v_cndmask_b32_e64 v8, 0, 1, s[8:9]
	v_lshlrev_b32_e32 v8, 4, v8
	s_waitcnt lgkmcnt(1)
	v_max_u32_e32 v6, v9, v7
	v_add_lshl_u32 v8, v8, v12, 2
	v_cmp_gt_u32_e64 s[8:9], v9, v7
	ds_bpermute_b32 v10, v8, v6
	s_waitcnt lgkmcnt(1)
	v_cndmask_b32_e64 v3, v3, v5, s[8:9]
	ds_bpermute_b32 v5, v8, v3
	v_cmp_gt_u32_e64 s[8:9], 56, v13
	v_cndmask_b32_e64 v9, 0, 1, s[8:9]
	v_lshlrev_b32_e32 v9, 3, v9
	s_waitcnt lgkmcnt(1)
	v_max_u32_e32 v7, v10, v6
	v_add_lshl_u32 v9, v9, v12, 2
	v_cmp_gt_u32_e64 s[8:9], v10, v6
	ds_bpermute_b32 v11, v9, v7
	s_waitcnt lgkmcnt(1)
	;; [unrolled: 11-line block ×4, first 2 shown]
	v_cndmask_b32_e64 v5, v3, v5, s[8:9]
	ds_bpermute_b32 v6, v11, v5
	s_waitcnt lgkmcnt(0)
	s_barrier
	v_cmp_gt_u32_e64 s[8:9], v16, v7
	v_max_u32_e32 v3, v16, v7
	v_cndmask_b32_e64 v5, v5, v6, s[8:9]
	v_cmp_ne_u32_e64 s[8:9], 63, v13
	v_addc_co_u32_e64 v6, s[8:9], 0, v12, s[8:9]
	v_lshlrev_b32_e32 v12, 2, v6
	ds_bpermute_b32 v6, v12, v5
	ds_bpermute_b32 v7, v12, v3
	v_cmp_eq_u32_e64 s[8:9], 0, v14
	s_waitcnt lgkmcnt(0)
	s_barrier
	s_and_saveexec_b64 s[12:13], s[8:9]
	s_cbranch_execz .LBB101_168
; %bb.167:
	v_lshrrev_b32_e32 v13, 3, v0
	v_cmp_gt_u32_e64 s[10:11], v7, v3
	v_add_u32_e32 v13, 2, v13
	v_cndmask_b32_e64 v5, v5, v6, s[10:11]
	v_max_u32_e32 v3, v7, v3
	ds_write2_b32 v13, v3, v5 offset0:64 offset1:65
.LBB101_168:
	s_or_b64 exec, exec, s[12:13]
	s_lshr_b32 s10, s20, 6
	v_cmp_gt_u32_e64 s[10:11], s10, v0
	v_lshl_add_u32 v13, v14, 3, 2
	v_mov_b32_e32 v3, 0
	v_mov_b32_e32 v5, 0
	s_waitcnt lgkmcnt(0)
	s_barrier
	s_and_saveexec_b64 s[12:13], s[10:11]
	s_cbranch_execnz .LBB101_213
; %bb.169:
	s_or_b64 exec, exec, s[12:13]
	s_and_saveexec_b64 s[12:13], s[10:11]
	s_cbranch_execnz .LBB101_214
.LBB101_170:
	s_or_b64 exec, exec, s[12:13]
	s_and_saveexec_b64 s[20:21], s[0:1]
	s_cbranch_execnz .LBB101_215
.LBB101_171:
	s_or_b64 exec, exec, s[20:21]
	s_and_saveexec_b64 s[12:13], vcc
	s_cbranch_execz .LBB101_173
.LBB101_172:
	s_waitcnt lgkmcnt(0)
	v_lshl_add_u32 v3, v3, 1, 2
	ds_read_u16 v3, v3
	v_mov_b32_e32 v5, 0
	s_waitcnt lgkmcnt(0)
	ds_write_b16 v5, v3
.LBB101_173:
	s_or_b64 exec, exec, s[12:13]
	s_mov_b32 s20, 0
	s_waitcnt lgkmcnt(0)
	v_mov_b32_e32 v3, 0
	s_mov_b32 s21, s20
	v_cmp_gt_i64_e64 s[12:13], s[16:17], v[2:3]
	v_pk_mov_b32 v[6:7], s[20:21], s[20:21] op_sel:[0,1]
	s_barrier
	s_and_saveexec_b64 s[20:21], s[12:13]
	s_cbranch_execz .LBB101_175
; %bb.174:
	v_add_u32_e32 v6, s15, v2
	v_mov_b32_e32 v7, v3
	v_lshlrev_b64 v[6:7], 1, v[6:7]
	v_mov_b32_e32 v5, s19
	v_add_co_u32_e64 v6, s[12:13], s18, v6
	v_addc_co_u32_e64 v7, s[12:13], v5, v7, s[12:13]
	global_load_ushort v5, v[6:7], off
	ds_read_u16 v6, v3
	s_waitcnt lgkmcnt(0)
	v_lshlrev_b32_e32 v6, 16, v6
	s_waitcnt vmcnt(0)
	v_lshlrev_b32_e32 v5, 16, v5
	v_cmp_eq_f32_e64 s[12:13], v5, v6
	v_cndmask_b32_e64 v2, 0, v2, s[12:13]
	v_pk_mov_b32 v[6:7], v[2:3], v[2:3] op_sel:[0,1]
.LBB101_175:
	s_or_b64 exec, exec, s[20:21]
	v_mov_b32_e32 v5, v3
	v_cmp_gt_i64_e64 s[12:13], s[16:17], v[4:5]
	s_and_saveexec_b64 s[16:17], s[12:13]
	s_cbranch_execz .LBB101_177
; %bb.176:
	v_add_u32_e32 v2, s15, v4
	v_mov_b32_e32 v3, 0
	v_lshlrev_b64 v[16:17], 1, v[2:3]
	v_mov_b32_e32 v2, s19
	v_add_co_u32_e64 v16, s[12:13], s18, v16
	v_addc_co_u32_e64 v17, s[12:13], v2, v17, s[12:13]
	global_load_ushort v2, v[16:17], off
	ds_read_u16 v3, v3
	s_waitcnt lgkmcnt(0)
	v_lshlrev_b32_e32 v3, 16, v3
	s_waitcnt vmcnt(0)
	v_lshlrev_b32_e32 v2, 16, v2
	v_cmp_eq_f32_e64 s[12:13], v2, v3
	v_cndmask_b32_e64 v7, 0, v4, s[12:13]
.LBB101_177:
	s_or_b64 exec, exec, s[16:17]
	v_cndmask_b32_e64 v2, 0, v6, s[2:3]
	v_cndmask_b32_e64 v3, 0, v7, s[6:7]
	v_max_u32_e32 v2, v3, v2
	ds_bpermute_b32 v3, v1, v2
	s_waitcnt lgkmcnt(0)
	s_barrier
	v_max_u32_e32 v2, v3, v2
	ds_bpermute_b32 v3, v8, v2
	s_waitcnt lgkmcnt(0)
	v_max_u32_e32 v2, v3, v2
	ds_bpermute_b32 v3, v9, v2
	s_waitcnt lgkmcnt(0)
	;; [unrolled: 3-line block ×4, first 2 shown]
	v_max_u32_e32 v2, v3, v2
	ds_bpermute_b32 v3, v12, v2
	s_and_saveexec_b64 s[2:3], s[8:9]
	s_cbranch_execz .LBB101_179
; %bb.178:
	v_lshrrev_b32_e32 v0, 4, v0
	v_add_u32_e32 v0, 2, v0
	s_waitcnt lgkmcnt(0)
	v_max_u32_e32 v2, v3, v2
	ds_write_b32 v0, v2
.LBB101_179:
	s_or_b64 exec, exec, s[2:3]
	v_mov_b32_e32 v0, 0
	s_waitcnt lgkmcnt(0)
	s_barrier
	s_and_saveexec_b64 s[2:3], s[10:11]
	s_cbranch_execnz .LBB101_216
; %bb.180:
	s_or_b64 exec, exec, s[2:3]
	s_and_saveexec_b64 s[2:3], s[0:1]
	s_cbranch_execnz .LBB101_217
.LBB101_181:
	s_or_b64 exec, exec, s[2:3]
	s_and_saveexec_b64 s[0:1], vcc
	s_cbranch_execnz .LBB101_218
.LBB101_182:
	s_endpgm
.LBB101_183:
	v_add_u32_e32 v10, v3, v4
	ds_read_u8 v10, v10 offset:256
	s_andn2_b64 s[0:1], s[0:1], exec
	s_mov_b32 s6, 1
	s_waitcnt lgkmcnt(0)
	v_and_b32_e32 v10, 1, v10
	v_cmp_eq_u32_e32 vcc, 1, v10
	s_xor_b64 s[8:9], vcc, -1
	s_and_b64 s[8:9], s[8:9], exec
	s_or_b64 s[0:1], s[0:1], s[8:9]
	s_or_b64 exec, exec, s[2:3]
	v_mov_b32_e32 v10, s6
	s_and_saveexec_b64 s[2:3], s[0:1]
	s_cbranch_execz .LBB101_19
.LBB101_184:
	ds_read_u8 v10, v1 offset:257
	s_waitcnt lgkmcnt(0)
	v_xor_b32_e32 v10, 1, v10
	s_or_b64 exec, exec, s[2:3]
	v_cmp_eq_u32_e32 vcc, v10, v8
	s_and_saveexec_b64 s[0:1], vcc
	s_cbranch_execnz .LBB101_20
	s_branch .LBB101_21
.LBB101_185:
	ds_read_u8 v14, v5 offset:256
	s_andn2_b64 s[0:1], s[0:1], exec
	s_mov_b32 s6, 1
	s_waitcnt lgkmcnt(0)
	v_and_b32_e32 v14, 1, v14
	v_cmp_eq_u32_e32 vcc, 1, v14
	s_xor_b64 s[8:9], vcc, -1
	s_and_b64 s[8:9], s[8:9], exec
	s_or_b64 s[0:1], s[0:1], s[8:9]
	s_or_b64 exec, exec, s[2:3]
	v_mov_b32_e32 v14, s6
	s_and_saveexec_b64 s[2:3], s[0:1]
	s_cbranch_execz .LBB101_29
.LBB101_186:
	ds_read_u8 v14, v5 offset:258
	s_waitcnt lgkmcnt(0)
	v_xor_b32_e32 v14, 1, v14
	s_or_b64 exec, exec, s[2:3]
	v_cmp_eq_u32_e32 vcc, v14, v11
	s_and_saveexec_b64 s[0:1], vcc
	s_cbranch_execnz .LBB101_30
	s_branch .LBB101_31
.LBB101_187:
	v_add_u32_e32 v13, v3, v4
	ds_read_u8 v13, v13 offset:256
	s_andn2_b64 s[0:1], s[0:1], exec
	s_mov_b32 s6, 1
	s_waitcnt lgkmcnt(0)
	v_and_b32_e32 v13, 1, v13
	v_cmp_eq_u32_e32 vcc, 1, v13
	s_xor_b64 s[8:9], vcc, -1
	s_and_b64 s[8:9], s[8:9], exec
	s_or_b64 s[0:1], s[0:1], s[8:9]
	s_or_b64 exec, exec, s[2:3]
	v_mov_b32_e32 v13, s6
	s_and_saveexec_b64 s[2:3], s[0:1]
	s_cbranch_execz .LBB101_33
.LBB101_188:
	ds_read_u8 v13, v1 offset:257
	s_waitcnt lgkmcnt(0)
	v_xor_b32_e32 v13, 1, v13
	s_or_b64 exec, exec, s[2:3]
	v_cmp_eq_u32_e32 vcc, v13, v11
	s_and_saveexec_b64 s[0:1], vcc
	s_cbranch_execnz .LBB101_34
	s_branch .LBB101_35
.LBB101_189:
	ds_read_u8 v17, v8 offset:256
	s_andn2_b64 s[0:1], s[0:1], exec
	s_mov_b32 s6, 1
	s_waitcnt lgkmcnt(0)
	v_and_b32_e32 v17, 1, v17
	v_cmp_eq_u32_e32 vcc, 1, v17
	s_xor_b64 s[8:9], vcc, -1
	s_and_b64 s[8:9], s[8:9], exec
	s_or_b64 s[0:1], s[0:1], s[8:9]
	s_or_b64 exec, exec, s[2:3]
	v_mov_b32_e32 v17, s6
	s_and_saveexec_b64 s[2:3], s[0:1]
	s_cbranch_execz .LBB101_43
.LBB101_190:
	ds_read_u8 v17, v8 offset:260
	s_waitcnt lgkmcnt(0)
	v_xor_b32_e32 v17, 1, v17
	s_or_b64 exec, exec, s[2:3]
	v_cmp_eq_u32_e32 vcc, v17, v14
	s_and_saveexec_b64 s[0:1], vcc
	s_cbranch_execnz .LBB101_44
	s_branch .LBB101_45
.LBB101_191:
	ds_read_u8 v17, v5 offset:256
	s_andn2_b64 s[0:1], s[0:1], exec
	s_mov_b32 s6, 1
	s_waitcnt lgkmcnt(0)
	v_and_b32_e32 v17, 1, v17
	v_cmp_eq_u32_e32 vcc, 1, v17
	s_xor_b64 s[8:9], vcc, -1
	s_and_b64 s[8:9], s[8:9], exec
	s_or_b64 s[0:1], s[0:1], s[8:9]
	s_or_b64 exec, exec, s[2:3]
	v_mov_b32_e32 v17, s6
	s_and_saveexec_b64 s[2:3], s[0:1]
	s_cbranch_execz .LBB101_47
.LBB101_192:
	ds_read_u8 v17, v5 offset:258
	s_waitcnt lgkmcnt(0)
	v_xor_b32_e32 v17, 1, v17
	s_or_b64 exec, exec, s[2:3]
	v_cmp_eq_u32_e32 vcc, v17, v14
	s_and_saveexec_b64 s[0:1], vcc
	s_cbranch_execnz .LBB101_48
	s_branch .LBB101_49
.LBB101_193:
	v_add_u32_e32 v16, v3, v4
	ds_read_u8 v16, v16 offset:256
	s_andn2_b64 s[0:1], s[0:1], exec
	s_mov_b32 s6, 1
	s_waitcnt lgkmcnt(0)
	v_and_b32_e32 v16, 1, v16
	v_cmp_eq_u32_e32 vcc, 1, v16
	s_xor_b64 s[8:9], vcc, -1
	s_and_b64 s[8:9], s[8:9], exec
	s_or_b64 s[0:1], s[0:1], s[8:9]
	s_or_b64 exec, exec, s[2:3]
	v_mov_b32_e32 v16, s6
	s_and_saveexec_b64 s[2:3], s[0:1]
	s_cbranch_execz .LBB101_51
.LBB101_194:
	ds_read_u8 v16, v1 offset:257
	s_waitcnt lgkmcnt(0)
	v_xor_b32_e32 v16, 1, v16
	s_or_b64 exec, exec, s[2:3]
	v_cmp_eq_u32_e32 vcc, v16, v14
	s_and_saveexec_b64 s[0:1], vcc
	s_cbranch_execnz .LBB101_52
	s_branch .LBB101_53
.LBB101_195:
	ds_read_u8 v20, v11 offset:256
	s_andn2_b64 s[0:1], s[0:1], exec
	s_mov_b32 s6, 1
	s_waitcnt lgkmcnt(0)
	v_and_b32_e32 v20, 1, v20
	v_cmp_eq_u32_e32 vcc, 1, v20
	s_xor_b64 s[8:9], vcc, -1
	s_and_b64 s[8:9], s[8:9], exec
	s_or_b64 s[0:1], s[0:1], s[8:9]
	s_or_b64 exec, exec, s[2:3]
	v_mov_b32_e32 v20, s6
	s_and_saveexec_b64 s[2:3], s[0:1]
	s_cbranch_execz .LBB101_61
.LBB101_196:
	ds_read_u8 v20, v11 offset:264
	s_waitcnt lgkmcnt(0)
	v_xor_b32_e32 v20, 1, v20
	s_or_b64 exec, exec, s[2:3]
	v_cmp_eq_u32_e32 vcc, v20, v14
	s_and_saveexec_b64 s[0:1], vcc
	s_cbranch_execnz .LBB101_62
	s_branch .LBB101_63
.LBB101_197:
	ds_read_u8 v20, v8 offset:256
	s_andn2_b64 s[0:1], s[0:1], exec
	s_mov_b32 s6, 1
	s_waitcnt lgkmcnt(0)
	v_and_b32_e32 v20, 1, v20
	v_cmp_eq_u32_e32 vcc, 1, v20
	s_xor_b64 s[8:9], vcc, -1
	s_and_b64 s[8:9], s[8:9], exec
	s_or_b64 s[0:1], s[0:1], s[8:9]
	s_or_b64 exec, exec, s[2:3]
	v_mov_b32_e32 v20, s6
	s_and_saveexec_b64 s[2:3], s[0:1]
	s_cbranch_execz .LBB101_65
.LBB101_198:
	ds_read_u8 v20, v8 offset:260
	s_waitcnt lgkmcnt(0)
	v_xor_b32_e32 v20, 1, v20
	s_or_b64 exec, exec, s[2:3]
	v_cmp_eq_u32_e32 vcc, v20, v14
	s_and_saveexec_b64 s[0:1], vcc
	s_cbranch_execnz .LBB101_66
	s_branch .LBB101_67
.LBB101_199:
	ds_read_u8 v20, v5 offset:256
	s_andn2_b64 s[0:1], s[0:1], exec
	s_mov_b32 s6, 1
	s_waitcnt lgkmcnt(0)
	v_and_b32_e32 v20, 1, v20
	v_cmp_eq_u32_e32 vcc, 1, v20
	s_xor_b64 s[8:9], vcc, -1
	s_and_b64 s[8:9], s[8:9], exec
	s_or_b64 s[0:1], s[0:1], s[8:9]
	s_or_b64 exec, exec, s[2:3]
	v_mov_b32_e32 v20, s6
	s_and_saveexec_b64 s[2:3], s[0:1]
	s_cbranch_execz .LBB101_69
.LBB101_200:
	ds_read_u8 v20, v5 offset:258
	s_waitcnt lgkmcnt(0)
	v_xor_b32_e32 v20, 1, v20
	s_or_b64 exec, exec, s[2:3]
	v_cmp_eq_u32_e32 vcc, v20, v14
	s_and_saveexec_b64 s[0:1], vcc
	s_cbranch_execnz .LBB101_70
	s_branch .LBB101_71
.LBB101_201:
	v_add_u32_e32 v19, v3, v4
	ds_read_u8 v19, v19 offset:256
	s_andn2_b64 s[0:1], s[0:1], exec
	s_mov_b32 s6, 1
	s_waitcnt lgkmcnt(0)
	v_and_b32_e32 v19, 1, v19
	v_cmp_eq_u32_e32 vcc, 1, v19
	s_xor_b64 s[8:9], vcc, -1
	s_and_b64 s[8:9], s[8:9], exec
	s_or_b64 s[0:1], s[0:1], s[8:9]
	s_or_b64 exec, exec, s[2:3]
	v_mov_b32_e32 v19, s6
	s_and_saveexec_b64 s[2:3], s[0:1]
	s_cbranch_execz .LBB101_73
.LBB101_202:
	ds_read_u8 v19, v1 offset:257
	s_waitcnt lgkmcnt(0)
	v_xor_b32_e32 v19, 1, v19
	s_or_b64 exec, exec, s[2:3]
	v_cmp_eq_u32_e32 vcc, v19, v14
	s_and_saveexec_b64 s[0:1], vcc
	s_cbranch_execnz .LBB101_74
	s_branch .LBB101_75
.LBB101_203:
	ds_read_u8 v23, v15 offset:256
	s_andn2_b64 s[0:1], s[0:1], exec
	s_mov_b32 s6, 1
	s_waitcnt lgkmcnt(0)
	v_and_b32_e32 v23, 1, v23
	v_cmp_eq_u32_e32 vcc, 1, v23
	s_xor_b64 s[8:9], vcc, -1
	s_and_b64 s[8:9], s[8:9], exec
	s_or_b64 s[0:1], s[0:1], s[8:9]
	s_or_b64 exec, exec, s[2:3]
	v_mov_b32_e32 v23, s6
	s_and_saveexec_b64 s[2:3], s[0:1]
	s_cbranch_execz .LBB101_83
.LBB101_204:
	ds_read_u8 v23, v15 offset:272
	s_waitcnt lgkmcnt(0)
	v_xor_b32_e32 v23, 1, v23
	s_or_b64 exec, exec, s[2:3]
	v_cmp_eq_u32_e32 vcc, v23, v14
	s_and_saveexec_b64 s[0:1], vcc
	s_cbranch_execnz .LBB101_84
	s_branch .LBB101_85
.LBB101_205:
	ds_read_u8 v23, v11 offset:256
	s_andn2_b64 s[0:1], s[0:1], exec
	s_mov_b32 s6, 1
	s_waitcnt lgkmcnt(0)
	v_and_b32_e32 v23, 1, v23
	v_cmp_eq_u32_e32 vcc, 1, v23
	s_xor_b64 s[8:9], vcc, -1
	s_and_b64 s[8:9], s[8:9], exec
	s_or_b64 s[0:1], s[0:1], s[8:9]
	s_or_b64 exec, exec, s[2:3]
	v_mov_b32_e32 v23, s6
	s_and_saveexec_b64 s[2:3], s[0:1]
	s_cbranch_execz .LBB101_87
.LBB101_206:
	ds_read_u8 v23, v11 offset:264
	s_waitcnt lgkmcnt(0)
	v_xor_b32_e32 v23, 1, v23
	s_or_b64 exec, exec, s[2:3]
	v_cmp_eq_u32_e32 vcc, v23, v14
	s_and_saveexec_b64 s[0:1], vcc
	s_cbranch_execnz .LBB101_88
	s_branch .LBB101_89
.LBB101_207:
	ds_read_u8 v23, v8 offset:256
	s_andn2_b64 s[0:1], s[0:1], exec
	s_mov_b32 s6, 1
	s_waitcnt lgkmcnt(0)
	v_and_b32_e32 v23, 1, v23
	v_cmp_eq_u32_e32 vcc, 1, v23
	s_xor_b64 s[8:9], vcc, -1
	s_and_b64 s[8:9], s[8:9], exec
	s_or_b64 s[0:1], s[0:1], s[8:9]
	s_or_b64 exec, exec, s[2:3]
	v_mov_b32_e32 v23, s6
	s_and_saveexec_b64 s[2:3], s[0:1]
	s_cbranch_execz .LBB101_91
.LBB101_208:
	ds_read_u8 v23, v8 offset:260
	s_waitcnt lgkmcnt(0)
	v_xor_b32_e32 v23, 1, v23
	s_or_b64 exec, exec, s[2:3]
	v_cmp_eq_u32_e32 vcc, v23, v14
	s_and_saveexec_b64 s[0:1], vcc
	s_cbranch_execnz .LBB101_92
	s_branch .LBB101_93
.LBB101_209:
	ds_read_u8 v23, v5 offset:256
	s_andn2_b64 s[0:1], s[0:1], exec
	s_mov_b32 s6, 1
	s_waitcnt lgkmcnt(0)
	v_and_b32_e32 v23, 1, v23
	v_cmp_eq_u32_e32 vcc, 1, v23
	s_xor_b64 s[8:9], vcc, -1
	s_and_b64 s[8:9], s[8:9], exec
	s_or_b64 s[0:1], s[0:1], s[8:9]
	s_or_b64 exec, exec, s[2:3]
	v_mov_b32_e32 v23, s6
	s_and_saveexec_b64 s[2:3], s[0:1]
	s_cbranch_execz .LBB101_95
.LBB101_210:
	ds_read_u8 v23, v5 offset:258
	s_waitcnt lgkmcnt(0)
	v_xor_b32_e32 v23, 1, v23
	s_or_b64 exec, exec, s[2:3]
	v_cmp_eq_u32_e32 vcc, v23, v14
	s_and_saveexec_b64 s[0:1], vcc
	s_cbranch_execnz .LBB101_96
	s_branch .LBB101_97
.LBB101_211:
	v_add_u32_e32 v22, v3, v4
	ds_read_u8 v22, v22 offset:256
	s_andn2_b64 s[0:1], s[0:1], exec
	s_mov_b32 s6, 1
	s_waitcnt lgkmcnt(0)
	v_and_b32_e32 v22, 1, v22
	v_cmp_eq_u32_e32 vcc, 1, v22
	s_xor_b64 s[8:9], vcc, -1
	s_and_b64 s[8:9], s[8:9], exec
	s_or_b64 s[0:1], s[0:1], s[8:9]
	s_or_b64 exec, exec, s[2:3]
	v_mov_b32_e32 v22, s6
	s_and_saveexec_b64 s[2:3], s[0:1]
	s_cbranch_execz .LBB101_99
.LBB101_212:
	ds_read_u8 v22, v1 offset:257
	s_waitcnt lgkmcnt(0)
	v_xor_b32_e32 v22, 1, v22
	s_or_b64 exec, exec, s[2:3]
	v_cmp_eq_u32_e32 vcc, v22, v14
	s_and_saveexec_b64 s[0:1], vcc
	s_cbranch_execnz .LBB101_100
	s_branch .LBB101_101
.LBB101_213:
	ds_read_b32 v5, v13 offset:256
	s_or_b64 exec, exec, s[12:13]
	s_and_saveexec_b64 s[12:13], s[10:11]
	s_cbranch_execz .LBB101_170
.LBB101_214:
	ds_read_b32 v3, v13 offset:260
	s_or_b64 exec, exec, s[12:13]
	s_and_saveexec_b64 s[20:21], s[0:1]
	s_cbranch_execz .LBB101_171
.LBB101_215:
	s_waitcnt lgkmcnt(0)
	ds_bpermute_b32 v6, v1, v5
	ds_bpermute_b32 v7, v1, v3
	s_waitcnt lgkmcnt(1)
	v_max_u32_e32 v15, v6, v5
	v_cmp_gt_u32_e64 s[12:13], v6, v5
	ds_bpermute_b32 v16, v8, v15
	s_waitcnt lgkmcnt(1)
	v_cndmask_b32_e64 v3, v3, v7, s[12:13]
	ds_bpermute_b32 v5, v8, v3
	s_waitcnt lgkmcnt(1)
	v_max_u32_e32 v6, v16, v15
	v_cmp_gt_u32_e64 s[12:13], v16, v15
	ds_bpermute_b32 v7, v9, v6
	s_waitcnt lgkmcnt(1)
	v_cndmask_b32_e64 v3, v3, v5, s[12:13]
	;; [unrolled: 7-line block ×4, first 2 shown]
	ds_bpermute_b32 v5, v11, v3
	s_waitcnt lgkmcnt(1)
	v_max_u32_e32 v15, v7, v6
	v_cmp_gt_u32_e64 s[12:13], v7, v6
	s_waitcnt lgkmcnt(0)
	v_cndmask_b32_e64 v3, v3, v5, s[12:13]
	ds_bpermute_b32 v5, v12, v15
	ds_bpermute_b32 v6, v12, v3
	s_waitcnt lgkmcnt(1)
	v_cmp_gt_u32_e64 s[12:13], v5, v15
	s_waitcnt lgkmcnt(0)
	v_cndmask_b32_e64 v3, v3, v6, s[12:13]
	s_or_b64 exec, exec, s[20:21]
	s_and_saveexec_b64 s[12:13], vcc
	s_cbranch_execnz .LBB101_172
	s_branch .LBB101_173
.LBB101_216:
	v_lshlrev_b32_e32 v0, 2, v14
	v_sub_u32_e32 v0, v13, v0
	ds_read_b32 v0, v0
	s_or_b64 exec, exec, s[2:3]
	s_and_saveexec_b64 s[2:3], s[0:1]
	s_cbranch_execz .LBB101_181
.LBB101_217:
	s_waitcnt lgkmcnt(0)
	ds_bpermute_b32 v1, v1, v0
	s_waitcnt lgkmcnt(0)
	v_max_u32_e32 v0, v1, v0
	ds_bpermute_b32 v1, v8, v0
	s_waitcnt lgkmcnt(0)
	v_max_u32_e32 v0, v1, v0
	;; [unrolled: 3-line block ×6, first 2 shown]
	s_or_b64 exec, exec, s[2:3]
	s_and_saveexec_b64 s[0:1], vcc
	s_cbranch_execz .LBB101_182
.LBB101_218:
	s_load_dword s2, s[4:5], 0xd8
	s_load_dwordx2 s[0:1], s[4:5], 0xe0
	s_add_u32 s4, s4, 8
	s_addc_u32 s5, s5, 0
	s_mov_b32 s3, 0
	s_waitcnt lgkmcnt(0)
	s_cmp_lt_i32 s2, 2
	s_cbranch_scc1 .LBB101_221
; %bb.219:
	s_add_i32 s8, s2, 1
	s_add_i32 s2, s2, -1
	s_lshl_b64 s[6:7], s[2:3], 2
	s_add_u32 s2, s6, s4
	s_addc_u32 s7, s7, s5
	s_add_u32 s6, s2, 8
	s_addc_u32 s7, s7, 0
.LBB101_220:                            ; =>This Inner Loop Header: Depth=1
	s_load_dword s2, s[6:7], 0x0
	s_load_dword s10, s[6:7], 0x64
	s_mov_b32 s9, s14
	s_waitcnt lgkmcnt(0)
	v_cvt_f32_u32_e32 v1, s2
	s_sub_i32 s11, 0, s2
	v_rcp_iflag_f32_e32 v1, v1
	v_mul_f32_e32 v1, 0x4f7ffffe, v1
	v_cvt_u32_f32_e32 v1, v1
	v_readfirstlane_b32 s12, v1
	s_mul_i32 s11, s11, s12
	s_mul_hi_u32 s11, s12, s11
	s_add_i32 s12, s12, s11
	s_mul_hi_u32 s11, s14, s12
	s_mul_i32 s12, s11, s2
	s_sub_i32 s12, s14, s12
	s_add_i32 s13, s11, 1
	s_sub_i32 s14, s12, s2
	s_cmp_ge_u32 s12, s2
	s_cselect_b32 s11, s13, s11
	s_cselect_b32 s12, s14, s12
	s_add_i32 s13, s11, 1
	s_cmp_ge_u32 s12, s2
	s_cselect_b32 s14, s13, s11
	s_mul_i32 s2, s14, s2
	s_sub_i32 s2, s9, s2
	s_mul_i32 s2, s10, s2
	s_add_i32 s8, s8, -1
	s_add_i32 s3, s2, s3
	s_add_u32 s6, s6, -4
	s_addc_u32 s7, s7, -1
	s_cmp_gt_u32 s8, 2
	s_cbranch_scc1 .LBB101_220
.LBB101_221:
	s_load_dword s2, s[4:5], 0x6c
	v_mov_b32_e32 v1, 0
	s_load_dwordx2 s[4:5], s[4:5], 0x0
	ds_read_u16 v2, v1
	s_mov_b32 s7, 0
	s_waitcnt lgkmcnt(0)
	s_mul_i32 s2, s2, s14
	s_add_i32 s6, s2, s3
	s_lshl_b64 s[2:3], s[6:7], 1
	s_add_u32 s2, s4, s2
	s_addc_u32 s3, s5, s3
	global_store_short v1, v2, s[2:3]
	s_lshl_b64 s[2:3], s[6:7], 3
	s_add_u32 s0, s0, s2
	s_addc_u32 s1, s1, s3
	global_store_dwordx2 v1, v[0:1], s[0:1]
	s_endpgm
	.section	.rodata,"a",@progbits
	.p2align	6, 0x0
	.amdhsa_kernel _ZN2at6native12compute_modeIN3c108BFloat16ELj128EEEvPKT_NS_4cuda6detail10TensorInfoIS4_jEENS9_IljEEll
		.amdhsa_group_segment_fixed_size 2
		.amdhsa_private_segment_fixed_size 0
		.amdhsa_kernarg_size 712
		.amdhsa_user_sgpr_count 6
		.amdhsa_user_sgpr_private_segment_buffer 1
		.amdhsa_user_sgpr_dispatch_ptr 0
		.amdhsa_user_sgpr_queue_ptr 0
		.amdhsa_user_sgpr_kernarg_segment_ptr 1
		.amdhsa_user_sgpr_dispatch_id 0
		.amdhsa_user_sgpr_flat_scratch_init 0
		.amdhsa_user_sgpr_kernarg_preload_length 0
		.amdhsa_user_sgpr_kernarg_preload_offset 0
		.amdhsa_user_sgpr_private_segment_size 0
		.amdhsa_uses_dynamic_stack 0
		.amdhsa_system_sgpr_private_segment_wavefront_offset 0
		.amdhsa_system_sgpr_workgroup_id_x 1
		.amdhsa_system_sgpr_workgroup_id_y 1
		.amdhsa_system_sgpr_workgroup_id_z 1
		.amdhsa_system_sgpr_workgroup_info 0
		.amdhsa_system_vgpr_workitem_id 0
		.amdhsa_next_free_vgpr 28
		.amdhsa_next_free_sgpr 22
		.amdhsa_accum_offset 28
		.amdhsa_reserve_vcc 1
		.amdhsa_reserve_flat_scratch 0
		.amdhsa_float_round_mode_32 0
		.amdhsa_float_round_mode_16_64 0
		.amdhsa_float_denorm_mode_32 3
		.amdhsa_float_denorm_mode_16_64 3
		.amdhsa_dx10_clamp 1
		.amdhsa_ieee_mode 1
		.amdhsa_fp16_overflow 0
		.amdhsa_tg_split 0
		.amdhsa_exception_fp_ieee_invalid_op 0
		.amdhsa_exception_fp_denorm_src 0
		.amdhsa_exception_fp_ieee_div_zero 0
		.amdhsa_exception_fp_ieee_overflow 0
		.amdhsa_exception_fp_ieee_underflow 0
		.amdhsa_exception_fp_ieee_inexact 0
		.amdhsa_exception_int_div_zero 0
	.end_amdhsa_kernel
	.section	.text._ZN2at6native12compute_modeIN3c108BFloat16ELj128EEEvPKT_NS_4cuda6detail10TensorInfoIS4_jEENS9_IljEEll,"axG",@progbits,_ZN2at6native12compute_modeIN3c108BFloat16ELj128EEEvPKT_NS_4cuda6detail10TensorInfoIS4_jEENS9_IljEEll,comdat
.Lfunc_end101:
	.size	_ZN2at6native12compute_modeIN3c108BFloat16ELj128EEEvPKT_NS_4cuda6detail10TensorInfoIS4_jEENS9_IljEEll, .Lfunc_end101-_ZN2at6native12compute_modeIN3c108BFloat16ELj128EEEvPKT_NS_4cuda6detail10TensorInfoIS4_jEENS9_IljEEll
                                        ; -- End function
	.section	.AMDGPU.csdata,"",@progbits
; Kernel info:
; codeLenInByte = 10468
; NumSgprs: 26
; NumVgprs: 28
; NumAgprs: 0
; TotalNumVgprs: 28
; ScratchSize: 0
; MemoryBound: 0
; FloatMode: 240
; IeeeMode: 1
; LDSByteSize: 2 bytes/workgroup (compile time only)
; SGPRBlocks: 3
; VGPRBlocks: 3
; NumSGPRsForWavesPerEU: 26
; NumVGPRsForWavesPerEU: 28
; AccumOffset: 28
; Occupancy: 8
; WaveLimiterHint : 1
; COMPUTE_PGM_RSRC2:SCRATCH_EN: 0
; COMPUTE_PGM_RSRC2:USER_SGPR: 6
; COMPUTE_PGM_RSRC2:TRAP_HANDLER: 0
; COMPUTE_PGM_RSRC2:TGID_X_EN: 1
; COMPUTE_PGM_RSRC2:TGID_Y_EN: 1
; COMPUTE_PGM_RSRC2:TGID_Z_EN: 1
; COMPUTE_PGM_RSRC2:TIDIG_COMP_CNT: 0
; COMPUTE_PGM_RSRC3_GFX90A:ACCUM_OFFSET: 6
; COMPUTE_PGM_RSRC3_GFX90A:TG_SPLIT: 0
	.section	.text._ZN2at6native12compute_modeIN3c104HalfELj2048EEEvPKT_NS_4cuda6detail10TensorInfoIS4_jEENS9_IljEEll,"axG",@progbits,_ZN2at6native12compute_modeIN3c104HalfELj2048EEEvPKT_NS_4cuda6detail10TensorInfoIS4_jEENS9_IljEEll,comdat
	.protected	_ZN2at6native12compute_modeIN3c104HalfELj2048EEEvPKT_NS_4cuda6detail10TensorInfoIS4_jEENS9_IljEEll ; -- Begin function _ZN2at6native12compute_modeIN3c104HalfELj2048EEEvPKT_NS_4cuda6detail10TensorInfoIS4_jEENS9_IljEEll
	.globl	_ZN2at6native12compute_modeIN3c104HalfELj2048EEEvPKT_NS_4cuda6detail10TensorInfoIS4_jEENS9_IljEEll
	.p2align	8
	.type	_ZN2at6native12compute_modeIN3c104HalfELj2048EEEvPKT_NS_4cuda6detail10TensorInfoIS4_jEENS9_IljEEll,@function
_ZN2at6native12compute_modeIN3c104HalfELj2048EEEvPKT_NS_4cuda6detail10TensorInfoIS4_jEENS9_IljEEll: ; @_ZN2at6native12compute_modeIN3c104HalfELj2048EEEvPKT_NS_4cuda6detail10TensorInfoIS4_jEENS9_IljEEll
; %bb.0:
	s_load_dwordx4 s[16:19], s[4:5], 0x1b8
	s_load_dwordx2 s[2:3], s[4:5], 0x1c8
	s_add_u32 s0, s4, 0x1c8
	s_addc_u32 s1, s5, 0
	s_waitcnt lgkmcnt(0)
	v_mov_b32_e32 v2, s18
	s_mul_i32 s3, s3, s8
	s_add_i32 s3, s3, s7
	s_mul_i32 s2, s3, s2
	v_mov_b32_e32 v3, s19
	s_add_i32 s18, s2, s6
	s_mov_b32 s19, 0
	v_cmp_ge_i64_e32 vcc, s[18:19], v[2:3]
	s_cbranch_vccnz .LBB102_134
; %bb.1:
	s_load_dwordx2 s[20:21], s[4:5], 0x0
	s_load_dword s6, s[0:1], 0xc
	v_mov_b32_e32 v3, 0
	v_mov_b32_e32 v1, v3
	s_mul_i32 s19, s18, s16
	v_cmp_gt_i64_e32 vcc, s[16:17], v[0:1]
	s_and_saveexec_b64 s[2:3], vcc
	s_cbranch_execz .LBB102_3
; %bb.2:
	v_add_u32_e32 v2, s19, v0
	v_lshlrev_b64 v[4:5], 1, v[2:3]
	s_waitcnt lgkmcnt(0)
	v_mov_b32_e32 v1, s21
	v_add_co_u32_e64 v4, s[0:1], s20, v4
	v_addc_co_u32_e64 v5, s[0:1], v1, v5, s[0:1]
	global_load_ushort v1, v[4:5], off
	v_lshl_add_u32 v2, v0, 1, 2
	s_waitcnt vmcnt(0)
	ds_write_b16 v2, v1
.LBB102_3:
	s_or_b64 exec, exec, s[2:3]
	s_load_dwordx2 s[14:15], s[4:5], 0xe0
	s_waitcnt lgkmcnt(0)
	s_and_b32 s22, 0xffff, s6
	v_add_u32_e32 v2, s22, v0
	v_cmp_gt_i64_e64 s[0:1], s[16:17], v[2:3]
	s_and_saveexec_b64 s[6:7], s[0:1]
	s_cbranch_execz .LBB102_5
; %bb.4:
	v_add_u32_e32 v4, s19, v2
	v_mov_b32_e32 v5, 0
	v_lshlrev_b64 v[4:5], 1, v[4:5]
	v_mov_b32_e32 v1, s21
	v_add_co_u32_e64 v4, s[2:3], s20, v4
	v_addc_co_u32_e64 v5, s[2:3], v1, v5, s[2:3]
	global_load_ushort v1, v[4:5], off
	v_lshl_add_u32 v2, v2, 1, 2
	s_waitcnt vmcnt(0)
	ds_write_b16 v2, v1
.LBB102_5:
	s_or_b64 exec, exec, s[6:7]
	v_add_u32_e32 v1, 2, v0
	v_cndmask_b32_e64 v2, 0, 1, vcc
	ds_write_b8 v1, v2 offset:4096
	v_add_u32_e32 v2, s22, v1
	v_cndmask_b32_e64 v3, 0, 1, s[0:1]
	s_mov_b32 s6, 2
	ds_write_b8 v2, v3 offset:4096
	v_lshlrev_b32_e32 v2, 1, v0
	s_waitcnt lgkmcnt(0)
	s_barrier
	s_branch .LBB102_7
.LBB102_6:                              ;   in Loop: Header=BB102_7 Depth=1
	s_lshl_b32 s0, s6, 2
	s_cmpk_gt_u32 s6, 0x1ff
	s_mov_b32 s6, s0
	s_cbranch_scc1 .LBB102_23
.LBB102_7:                              ; =>This Loop Header: Depth=1
                                        ;     Child Loop BB102_9 Depth 2
                                        ;     Child Loop BB102_17 Depth 2
	s_lshr_b32 s7, s6, 1
	v_and_b32_e32 v3, s7, v0
	v_cmp_ne_u32_e32 vcc, 0, v3
	v_cndmask_b32_e64 v3, 0, 1, vcc
	s_branch .LBB102_9
.LBB102_8:                              ;   in Loop: Header=BB102_9 Depth=2
	s_or_b64 exec, exec, s[0:1]
	s_lshr_b32 s0, s7, 1
	s_cmp_lt_u32 s7, 2
	s_mov_b32 s7, s0
	s_cbranch_scc1 .LBB102_15
.LBB102_9:                              ;   Parent Loop BB102_7 Depth=1
                                        ; =>  This Inner Loop Header: Depth=2
	s_add_i32 s0, s7, -1
	v_and_b32_e32 v4, s0, v0
	v_sub_u32_e32 v7, v2, v4
	v_lshl_add_u32 v4, v7, 1, 2
	s_barrier
	v_lshl_add_u32 v5, s7, 1, v4
	ds_read_u16 v6, v4
	ds_read_u16 v8, v5
	v_add_u32_e32 v7, 2, v7
                                        ; implicit-def: $sgpr8
	s_waitcnt lgkmcnt(0)
	v_cmp_nlt_f16_e64 s[0:1], v6, v8
	v_cmp_lt_f16_e32 vcc, v6, v8
	s_and_saveexec_b64 s[2:3], vcc
	s_cbranch_execz .LBB102_11
; %bb.10:                               ;   in Loop: Header=BB102_9 Depth=2
	ds_read_u8 v9, v7 offset:4096
	s_andn2_b64 s[0:1], s[0:1], exec
	s_mov_b32 s8, 1
	s_waitcnt lgkmcnt(0)
	v_and_b32_e32 v9, 1, v9
	v_cmp_eq_u32_e32 vcc, 1, v9
	s_xor_b64 s[10:11], vcc, -1
	s_and_b64 s[10:11], s[10:11], exec
	s_or_b64 s[0:1], s[0:1], s[10:11]
.LBB102_11:                             ;   in Loop: Header=BB102_9 Depth=2
	s_or_b64 exec, exec, s[2:3]
	v_mov_b32_e32 v10, s8
	v_add_u32_e32 v9, s7, v7
	s_and_saveexec_b64 s[2:3], s[0:1]
	s_cbranch_execz .LBB102_13
; %bb.12:                               ;   in Loop: Header=BB102_9 Depth=2
	ds_read_u8 v10, v9 offset:4096
	s_waitcnt lgkmcnt(0)
	v_xor_b32_e32 v10, 1, v10
.LBB102_13:                             ;   in Loop: Header=BB102_9 Depth=2
	s_or_b64 exec, exec, s[2:3]
	v_cmp_eq_u32_e32 vcc, v10, v3
	s_and_saveexec_b64 s[0:1], vcc
	s_cbranch_execz .LBB102_8
; %bb.14:                               ;   in Loop: Header=BB102_9 Depth=2
	ds_read_u8 v10, v9 offset:4096
	ds_read_u8 v11, v7 offset:4096
	ds_write_b16 v4, v8
	ds_write_b16 v5, v6
	s_waitcnt lgkmcnt(3)
	ds_write_b8 v7, v10 offset:4096
	s_waitcnt lgkmcnt(3)
	ds_write_b8 v9, v11 offset:4096
	s_branch .LBB102_8
.LBB102_15:                             ;   in Loop: Header=BB102_7 Depth=1
	v_and_b32_e32 v3, s6, v0
	v_cmp_ne_u32_e32 vcc, 0, v3
	v_cndmask_b32_e64 v3, 0, 1, vcc
	s_mov_b32 s7, s6
	s_branch .LBB102_17
.LBB102_16:                             ;   in Loop: Header=BB102_17 Depth=2
	s_or_b64 exec, exec, s[0:1]
	s_lshr_b32 s0, s7, 1
	s_cmp_gt_u32 s7, 1
	s_mov_b32 s7, s0
	s_cbranch_scc0 .LBB102_6
.LBB102_17:                             ;   Parent Loop BB102_7 Depth=1
                                        ; =>  This Inner Loop Header: Depth=2
	s_add_i32 s0, s7, -1
	v_and_b32_e32 v4, s0, v0
	v_sub_u32_e32 v7, v2, v4
	v_lshl_add_u32 v4, v7, 1, 2
	s_waitcnt lgkmcnt(0)
	s_barrier
	v_lshl_add_u32 v5, s7, 1, v4
	ds_read_u16 v6, v4
	ds_read_u16 v8, v5
	v_add_u32_e32 v7, 2, v7
                                        ; implicit-def: $sgpr8
	s_waitcnt lgkmcnt(0)
	v_cmp_nlt_f16_e64 s[0:1], v6, v8
	v_cmp_lt_f16_e32 vcc, v6, v8
	s_and_saveexec_b64 s[2:3], vcc
	s_cbranch_execz .LBB102_19
; %bb.18:                               ;   in Loop: Header=BB102_17 Depth=2
	ds_read_u8 v9, v7 offset:4096
	s_andn2_b64 s[0:1], s[0:1], exec
	s_mov_b32 s8, 1
	s_waitcnt lgkmcnt(0)
	v_and_b32_e32 v9, 1, v9
	v_cmp_eq_u32_e32 vcc, 1, v9
	s_xor_b64 s[10:11], vcc, -1
	s_and_b64 s[10:11], s[10:11], exec
	s_or_b64 s[0:1], s[0:1], s[10:11]
.LBB102_19:                             ;   in Loop: Header=BB102_17 Depth=2
	s_or_b64 exec, exec, s[2:3]
	v_mov_b32_e32 v10, s8
	v_add_u32_e32 v9, s7, v7
	s_and_saveexec_b64 s[2:3], s[0:1]
	s_cbranch_execz .LBB102_21
; %bb.20:                               ;   in Loop: Header=BB102_17 Depth=2
	ds_read_u8 v10, v9 offset:4096
	s_waitcnt lgkmcnt(0)
	v_xor_b32_e32 v10, 1, v10
.LBB102_21:                             ;   in Loop: Header=BB102_17 Depth=2
	s_or_b64 exec, exec, s[2:3]
	v_cmp_eq_u32_e32 vcc, v10, v3
	s_and_saveexec_b64 s[0:1], vcc
	s_cbranch_execz .LBB102_16
; %bb.22:                               ;   in Loop: Header=BB102_17 Depth=2
	ds_read_u8 v10, v9 offset:4096
	ds_read_u8 v11, v7 offset:4096
	ds_write_b16 v4, v8
	ds_write_b16 v5, v6
	s_waitcnt lgkmcnt(3)
	ds_write_b8 v7, v10 offset:4096
	s_waitcnt lgkmcnt(3)
	ds_write_b8 v9, v11 offset:4096
	s_branch .LBB102_16
.LBB102_23:
	v_add_u32_e32 v3, v1, v0
	s_waitcnt lgkmcnt(0)
	s_barrier
	ds_read_u16 v4, v3
	ds_read_u16 v5, v3 offset:2048
                                        ; implicit-def: $sgpr6
	s_waitcnt lgkmcnt(0)
	v_cmp_nlt_f16_e64 s[0:1], v4, v5
	v_cmp_lt_f16_e32 vcc, v4, v5
	s_and_saveexec_b64 s[2:3], vcc
	s_cbranch_execnz .LBB102_135
; %bb.24:
	s_or_b64 exec, exec, s[2:3]
	v_mov_b32_e32 v6, s6
	s_and_saveexec_b64 s[2:3], s[0:1]
	s_cbranch_execnz .LBB102_136
.LBB102_25:
	s_or_b64 exec, exec, s[2:3]
	v_cmp_eq_u32_e32 vcc, 0, v6
	s_and_saveexec_b64 s[0:1], vcc
	s_cbranch_execz .LBB102_27
.LBB102_26:
	ds_read_u8 v6, v1 offset:5120
	ds_read_u8 v7, v1 offset:4096
	ds_write_b16 v3, v5
	ds_write_b16 v3, v4 offset:2048
	s_waitcnt lgkmcnt(3)
	ds_write_b8 v1, v6 offset:4096
	s_waitcnt lgkmcnt(3)
	ds_write_b8 v1, v7 offset:5120
.LBB102_27:
	s_or_b64 exec, exec, s[0:1]
	v_and_b32_e32 v1, 0x1ff, v0
	v_sub_u32_e32 v4, v2, v1
	v_lshl_add_u32 v3, v4, 1, 2
	v_add_u32_e32 v1, 2, v4
	s_waitcnt lgkmcnt(0)
	s_barrier
	v_add_u32_e32 v4, v1, v4
	ds_read_u16 v5, v3
	ds_read_u16 v6, v4 offset:1024
	s_mov_b32 s6, 1
	s_waitcnt lgkmcnt(0)
	v_cmp_nlt_f16_e64 s[0:1], v5, v6
	v_cmp_lt_f16_e32 vcc, v5, v6
	s_and_saveexec_b64 s[2:3], vcc
	s_cbranch_execnz .LBB102_137
; %bb.28:
	s_or_b64 exec, exec, s[2:3]
	v_mov_b32_e32 v7, s6
	s_and_saveexec_b64 s[2:3], s[0:1]
	s_cbranch_execnz .LBB102_138
.LBB102_29:
	s_or_b64 exec, exec, s[2:3]
	v_cmp_eq_u32_e32 vcc, 0, v7
	s_and_saveexec_b64 s[0:1], vcc
	s_cbranch_execz .LBB102_31
.LBB102_30:
	ds_read_u8 v7, v1 offset:4608
	ds_read_u8 v8, v1 offset:4096
	ds_write_b16 v3, v6
	ds_write_b16 v4, v5 offset:1024
	s_waitcnt lgkmcnt(3)
	ds_write_b8 v1, v7 offset:4096
	s_waitcnt lgkmcnt(3)
	ds_write_b8 v1, v8 offset:4608
.LBB102_31:
	s_or_b64 exec, exec, s[0:1]
	v_sub_u32_sdwa v4, v2, v0 dst_sel:DWORD dst_unused:UNUSED_PAD src0_sel:DWORD src1_sel:BYTE_0
	v_lshl_add_u32 v3, v4, 1, 2
	v_add_u32_e32 v1, 2, v4
	s_waitcnt lgkmcnt(0)
	s_barrier
	v_add_u32_e32 v4, v1, v4
	ds_read_u16 v5, v3
	ds_read_u16 v6, v4 offset:512
	s_waitcnt lgkmcnt(0)
	v_cmp_nlt_f16_e64 s[0:1], v5, v6
	v_cmp_lt_f16_e32 vcc, v5, v6
	s_and_saveexec_b64 s[2:3], vcc
	s_cbranch_execnz .LBB102_139
; %bb.32:
	s_or_b64 exec, exec, s[2:3]
	v_mov_b32_e32 v7, s6
	s_and_saveexec_b64 s[2:3], s[0:1]
	s_cbranch_execnz .LBB102_140
.LBB102_33:
	s_or_b64 exec, exec, s[2:3]
	v_cmp_eq_u32_e32 vcc, 0, v7
	s_and_saveexec_b64 s[0:1], vcc
	s_cbranch_execz .LBB102_35
.LBB102_34:
	ds_read_u8 v7, v1 offset:4352
	ds_read_u8 v8, v1 offset:4096
	ds_write_b16 v3, v6
	ds_write_b16 v4, v5 offset:512
	s_waitcnt lgkmcnt(3)
	ds_write_b8 v1, v7 offset:4096
	s_waitcnt lgkmcnt(3)
	ds_write_b8 v1, v8 offset:4352
.LBB102_35:
	s_or_b64 exec, exec, s[0:1]
	v_and_b32_e32 v1, 0x7f, v0
	v_sub_u32_e32 v4, v2, v1
	v_lshl_add_u32 v3, v4, 1, 2
	v_add_u32_e32 v1, 2, v4
	s_waitcnt lgkmcnt(0)
	s_barrier
	v_add_u32_e32 v4, v1, v4
	ds_read_u16 v5, v3
	ds_read_u16 v6, v4 offset:256
	s_waitcnt lgkmcnt(0)
	v_cmp_nlt_f16_e64 s[0:1], v5, v6
	v_cmp_lt_f16_e32 vcc, v5, v6
	s_and_saveexec_b64 s[2:3], vcc
	s_cbranch_execnz .LBB102_141
; %bb.36:
	s_or_b64 exec, exec, s[2:3]
	v_mov_b32_e32 v7, s6
	s_and_saveexec_b64 s[2:3], s[0:1]
	s_cbranch_execnz .LBB102_142
.LBB102_37:
	s_or_b64 exec, exec, s[2:3]
	v_cmp_eq_u32_e32 vcc, 0, v7
	s_and_saveexec_b64 s[0:1], vcc
	s_cbranch_execz .LBB102_39
.LBB102_38:
	ds_read_u8 v7, v1 offset:4224
	ds_read_u8 v8, v1 offset:4096
	ds_write_b16 v3, v6
	ds_write_b16 v4, v5 offset:256
	s_waitcnt lgkmcnt(3)
	ds_write_b8 v1, v7 offset:4096
	s_waitcnt lgkmcnt(3)
	ds_write_b8 v1, v8 offset:4224
.LBB102_39:
	s_or_b64 exec, exec, s[0:1]
	v_and_b32_e32 v1, 63, v0
	v_sub_u32_e32 v5, v2, v1
	v_lshl_add_u32 v4, v5, 1, 2
	v_add_u32_e32 v3, 2, v5
	s_waitcnt lgkmcnt(0)
	s_barrier
	v_add_u32_e32 v5, v3, v5
	ds_read_u16 v6, v4
	ds_read_u16 v7, v5 offset:128
	s_waitcnt lgkmcnt(0)
	v_cmp_nlt_f16_e64 s[2:3], v6, v7
	v_cmp_lt_f16_e32 vcc, v6, v7
	s_and_saveexec_b64 s[0:1], vcc
	s_cbranch_execz .LBB102_41
; %bb.40:
	ds_read_u8 v8, v3 offset:4096
	s_andn2_b64 s[2:3], s[2:3], exec
	s_waitcnt lgkmcnt(0)
	v_and_b32_e32 v8, 1, v8
	v_cmp_eq_u32_e32 vcc, 1, v8
	s_xor_b64 s[6:7], vcc, -1
	s_and_b64 s[6:7], s[6:7], exec
	s_or_b64 s[2:3], s[2:3], s[6:7]
.LBB102_41:
	s_or_b64 exec, exec, s[0:1]
	s_and_saveexec_b64 s[0:1], s[2:3]
	s_cbranch_execz .LBB102_44
; %bb.42:
	ds_read_u8 v8, v3 offset:4160
	s_waitcnt lgkmcnt(0)
	v_cmp_ne_u16_e32 vcc, 0, v8
	s_and_b64 exec, exec, vcc
	s_cbranch_execz .LBB102_44
; %bb.43:
	ds_read_u8 v9, v3 offset:4096
	ds_write_b16 v4, v7
	ds_write_b16 v5, v6 offset:128
	ds_write_b8 v3, v8 offset:4096
	s_waitcnt lgkmcnt(3)
	ds_write_b8 v3, v9 offset:4160
.LBB102_44:
	s_or_b64 exec, exec, s[0:1]
	v_and_b32_e32 v3, 31, v0
	v_sub_u32_e32 v5, v2, v3
	v_lshl_add_u32 v4, v5, 1, 2
	v_add_u32_e32 v3, 2, v5
	s_waitcnt lgkmcnt(0)
	s_barrier
	v_add_u32_e32 v5, v3, v5
	ds_read_u16 v6, v4
	ds_read_u16 v7, v5 offset:64
	s_waitcnt lgkmcnt(0)
	v_cmp_nlt_f16_e64 s[2:3], v6, v7
	v_cmp_lt_f16_e32 vcc, v6, v7
	s_and_saveexec_b64 s[0:1], vcc
	s_cbranch_execz .LBB102_46
; %bb.45:
	ds_read_u8 v8, v3 offset:4096
	s_andn2_b64 s[2:3], s[2:3], exec
	s_waitcnt lgkmcnt(0)
	v_and_b32_e32 v8, 1, v8
	v_cmp_eq_u32_e32 vcc, 1, v8
	s_xor_b64 s[6:7], vcc, -1
	s_and_b64 s[6:7], s[6:7], exec
	s_or_b64 s[2:3], s[2:3], s[6:7]
.LBB102_46:
	s_or_b64 exec, exec, s[0:1]
	s_and_saveexec_b64 s[0:1], s[2:3]
	s_cbranch_execz .LBB102_49
; %bb.47:
	ds_read_u8 v8, v3 offset:4128
	s_waitcnt lgkmcnt(0)
	v_cmp_ne_u16_e32 vcc, 0, v8
	s_and_b64 exec, exec, vcc
	s_cbranch_execz .LBB102_49
; %bb.48:
	ds_read_u8 v9, v3 offset:4096
	ds_write_b16 v4, v7
	ds_write_b16 v5, v6 offset:64
	ds_write_b8 v3, v8 offset:4096
	s_waitcnt lgkmcnt(3)
	ds_write_b8 v3, v9 offset:4128
.LBB102_49:
	;; [unrolled: 42-line block ×6, first 2 shown]
	s_or_b64 exec, exec, s[0:1]
	v_lshl_add_u32 v5, v2, 1, 2
	s_waitcnt lgkmcnt(0)
	s_barrier
	ds_read_b32 v4, v5
	v_sub_u32_e32 v3, v5, v2
	s_add_i32 s10, 2, 0x1000
	s_waitcnt lgkmcnt(0)
	v_cmp_nlt_f16_sdwa s[2:3], v4, v4 src0_sel:DWORD src1_sel:WORD_1
	v_cmp_lt_f16_sdwa s[6:7], v4, v4 src0_sel:DWORD src1_sel:WORD_1
	s_and_saveexec_b64 s[0:1], s[6:7]
	s_cbranch_execz .LBB102_71
; %bb.70:
	ds_read_u8 v6, v3 offset:4096
	s_andn2_b64 s[2:3], s[2:3], exec
	s_waitcnt lgkmcnt(0)
	v_and_b32_e32 v6, 1, v6
	v_cmp_eq_u32_e32 vcc, 1, v6
	s_xor_b64 s[6:7], vcc, -1
	s_and_b64 s[6:7], s[6:7], exec
	s_or_b64 s[2:3], s[2:3], s[6:7]
.LBB102_71:
	s_or_b64 exec, exec, s[0:1]
	v_add_u32_e32 v6, s10, v2
	s_and_saveexec_b64 s[0:1], s[2:3]
	s_cbranch_execz .LBB102_74
; %bb.72:
	ds_read_u8 v7, v6 offset:1
	s_waitcnt lgkmcnt(0)
	v_cmp_ne_u16_e32 vcc, 0, v7
	s_and_b64 exec, exec, vcc
	s_cbranch_execz .LBB102_74
; %bb.73:
	ds_read_u8 v8, v3 offset:4096
	v_alignbit_b32 v4, v4, v4, 16
	ds_write_b32 v5, v4
	ds_write_b8 v3, v7 offset:4096
	s_waitcnt lgkmcnt(2)
	ds_write_b8 v6, v8 offset:1
.LBB102_74:
	s_or_b64 exec, exec, s[0:1]
	v_cmp_eq_u32_e32 vcc, 0, v0
	s_waitcnt lgkmcnt(0)
	s_barrier
	s_barrier
	s_and_saveexec_b64 s[0:1], vcc
	s_cbranch_execz .LBB102_76
; %bb.75:
	v_mov_b32_e32 v4, 2
	v_mov_b32_e32 v7, 1
	ds_write_b8 v4, v7 offset:4100
	v_mov_b32_e32 v7, 0
	ds_write_b32 v4, v7 offset:4096
.LBB102_76:
	s_or_b64 exec, exec, s[0:1]
	v_add_u32_e32 v3, v3, v2
	ds_read_u16 v4, v5
	ds_read_u16 v8, v3 offset:2
	v_mad_u32_u24 v9, v0, 14, v6
	v_mul_u32_u24_e32 v7, 14, v0
	s_waitcnt lgkmcnt(0)
	v_cmp_neq_f16_e64 s[0:1], v4, v8
	v_cndmask_b32_e64 v10, 0, 1, s[0:1]
	v_cmp_eq_f16_e64 s[0:1], v4, v8
	v_cndmask_b32_e64 v4, 0, 1, s[0:1]
	s_movk_i32 s0, 0x3ff
	ds_write_b32 v9, v4 offset:8
	v_cmp_ne_u32_e64 s[2:3], s0, v0
	v_mov_b32_e32 v4, 0x800
	ds_write_b8 v9, v10 offset:12
	s_and_saveexec_b64 s[6:7], s[2:3]
	s_cbranch_execz .LBB102_78
; %bb.77:
	ds_read_u16 v5, v5 offset:4
	v_add_u32_e32 v4, 2, v2
	v_lshl_add_u32 v9, v2, 3, s10
	s_waitcnt lgkmcnt(0)
	v_cmp_neq_f16_e64 s[0:1], v8, v5
	v_cndmask_b32_e64 v10, 0, 1, s[0:1]
	v_cmp_eq_f16_e64 s[0:1], v8, v5
	v_cndmask_b32_e64 v5, 0, 1, s[0:1]
	ds_write_b8 v9, v10 offset:20
	ds_write_b32 v9, v5 offset:16
.LBB102_78:
	s_or_b64 exec, exec, s[6:7]
	v_add_u32_e32 v5, v6, v7
	s_waitcnt lgkmcnt(0)
	s_barrier
	ds_read_u8 v6, v5 offset:12
	v_mad_u32_u24 v7, v0, 12, v3
	ds_read_b32 v8, v7 offset:4096
	ds_read_b32 v9, v5 offset:8
	ds_read_u8 v7, v7 offset:4100
	s_waitcnt lgkmcnt(3)
	v_and_b32_e32 v10, 1, v6
	v_cmp_eq_u32_e64 s[0:1], 1, v10
	s_waitcnt lgkmcnt(2)
	v_cndmask_b32_e64 v8, v8, 0, s[0:1]
	s_waitcnt lgkmcnt(0)
	v_or_b32_e32 v6, v7, v6
	v_add_u32_e32 v8, v8, v9
	v_and_b32_e32 v6, 1, v6
	ds_write2_b32 v5, v8, v6 offset0:2 offset1:3
	v_lshlrev_b32_e32 v6, 1, v4
	s_movk_i32 s0, 0x200
	v_add_u32_e32 v7, -1, v6
	v_cmp_gt_u32_e64 s[0:1], s0, v0
	s_waitcnt lgkmcnt(0)
	s_barrier
	s_and_saveexec_b64 s[6:7], s[0:1]
	s_cbranch_execz .LBB102_80
; %bb.79:
	v_lshl_add_u32 v8, v7, 3, 2
	ds_read_b32 v9, v8 offset:4096
	ds_read_u8 v10, v8 offset:4100
	v_lshl_add_u32 v11, v6, 3, 2
	ds_read_b32 v12, v11 offset:4072
	ds_read_u8 v11, v11 offset:4076
	v_add_u32_e32 v8, 0x1000, v8
	s_waitcnt lgkmcnt(2)
	v_and_b32_e32 v13, 1, v10
	v_cmp_eq_u32_e64 s[0:1], 1, v13
	s_waitcnt lgkmcnt(1)
	v_cndmask_b32_e64 v12, v12, 0, s[0:1]
	s_waitcnt lgkmcnt(0)
	v_or_b32_e32 v10, v11, v10
	v_add_u32_e32 v9, v12, v9
	v_and_b32_e32 v10, 1, v10
	ds_write2_b32 v8, v9, v10 offset1:1
.LBB102_80:
	s_or_b64 exec, exec, s[6:7]
	s_movk_i32 s0, 0x100
	v_lshlrev_b32_e32 v8, 2, v4
	v_add_u32_e32 v7, v7, v6
	v_cmp_gt_u32_e64 s[0:1], s0, v0
	s_waitcnt lgkmcnt(0)
	s_barrier
	s_and_saveexec_b64 s[6:7], s[0:1]
	s_cbranch_execz .LBB102_82
; %bb.81:
	v_lshl_add_u32 v9, v7, 3, 2
	ds_read_b32 v10, v9 offset:4096
	ds_read_u8 v11, v9 offset:4100
	v_lshl_add_u32 v12, v8, 3, 2
	ds_read_b32 v13, v12 offset:4056
	ds_read_u8 v12, v12 offset:4060
	v_add_u32_e32 v9, 0x1000, v9
	s_waitcnt lgkmcnt(2)
	v_and_b32_e32 v14, 1, v11
	v_cmp_eq_u32_e64 s[0:1], 1, v14
	s_waitcnt lgkmcnt(1)
	v_cndmask_b32_e64 v13, v13, 0, s[0:1]
	s_waitcnt lgkmcnt(0)
	v_or_b32_e32 v11, v12, v11
	v_add_u32_e32 v10, v13, v10
	v_and_b32_e32 v11, 1, v11
	ds_write2_b32 v9, v10, v11 offset1:1
.LBB102_82:
	s_or_b64 exec, exec, s[6:7]
	s_movk_i32 s0, 0x80
	v_lshlrev_b32_e32 v10, 3, v4
	v_add_u32_e32 v9, v7, v8
	v_cmp_gt_u32_e64 s[0:1], s0, v0
	s_waitcnt lgkmcnt(0)
	s_barrier
	s_and_saveexec_b64 s[6:7], s[0:1]
	s_cbranch_execz .LBB102_84
; %bb.83:
	v_lshl_add_u32 v11, v9, 3, 2
	ds_read_b32 v12, v11 offset:4096
	ds_read_u8 v13, v11 offset:4100
	v_lshl_add_u32 v14, v10, 3, 2
	ds_read_b32 v15, v14 offset:4024
	ds_read_u8 v14, v14 offset:4028
	v_add_u32_e32 v11, 0x1000, v11
	s_waitcnt lgkmcnt(2)
	v_and_b32_e32 v16, 1, v13
	v_cmp_eq_u32_e64 s[0:1], 1, v16
	s_waitcnt lgkmcnt(1)
	v_cndmask_b32_e64 v15, v15, 0, s[0:1]
	s_waitcnt lgkmcnt(0)
	v_or_b32_e32 v13, v14, v13
	v_add_u32_e32 v12, v15, v12
	v_and_b32_e32 v13, 1, v13
	ds_write2_b32 v11, v12, v13 offset1:1
.LBB102_84:
	s_or_b64 exec, exec, s[6:7]
	v_lshlrev_b32_e32 v12, 4, v4
	v_add_u32_e32 v11, v9, v10
	v_cmp_gt_u32_e64 s[0:1], 64, v0
	s_waitcnt lgkmcnt(0)
	s_barrier
	s_and_saveexec_b64 s[8:9], s[0:1]
	s_cbranch_execz .LBB102_86
; %bb.85:
	v_lshl_add_u32 v13, v11, 3, 2
	ds_read_b32 v14, v13 offset:4096
	ds_read_u8 v15, v13 offset:4100
	v_lshl_add_u32 v16, v12, 3, 2
	ds_read_b32 v17, v16 offset:3960
	ds_read_u8 v16, v16 offset:3964
	v_add_u32_e32 v13, 0x1000, v13
	s_waitcnt lgkmcnt(2)
	v_and_b32_e32 v18, 1, v15
	v_cmp_eq_u32_e64 s[6:7], 1, v18
	s_waitcnt lgkmcnt(1)
	v_cndmask_b32_e64 v17, v17, 0, s[6:7]
	s_waitcnt lgkmcnt(0)
	v_or_b32_e32 v15, v16, v15
	v_add_u32_e32 v14, v17, v14
	v_and_b32_e32 v15, 1, v15
	ds_write2_b32 v13, v14, v15 offset1:1
.LBB102_86:
	s_or_b64 exec, exec, s[8:9]
	;; [unrolled: 27-line block ×6, first 2 shown]
	v_add_u32_e32 v21, v19, v20
	v_cmp_gt_u32_e64 s[6:7], 2, v0
	v_lshl_add_u32 v21, v21, 3, 2
	s_waitcnt lgkmcnt(0)
	s_barrier
	s_and_saveexec_b64 s[8:9], s[6:7]
	s_cbranch_execz .LBB102_96
; %bb.95:
	v_lshl_add_u32 v23, v4, 12, 2
	v_add_u32_e32 v24, -8, v23
	ds_read_u8 v25, v21 offset:4100
	ds_read_b32 v24, v24
	v_add_u32_e32 v23, -4, v23
	ds_read_b32 v26, v21 offset:4096
	ds_read_u8 v23, v23
	v_add_u32_e32 v22, 0x1000, v21
	s_waitcnt lgkmcnt(3)
	v_and_b32_e32 v27, 1, v25
	v_cmp_eq_u32_e64 s[6:7], 1, v27
	s_waitcnt lgkmcnt(2)
	v_cndmask_b32_e64 v24, v24, 0, s[6:7]
	s_waitcnt lgkmcnt(0)
	v_or_b32_e32 v23, v23, v25
	v_add_u32_e32 v24, v24, v26
	v_and_b32_e32 v23, 1, v23
	ds_write2_b32 v22, v24, v23 offset1:1
.LBB102_96:
	s_or_b64 exec, exec, s[8:9]
	s_waitcnt lgkmcnt(0)
	s_barrier
	s_and_saveexec_b64 s[8:9], vcc
	s_cbranch_execz .LBB102_98
; %bb.97:
	v_mov_b32_e32 v24, 2
	s_movk_i32 s6, 0xf8
	ds_read_u8 v25, v24 offset:20476
	v_add_u32_e64 v22, s6, 2
	ds_read2st64_b32 v[22:23], v22 offset0:47 offset1:79
	ds_read_u8 v24, v24 offset:12284
	s_add_i32 s11, 2, 0x4ff8
	s_waitcnt lgkmcnt(2)
	v_and_b32_e32 v26, 1, v25
	v_cmp_eq_u32_e64 s[6:7], 1, v26
	s_waitcnt lgkmcnt(1)
	v_cndmask_b32_e64 v22, v22, 0, s[6:7]
	v_add_u32_e32 v22, v22, v23
	s_waitcnt lgkmcnt(0)
	v_or_b32_e32 v23, v24, v25
	v_and_b32_e32 v23, 1, v23
	v_mov_b32_e32 v24, s11
	ds_write2_b32 v24, v22, v23 offset1:1
.LBB102_98:
	s_or_b64 exec, exec, s[8:9]
	s_waitcnt lgkmcnt(0)
	s_barrier
	s_and_saveexec_b64 s[8:9], vcc
	s_cbranch_execz .LBB102_100
; %bb.99:
	v_mov_b32_e32 v22, 2
	ds_read_u8 v23, v22 offset:16380
	ds_read_b32 v22, v22 offset:16376
	ds_read_b32 v24, v21 offset:4096
	ds_read_u8 v21, v21 offset:4100
	s_add_i32 s11, 2, 0x3ff8
	s_waitcnt lgkmcnt(3)
	v_and_b32_e32 v25, 1, v23
	v_cmp_eq_u32_e64 s[6:7], 1, v25
	s_waitcnt lgkmcnt(1)
	v_cndmask_b32_e64 v24, v24, 0, s[6:7]
	s_waitcnt lgkmcnt(0)
	v_or_b32_e32 v21, v21, v23
	v_add_u32_e32 v22, v24, v22
	v_and_b32_e32 v21, 1, v21
	v_mov_b32_e32 v23, s11
	ds_write2_b32 v23, v22, v21 offset1:1
.LBB102_100:
	s_or_b64 exec, exec, s[8:9]
	v_cmp_gt_u32_e64 s[6:7], 3, v0
	s_waitcnt lgkmcnt(0)
	s_barrier
	s_and_saveexec_b64 s[8:9], s[6:7]
	s_cbranch_execz .LBB102_102
; %bb.101:
	v_lshl_add_u32 v20, v20, 3, s10
	ds_read_b32 v21, v20 offset:2040
	ds_read_u8 v22, v20 offset:2044
	v_lshl_add_u32 v19, v19, 3, s10
	ds_read_b32 v23, v19
	ds_read_u8 v19, v19 offset:4
	v_add_u32_e32 v20, 0x7f8, v20
	s_waitcnt lgkmcnt(2)
	v_and_b32_e32 v24, 1, v22
	v_cmp_eq_u32_e64 s[6:7], 1, v24
	s_waitcnt lgkmcnt(1)
	v_cndmask_b32_e64 v23, v23, 0, s[6:7]
	s_waitcnt lgkmcnt(0)
	v_or_b32_e32 v19, v19, v22
	v_add_u32_e32 v21, v23, v21
	v_and_b32_e32 v19, 1, v19
	ds_write2_b32 v20, v21, v19 offset1:1
.LBB102_102:
	s_or_b64 exec, exec, s[8:9]
	v_cmp_gt_u32_e64 s[6:7], 7, v0
	s_waitcnt lgkmcnt(0)
	s_barrier
	s_and_saveexec_b64 s[8:9], s[6:7]
	s_cbranch_execz .LBB102_104
; %bb.103:
	v_lshl_add_u32 v18, v18, 3, s10
	ds_read_u8 v19, v18 offset:1020
	v_lshl_add_u32 v17, v17, 3, s10
	ds_read_b32 v20, v17
	ds_read_b32 v21, v18 offset:1016
	ds_read_u8 v17, v17 offset:4
	s_waitcnt lgkmcnt(3)
	v_and_b32_e32 v22, 1, v19
	v_cmp_eq_u32_e64 s[6:7], 1, v22
	s_waitcnt lgkmcnt(2)
	v_cndmask_b32_e64 v20, v20, 0, s[6:7]
	s_waitcnt lgkmcnt(0)
	v_or_b32_e32 v17, v17, v19
	v_add_u32_e32 v20, v20, v21
	v_and_b32_e32 v17, 1, v17
	ds_write2_b32 v18, v20, v17 offset0:254 offset1:255
.LBB102_104:
	s_or_b64 exec, exec, s[8:9]
	v_cmp_gt_u32_e64 s[6:7], 15, v0
	s_waitcnt lgkmcnt(0)
	s_barrier
	s_and_saveexec_b64 s[8:9], s[6:7]
	s_cbranch_execz .LBB102_106
; %bb.105:
	v_lshl_add_u32 v16, v16, 3, s10
	ds_read_u8 v17, v16 offset:508
	v_lshl_add_u32 v15, v15, 3, s10
	ds_read_b32 v18, v15
	ds_read_b32 v19, v16 offset:504
	ds_read_u8 v15, v15 offset:4
	s_waitcnt lgkmcnt(3)
	v_and_b32_e32 v20, 1, v17
	v_cmp_eq_u32_e64 s[6:7], 1, v20
	s_waitcnt lgkmcnt(2)
	v_cndmask_b32_e64 v18, v18, 0, s[6:7]
	s_waitcnt lgkmcnt(0)
	v_or_b32_e32 v15, v15, v17
	v_add_u32_e32 v18, v18, v19
	v_and_b32_e32 v15, 1, v15
	ds_write2_b32 v16, v18, v15 offset0:126 offset1:127
.LBB102_106:
	;; [unrolled: 24-line block ×4, first 2 shown]
	s_or_b64 exec, exec, s[8:9]
	s_movk_i32 s6, 0x7f
	v_cmp_gt_u32_e64 s[6:7], s6, v0
	s_waitcnt lgkmcnt(0)
	s_barrier
	s_and_saveexec_b64 s[8:9], s[6:7]
	s_cbranch_execz .LBB102_112
; %bb.111:
	v_lshl_add_u32 v10, v10, 3, s10
	ds_read_u8 v11, v10 offset:60
	v_lshl_add_u32 v9, v9, 3, s10
	ds_read_b32 v12, v9
	ds_read_b32 v13, v10 offset:56
	ds_read_u8 v9, v9 offset:4
	s_waitcnt lgkmcnt(3)
	v_and_b32_e32 v14, 1, v11
	v_cmp_eq_u32_e64 s[6:7], 1, v14
	s_waitcnt lgkmcnt(2)
	v_cndmask_b32_e64 v12, v12, 0, s[6:7]
	s_waitcnt lgkmcnt(0)
	v_or_b32_e32 v9, v9, v11
	v_add_u32_e32 v12, v12, v13
	v_and_b32_e32 v9, 1, v9
	ds_write2_b32 v10, v12, v9 offset0:14 offset1:15
.LBB102_112:
	s_or_b64 exec, exec, s[8:9]
	s_movk_i32 s6, 0xff
	v_cmp_gt_u32_e64 s[6:7], s6, v0
	s_waitcnt lgkmcnt(0)
	s_barrier
	s_and_saveexec_b64 s[8:9], s[6:7]
	s_cbranch_execz .LBB102_114
; %bb.113:
	v_lshl_add_u32 v8, v8, 3, s10
	ds_read_u8 v9, v8 offset:28
	v_lshl_add_u32 v7, v7, 3, s10
	ds_read_b32 v10, v7
	ds_read_b32 v11, v8 offset:24
	ds_read_u8 v7, v7 offset:4
	s_waitcnt lgkmcnt(3)
	v_and_b32_e32 v12, 1, v9
	v_cmp_eq_u32_e64 s[6:7], 1, v12
	s_waitcnt lgkmcnt(2)
	v_cndmask_b32_e64 v10, v10, 0, s[6:7]
	s_waitcnt lgkmcnt(0)
	v_or_b32_e32 v7, v7, v9
	v_add_u32_e32 v10, v10, v11
	v_and_b32_e32 v7, 1, v7
	ds_write2_b32 v8, v10, v7 offset0:6 offset1:7
.LBB102_114:
	s_or_b64 exec, exec, s[8:9]
	s_movk_i32 s6, 0x1ff
	v_cmp_gt_u32_e64 s[6:7], s6, v0
	s_waitcnt lgkmcnt(0)
	s_barrier
	s_and_saveexec_b64 s[8:9], s[6:7]
	s_cbranch_execz .LBB102_116
; %bb.115:
	v_lshl_add_u32 v6, v6, 3, s10
	ds_read_u8 v7, v6 offset:12
	v_add_u32_e32 v8, -8, v6
	ds_read_b32 v9, v8
	ds_read_b32 v10, v6 offset:8
	ds_read_u8 v8, v8 offset:4
	s_waitcnt lgkmcnt(3)
	v_and_b32_e32 v11, 1, v7
	v_cmp_eq_u32_e64 s[6:7], 1, v11
	s_waitcnt lgkmcnt(2)
	v_cndmask_b32_e64 v9, v9, 0, s[6:7]
	s_waitcnt lgkmcnt(0)
	v_or_b32_e32 v7, v8, v7
	v_add_u32_e32 v9, v9, v10
	v_and_b32_e32 v7, 1, v7
	ds_write2_b32 v6, v9, v7 offset0:2 offset1:3
.LBB102_116:
	s_or_b64 exec, exec, s[8:9]
	v_mul_u32_u24_e32 v6, 12, v0
	s_waitcnt lgkmcnt(0)
	s_barrier
	s_and_saveexec_b64 s[6:7], s[2:3]
	s_cbranch_execz .LBB102_118
; %bb.117:
	v_lshl_add_u32 v4, v4, 3, 2
	ds_read_u8 v7, v4 offset:4100
	ds_read_b32 v8, v5 offset:8
	v_add_u32_e32 v9, 0x1000, v4
	ds_read_b32 v4, v4 offset:4096
	ds_read_u8 v10, v5 offset:12
	s_waitcnt lgkmcnt(3)
	v_and_b32_e32 v11, 1, v7
	v_cmp_eq_u32_e64 s[2:3], 1, v11
	s_waitcnt lgkmcnt(2)
	v_cndmask_b32_e64 v8, v8, 0, s[2:3]
	s_waitcnt lgkmcnt(0)
	v_or_b32_e32 v7, v10, v7
	v_add_u32_e32 v4, v8, v4
	v_and_b32_e32 v7, 1, v7
	ds_write2_b32 v9, v4, v7 offset1:1
.LBB102_118:
	s_or_b64 exec, exec, s[6:7]
	v_add_u32_e32 v3, v3, v6
	s_waitcnt lgkmcnt(0)
	s_barrier
	ds_read_b32 v3, v3 offset:4096
	ds_read_b32 v5, v5 offset:8
	v_mbcnt_lo_u32_b32 v8, -1, 0
	v_mbcnt_hi_u32_b32 v13, -1, v8
	v_and_b32_e32 v14, 63, v13
	v_or_b32_e32 v4, 1, v2
	v_cmp_gt_u32_e64 s[8:9], 32, v14
	v_cmp_gt_u32_e64 s[2:3], s16, v2
	;; [unrolled: 1-line block ×3, first 2 shown]
	v_cndmask_b32_e64 v8, 0, 1, s[8:9]
	s_waitcnt lgkmcnt(1)
	v_cndmask_b32_e64 v3, 0, v3, s[2:3]
	s_waitcnt lgkmcnt(0)
	v_cndmask_b32_e64 v5, 0, v5, s[6:7]
	v_lshlrev_b32_e32 v8, 5, v8
	v_cndmask_b32_e64 v6, 0, v2, s[2:3]
	v_max_u32_e32 v7, v5, v3
	v_add_lshl_u32 v8, v8, v13, 2
	v_cndmask_b32_e64 v9, 0, v4, s[6:7]
	v_cmp_gt_u32_e64 s[8:9], v5, v3
	ds_bpermute_b32 v10, v8, v7
	v_cndmask_b32_e64 v3, v6, v9, s[8:9]
	ds_bpermute_b32 v5, v8, v3
	v_cmp_gt_u32_e64 s[8:9], 48, v14
	v_cndmask_b32_e64 v9, 0, 1, s[8:9]
	v_lshlrev_b32_e32 v9, 4, v9
	s_waitcnt lgkmcnt(1)
	v_max_u32_e32 v6, v10, v7
	v_add_lshl_u32 v9, v9, v13, 2
	v_cmp_gt_u32_e64 s[8:9], v10, v7
	ds_bpermute_b32 v11, v9, v6
	s_waitcnt lgkmcnt(1)
	v_cndmask_b32_e64 v3, v3, v5, s[8:9]
	ds_bpermute_b32 v5, v9, v3
	v_cmp_gt_u32_e64 s[8:9], 56, v14
	v_cndmask_b32_e64 v10, 0, 1, s[8:9]
	v_lshlrev_b32_e32 v10, 3, v10
	s_waitcnt lgkmcnt(1)
	v_max_u32_e32 v7, v11, v6
	v_add_lshl_u32 v10, v10, v13, 2
	v_cmp_gt_u32_e64 s[8:9], v11, v6
	ds_bpermute_b32 v12, v10, v7
	s_waitcnt lgkmcnt(1)
	;; [unrolled: 11-line block ×4, first 2 shown]
	v_cndmask_b32_e64 v5, v3, v5, s[8:9]
	ds_bpermute_b32 v6, v12, v5
	s_waitcnt lgkmcnt(0)
	s_barrier
	v_cmp_gt_u32_e64 s[8:9], v16, v7
	v_max_u32_e32 v3, v16, v7
	v_cndmask_b32_e64 v5, v5, v6, s[8:9]
	v_cmp_ne_u32_e64 s[8:9], 63, v14
	v_addc_co_u32_e64 v6, s[8:9], 0, v13, s[8:9]
	v_lshlrev_b32_e32 v13, 2, v6
	ds_bpermute_b32 v6, v13, v5
	ds_bpermute_b32 v7, v13, v3
	v_cmp_eq_u32_e64 s[8:9], 0, v1
	s_waitcnt lgkmcnt(0)
	s_barrier
	s_and_saveexec_b64 s[12:13], s[8:9]
	s_cbranch_execz .LBB102_120
; %bb.119:
	v_lshrrev_b32_e32 v14, 3, v0
	v_add_u32_e32 v14, 2, v14
	v_cmp_gt_u32_e64 s[10:11], v7, v3
	v_add_u32_e32 v14, 0x1000, v14
	v_cndmask_b32_e64 v5, v5, v6, s[10:11]
	v_max_u32_e32 v3, v7, v3
	ds_write2_b32 v14, v3, v5 offset1:1
.LBB102_120:
	s_or_b64 exec, exec, s[12:13]
	s_lshr_b32 s10, s22, 6
	v_cmp_gt_u32_e64 s[10:11], s10, v0
	v_lshl_add_u32 v14, v1, 3, 2
	v_mov_b32_e32 v3, 0
	v_mov_b32_e32 v5, 0
	s_waitcnt lgkmcnt(0)
	s_barrier
	s_and_saveexec_b64 s[12:13], s[10:11]
	s_cbranch_execnz .LBB102_143
; %bb.121:
	s_or_b64 exec, exec, s[12:13]
	s_and_saveexec_b64 s[12:13], s[10:11]
	s_cbranch_execnz .LBB102_144
.LBB102_122:
	s_or_b64 exec, exec, s[12:13]
	s_and_saveexec_b64 s[22:23], s[0:1]
	s_cbranch_execnz .LBB102_145
.LBB102_123:
	s_or_b64 exec, exec, s[22:23]
	s_and_saveexec_b64 s[12:13], vcc
	s_cbranch_execz .LBB102_125
.LBB102_124:
	s_waitcnt lgkmcnt(0)
	v_lshl_add_u32 v3, v3, 1, 2
	ds_read_u16 v3, v3
	v_mov_b32_e32 v5, 0
	s_waitcnt lgkmcnt(0)
	ds_write_b16 v5, v3
.LBB102_125:
	s_or_b64 exec, exec, s[12:13]
	s_mov_b32 s22, 0
	s_waitcnt lgkmcnt(0)
	v_mov_b32_e32 v3, 0
	s_mov_b32 s23, s22
	v_cmp_gt_i64_e64 s[12:13], s[16:17], v[2:3]
	v_pk_mov_b32 v[6:7], s[22:23], s[22:23] op_sel:[0,1]
	s_barrier
	s_and_saveexec_b64 s[22:23], s[12:13]
	s_cbranch_execz .LBB102_127
; %bb.126:
	v_add_u32_e32 v6, s19, v2
	v_mov_b32_e32 v7, v3
	v_lshlrev_b64 v[6:7], 1, v[6:7]
	v_mov_b32_e32 v5, s21
	v_add_co_u32_e64 v6, s[12:13], s20, v6
	v_addc_co_u32_e64 v7, s[12:13], v5, v7, s[12:13]
	global_load_ushort v5, v[6:7], off
	ds_read_u16 v6, v3
	s_waitcnt vmcnt(0) lgkmcnt(0)
	v_cmp_eq_f16_e64 s[12:13], v5, v6
	v_cndmask_b32_e64 v2, 0, v2, s[12:13]
	v_pk_mov_b32 v[6:7], v[2:3], v[2:3] op_sel:[0,1]
.LBB102_127:
	s_or_b64 exec, exec, s[22:23]
	v_mov_b32_e32 v5, v3
	v_cmp_gt_i64_e64 s[12:13], s[16:17], v[4:5]
	s_and_saveexec_b64 s[16:17], s[12:13]
	s_cbranch_execz .LBB102_129
; %bb.128:
	v_add_u32_e32 v2, s19, v4
	v_mov_b32_e32 v3, 0
	v_lshlrev_b64 v[16:17], 1, v[2:3]
	v_mov_b32_e32 v2, s21
	v_add_co_u32_e64 v16, s[12:13], s20, v16
	v_addc_co_u32_e64 v17, s[12:13], v2, v17, s[12:13]
	global_load_ushort v2, v[16:17], off
	ds_read_u16 v3, v3
	s_waitcnt vmcnt(0) lgkmcnt(0)
	v_cmp_eq_f16_e64 s[12:13], v2, v3
	v_cndmask_b32_e64 v7, 0, v4, s[12:13]
.LBB102_129:
	s_or_b64 exec, exec, s[16:17]
	v_cndmask_b32_e64 v2, 0, v6, s[2:3]
	v_cndmask_b32_e64 v3, 0, v7, s[6:7]
	v_max_u32_e32 v2, v3, v2
	ds_bpermute_b32 v3, v8, v2
	s_waitcnt lgkmcnt(0)
	s_barrier
	v_max_u32_e32 v2, v3, v2
	ds_bpermute_b32 v3, v9, v2
	s_waitcnt lgkmcnt(0)
	v_max_u32_e32 v2, v3, v2
	ds_bpermute_b32 v3, v10, v2
	s_waitcnt lgkmcnt(0)
	;; [unrolled: 3-line block ×4, first 2 shown]
	v_max_u32_e32 v2, v3, v2
	ds_bpermute_b32 v3, v13, v2
	s_and_saveexec_b64 s[2:3], s[8:9]
	s_cbranch_execz .LBB102_131
; %bb.130:
	v_lshrrev_b32_e32 v0, 4, v0
	v_add_u32_e32 v0, 2, v0
	s_waitcnt lgkmcnt(0)
	v_max_u32_e32 v2, v3, v2
	ds_write_b32 v0, v2
.LBB102_131:
	s_or_b64 exec, exec, s[2:3]
	v_mov_b32_e32 v0, 0
	s_waitcnt lgkmcnt(0)
	s_barrier
	s_and_saveexec_b64 s[2:3], s[10:11]
	s_cbranch_execnz .LBB102_146
; %bb.132:
	s_or_b64 exec, exec, s[2:3]
	s_and_saveexec_b64 s[2:3], s[0:1]
	s_cbranch_execnz .LBB102_147
.LBB102_133:
	s_or_b64 exec, exec, s[2:3]
	s_and_saveexec_b64 s[0:1], vcc
	s_cbranch_execnz .LBB102_148
.LBB102_134:
	s_endpgm
.LBB102_135:
	ds_read_u8 v6, v1 offset:4096
	s_andn2_b64 s[0:1], s[0:1], exec
	s_mov_b32 s6, 1
	s_waitcnt lgkmcnt(0)
	v_and_b32_e32 v6, 1, v6
	v_cmp_eq_u32_e32 vcc, 1, v6
	s_xor_b64 s[8:9], vcc, -1
	s_and_b64 s[8:9], s[8:9], exec
	s_or_b64 s[0:1], s[0:1], s[8:9]
	s_or_b64 exec, exec, s[2:3]
	v_mov_b32_e32 v6, s6
	s_and_saveexec_b64 s[2:3], s[0:1]
	s_cbranch_execz .LBB102_25
.LBB102_136:
	ds_read_u8 v6, v1 offset:5120
	s_waitcnt lgkmcnt(0)
	v_xor_b32_e32 v6, 1, v6
	s_or_b64 exec, exec, s[2:3]
	v_cmp_eq_u32_e32 vcc, 0, v6
	s_and_saveexec_b64 s[0:1], vcc
	s_cbranch_execnz .LBB102_26
	s_branch .LBB102_27
.LBB102_137:
	ds_read_u8 v7, v1 offset:4096
	s_andn2_b64 s[0:1], s[0:1], exec
	s_waitcnt lgkmcnt(0)
	v_and_b32_e32 v7, 1, v7
	v_cmp_eq_u32_e32 vcc, 1, v7
	s_xor_b64 s[8:9], vcc, -1
	s_and_b64 s[8:9], s[8:9], exec
	s_or_b64 s[0:1], s[0:1], s[8:9]
	s_or_b64 exec, exec, s[2:3]
	v_mov_b32_e32 v7, s6
	s_and_saveexec_b64 s[2:3], s[0:1]
	s_cbranch_execz .LBB102_29
.LBB102_138:
	ds_read_u8 v7, v1 offset:4608
	s_waitcnt lgkmcnt(0)
	v_xor_b32_e32 v7, 1, v7
	s_or_b64 exec, exec, s[2:3]
	v_cmp_eq_u32_e32 vcc, 0, v7
	s_and_saveexec_b64 s[0:1], vcc
	s_cbranch_execnz .LBB102_30
	s_branch .LBB102_31
.LBB102_139:
	ds_read_u8 v7, v1 offset:4096
	s_andn2_b64 s[0:1], s[0:1], exec
	s_waitcnt lgkmcnt(0)
	v_and_b32_e32 v7, 1, v7
	v_cmp_eq_u32_e32 vcc, 1, v7
	s_xor_b64 s[8:9], vcc, -1
	s_and_b64 s[8:9], s[8:9], exec
	s_or_b64 s[0:1], s[0:1], s[8:9]
	s_or_b64 exec, exec, s[2:3]
	v_mov_b32_e32 v7, s6
	s_and_saveexec_b64 s[2:3], s[0:1]
	s_cbranch_execz .LBB102_33
.LBB102_140:
	ds_read_u8 v7, v1 offset:4352
	s_waitcnt lgkmcnt(0)
	v_xor_b32_e32 v7, 1, v7
	s_or_b64 exec, exec, s[2:3]
	v_cmp_eq_u32_e32 vcc, 0, v7
	s_and_saveexec_b64 s[0:1], vcc
	s_cbranch_execnz .LBB102_34
	s_branch .LBB102_35
.LBB102_141:
	ds_read_u8 v7, v1 offset:4096
	s_andn2_b64 s[0:1], s[0:1], exec
	s_waitcnt lgkmcnt(0)
	v_and_b32_e32 v7, 1, v7
	v_cmp_eq_u32_e32 vcc, 1, v7
	s_xor_b64 s[8:9], vcc, -1
	s_and_b64 s[8:9], s[8:9], exec
	s_or_b64 s[0:1], s[0:1], s[8:9]
	s_or_b64 exec, exec, s[2:3]
	v_mov_b32_e32 v7, s6
	s_and_saveexec_b64 s[2:3], s[0:1]
	s_cbranch_execz .LBB102_37
.LBB102_142:
	ds_read_u8 v7, v1 offset:4224
	s_waitcnt lgkmcnt(0)
	v_xor_b32_e32 v7, 1, v7
	s_or_b64 exec, exec, s[2:3]
	v_cmp_eq_u32_e32 vcc, 0, v7
	s_and_saveexec_b64 s[0:1], vcc
	s_cbranch_execnz .LBB102_38
	s_branch .LBB102_39
.LBB102_143:
	ds_read_b32 v5, v14 offset:4096
	s_or_b64 exec, exec, s[12:13]
	s_and_saveexec_b64 s[12:13], s[10:11]
	s_cbranch_execz .LBB102_122
.LBB102_144:
	ds_read_b32 v3, v14 offset:4100
	s_or_b64 exec, exec, s[12:13]
	s_and_saveexec_b64 s[22:23], s[0:1]
	s_cbranch_execz .LBB102_123
.LBB102_145:
	s_waitcnt lgkmcnt(0)
	ds_bpermute_b32 v6, v8, v5
	ds_bpermute_b32 v7, v8, v3
	s_waitcnt lgkmcnt(1)
	v_max_u32_e32 v15, v6, v5
	v_cmp_gt_u32_e64 s[12:13], v6, v5
	ds_bpermute_b32 v16, v9, v15
	s_waitcnt lgkmcnt(1)
	v_cndmask_b32_e64 v3, v3, v7, s[12:13]
	ds_bpermute_b32 v5, v9, v3
	s_waitcnt lgkmcnt(1)
	v_max_u32_e32 v6, v16, v15
	v_cmp_gt_u32_e64 s[12:13], v16, v15
	ds_bpermute_b32 v7, v10, v6
	s_waitcnt lgkmcnt(1)
	v_cndmask_b32_e64 v3, v3, v5, s[12:13]
	ds_bpermute_b32 v5, v10, v3
	s_waitcnt lgkmcnt(1)
	v_max_u32_e32 v15, v7, v6
	v_cmp_gt_u32_e64 s[12:13], v7, v6
	ds_bpermute_b32 v16, v11, v15
	s_waitcnt lgkmcnt(1)
	v_cndmask_b32_e64 v3, v3, v5, s[12:13]
	ds_bpermute_b32 v5, v11, v3
	s_waitcnt lgkmcnt(1)
	v_max_u32_e32 v6, v16, v15
	v_cmp_gt_u32_e64 s[12:13], v16, v15
	ds_bpermute_b32 v7, v12, v6
	s_waitcnt lgkmcnt(1)
	v_cndmask_b32_e64 v3, v3, v5, s[12:13]
	ds_bpermute_b32 v5, v12, v3
	s_waitcnt lgkmcnt(1)
	v_max_u32_e32 v15, v7, v6
	v_cmp_gt_u32_e64 s[12:13], v7, v6
	s_waitcnt lgkmcnt(0)
	v_cndmask_b32_e64 v3, v3, v5, s[12:13]
	ds_bpermute_b32 v5, v13, v15
	ds_bpermute_b32 v6, v13, v3
	s_waitcnt lgkmcnt(1)
	v_cmp_gt_u32_e64 s[12:13], v5, v15
	s_waitcnt lgkmcnt(0)
	v_cndmask_b32_e64 v3, v3, v6, s[12:13]
	s_or_b64 exec, exec, s[22:23]
	s_and_saveexec_b64 s[12:13], vcc
	s_cbranch_execnz .LBB102_124
	s_branch .LBB102_125
.LBB102_146:
	v_lshlrev_b32_e32 v0, 2, v1
	v_sub_u32_e32 v0, v14, v0
	ds_read_b32 v0, v0
	s_or_b64 exec, exec, s[2:3]
	s_and_saveexec_b64 s[2:3], s[0:1]
	s_cbranch_execz .LBB102_133
.LBB102_147:
	s_waitcnt lgkmcnt(0)
	ds_bpermute_b32 v1, v8, v0
	s_waitcnt lgkmcnt(0)
	v_max_u32_e32 v0, v1, v0
	ds_bpermute_b32 v1, v9, v0
	s_waitcnt lgkmcnt(0)
	v_max_u32_e32 v0, v1, v0
	;; [unrolled: 3-line block ×6, first 2 shown]
	s_or_b64 exec, exec, s[2:3]
	s_and_saveexec_b64 s[0:1], vcc
	s_cbranch_execz .LBB102_134
.LBB102_148:
	s_load_dword s0, s[4:5], 0xd8
	s_add_u32 s2, s4, 8
	s_addc_u32 s3, s5, 0
	s_mov_b32 s1, 0
	s_waitcnt lgkmcnt(0)
	s_cmp_lt_i32 s0, 2
	s_cbranch_scc1 .LBB102_151
; %bb.149:
	s_add_i32 s6, s0, 1
	s_add_i32 s0, s0, -1
	s_lshl_b64 s[4:5], s[0:1], 2
	s_add_u32 s0, s4, s2
	s_addc_u32 s5, s5, s3
	s_add_u32 s4, s0, 8
	s_addc_u32 s5, s5, 0
.LBB102_150:                            ; =>This Inner Loop Header: Depth=1
	s_load_dword s0, s[4:5], 0x0
	s_load_dword s8, s[4:5], 0x64
	s_mov_b32 s7, s18
	s_waitcnt lgkmcnt(0)
	v_cvt_f32_u32_e32 v1, s0
	s_sub_i32 s9, 0, s0
	v_rcp_iflag_f32_e32 v1, v1
	v_mul_f32_e32 v1, 0x4f7ffffe, v1
	v_cvt_u32_f32_e32 v1, v1
	v_readfirstlane_b32 s10, v1
	s_mul_i32 s9, s9, s10
	s_mul_hi_u32 s9, s10, s9
	s_add_i32 s10, s10, s9
	s_mul_hi_u32 s9, s18, s10
	s_mul_i32 s10, s9, s0
	s_sub_i32 s10, s18, s10
	s_add_i32 s11, s9, 1
	s_sub_i32 s12, s10, s0
	s_cmp_ge_u32 s10, s0
	s_cselect_b32 s9, s11, s9
	s_cselect_b32 s10, s12, s10
	s_add_i32 s11, s9, 1
	s_cmp_ge_u32 s10, s0
	s_cselect_b32 s18, s11, s9
	s_mul_i32 s0, s18, s0
	s_sub_i32 s0, s7, s0
	s_mul_i32 s0, s8, s0
	s_add_i32 s6, s6, -1
	s_add_i32 s1, s0, s1
	s_add_u32 s4, s4, -4
	s_addc_u32 s5, s5, -1
	s_cmp_gt_u32 s6, 2
	s_cbranch_scc1 .LBB102_150
.LBB102_151:
	s_load_dword s0, s[2:3], 0x6c
	v_mov_b32_e32 v1, 0
	s_load_dwordx2 s[2:3], s[2:3], 0x0
	ds_read_u16 v2, v1
	s_mov_b32 s5, 0
	s_waitcnt lgkmcnt(0)
	s_mul_i32 s0, s0, s18
	s_add_i32 s4, s0, s1
	s_lshl_b64 s[0:1], s[4:5], 1
	s_add_u32 s0, s2, s0
	s_addc_u32 s1, s3, s1
	global_store_short v1, v2, s[0:1]
	s_lshl_b64 s[0:1], s[4:5], 3
	s_add_u32 s0, s14, s0
	s_addc_u32 s1, s15, s1
	global_store_dwordx2 v1, v[0:1], s[0:1]
	s_endpgm
	.section	.rodata,"a",@progbits
	.p2align	6, 0x0
	.amdhsa_kernel _ZN2at6native12compute_modeIN3c104HalfELj2048EEEvPKT_NS_4cuda6detail10TensorInfoIS4_jEENS9_IljEEll
		.amdhsa_group_segment_fixed_size 2
		.amdhsa_private_segment_fixed_size 0
		.amdhsa_kernarg_size 712
		.amdhsa_user_sgpr_count 6
		.amdhsa_user_sgpr_private_segment_buffer 1
		.amdhsa_user_sgpr_dispatch_ptr 0
		.amdhsa_user_sgpr_queue_ptr 0
		.amdhsa_user_sgpr_kernarg_segment_ptr 1
		.amdhsa_user_sgpr_dispatch_id 0
		.amdhsa_user_sgpr_flat_scratch_init 0
		.amdhsa_user_sgpr_kernarg_preload_length 0
		.amdhsa_user_sgpr_kernarg_preload_offset 0
		.amdhsa_user_sgpr_private_segment_size 0
		.amdhsa_uses_dynamic_stack 0
		.amdhsa_system_sgpr_private_segment_wavefront_offset 0
		.amdhsa_system_sgpr_workgroup_id_x 1
		.amdhsa_system_sgpr_workgroup_id_y 1
		.amdhsa_system_sgpr_workgroup_id_z 1
		.amdhsa_system_sgpr_workgroup_info 0
		.amdhsa_system_vgpr_workitem_id 0
		.amdhsa_next_free_vgpr 28
		.amdhsa_next_free_sgpr 24
		.amdhsa_accum_offset 28
		.amdhsa_reserve_vcc 1
		.amdhsa_reserve_flat_scratch 0
		.amdhsa_float_round_mode_32 0
		.amdhsa_float_round_mode_16_64 0
		.amdhsa_float_denorm_mode_32 3
		.amdhsa_float_denorm_mode_16_64 3
		.amdhsa_dx10_clamp 1
		.amdhsa_ieee_mode 1
		.amdhsa_fp16_overflow 0
		.amdhsa_tg_split 0
		.amdhsa_exception_fp_ieee_invalid_op 0
		.amdhsa_exception_fp_denorm_src 0
		.amdhsa_exception_fp_ieee_div_zero 0
		.amdhsa_exception_fp_ieee_overflow 0
		.amdhsa_exception_fp_ieee_underflow 0
		.amdhsa_exception_fp_ieee_inexact 0
		.amdhsa_exception_int_div_zero 0
	.end_amdhsa_kernel
	.section	.text._ZN2at6native12compute_modeIN3c104HalfELj2048EEEvPKT_NS_4cuda6detail10TensorInfoIS4_jEENS9_IljEEll,"axG",@progbits,_ZN2at6native12compute_modeIN3c104HalfELj2048EEEvPKT_NS_4cuda6detail10TensorInfoIS4_jEENS9_IljEEll,comdat
.Lfunc_end102:
	.size	_ZN2at6native12compute_modeIN3c104HalfELj2048EEEvPKT_NS_4cuda6detail10TensorInfoIS4_jEENS9_IljEEll, .Lfunc_end102-_ZN2at6native12compute_modeIN3c104HalfELj2048EEEvPKT_NS_4cuda6detail10TensorInfoIS4_jEENS9_IljEEll
                                        ; -- End function
	.section	.AMDGPU.csdata,"",@progbits
; Kernel info:
; codeLenInByte = 8208
; NumSgprs: 28
; NumVgprs: 28
; NumAgprs: 0
; TotalNumVgprs: 28
; ScratchSize: 0
; MemoryBound: 0
; FloatMode: 240
; IeeeMode: 1
; LDSByteSize: 2 bytes/workgroup (compile time only)
; SGPRBlocks: 3
; VGPRBlocks: 3
; NumSGPRsForWavesPerEU: 28
; NumVGPRsForWavesPerEU: 28
; AccumOffset: 28
; Occupancy: 8
; WaveLimiterHint : 1
; COMPUTE_PGM_RSRC2:SCRATCH_EN: 0
; COMPUTE_PGM_RSRC2:USER_SGPR: 6
; COMPUTE_PGM_RSRC2:TRAP_HANDLER: 0
; COMPUTE_PGM_RSRC2:TGID_X_EN: 1
; COMPUTE_PGM_RSRC2:TGID_Y_EN: 1
; COMPUTE_PGM_RSRC2:TGID_Z_EN: 1
; COMPUTE_PGM_RSRC2:TIDIG_COMP_CNT: 0
; COMPUTE_PGM_RSRC3_GFX90A:ACCUM_OFFSET: 6
; COMPUTE_PGM_RSRC3_GFX90A:TG_SPLIT: 0
	.section	.text._ZN2at6native12compute_modeIN3c104HalfELj1024EEEvPKT_NS_4cuda6detail10TensorInfoIS4_jEENS9_IljEEll,"axG",@progbits,_ZN2at6native12compute_modeIN3c104HalfELj1024EEEvPKT_NS_4cuda6detail10TensorInfoIS4_jEENS9_IljEEll,comdat
	.protected	_ZN2at6native12compute_modeIN3c104HalfELj1024EEEvPKT_NS_4cuda6detail10TensorInfoIS4_jEENS9_IljEEll ; -- Begin function _ZN2at6native12compute_modeIN3c104HalfELj1024EEEvPKT_NS_4cuda6detail10TensorInfoIS4_jEENS9_IljEEll
	.globl	_ZN2at6native12compute_modeIN3c104HalfELj1024EEEvPKT_NS_4cuda6detail10TensorInfoIS4_jEENS9_IljEEll
	.p2align	8
	.type	_ZN2at6native12compute_modeIN3c104HalfELj1024EEEvPKT_NS_4cuda6detail10TensorInfoIS4_jEENS9_IljEEll,@function
_ZN2at6native12compute_modeIN3c104HalfELj1024EEEvPKT_NS_4cuda6detail10TensorInfoIS4_jEENS9_IljEEll: ; @_ZN2at6native12compute_modeIN3c104HalfELj1024EEEvPKT_NS_4cuda6detail10TensorInfoIS4_jEENS9_IljEEll
; %bb.0:
	s_load_dwordx4 s[16:19], s[4:5], 0x1b8
	s_load_dwordx2 s[2:3], s[4:5], 0x1c8
	s_add_u32 s0, s4, 0x1c8
	s_addc_u32 s1, s5, 0
	s_waitcnt lgkmcnt(0)
	v_mov_b32_e32 v2, s18
	s_mul_i32 s3, s3, s8
	s_add_i32 s3, s3, s7
	s_mul_i32 s2, s3, s2
	v_mov_b32_e32 v3, s19
	s_add_i32 s18, s2, s6
	s_mov_b32 s19, 0
	v_cmp_ge_i64_e32 vcc, s[18:19], v[2:3]
	s_cbranch_vccnz .LBB103_120
; %bb.1:
	s_load_dwordx2 s[20:21], s[4:5], 0x0
	s_load_dword s6, s[0:1], 0xc
	v_mov_b32_e32 v3, 0
	v_mov_b32_e32 v1, v3
	s_mul_i32 s19, s18, s16
	v_cmp_gt_i64_e32 vcc, s[16:17], v[0:1]
	s_and_saveexec_b64 s[2:3], vcc
	s_cbranch_execz .LBB103_3
; %bb.2:
	v_add_u32_e32 v2, s19, v0
	v_lshlrev_b64 v[4:5], 1, v[2:3]
	s_waitcnt lgkmcnt(0)
	v_mov_b32_e32 v1, s21
	v_add_co_u32_e64 v4, s[0:1], s20, v4
	v_addc_co_u32_e64 v5, s[0:1], v1, v5, s[0:1]
	global_load_ushort v1, v[4:5], off
	v_lshl_add_u32 v2, v0, 1, 2
	s_waitcnt vmcnt(0)
	ds_write_b16 v2, v1
.LBB103_3:
	s_or_b64 exec, exec, s[2:3]
	s_load_dwordx2 s[14:15], s[4:5], 0xe0
	s_waitcnt lgkmcnt(0)
	s_and_b32 s22, 0xffff, s6
	v_add_u32_e32 v2, s22, v0
	v_cmp_gt_i64_e64 s[0:1], s[16:17], v[2:3]
	s_and_saveexec_b64 s[6:7], s[0:1]
	s_cbranch_execz .LBB103_5
; %bb.4:
	v_add_u32_e32 v4, s19, v2
	v_mov_b32_e32 v5, 0
	v_lshlrev_b64 v[4:5], 1, v[4:5]
	v_mov_b32_e32 v1, s21
	v_add_co_u32_e64 v4, s[2:3], s20, v4
	v_addc_co_u32_e64 v5, s[2:3], v1, v5, s[2:3]
	global_load_ushort v1, v[4:5], off
	v_lshl_add_u32 v2, v2, 1, 2
	s_waitcnt vmcnt(0)
	ds_write_b16 v2, v1
.LBB103_5:
	s_or_b64 exec, exec, s[6:7]
	v_add_u32_e32 v1, 2, v0
	v_cndmask_b32_e64 v2, 0, 1, vcc
	ds_write_b8 v1, v2 offset:2048
	v_add_u32_e32 v1, s22, v1
	v_cndmask_b32_e64 v2, 0, 1, s[0:1]
	s_mov_b32 s6, 2
	ds_write_b8 v1, v2 offset:2048
	v_lshlrev_b32_e32 v2, 1, v0
	s_waitcnt lgkmcnt(0)
	s_barrier
	s_branch .LBB103_7
.LBB103_6:                              ;   in Loop: Header=BB103_7 Depth=1
	s_lshl_b32 s0, s6, 1
	s_cmpk_gt_u32 s6, 0x1ff
	s_mov_b32 s6, s0
	s_cbranch_scc1 .LBB103_15
.LBB103_7:                              ; =>This Loop Header: Depth=1
                                        ;     Child Loop BB103_9 Depth 2
	s_lshr_b32 s7, s6, 1
	v_and_b32_e32 v1, s7, v0
	v_cmp_ne_u32_e32 vcc, 0, v1
	v_cndmask_b32_e64 v1, 0, 1, vcc
	s_branch .LBB103_9
.LBB103_8:                              ;   in Loop: Header=BB103_9 Depth=2
	s_or_b64 exec, exec, s[0:1]
	s_lshr_b32 s0, s7, 1
	s_cmp_lt_u32 s7, 2
	s_mov_b32 s7, s0
	s_cbranch_scc1 .LBB103_6
.LBB103_9:                              ;   Parent Loop BB103_7 Depth=1
                                        ; =>  This Inner Loop Header: Depth=2
	s_add_i32 s0, s7, -1
	v_and_b32_e32 v3, s0, v0
	v_sub_u32_e32 v6, v2, v3
	v_lshl_add_u32 v3, v6, 1, 2
	s_barrier
	v_lshl_add_u32 v4, s7, 1, v3
	ds_read_u16 v5, v3
	ds_read_u16 v7, v4
	v_add_u32_e32 v6, 2, v6
                                        ; implicit-def: $sgpr8
	s_waitcnt lgkmcnt(0)
	v_cmp_nlt_f16_e64 s[0:1], v5, v7
	v_cmp_lt_f16_e32 vcc, v5, v7
	s_and_saveexec_b64 s[2:3], vcc
	s_cbranch_execz .LBB103_11
; %bb.10:                               ;   in Loop: Header=BB103_9 Depth=2
	ds_read_u8 v8, v6 offset:2048
	s_andn2_b64 s[0:1], s[0:1], exec
	s_mov_b32 s8, 1
	s_waitcnt lgkmcnt(0)
	v_and_b32_e32 v8, 1, v8
	v_cmp_eq_u32_e32 vcc, 1, v8
	s_xor_b64 s[10:11], vcc, -1
	s_and_b64 s[10:11], s[10:11], exec
	s_or_b64 s[0:1], s[0:1], s[10:11]
.LBB103_11:                             ;   in Loop: Header=BB103_9 Depth=2
	s_or_b64 exec, exec, s[2:3]
	v_mov_b32_e32 v9, s8
	v_add_u32_e32 v8, s7, v6
	s_and_saveexec_b64 s[2:3], s[0:1]
	s_cbranch_execz .LBB103_13
; %bb.12:                               ;   in Loop: Header=BB103_9 Depth=2
	ds_read_u8 v9, v8 offset:2048
	s_waitcnt lgkmcnt(0)
	v_xor_b32_e32 v9, 1, v9
.LBB103_13:                             ;   in Loop: Header=BB103_9 Depth=2
	s_or_b64 exec, exec, s[2:3]
	v_cmp_eq_u32_e32 vcc, v9, v1
	s_and_saveexec_b64 s[0:1], vcc
	s_cbranch_execz .LBB103_8
; %bb.14:                               ;   in Loop: Header=BB103_9 Depth=2
	ds_read_u8 v9, v8 offset:2048
	ds_read_u8 v10, v6 offset:2048
	ds_write_b16 v3, v7
	ds_write_b16 v4, v5
	s_waitcnt lgkmcnt(3)
	ds_write_b8 v6, v9 offset:2048
	s_waitcnt lgkmcnt(3)
	ds_write_b8 v8, v10 offset:2048
	s_branch .LBB103_8
.LBB103_15:
	v_and_b32_e32 v1, 0x1ff, v0
	v_sub_u32_e32 v4, v2, v1
	v_lshl_add_u32 v3, v4, 1, 2
	v_add_u32_e32 v1, 2, v4
	s_waitcnt lgkmcnt(0)
	s_barrier
	v_add_u32_e32 v4, v1, v4
	ds_read_u16 v5, v3
	ds_read_u16 v6, v4 offset:1024
	s_mov_b32 s6, 1
	s_waitcnt lgkmcnt(0)
	v_cmp_nlt_f16_e64 s[0:1], v5, v6
	v_cmp_lt_f16_e32 vcc, v5, v6
	s_and_saveexec_b64 s[2:3], vcc
	s_cbranch_execnz .LBB103_121
; %bb.16:
	s_or_b64 exec, exec, s[2:3]
	v_mov_b32_e32 v7, s6
	s_and_saveexec_b64 s[2:3], s[0:1]
	s_cbranch_execnz .LBB103_122
.LBB103_17:
	s_or_b64 exec, exec, s[2:3]
	v_cmp_eq_u32_e32 vcc, 0, v7
	s_and_saveexec_b64 s[0:1], vcc
	s_cbranch_execz .LBB103_19
.LBB103_18:
	ds_read_u8 v7, v1 offset:2560
	ds_read_u8 v8, v1 offset:2048
	ds_write_b16 v3, v6
	ds_write_b16 v4, v5 offset:1024
	s_waitcnt lgkmcnt(3)
	ds_write_b8 v1, v7 offset:2048
	s_waitcnt lgkmcnt(3)
	ds_write_b8 v1, v8 offset:2560
.LBB103_19:
	s_or_b64 exec, exec, s[0:1]
	v_sub_u32_sdwa v4, v2, v0 dst_sel:DWORD dst_unused:UNUSED_PAD src0_sel:DWORD src1_sel:BYTE_0
	v_lshl_add_u32 v3, v4, 1, 2
	v_add_u32_e32 v1, 2, v4
	s_waitcnt lgkmcnt(0)
	s_barrier
	v_add_u32_e32 v4, v1, v4
	ds_read_u16 v5, v3
	ds_read_u16 v6, v4 offset:512
	s_waitcnt lgkmcnt(0)
	v_cmp_nlt_f16_e64 s[0:1], v5, v6
	v_cmp_lt_f16_e32 vcc, v5, v6
	s_and_saveexec_b64 s[2:3], vcc
	s_cbranch_execnz .LBB103_123
; %bb.20:
	s_or_b64 exec, exec, s[2:3]
	v_mov_b32_e32 v7, s6
	s_and_saveexec_b64 s[2:3], s[0:1]
	s_cbranch_execnz .LBB103_124
.LBB103_21:
	s_or_b64 exec, exec, s[2:3]
	v_cmp_eq_u32_e32 vcc, 0, v7
	s_and_saveexec_b64 s[0:1], vcc
	s_cbranch_execz .LBB103_23
.LBB103_22:
	ds_read_u8 v7, v1 offset:2304
	ds_read_u8 v8, v1 offset:2048
	ds_write_b16 v3, v6
	ds_write_b16 v4, v5 offset:512
	s_waitcnt lgkmcnt(3)
	ds_write_b8 v1, v7 offset:2048
	s_waitcnt lgkmcnt(3)
	ds_write_b8 v1, v8 offset:2304
.LBB103_23:
	s_or_b64 exec, exec, s[0:1]
	v_and_b32_e32 v1, 0x7f, v0
	v_sub_u32_e32 v4, v2, v1
	v_lshl_add_u32 v3, v4, 1, 2
	v_add_u32_e32 v1, 2, v4
	s_waitcnt lgkmcnt(0)
	s_barrier
	v_add_u32_e32 v4, v1, v4
	ds_read_u16 v5, v3
	ds_read_u16 v6, v4 offset:256
	s_waitcnt lgkmcnt(0)
	v_cmp_nlt_f16_e64 s[0:1], v5, v6
	v_cmp_lt_f16_e32 vcc, v5, v6
	s_and_saveexec_b64 s[2:3], vcc
	s_cbranch_execnz .LBB103_125
; %bb.24:
	s_or_b64 exec, exec, s[2:3]
	v_mov_b32_e32 v7, s6
	s_and_saveexec_b64 s[2:3], s[0:1]
	s_cbranch_execnz .LBB103_126
.LBB103_25:
	s_or_b64 exec, exec, s[2:3]
	v_cmp_eq_u32_e32 vcc, 0, v7
	s_and_saveexec_b64 s[0:1], vcc
	s_cbranch_execz .LBB103_27
.LBB103_26:
	ds_read_u8 v7, v1 offset:2176
	ds_read_u8 v8, v1 offset:2048
	ds_write_b16 v3, v6
	ds_write_b16 v4, v5 offset:256
	s_waitcnt lgkmcnt(3)
	ds_write_b8 v1, v7 offset:2048
	s_waitcnt lgkmcnt(3)
	ds_write_b8 v1, v8 offset:2176
.LBB103_27:
	s_or_b64 exec, exec, s[0:1]
	v_and_b32_e32 v1, 63, v0
	v_sub_u32_e32 v5, v2, v1
	v_lshl_add_u32 v4, v5, 1, 2
	v_add_u32_e32 v3, 2, v5
	s_waitcnt lgkmcnt(0)
	s_barrier
	v_add_u32_e32 v5, v3, v5
	ds_read_u16 v6, v4
	ds_read_u16 v7, v5 offset:128
	s_waitcnt lgkmcnt(0)
	v_cmp_nlt_f16_e64 s[2:3], v6, v7
	v_cmp_lt_f16_e32 vcc, v6, v7
	s_and_saveexec_b64 s[0:1], vcc
	s_cbranch_execz .LBB103_29
; %bb.28:
	ds_read_u8 v8, v3 offset:2048
	s_andn2_b64 s[2:3], s[2:3], exec
	s_waitcnt lgkmcnt(0)
	v_and_b32_e32 v8, 1, v8
	v_cmp_eq_u32_e32 vcc, 1, v8
	s_xor_b64 s[6:7], vcc, -1
	s_and_b64 s[6:7], s[6:7], exec
	s_or_b64 s[2:3], s[2:3], s[6:7]
.LBB103_29:
	s_or_b64 exec, exec, s[0:1]
	s_and_saveexec_b64 s[0:1], s[2:3]
	s_cbranch_execz .LBB103_32
; %bb.30:
	ds_read_u8 v8, v3 offset:2112
	s_waitcnt lgkmcnt(0)
	v_cmp_ne_u16_e32 vcc, 0, v8
	s_and_b64 exec, exec, vcc
	s_cbranch_execz .LBB103_32
; %bb.31:
	ds_read_u8 v9, v3 offset:2048
	ds_write_b16 v4, v7
	ds_write_b16 v5, v6 offset:128
	ds_write_b8 v3, v8 offset:2048
	s_waitcnt lgkmcnt(3)
	ds_write_b8 v3, v9 offset:2112
.LBB103_32:
	s_or_b64 exec, exec, s[0:1]
	v_and_b32_e32 v3, 31, v0
	v_sub_u32_e32 v5, v2, v3
	v_lshl_add_u32 v4, v5, 1, 2
	v_add_u32_e32 v3, 2, v5
	s_waitcnt lgkmcnt(0)
	s_barrier
	v_add_u32_e32 v5, v3, v5
	ds_read_u16 v6, v4
	ds_read_u16 v7, v5 offset:64
	s_waitcnt lgkmcnt(0)
	v_cmp_nlt_f16_e64 s[2:3], v6, v7
	v_cmp_lt_f16_e32 vcc, v6, v7
	s_and_saveexec_b64 s[0:1], vcc
	s_cbranch_execz .LBB103_34
; %bb.33:
	ds_read_u8 v8, v3 offset:2048
	s_andn2_b64 s[2:3], s[2:3], exec
	s_waitcnt lgkmcnt(0)
	v_and_b32_e32 v8, 1, v8
	v_cmp_eq_u32_e32 vcc, 1, v8
	s_xor_b64 s[6:7], vcc, -1
	s_and_b64 s[6:7], s[6:7], exec
	s_or_b64 s[2:3], s[2:3], s[6:7]
.LBB103_34:
	s_or_b64 exec, exec, s[0:1]
	s_and_saveexec_b64 s[0:1], s[2:3]
	s_cbranch_execz .LBB103_37
; %bb.35:
	ds_read_u8 v8, v3 offset:2080
	s_waitcnt lgkmcnt(0)
	v_cmp_ne_u16_e32 vcc, 0, v8
	s_and_b64 exec, exec, vcc
	s_cbranch_execz .LBB103_37
; %bb.36:
	ds_read_u8 v9, v3 offset:2048
	ds_write_b16 v4, v7
	ds_write_b16 v5, v6 offset:64
	ds_write_b8 v3, v8 offset:2048
	s_waitcnt lgkmcnt(3)
	ds_write_b8 v3, v9 offset:2080
.LBB103_37:
	;; [unrolled: 42-line block ×6, first 2 shown]
	s_or_b64 exec, exec, s[0:1]
	v_lshl_add_u32 v3, v2, 1, 2
	s_waitcnt lgkmcnt(0)
	s_barrier
	ds_read_b32 v6, v3
	v_sub_u32_e32 v4, v3, v2
	s_add_i32 s10, 2, 0x800
	s_waitcnt lgkmcnt(0)
	v_cmp_nlt_f16_sdwa s[2:3], v6, v6 src0_sel:DWORD src1_sel:WORD_1
	v_cmp_lt_f16_sdwa s[6:7], v6, v6 src0_sel:DWORD src1_sel:WORD_1
	s_and_saveexec_b64 s[0:1], s[6:7]
	s_cbranch_execz .LBB103_59
; %bb.58:
	ds_read_u8 v5, v4 offset:2048
	s_andn2_b64 s[2:3], s[2:3], exec
	s_waitcnt lgkmcnt(0)
	v_and_b32_e32 v5, 1, v5
	v_cmp_eq_u32_e32 vcc, 1, v5
	s_xor_b64 s[6:7], vcc, -1
	s_and_b64 s[6:7], s[6:7], exec
	s_or_b64 s[2:3], s[2:3], s[6:7]
.LBB103_59:
	s_or_b64 exec, exec, s[0:1]
	v_add_u32_e32 v5, s10, v2
	s_and_saveexec_b64 s[0:1], s[2:3]
	s_cbranch_execz .LBB103_62
; %bb.60:
	ds_read_u8 v7, v5 offset:1
	s_waitcnt lgkmcnt(0)
	v_cmp_ne_u16_e32 vcc, 0, v7
	s_and_b64 exec, exec, vcc
	s_cbranch_execz .LBB103_62
; %bb.61:
	ds_read_u8 v8, v4 offset:2048
	v_alignbit_b32 v6, v6, v6, 16
	ds_write_b32 v3, v6
	ds_write_b8 v4, v7 offset:2048
	s_waitcnt lgkmcnt(2)
	ds_write_b8 v5, v8 offset:1
.LBB103_62:
	s_or_b64 exec, exec, s[0:1]
	v_cmp_eq_u32_e32 vcc, 0, v0
	s_waitcnt lgkmcnt(0)
	s_barrier
	s_barrier
	s_and_saveexec_b64 s[0:1], vcc
	s_cbranch_execz .LBB103_64
; %bb.63:
	v_mov_b32_e32 v6, 2
	v_mov_b32_e32 v7, 1
	ds_write_b8 v6, v7 offset:2052
	v_mov_b32_e32 v7, 0
	ds_write_b32 v6, v7 offset:2048
.LBB103_64:
	s_or_b64 exec, exec, s[0:1]
	v_add_u32_e32 v4, v4, v2
	ds_read_u16 v3, v3
	ds_read_u16 v6, v4 offset:2
	v_mul_u32_u24_e32 v7, 14, v0
	v_mad_u32_u24 v8, v0, 14, v5
	s_waitcnt lgkmcnt(0)
	v_cmp_neq_f16_e64 s[0:1], v3, v6
	v_cndmask_b32_e64 v9, 0, 1, s[0:1]
	v_cmp_eq_f16_e64 s[0:1], v3, v6
	v_cndmask_b32_e64 v3, 0, 1, s[0:1]
	s_movk_i32 s0, 0x1ff
	ds_write_b32 v8, v3 offset:8
	v_cmp_gt_u32_e64 s[2:3], s0, v0
	v_add_u32_e32 v3, v5, v7
	ds_write_b8 v8, v9 offset:12
	s_and_saveexec_b64 s[6:7], s[2:3]
	s_cbranch_execz .LBB103_66
; %bb.65:
	ds_read_u16 v5, v4 offset:4
	s_waitcnt lgkmcnt(0)
	v_cmp_neq_f16_e64 s[0:1], v6, v5
	v_cndmask_b32_e64 v7, 0, 1, s[0:1]
	v_cmp_eq_f16_e64 s[0:1], v6, v5
	v_cndmask_b32_e64 v5, 0, 1, s[0:1]
	ds_write_b8 v3, v7 offset:20
	ds_write_b32 v3, v5 offset:16
.LBB103_66:
	s_or_b64 exec, exec, s[6:7]
	s_movk_i32 s0, 0x200
	v_cmp_gt_u32_e64 s[0:1], s0, v0
	s_waitcnt lgkmcnt(0)
	s_barrier
	s_and_saveexec_b64 s[6:7], s[0:1]
	s_cbranch_execz .LBB103_68
; %bb.67:
	ds_read_u8 v5, v3 offset:12
	v_mad_u32_u24 v4, v0, 12, v4
	ds_read_b32 v6, v4 offset:2048
	ds_read_b32 v7, v3 offset:8
	ds_read_u8 v4, v4 offset:2052
	s_waitcnt lgkmcnt(3)
	v_and_b32_e32 v8, 1, v5
	v_cmp_eq_u32_e64 s[0:1], 1, v8
	s_waitcnt lgkmcnt(2)
	v_cndmask_b32_e64 v6, v6, 0, s[0:1]
	s_waitcnt lgkmcnt(0)
	v_or_b32_e32 v4, v4, v5
	v_add_u32_e32 v6, v6, v7
	v_and_b32_e32 v4, 1, v4
	ds_write2_b32 v3, v6, v4 offset0:2 offset1:3
.LBB103_68:
	s_or_b64 exec, exec, s[6:7]
	v_add_u32_e32 v13, 2, v2
	v_lshlrev_b32_e32 v4, 1, v13
	s_movk_i32 s0, 0x100
	v_add_u32_e32 v5, -1, v4
	v_cmp_gt_u32_e64 s[0:1], s0, v0
	s_waitcnt lgkmcnt(0)
	s_barrier
	s_and_saveexec_b64 s[6:7], s[0:1]
	s_cbranch_execz .LBB103_70
; %bb.69:
	v_lshl_add_u32 v6, v5, 3, 2
	ds_read_b32 v7, v6 offset:2048
	ds_read_u8 v8, v6 offset:2052
	v_lshl_add_u32 v9, v4, 3, 2
	ds_read_b32 v10, v9 offset:2024
	ds_read_u8 v9, v9 offset:2028
	v_add_u32_e32 v6, 0x800, v6
	s_waitcnt lgkmcnt(2)
	v_and_b32_e32 v11, 1, v8
	v_cmp_eq_u32_e64 s[0:1], 1, v11
	s_waitcnt lgkmcnt(1)
	v_cndmask_b32_e64 v10, v10, 0, s[0:1]
	s_waitcnt lgkmcnt(0)
	v_or_b32_e32 v8, v9, v8
	v_add_u32_e32 v7, v10, v7
	v_and_b32_e32 v8, 1, v8
	ds_write2_b32 v6, v7, v8 offset1:1
.LBB103_70:
	s_or_b64 exec, exec, s[6:7]
	s_movk_i32 s0, 0x80
	v_lshlrev_b32_e32 v6, 2, v13
	v_add_u32_e32 v5, v5, v4
	v_cmp_gt_u32_e64 s[0:1], s0, v0
	s_waitcnt lgkmcnt(0)
	s_barrier
	s_and_saveexec_b64 s[6:7], s[0:1]
	s_cbranch_execz .LBB103_72
; %bb.71:
	v_lshl_add_u32 v7, v5, 3, 2
	ds_read_b32 v8, v7 offset:2048
	ds_read_u8 v9, v7 offset:2052
	v_lshl_add_u32 v10, v6, 3, 2
	ds_read_b32 v11, v10 offset:2008
	ds_read_u8 v10, v10 offset:2012
	v_add_u32_e32 v7, 0x800, v7
	s_waitcnt lgkmcnt(2)
	v_and_b32_e32 v12, 1, v9
	v_cmp_eq_u32_e64 s[0:1], 1, v12
	s_waitcnt lgkmcnt(1)
	v_cndmask_b32_e64 v11, v11, 0, s[0:1]
	s_waitcnt lgkmcnt(0)
	v_or_b32_e32 v9, v10, v9
	v_add_u32_e32 v8, v11, v8
	v_and_b32_e32 v9, 1, v9
	ds_write2_b32 v7, v8, v9 offset1:1
.LBB103_72:
	s_or_b64 exec, exec, s[6:7]
	v_lshlrev_b32_e32 v8, 3, v13
	v_add_u32_e32 v7, v5, v6
	v_cmp_gt_u32_e64 s[0:1], 64, v0
	s_waitcnt lgkmcnt(0)
	s_barrier
	s_and_saveexec_b64 s[8:9], s[0:1]
	s_cbranch_execz .LBB103_74
; %bb.73:
	v_lshl_add_u32 v9, v7, 3, 2
	ds_read_b32 v10, v9 offset:2048
	ds_read_u8 v11, v9 offset:2052
	v_lshl_add_u32 v12, v8, 3, 2
	ds_read_b32 v14, v12 offset:1976
	ds_read_u8 v12, v12 offset:1980
	v_add_u32_e32 v9, 0x800, v9
	s_waitcnt lgkmcnt(2)
	v_and_b32_e32 v15, 1, v11
	v_cmp_eq_u32_e64 s[6:7], 1, v15
	s_waitcnt lgkmcnt(1)
	v_cndmask_b32_e64 v14, v14, 0, s[6:7]
	s_waitcnt lgkmcnt(0)
	v_or_b32_e32 v11, v12, v11
	v_add_u32_e32 v10, v14, v10
	v_and_b32_e32 v11, 1, v11
	ds_write2_b32 v9, v10, v11 offset1:1
.LBB103_74:
	s_or_b64 exec, exec, s[8:9]
	;; [unrolled: 27-line block ×6, first 2 shown]
	v_add_u32_e32 v18, v16, v17
	v_cmp_gt_u32_e64 s[6:7], 2, v0
	v_lshl_add_u32 v18, v18, 3, 2
	s_waitcnt lgkmcnt(0)
	s_barrier
	s_and_saveexec_b64 s[8:9], s[6:7]
	s_cbranch_execz .LBB103_84
; %bb.83:
	v_lshl_add_u32 v13, v13, 11, 2
	v_add_u32_e32 v20, -8, v13
	ds_read_u8 v21, v18 offset:2052
	ds_read_b32 v20, v20
	v_add_u32_e32 v13, -4, v13
	ds_read_b32 v22, v18 offset:2048
	ds_read_u8 v13, v13
	v_add_u32_e32 v19, 0x800, v18
	s_waitcnt lgkmcnt(3)
	v_and_b32_e32 v23, 1, v21
	v_cmp_eq_u32_e64 s[6:7], 1, v23
	s_waitcnt lgkmcnt(2)
	v_cndmask_b32_e64 v20, v20, 0, s[6:7]
	s_waitcnt lgkmcnt(0)
	v_or_b32_e32 v13, v13, v21
	v_add_u32_e32 v20, v20, v22
	v_and_b32_e32 v13, 1, v13
	ds_write2_b32 v19, v20, v13 offset1:1
.LBB103_84:
	s_or_b64 exec, exec, s[8:9]
	s_waitcnt lgkmcnt(0)
	s_barrier
	s_and_saveexec_b64 s[8:9], vcc
	s_cbranch_execz .LBB103_86
; %bb.85:
	v_mov_b32_e32 v13, 2
	s_movk_i32 s6, 0xf8
	ds_read_u8 v19, v13 offset:10236
	v_add_u32_e64 v20, s6, 2
	ds_read2st64_b32 v[20:21], v20 offset0:23 offset1:39
	ds_read_u8 v13, v13 offset:6140
	s_add_i32 s11, 2, 0x27f8
	s_waitcnt lgkmcnt(2)
	v_and_b32_e32 v22, 1, v19
	v_cmp_eq_u32_e64 s[6:7], 1, v22
	s_waitcnt lgkmcnt(1)
	v_cndmask_b32_e64 v20, v20, 0, s[6:7]
	s_waitcnt lgkmcnt(0)
	v_or_b32_e32 v13, v13, v19
	v_add_u32_e32 v20, v20, v21
	v_and_b32_e32 v13, 1, v13
	v_mov_b32_e32 v19, s11
	ds_write2_b32 v19, v20, v13 offset1:1
.LBB103_86:
	s_or_b64 exec, exec, s[8:9]
	s_waitcnt lgkmcnt(0)
	s_barrier
	s_and_saveexec_b64 s[8:9], vcc
	s_cbranch_execz .LBB103_88
; %bb.87:
	v_mov_b32_e32 v13, 2
	ds_read_u8 v19, v13 offset:8188
	ds_read_b32 v13, v13 offset:8184
	ds_read_b32 v20, v18 offset:2048
	ds_read_u8 v18, v18 offset:2052
	s_add_i32 s11, 2, 0x1ff8
	s_waitcnt lgkmcnt(3)
	v_and_b32_e32 v21, 1, v19
	v_cmp_eq_u32_e64 s[6:7], 1, v21
	s_waitcnt lgkmcnt(1)
	v_cndmask_b32_e64 v20, v20, 0, s[6:7]
	s_waitcnt lgkmcnt(0)
	v_or_b32_e32 v18, v18, v19
	v_add_u32_e32 v13, v20, v13
	v_and_b32_e32 v18, 1, v18
	v_mov_b32_e32 v19, s11
	ds_write2_b32 v19, v13, v18 offset1:1
.LBB103_88:
	s_or_b64 exec, exec, s[8:9]
	v_cmp_gt_u32_e64 s[6:7], 3, v0
	s_waitcnt lgkmcnt(0)
	s_barrier
	s_and_saveexec_b64 s[8:9], s[6:7]
	s_cbranch_execz .LBB103_90
; %bb.89:
	v_lshl_add_u32 v13, v17, 3, s10
	ds_read_u8 v17, v13 offset:1020
	v_lshl_add_u32 v16, v16, 3, s10
	ds_read_b32 v18, v16
	ds_read_b32 v19, v13 offset:1016
	ds_read_u8 v16, v16 offset:4
	s_waitcnt lgkmcnt(3)
	v_and_b32_e32 v20, 1, v17
	v_cmp_eq_u32_e64 s[6:7], 1, v20
	s_waitcnt lgkmcnt(2)
	v_cndmask_b32_e64 v18, v18, 0, s[6:7]
	s_waitcnt lgkmcnt(0)
	v_or_b32_e32 v16, v16, v17
	v_add_u32_e32 v18, v18, v19
	v_and_b32_e32 v16, 1, v16
	ds_write2_b32 v13, v18, v16 offset0:254 offset1:255
.LBB103_90:
	s_or_b64 exec, exec, s[8:9]
	v_cmp_gt_u32_e64 s[6:7], 7, v0
	s_waitcnt lgkmcnt(0)
	s_barrier
	s_and_saveexec_b64 s[8:9], s[6:7]
	s_cbranch_execz .LBB103_92
; %bb.91:
	v_lshl_add_u32 v13, v15, 3, s10
	ds_read_u8 v15, v13 offset:508
	v_lshl_add_u32 v14, v14, 3, s10
	ds_read_b32 v16, v14
	ds_read_b32 v17, v13 offset:504
	ds_read_u8 v14, v14 offset:4
	s_waitcnt lgkmcnt(3)
	v_and_b32_e32 v18, 1, v15
	v_cmp_eq_u32_e64 s[6:7], 1, v18
	s_waitcnt lgkmcnt(2)
	v_cndmask_b32_e64 v16, v16, 0, s[6:7]
	s_waitcnt lgkmcnt(0)
	v_or_b32_e32 v14, v14, v15
	v_add_u32_e32 v16, v16, v17
	v_and_b32_e32 v14, 1, v14
	ds_write2_b32 v13, v16, v14 offset0:126 offset1:127
.LBB103_92:
	;; [unrolled: 24-line block ×5, first 2 shown]
	s_or_b64 exec, exec, s[8:9]
	s_movk_i32 s6, 0x7f
	v_cmp_gt_u32_e64 s[6:7], s6, v0
	s_waitcnt lgkmcnt(0)
	s_barrier
	s_and_saveexec_b64 s[8:9], s[6:7]
	s_cbranch_execz .LBB103_100
; %bb.99:
	v_lshl_add_u32 v6, v6, 3, s10
	ds_read_u8 v7, v6 offset:28
	v_lshl_add_u32 v5, v5, 3, s10
	ds_read_b32 v8, v5
	ds_read_b32 v9, v6 offset:24
	ds_read_u8 v5, v5 offset:4
	s_waitcnt lgkmcnt(3)
	v_and_b32_e32 v10, 1, v7
	v_cmp_eq_u32_e64 s[6:7], 1, v10
	s_waitcnt lgkmcnt(2)
	v_cndmask_b32_e64 v8, v8, 0, s[6:7]
	s_waitcnt lgkmcnt(0)
	v_or_b32_e32 v5, v5, v7
	v_add_u32_e32 v8, v8, v9
	v_and_b32_e32 v5, 1, v5
	ds_write2_b32 v6, v8, v5 offset0:6 offset1:7
.LBB103_100:
	s_or_b64 exec, exec, s[8:9]
	s_movk_i32 s6, 0xff
	v_cmp_gt_u32_e64 s[6:7], s6, v0
	s_waitcnt lgkmcnt(0)
	s_barrier
	s_and_saveexec_b64 s[8:9], s[6:7]
	s_cbranch_execz .LBB103_102
; %bb.101:
	v_lshl_add_u32 v4, v4, 3, s10
	ds_read_u8 v5, v4 offset:12
	v_add_u32_e32 v6, -8, v4
	ds_read_b32 v7, v6
	ds_read_b32 v8, v4 offset:8
	ds_read_u8 v6, v6 offset:4
	s_waitcnt lgkmcnt(3)
	v_and_b32_e32 v9, 1, v5
	v_cmp_eq_u32_e64 s[6:7], 1, v9
	s_waitcnt lgkmcnt(2)
	v_cndmask_b32_e64 v7, v7, 0, s[6:7]
	s_waitcnt lgkmcnt(0)
	v_or_b32_e32 v5, v6, v5
	v_add_u32_e32 v7, v7, v8
	v_and_b32_e32 v5, 1, v5
	ds_write2_b32 v4, v7, v5 offset0:2 offset1:3
.LBB103_102:
	s_or_b64 exec, exec, s[8:9]
	s_waitcnt lgkmcnt(0)
	s_barrier
	s_and_saveexec_b64 s[6:7], s[2:3]
	s_cbranch_execz .LBB103_104
; %bb.103:
	v_lshl_add_u32 v4, v2, 3, s10
	ds_read_u8 v5, v4 offset:20
	ds_read_b32 v6, v3 offset:8
	ds_read_b32 v7, v4 offset:16
	ds_read_u8 v8, v3 offset:12
	s_waitcnt lgkmcnt(3)
	v_and_b32_e32 v9, 1, v5
	v_cmp_eq_u32_e64 s[2:3], 1, v9
	s_waitcnt lgkmcnt(2)
	v_cndmask_b32_e64 v6, v6, 0, s[2:3]
	s_waitcnt lgkmcnt(0)
	v_or_b32_e32 v5, v8, v5
	v_add_u32_e32 v6, v6, v7
	v_and_b32_e32 v5, 1, v5
	ds_write2_b32 v4, v6, v5 offset0:4 offset1:5
.LBB103_104:
	s_or_b64 exec, exec, s[6:7]
	v_lshl_add_u32 v4, v2, 3, 2
	s_waitcnt lgkmcnt(0)
	s_barrier
	ds_read_b32 v5, v4 offset:2048
	ds_read_b32 v3, v3 offset:8
	v_mbcnt_lo_u32_b32 v8, -1, 0
	v_mbcnt_hi_u32_b32 v13, -1, v8
	v_and_b32_e32 v14, 63, v13
	v_or_b32_e32 v4, 1, v2
	v_cmp_gt_u32_e64 s[8:9], 32, v14
	v_cmp_gt_u32_e64 s[2:3], s16, v2
	;; [unrolled: 1-line block ×3, first 2 shown]
	v_cndmask_b32_e64 v8, 0, 1, s[8:9]
	s_waitcnt lgkmcnt(1)
	v_cndmask_b32_e64 v5, 0, v5, s[2:3]
	s_waitcnt lgkmcnt(0)
	v_cndmask_b32_e64 v3, 0, v3, s[6:7]
	v_lshlrev_b32_e32 v8, 5, v8
	v_cndmask_b32_e64 v6, 0, v2, s[2:3]
	v_max_u32_e32 v7, v3, v5
	v_add_lshl_u32 v8, v8, v13, 2
	v_cndmask_b32_e64 v9, 0, v4, s[6:7]
	v_cmp_gt_u32_e64 s[8:9], v3, v5
	ds_bpermute_b32 v10, v8, v7
	v_cndmask_b32_e64 v3, v6, v9, s[8:9]
	ds_bpermute_b32 v5, v8, v3
	v_cmp_gt_u32_e64 s[8:9], 48, v14
	v_cndmask_b32_e64 v9, 0, 1, s[8:9]
	v_lshlrev_b32_e32 v9, 4, v9
	s_waitcnt lgkmcnt(1)
	v_max_u32_e32 v6, v10, v7
	v_add_lshl_u32 v9, v9, v13, 2
	v_cmp_gt_u32_e64 s[8:9], v10, v7
	ds_bpermute_b32 v11, v9, v6
	s_waitcnt lgkmcnt(1)
	v_cndmask_b32_e64 v3, v3, v5, s[8:9]
	ds_bpermute_b32 v5, v9, v3
	v_cmp_gt_u32_e64 s[8:9], 56, v14
	v_cndmask_b32_e64 v10, 0, 1, s[8:9]
	v_lshlrev_b32_e32 v10, 3, v10
	s_waitcnt lgkmcnt(1)
	v_max_u32_e32 v7, v11, v6
	v_add_lshl_u32 v10, v10, v13, 2
	v_cmp_gt_u32_e64 s[8:9], v11, v6
	ds_bpermute_b32 v12, v10, v7
	s_waitcnt lgkmcnt(1)
	v_cndmask_b32_e64 v3, v3, v5, s[8:9]
	ds_bpermute_b32 v5, v10, v3
	v_cmp_gt_u32_e64 s[8:9], 60, v14
	v_cndmask_b32_e64 v11, 0, 1, s[8:9]
	v_lshlrev_b32_e32 v11, 2, v11
	s_waitcnt lgkmcnt(1)
	v_max_u32_e32 v6, v12, v7
	v_add_lshl_u32 v11, v11, v13, 2
	v_cmp_gt_u32_e64 s[8:9], v12, v7
	ds_bpermute_b32 v15, v11, v6
	s_waitcnt lgkmcnt(1)
	v_cndmask_b32_e64 v3, v3, v5, s[8:9]
	ds_bpermute_b32 v5, v11, v3
	v_cmp_gt_u32_e64 s[8:9], 62, v14
	v_cndmask_b32_e64 v12, 0, 1, s[8:9]
	v_lshlrev_b32_e32 v12, 1, v12
	s_waitcnt lgkmcnt(1)
	v_max_u32_e32 v7, v15, v6
	v_add_lshl_u32 v12, v12, v13, 2
	v_cmp_gt_u32_e64 s[8:9], v15, v6
	ds_bpermute_b32 v16, v12, v7
	s_waitcnt lgkmcnt(1)
	v_cndmask_b32_e64 v5, v3, v5, s[8:9]
	ds_bpermute_b32 v6, v12, v5
	s_waitcnt lgkmcnt(0)
	s_barrier
	v_cmp_gt_u32_e64 s[8:9], v16, v7
	v_max_u32_e32 v3, v16, v7
	v_cndmask_b32_e64 v5, v5, v6, s[8:9]
	v_cmp_ne_u32_e64 s[8:9], 63, v14
	v_addc_co_u32_e64 v6, s[8:9], 0, v13, s[8:9]
	v_lshlrev_b32_e32 v13, 2, v6
	ds_bpermute_b32 v6, v13, v5
	ds_bpermute_b32 v7, v13, v3
	v_cmp_eq_u32_e64 s[8:9], 0, v1
	s_waitcnt lgkmcnt(0)
	s_barrier
	s_and_saveexec_b64 s[12:13], s[8:9]
	s_cbranch_execz .LBB103_106
; %bb.105:
	v_lshrrev_b32_e32 v14, 3, v0
	v_add_u32_e32 v14, 2, v14
	v_cmp_gt_u32_e64 s[10:11], v7, v3
	v_add_u32_e32 v14, 0x800, v14
	v_cndmask_b32_e64 v5, v5, v6, s[10:11]
	v_max_u32_e32 v3, v7, v3
	ds_write2_b32 v14, v3, v5 offset1:1
.LBB103_106:
	s_or_b64 exec, exec, s[12:13]
	s_lshr_b32 s10, s22, 6
	v_cmp_gt_u32_e64 s[10:11], s10, v0
	v_lshl_add_u32 v14, v1, 3, 2
	v_mov_b32_e32 v3, 0
	v_mov_b32_e32 v5, 0
	s_waitcnt lgkmcnt(0)
	s_barrier
	s_and_saveexec_b64 s[12:13], s[10:11]
	s_cbranch_execnz .LBB103_127
; %bb.107:
	s_or_b64 exec, exec, s[12:13]
	s_and_saveexec_b64 s[12:13], s[10:11]
	s_cbranch_execnz .LBB103_128
.LBB103_108:
	s_or_b64 exec, exec, s[12:13]
	s_and_saveexec_b64 s[22:23], s[0:1]
	s_cbranch_execnz .LBB103_129
.LBB103_109:
	s_or_b64 exec, exec, s[22:23]
	s_and_saveexec_b64 s[12:13], vcc
	s_cbranch_execz .LBB103_111
.LBB103_110:
	s_waitcnt lgkmcnt(0)
	v_lshl_add_u32 v3, v3, 1, 2
	ds_read_u16 v3, v3
	v_mov_b32_e32 v5, 0
	s_waitcnt lgkmcnt(0)
	ds_write_b16 v5, v3
.LBB103_111:
	s_or_b64 exec, exec, s[12:13]
	s_mov_b32 s22, 0
	s_waitcnt lgkmcnt(0)
	v_mov_b32_e32 v3, 0
	s_mov_b32 s23, s22
	v_cmp_gt_i64_e64 s[12:13], s[16:17], v[2:3]
	v_pk_mov_b32 v[6:7], s[22:23], s[22:23] op_sel:[0,1]
	s_barrier
	s_and_saveexec_b64 s[22:23], s[12:13]
	s_cbranch_execz .LBB103_113
; %bb.112:
	v_add_u32_e32 v6, s19, v2
	v_mov_b32_e32 v7, v3
	v_lshlrev_b64 v[6:7], 1, v[6:7]
	v_mov_b32_e32 v5, s21
	v_add_co_u32_e64 v6, s[12:13], s20, v6
	v_addc_co_u32_e64 v7, s[12:13], v5, v7, s[12:13]
	global_load_ushort v5, v[6:7], off
	ds_read_u16 v6, v3
	s_waitcnt vmcnt(0) lgkmcnt(0)
	v_cmp_eq_f16_e64 s[12:13], v5, v6
	v_cndmask_b32_e64 v2, 0, v2, s[12:13]
	v_pk_mov_b32 v[6:7], v[2:3], v[2:3] op_sel:[0,1]
.LBB103_113:
	s_or_b64 exec, exec, s[22:23]
	v_mov_b32_e32 v5, v3
	v_cmp_gt_i64_e64 s[12:13], s[16:17], v[4:5]
	s_and_saveexec_b64 s[16:17], s[12:13]
	s_cbranch_execz .LBB103_115
; %bb.114:
	v_add_u32_e32 v2, s19, v4
	v_mov_b32_e32 v3, 0
	v_lshlrev_b64 v[16:17], 1, v[2:3]
	v_mov_b32_e32 v2, s21
	v_add_co_u32_e64 v16, s[12:13], s20, v16
	v_addc_co_u32_e64 v17, s[12:13], v2, v17, s[12:13]
	global_load_ushort v2, v[16:17], off
	ds_read_u16 v3, v3
	s_waitcnt vmcnt(0) lgkmcnt(0)
	v_cmp_eq_f16_e64 s[12:13], v2, v3
	v_cndmask_b32_e64 v7, 0, v4, s[12:13]
.LBB103_115:
	s_or_b64 exec, exec, s[16:17]
	v_cndmask_b32_e64 v2, 0, v6, s[2:3]
	v_cndmask_b32_e64 v3, 0, v7, s[6:7]
	v_max_u32_e32 v2, v3, v2
	ds_bpermute_b32 v3, v8, v2
	s_waitcnt lgkmcnt(0)
	s_barrier
	v_max_u32_e32 v2, v3, v2
	ds_bpermute_b32 v3, v9, v2
	s_waitcnt lgkmcnt(0)
	v_max_u32_e32 v2, v3, v2
	ds_bpermute_b32 v3, v10, v2
	s_waitcnt lgkmcnt(0)
	;; [unrolled: 3-line block ×4, first 2 shown]
	v_max_u32_e32 v2, v3, v2
	ds_bpermute_b32 v3, v13, v2
	s_and_saveexec_b64 s[2:3], s[8:9]
	s_cbranch_execz .LBB103_117
; %bb.116:
	v_lshrrev_b32_e32 v0, 4, v0
	v_add_u32_e32 v0, 2, v0
	s_waitcnt lgkmcnt(0)
	v_max_u32_e32 v2, v3, v2
	ds_write_b32 v0, v2
.LBB103_117:
	s_or_b64 exec, exec, s[2:3]
	v_mov_b32_e32 v0, 0
	s_waitcnt lgkmcnt(0)
	s_barrier
	s_and_saveexec_b64 s[2:3], s[10:11]
	s_cbranch_execnz .LBB103_130
; %bb.118:
	s_or_b64 exec, exec, s[2:3]
	s_and_saveexec_b64 s[2:3], s[0:1]
	s_cbranch_execnz .LBB103_131
.LBB103_119:
	s_or_b64 exec, exec, s[2:3]
	s_and_saveexec_b64 s[0:1], vcc
	s_cbranch_execnz .LBB103_132
.LBB103_120:
	s_endpgm
.LBB103_121:
	ds_read_u8 v7, v1 offset:2048
	s_andn2_b64 s[0:1], s[0:1], exec
	s_waitcnt lgkmcnt(0)
	v_and_b32_e32 v7, 1, v7
	v_cmp_eq_u32_e32 vcc, 1, v7
	s_xor_b64 s[8:9], vcc, -1
	s_and_b64 s[8:9], s[8:9], exec
	s_or_b64 s[0:1], s[0:1], s[8:9]
	s_or_b64 exec, exec, s[2:3]
	v_mov_b32_e32 v7, s6
	s_and_saveexec_b64 s[2:3], s[0:1]
	s_cbranch_execz .LBB103_17
.LBB103_122:
	ds_read_u8 v7, v1 offset:2560
	s_waitcnt lgkmcnt(0)
	v_xor_b32_e32 v7, 1, v7
	s_or_b64 exec, exec, s[2:3]
	v_cmp_eq_u32_e32 vcc, 0, v7
	s_and_saveexec_b64 s[0:1], vcc
	s_cbranch_execnz .LBB103_18
	s_branch .LBB103_19
.LBB103_123:
	ds_read_u8 v7, v1 offset:2048
	s_andn2_b64 s[0:1], s[0:1], exec
	s_waitcnt lgkmcnt(0)
	v_and_b32_e32 v7, 1, v7
	v_cmp_eq_u32_e32 vcc, 1, v7
	s_xor_b64 s[8:9], vcc, -1
	s_and_b64 s[8:9], s[8:9], exec
	s_or_b64 s[0:1], s[0:1], s[8:9]
	s_or_b64 exec, exec, s[2:3]
	v_mov_b32_e32 v7, s6
	s_and_saveexec_b64 s[2:3], s[0:1]
	s_cbranch_execz .LBB103_21
.LBB103_124:
	ds_read_u8 v7, v1 offset:2304
	s_waitcnt lgkmcnt(0)
	v_xor_b32_e32 v7, 1, v7
	s_or_b64 exec, exec, s[2:3]
	v_cmp_eq_u32_e32 vcc, 0, v7
	s_and_saveexec_b64 s[0:1], vcc
	s_cbranch_execnz .LBB103_22
	s_branch .LBB103_23
.LBB103_125:
	ds_read_u8 v7, v1 offset:2048
	s_andn2_b64 s[0:1], s[0:1], exec
	s_waitcnt lgkmcnt(0)
	v_and_b32_e32 v7, 1, v7
	v_cmp_eq_u32_e32 vcc, 1, v7
	s_xor_b64 s[8:9], vcc, -1
	s_and_b64 s[8:9], s[8:9], exec
	s_or_b64 s[0:1], s[0:1], s[8:9]
	s_or_b64 exec, exec, s[2:3]
	v_mov_b32_e32 v7, s6
	s_and_saveexec_b64 s[2:3], s[0:1]
	s_cbranch_execz .LBB103_25
.LBB103_126:
	ds_read_u8 v7, v1 offset:2176
	s_waitcnt lgkmcnt(0)
	v_xor_b32_e32 v7, 1, v7
	s_or_b64 exec, exec, s[2:3]
	v_cmp_eq_u32_e32 vcc, 0, v7
	s_and_saveexec_b64 s[0:1], vcc
	s_cbranch_execnz .LBB103_26
	s_branch .LBB103_27
.LBB103_127:
	ds_read_b32 v5, v14 offset:2048
	s_or_b64 exec, exec, s[12:13]
	s_and_saveexec_b64 s[12:13], s[10:11]
	s_cbranch_execz .LBB103_108
.LBB103_128:
	ds_read_b32 v3, v14 offset:2052
	s_or_b64 exec, exec, s[12:13]
	s_and_saveexec_b64 s[22:23], s[0:1]
	s_cbranch_execz .LBB103_109
.LBB103_129:
	s_waitcnt lgkmcnt(0)
	ds_bpermute_b32 v6, v8, v5
	ds_bpermute_b32 v7, v8, v3
	s_waitcnt lgkmcnt(1)
	v_max_u32_e32 v15, v6, v5
	v_cmp_gt_u32_e64 s[12:13], v6, v5
	ds_bpermute_b32 v16, v9, v15
	s_waitcnt lgkmcnt(1)
	v_cndmask_b32_e64 v3, v3, v7, s[12:13]
	ds_bpermute_b32 v5, v9, v3
	s_waitcnt lgkmcnt(1)
	v_max_u32_e32 v6, v16, v15
	v_cmp_gt_u32_e64 s[12:13], v16, v15
	ds_bpermute_b32 v7, v10, v6
	s_waitcnt lgkmcnt(1)
	v_cndmask_b32_e64 v3, v3, v5, s[12:13]
	;; [unrolled: 7-line block ×4, first 2 shown]
	ds_bpermute_b32 v5, v12, v3
	s_waitcnt lgkmcnt(1)
	v_max_u32_e32 v15, v7, v6
	v_cmp_gt_u32_e64 s[12:13], v7, v6
	s_waitcnt lgkmcnt(0)
	v_cndmask_b32_e64 v3, v3, v5, s[12:13]
	ds_bpermute_b32 v5, v13, v15
	ds_bpermute_b32 v6, v13, v3
	s_waitcnt lgkmcnt(1)
	v_cmp_gt_u32_e64 s[12:13], v5, v15
	s_waitcnt lgkmcnt(0)
	v_cndmask_b32_e64 v3, v3, v6, s[12:13]
	s_or_b64 exec, exec, s[22:23]
	s_and_saveexec_b64 s[12:13], vcc
	s_cbranch_execnz .LBB103_110
	s_branch .LBB103_111
.LBB103_130:
	v_lshlrev_b32_e32 v0, 2, v1
	v_sub_u32_e32 v0, v14, v0
	ds_read_b32 v0, v0
	s_or_b64 exec, exec, s[2:3]
	s_and_saveexec_b64 s[2:3], s[0:1]
	s_cbranch_execz .LBB103_119
.LBB103_131:
	s_waitcnt lgkmcnt(0)
	ds_bpermute_b32 v1, v8, v0
	s_waitcnt lgkmcnt(0)
	v_max_u32_e32 v0, v1, v0
	ds_bpermute_b32 v1, v9, v0
	s_waitcnt lgkmcnt(0)
	v_max_u32_e32 v0, v1, v0
	ds_bpermute_b32 v1, v10, v0
	s_waitcnt lgkmcnt(0)
	v_max_u32_e32 v0, v1, v0
	ds_bpermute_b32 v1, v11, v0
	s_waitcnt lgkmcnt(0)
	v_max_u32_e32 v0, v1, v0
	ds_bpermute_b32 v1, v12, v0
	s_waitcnt lgkmcnt(0)
	v_max_u32_e32 v0, v1, v0
	ds_bpermute_b32 v1, v13, v0
	s_waitcnt lgkmcnt(0)
	v_max_u32_e32 v0, v1, v0
	s_or_b64 exec, exec, s[2:3]
	s_and_saveexec_b64 s[0:1], vcc
	s_cbranch_execz .LBB103_120
.LBB103_132:
	s_load_dword s0, s[4:5], 0xd8
	s_add_u32 s2, s4, 8
	s_addc_u32 s3, s5, 0
	s_mov_b32 s1, 0
	s_waitcnt lgkmcnt(0)
	s_cmp_lt_i32 s0, 2
	s_cbranch_scc1 .LBB103_135
; %bb.133:
	s_add_i32 s6, s0, 1
	s_add_i32 s0, s0, -1
	s_lshl_b64 s[4:5], s[0:1], 2
	s_add_u32 s0, s4, s2
	s_addc_u32 s5, s5, s3
	s_add_u32 s4, s0, 8
	s_addc_u32 s5, s5, 0
.LBB103_134:                            ; =>This Inner Loop Header: Depth=1
	s_load_dword s0, s[4:5], 0x0
	s_load_dword s8, s[4:5], 0x64
	s_mov_b32 s7, s18
	s_waitcnt lgkmcnt(0)
	v_cvt_f32_u32_e32 v1, s0
	s_sub_i32 s9, 0, s0
	v_rcp_iflag_f32_e32 v1, v1
	v_mul_f32_e32 v1, 0x4f7ffffe, v1
	v_cvt_u32_f32_e32 v1, v1
	v_readfirstlane_b32 s10, v1
	s_mul_i32 s9, s9, s10
	s_mul_hi_u32 s9, s10, s9
	s_add_i32 s10, s10, s9
	s_mul_hi_u32 s9, s18, s10
	s_mul_i32 s10, s9, s0
	s_sub_i32 s10, s18, s10
	s_add_i32 s11, s9, 1
	s_sub_i32 s12, s10, s0
	s_cmp_ge_u32 s10, s0
	s_cselect_b32 s9, s11, s9
	s_cselect_b32 s10, s12, s10
	s_add_i32 s11, s9, 1
	s_cmp_ge_u32 s10, s0
	s_cselect_b32 s18, s11, s9
	s_mul_i32 s0, s18, s0
	s_sub_i32 s0, s7, s0
	s_mul_i32 s0, s8, s0
	s_add_i32 s6, s6, -1
	s_add_i32 s1, s0, s1
	s_add_u32 s4, s4, -4
	s_addc_u32 s5, s5, -1
	s_cmp_gt_u32 s6, 2
	s_cbranch_scc1 .LBB103_134
.LBB103_135:
	s_load_dword s0, s[2:3], 0x6c
	v_mov_b32_e32 v1, 0
	s_load_dwordx2 s[2:3], s[2:3], 0x0
	ds_read_u16 v2, v1
	s_mov_b32 s5, 0
	s_waitcnt lgkmcnt(0)
	s_mul_i32 s0, s0, s18
	s_add_i32 s4, s0, s1
	s_lshl_b64 s[0:1], s[4:5], 1
	s_add_u32 s0, s2, s0
	s_addc_u32 s1, s3, s1
	global_store_short v1, v2, s[0:1]
	s_lshl_b64 s[0:1], s[4:5], 3
	s_add_u32 s0, s14, s0
	s_addc_u32 s1, s15, s1
	global_store_dwordx2 v1, v[0:1], s[0:1]
	s_endpgm
	.section	.rodata,"a",@progbits
	.p2align	6, 0x0
	.amdhsa_kernel _ZN2at6native12compute_modeIN3c104HalfELj1024EEEvPKT_NS_4cuda6detail10TensorInfoIS4_jEENS9_IljEEll
		.amdhsa_group_segment_fixed_size 2
		.amdhsa_private_segment_fixed_size 0
		.amdhsa_kernarg_size 712
		.amdhsa_user_sgpr_count 6
		.amdhsa_user_sgpr_private_segment_buffer 1
		.amdhsa_user_sgpr_dispatch_ptr 0
		.amdhsa_user_sgpr_queue_ptr 0
		.amdhsa_user_sgpr_kernarg_segment_ptr 1
		.amdhsa_user_sgpr_dispatch_id 0
		.amdhsa_user_sgpr_flat_scratch_init 0
		.amdhsa_user_sgpr_kernarg_preload_length 0
		.amdhsa_user_sgpr_kernarg_preload_offset 0
		.amdhsa_user_sgpr_private_segment_size 0
		.amdhsa_uses_dynamic_stack 0
		.amdhsa_system_sgpr_private_segment_wavefront_offset 0
		.amdhsa_system_sgpr_workgroup_id_x 1
		.amdhsa_system_sgpr_workgroup_id_y 1
		.amdhsa_system_sgpr_workgroup_id_z 1
		.amdhsa_system_sgpr_workgroup_info 0
		.amdhsa_system_vgpr_workitem_id 0
		.amdhsa_next_free_vgpr 24
		.amdhsa_next_free_sgpr 24
		.amdhsa_accum_offset 24
		.amdhsa_reserve_vcc 1
		.amdhsa_reserve_flat_scratch 0
		.amdhsa_float_round_mode_32 0
		.amdhsa_float_round_mode_16_64 0
		.amdhsa_float_denorm_mode_32 3
		.amdhsa_float_denorm_mode_16_64 3
		.amdhsa_dx10_clamp 1
		.amdhsa_ieee_mode 1
		.amdhsa_fp16_overflow 0
		.amdhsa_tg_split 0
		.amdhsa_exception_fp_ieee_invalid_op 0
		.amdhsa_exception_fp_denorm_src 0
		.amdhsa_exception_fp_ieee_div_zero 0
		.amdhsa_exception_fp_ieee_overflow 0
		.amdhsa_exception_fp_ieee_underflow 0
		.amdhsa_exception_fp_ieee_inexact 0
		.amdhsa_exception_int_div_zero 0
	.end_amdhsa_kernel
	.section	.text._ZN2at6native12compute_modeIN3c104HalfELj1024EEEvPKT_NS_4cuda6detail10TensorInfoIS4_jEENS9_IljEEll,"axG",@progbits,_ZN2at6native12compute_modeIN3c104HalfELj1024EEEvPKT_NS_4cuda6detail10TensorInfoIS4_jEENS9_IljEEll,comdat
.Lfunc_end103:
	.size	_ZN2at6native12compute_modeIN3c104HalfELj1024EEEvPKT_NS_4cuda6detail10TensorInfoIS4_jEENS9_IljEEll, .Lfunc_end103-_ZN2at6native12compute_modeIN3c104HalfELj1024EEEvPKT_NS_4cuda6detail10TensorInfoIS4_jEENS9_IljEEll
                                        ; -- End function
	.section	.AMDGPU.csdata,"",@progbits
; Kernel info:
; codeLenInByte = 7408
; NumSgprs: 28
; NumVgprs: 24
; NumAgprs: 0
; TotalNumVgprs: 24
; ScratchSize: 0
; MemoryBound: 0
; FloatMode: 240
; IeeeMode: 1
; LDSByteSize: 2 bytes/workgroup (compile time only)
; SGPRBlocks: 3
; VGPRBlocks: 2
; NumSGPRsForWavesPerEU: 28
; NumVGPRsForWavesPerEU: 24
; AccumOffset: 24
; Occupancy: 8
; WaveLimiterHint : 1
; COMPUTE_PGM_RSRC2:SCRATCH_EN: 0
; COMPUTE_PGM_RSRC2:USER_SGPR: 6
; COMPUTE_PGM_RSRC2:TRAP_HANDLER: 0
; COMPUTE_PGM_RSRC2:TGID_X_EN: 1
; COMPUTE_PGM_RSRC2:TGID_Y_EN: 1
; COMPUTE_PGM_RSRC2:TGID_Z_EN: 1
; COMPUTE_PGM_RSRC2:TIDIG_COMP_CNT: 0
; COMPUTE_PGM_RSRC3_GFX90A:ACCUM_OFFSET: 5
; COMPUTE_PGM_RSRC3_GFX90A:TG_SPLIT: 0
	.section	.text._ZN2at6native12compute_modeIN3c104HalfELj128EEEvPKT_NS_4cuda6detail10TensorInfoIS4_jEENS9_IljEEll,"axG",@progbits,_ZN2at6native12compute_modeIN3c104HalfELj128EEEvPKT_NS_4cuda6detail10TensorInfoIS4_jEENS9_IljEEll,comdat
	.protected	_ZN2at6native12compute_modeIN3c104HalfELj128EEEvPKT_NS_4cuda6detail10TensorInfoIS4_jEENS9_IljEEll ; -- Begin function _ZN2at6native12compute_modeIN3c104HalfELj128EEEvPKT_NS_4cuda6detail10TensorInfoIS4_jEENS9_IljEEll
	.globl	_ZN2at6native12compute_modeIN3c104HalfELj128EEEvPKT_NS_4cuda6detail10TensorInfoIS4_jEENS9_IljEEll
	.p2align	8
	.type	_ZN2at6native12compute_modeIN3c104HalfELj128EEEvPKT_NS_4cuda6detail10TensorInfoIS4_jEENS9_IljEEll,@function
_ZN2at6native12compute_modeIN3c104HalfELj128EEEvPKT_NS_4cuda6detail10TensorInfoIS4_jEENS9_IljEEll: ; @_ZN2at6native12compute_modeIN3c104HalfELj128EEEvPKT_NS_4cuda6detail10TensorInfoIS4_jEENS9_IljEEll
; %bb.0:
	s_load_dwordx4 s[16:19], s[4:5], 0x1b8
	s_load_dwordx2 s[2:3], s[4:5], 0x1c8
	s_add_u32 s0, s4, 0x1c8
	s_addc_u32 s1, s5, 0
	s_mov_b32 s15, 0
	s_waitcnt lgkmcnt(0)
	v_mov_b32_e32 v2, s18
	s_mul_i32 s3, s3, s8
	s_add_i32 s3, s3, s7
	s_mul_i32 s2, s3, s2
	v_mov_b32_e32 v3, s19
	s_add_i32 s14, s2, s6
	v_cmp_ge_i64_e32 vcc, s[14:15], v[2:3]
	s_cbranch_vccnz .LBB104_182
; %bb.1:
	s_load_dwordx2 s[18:19], s[4:5], 0x0
	s_load_dword s6, s[0:1], 0xc
	v_mov_b32_e32 v3, 0
	v_mov_b32_e32 v1, v3
	s_mul_i32 s15, s14, s16
	v_cmp_gt_i64_e32 vcc, s[16:17], v[0:1]
	s_and_saveexec_b64 s[2:3], vcc
	s_cbranch_execz .LBB104_3
; %bb.2:
	v_add_u32_e32 v2, s15, v0
	v_lshlrev_b64 v[4:5], 1, v[2:3]
	s_waitcnt lgkmcnt(0)
	v_mov_b32_e32 v1, s19
	v_add_co_u32_e64 v4, s[0:1], s18, v4
	v_addc_co_u32_e64 v5, s[0:1], v1, v5, s[0:1]
	global_load_ushort v1, v[4:5], off
	v_lshl_add_u32 v2, v0, 1, 2
	s_waitcnt vmcnt(0)
	ds_write_b16 v2, v1
.LBB104_3:
	s_or_b64 exec, exec, s[2:3]
	s_waitcnt lgkmcnt(0)
	s_and_b32 s20, 0xffff, s6
	v_add_u32_e32 v2, s20, v0
	v_cmp_gt_i64_e64 s[0:1], s[16:17], v[2:3]
	s_and_saveexec_b64 s[6:7], s[0:1]
	s_cbranch_execz .LBB104_5
; %bb.4:
	v_add_u32_e32 v4, s15, v2
	v_mov_b32_e32 v5, 0
	v_lshlrev_b64 v[4:5], 1, v[4:5]
	v_mov_b32_e32 v1, s19
	v_add_co_u32_e64 v4, s[2:3], s18, v4
	v_addc_co_u32_e64 v5, s[2:3], v1, v5, s[2:3]
	global_load_ushort v1, v[4:5], off
	v_lshl_add_u32 v2, v2, 1, 2
	s_waitcnt vmcnt(0)
	ds_write_b16 v2, v1
.LBB104_5:
	s_or_b64 exec, exec, s[6:7]
	v_add_u32_e32 v1, 2, v0
	v_cndmask_b32_e64 v2, 0, 1, vcc
	ds_write_b8 v1, v2 offset:256
	v_add_u32_e32 v2, s20, v1
	v_cndmask_b32_e64 v3, 0, 1, s[0:1]
	ds_write_b8 v2, v3 offset:256
	v_mad_u32_u24 v3, v0, 3, v1
	s_waitcnt lgkmcnt(0)
	s_barrier
	s_barrier
	ds_read_b32 v5, v3
	v_lshlrev_b32_e32 v2, 1, v0
	s_mov_b32 s6, 1
	v_sub_u32_e32 v4, v3, v2
	s_waitcnt lgkmcnt(0)
	v_cmp_nlt_f16_sdwa s[0:1], v5, v5 src0_sel:DWORD src1_sel:WORD_1
	v_cmp_lt_f16_sdwa s[8:9], v5, v5 src0_sel:DWORD src1_sel:WORD_1
	s_and_saveexec_b64 s[2:3], s[8:9]
	s_cbranch_execz .LBB104_7
; %bb.6:
	ds_read_u8 v1, v4 offset:256
	s_andn2_b64 s[0:1], s[0:1], exec
	s_waitcnt lgkmcnt(0)
	v_and_b32_e32 v1, 1, v1
	v_cmp_eq_u32_e32 vcc, 1, v1
	s_xor_b64 s[8:9], vcc, -1
	s_and_b64 s[8:9], s[8:9], exec
	s_or_b64 s[0:1], s[0:1], s[8:9]
.LBB104_7:
	s_or_b64 exec, exec, s[2:3]
	v_mov_b32_e32 v7, s6
	v_add_u32_e32 v1, 2, v2
	s_and_saveexec_b64 s[2:3], s[0:1]
	s_cbranch_execz .LBB104_9
; %bb.8:
	ds_read_u8 v6, v1 offset:257
	s_waitcnt lgkmcnt(0)
	v_xor_b32_e32 v7, 1, v6
.LBB104_9:
	s_or_b64 exec, exec, s[2:3]
	v_and_b32_e32 v6, 1, v0
	v_cmp_eq_u32_e32 vcc, v7, v6
	s_and_saveexec_b64 s[0:1], vcc
	s_cbranch_execz .LBB104_11
; %bb.10:
	ds_read_u8 v7, v1 offset:257
	ds_read_u8 v8, v4 offset:256
	v_alignbit_b32 v5, v5, v5, 16
	ds_write_b32 v3, v5
	s_waitcnt lgkmcnt(2)
	ds_write_b8 v4, v7 offset:256
	s_waitcnt lgkmcnt(2)
	ds_write_b8 v1, v8 offset:257
.LBB104_11:
	s_or_b64 exec, exec, s[0:1]
	v_sub_u32_e32 v7, v2, v6
	v_lshl_add_u32 v6, v7, 1, 2
	v_add_u32_e32 v5, 2, v7
	s_waitcnt lgkmcnt(0)
	s_barrier
	v_add_u32_e32 v7, v5, v7
	ds_read_u16 v9, v6
	ds_read_u16 v10, v7 offset:4
	s_mov_b64 s[0:1], -1
                                        ; implicit-def: $sgpr6
	s_waitcnt lgkmcnt(0)
	v_cmp_lt_f16_e32 vcc, v9, v10
	s_and_saveexec_b64 s[2:3], vcc
	s_xor_b64 s[2:3], exec, s[2:3]
	s_cbranch_execz .LBB104_13
; %bb.12:
	ds_read_u8 v8, v5 offset:256
	s_mov_b32 s6, 1
	s_waitcnt lgkmcnt(0)
	v_and_b32_e32 v8, 1, v8
	v_cmp_eq_u32_e32 vcc, 1, v8
	s_xor_b64 s[0:1], vcc, -1
	s_orn2_b64 s[0:1], s[0:1], exec
.LBB104_13:
	s_or_b64 exec, exec, s[2:3]
	v_mov_b32_e32 v11, s6
	s_and_saveexec_b64 s[2:3], s[0:1]
	s_cbranch_execz .LBB104_15
; %bb.14:
	ds_read_u8 v8, v5 offset:258
	s_waitcnt lgkmcnt(0)
	v_xor_b32_e32 v11, 1, v8
.LBB104_15:
	s_or_b64 exec, exec, s[2:3]
	v_bfe_u32 v8, v0, 1, 1
	v_cmp_eq_u32_e32 vcc, v11, v8
	s_and_saveexec_b64 s[0:1], vcc
	s_cbranch_execz .LBB104_17
; %bb.16:
	ds_read_u8 v11, v5 offset:258
	ds_read_u8 v12, v5 offset:256
	ds_write_b16 v6, v10
	ds_write_b16 v7, v9 offset:4
	s_waitcnt lgkmcnt(3)
	ds_write_b8 v5, v11 offset:256
	s_waitcnt lgkmcnt(3)
	ds_write_b8 v5, v12 offset:258
.LBB104_17:
	s_or_b64 exec, exec, s[0:1]
	s_waitcnt lgkmcnt(0)
	s_barrier
	ds_read_b32 v9, v3
                                        ; implicit-def: $sgpr6
	s_waitcnt lgkmcnt(0)
	v_cmp_nlt_f16_sdwa s[0:1], v9, v9 src0_sel:DWORD src1_sel:WORD_1
	v_cmp_lt_f16_sdwa s[8:9], v9, v9 src0_sel:DWORD src1_sel:WORD_1
	s_and_saveexec_b64 s[2:3], s[8:9]
	s_cbranch_execnz .LBB104_183
; %bb.18:
	s_or_b64 exec, exec, s[2:3]
	v_mov_b32_e32 v10, s6
	s_and_saveexec_b64 s[2:3], s[0:1]
	s_cbranch_execnz .LBB104_184
.LBB104_19:
	s_or_b64 exec, exec, s[2:3]
	v_cmp_eq_u32_e32 vcc, v10, v8
	s_and_saveexec_b64 s[0:1], vcc
	s_cbranch_execz .LBB104_21
.LBB104_20:
	ds_read_u8 v8, v1 offset:257
	ds_read_u8 v10, v4 offset:256
	v_alignbit_b32 v9, v9, v9, 16
	ds_write_b32 v3, v9
	s_waitcnt lgkmcnt(2)
	ds_write_b8 v4, v8 offset:256
	s_waitcnt lgkmcnt(2)
	ds_write_b8 v1, v10 offset:257
.LBB104_21:
	s_or_b64 exec, exec, s[0:1]
	v_and_b32_e32 v8, 3, v0
	v_sub_u32_e32 v10, v2, v8
	v_lshl_add_u32 v9, v10, 1, 2
	v_add_u32_e32 v8, 2, v10
	s_waitcnt lgkmcnt(0)
	s_barrier
	v_add_u32_e32 v10, v8, v10
	ds_read_u16 v12, v9
	ds_read_u16 v13, v10 offset:8
	s_mov_b32 s6, 1
	s_waitcnt lgkmcnt(0)
	v_cmp_nlt_f16_e64 s[0:1], v12, v13
	v_cmp_lt_f16_e32 vcc, v12, v13
	s_and_saveexec_b64 s[2:3], vcc
	s_cbranch_execz .LBB104_23
; %bb.22:
	ds_read_u8 v11, v8 offset:256
	s_andn2_b64 s[0:1], s[0:1], exec
	s_waitcnt lgkmcnt(0)
	v_and_b32_e32 v11, 1, v11
	v_cmp_eq_u32_e32 vcc, 1, v11
	s_xor_b64 s[8:9], vcc, -1
	s_and_b64 s[8:9], s[8:9], exec
	s_or_b64 s[0:1], s[0:1], s[8:9]
.LBB104_23:
	s_or_b64 exec, exec, s[2:3]
	v_mov_b32_e32 v14, s6
	s_and_saveexec_b64 s[2:3], s[0:1]
	s_cbranch_execz .LBB104_25
; %bb.24:
	ds_read_u8 v11, v8 offset:260
	s_waitcnt lgkmcnt(0)
	v_xor_b32_e32 v14, 1, v11
.LBB104_25:
	s_or_b64 exec, exec, s[2:3]
	v_bfe_u32 v11, v0, 2, 1
	v_cmp_eq_u32_e32 vcc, v14, v11
	s_and_saveexec_b64 s[0:1], vcc
	s_cbranch_execz .LBB104_27
; %bb.26:
	ds_read_u8 v14, v8 offset:260
	ds_read_u8 v15, v8 offset:256
	ds_write_b16 v9, v13
	ds_write_b16 v10, v12 offset:8
	s_waitcnt lgkmcnt(3)
	ds_write_b8 v8, v14 offset:256
	s_waitcnt lgkmcnt(3)
	ds_write_b8 v8, v15 offset:260
.LBB104_27:
	s_or_b64 exec, exec, s[0:1]
	s_waitcnt lgkmcnt(0)
	s_barrier
	ds_read_u16 v12, v6
	ds_read_u16 v13, v7 offset:4
                                        ; implicit-def: $sgpr6
	s_waitcnt lgkmcnt(0)
	v_cmp_nlt_f16_e64 s[0:1], v12, v13
	v_cmp_lt_f16_e32 vcc, v12, v13
	s_and_saveexec_b64 s[2:3], vcc
	s_cbranch_execnz .LBB104_185
; %bb.28:
	s_or_b64 exec, exec, s[2:3]
	v_mov_b32_e32 v14, s6
	s_and_saveexec_b64 s[2:3], s[0:1]
	s_cbranch_execnz .LBB104_186
.LBB104_29:
	s_or_b64 exec, exec, s[2:3]
	v_cmp_eq_u32_e32 vcc, v14, v11
	s_and_saveexec_b64 s[0:1], vcc
	s_cbranch_execz .LBB104_31
.LBB104_30:
	ds_read_u8 v14, v5 offset:258
	ds_read_u8 v15, v5 offset:256
	ds_write_b16 v6, v13
	ds_write_b16 v7, v12 offset:4
	s_waitcnt lgkmcnt(3)
	ds_write_b8 v5, v14 offset:256
	s_waitcnt lgkmcnt(3)
	ds_write_b8 v5, v15 offset:258
.LBB104_31:
	s_or_b64 exec, exec, s[0:1]
	s_waitcnt lgkmcnt(0)
	s_barrier
	ds_read_b32 v12, v3
                                        ; implicit-def: $sgpr6
	s_waitcnt lgkmcnt(0)
	v_cmp_nlt_f16_sdwa s[0:1], v12, v12 src0_sel:DWORD src1_sel:WORD_1
	v_cmp_lt_f16_sdwa s[8:9], v12, v12 src0_sel:DWORD src1_sel:WORD_1
	s_and_saveexec_b64 s[2:3], s[8:9]
	s_cbranch_execnz .LBB104_187
; %bb.32:
	s_or_b64 exec, exec, s[2:3]
	v_mov_b32_e32 v13, s6
	s_and_saveexec_b64 s[2:3], s[0:1]
	s_cbranch_execnz .LBB104_188
.LBB104_33:
	s_or_b64 exec, exec, s[2:3]
	v_cmp_eq_u32_e32 vcc, v13, v11
	s_and_saveexec_b64 s[0:1], vcc
	s_cbranch_execz .LBB104_35
.LBB104_34:
	ds_read_u8 v11, v1 offset:257
	ds_read_u8 v13, v4 offset:256
	v_alignbit_b32 v12, v12, v12, 16
	ds_write_b32 v3, v12
	s_waitcnt lgkmcnt(2)
	ds_write_b8 v4, v11 offset:256
	s_waitcnt lgkmcnt(2)
	ds_write_b8 v1, v13 offset:257
.LBB104_35:
	s_or_b64 exec, exec, s[0:1]
	v_and_b32_e32 v11, 7, v0
	v_sub_u32_e32 v13, v2, v11
	v_lshl_add_u32 v12, v13, 1, 2
	v_add_u32_e32 v11, 2, v13
	s_waitcnt lgkmcnt(0)
	s_barrier
	v_add_u32_e32 v13, v11, v13
	ds_read_u16 v15, v12
	ds_read_u16 v16, v13 offset:16
	s_mov_b32 s6, 1
	s_waitcnt lgkmcnt(0)
	v_cmp_nlt_f16_e64 s[0:1], v15, v16
	v_cmp_lt_f16_e32 vcc, v15, v16
	s_and_saveexec_b64 s[2:3], vcc
	s_cbranch_execz .LBB104_37
; %bb.36:
	ds_read_u8 v14, v11 offset:256
	s_andn2_b64 s[0:1], s[0:1], exec
	s_waitcnt lgkmcnt(0)
	v_and_b32_e32 v14, 1, v14
	v_cmp_eq_u32_e32 vcc, 1, v14
	s_xor_b64 s[8:9], vcc, -1
	s_and_b64 s[8:9], s[8:9], exec
	s_or_b64 s[0:1], s[0:1], s[8:9]
.LBB104_37:
	s_or_b64 exec, exec, s[2:3]
	v_mov_b32_e32 v17, s6
	s_and_saveexec_b64 s[2:3], s[0:1]
	s_cbranch_execz .LBB104_39
; %bb.38:
	ds_read_u8 v14, v11 offset:264
	s_waitcnt lgkmcnt(0)
	v_xor_b32_e32 v17, 1, v14
.LBB104_39:
	s_or_b64 exec, exec, s[2:3]
	v_bfe_u32 v14, v0, 3, 1
	v_cmp_eq_u32_e32 vcc, v17, v14
	s_and_saveexec_b64 s[0:1], vcc
	s_cbranch_execz .LBB104_41
; %bb.40:
	ds_read_u8 v17, v11 offset:264
	ds_read_u8 v18, v11 offset:256
	ds_write_b16 v12, v16
	ds_write_b16 v13, v15 offset:16
	s_waitcnt lgkmcnt(3)
	ds_write_b8 v11, v17 offset:256
	s_waitcnt lgkmcnt(3)
	ds_write_b8 v11, v18 offset:264
.LBB104_41:
	s_or_b64 exec, exec, s[0:1]
	s_waitcnt lgkmcnt(0)
	s_barrier
	ds_read_u16 v15, v9
	ds_read_u16 v16, v10 offset:8
                                        ; implicit-def: $sgpr6
	s_waitcnt lgkmcnt(0)
	v_cmp_nlt_f16_e64 s[0:1], v15, v16
	v_cmp_lt_f16_e32 vcc, v15, v16
	s_and_saveexec_b64 s[2:3], vcc
	s_cbranch_execnz .LBB104_189
; %bb.42:
	s_or_b64 exec, exec, s[2:3]
	v_mov_b32_e32 v17, s6
	s_and_saveexec_b64 s[2:3], s[0:1]
	s_cbranch_execnz .LBB104_190
.LBB104_43:
	s_or_b64 exec, exec, s[2:3]
	v_cmp_eq_u32_e32 vcc, v17, v14
	s_and_saveexec_b64 s[0:1], vcc
	s_cbranch_execz .LBB104_45
.LBB104_44:
	ds_read_u8 v17, v8 offset:260
	ds_read_u8 v18, v8 offset:256
	ds_write_b16 v9, v16
	ds_write_b16 v10, v15 offset:8
	s_waitcnt lgkmcnt(3)
	ds_write_b8 v8, v17 offset:256
	s_waitcnt lgkmcnt(3)
	ds_write_b8 v8, v18 offset:260
.LBB104_45:
	s_or_b64 exec, exec, s[0:1]
	s_waitcnt lgkmcnt(0)
	s_barrier
	ds_read_u16 v15, v6
	ds_read_u16 v16, v7 offset:4
                                        ; implicit-def: $sgpr6
	s_waitcnt lgkmcnt(0)
	v_cmp_nlt_f16_e64 s[0:1], v15, v16
	v_cmp_lt_f16_e32 vcc, v15, v16
	s_and_saveexec_b64 s[2:3], vcc
	s_cbranch_execnz .LBB104_191
; %bb.46:
	s_or_b64 exec, exec, s[2:3]
	v_mov_b32_e32 v17, s6
	s_and_saveexec_b64 s[2:3], s[0:1]
	s_cbranch_execnz .LBB104_192
.LBB104_47:
	s_or_b64 exec, exec, s[2:3]
	v_cmp_eq_u32_e32 vcc, v17, v14
	s_and_saveexec_b64 s[0:1], vcc
	s_cbranch_execz .LBB104_49
.LBB104_48:
	ds_read_u8 v17, v5 offset:258
	ds_read_u8 v18, v5 offset:256
	ds_write_b16 v6, v16
	ds_write_b16 v7, v15 offset:4
	s_waitcnt lgkmcnt(3)
	ds_write_b8 v5, v17 offset:256
	s_waitcnt lgkmcnt(3)
	ds_write_b8 v5, v18 offset:258
.LBB104_49:
	s_or_b64 exec, exec, s[0:1]
	s_waitcnt lgkmcnt(0)
	s_barrier
	ds_read_b32 v15, v3
                                        ; implicit-def: $sgpr6
	s_waitcnt lgkmcnt(0)
	v_cmp_nlt_f16_sdwa s[0:1], v15, v15 src0_sel:DWORD src1_sel:WORD_1
	v_cmp_lt_f16_sdwa s[8:9], v15, v15 src0_sel:DWORD src1_sel:WORD_1
	s_and_saveexec_b64 s[2:3], s[8:9]
	s_cbranch_execnz .LBB104_193
; %bb.50:
	s_or_b64 exec, exec, s[2:3]
	v_mov_b32_e32 v16, s6
	s_and_saveexec_b64 s[2:3], s[0:1]
	s_cbranch_execnz .LBB104_194
.LBB104_51:
	s_or_b64 exec, exec, s[2:3]
	v_cmp_eq_u32_e32 vcc, v16, v14
	s_and_saveexec_b64 s[0:1], vcc
	s_cbranch_execz .LBB104_53
.LBB104_52:
	ds_read_u8 v14, v1 offset:257
	ds_read_u8 v16, v4 offset:256
	v_alignbit_b32 v15, v15, v15, 16
	ds_write_b32 v3, v15
	s_waitcnt lgkmcnt(2)
	ds_write_b8 v4, v14 offset:256
	s_waitcnt lgkmcnt(2)
	ds_write_b8 v1, v16 offset:257
.LBB104_53:
	s_or_b64 exec, exec, s[0:1]
	v_and_b32_e32 v14, 15, v0
	v_sub_u32_e32 v14, v2, v14
	v_lshl_add_u32 v16, v14, 1, 2
	v_add_u32_e32 v15, 2, v14
	s_waitcnt lgkmcnt(0)
	s_barrier
	v_add_u32_e32 v17, v15, v14
	ds_read_u16 v18, v16
	ds_read_u16 v19, v17 offset:32
	s_mov_b32 s6, 1
	s_waitcnt lgkmcnt(0)
	v_cmp_nlt_f16_e64 s[0:1], v18, v19
	v_cmp_lt_f16_e32 vcc, v18, v19
	s_and_saveexec_b64 s[2:3], vcc
	s_cbranch_execz .LBB104_55
; %bb.54:
	ds_read_u8 v14, v15 offset:256
	s_andn2_b64 s[0:1], s[0:1], exec
	s_waitcnt lgkmcnt(0)
	v_and_b32_e32 v14, 1, v14
	v_cmp_eq_u32_e32 vcc, 1, v14
	s_xor_b64 s[8:9], vcc, -1
	s_and_b64 s[8:9], s[8:9], exec
	s_or_b64 s[0:1], s[0:1], s[8:9]
.LBB104_55:
	s_or_b64 exec, exec, s[2:3]
	v_mov_b32_e32 v20, s6
	s_and_saveexec_b64 s[2:3], s[0:1]
	s_cbranch_execz .LBB104_57
; %bb.56:
	ds_read_u8 v14, v15 offset:272
	s_waitcnt lgkmcnt(0)
	v_xor_b32_e32 v20, 1, v14
.LBB104_57:
	s_or_b64 exec, exec, s[2:3]
	v_bfe_u32 v14, v0, 4, 1
	v_cmp_eq_u32_e32 vcc, v20, v14
	s_and_saveexec_b64 s[0:1], vcc
	s_cbranch_execz .LBB104_59
; %bb.58:
	ds_read_u8 v20, v15 offset:272
	ds_read_u8 v21, v15 offset:256
	ds_write_b16 v16, v19
	ds_write_b16 v17, v18 offset:32
	s_waitcnt lgkmcnt(3)
	ds_write_b8 v15, v20 offset:256
	s_waitcnt lgkmcnt(3)
	ds_write_b8 v15, v21 offset:272
.LBB104_59:
	s_or_b64 exec, exec, s[0:1]
	s_waitcnt lgkmcnt(0)
	s_barrier
	ds_read_u16 v18, v12
	ds_read_u16 v19, v13 offset:16
                                        ; implicit-def: $sgpr6
	s_waitcnt lgkmcnt(0)
	v_cmp_nlt_f16_e64 s[0:1], v18, v19
	v_cmp_lt_f16_e32 vcc, v18, v19
	s_and_saveexec_b64 s[2:3], vcc
	s_cbranch_execnz .LBB104_195
; %bb.60:
	s_or_b64 exec, exec, s[2:3]
	v_mov_b32_e32 v20, s6
	s_and_saveexec_b64 s[2:3], s[0:1]
	s_cbranch_execnz .LBB104_196
.LBB104_61:
	s_or_b64 exec, exec, s[2:3]
	v_cmp_eq_u32_e32 vcc, v20, v14
	s_and_saveexec_b64 s[0:1], vcc
	s_cbranch_execz .LBB104_63
.LBB104_62:
	ds_read_u8 v20, v11 offset:264
	ds_read_u8 v21, v11 offset:256
	ds_write_b16 v12, v19
	ds_write_b16 v13, v18 offset:16
	s_waitcnt lgkmcnt(3)
	ds_write_b8 v11, v20 offset:256
	s_waitcnt lgkmcnt(3)
	ds_write_b8 v11, v21 offset:264
.LBB104_63:
	s_or_b64 exec, exec, s[0:1]
	s_waitcnt lgkmcnt(0)
	s_barrier
	ds_read_u16 v18, v9
	ds_read_u16 v19, v10 offset:8
                                        ; implicit-def: $sgpr6
	s_waitcnt lgkmcnt(0)
	v_cmp_nlt_f16_e64 s[0:1], v18, v19
	v_cmp_lt_f16_e32 vcc, v18, v19
	s_and_saveexec_b64 s[2:3], vcc
	s_cbranch_execnz .LBB104_197
; %bb.64:
	s_or_b64 exec, exec, s[2:3]
	v_mov_b32_e32 v20, s6
	s_and_saveexec_b64 s[2:3], s[0:1]
	s_cbranch_execnz .LBB104_198
.LBB104_65:
	s_or_b64 exec, exec, s[2:3]
	v_cmp_eq_u32_e32 vcc, v20, v14
	s_and_saveexec_b64 s[0:1], vcc
	s_cbranch_execz .LBB104_67
.LBB104_66:
	ds_read_u8 v20, v8 offset:260
	ds_read_u8 v21, v8 offset:256
	ds_write_b16 v9, v19
	ds_write_b16 v10, v18 offset:8
	s_waitcnt lgkmcnt(3)
	ds_write_b8 v8, v20 offset:256
	s_waitcnt lgkmcnt(3)
	ds_write_b8 v8, v21 offset:260
.LBB104_67:
	s_or_b64 exec, exec, s[0:1]
	s_waitcnt lgkmcnt(0)
	s_barrier
	ds_read_u16 v18, v6
	ds_read_u16 v19, v7 offset:4
                                        ; implicit-def: $sgpr6
	s_waitcnt lgkmcnt(0)
	v_cmp_nlt_f16_e64 s[0:1], v18, v19
	v_cmp_lt_f16_e32 vcc, v18, v19
	s_and_saveexec_b64 s[2:3], vcc
	s_cbranch_execnz .LBB104_199
; %bb.68:
	s_or_b64 exec, exec, s[2:3]
	v_mov_b32_e32 v20, s6
	s_and_saveexec_b64 s[2:3], s[0:1]
	s_cbranch_execnz .LBB104_200
.LBB104_69:
	s_or_b64 exec, exec, s[2:3]
	v_cmp_eq_u32_e32 vcc, v20, v14
	s_and_saveexec_b64 s[0:1], vcc
	s_cbranch_execz .LBB104_71
.LBB104_70:
	ds_read_u8 v20, v5 offset:258
	ds_read_u8 v21, v5 offset:256
	ds_write_b16 v6, v19
	ds_write_b16 v7, v18 offset:4
	s_waitcnt lgkmcnt(3)
	ds_write_b8 v5, v20 offset:256
	s_waitcnt lgkmcnt(3)
	ds_write_b8 v5, v21 offset:258
.LBB104_71:
	s_or_b64 exec, exec, s[0:1]
	s_waitcnt lgkmcnt(0)
	s_barrier
	ds_read_b32 v18, v3
                                        ; implicit-def: $sgpr6
	s_waitcnt lgkmcnt(0)
	v_cmp_nlt_f16_sdwa s[0:1], v18, v18 src0_sel:DWORD src1_sel:WORD_1
	v_cmp_lt_f16_sdwa s[8:9], v18, v18 src0_sel:DWORD src1_sel:WORD_1
	s_and_saveexec_b64 s[2:3], s[8:9]
	s_cbranch_execnz .LBB104_201
; %bb.72:
	s_or_b64 exec, exec, s[2:3]
	v_mov_b32_e32 v19, s6
	s_and_saveexec_b64 s[2:3], s[0:1]
	s_cbranch_execnz .LBB104_202
.LBB104_73:
	s_or_b64 exec, exec, s[2:3]
	v_cmp_eq_u32_e32 vcc, v19, v14
	s_and_saveexec_b64 s[0:1], vcc
	s_cbranch_execz .LBB104_75
.LBB104_74:
	ds_read_u8 v14, v1 offset:257
	ds_read_u8 v19, v4 offset:256
	v_alignbit_b32 v18, v18, v18, 16
	ds_write_b32 v3, v18
	s_waitcnt lgkmcnt(2)
	ds_write_b8 v4, v14 offset:256
	s_waitcnt lgkmcnt(2)
	ds_write_b8 v1, v19 offset:257
.LBB104_75:
	s_or_b64 exec, exec, s[0:1]
	v_and_b32_e32 v14, 31, v0
	v_sub_u32_e32 v14, v2, v14
	v_lshl_add_u32 v19, v14, 1, 2
	v_add_u32_e32 v18, 2, v14
	s_waitcnt lgkmcnt(0)
	s_barrier
	v_add_u32_e32 v20, v18, v14
	ds_read_u16 v21, v19
	ds_read_u16 v22, v20 offset:64
	s_mov_b32 s6, 1
	s_waitcnt lgkmcnt(0)
	v_cmp_nlt_f16_e64 s[0:1], v21, v22
	v_cmp_lt_f16_e32 vcc, v21, v22
	s_and_saveexec_b64 s[2:3], vcc
	s_cbranch_execz .LBB104_77
; %bb.76:
	ds_read_u8 v14, v18 offset:256
	s_andn2_b64 s[0:1], s[0:1], exec
	s_waitcnt lgkmcnt(0)
	v_and_b32_e32 v14, 1, v14
	v_cmp_eq_u32_e32 vcc, 1, v14
	s_xor_b64 s[8:9], vcc, -1
	s_and_b64 s[8:9], s[8:9], exec
	s_or_b64 s[0:1], s[0:1], s[8:9]
.LBB104_77:
	s_or_b64 exec, exec, s[2:3]
	v_mov_b32_e32 v23, s6
	s_and_saveexec_b64 s[2:3], s[0:1]
	s_cbranch_execz .LBB104_79
; %bb.78:
	ds_read_u8 v14, v18 offset:288
	s_waitcnt lgkmcnt(0)
	v_xor_b32_e32 v23, 1, v14
.LBB104_79:
	s_or_b64 exec, exec, s[2:3]
	v_bfe_u32 v14, v0, 5, 1
	v_cmp_eq_u32_e32 vcc, v23, v14
	s_and_saveexec_b64 s[0:1], vcc
	s_cbranch_execz .LBB104_81
; %bb.80:
	ds_read_u8 v23, v18 offset:288
	ds_read_u8 v24, v18 offset:256
	ds_write_b16 v19, v22
	ds_write_b16 v20, v21 offset:64
	s_waitcnt lgkmcnt(3)
	ds_write_b8 v18, v23 offset:256
	s_waitcnt lgkmcnt(3)
	ds_write_b8 v18, v24 offset:288
.LBB104_81:
	s_or_b64 exec, exec, s[0:1]
	s_waitcnt lgkmcnt(0)
	s_barrier
	ds_read_u16 v21, v16
	ds_read_u16 v22, v17 offset:32
                                        ; implicit-def: $sgpr6
	s_waitcnt lgkmcnt(0)
	v_cmp_nlt_f16_e64 s[0:1], v21, v22
	v_cmp_lt_f16_e32 vcc, v21, v22
	s_and_saveexec_b64 s[2:3], vcc
	s_cbranch_execnz .LBB104_203
; %bb.82:
	s_or_b64 exec, exec, s[2:3]
	v_mov_b32_e32 v23, s6
	s_and_saveexec_b64 s[2:3], s[0:1]
	s_cbranch_execnz .LBB104_204
.LBB104_83:
	s_or_b64 exec, exec, s[2:3]
	v_cmp_eq_u32_e32 vcc, v23, v14
	s_and_saveexec_b64 s[0:1], vcc
	s_cbranch_execz .LBB104_85
.LBB104_84:
	ds_read_u8 v23, v15 offset:272
	ds_read_u8 v24, v15 offset:256
	ds_write_b16 v16, v22
	ds_write_b16 v17, v21 offset:32
	s_waitcnt lgkmcnt(3)
	ds_write_b8 v15, v23 offset:256
	s_waitcnt lgkmcnt(3)
	ds_write_b8 v15, v24 offset:272
.LBB104_85:
	s_or_b64 exec, exec, s[0:1]
	s_waitcnt lgkmcnt(0)
	s_barrier
	ds_read_u16 v21, v12
	ds_read_u16 v22, v13 offset:16
                                        ; implicit-def: $sgpr6
	s_waitcnt lgkmcnt(0)
	v_cmp_nlt_f16_e64 s[0:1], v21, v22
	v_cmp_lt_f16_e32 vcc, v21, v22
	s_and_saveexec_b64 s[2:3], vcc
	s_cbranch_execnz .LBB104_205
; %bb.86:
	s_or_b64 exec, exec, s[2:3]
	v_mov_b32_e32 v23, s6
	s_and_saveexec_b64 s[2:3], s[0:1]
	s_cbranch_execnz .LBB104_206
.LBB104_87:
	s_or_b64 exec, exec, s[2:3]
	v_cmp_eq_u32_e32 vcc, v23, v14
	s_and_saveexec_b64 s[0:1], vcc
	s_cbranch_execz .LBB104_89
.LBB104_88:
	ds_read_u8 v23, v11 offset:264
	ds_read_u8 v24, v11 offset:256
	ds_write_b16 v12, v22
	ds_write_b16 v13, v21 offset:16
	s_waitcnt lgkmcnt(3)
	ds_write_b8 v11, v23 offset:256
	s_waitcnt lgkmcnt(3)
	ds_write_b8 v11, v24 offset:264
.LBB104_89:
	s_or_b64 exec, exec, s[0:1]
	s_waitcnt lgkmcnt(0)
	s_barrier
	ds_read_u16 v21, v9
	ds_read_u16 v22, v10 offset:8
                                        ; implicit-def: $sgpr6
	s_waitcnt lgkmcnt(0)
	v_cmp_nlt_f16_e64 s[0:1], v21, v22
	v_cmp_lt_f16_e32 vcc, v21, v22
	s_and_saveexec_b64 s[2:3], vcc
	s_cbranch_execnz .LBB104_207
; %bb.90:
	s_or_b64 exec, exec, s[2:3]
	v_mov_b32_e32 v23, s6
	s_and_saveexec_b64 s[2:3], s[0:1]
	s_cbranch_execnz .LBB104_208
.LBB104_91:
	s_or_b64 exec, exec, s[2:3]
	v_cmp_eq_u32_e32 vcc, v23, v14
	s_and_saveexec_b64 s[0:1], vcc
	s_cbranch_execz .LBB104_93
.LBB104_92:
	ds_read_u8 v23, v8 offset:260
	ds_read_u8 v24, v8 offset:256
	ds_write_b16 v9, v22
	ds_write_b16 v10, v21 offset:8
	s_waitcnt lgkmcnt(3)
	ds_write_b8 v8, v23 offset:256
	s_waitcnt lgkmcnt(3)
	ds_write_b8 v8, v24 offset:260
.LBB104_93:
	s_or_b64 exec, exec, s[0:1]
	s_waitcnt lgkmcnt(0)
	s_barrier
	ds_read_u16 v21, v6
	ds_read_u16 v22, v7 offset:4
                                        ; implicit-def: $sgpr6
	s_waitcnt lgkmcnt(0)
	v_cmp_nlt_f16_e64 s[0:1], v21, v22
	v_cmp_lt_f16_e32 vcc, v21, v22
	s_and_saveexec_b64 s[2:3], vcc
	s_cbranch_execnz .LBB104_209
; %bb.94:
	s_or_b64 exec, exec, s[2:3]
	v_mov_b32_e32 v23, s6
	s_and_saveexec_b64 s[2:3], s[0:1]
	s_cbranch_execnz .LBB104_210
.LBB104_95:
	s_or_b64 exec, exec, s[2:3]
	v_cmp_eq_u32_e32 vcc, v23, v14
	s_and_saveexec_b64 s[0:1], vcc
	s_cbranch_execz .LBB104_97
.LBB104_96:
	ds_read_u8 v23, v5 offset:258
	ds_read_u8 v24, v5 offset:256
	ds_write_b16 v6, v22
	ds_write_b16 v7, v21 offset:4
	s_waitcnt lgkmcnt(3)
	ds_write_b8 v5, v23 offset:256
	s_waitcnt lgkmcnt(3)
	ds_write_b8 v5, v24 offset:258
.LBB104_97:
	s_or_b64 exec, exec, s[0:1]
	s_waitcnt lgkmcnt(0)
	s_barrier
	ds_read_b32 v21, v3
                                        ; implicit-def: $sgpr6
	s_waitcnt lgkmcnt(0)
	v_cmp_nlt_f16_sdwa s[0:1], v21, v21 src0_sel:DWORD src1_sel:WORD_1
	v_cmp_lt_f16_sdwa s[8:9], v21, v21 src0_sel:DWORD src1_sel:WORD_1
	s_and_saveexec_b64 s[2:3], s[8:9]
	s_cbranch_execnz .LBB104_211
; %bb.98:
	s_or_b64 exec, exec, s[2:3]
	v_mov_b32_e32 v22, s6
	s_and_saveexec_b64 s[2:3], s[0:1]
	s_cbranch_execnz .LBB104_212
.LBB104_99:
	s_or_b64 exec, exec, s[2:3]
	v_cmp_eq_u32_e32 vcc, v22, v14
	s_and_saveexec_b64 s[0:1], vcc
	s_cbranch_execz .LBB104_101
.LBB104_100:
	ds_read_u8 v14, v1 offset:257
	ds_read_u8 v22, v4 offset:256
	v_alignbit_b32 v21, v21, v21, 16
	ds_write_b32 v3, v21
	s_waitcnt lgkmcnt(2)
	ds_write_b8 v4, v14 offset:256
	s_waitcnt lgkmcnt(2)
	ds_write_b8 v1, v22 offset:257
.LBB104_101:
	s_or_b64 exec, exec, s[0:1]
	v_and_b32_e32 v14, 63, v0
	v_sub_u32_e32 v23, v2, v14
	v_lshl_add_u32 v22, v23, 1, 2
	v_add_u32_e32 v21, 2, v23
	s_waitcnt lgkmcnt(0)
	s_barrier
	v_add_u32_e32 v23, v21, v23
	ds_read_u16 v24, v22
	ds_read_u16 v25, v23 offset:128
	s_waitcnt lgkmcnt(0)
	v_cmp_nlt_f16_e64 s[2:3], v24, v25
	v_cmp_lt_f16_e32 vcc, v24, v25
	s_and_saveexec_b64 s[0:1], vcc
	s_cbranch_execz .LBB104_103
; %bb.102:
	ds_read_u8 v26, v21 offset:256
	s_andn2_b64 s[2:3], s[2:3], exec
	s_waitcnt lgkmcnt(0)
	v_and_b32_e32 v26, 1, v26
	v_cmp_eq_u32_e32 vcc, 1, v26
	s_xor_b64 s[6:7], vcc, -1
	s_and_b64 s[6:7], s[6:7], exec
	s_or_b64 s[2:3], s[2:3], s[6:7]
.LBB104_103:
	s_or_b64 exec, exec, s[0:1]
	s_and_saveexec_b64 s[0:1], s[2:3]
	s_cbranch_execz .LBB104_106
; %bb.104:
	ds_read_u8 v26, v21 offset:320
	s_waitcnt lgkmcnt(0)
	v_cmp_ne_u16_e32 vcc, 0, v26
	s_and_b64 exec, exec, vcc
	s_cbranch_execz .LBB104_106
; %bb.105:
	ds_read_u8 v27, v21 offset:256
	ds_write_b16 v22, v25
	ds_write_b16 v23, v24 offset:128
	ds_write_b8 v21, v26 offset:256
	s_waitcnt lgkmcnt(3)
	ds_write_b8 v21, v27 offset:320
.LBB104_106:
	s_or_b64 exec, exec, s[0:1]
	s_waitcnt lgkmcnt(0)
	s_barrier
	ds_read_u16 v21, v19
	ds_read_u16 v22, v20 offset:64
	s_waitcnt lgkmcnt(0)
	v_cmp_nlt_f16_e64 s[2:3], v21, v22
	v_cmp_lt_f16_e32 vcc, v21, v22
	s_and_saveexec_b64 s[0:1], vcc
	s_cbranch_execz .LBB104_108
; %bb.107:
	ds_read_u8 v23, v18 offset:256
	s_andn2_b64 s[2:3], s[2:3], exec
	s_waitcnt lgkmcnt(0)
	v_and_b32_e32 v23, 1, v23
	v_cmp_eq_u32_e32 vcc, 1, v23
	s_xor_b64 s[6:7], vcc, -1
	s_and_b64 s[6:7], s[6:7], exec
	s_or_b64 s[2:3], s[2:3], s[6:7]
.LBB104_108:
	s_or_b64 exec, exec, s[0:1]
	s_and_saveexec_b64 s[0:1], s[2:3]
	s_cbranch_execz .LBB104_111
; %bb.109:
	ds_read_u8 v23, v18 offset:288
	s_waitcnt lgkmcnt(0)
	v_cmp_ne_u16_e32 vcc, 0, v23
	s_and_b64 exec, exec, vcc
	s_cbranch_execz .LBB104_111
; %bb.110:
	ds_read_u8 v24, v18 offset:256
	ds_write_b16 v19, v22
	ds_write_b16 v20, v21 offset:64
	ds_write_b8 v18, v23 offset:256
	s_waitcnt lgkmcnt(3)
	ds_write_b8 v18, v24 offset:288
.LBB104_111:
	s_or_b64 exec, exec, s[0:1]
	s_waitcnt lgkmcnt(0)
	s_barrier
	;; [unrolled: 37-line block ×6, first 2 shown]
	ds_read_b32 v5, v3
	s_waitcnt lgkmcnt(0)
	v_cmp_nlt_f16_sdwa s[2:3], v5, v5 src0_sel:DWORD src1_sel:WORD_1
	v_cmp_lt_f16_sdwa s[6:7], v5, v5 src0_sel:DWORD src1_sel:WORD_1
	s_and_saveexec_b64 s[0:1], s[6:7]
	s_cbranch_execz .LBB104_133
; %bb.132:
	ds_read_u8 v6, v4 offset:256
	s_andn2_b64 s[2:3], s[2:3], exec
	s_waitcnt lgkmcnt(0)
	v_and_b32_e32 v6, 1, v6
	v_cmp_eq_u32_e32 vcc, 1, v6
	s_xor_b64 s[6:7], vcc, -1
	s_and_b64 s[6:7], s[6:7], exec
	s_or_b64 s[2:3], s[2:3], s[6:7]
.LBB104_133:
	s_or_b64 exec, exec, s[0:1]
	s_and_saveexec_b64 s[0:1], s[2:3]
	s_cbranch_execz .LBB104_136
; %bb.134:
	ds_read_u8 v6, v1 offset:257
	s_waitcnt lgkmcnt(0)
	v_cmp_ne_u16_e32 vcc, 0, v6
	s_and_b64 exec, exec, vcc
	s_cbranch_execz .LBB104_136
; %bb.135:
	ds_read_u8 v7, v4 offset:256
	v_alignbit_b32 v5, v5, v5, 16
	ds_write_b32 v3, v5
	ds_write_b8 v4, v6 offset:256
	s_waitcnt lgkmcnt(2)
	ds_write_b8 v1, v7 offset:257
.LBB104_136:
	s_or_b64 exec, exec, s[0:1]
	v_cmp_eq_u32_e32 vcc, 0, v0
	s_waitcnt lgkmcnt(0)
	s_barrier
	s_barrier
	s_and_saveexec_b64 s[0:1], vcc
	s_cbranch_execz .LBB104_138
; %bb.137:
	v_mov_b32_e32 v5, 2
	v_mov_b32_e32 v6, 1
	ds_write_b8 v5, v6 offset:260
	v_mov_b32_e32 v6, 0
	ds_write_b32 v5, v6 offset:256
.LBB104_138:
	s_or_b64 exec, exec, s[0:1]
	v_add_u32_e32 v4, v4, v2
	ds_read_u16 v5, v3
	ds_read_u16 v4, v4 offset:2
	s_add_i32 s10, 2, 0x100
	v_lshl_add_u32 v3, v2, 3, s10
	v_cmp_gt_u32_e64 s[2:3], 63, v0
	s_waitcnt lgkmcnt(0)
	v_cmp_neq_f16_e64 s[0:1], v5, v4
	v_cndmask_b32_e64 v6, 0, 1, s[0:1]
	v_cmp_eq_f16_e64 s[0:1], v5, v4
	v_cndmask_b32_e64 v5, 0, 1, s[0:1]
	ds_write_b8 v3, v6 offset:12
	ds_write_b32 v3, v5 offset:8
	s_and_saveexec_b64 s[6:7], s[2:3]
	s_cbranch_execz .LBB104_140
; %bb.139:
	v_lshl_add_u32 v5, v2, 1, 2
	ds_read_u16 v5, v5 offset:4
	s_waitcnt lgkmcnt(0)
	v_cmp_neq_f16_e64 s[0:1], v4, v5
	v_cndmask_b32_e64 v6, 0, 1, s[0:1]
	v_cmp_eq_f16_e64 s[0:1], v4, v5
	v_cndmask_b32_e64 v4, 0, 1, s[0:1]
	ds_write_b8 v3, v6 offset:20
	ds_write_b32 v3, v4 offset:16
.LBB104_140:
	s_or_b64 exec, exec, s[6:7]
	v_cmp_gt_u32_e64 s[0:1], 64, v0
	v_lshl_add_u32 v4, v2, 3, 2
	s_waitcnt lgkmcnt(0)
	s_barrier
	s_and_saveexec_b64 s[8:9], s[0:1]
	s_cbranch_execz .LBB104_142
; %bb.141:
	ds_read_u8 v5, v3 offset:12
	ds_read_b32 v6, v4 offset:256
	ds_read_b32 v7, v3 offset:8
	ds_read_u8 v8, v4 offset:260
	s_waitcnt lgkmcnt(3)
	v_and_b32_e32 v9, 1, v5
	v_cmp_eq_u32_e64 s[6:7], 1, v9
	s_waitcnt lgkmcnt(2)
	v_cndmask_b32_e64 v6, v6, 0, s[6:7]
	s_waitcnt lgkmcnt(0)
	v_or_b32_e32 v5, v8, v5
	v_add_u32_e32 v6, v6, v7
	v_and_b32_e32 v5, 1, v5
	ds_write2_b32 v3, v6, v5 offset0:2 offset1:3
.LBB104_142:
	s_or_b64 exec, exec, s[8:9]
	v_lshlrev_b32_e32 v5, 1, v1
	v_add_u32_e32 v6, -1, v5
	v_cmp_gt_u32_e64 s[6:7], 32, v0
	s_waitcnt lgkmcnt(0)
	s_barrier
	s_and_saveexec_b64 s[8:9], s[6:7]
	s_cbranch_execz .LBB104_144
; %bb.143:
	v_lshl_add_u32 v7, v6, 3, 2
	ds_read_u8 v8, v7 offset:260
	v_lshl_add_u32 v9, v5, 3, 2
	ds_read_b32 v10, v9 offset:232
	ds_read_b32 v11, v7 offset:256
	ds_read_u8 v9, v9 offset:236
	s_waitcnt lgkmcnt(3)
	v_and_b32_e32 v12, 1, v8
	v_cmp_eq_u32_e64 s[6:7], 1, v12
	s_waitcnt lgkmcnt(2)
	v_cndmask_b32_e64 v10, v10, 0, s[6:7]
	s_waitcnt lgkmcnt(0)
	v_or_b32_e32 v8, v9, v8
	v_add_u32_e32 v10, v10, v11
	v_and_b32_e32 v8, 1, v8
	ds_write2_b32 v7, v10, v8 offset0:64 offset1:65
.LBB104_144:
	s_or_b64 exec, exec, s[8:9]
	v_lshlrev_b32_e32 v7, 2, v1
	v_add_u32_e32 v6, v6, v5
	v_cmp_gt_u32_e64 s[6:7], 16, v0
	s_waitcnt lgkmcnt(0)
	s_barrier
	s_and_saveexec_b64 s[8:9], s[6:7]
	s_cbranch_execz .LBB104_146
; %bb.145:
	v_lshl_add_u32 v8, v6, 3, 2
	ds_read_u8 v9, v8 offset:260
	v_lshl_add_u32 v10, v7, 3, 2
	ds_read_b32 v11, v10 offset:216
	ds_read_b32 v12, v8 offset:256
	ds_read_u8 v10, v10 offset:220
	s_waitcnt lgkmcnt(3)
	v_and_b32_e32 v13, 1, v9
	v_cmp_eq_u32_e64 s[6:7], 1, v13
	s_waitcnt lgkmcnt(2)
	v_cndmask_b32_e64 v11, v11, 0, s[6:7]
	s_waitcnt lgkmcnt(0)
	v_or_b32_e32 v9, v10, v9
	v_add_u32_e32 v11, v11, v12
	v_and_b32_e32 v9, 1, v9
	ds_write2_b32 v8, v11, v9 offset0:64 offset1:65
.LBB104_146:
	s_or_b64 exec, exec, s[8:9]
	v_lshlrev_b32_e32 v9, 3, v1
	v_add_u32_e32 v8, v6, v7
	;; [unrolled: 26-line block ×3, first 2 shown]
	v_cmp_gt_u32_e64 s[6:7], 4, v0
	s_waitcnt lgkmcnt(0)
	s_barrier
	s_and_saveexec_b64 s[8:9], s[6:7]
	s_cbranch_execz .LBB104_150
; %bb.149:
	v_lshl_add_u32 v12, v10, 3, 2
	ds_read_u8 v13, v12 offset:260
	v_lshl_add_u32 v15, v11, 3, 2
	ds_read_b32 v16, v15 offset:120
	ds_read_b32 v17, v12 offset:256
	ds_read_u8 v15, v15 offset:124
	s_waitcnt lgkmcnt(3)
	v_and_b32_e32 v18, 1, v13
	v_cmp_eq_u32_e64 s[6:7], 1, v18
	s_waitcnt lgkmcnt(2)
	v_cndmask_b32_e64 v16, v16, 0, s[6:7]
	s_waitcnt lgkmcnt(0)
	v_or_b32_e32 v13, v15, v13
	v_add_u32_e32 v16, v16, v17
	v_and_b32_e32 v13, 1, v13
	ds_write2_b32 v12, v16, v13 offset0:64 offset1:65
.LBB104_150:
	s_or_b64 exec, exec, s[8:9]
	v_add_u32_e32 v12, v10, v11
	v_cmp_gt_u32_e64 s[6:7], 2, v0
	v_lshl_add_u32 v12, v12, 3, 2
	s_waitcnt lgkmcnt(0)
	s_barrier
	s_and_saveexec_b64 s[8:9], s[6:7]
	s_cbranch_execz .LBB104_152
; %bb.151:
	v_lshl_add_u32 v1, v1, 8, 2
	v_add_u32_e32 v13, -8, v1
	ds_read_u8 v15, v12 offset:260
	ds_read_b32 v13, v13
	v_add_u32_e32 v1, -4, v1
	ds_read_b32 v16, v12 offset:256
	ds_read_u8 v1, v1
	s_waitcnt lgkmcnt(3)
	v_and_b32_e32 v17, 1, v15
	v_cmp_eq_u32_e64 s[6:7], 1, v17
	s_waitcnt lgkmcnt(2)
	v_cndmask_b32_e64 v13, v13, 0, s[6:7]
	s_waitcnt lgkmcnt(0)
	v_or_b32_e32 v1, v1, v15
	v_add_u32_e32 v13, v13, v16
	v_and_b32_e32 v1, 1, v1
	ds_write2_b32 v12, v13, v1 offset0:64 offset1:65
.LBB104_152:
	s_or_b64 exec, exec, s[8:9]
	s_waitcnt lgkmcnt(0)
	s_barrier
	s_and_saveexec_b64 s[8:9], vcc
	s_cbranch_execz .LBB104_154
; %bb.153:
	v_mov_b32_e32 v1, 2
	s_movk_i32 s6, 0xf8
	ds_read_u8 v13, v1 offset:1276
	v_add_u32_e64 v15, s6, 2
	ds_read2st64_b32 v[16:17], v15 offset0:2 offset1:4
	ds_read_u8 v1, v1 offset:764
	s_add_i32 s11, 2, 0x4f8
	s_waitcnt lgkmcnt(2)
	v_and_b32_e32 v15, 1, v13
	v_cmp_eq_u32_e64 s[6:7], 1, v15
	s_waitcnt lgkmcnt(1)
	v_cndmask_b32_e64 v15, v16, 0, s[6:7]
	s_waitcnt lgkmcnt(0)
	v_or_b32_e32 v1, v1, v13
	v_add_u32_e32 v15, v15, v17
	v_and_b32_e32 v1, 1, v1
	v_mov_b32_e32 v13, s11
	ds_write2_b32 v13, v15, v1 offset1:1
.LBB104_154:
	s_or_b64 exec, exec, s[8:9]
	s_waitcnt lgkmcnt(0)
	s_barrier
	s_and_saveexec_b64 s[8:9], vcc
	s_cbranch_execz .LBB104_156
; %bb.155:
	v_mov_b32_e32 v1, 2
	ds_read_u8 v13, v1 offset:1020
	ds_read_b32 v15, v12 offset:256
	ds_read_b32 v16, v1 offset:1016
	ds_read_u8 v12, v12 offset:260
	s_waitcnt lgkmcnt(3)
	v_and_b32_e32 v17, 1, v13
	v_cmp_eq_u32_e64 s[6:7], 1, v17
	s_waitcnt lgkmcnt(2)
	v_cndmask_b32_e64 v15, v15, 0, s[6:7]
	s_waitcnt lgkmcnt(0)
	v_or_b32_e32 v12, v12, v13
	v_add_u32_e32 v15, v15, v16
	v_and_b32_e32 v12, 1, v12
	ds_write2_b32 v1, v15, v12 offset0:254 offset1:255
.LBB104_156:
	s_or_b64 exec, exec, s[8:9]
	v_cmp_gt_u32_e64 s[6:7], 3, v0
	s_waitcnt lgkmcnt(0)
	s_barrier
	s_and_saveexec_b64 s[8:9], s[6:7]
	s_cbranch_execz .LBB104_158
; %bb.157:
	v_lshl_add_u32 v1, v11, 3, s10
	ds_read_u8 v11, v1 offset:124
	v_lshl_add_u32 v10, v10, 3, s10
	ds_read_b32 v12, v10
	ds_read_b32 v13, v1 offset:120
	ds_read_u8 v10, v10 offset:4
	s_waitcnt lgkmcnt(3)
	v_and_b32_e32 v15, 1, v11
	v_cmp_eq_u32_e64 s[6:7], 1, v15
	s_waitcnt lgkmcnt(2)
	v_cndmask_b32_e64 v12, v12, 0, s[6:7]
	s_waitcnt lgkmcnt(0)
	v_or_b32_e32 v10, v10, v11
	v_add_u32_e32 v12, v12, v13
	v_and_b32_e32 v10, 1, v10
	ds_write2_b32 v1, v12, v10 offset0:30 offset1:31
.LBB104_158:
	s_or_b64 exec, exec, s[8:9]
	v_cmp_gt_u32_e64 s[6:7], 7, v0
	s_waitcnt lgkmcnt(0)
	s_barrier
	s_and_saveexec_b64 s[8:9], s[6:7]
	s_cbranch_execz .LBB104_160
; %bb.159:
	v_lshl_add_u32 v1, v9, 3, s10
	ds_read_u8 v9, v1 offset:60
	v_lshl_add_u32 v8, v8, 3, s10
	ds_read_b32 v10, v8
	ds_read_b32 v11, v1 offset:56
	ds_read_u8 v8, v8 offset:4
	s_waitcnt lgkmcnt(3)
	v_and_b32_e32 v12, 1, v9
	v_cmp_eq_u32_e64 s[6:7], 1, v12
	s_waitcnt lgkmcnt(2)
	v_cndmask_b32_e64 v10, v10, 0, s[6:7]
	s_waitcnt lgkmcnt(0)
	v_or_b32_e32 v8, v8, v9
	v_add_u32_e32 v10, v10, v11
	v_and_b32_e32 v8, 1, v8
	ds_write2_b32 v1, v10, v8 offset0:14 offset1:15
.LBB104_160:
	s_or_b64 exec, exec, s[8:9]
	v_cmp_gt_u32_e64 s[6:7], 15, v0
	s_waitcnt lgkmcnt(0)
	s_barrier
	s_and_saveexec_b64 s[8:9], s[6:7]
	s_cbranch_execz .LBB104_162
; %bb.161:
	v_lshl_add_u32 v1, v7, 3, s10
	ds_read_u8 v7, v1 offset:28
	v_lshl_add_u32 v6, v6, 3, s10
	ds_read_b32 v8, v6
	ds_read_b32 v9, v1 offset:24
	ds_read_u8 v6, v6 offset:4
	s_waitcnt lgkmcnt(3)
	v_and_b32_e32 v10, 1, v7
	v_cmp_eq_u32_e64 s[6:7], 1, v10
	s_waitcnt lgkmcnt(2)
	v_cndmask_b32_e64 v8, v8, 0, s[6:7]
	s_waitcnt lgkmcnt(0)
	v_or_b32_e32 v6, v6, v7
	v_add_u32_e32 v8, v8, v9
	v_and_b32_e32 v6, 1, v6
	ds_write2_b32 v1, v8, v6 offset0:6 offset1:7
.LBB104_162:
	s_or_b64 exec, exec, s[8:9]
	v_cmp_gt_u32_e64 s[6:7], 31, v0
	s_waitcnt lgkmcnt(0)
	s_barrier
	s_and_saveexec_b64 s[8:9], s[6:7]
	s_cbranch_execz .LBB104_164
; %bb.163:
	v_lshl_add_u32 v1, v5, 3, s10
	ds_read_u8 v5, v1 offset:12
	v_add_u32_e32 v6, -8, v1
	ds_read_b32 v7, v6
	ds_read_b32 v8, v1 offset:8
	ds_read_u8 v6, v6 offset:4
	s_waitcnt lgkmcnt(3)
	v_and_b32_e32 v9, 1, v5
	v_cmp_eq_u32_e64 s[6:7], 1, v9
	s_waitcnt lgkmcnt(2)
	v_cndmask_b32_e64 v7, v7, 0, s[6:7]
	s_waitcnt lgkmcnt(0)
	v_or_b32_e32 v5, v6, v5
	v_add_u32_e32 v7, v7, v8
	v_and_b32_e32 v5, 1, v5
	ds_write2_b32 v1, v7, v5 offset0:2 offset1:3
.LBB104_164:
	s_or_b64 exec, exec, s[8:9]
	s_waitcnt lgkmcnt(0)
	s_barrier
	s_and_saveexec_b64 s[6:7], s[2:3]
	s_cbranch_execz .LBB104_166
; %bb.165:
	ds_read_u8 v1, v3 offset:20
	ds_read_u8 v5, v3 offset:12
	ds_read2_b32 v[6:7], v3 offset0:2 offset1:4
	s_waitcnt lgkmcnt(2)
	v_and_b32_e32 v8, 1, v1
	v_cmp_eq_u32_e64 s[2:3], 1, v8
	s_waitcnt lgkmcnt(1)
	v_or_b32_e32 v1, v5, v1
	s_waitcnt lgkmcnt(0)
	v_cndmask_b32_e64 v5, v6, 0, s[2:3]
	v_add_u32_e32 v5, v5, v7
	v_and_b32_e32 v1, 1, v1
	ds_write2_b32 v3, v5, v1 offset0:4 offset1:5
.LBB104_166:
	s_or_b64 exec, exec, s[6:7]
	s_waitcnt lgkmcnt(0)
	s_barrier
	ds_read_b32 v1, v4 offset:256
	ds_read_b32 v3, v3 offset:8
	v_cmp_gt_u32_e64 s[2:3], s16, v2
	v_or_b32_e32 v4, 1, v2
	v_cmp_gt_u32_e64 s[6:7], s16, v4
	s_waitcnt lgkmcnt(1)
	v_cndmask_b32_e64 v5, 0, v1, s[2:3]
	v_mbcnt_lo_u32_b32 v1, -1, 0
	v_mbcnt_hi_u32_b32 v12, -1, v1
	v_and_b32_e32 v13, 63, v12
	v_cmp_gt_u32_e64 s[8:9], 32, v13
	v_cndmask_b32_e64 v1, 0, 1, s[8:9]
	s_waitcnt lgkmcnt(0)
	v_cndmask_b32_e64 v3, 0, v3, s[6:7]
	v_lshlrev_b32_e32 v1, 5, v1
	v_cndmask_b32_e64 v6, 0, v2, s[2:3]
	v_max_u32_e32 v7, v3, v5
	v_add_lshl_u32 v1, v1, v12, 2
	v_cndmask_b32_e64 v8, 0, v4, s[6:7]
	v_cmp_gt_u32_e64 s[8:9], v3, v5
	ds_bpermute_b32 v9, v1, v7
	v_cndmask_b32_e64 v3, v6, v8, s[8:9]
	ds_bpermute_b32 v5, v1, v3
	v_cmp_gt_u32_e64 s[8:9], 48, v13
	v_cndmask_b32_e64 v8, 0, 1, s[8:9]
	v_lshlrev_b32_e32 v8, 4, v8
	s_waitcnt lgkmcnt(1)
	v_max_u32_e32 v6, v9, v7
	v_add_lshl_u32 v8, v8, v12, 2
	v_cmp_gt_u32_e64 s[8:9], v9, v7
	ds_bpermute_b32 v10, v8, v6
	s_waitcnt lgkmcnt(1)
	v_cndmask_b32_e64 v3, v3, v5, s[8:9]
	ds_bpermute_b32 v5, v8, v3
	v_cmp_gt_u32_e64 s[8:9], 56, v13
	v_cndmask_b32_e64 v9, 0, 1, s[8:9]
	v_lshlrev_b32_e32 v9, 3, v9
	s_waitcnt lgkmcnt(1)
	v_max_u32_e32 v7, v10, v6
	v_add_lshl_u32 v9, v9, v12, 2
	v_cmp_gt_u32_e64 s[8:9], v10, v6
	ds_bpermute_b32 v11, v9, v7
	s_waitcnt lgkmcnt(1)
	;; [unrolled: 11-line block ×4, first 2 shown]
	v_cndmask_b32_e64 v5, v3, v5, s[8:9]
	ds_bpermute_b32 v6, v11, v5
	s_waitcnt lgkmcnt(0)
	s_barrier
	v_cmp_gt_u32_e64 s[8:9], v16, v7
	v_max_u32_e32 v3, v16, v7
	v_cndmask_b32_e64 v5, v5, v6, s[8:9]
	v_cmp_ne_u32_e64 s[8:9], 63, v13
	v_addc_co_u32_e64 v6, s[8:9], 0, v12, s[8:9]
	v_lshlrev_b32_e32 v12, 2, v6
	ds_bpermute_b32 v6, v12, v5
	ds_bpermute_b32 v7, v12, v3
	v_cmp_eq_u32_e64 s[8:9], 0, v14
	s_waitcnt lgkmcnt(0)
	s_barrier
	s_and_saveexec_b64 s[12:13], s[8:9]
	s_cbranch_execz .LBB104_168
; %bb.167:
	v_lshrrev_b32_e32 v13, 3, v0
	v_cmp_gt_u32_e64 s[10:11], v7, v3
	v_add_u32_e32 v13, 2, v13
	v_cndmask_b32_e64 v5, v5, v6, s[10:11]
	v_max_u32_e32 v3, v7, v3
	ds_write2_b32 v13, v3, v5 offset0:64 offset1:65
.LBB104_168:
	s_or_b64 exec, exec, s[12:13]
	s_lshr_b32 s10, s20, 6
	v_cmp_gt_u32_e64 s[10:11], s10, v0
	v_lshl_add_u32 v13, v14, 3, 2
	v_mov_b32_e32 v3, 0
	v_mov_b32_e32 v5, 0
	s_waitcnt lgkmcnt(0)
	s_barrier
	s_and_saveexec_b64 s[12:13], s[10:11]
	s_cbranch_execnz .LBB104_213
; %bb.169:
	s_or_b64 exec, exec, s[12:13]
	s_and_saveexec_b64 s[12:13], s[10:11]
	s_cbranch_execnz .LBB104_214
.LBB104_170:
	s_or_b64 exec, exec, s[12:13]
	s_and_saveexec_b64 s[20:21], s[0:1]
	s_cbranch_execnz .LBB104_215
.LBB104_171:
	s_or_b64 exec, exec, s[20:21]
	s_and_saveexec_b64 s[12:13], vcc
	s_cbranch_execz .LBB104_173
.LBB104_172:
	s_waitcnt lgkmcnt(0)
	v_lshl_add_u32 v3, v3, 1, 2
	ds_read_u16 v3, v3
	v_mov_b32_e32 v5, 0
	s_waitcnt lgkmcnt(0)
	ds_write_b16 v5, v3
.LBB104_173:
	s_or_b64 exec, exec, s[12:13]
	s_mov_b32 s20, 0
	s_waitcnt lgkmcnt(0)
	v_mov_b32_e32 v3, 0
	s_mov_b32 s21, s20
	v_cmp_gt_i64_e64 s[12:13], s[16:17], v[2:3]
	v_pk_mov_b32 v[6:7], s[20:21], s[20:21] op_sel:[0,1]
	s_barrier
	s_and_saveexec_b64 s[20:21], s[12:13]
	s_cbranch_execz .LBB104_175
; %bb.174:
	v_add_u32_e32 v6, s15, v2
	v_mov_b32_e32 v7, v3
	v_lshlrev_b64 v[6:7], 1, v[6:7]
	v_mov_b32_e32 v5, s19
	v_add_co_u32_e64 v6, s[12:13], s18, v6
	v_addc_co_u32_e64 v7, s[12:13], v5, v7, s[12:13]
	global_load_ushort v5, v[6:7], off
	ds_read_u16 v6, v3
	s_waitcnt vmcnt(0) lgkmcnt(0)
	v_cmp_eq_f16_e64 s[12:13], v5, v6
	v_cndmask_b32_e64 v2, 0, v2, s[12:13]
	v_pk_mov_b32 v[6:7], v[2:3], v[2:3] op_sel:[0,1]
.LBB104_175:
	s_or_b64 exec, exec, s[20:21]
	v_mov_b32_e32 v5, v3
	v_cmp_gt_i64_e64 s[12:13], s[16:17], v[4:5]
	s_and_saveexec_b64 s[16:17], s[12:13]
	s_cbranch_execz .LBB104_177
; %bb.176:
	v_add_u32_e32 v2, s15, v4
	v_mov_b32_e32 v3, 0
	v_lshlrev_b64 v[16:17], 1, v[2:3]
	v_mov_b32_e32 v2, s19
	v_add_co_u32_e64 v16, s[12:13], s18, v16
	v_addc_co_u32_e64 v17, s[12:13], v2, v17, s[12:13]
	global_load_ushort v2, v[16:17], off
	ds_read_u16 v3, v3
	s_waitcnt vmcnt(0) lgkmcnt(0)
	v_cmp_eq_f16_e64 s[12:13], v2, v3
	v_cndmask_b32_e64 v7, 0, v4, s[12:13]
.LBB104_177:
	s_or_b64 exec, exec, s[16:17]
	v_cndmask_b32_e64 v2, 0, v6, s[2:3]
	v_cndmask_b32_e64 v3, 0, v7, s[6:7]
	v_max_u32_e32 v2, v3, v2
	ds_bpermute_b32 v3, v1, v2
	s_waitcnt lgkmcnt(0)
	s_barrier
	v_max_u32_e32 v2, v3, v2
	ds_bpermute_b32 v3, v8, v2
	s_waitcnt lgkmcnt(0)
	v_max_u32_e32 v2, v3, v2
	ds_bpermute_b32 v3, v9, v2
	s_waitcnt lgkmcnt(0)
	;; [unrolled: 3-line block ×4, first 2 shown]
	v_max_u32_e32 v2, v3, v2
	ds_bpermute_b32 v3, v12, v2
	s_and_saveexec_b64 s[2:3], s[8:9]
	s_cbranch_execz .LBB104_179
; %bb.178:
	v_lshrrev_b32_e32 v0, 4, v0
	v_add_u32_e32 v0, 2, v0
	s_waitcnt lgkmcnt(0)
	v_max_u32_e32 v2, v3, v2
	ds_write_b32 v0, v2
.LBB104_179:
	s_or_b64 exec, exec, s[2:3]
	v_mov_b32_e32 v0, 0
	s_waitcnt lgkmcnt(0)
	s_barrier
	s_and_saveexec_b64 s[2:3], s[10:11]
	s_cbranch_execnz .LBB104_216
; %bb.180:
	s_or_b64 exec, exec, s[2:3]
	s_and_saveexec_b64 s[2:3], s[0:1]
	s_cbranch_execnz .LBB104_217
.LBB104_181:
	s_or_b64 exec, exec, s[2:3]
	s_and_saveexec_b64 s[0:1], vcc
	s_cbranch_execnz .LBB104_218
.LBB104_182:
	s_endpgm
.LBB104_183:
	ds_read_u8 v10, v4 offset:256
	s_andn2_b64 s[0:1], s[0:1], exec
	s_mov_b32 s6, 1
	s_waitcnt lgkmcnt(0)
	v_and_b32_e32 v10, 1, v10
	v_cmp_eq_u32_e32 vcc, 1, v10
	s_xor_b64 s[8:9], vcc, -1
	s_and_b64 s[8:9], s[8:9], exec
	s_or_b64 s[0:1], s[0:1], s[8:9]
	s_or_b64 exec, exec, s[2:3]
	v_mov_b32_e32 v10, s6
	s_and_saveexec_b64 s[2:3], s[0:1]
	s_cbranch_execz .LBB104_19
.LBB104_184:
	ds_read_u8 v10, v1 offset:257
	s_waitcnt lgkmcnt(0)
	v_xor_b32_e32 v10, 1, v10
	s_or_b64 exec, exec, s[2:3]
	v_cmp_eq_u32_e32 vcc, v10, v8
	s_and_saveexec_b64 s[0:1], vcc
	s_cbranch_execnz .LBB104_20
	s_branch .LBB104_21
.LBB104_185:
	ds_read_u8 v14, v5 offset:256
	s_andn2_b64 s[0:1], s[0:1], exec
	s_mov_b32 s6, 1
	s_waitcnt lgkmcnt(0)
	v_and_b32_e32 v14, 1, v14
	v_cmp_eq_u32_e32 vcc, 1, v14
	s_xor_b64 s[8:9], vcc, -1
	s_and_b64 s[8:9], s[8:9], exec
	s_or_b64 s[0:1], s[0:1], s[8:9]
	s_or_b64 exec, exec, s[2:3]
	v_mov_b32_e32 v14, s6
	s_and_saveexec_b64 s[2:3], s[0:1]
	s_cbranch_execz .LBB104_29
.LBB104_186:
	ds_read_u8 v14, v5 offset:258
	s_waitcnt lgkmcnt(0)
	v_xor_b32_e32 v14, 1, v14
	s_or_b64 exec, exec, s[2:3]
	v_cmp_eq_u32_e32 vcc, v14, v11
	s_and_saveexec_b64 s[0:1], vcc
	s_cbranch_execnz .LBB104_30
	s_branch .LBB104_31
.LBB104_187:
	ds_read_u8 v13, v4 offset:256
	s_andn2_b64 s[0:1], s[0:1], exec
	s_mov_b32 s6, 1
	s_waitcnt lgkmcnt(0)
	v_and_b32_e32 v13, 1, v13
	v_cmp_eq_u32_e32 vcc, 1, v13
	s_xor_b64 s[8:9], vcc, -1
	s_and_b64 s[8:9], s[8:9], exec
	s_or_b64 s[0:1], s[0:1], s[8:9]
	s_or_b64 exec, exec, s[2:3]
	v_mov_b32_e32 v13, s6
	s_and_saveexec_b64 s[2:3], s[0:1]
	s_cbranch_execz .LBB104_33
.LBB104_188:
	ds_read_u8 v13, v1 offset:257
	s_waitcnt lgkmcnt(0)
	v_xor_b32_e32 v13, 1, v13
	s_or_b64 exec, exec, s[2:3]
	v_cmp_eq_u32_e32 vcc, v13, v11
	s_and_saveexec_b64 s[0:1], vcc
	s_cbranch_execnz .LBB104_34
	s_branch .LBB104_35
.LBB104_189:
	ds_read_u8 v17, v8 offset:256
	s_andn2_b64 s[0:1], s[0:1], exec
	s_mov_b32 s6, 1
	s_waitcnt lgkmcnt(0)
	v_and_b32_e32 v17, 1, v17
	v_cmp_eq_u32_e32 vcc, 1, v17
	s_xor_b64 s[8:9], vcc, -1
	s_and_b64 s[8:9], s[8:9], exec
	s_or_b64 s[0:1], s[0:1], s[8:9]
	s_or_b64 exec, exec, s[2:3]
	v_mov_b32_e32 v17, s6
	s_and_saveexec_b64 s[2:3], s[0:1]
	s_cbranch_execz .LBB104_43
.LBB104_190:
	ds_read_u8 v17, v8 offset:260
	s_waitcnt lgkmcnt(0)
	v_xor_b32_e32 v17, 1, v17
	s_or_b64 exec, exec, s[2:3]
	v_cmp_eq_u32_e32 vcc, v17, v14
	s_and_saveexec_b64 s[0:1], vcc
	s_cbranch_execnz .LBB104_44
	s_branch .LBB104_45
.LBB104_191:
	ds_read_u8 v17, v5 offset:256
	s_andn2_b64 s[0:1], s[0:1], exec
	s_mov_b32 s6, 1
	s_waitcnt lgkmcnt(0)
	v_and_b32_e32 v17, 1, v17
	v_cmp_eq_u32_e32 vcc, 1, v17
	s_xor_b64 s[8:9], vcc, -1
	s_and_b64 s[8:9], s[8:9], exec
	s_or_b64 s[0:1], s[0:1], s[8:9]
	s_or_b64 exec, exec, s[2:3]
	v_mov_b32_e32 v17, s6
	s_and_saveexec_b64 s[2:3], s[0:1]
	s_cbranch_execz .LBB104_47
.LBB104_192:
	ds_read_u8 v17, v5 offset:258
	s_waitcnt lgkmcnt(0)
	v_xor_b32_e32 v17, 1, v17
	s_or_b64 exec, exec, s[2:3]
	v_cmp_eq_u32_e32 vcc, v17, v14
	s_and_saveexec_b64 s[0:1], vcc
	s_cbranch_execnz .LBB104_48
	s_branch .LBB104_49
.LBB104_193:
	ds_read_u8 v16, v4 offset:256
	s_andn2_b64 s[0:1], s[0:1], exec
	s_mov_b32 s6, 1
	s_waitcnt lgkmcnt(0)
	v_and_b32_e32 v16, 1, v16
	v_cmp_eq_u32_e32 vcc, 1, v16
	s_xor_b64 s[8:9], vcc, -1
	s_and_b64 s[8:9], s[8:9], exec
	s_or_b64 s[0:1], s[0:1], s[8:9]
	s_or_b64 exec, exec, s[2:3]
	v_mov_b32_e32 v16, s6
	s_and_saveexec_b64 s[2:3], s[0:1]
	s_cbranch_execz .LBB104_51
.LBB104_194:
	ds_read_u8 v16, v1 offset:257
	s_waitcnt lgkmcnt(0)
	v_xor_b32_e32 v16, 1, v16
	s_or_b64 exec, exec, s[2:3]
	v_cmp_eq_u32_e32 vcc, v16, v14
	s_and_saveexec_b64 s[0:1], vcc
	s_cbranch_execnz .LBB104_52
	s_branch .LBB104_53
.LBB104_195:
	ds_read_u8 v20, v11 offset:256
	s_andn2_b64 s[0:1], s[0:1], exec
	s_mov_b32 s6, 1
	s_waitcnt lgkmcnt(0)
	v_and_b32_e32 v20, 1, v20
	v_cmp_eq_u32_e32 vcc, 1, v20
	s_xor_b64 s[8:9], vcc, -1
	s_and_b64 s[8:9], s[8:9], exec
	s_or_b64 s[0:1], s[0:1], s[8:9]
	s_or_b64 exec, exec, s[2:3]
	v_mov_b32_e32 v20, s6
	s_and_saveexec_b64 s[2:3], s[0:1]
	s_cbranch_execz .LBB104_61
.LBB104_196:
	ds_read_u8 v20, v11 offset:264
	s_waitcnt lgkmcnt(0)
	v_xor_b32_e32 v20, 1, v20
	s_or_b64 exec, exec, s[2:3]
	v_cmp_eq_u32_e32 vcc, v20, v14
	s_and_saveexec_b64 s[0:1], vcc
	s_cbranch_execnz .LBB104_62
	s_branch .LBB104_63
.LBB104_197:
	ds_read_u8 v20, v8 offset:256
	s_andn2_b64 s[0:1], s[0:1], exec
	s_mov_b32 s6, 1
	s_waitcnt lgkmcnt(0)
	v_and_b32_e32 v20, 1, v20
	v_cmp_eq_u32_e32 vcc, 1, v20
	s_xor_b64 s[8:9], vcc, -1
	s_and_b64 s[8:9], s[8:9], exec
	s_or_b64 s[0:1], s[0:1], s[8:9]
	s_or_b64 exec, exec, s[2:3]
	v_mov_b32_e32 v20, s6
	s_and_saveexec_b64 s[2:3], s[0:1]
	s_cbranch_execz .LBB104_65
.LBB104_198:
	ds_read_u8 v20, v8 offset:260
	s_waitcnt lgkmcnt(0)
	v_xor_b32_e32 v20, 1, v20
	s_or_b64 exec, exec, s[2:3]
	v_cmp_eq_u32_e32 vcc, v20, v14
	s_and_saveexec_b64 s[0:1], vcc
	s_cbranch_execnz .LBB104_66
	s_branch .LBB104_67
.LBB104_199:
	ds_read_u8 v20, v5 offset:256
	s_andn2_b64 s[0:1], s[0:1], exec
	s_mov_b32 s6, 1
	s_waitcnt lgkmcnt(0)
	v_and_b32_e32 v20, 1, v20
	v_cmp_eq_u32_e32 vcc, 1, v20
	s_xor_b64 s[8:9], vcc, -1
	s_and_b64 s[8:9], s[8:9], exec
	s_or_b64 s[0:1], s[0:1], s[8:9]
	s_or_b64 exec, exec, s[2:3]
	v_mov_b32_e32 v20, s6
	s_and_saveexec_b64 s[2:3], s[0:1]
	s_cbranch_execz .LBB104_69
.LBB104_200:
	ds_read_u8 v20, v5 offset:258
	s_waitcnt lgkmcnt(0)
	v_xor_b32_e32 v20, 1, v20
	s_or_b64 exec, exec, s[2:3]
	v_cmp_eq_u32_e32 vcc, v20, v14
	s_and_saveexec_b64 s[0:1], vcc
	s_cbranch_execnz .LBB104_70
	s_branch .LBB104_71
.LBB104_201:
	ds_read_u8 v19, v4 offset:256
	s_andn2_b64 s[0:1], s[0:1], exec
	s_mov_b32 s6, 1
	s_waitcnt lgkmcnt(0)
	v_and_b32_e32 v19, 1, v19
	v_cmp_eq_u32_e32 vcc, 1, v19
	s_xor_b64 s[8:9], vcc, -1
	s_and_b64 s[8:9], s[8:9], exec
	s_or_b64 s[0:1], s[0:1], s[8:9]
	s_or_b64 exec, exec, s[2:3]
	v_mov_b32_e32 v19, s6
	s_and_saveexec_b64 s[2:3], s[0:1]
	s_cbranch_execz .LBB104_73
.LBB104_202:
	ds_read_u8 v19, v1 offset:257
	s_waitcnt lgkmcnt(0)
	v_xor_b32_e32 v19, 1, v19
	s_or_b64 exec, exec, s[2:3]
	v_cmp_eq_u32_e32 vcc, v19, v14
	s_and_saveexec_b64 s[0:1], vcc
	s_cbranch_execnz .LBB104_74
	s_branch .LBB104_75
.LBB104_203:
	ds_read_u8 v23, v15 offset:256
	s_andn2_b64 s[0:1], s[0:1], exec
	s_mov_b32 s6, 1
	s_waitcnt lgkmcnt(0)
	v_and_b32_e32 v23, 1, v23
	v_cmp_eq_u32_e32 vcc, 1, v23
	s_xor_b64 s[8:9], vcc, -1
	s_and_b64 s[8:9], s[8:9], exec
	s_or_b64 s[0:1], s[0:1], s[8:9]
	s_or_b64 exec, exec, s[2:3]
	v_mov_b32_e32 v23, s6
	s_and_saveexec_b64 s[2:3], s[0:1]
	s_cbranch_execz .LBB104_83
.LBB104_204:
	ds_read_u8 v23, v15 offset:272
	s_waitcnt lgkmcnt(0)
	v_xor_b32_e32 v23, 1, v23
	s_or_b64 exec, exec, s[2:3]
	v_cmp_eq_u32_e32 vcc, v23, v14
	s_and_saveexec_b64 s[0:1], vcc
	s_cbranch_execnz .LBB104_84
	s_branch .LBB104_85
.LBB104_205:
	ds_read_u8 v23, v11 offset:256
	s_andn2_b64 s[0:1], s[0:1], exec
	s_mov_b32 s6, 1
	s_waitcnt lgkmcnt(0)
	v_and_b32_e32 v23, 1, v23
	v_cmp_eq_u32_e32 vcc, 1, v23
	s_xor_b64 s[8:9], vcc, -1
	s_and_b64 s[8:9], s[8:9], exec
	s_or_b64 s[0:1], s[0:1], s[8:9]
	s_or_b64 exec, exec, s[2:3]
	v_mov_b32_e32 v23, s6
	s_and_saveexec_b64 s[2:3], s[0:1]
	s_cbranch_execz .LBB104_87
.LBB104_206:
	ds_read_u8 v23, v11 offset:264
	s_waitcnt lgkmcnt(0)
	v_xor_b32_e32 v23, 1, v23
	s_or_b64 exec, exec, s[2:3]
	v_cmp_eq_u32_e32 vcc, v23, v14
	s_and_saveexec_b64 s[0:1], vcc
	s_cbranch_execnz .LBB104_88
	s_branch .LBB104_89
.LBB104_207:
	ds_read_u8 v23, v8 offset:256
	s_andn2_b64 s[0:1], s[0:1], exec
	s_mov_b32 s6, 1
	s_waitcnt lgkmcnt(0)
	v_and_b32_e32 v23, 1, v23
	v_cmp_eq_u32_e32 vcc, 1, v23
	s_xor_b64 s[8:9], vcc, -1
	s_and_b64 s[8:9], s[8:9], exec
	s_or_b64 s[0:1], s[0:1], s[8:9]
	s_or_b64 exec, exec, s[2:3]
	v_mov_b32_e32 v23, s6
	s_and_saveexec_b64 s[2:3], s[0:1]
	s_cbranch_execz .LBB104_91
.LBB104_208:
	ds_read_u8 v23, v8 offset:260
	s_waitcnt lgkmcnt(0)
	v_xor_b32_e32 v23, 1, v23
	s_or_b64 exec, exec, s[2:3]
	v_cmp_eq_u32_e32 vcc, v23, v14
	s_and_saveexec_b64 s[0:1], vcc
	s_cbranch_execnz .LBB104_92
	s_branch .LBB104_93
.LBB104_209:
	ds_read_u8 v23, v5 offset:256
	s_andn2_b64 s[0:1], s[0:1], exec
	s_mov_b32 s6, 1
	s_waitcnt lgkmcnt(0)
	v_and_b32_e32 v23, 1, v23
	v_cmp_eq_u32_e32 vcc, 1, v23
	s_xor_b64 s[8:9], vcc, -1
	s_and_b64 s[8:9], s[8:9], exec
	s_or_b64 s[0:1], s[0:1], s[8:9]
	s_or_b64 exec, exec, s[2:3]
	v_mov_b32_e32 v23, s6
	s_and_saveexec_b64 s[2:3], s[0:1]
	s_cbranch_execz .LBB104_95
.LBB104_210:
	ds_read_u8 v23, v5 offset:258
	s_waitcnt lgkmcnt(0)
	v_xor_b32_e32 v23, 1, v23
	s_or_b64 exec, exec, s[2:3]
	v_cmp_eq_u32_e32 vcc, v23, v14
	s_and_saveexec_b64 s[0:1], vcc
	s_cbranch_execnz .LBB104_96
	s_branch .LBB104_97
.LBB104_211:
	ds_read_u8 v22, v4 offset:256
	s_andn2_b64 s[0:1], s[0:1], exec
	s_mov_b32 s6, 1
	s_waitcnt lgkmcnt(0)
	v_and_b32_e32 v22, 1, v22
	v_cmp_eq_u32_e32 vcc, 1, v22
	s_xor_b64 s[8:9], vcc, -1
	s_and_b64 s[8:9], s[8:9], exec
	s_or_b64 s[0:1], s[0:1], s[8:9]
	s_or_b64 exec, exec, s[2:3]
	v_mov_b32_e32 v22, s6
	s_and_saveexec_b64 s[2:3], s[0:1]
	s_cbranch_execz .LBB104_99
.LBB104_212:
	ds_read_u8 v22, v1 offset:257
	s_waitcnt lgkmcnt(0)
	v_xor_b32_e32 v22, 1, v22
	s_or_b64 exec, exec, s[2:3]
	v_cmp_eq_u32_e32 vcc, v22, v14
	s_and_saveexec_b64 s[0:1], vcc
	s_cbranch_execnz .LBB104_100
	s_branch .LBB104_101
.LBB104_213:
	ds_read_b32 v5, v13 offset:256
	s_or_b64 exec, exec, s[12:13]
	s_and_saveexec_b64 s[12:13], s[10:11]
	s_cbranch_execz .LBB104_170
.LBB104_214:
	ds_read_b32 v3, v13 offset:260
	s_or_b64 exec, exec, s[12:13]
	s_and_saveexec_b64 s[20:21], s[0:1]
	s_cbranch_execz .LBB104_171
.LBB104_215:
	s_waitcnt lgkmcnt(0)
	ds_bpermute_b32 v6, v1, v5
	ds_bpermute_b32 v7, v1, v3
	s_waitcnt lgkmcnt(1)
	v_max_u32_e32 v15, v6, v5
	v_cmp_gt_u32_e64 s[12:13], v6, v5
	ds_bpermute_b32 v16, v8, v15
	s_waitcnt lgkmcnt(1)
	v_cndmask_b32_e64 v3, v3, v7, s[12:13]
	ds_bpermute_b32 v5, v8, v3
	s_waitcnt lgkmcnt(1)
	v_max_u32_e32 v6, v16, v15
	v_cmp_gt_u32_e64 s[12:13], v16, v15
	ds_bpermute_b32 v7, v9, v6
	s_waitcnt lgkmcnt(1)
	v_cndmask_b32_e64 v3, v3, v5, s[12:13]
	;; [unrolled: 7-line block ×4, first 2 shown]
	ds_bpermute_b32 v5, v11, v3
	s_waitcnt lgkmcnt(1)
	v_max_u32_e32 v15, v7, v6
	v_cmp_gt_u32_e64 s[12:13], v7, v6
	s_waitcnt lgkmcnt(0)
	v_cndmask_b32_e64 v3, v3, v5, s[12:13]
	ds_bpermute_b32 v5, v12, v15
	ds_bpermute_b32 v6, v12, v3
	s_waitcnt lgkmcnt(1)
	v_cmp_gt_u32_e64 s[12:13], v5, v15
	s_waitcnt lgkmcnt(0)
	v_cndmask_b32_e64 v3, v3, v6, s[12:13]
	s_or_b64 exec, exec, s[20:21]
	s_and_saveexec_b64 s[12:13], vcc
	s_cbranch_execnz .LBB104_172
	s_branch .LBB104_173
.LBB104_216:
	v_lshlrev_b32_e32 v0, 2, v14
	v_sub_u32_e32 v0, v13, v0
	ds_read_b32 v0, v0
	s_or_b64 exec, exec, s[2:3]
	s_and_saveexec_b64 s[2:3], s[0:1]
	s_cbranch_execz .LBB104_181
.LBB104_217:
	s_waitcnt lgkmcnt(0)
	ds_bpermute_b32 v1, v1, v0
	s_waitcnt lgkmcnt(0)
	v_max_u32_e32 v0, v1, v0
	ds_bpermute_b32 v1, v8, v0
	s_waitcnt lgkmcnt(0)
	v_max_u32_e32 v0, v1, v0
	;; [unrolled: 3-line block ×6, first 2 shown]
	s_or_b64 exec, exec, s[2:3]
	s_and_saveexec_b64 s[0:1], vcc
	s_cbranch_execz .LBB104_182
.LBB104_218:
	s_load_dword s2, s[4:5], 0xd8
	s_load_dwordx2 s[0:1], s[4:5], 0xe0
	s_add_u32 s4, s4, 8
	s_addc_u32 s5, s5, 0
	s_mov_b32 s3, 0
	s_waitcnt lgkmcnt(0)
	s_cmp_lt_i32 s2, 2
	s_cbranch_scc1 .LBB104_221
; %bb.219:
	s_add_i32 s8, s2, 1
	s_add_i32 s2, s2, -1
	s_lshl_b64 s[6:7], s[2:3], 2
	s_add_u32 s2, s6, s4
	s_addc_u32 s7, s7, s5
	s_add_u32 s6, s2, 8
	s_addc_u32 s7, s7, 0
.LBB104_220:                            ; =>This Inner Loop Header: Depth=1
	s_load_dword s2, s[6:7], 0x0
	s_load_dword s10, s[6:7], 0x64
	s_mov_b32 s9, s14
	s_waitcnt lgkmcnt(0)
	v_cvt_f32_u32_e32 v1, s2
	s_sub_i32 s11, 0, s2
	v_rcp_iflag_f32_e32 v1, v1
	v_mul_f32_e32 v1, 0x4f7ffffe, v1
	v_cvt_u32_f32_e32 v1, v1
	v_readfirstlane_b32 s12, v1
	s_mul_i32 s11, s11, s12
	s_mul_hi_u32 s11, s12, s11
	s_add_i32 s12, s12, s11
	s_mul_hi_u32 s11, s14, s12
	s_mul_i32 s12, s11, s2
	s_sub_i32 s12, s14, s12
	s_add_i32 s13, s11, 1
	s_sub_i32 s14, s12, s2
	s_cmp_ge_u32 s12, s2
	s_cselect_b32 s11, s13, s11
	s_cselect_b32 s12, s14, s12
	s_add_i32 s13, s11, 1
	s_cmp_ge_u32 s12, s2
	s_cselect_b32 s14, s13, s11
	s_mul_i32 s2, s14, s2
	s_sub_i32 s2, s9, s2
	s_mul_i32 s2, s10, s2
	s_add_i32 s8, s8, -1
	s_add_i32 s3, s2, s3
	s_add_u32 s6, s6, -4
	s_addc_u32 s7, s7, -1
	s_cmp_gt_u32 s8, 2
	s_cbranch_scc1 .LBB104_220
.LBB104_221:
	s_load_dword s2, s[4:5], 0x6c
	v_mov_b32_e32 v1, 0
	s_load_dwordx2 s[4:5], s[4:5], 0x0
	ds_read_u16 v2, v1
	s_mov_b32 s7, 0
	s_waitcnt lgkmcnt(0)
	s_mul_i32 s2, s2, s14
	s_add_i32 s6, s2, s3
	s_lshl_b64 s[2:3], s[6:7], 1
	s_add_u32 s2, s4, s2
	s_addc_u32 s3, s5, s3
	global_store_short v1, v2, s[2:3]
	s_lshl_b64 s[2:3], s[6:7], 3
	s_add_u32 s0, s0, s2
	s_addc_u32 s1, s1, s3
	global_store_dwordx2 v1, v[0:1], s[0:1]
	s_endpgm
	.section	.rodata,"a",@progbits
	.p2align	6, 0x0
	.amdhsa_kernel _ZN2at6native12compute_modeIN3c104HalfELj128EEEvPKT_NS_4cuda6detail10TensorInfoIS4_jEENS9_IljEEll
		.amdhsa_group_segment_fixed_size 2
		.amdhsa_private_segment_fixed_size 0
		.amdhsa_kernarg_size 712
		.amdhsa_user_sgpr_count 6
		.amdhsa_user_sgpr_private_segment_buffer 1
		.amdhsa_user_sgpr_dispatch_ptr 0
		.amdhsa_user_sgpr_queue_ptr 0
		.amdhsa_user_sgpr_kernarg_segment_ptr 1
		.amdhsa_user_sgpr_dispatch_id 0
		.amdhsa_user_sgpr_flat_scratch_init 0
		.amdhsa_user_sgpr_kernarg_preload_length 0
		.amdhsa_user_sgpr_kernarg_preload_offset 0
		.amdhsa_user_sgpr_private_segment_size 0
		.amdhsa_uses_dynamic_stack 0
		.amdhsa_system_sgpr_private_segment_wavefront_offset 0
		.amdhsa_system_sgpr_workgroup_id_x 1
		.amdhsa_system_sgpr_workgroup_id_y 1
		.amdhsa_system_sgpr_workgroup_id_z 1
		.amdhsa_system_sgpr_workgroup_info 0
		.amdhsa_system_vgpr_workitem_id 0
		.amdhsa_next_free_vgpr 28
		.amdhsa_next_free_sgpr 22
		.amdhsa_accum_offset 28
		.amdhsa_reserve_vcc 1
		.amdhsa_reserve_flat_scratch 0
		.amdhsa_float_round_mode_32 0
		.amdhsa_float_round_mode_16_64 0
		.amdhsa_float_denorm_mode_32 3
		.amdhsa_float_denorm_mode_16_64 3
		.amdhsa_dx10_clamp 1
		.amdhsa_ieee_mode 1
		.amdhsa_fp16_overflow 0
		.amdhsa_tg_split 0
		.amdhsa_exception_fp_ieee_invalid_op 0
		.amdhsa_exception_fp_denorm_src 0
		.amdhsa_exception_fp_ieee_div_zero 0
		.amdhsa_exception_fp_ieee_overflow 0
		.amdhsa_exception_fp_ieee_underflow 0
		.amdhsa_exception_fp_ieee_inexact 0
		.amdhsa_exception_int_div_zero 0
	.end_amdhsa_kernel
	.section	.text._ZN2at6native12compute_modeIN3c104HalfELj128EEEvPKT_NS_4cuda6detail10TensorInfoIS4_jEENS9_IljEEll,"axG",@progbits,_ZN2at6native12compute_modeIN3c104HalfELj128EEEvPKT_NS_4cuda6detail10TensorInfoIS4_jEENS9_IljEEll,comdat
.Lfunc_end104:
	.size	_ZN2at6native12compute_modeIN3c104HalfELj128EEEvPKT_NS_4cuda6detail10TensorInfoIS4_jEENS9_IljEEll, .Lfunc_end104-_ZN2at6native12compute_modeIN3c104HalfELj128EEEvPKT_NS_4cuda6detail10TensorInfoIS4_jEENS9_IljEEll
                                        ; -- End function
	.section	.AMDGPU.csdata,"",@progbits
; Kernel info:
; codeLenInByte = 10076
; NumSgprs: 26
; NumVgprs: 28
; NumAgprs: 0
; TotalNumVgprs: 28
; ScratchSize: 0
; MemoryBound: 0
; FloatMode: 240
; IeeeMode: 1
; LDSByteSize: 2 bytes/workgroup (compile time only)
; SGPRBlocks: 3
; VGPRBlocks: 3
; NumSGPRsForWavesPerEU: 26
; NumVGPRsForWavesPerEU: 28
; AccumOffset: 28
; Occupancy: 8
; WaveLimiterHint : 1
; COMPUTE_PGM_RSRC2:SCRATCH_EN: 0
; COMPUTE_PGM_RSRC2:USER_SGPR: 6
; COMPUTE_PGM_RSRC2:TRAP_HANDLER: 0
; COMPUTE_PGM_RSRC2:TGID_X_EN: 1
; COMPUTE_PGM_RSRC2:TGID_Y_EN: 1
; COMPUTE_PGM_RSRC2:TGID_Z_EN: 1
; COMPUTE_PGM_RSRC2:TIDIG_COMP_CNT: 0
; COMPUTE_PGM_RSRC3_GFX90A:ACCUM_OFFSET: 6
; COMPUTE_PGM_RSRC3_GFX90A:TG_SPLIT: 0
	.section	.text._ZN6thrust23THRUST_200600_302600_NS11hip_rocprim14__parallel_for6kernelILj256ENS1_11__transform17unary_transform_fINS0_17counting_iteratorIlNS0_11use_defaultES7_S7_EENS0_10device_ptrIlEENS4_14no_stencil_tagENS0_8identityIlEENS4_21always_true_predicateEEElLj1EEEvT0_T1_SH_,"axG",@progbits,_ZN6thrust23THRUST_200600_302600_NS11hip_rocprim14__parallel_for6kernelILj256ENS1_11__transform17unary_transform_fINS0_17counting_iteratorIlNS0_11use_defaultES7_S7_EENS0_10device_ptrIlEENS4_14no_stencil_tagENS0_8identityIlEENS4_21always_true_predicateEEElLj1EEEvT0_T1_SH_,comdat
	.protected	_ZN6thrust23THRUST_200600_302600_NS11hip_rocprim14__parallel_for6kernelILj256ENS1_11__transform17unary_transform_fINS0_17counting_iteratorIlNS0_11use_defaultES7_S7_EENS0_10device_ptrIlEENS4_14no_stencil_tagENS0_8identityIlEENS4_21always_true_predicateEEElLj1EEEvT0_T1_SH_ ; -- Begin function _ZN6thrust23THRUST_200600_302600_NS11hip_rocprim14__parallel_for6kernelILj256ENS1_11__transform17unary_transform_fINS0_17counting_iteratorIlNS0_11use_defaultES7_S7_EENS0_10device_ptrIlEENS4_14no_stencil_tagENS0_8identityIlEENS4_21always_true_predicateEEElLj1EEEvT0_T1_SH_
	.globl	_ZN6thrust23THRUST_200600_302600_NS11hip_rocprim14__parallel_for6kernelILj256ENS1_11__transform17unary_transform_fINS0_17counting_iteratorIlNS0_11use_defaultES7_S7_EENS0_10device_ptrIlEENS4_14no_stencil_tagENS0_8identityIlEENS4_21always_true_predicateEEElLj1EEEvT0_T1_SH_
	.p2align	8
	.type	_ZN6thrust23THRUST_200600_302600_NS11hip_rocprim14__parallel_for6kernelILj256ENS1_11__transform17unary_transform_fINS0_17counting_iteratorIlNS0_11use_defaultES7_S7_EENS0_10device_ptrIlEENS4_14no_stencil_tagENS0_8identityIlEENS4_21always_true_predicateEEElLj1EEEvT0_T1_SH_,@function
_ZN6thrust23THRUST_200600_302600_NS11hip_rocprim14__parallel_for6kernelILj256ENS1_11__transform17unary_transform_fINS0_17counting_iteratorIlNS0_11use_defaultES7_S7_EENS0_10device_ptrIlEENS4_14no_stencil_tagENS0_8identityIlEENS4_21always_true_predicateEEElLj1EEEvT0_T1_SH_: ; @_ZN6thrust23THRUST_200600_302600_NS11hip_rocprim14__parallel_for6kernelILj256ENS1_11__transform17unary_transform_fINS0_17counting_iteratorIlNS0_11use_defaultES7_S7_EENS0_10device_ptrIlEENS4_14no_stencil_tagENS0_8identityIlEENS4_21always_true_predicateEEElLj1EEEvT0_T1_SH_
; %bb.0:
	s_load_dwordx4 s[8:11], s[4:5], 0x18
	s_load_dwordx4 s[0:3], s[4:5], 0x0
	s_lshl_b32 s4, s6, 8
	v_mov_b32_e32 v2, 0x100
	v_mov_b32_e32 v3, 0
	s_waitcnt lgkmcnt(0)
	s_add_u32 s6, s4, s10
	s_addc_u32 s7, 0, s11
	s_sub_u32 s4, s8, s6
	s_subb_u32 s5, s9, s7
	v_cmp_lt_i64_e32 vcc, s[4:5], v[2:3]
	s_and_b64 s[8:9], vcc, exec
	s_cselect_b32 s8, s4, 0x100
	s_cmpk_lg_i32 s8, 0x100
	s_mov_b64 s[4:5], -1
	s_cbranch_scc1 .LBB105_3
; %bb.1:
	s_andn2_b64 vcc, exec, s[4:5]
	s_cbranch_vccz .LBB105_6
.LBB105_2:
	s_endpgm
.LBB105_3:
	v_cmp_gt_u32_e32 vcc, s8, v0
	s_and_saveexec_b64 s[4:5], vcc
	s_cbranch_execz .LBB105_5
; %bb.4:
	v_mov_b32_e32 v1, s7
	v_add_co_u32_e32 v2, vcc, s6, v0
	v_addc_co_u32_e32 v3, vcc, 0, v1, vcc
	v_lshlrev_b64 v[4:5], 3, v[2:3]
	v_mov_b32_e32 v1, s3
	v_add_co_u32_e32 v4, vcc, s2, v4
	v_addc_co_u32_e32 v5, vcc, v1, v5, vcc
	v_mov_b32_e32 v1, s1
	v_add_co_u32_e32 v2, vcc, s0, v2
	v_addc_co_u32_e32 v3, vcc, v1, v3, vcc
	flat_store_dwordx2 v[4:5], v[2:3]
.LBB105_5:
	s_or_b64 exec, exec, s[4:5]
	s_cbranch_execnz .LBB105_2
.LBB105_6:
	v_mov_b32_e32 v1, s7
	v_add_co_u32_e32 v0, vcc, s6, v0
	v_addc_co_u32_e32 v1, vcc, 0, v1, vcc
	v_mov_b32_e32 v3, s1
	v_add_co_u32_e32 v2, vcc, s0, v0
	v_addc_co_u32_e32 v3, vcc, v3, v1, vcc
	v_lshlrev_b64 v[0:1], 3, v[0:1]
	v_mov_b32_e32 v4, s3
	v_add_co_u32_e32 v0, vcc, s2, v0
	v_addc_co_u32_e32 v1, vcc, v4, v1, vcc
	flat_store_dwordx2 v[0:1], v[2:3]
	s_endpgm
	.section	.rodata,"a",@progbits
	.p2align	6, 0x0
	.amdhsa_kernel _ZN6thrust23THRUST_200600_302600_NS11hip_rocprim14__parallel_for6kernelILj256ENS1_11__transform17unary_transform_fINS0_17counting_iteratorIlNS0_11use_defaultES7_S7_EENS0_10device_ptrIlEENS4_14no_stencil_tagENS0_8identityIlEENS4_21always_true_predicateEEElLj1EEEvT0_T1_SH_
		.amdhsa_group_segment_fixed_size 0
		.amdhsa_private_segment_fixed_size 0
		.amdhsa_kernarg_size 40
		.amdhsa_user_sgpr_count 6
		.amdhsa_user_sgpr_private_segment_buffer 1
		.amdhsa_user_sgpr_dispatch_ptr 0
		.amdhsa_user_sgpr_queue_ptr 0
		.amdhsa_user_sgpr_kernarg_segment_ptr 1
		.amdhsa_user_sgpr_dispatch_id 0
		.amdhsa_user_sgpr_flat_scratch_init 0
		.amdhsa_user_sgpr_kernarg_preload_length 0
		.amdhsa_user_sgpr_kernarg_preload_offset 0
		.amdhsa_user_sgpr_private_segment_size 0
		.amdhsa_uses_dynamic_stack 0
		.amdhsa_system_sgpr_private_segment_wavefront_offset 0
		.amdhsa_system_sgpr_workgroup_id_x 1
		.amdhsa_system_sgpr_workgroup_id_y 0
		.amdhsa_system_sgpr_workgroup_id_z 0
		.amdhsa_system_sgpr_workgroup_info 0
		.amdhsa_system_vgpr_workitem_id 0
		.amdhsa_next_free_vgpr 6
		.amdhsa_next_free_sgpr 12
		.amdhsa_accum_offset 8
		.amdhsa_reserve_vcc 1
		.amdhsa_reserve_flat_scratch 0
		.amdhsa_float_round_mode_32 0
		.amdhsa_float_round_mode_16_64 0
		.amdhsa_float_denorm_mode_32 3
		.amdhsa_float_denorm_mode_16_64 3
		.amdhsa_dx10_clamp 1
		.amdhsa_ieee_mode 1
		.amdhsa_fp16_overflow 0
		.amdhsa_tg_split 0
		.amdhsa_exception_fp_ieee_invalid_op 0
		.amdhsa_exception_fp_denorm_src 0
		.amdhsa_exception_fp_ieee_div_zero 0
		.amdhsa_exception_fp_ieee_overflow 0
		.amdhsa_exception_fp_ieee_underflow 0
		.amdhsa_exception_fp_ieee_inexact 0
		.amdhsa_exception_int_div_zero 0
	.end_amdhsa_kernel
	.section	.text._ZN6thrust23THRUST_200600_302600_NS11hip_rocprim14__parallel_for6kernelILj256ENS1_11__transform17unary_transform_fINS0_17counting_iteratorIlNS0_11use_defaultES7_S7_EENS0_10device_ptrIlEENS4_14no_stencil_tagENS0_8identityIlEENS4_21always_true_predicateEEElLj1EEEvT0_T1_SH_,"axG",@progbits,_ZN6thrust23THRUST_200600_302600_NS11hip_rocprim14__parallel_for6kernelILj256ENS1_11__transform17unary_transform_fINS0_17counting_iteratorIlNS0_11use_defaultES7_S7_EENS0_10device_ptrIlEENS4_14no_stencil_tagENS0_8identityIlEENS4_21always_true_predicateEEElLj1EEEvT0_T1_SH_,comdat
.Lfunc_end105:
	.size	_ZN6thrust23THRUST_200600_302600_NS11hip_rocprim14__parallel_for6kernelILj256ENS1_11__transform17unary_transform_fINS0_17counting_iteratorIlNS0_11use_defaultES7_S7_EENS0_10device_ptrIlEENS4_14no_stencil_tagENS0_8identityIlEENS4_21always_true_predicateEEElLj1EEEvT0_T1_SH_, .Lfunc_end105-_ZN6thrust23THRUST_200600_302600_NS11hip_rocprim14__parallel_for6kernelILj256ENS1_11__transform17unary_transform_fINS0_17counting_iteratorIlNS0_11use_defaultES7_S7_EENS0_10device_ptrIlEENS4_14no_stencil_tagENS0_8identityIlEENS4_21always_true_predicateEEElLj1EEEvT0_T1_SH_
                                        ; -- End function
	.section	.AMDGPU.csdata,"",@progbits
; Kernel info:
; codeLenInByte = 220
; NumSgprs: 16
; NumVgprs: 6
; NumAgprs: 0
; TotalNumVgprs: 6
; ScratchSize: 0
; MemoryBound: 0
; FloatMode: 240
; IeeeMode: 1
; LDSByteSize: 0 bytes/workgroup (compile time only)
; SGPRBlocks: 1
; VGPRBlocks: 0
; NumSGPRsForWavesPerEU: 16
; NumVGPRsForWavesPerEU: 6
; AccumOffset: 8
; Occupancy: 8
; WaveLimiterHint : 0
; COMPUTE_PGM_RSRC2:SCRATCH_EN: 0
; COMPUTE_PGM_RSRC2:USER_SGPR: 6
; COMPUTE_PGM_RSRC2:TRAP_HANDLER: 0
; COMPUTE_PGM_RSRC2:TGID_X_EN: 1
; COMPUTE_PGM_RSRC2:TGID_Y_EN: 0
; COMPUTE_PGM_RSRC2:TGID_Z_EN: 0
; COMPUTE_PGM_RSRC2:TIDIG_COMP_CNT: 0
; COMPUTE_PGM_RSRC3_GFX90A:ACCUM_OFFSET: 1
; COMPUTE_PGM_RSRC3_GFX90A:TG_SPLIT: 0
	.section	.text._ZN7rocprim17ROCPRIM_400000_NS6detail17trampoline_kernelINS0_13kernel_configILj256ELj4ELj4294967295EEENS1_37radix_sort_block_sort_config_selectorIhlEEZNS1_21radix_sort_block_sortIS4_Lb0EPhS8_N6thrust23THRUST_200600_302600_NS10device_ptrIlEESC_NS0_19identity_decomposerEEE10hipError_tT1_T2_T3_T4_jRjT5_jjP12ihipStream_tbEUlT_E_NS1_11comp_targetILNS1_3genE0ELNS1_11target_archE4294967295ELNS1_3gpuE0ELNS1_3repE0EEENS1_44radix_sort_block_sort_config_static_selectorELNS0_4arch9wavefront6targetE1EEEvSF_,"axG",@progbits,_ZN7rocprim17ROCPRIM_400000_NS6detail17trampoline_kernelINS0_13kernel_configILj256ELj4ELj4294967295EEENS1_37radix_sort_block_sort_config_selectorIhlEEZNS1_21radix_sort_block_sortIS4_Lb0EPhS8_N6thrust23THRUST_200600_302600_NS10device_ptrIlEESC_NS0_19identity_decomposerEEE10hipError_tT1_T2_T3_T4_jRjT5_jjP12ihipStream_tbEUlT_E_NS1_11comp_targetILNS1_3genE0ELNS1_11target_archE4294967295ELNS1_3gpuE0ELNS1_3repE0EEENS1_44radix_sort_block_sort_config_static_selectorELNS0_4arch9wavefront6targetE1EEEvSF_,comdat
	.protected	_ZN7rocprim17ROCPRIM_400000_NS6detail17trampoline_kernelINS0_13kernel_configILj256ELj4ELj4294967295EEENS1_37radix_sort_block_sort_config_selectorIhlEEZNS1_21radix_sort_block_sortIS4_Lb0EPhS8_N6thrust23THRUST_200600_302600_NS10device_ptrIlEESC_NS0_19identity_decomposerEEE10hipError_tT1_T2_T3_T4_jRjT5_jjP12ihipStream_tbEUlT_E_NS1_11comp_targetILNS1_3genE0ELNS1_11target_archE4294967295ELNS1_3gpuE0ELNS1_3repE0EEENS1_44radix_sort_block_sort_config_static_selectorELNS0_4arch9wavefront6targetE1EEEvSF_ ; -- Begin function _ZN7rocprim17ROCPRIM_400000_NS6detail17trampoline_kernelINS0_13kernel_configILj256ELj4ELj4294967295EEENS1_37radix_sort_block_sort_config_selectorIhlEEZNS1_21radix_sort_block_sortIS4_Lb0EPhS8_N6thrust23THRUST_200600_302600_NS10device_ptrIlEESC_NS0_19identity_decomposerEEE10hipError_tT1_T2_T3_T4_jRjT5_jjP12ihipStream_tbEUlT_E_NS1_11comp_targetILNS1_3genE0ELNS1_11target_archE4294967295ELNS1_3gpuE0ELNS1_3repE0EEENS1_44radix_sort_block_sort_config_static_selectorELNS0_4arch9wavefront6targetE1EEEvSF_
	.globl	_ZN7rocprim17ROCPRIM_400000_NS6detail17trampoline_kernelINS0_13kernel_configILj256ELj4ELj4294967295EEENS1_37radix_sort_block_sort_config_selectorIhlEEZNS1_21radix_sort_block_sortIS4_Lb0EPhS8_N6thrust23THRUST_200600_302600_NS10device_ptrIlEESC_NS0_19identity_decomposerEEE10hipError_tT1_T2_T3_T4_jRjT5_jjP12ihipStream_tbEUlT_E_NS1_11comp_targetILNS1_3genE0ELNS1_11target_archE4294967295ELNS1_3gpuE0ELNS1_3repE0EEENS1_44radix_sort_block_sort_config_static_selectorELNS0_4arch9wavefront6targetE1EEEvSF_
	.p2align	8
	.type	_ZN7rocprim17ROCPRIM_400000_NS6detail17trampoline_kernelINS0_13kernel_configILj256ELj4ELj4294967295EEENS1_37radix_sort_block_sort_config_selectorIhlEEZNS1_21radix_sort_block_sortIS4_Lb0EPhS8_N6thrust23THRUST_200600_302600_NS10device_ptrIlEESC_NS0_19identity_decomposerEEE10hipError_tT1_T2_T3_T4_jRjT5_jjP12ihipStream_tbEUlT_E_NS1_11comp_targetILNS1_3genE0ELNS1_11target_archE4294967295ELNS1_3gpuE0ELNS1_3repE0EEENS1_44radix_sort_block_sort_config_static_selectorELNS0_4arch9wavefront6targetE1EEEvSF_,@function
_ZN7rocprim17ROCPRIM_400000_NS6detail17trampoline_kernelINS0_13kernel_configILj256ELj4ELj4294967295EEENS1_37radix_sort_block_sort_config_selectorIhlEEZNS1_21radix_sort_block_sortIS4_Lb0EPhS8_N6thrust23THRUST_200600_302600_NS10device_ptrIlEESC_NS0_19identity_decomposerEEE10hipError_tT1_T2_T3_T4_jRjT5_jjP12ihipStream_tbEUlT_E_NS1_11comp_targetILNS1_3genE0ELNS1_11target_archE4294967295ELNS1_3gpuE0ELNS1_3repE0EEENS1_44radix_sort_block_sort_config_static_selectorELNS0_4arch9wavefront6targetE1EEEvSF_: ; @_ZN7rocprim17ROCPRIM_400000_NS6detail17trampoline_kernelINS0_13kernel_configILj256ELj4ELj4294967295EEENS1_37radix_sort_block_sort_config_selectorIhlEEZNS1_21radix_sort_block_sortIS4_Lb0EPhS8_N6thrust23THRUST_200600_302600_NS10device_ptrIlEESC_NS0_19identity_decomposerEEE10hipError_tT1_T2_T3_T4_jRjT5_jjP12ihipStream_tbEUlT_E_NS1_11comp_targetILNS1_3genE0ELNS1_11target_archE4294967295ELNS1_3gpuE0ELNS1_3repE0EEENS1_44radix_sort_block_sort_config_static_selectorELNS0_4arch9wavefront6targetE1EEEvSF_
; %bb.0:
	.section	.rodata,"a",@progbits
	.p2align	6, 0x0
	.amdhsa_kernel _ZN7rocprim17ROCPRIM_400000_NS6detail17trampoline_kernelINS0_13kernel_configILj256ELj4ELj4294967295EEENS1_37radix_sort_block_sort_config_selectorIhlEEZNS1_21radix_sort_block_sortIS4_Lb0EPhS8_N6thrust23THRUST_200600_302600_NS10device_ptrIlEESC_NS0_19identity_decomposerEEE10hipError_tT1_T2_T3_T4_jRjT5_jjP12ihipStream_tbEUlT_E_NS1_11comp_targetILNS1_3genE0ELNS1_11target_archE4294967295ELNS1_3gpuE0ELNS1_3repE0EEENS1_44radix_sort_block_sort_config_static_selectorELNS0_4arch9wavefront6targetE1EEEvSF_
		.amdhsa_group_segment_fixed_size 0
		.amdhsa_private_segment_fixed_size 0
		.amdhsa_kernarg_size 48
		.amdhsa_user_sgpr_count 6
		.amdhsa_user_sgpr_private_segment_buffer 1
		.amdhsa_user_sgpr_dispatch_ptr 0
		.amdhsa_user_sgpr_queue_ptr 0
		.amdhsa_user_sgpr_kernarg_segment_ptr 1
		.amdhsa_user_sgpr_dispatch_id 0
		.amdhsa_user_sgpr_flat_scratch_init 0
		.amdhsa_user_sgpr_kernarg_preload_length 0
		.amdhsa_user_sgpr_kernarg_preload_offset 0
		.amdhsa_user_sgpr_private_segment_size 0
		.amdhsa_uses_dynamic_stack 0
		.amdhsa_system_sgpr_private_segment_wavefront_offset 0
		.amdhsa_system_sgpr_workgroup_id_x 1
		.amdhsa_system_sgpr_workgroup_id_y 0
		.amdhsa_system_sgpr_workgroup_id_z 0
		.amdhsa_system_sgpr_workgroup_info 0
		.amdhsa_system_vgpr_workitem_id 0
		.amdhsa_next_free_vgpr 1
		.amdhsa_next_free_sgpr 0
		.amdhsa_accum_offset 4
		.amdhsa_reserve_vcc 0
		.amdhsa_reserve_flat_scratch 0
		.amdhsa_float_round_mode_32 0
		.amdhsa_float_round_mode_16_64 0
		.amdhsa_float_denorm_mode_32 3
		.amdhsa_float_denorm_mode_16_64 3
		.amdhsa_dx10_clamp 1
		.amdhsa_ieee_mode 1
		.amdhsa_fp16_overflow 0
		.amdhsa_tg_split 0
		.amdhsa_exception_fp_ieee_invalid_op 0
		.amdhsa_exception_fp_denorm_src 0
		.amdhsa_exception_fp_ieee_div_zero 0
		.amdhsa_exception_fp_ieee_overflow 0
		.amdhsa_exception_fp_ieee_underflow 0
		.amdhsa_exception_fp_ieee_inexact 0
		.amdhsa_exception_int_div_zero 0
	.end_amdhsa_kernel
	.section	.text._ZN7rocprim17ROCPRIM_400000_NS6detail17trampoline_kernelINS0_13kernel_configILj256ELj4ELj4294967295EEENS1_37radix_sort_block_sort_config_selectorIhlEEZNS1_21radix_sort_block_sortIS4_Lb0EPhS8_N6thrust23THRUST_200600_302600_NS10device_ptrIlEESC_NS0_19identity_decomposerEEE10hipError_tT1_T2_T3_T4_jRjT5_jjP12ihipStream_tbEUlT_E_NS1_11comp_targetILNS1_3genE0ELNS1_11target_archE4294967295ELNS1_3gpuE0ELNS1_3repE0EEENS1_44radix_sort_block_sort_config_static_selectorELNS0_4arch9wavefront6targetE1EEEvSF_,"axG",@progbits,_ZN7rocprim17ROCPRIM_400000_NS6detail17trampoline_kernelINS0_13kernel_configILj256ELj4ELj4294967295EEENS1_37radix_sort_block_sort_config_selectorIhlEEZNS1_21radix_sort_block_sortIS4_Lb0EPhS8_N6thrust23THRUST_200600_302600_NS10device_ptrIlEESC_NS0_19identity_decomposerEEE10hipError_tT1_T2_T3_T4_jRjT5_jjP12ihipStream_tbEUlT_E_NS1_11comp_targetILNS1_3genE0ELNS1_11target_archE4294967295ELNS1_3gpuE0ELNS1_3repE0EEENS1_44radix_sort_block_sort_config_static_selectorELNS0_4arch9wavefront6targetE1EEEvSF_,comdat
.Lfunc_end106:
	.size	_ZN7rocprim17ROCPRIM_400000_NS6detail17trampoline_kernelINS0_13kernel_configILj256ELj4ELj4294967295EEENS1_37radix_sort_block_sort_config_selectorIhlEEZNS1_21radix_sort_block_sortIS4_Lb0EPhS8_N6thrust23THRUST_200600_302600_NS10device_ptrIlEESC_NS0_19identity_decomposerEEE10hipError_tT1_T2_T3_T4_jRjT5_jjP12ihipStream_tbEUlT_E_NS1_11comp_targetILNS1_3genE0ELNS1_11target_archE4294967295ELNS1_3gpuE0ELNS1_3repE0EEENS1_44radix_sort_block_sort_config_static_selectorELNS0_4arch9wavefront6targetE1EEEvSF_, .Lfunc_end106-_ZN7rocprim17ROCPRIM_400000_NS6detail17trampoline_kernelINS0_13kernel_configILj256ELj4ELj4294967295EEENS1_37radix_sort_block_sort_config_selectorIhlEEZNS1_21radix_sort_block_sortIS4_Lb0EPhS8_N6thrust23THRUST_200600_302600_NS10device_ptrIlEESC_NS0_19identity_decomposerEEE10hipError_tT1_T2_T3_T4_jRjT5_jjP12ihipStream_tbEUlT_E_NS1_11comp_targetILNS1_3genE0ELNS1_11target_archE4294967295ELNS1_3gpuE0ELNS1_3repE0EEENS1_44radix_sort_block_sort_config_static_selectorELNS0_4arch9wavefront6targetE1EEEvSF_
                                        ; -- End function
	.section	.AMDGPU.csdata,"",@progbits
; Kernel info:
; codeLenInByte = 0
; NumSgprs: 4
; NumVgprs: 0
; NumAgprs: 0
; TotalNumVgprs: 0
; ScratchSize: 0
; MemoryBound: 0
; FloatMode: 240
; IeeeMode: 1
; LDSByteSize: 0 bytes/workgroup (compile time only)
; SGPRBlocks: 0
; VGPRBlocks: 0
; NumSGPRsForWavesPerEU: 4
; NumVGPRsForWavesPerEU: 1
; AccumOffset: 4
; Occupancy: 8
; WaveLimiterHint : 0
; COMPUTE_PGM_RSRC2:SCRATCH_EN: 0
; COMPUTE_PGM_RSRC2:USER_SGPR: 6
; COMPUTE_PGM_RSRC2:TRAP_HANDLER: 0
; COMPUTE_PGM_RSRC2:TGID_X_EN: 1
; COMPUTE_PGM_RSRC2:TGID_Y_EN: 0
; COMPUTE_PGM_RSRC2:TGID_Z_EN: 0
; COMPUTE_PGM_RSRC2:TIDIG_COMP_CNT: 0
; COMPUTE_PGM_RSRC3_GFX90A:ACCUM_OFFSET: 0
; COMPUTE_PGM_RSRC3_GFX90A:TG_SPLIT: 0
	.section	.text._ZN7rocprim17ROCPRIM_400000_NS6detail17trampoline_kernelINS0_13kernel_configILj256ELj4ELj4294967295EEENS1_37radix_sort_block_sort_config_selectorIhlEEZNS1_21radix_sort_block_sortIS4_Lb0EPhS8_N6thrust23THRUST_200600_302600_NS10device_ptrIlEESC_NS0_19identity_decomposerEEE10hipError_tT1_T2_T3_T4_jRjT5_jjP12ihipStream_tbEUlT_E_NS1_11comp_targetILNS1_3genE5ELNS1_11target_archE942ELNS1_3gpuE9ELNS1_3repE0EEENS1_44radix_sort_block_sort_config_static_selectorELNS0_4arch9wavefront6targetE1EEEvSF_,"axG",@progbits,_ZN7rocprim17ROCPRIM_400000_NS6detail17trampoline_kernelINS0_13kernel_configILj256ELj4ELj4294967295EEENS1_37radix_sort_block_sort_config_selectorIhlEEZNS1_21radix_sort_block_sortIS4_Lb0EPhS8_N6thrust23THRUST_200600_302600_NS10device_ptrIlEESC_NS0_19identity_decomposerEEE10hipError_tT1_T2_T3_T4_jRjT5_jjP12ihipStream_tbEUlT_E_NS1_11comp_targetILNS1_3genE5ELNS1_11target_archE942ELNS1_3gpuE9ELNS1_3repE0EEENS1_44radix_sort_block_sort_config_static_selectorELNS0_4arch9wavefront6targetE1EEEvSF_,comdat
	.protected	_ZN7rocprim17ROCPRIM_400000_NS6detail17trampoline_kernelINS0_13kernel_configILj256ELj4ELj4294967295EEENS1_37radix_sort_block_sort_config_selectorIhlEEZNS1_21radix_sort_block_sortIS4_Lb0EPhS8_N6thrust23THRUST_200600_302600_NS10device_ptrIlEESC_NS0_19identity_decomposerEEE10hipError_tT1_T2_T3_T4_jRjT5_jjP12ihipStream_tbEUlT_E_NS1_11comp_targetILNS1_3genE5ELNS1_11target_archE942ELNS1_3gpuE9ELNS1_3repE0EEENS1_44radix_sort_block_sort_config_static_selectorELNS0_4arch9wavefront6targetE1EEEvSF_ ; -- Begin function _ZN7rocprim17ROCPRIM_400000_NS6detail17trampoline_kernelINS0_13kernel_configILj256ELj4ELj4294967295EEENS1_37radix_sort_block_sort_config_selectorIhlEEZNS1_21radix_sort_block_sortIS4_Lb0EPhS8_N6thrust23THRUST_200600_302600_NS10device_ptrIlEESC_NS0_19identity_decomposerEEE10hipError_tT1_T2_T3_T4_jRjT5_jjP12ihipStream_tbEUlT_E_NS1_11comp_targetILNS1_3genE5ELNS1_11target_archE942ELNS1_3gpuE9ELNS1_3repE0EEENS1_44radix_sort_block_sort_config_static_selectorELNS0_4arch9wavefront6targetE1EEEvSF_
	.globl	_ZN7rocprim17ROCPRIM_400000_NS6detail17trampoline_kernelINS0_13kernel_configILj256ELj4ELj4294967295EEENS1_37radix_sort_block_sort_config_selectorIhlEEZNS1_21radix_sort_block_sortIS4_Lb0EPhS8_N6thrust23THRUST_200600_302600_NS10device_ptrIlEESC_NS0_19identity_decomposerEEE10hipError_tT1_T2_T3_T4_jRjT5_jjP12ihipStream_tbEUlT_E_NS1_11comp_targetILNS1_3genE5ELNS1_11target_archE942ELNS1_3gpuE9ELNS1_3repE0EEENS1_44radix_sort_block_sort_config_static_selectorELNS0_4arch9wavefront6targetE1EEEvSF_
	.p2align	8
	.type	_ZN7rocprim17ROCPRIM_400000_NS6detail17trampoline_kernelINS0_13kernel_configILj256ELj4ELj4294967295EEENS1_37radix_sort_block_sort_config_selectorIhlEEZNS1_21radix_sort_block_sortIS4_Lb0EPhS8_N6thrust23THRUST_200600_302600_NS10device_ptrIlEESC_NS0_19identity_decomposerEEE10hipError_tT1_T2_T3_T4_jRjT5_jjP12ihipStream_tbEUlT_E_NS1_11comp_targetILNS1_3genE5ELNS1_11target_archE942ELNS1_3gpuE9ELNS1_3repE0EEENS1_44radix_sort_block_sort_config_static_selectorELNS0_4arch9wavefront6targetE1EEEvSF_,@function
_ZN7rocprim17ROCPRIM_400000_NS6detail17trampoline_kernelINS0_13kernel_configILj256ELj4ELj4294967295EEENS1_37radix_sort_block_sort_config_selectorIhlEEZNS1_21radix_sort_block_sortIS4_Lb0EPhS8_N6thrust23THRUST_200600_302600_NS10device_ptrIlEESC_NS0_19identity_decomposerEEE10hipError_tT1_T2_T3_T4_jRjT5_jjP12ihipStream_tbEUlT_E_NS1_11comp_targetILNS1_3genE5ELNS1_11target_archE942ELNS1_3gpuE9ELNS1_3repE0EEENS1_44radix_sort_block_sort_config_static_selectorELNS0_4arch9wavefront6targetE1EEEvSF_: ; @_ZN7rocprim17ROCPRIM_400000_NS6detail17trampoline_kernelINS0_13kernel_configILj256ELj4ELj4294967295EEENS1_37radix_sort_block_sort_config_selectorIhlEEZNS1_21radix_sort_block_sortIS4_Lb0EPhS8_N6thrust23THRUST_200600_302600_NS10device_ptrIlEESC_NS0_19identity_decomposerEEE10hipError_tT1_T2_T3_T4_jRjT5_jjP12ihipStream_tbEUlT_E_NS1_11comp_targetILNS1_3genE5ELNS1_11target_archE942ELNS1_3gpuE9ELNS1_3repE0EEENS1_44radix_sort_block_sort_config_static_selectorELNS0_4arch9wavefront6targetE1EEEvSF_
; %bb.0:
	.section	.rodata,"a",@progbits
	.p2align	6, 0x0
	.amdhsa_kernel _ZN7rocprim17ROCPRIM_400000_NS6detail17trampoline_kernelINS0_13kernel_configILj256ELj4ELj4294967295EEENS1_37radix_sort_block_sort_config_selectorIhlEEZNS1_21radix_sort_block_sortIS4_Lb0EPhS8_N6thrust23THRUST_200600_302600_NS10device_ptrIlEESC_NS0_19identity_decomposerEEE10hipError_tT1_T2_T3_T4_jRjT5_jjP12ihipStream_tbEUlT_E_NS1_11comp_targetILNS1_3genE5ELNS1_11target_archE942ELNS1_3gpuE9ELNS1_3repE0EEENS1_44radix_sort_block_sort_config_static_selectorELNS0_4arch9wavefront6targetE1EEEvSF_
		.amdhsa_group_segment_fixed_size 0
		.amdhsa_private_segment_fixed_size 0
		.amdhsa_kernarg_size 48
		.amdhsa_user_sgpr_count 6
		.amdhsa_user_sgpr_private_segment_buffer 1
		.amdhsa_user_sgpr_dispatch_ptr 0
		.amdhsa_user_sgpr_queue_ptr 0
		.amdhsa_user_sgpr_kernarg_segment_ptr 1
		.amdhsa_user_sgpr_dispatch_id 0
		.amdhsa_user_sgpr_flat_scratch_init 0
		.amdhsa_user_sgpr_kernarg_preload_length 0
		.amdhsa_user_sgpr_kernarg_preload_offset 0
		.amdhsa_user_sgpr_private_segment_size 0
		.amdhsa_uses_dynamic_stack 0
		.amdhsa_system_sgpr_private_segment_wavefront_offset 0
		.amdhsa_system_sgpr_workgroup_id_x 1
		.amdhsa_system_sgpr_workgroup_id_y 0
		.amdhsa_system_sgpr_workgroup_id_z 0
		.amdhsa_system_sgpr_workgroup_info 0
		.amdhsa_system_vgpr_workitem_id 0
		.amdhsa_next_free_vgpr 1
		.amdhsa_next_free_sgpr 0
		.amdhsa_accum_offset 4
		.amdhsa_reserve_vcc 0
		.amdhsa_reserve_flat_scratch 0
		.amdhsa_float_round_mode_32 0
		.amdhsa_float_round_mode_16_64 0
		.amdhsa_float_denorm_mode_32 3
		.amdhsa_float_denorm_mode_16_64 3
		.amdhsa_dx10_clamp 1
		.amdhsa_ieee_mode 1
		.amdhsa_fp16_overflow 0
		.amdhsa_tg_split 0
		.amdhsa_exception_fp_ieee_invalid_op 0
		.amdhsa_exception_fp_denorm_src 0
		.amdhsa_exception_fp_ieee_div_zero 0
		.amdhsa_exception_fp_ieee_overflow 0
		.amdhsa_exception_fp_ieee_underflow 0
		.amdhsa_exception_fp_ieee_inexact 0
		.amdhsa_exception_int_div_zero 0
	.end_amdhsa_kernel
	.section	.text._ZN7rocprim17ROCPRIM_400000_NS6detail17trampoline_kernelINS0_13kernel_configILj256ELj4ELj4294967295EEENS1_37radix_sort_block_sort_config_selectorIhlEEZNS1_21radix_sort_block_sortIS4_Lb0EPhS8_N6thrust23THRUST_200600_302600_NS10device_ptrIlEESC_NS0_19identity_decomposerEEE10hipError_tT1_T2_T3_T4_jRjT5_jjP12ihipStream_tbEUlT_E_NS1_11comp_targetILNS1_3genE5ELNS1_11target_archE942ELNS1_3gpuE9ELNS1_3repE0EEENS1_44radix_sort_block_sort_config_static_selectorELNS0_4arch9wavefront6targetE1EEEvSF_,"axG",@progbits,_ZN7rocprim17ROCPRIM_400000_NS6detail17trampoline_kernelINS0_13kernel_configILj256ELj4ELj4294967295EEENS1_37radix_sort_block_sort_config_selectorIhlEEZNS1_21radix_sort_block_sortIS4_Lb0EPhS8_N6thrust23THRUST_200600_302600_NS10device_ptrIlEESC_NS0_19identity_decomposerEEE10hipError_tT1_T2_T3_T4_jRjT5_jjP12ihipStream_tbEUlT_E_NS1_11comp_targetILNS1_3genE5ELNS1_11target_archE942ELNS1_3gpuE9ELNS1_3repE0EEENS1_44radix_sort_block_sort_config_static_selectorELNS0_4arch9wavefront6targetE1EEEvSF_,comdat
.Lfunc_end107:
	.size	_ZN7rocprim17ROCPRIM_400000_NS6detail17trampoline_kernelINS0_13kernel_configILj256ELj4ELj4294967295EEENS1_37radix_sort_block_sort_config_selectorIhlEEZNS1_21radix_sort_block_sortIS4_Lb0EPhS8_N6thrust23THRUST_200600_302600_NS10device_ptrIlEESC_NS0_19identity_decomposerEEE10hipError_tT1_T2_T3_T4_jRjT5_jjP12ihipStream_tbEUlT_E_NS1_11comp_targetILNS1_3genE5ELNS1_11target_archE942ELNS1_3gpuE9ELNS1_3repE0EEENS1_44radix_sort_block_sort_config_static_selectorELNS0_4arch9wavefront6targetE1EEEvSF_, .Lfunc_end107-_ZN7rocprim17ROCPRIM_400000_NS6detail17trampoline_kernelINS0_13kernel_configILj256ELj4ELj4294967295EEENS1_37radix_sort_block_sort_config_selectorIhlEEZNS1_21radix_sort_block_sortIS4_Lb0EPhS8_N6thrust23THRUST_200600_302600_NS10device_ptrIlEESC_NS0_19identity_decomposerEEE10hipError_tT1_T2_T3_T4_jRjT5_jjP12ihipStream_tbEUlT_E_NS1_11comp_targetILNS1_3genE5ELNS1_11target_archE942ELNS1_3gpuE9ELNS1_3repE0EEENS1_44radix_sort_block_sort_config_static_selectorELNS0_4arch9wavefront6targetE1EEEvSF_
                                        ; -- End function
	.section	.AMDGPU.csdata,"",@progbits
; Kernel info:
; codeLenInByte = 0
; NumSgprs: 4
; NumVgprs: 0
; NumAgprs: 0
; TotalNumVgprs: 0
; ScratchSize: 0
; MemoryBound: 0
; FloatMode: 240
; IeeeMode: 1
; LDSByteSize: 0 bytes/workgroup (compile time only)
; SGPRBlocks: 0
; VGPRBlocks: 0
; NumSGPRsForWavesPerEU: 4
; NumVGPRsForWavesPerEU: 1
; AccumOffset: 4
; Occupancy: 8
; WaveLimiterHint : 0
; COMPUTE_PGM_RSRC2:SCRATCH_EN: 0
; COMPUTE_PGM_RSRC2:USER_SGPR: 6
; COMPUTE_PGM_RSRC2:TRAP_HANDLER: 0
; COMPUTE_PGM_RSRC2:TGID_X_EN: 1
; COMPUTE_PGM_RSRC2:TGID_Y_EN: 0
; COMPUTE_PGM_RSRC2:TGID_Z_EN: 0
; COMPUTE_PGM_RSRC2:TIDIG_COMP_CNT: 0
; COMPUTE_PGM_RSRC3_GFX90A:ACCUM_OFFSET: 0
; COMPUTE_PGM_RSRC3_GFX90A:TG_SPLIT: 0
	.section	.text._ZN7rocprim17ROCPRIM_400000_NS6detail17trampoline_kernelINS0_13kernel_configILj256ELj4ELj4294967295EEENS1_37radix_sort_block_sort_config_selectorIhlEEZNS1_21radix_sort_block_sortIS4_Lb0EPhS8_N6thrust23THRUST_200600_302600_NS10device_ptrIlEESC_NS0_19identity_decomposerEEE10hipError_tT1_T2_T3_T4_jRjT5_jjP12ihipStream_tbEUlT_E_NS1_11comp_targetILNS1_3genE4ELNS1_11target_archE910ELNS1_3gpuE8ELNS1_3repE0EEENS1_44radix_sort_block_sort_config_static_selectorELNS0_4arch9wavefront6targetE1EEEvSF_,"axG",@progbits,_ZN7rocprim17ROCPRIM_400000_NS6detail17trampoline_kernelINS0_13kernel_configILj256ELj4ELj4294967295EEENS1_37radix_sort_block_sort_config_selectorIhlEEZNS1_21radix_sort_block_sortIS4_Lb0EPhS8_N6thrust23THRUST_200600_302600_NS10device_ptrIlEESC_NS0_19identity_decomposerEEE10hipError_tT1_T2_T3_T4_jRjT5_jjP12ihipStream_tbEUlT_E_NS1_11comp_targetILNS1_3genE4ELNS1_11target_archE910ELNS1_3gpuE8ELNS1_3repE0EEENS1_44radix_sort_block_sort_config_static_selectorELNS0_4arch9wavefront6targetE1EEEvSF_,comdat
	.protected	_ZN7rocprim17ROCPRIM_400000_NS6detail17trampoline_kernelINS0_13kernel_configILj256ELj4ELj4294967295EEENS1_37radix_sort_block_sort_config_selectorIhlEEZNS1_21radix_sort_block_sortIS4_Lb0EPhS8_N6thrust23THRUST_200600_302600_NS10device_ptrIlEESC_NS0_19identity_decomposerEEE10hipError_tT1_T2_T3_T4_jRjT5_jjP12ihipStream_tbEUlT_E_NS1_11comp_targetILNS1_3genE4ELNS1_11target_archE910ELNS1_3gpuE8ELNS1_3repE0EEENS1_44radix_sort_block_sort_config_static_selectorELNS0_4arch9wavefront6targetE1EEEvSF_ ; -- Begin function _ZN7rocprim17ROCPRIM_400000_NS6detail17trampoline_kernelINS0_13kernel_configILj256ELj4ELj4294967295EEENS1_37radix_sort_block_sort_config_selectorIhlEEZNS1_21radix_sort_block_sortIS4_Lb0EPhS8_N6thrust23THRUST_200600_302600_NS10device_ptrIlEESC_NS0_19identity_decomposerEEE10hipError_tT1_T2_T3_T4_jRjT5_jjP12ihipStream_tbEUlT_E_NS1_11comp_targetILNS1_3genE4ELNS1_11target_archE910ELNS1_3gpuE8ELNS1_3repE0EEENS1_44radix_sort_block_sort_config_static_selectorELNS0_4arch9wavefront6targetE1EEEvSF_
	.globl	_ZN7rocprim17ROCPRIM_400000_NS6detail17trampoline_kernelINS0_13kernel_configILj256ELj4ELj4294967295EEENS1_37radix_sort_block_sort_config_selectorIhlEEZNS1_21radix_sort_block_sortIS4_Lb0EPhS8_N6thrust23THRUST_200600_302600_NS10device_ptrIlEESC_NS0_19identity_decomposerEEE10hipError_tT1_T2_T3_T4_jRjT5_jjP12ihipStream_tbEUlT_E_NS1_11comp_targetILNS1_3genE4ELNS1_11target_archE910ELNS1_3gpuE8ELNS1_3repE0EEENS1_44radix_sort_block_sort_config_static_selectorELNS0_4arch9wavefront6targetE1EEEvSF_
	.p2align	8
	.type	_ZN7rocprim17ROCPRIM_400000_NS6detail17trampoline_kernelINS0_13kernel_configILj256ELj4ELj4294967295EEENS1_37radix_sort_block_sort_config_selectorIhlEEZNS1_21radix_sort_block_sortIS4_Lb0EPhS8_N6thrust23THRUST_200600_302600_NS10device_ptrIlEESC_NS0_19identity_decomposerEEE10hipError_tT1_T2_T3_T4_jRjT5_jjP12ihipStream_tbEUlT_E_NS1_11comp_targetILNS1_3genE4ELNS1_11target_archE910ELNS1_3gpuE8ELNS1_3repE0EEENS1_44radix_sort_block_sort_config_static_selectorELNS0_4arch9wavefront6targetE1EEEvSF_,@function
_ZN7rocprim17ROCPRIM_400000_NS6detail17trampoline_kernelINS0_13kernel_configILj256ELj4ELj4294967295EEENS1_37radix_sort_block_sort_config_selectorIhlEEZNS1_21radix_sort_block_sortIS4_Lb0EPhS8_N6thrust23THRUST_200600_302600_NS10device_ptrIlEESC_NS0_19identity_decomposerEEE10hipError_tT1_T2_T3_T4_jRjT5_jjP12ihipStream_tbEUlT_E_NS1_11comp_targetILNS1_3genE4ELNS1_11target_archE910ELNS1_3gpuE8ELNS1_3repE0EEENS1_44radix_sort_block_sort_config_static_selectorELNS0_4arch9wavefront6targetE1EEEvSF_: ; @_ZN7rocprim17ROCPRIM_400000_NS6detail17trampoline_kernelINS0_13kernel_configILj256ELj4ELj4294967295EEENS1_37radix_sort_block_sort_config_selectorIhlEEZNS1_21radix_sort_block_sortIS4_Lb0EPhS8_N6thrust23THRUST_200600_302600_NS10device_ptrIlEESC_NS0_19identity_decomposerEEE10hipError_tT1_T2_T3_T4_jRjT5_jjP12ihipStream_tbEUlT_E_NS1_11comp_targetILNS1_3genE4ELNS1_11target_archE910ELNS1_3gpuE8ELNS1_3repE0EEENS1_44radix_sort_block_sort_config_static_selectorELNS0_4arch9wavefront6targetE1EEEvSF_
; %bb.0:
	s_load_dword s2, s[4:5], 0x20
	s_load_dwordx8 s[36:43], s[4:5], 0x0
	s_lshl_b32 s28, s6, 10
	v_mbcnt_lo_u32_b32 v1, -1, 0
	v_mbcnt_hi_u32_b32 v1, -1, v1
	s_waitcnt lgkmcnt(0)
	s_lshr_b32 s0, s2, 10
	s_cmp_lg_u32 s6, s0
	s_cselect_b64 s[30:31], -1, 0
	s_add_u32 s1, s36, s28
	v_and_b32_e32 v8, 0x3ff, v0
	s_addc_u32 s3, s37, 0
	v_and_b32_e32 v6, 63, v1
	v_lshlrev_b32_e32 v7, 2, v8
	v_mov_b32_e32 v2, s3
	v_add_co_u32_e32 v3, vcc, s1, v6
	v_and_b32_e32 v10, 0x300, v7
	v_addc_co_u32_e32 v2, vcc, 0, v2, vcc
	v_add_co_u32_e32 v4, vcc, v3, v10
	s_mov_b32 s29, 0
	s_cmp_eq_u32 s6, s0
	v_addc_co_u32_e32 v5, vcc, 0, v2, vcc
	v_lshlrev_b32_e32 v13, 3, v6
	v_lshlrev_b32_e32 v12, 3, v10
	v_or_b32_e32 v11, v6, v10
	s_cbranch_scc1 .LBB108_2
; %bb.1:
	s_lshl_b64 s[0:1], s[28:29], 3
	s_add_u32 s0, s40, s0
	s_addc_u32 s1, s41, s1
	v_mov_b32_e32 v2, s1
	v_add_co_u32_e32 v3, vcc, s0, v13
	v_addc_co_u32_e32 v2, vcc, 0, v2, vcc
	v_add_co_u32_e32 v14, vcc, v3, v12
	v_addc_co_u32_e32 v15, vcc, 0, v2, vcc
	global_load_ubyte v29, v[4:5], off offset:192
	global_load_ubyte v31, v[4:5], off offset:128
	;; [unrolled: 1-line block ×3, first 2 shown]
	global_load_ubyte v9, v[4:5], off
	global_load_dwordx2 v[2:3], v[14:15], off
	global_load_dwordx2 v[20:21], v[14:15], off offset:512
	global_load_dwordx2 v[22:23], v[14:15], off offset:1024
	;; [unrolled: 1-line block ×3, first 2 shown]
	v_or_b32_e32 v35, v6, v10
	v_or_b32_e32 v32, 64, v35
	;; [unrolled: 1-line block ×4, first 2 shown]
	s_load_dwordx2 s[34:35], s[4:5], 0x28
	s_sub_i32 s33, s2, s28
	s_cbranch_execz .LBB108_3
	s_branch .LBB108_17
.LBB108_2:
                                        ; implicit-def: $vgpr9
                                        ; implicit-def: $vgpr27
                                        ; implicit-def: $vgpr31
                                        ; implicit-def: $vgpr29
                                        ; implicit-def: $vgpr2_vgpr3
                                        ; implicit-def: $vgpr20_vgpr21
                                        ; implicit-def: $vgpr22_vgpr23
                                        ; implicit-def: $vgpr24_vgpr25
                                        ; implicit-def: $vgpr35
                                        ; implicit-def: $vgpr32
                                        ; implicit-def: $vgpr33
                                        ; implicit-def: $vgpr34
	s_load_dwordx2 s[34:35], s[4:5], 0x28
	s_sub_i32 s33, s2, s28
.LBB108_3:
	v_cmp_gt_u32_e32 vcc, s33, v11
	s_waitcnt vmcnt(4)
	v_mov_b32_e32 v9, 0xff
	v_mov_b32_e32 v29, 0xff
	;; [unrolled: 1-line block ×4, first 2 shown]
	s_and_saveexec_b64 s[0:1], vcc
	s_cbranch_execz .LBB108_5
; %bb.4:
	global_load_ubyte v9, v[4:5], off
	v_mov_b32_e32 v27, 0xff
	v_mov_b32_e32 v31, 0xff
	;; [unrolled: 1-line block ×3, first 2 shown]
.LBB108_5:
	s_or_b64 exec, exec, s[0:1]
	v_or_b32_e32 v32, 64, v11
	v_cmp_gt_u32_e64 s[0:1], s33, v32
	s_and_saveexec_b64 s[2:3], s[0:1]
	s_cbranch_execz .LBB108_7
; %bb.6:
	global_load_ubyte v27, v[4:5], off offset:64
.LBB108_7:
	s_or_b64 exec, exec, s[2:3]
	v_or_b32_e32 v33, 0x80, v11
	v_cmp_gt_u32_e64 s[2:3], s33, v33
	s_and_saveexec_b64 s[6:7], s[2:3]
	s_cbranch_execz .LBB108_9
; %bb.8:
	global_load_ubyte v31, v[4:5], off offset:128
.LBB108_9:
	;; [unrolled: 8-line block ×3, first 2 shown]
	s_or_b64 exec, exec, s[8:9]
	s_lshl_b64 s[8:9], s[28:29], 3
	s_add_u32 s8, s40, s8
	s_addc_u32 s9, s41, s9
	s_waitcnt vmcnt(3)
	v_mov_b32_e32 v2, s9
	v_add_co_u32_e64 v3, s[8:9], s8, v13
	v_addc_co_u32_e64 v2, s[8:9], 0, v2, s[8:9]
	v_add_co_u32_e64 v4, s[8:9], v3, v12
	v_addc_co_u32_e64 v5, s[8:9], 0, v2, s[8:9]
                                        ; implicit-def: $vgpr2_vgpr3
	s_and_saveexec_b64 s[8:9], vcc
	s_cbranch_execnz .LBB108_54
; %bb.12:
	s_or_b64 exec, exec, s[8:9]
                                        ; implicit-def: $vgpr20_vgpr21
	s_and_saveexec_b64 s[8:9], s[0:1]
	s_cbranch_execnz .LBB108_55
.LBB108_13:
	s_or_b64 exec, exec, s[8:9]
                                        ; implicit-def: $vgpr22_vgpr23
	s_and_saveexec_b64 s[0:1], s[2:3]
	s_cbranch_execnz .LBB108_56
.LBB108_14:
	s_or_b64 exec, exec, s[0:1]
                                        ; implicit-def: $vgpr24_vgpr25
	s_and_saveexec_b64 s[0:1], s[6:7]
	s_cbranch_execz .LBB108_16
.LBB108_15:
	global_load_dwordx2 v[24:25], v[4:5], off offset:1536
.LBB108_16:
	s_or_b64 exec, exec, s[0:1]
	v_mov_b32_e32 v35, v11
.LBB108_17:
	s_load_dword s2, s[4:5], 0x3c
	s_waitcnt lgkmcnt(0)
	s_add_i32 s36, s35, s34
	s_getpc_b64 s[0:1]
	s_add_u32 s0, s0, _ZN7rocprim17ROCPRIM_400000_NS16block_radix_sortIhLj256ELj4ElLj1ELj1ELj0ELNS0_26block_radix_rank_algorithmE1ELNS0_18block_padding_hintE2ELNS0_4arch9wavefront6targetE1EE19radix_bits_per_passE@rel32@lo+4
	s_addc_u32 s1, s1, _ZN7rocprim17ROCPRIM_400000_NS16block_radix_sortIhLj256ELj4ElLj1ELj1ELj0ELNS0_26block_radix_rank_algorithmE1ELNS0_18block_padding_hintE2ELNS0_4arch9wavefront6targetE1EE19radix_bits_per_passE@rel32@hi+12
	s_load_dword s37, s[0:1], 0x0
	v_bfe_u32 v4, v0, 10, 10
	s_lshr_b32 s0, s2, 16
	v_bfe_u32 v0, v0, 20, 10
	s_and_b32 s1, s2, 0xffff
	v_mad_u32_u24 v0, v0, s0, v4
	s_waitcnt vmcnt(0)
	v_mad_u64_u32 v[4:5], s[0:1], v0, s1, v[8:9]
	v_and_b32_e32 v0, 15, v1
	v_cmp_eq_u32_e64 s[0:1], 0, v0
	v_cmp_lt_u32_e64 s[2:3], 1, v0
	v_cmp_lt_u32_e64 s[4:5], 3, v0
	;; [unrolled: 1-line block ×3, first 2 shown]
	v_and_b32_e32 v0, 16, v1
	v_cmp_eq_u32_e64 s[8:9], 0, v0
	v_and_b32_e32 v0, 0x3c0, v8
	v_min_u32_e32 v0, 0xc0, v0
	v_or_b32_e32 v0, 63, v0
	v_lshrrev_b32_e32 v37, 6, v4
	v_cmp_eq_u32_e64 s[12:13], v0, v8
	v_add_u32_e32 v0, -1, v1
	v_and_b32_e32 v4, 64, v1
	v_cmp_lt_i32_e32 vcc, v0, v4
	v_cndmask_b32_e32 v0, v0, v1, vcc
	s_mov_b32 s26, 0
	v_cmp_lt_u32_e64 s[10:11], 31, v1
	v_lshlrev_b32_e32 v38, 2, v0
	v_cmp_eq_u32_e64 s[18:19], 0, v1
	v_lshrrev_b32_e32 v0, 4, v8
	v_and_b32_e32 v1, 3, v1
	v_lshlrev_b32_e32 v36, 2, v7
	v_and_b32_e32 v39, 60, v0
	v_mul_i32_i24_e32 v0, -12, v8
	v_cmp_eq_u32_e64 s[22:23], 0, v1
	v_cmp_lt_u32_e64 s[24:25], 1, v1
	v_mul_i32_i24_e32 v1, 7, v35
	v_mul_i32_i24_e32 v4, 7, v32
	;; [unrolled: 1-line block ×4, first 2 shown]
	s_mov_b32 s27, s26
	s_mov_b32 s40, s26
	;; [unrolled: 1-line block ×3, first 2 shown]
	v_cmp_gt_u32_e64 s[14:15], 4, v8
	v_cmp_lt_u32_e64 s[16:17], 63, v8
	v_cmp_eq_u32_e64 s[20:21], 0, v8
	v_add_u32_e32 v40, -4, v39
	v_pk_mov_b32 v[10:11], s[26:27], s[26:27] op_sel:[0,1]
	v_pk_mov_b32 v[12:13], s[40:41], s[40:41] op_sel:[0,1]
	v_add_u32_e32 v41, v36, v0
	v_add_u32_e32 v42, v35, v1
	;; [unrolled: 1-line block ×5, first 2 shown]
	v_mov_b32_e32 v18, 0
	s_branch .LBB108_19
.LBB108_18:                             ;   in Loop: Header=BB108_19 Depth=1
	s_barrier
	ds_write_b8 v30, v9
	ds_write_b8 v28, v27
	ds_write_b8 v26, v31
	ds_write_b8 v0, v29
	s_waitcnt lgkmcnt(0)
	s_barrier
	ds_read_u8 v29, v34
	ds_read_u8 v31, v33
	;; [unrolled: 1-line block ×4, first 2 shown]
	s_waitcnt lgkmcnt(0)
	s_barrier
	v_mad_u64_u32 v[2:3], s[26:27], v30, 7, v[30:31]
	ds_write_b64 v2, v[16:17]
	v_mad_u64_u32 v[2:3], s[26:27], v28, 7, v[28:29]
	ds_write_b64 v2, v[14:15]
	;; [unrolled: 2-line block ×4, first 2 shown]
	s_waitcnt lgkmcnt(0)
	s_barrier
	ds_read_b64 v[2:3], v42
	ds_read_b64 v[20:21], v43
	;; [unrolled: 1-line block ×4, first 2 shown]
	s_add_i32 s35, s35, -8
	s_waitcnt lgkmcnt(0)
	s_barrier
	s_cbranch_execz .LBB108_35
.LBB108_19:                             ; =>This Inner Loop Header: Depth=1
	s_waitcnt lgkmcnt(0)
	s_min_u32 s26, s37, s35
	s_lshl_b32 s26, -1, s26
	s_not_b32 s40, s26
	v_lshrrev_b32_sdwa v0, s34, v9 dst_sel:DWORD dst_unused:UNUSED_PAD src0_sel:DWORD src1_sel:BYTE_0
	v_and_b32_e32 v0, s40, v0
	v_lshl_add_u32 v1, v0, 2, v37
	v_pk_mov_b32 v[14:15], v[20:21], v[20:21] op_sel:[0,1]
	v_lshl_add_u32 v20, v1, 2, 16
	v_and_b32_e32 v1, 1, v0
	v_pk_mov_b32 v[16:17], v[2:3], v[2:3] op_sel:[0,1]
	v_add_co_u32_e32 v2, vcc, -1, v1
	v_addc_co_u32_e64 v3, s[26:27], 0, -1, vcc
	v_cmp_ne_u32_e32 vcc, 0, v1
	v_lshlrev_b32_e32 v19, 30, v0
	v_xor_b32_e32 v1, vcc_hi, v3
	v_not_b32_e32 v3, v19
	v_xor_b32_e32 v2, vcc_lo, v2
	v_cmp_gt_i64_e32 vcc, 0, v[18:19]
	v_ashrrev_i32_e32 v3, 31, v3
	v_and_b32_e32 v1, exec_hi, v1
	v_xor_b32_e32 v19, vcc_hi, v3
	v_and_b32_e32 v2, exec_lo, v2
	v_xor_b32_e32 v3, vcc_lo, v3
	v_and_b32_e32 v1, v1, v19
	v_lshlrev_b32_e32 v19, 29, v0
	v_and_b32_e32 v2, v2, v3
	v_not_b32_e32 v3, v19
	v_cmp_gt_i64_e32 vcc, 0, v[18:19]
	v_ashrrev_i32_e32 v3, 31, v3
	v_xor_b32_e32 v19, vcc_hi, v3
	v_xor_b32_e32 v3, vcc_lo, v3
	v_and_b32_e32 v1, v1, v19
	v_lshlrev_b32_e32 v19, 28, v0
	v_and_b32_e32 v2, v2, v3
	v_not_b32_e32 v3, v19
	v_cmp_gt_i64_e32 vcc, 0, v[18:19]
	v_ashrrev_i32_e32 v3, 31, v3
	v_xor_b32_e32 v19, vcc_hi, v3
	;; [unrolled: 8-line block ×5, first 2 shown]
	v_and_b32_e32 v1, v1, v19
	v_lshlrev_b32_e32 v19, 24, v0
	v_not_b32_e32 v0, v19
	v_xor_b32_e32 v3, vcc_lo, v3
	v_cmp_gt_i64_e32 vcc, 0, v[18:19]
	v_ashrrev_i32_e32 v0, 31, v0
	v_and_b32_e32 v2, v2, v3
	v_xor_b32_e32 v3, vcc_hi, v0
	v_xor_b32_e32 v0, vcc_lo, v0
	v_and_b32_e32 v0, v2, v0
	v_and_b32_e32 v1, v1, v3
	v_mbcnt_lo_u32_b32 v2, v0, 0
	v_mbcnt_hi_u32_b32 v21, v1, v2
	v_cmp_eq_u32_e32 vcc, 0, v21
	v_cmp_ne_u64_e64 s[26:27], 0, v[0:1]
	v_pk_mov_b32 v[6:7], v[22:23], v[22:23] op_sel:[0,1]
	v_pk_mov_b32 v[4:5], v[24:25], v[24:25] op_sel:[0,1]
	s_and_b64 s[44:45], s[26:27], vcc
	ds_write2_b64 v36, v[10:11], v[12:13] offset0:2 offset1:3
	s_waitcnt lgkmcnt(0)
	s_barrier
	s_waitcnt lgkmcnt(0)
	; wave barrier
	s_and_saveexec_b64 s[26:27], s[44:45]
	s_cbranch_execz .LBB108_21
; %bb.20:                               ;   in Loop: Header=BB108_19 Depth=1
	v_bcnt_u32_b32 v0, v0, 0
	v_bcnt_u32_b32 v0, v1, v0
	ds_write_b32 v20, v0
.LBB108_21:                             ;   in Loop: Header=BB108_19 Depth=1
	s_or_b64 exec, exec, s[26:27]
	v_lshrrev_b32_sdwa v0, s34, v27 dst_sel:DWORD dst_unused:UNUSED_PAD src0_sel:DWORD src1_sel:BYTE_0
	v_and_b32_e32 v0, s40, v0
	v_lshlrev_b32_e32 v1, 2, v0
	v_add_lshl_u32 v1, v1, v37, 2
	; wave barrier
	v_add_u32_e32 v23, 16, v1
	ds_read_b32 v22, v1 offset:16
	v_and_b32_e32 v1, 1, v0
	v_add_co_u32_e32 v2, vcc, -1, v1
	v_addc_co_u32_e64 v3, s[26:27], 0, -1, vcc
	v_cmp_ne_u32_e32 vcc, 0, v1
	v_lshlrev_b32_e32 v19, 30, v0
	v_xor_b32_e32 v1, vcc_hi, v3
	v_not_b32_e32 v3, v19
	v_xor_b32_e32 v2, vcc_lo, v2
	v_cmp_gt_i64_e32 vcc, 0, v[18:19]
	v_ashrrev_i32_e32 v3, 31, v3
	v_and_b32_e32 v1, exec_hi, v1
	v_xor_b32_e32 v19, vcc_hi, v3
	v_and_b32_e32 v2, exec_lo, v2
	v_xor_b32_e32 v3, vcc_lo, v3
	v_and_b32_e32 v1, v1, v19
	v_lshlrev_b32_e32 v19, 29, v0
	v_and_b32_e32 v2, v2, v3
	v_not_b32_e32 v3, v19
	v_cmp_gt_i64_e32 vcc, 0, v[18:19]
	v_ashrrev_i32_e32 v3, 31, v3
	v_xor_b32_e32 v19, vcc_hi, v3
	v_xor_b32_e32 v3, vcc_lo, v3
	v_and_b32_e32 v1, v1, v19
	v_lshlrev_b32_e32 v19, 28, v0
	v_and_b32_e32 v2, v2, v3
	v_not_b32_e32 v3, v19
	v_cmp_gt_i64_e32 vcc, 0, v[18:19]
	v_ashrrev_i32_e32 v3, 31, v3
	v_xor_b32_e32 v19, vcc_hi, v3
	;; [unrolled: 8-line block ×5, first 2 shown]
	v_and_b32_e32 v1, v1, v19
	v_lshlrev_b32_e32 v19, 24, v0
	v_not_b32_e32 v0, v19
	v_xor_b32_e32 v3, vcc_lo, v3
	v_cmp_gt_i64_e32 vcc, 0, v[18:19]
	v_ashrrev_i32_e32 v0, 31, v0
	v_and_b32_e32 v2, v2, v3
	v_xor_b32_e32 v3, vcc_hi, v0
	v_xor_b32_e32 v0, vcc_lo, v0
	v_and_b32_e32 v0, v2, v0
	v_and_b32_e32 v1, v1, v3
	v_mbcnt_lo_u32_b32 v2, v0, 0
	v_mbcnt_hi_u32_b32 v24, v1, v2
	v_cmp_eq_u32_e32 vcc, 0, v24
	v_cmp_ne_u64_e64 s[26:27], 0, v[0:1]
	s_and_b64 s[44:45], s[26:27], vcc
	; wave barrier
	s_and_saveexec_b64 s[26:27], s[44:45]
	s_cbranch_execz .LBB108_23
; %bb.22:                               ;   in Loop: Header=BB108_19 Depth=1
	v_bcnt_u32_b32 v0, v0, 0
	v_bcnt_u32_b32 v0, v1, v0
	s_waitcnt lgkmcnt(0)
	v_add_u32_e32 v0, v22, v0
	ds_write_b32 v23, v0
.LBB108_23:                             ;   in Loop: Header=BB108_19 Depth=1
	s_or_b64 exec, exec, s[26:27]
	v_lshrrev_b32_sdwa v0, s34, v31 dst_sel:DWORD dst_unused:UNUSED_PAD src0_sel:DWORD src1_sel:BYTE_0
	v_and_b32_e32 v0, s40, v0
	v_lshlrev_b32_e32 v1, 2, v0
	v_add_lshl_u32 v1, v1, v37, 2
	; wave barrier
	v_add_u32_e32 v26, 16, v1
	ds_read_b32 v25, v1 offset:16
	v_and_b32_e32 v1, 1, v0
	v_add_co_u32_e32 v2, vcc, -1, v1
	v_addc_co_u32_e64 v3, s[26:27], 0, -1, vcc
	v_cmp_ne_u32_e32 vcc, 0, v1
	v_lshlrev_b32_e32 v19, 30, v0
	v_xor_b32_e32 v1, vcc_hi, v3
	v_not_b32_e32 v3, v19
	v_xor_b32_e32 v2, vcc_lo, v2
	v_cmp_gt_i64_e32 vcc, 0, v[18:19]
	v_ashrrev_i32_e32 v3, 31, v3
	v_and_b32_e32 v1, exec_hi, v1
	v_xor_b32_e32 v19, vcc_hi, v3
	v_and_b32_e32 v2, exec_lo, v2
	v_xor_b32_e32 v3, vcc_lo, v3
	v_and_b32_e32 v1, v1, v19
	v_lshlrev_b32_e32 v19, 29, v0
	v_and_b32_e32 v2, v2, v3
	v_not_b32_e32 v3, v19
	v_cmp_gt_i64_e32 vcc, 0, v[18:19]
	v_ashrrev_i32_e32 v3, 31, v3
	v_xor_b32_e32 v19, vcc_hi, v3
	v_xor_b32_e32 v3, vcc_lo, v3
	v_and_b32_e32 v1, v1, v19
	v_lshlrev_b32_e32 v19, 28, v0
	v_and_b32_e32 v2, v2, v3
	v_not_b32_e32 v3, v19
	v_cmp_gt_i64_e32 vcc, 0, v[18:19]
	v_ashrrev_i32_e32 v3, 31, v3
	v_xor_b32_e32 v19, vcc_hi, v3
	v_xor_b32_e32 v3, vcc_lo, v3
	v_and_b32_e32 v1, v1, v19
	v_lshlrev_b32_e32 v19, 27, v0
	v_and_b32_e32 v2, v2, v3
	v_not_b32_e32 v3, v19
	v_cmp_gt_i64_e32 vcc, 0, v[18:19]
	v_ashrrev_i32_e32 v3, 31, v3
	v_xor_b32_e32 v19, vcc_hi, v3
	v_xor_b32_e32 v3, vcc_lo, v3
	v_and_b32_e32 v1, v1, v19
	v_lshlrev_b32_e32 v19, 26, v0
	v_and_b32_e32 v2, v2, v3
	v_not_b32_e32 v3, v19
	v_cmp_gt_i64_e32 vcc, 0, v[18:19]
	v_ashrrev_i32_e32 v3, 31, v3
	v_xor_b32_e32 v19, vcc_hi, v3
	v_xor_b32_e32 v3, vcc_lo, v3
	v_and_b32_e32 v1, v1, v19
	v_lshlrev_b32_e32 v19, 25, v0
	v_and_b32_e32 v2, v2, v3
	v_not_b32_e32 v3, v19
	v_cmp_gt_i64_e32 vcc, 0, v[18:19]
	v_ashrrev_i32_e32 v3, 31, v3
	v_xor_b32_e32 v19, vcc_hi, v3
	v_and_b32_e32 v1, v1, v19
	v_lshlrev_b32_e32 v19, 24, v0
	v_not_b32_e32 v0, v19
	v_xor_b32_e32 v3, vcc_lo, v3
	v_cmp_gt_i64_e32 vcc, 0, v[18:19]
	v_ashrrev_i32_e32 v0, 31, v0
	v_and_b32_e32 v2, v2, v3
	v_xor_b32_e32 v3, vcc_hi, v0
	v_xor_b32_e32 v0, vcc_lo, v0
	v_and_b32_e32 v0, v2, v0
	v_and_b32_e32 v1, v1, v3
	v_mbcnt_lo_u32_b32 v2, v0, 0
	v_mbcnt_hi_u32_b32 v46, v1, v2
	v_cmp_eq_u32_e32 vcc, 0, v46
	v_cmp_ne_u64_e64 s[26:27], 0, v[0:1]
	s_and_b64 s[44:45], s[26:27], vcc
	; wave barrier
	s_and_saveexec_b64 s[26:27], s[44:45]
	s_cbranch_execz .LBB108_25
; %bb.24:                               ;   in Loop: Header=BB108_19 Depth=1
	v_bcnt_u32_b32 v0, v0, 0
	v_bcnt_u32_b32 v0, v1, v0
	s_waitcnt lgkmcnt(0)
	v_add_u32_e32 v0, v25, v0
	ds_write_b32 v26, v0
.LBB108_25:                             ;   in Loop: Header=BB108_19 Depth=1
	s_or_b64 exec, exec, s[26:27]
	v_lshrrev_b32_sdwa v0, s34, v29 dst_sel:DWORD dst_unused:UNUSED_PAD src0_sel:DWORD src1_sel:BYTE_0
	v_and_b32_e32 v0, s40, v0
	v_lshlrev_b32_e32 v1, 2, v0
	v_add_lshl_u32 v1, v1, v37, 2
	; wave barrier
	v_add_u32_e32 v28, 16, v1
	ds_read_b32 v47, v1 offset:16
	v_and_b32_e32 v1, 1, v0
	v_add_co_u32_e32 v2, vcc, -1, v1
	v_addc_co_u32_e64 v3, s[26:27], 0, -1, vcc
	v_cmp_ne_u32_e32 vcc, 0, v1
	v_lshlrev_b32_e32 v19, 30, v0
	v_xor_b32_e32 v1, vcc_hi, v3
	v_not_b32_e32 v3, v19
	v_xor_b32_e32 v2, vcc_lo, v2
	v_cmp_gt_i64_e32 vcc, 0, v[18:19]
	v_ashrrev_i32_e32 v3, 31, v3
	v_and_b32_e32 v1, exec_hi, v1
	v_xor_b32_e32 v19, vcc_hi, v3
	v_and_b32_e32 v2, exec_lo, v2
	v_xor_b32_e32 v3, vcc_lo, v3
	v_and_b32_e32 v1, v1, v19
	v_lshlrev_b32_e32 v19, 29, v0
	v_and_b32_e32 v2, v2, v3
	v_not_b32_e32 v3, v19
	v_cmp_gt_i64_e32 vcc, 0, v[18:19]
	v_ashrrev_i32_e32 v3, 31, v3
	v_xor_b32_e32 v19, vcc_hi, v3
	v_xor_b32_e32 v3, vcc_lo, v3
	v_and_b32_e32 v1, v1, v19
	v_lshlrev_b32_e32 v19, 28, v0
	v_and_b32_e32 v2, v2, v3
	v_not_b32_e32 v3, v19
	v_cmp_gt_i64_e32 vcc, 0, v[18:19]
	v_ashrrev_i32_e32 v3, 31, v3
	v_xor_b32_e32 v19, vcc_hi, v3
	v_xor_b32_e32 v3, vcc_lo, v3
	v_and_b32_e32 v1, v1, v19
	v_lshlrev_b32_e32 v19, 27, v0
	v_and_b32_e32 v2, v2, v3
	v_not_b32_e32 v3, v19
	v_cmp_gt_i64_e32 vcc, 0, v[18:19]
	v_ashrrev_i32_e32 v3, 31, v3
	v_xor_b32_e32 v19, vcc_hi, v3
	v_xor_b32_e32 v3, vcc_lo, v3
	v_and_b32_e32 v1, v1, v19
	v_lshlrev_b32_e32 v19, 26, v0
	v_and_b32_e32 v2, v2, v3
	v_not_b32_e32 v3, v19
	v_cmp_gt_i64_e32 vcc, 0, v[18:19]
	v_ashrrev_i32_e32 v3, 31, v3
	v_xor_b32_e32 v19, vcc_hi, v3
	v_xor_b32_e32 v3, vcc_lo, v3
	v_and_b32_e32 v1, v1, v19
	v_lshlrev_b32_e32 v19, 25, v0
	v_and_b32_e32 v2, v2, v3
	v_not_b32_e32 v3, v19
	v_cmp_gt_i64_e32 vcc, 0, v[18:19]
	v_ashrrev_i32_e32 v3, 31, v3
	v_xor_b32_e32 v19, vcc_hi, v3
	v_and_b32_e32 v1, v1, v19
	v_lshlrev_b32_e32 v19, 24, v0
	v_not_b32_e32 v0, v19
	v_xor_b32_e32 v3, vcc_lo, v3
	v_cmp_gt_i64_e32 vcc, 0, v[18:19]
	v_ashrrev_i32_e32 v0, 31, v0
	v_and_b32_e32 v2, v2, v3
	v_xor_b32_e32 v3, vcc_hi, v0
	v_xor_b32_e32 v0, vcc_lo, v0
	v_and_b32_e32 v0, v2, v0
	v_and_b32_e32 v1, v1, v3
	v_mbcnt_lo_u32_b32 v2, v0, 0
	v_mbcnt_hi_u32_b32 v50, v1, v2
	v_cmp_eq_u32_e32 vcc, 0, v50
	v_cmp_ne_u64_e64 s[26:27], 0, v[0:1]
	s_and_b64 s[40:41], s[26:27], vcc
	; wave barrier
	s_and_saveexec_b64 s[26:27], s[40:41]
	s_cbranch_execz .LBB108_27
; %bb.26:                               ;   in Loop: Header=BB108_19 Depth=1
	v_bcnt_u32_b32 v0, v0, 0
	v_bcnt_u32_b32 v0, v1, v0
	s_waitcnt lgkmcnt(0)
	v_add_u32_e32 v0, v47, v0
	ds_write_b32 v28, v0
.LBB108_27:                             ;   in Loop: Header=BB108_19 Depth=1
	s_or_b64 exec, exec, s[26:27]
	; wave barrier
	s_waitcnt lgkmcnt(0)
	s_barrier
	ds_read2_b64 v[0:3], v36 offset0:2 offset1:3
	s_waitcnt lgkmcnt(0)
	v_add_u32_e32 v19, v1, v0
	v_add3_u32 v3, v19, v2, v3
	s_nop 1
	v_mov_b32_dpp v19, v3 row_shr:1 row_mask:0xf bank_mask:0xf
	v_cndmask_b32_e64 v19, v19, 0, s[0:1]
	v_add_u32_e32 v3, v19, v3
	s_nop 1
	v_mov_b32_dpp v19, v3 row_shr:2 row_mask:0xf bank_mask:0xf
	v_cndmask_b32_e64 v19, 0, v19, s[2:3]
	v_add_u32_e32 v3, v3, v19
	;; [unrolled: 4-line block ×4, first 2 shown]
	s_nop 1
	v_mov_b32_dpp v19, v3 row_bcast:15 row_mask:0xf bank_mask:0xf
	v_cndmask_b32_e64 v19, v19, 0, s[8:9]
	v_add_u32_e32 v3, v3, v19
	s_nop 1
	v_mov_b32_dpp v19, v3 row_bcast:31 row_mask:0xf bank_mask:0xf
	v_cndmask_b32_e64 v19, 0, v19, s[10:11]
	v_add_u32_e32 v3, v3, v19
	s_and_saveexec_b64 s[26:27], s[12:13]
	s_cbranch_execz .LBB108_29
; %bb.28:                               ;   in Loop: Header=BB108_19 Depth=1
	ds_write_b32 v39, v3
.LBB108_29:                             ;   in Loop: Header=BB108_19 Depth=1
	s_or_b64 exec, exec, s[26:27]
	s_waitcnt lgkmcnt(0)
	s_barrier
	s_and_saveexec_b64 s[26:27], s[14:15]
	s_cbranch_execz .LBB108_31
; %bb.30:                               ;   in Loop: Header=BB108_19 Depth=1
	ds_read_b32 v19, v41
	s_waitcnt lgkmcnt(0)
	s_nop 0
	v_mov_b32_dpp v30, v19 row_shr:1 row_mask:0xf bank_mask:0xf
	v_cndmask_b32_e64 v30, v30, 0, s[22:23]
	v_add_u32_e32 v19, v30, v19
	s_nop 1
	v_mov_b32_dpp v30, v19 row_shr:2 row_mask:0xf bank_mask:0xf
	v_cndmask_b32_e64 v30, 0, v30, s[24:25]
	v_add_u32_e32 v19, v19, v30
	ds_write_b32 v41, v19
.LBB108_31:                             ;   in Loop: Header=BB108_19 Depth=1
	s_or_b64 exec, exec, s[26:27]
	v_mov_b32_e32 v30, 0
	s_waitcnt lgkmcnt(0)
	s_barrier
	s_and_saveexec_b64 s[26:27], s[16:17]
	s_cbranch_execz .LBB108_33
; %bb.32:                               ;   in Loop: Header=BB108_19 Depth=1
	ds_read_b32 v30, v40
.LBB108_33:                             ;   in Loop: Header=BB108_19 Depth=1
	s_or_b64 exec, exec, s[26:27]
	s_waitcnt lgkmcnt(0)
	v_add_u32_e32 v3, v30, v3
	ds_bpermute_b32 v3, v38, v3
	s_add_i32 s34, s34, 8
	v_mov_b32_e32 v19, v9
	v_mov_b32_e32 v48, v27
	;; [unrolled: 1-line block ×3, first 2 shown]
	s_waitcnt lgkmcnt(0)
	v_cndmask_b32_e64 v3, v3, v30, s[18:19]
	v_cndmask_b32_e64 v52, v3, 0, s[20:21]
	v_add_u32_e32 v53, v52, v0
	v_add_u32_e32 v0, v53, v1
	;; [unrolled: 1-line block ×3, first 2 shown]
	ds_write2_b64 v36, v[52:53], v[0:1] offset0:2 offset1:3
	s_waitcnt lgkmcnt(0)
	s_barrier
	ds_read_b32 v0, v20
	ds_read_b32 v2, v23
	;; [unrolled: 1-line block ×4, first 2 shown]
	v_mov_b32_e32 v1, v29
	s_waitcnt lgkmcnt(3)
	v_add_u32_e32 v30, v0, v21
	s_waitcnt lgkmcnt(2)
	v_add3_u32 v28, v24, v22, v2
	s_waitcnt lgkmcnt(1)
	v_add3_u32 v26, v46, v25, v3
	;; [unrolled: 2-line block ×3, first 2 shown]
	s_cmp_ge_u32 s34, s36
	s_cbranch_scc0 .LBB108_18
; %bb.34:
                                        ; implicit-def: $sgpr34
                                        ; implicit-def: $vgpr9
                                        ; implicit-def: $vgpr27
                                        ; implicit-def: $vgpr31
                                        ; implicit-def: $vgpr29
                                        ; implicit-def: $vgpr2_vgpr3
                                        ; implicit-def: $vgpr20_vgpr21
                                        ; implicit-def: $vgpr22_vgpr23
                                        ; implicit-def: $vgpr24_vgpr25
.LBB108_35:
	v_mad_u64_u32 v[2:3], s[0:1], v30, 7, v[30:31]
	s_barrier
	ds_write_b8 v30, v19
	ds_write_b8 v28, v48
	;; [unrolled: 1-line block ×4, first 2 shown]
	s_waitcnt lgkmcnt(0)
	s_barrier
	ds_read_u8 v19, v8
	ds_read_u8 v18, v8 offset:256
	ds_read_u8 v13, v8 offset:512
	;; [unrolled: 1-line block ×3, first 2 shown]
	s_waitcnt lgkmcnt(0)
	s_barrier
	ds_write_b64 v2, v[16:17]
	v_mad_u64_u32 v[2:3], s[0:1], v28, 7, v[28:29]
	ds_write_b64 v2, v[14:15]
	v_mad_u64_u32 v[2:3], s[0:1], v26, 7, v[26:27]
	v_mad_u64_u32 v[0:1], s[0:1], v0, 7, v[0:1]
	ds_write_b64 v2, v[6:7]
	ds_write_b64 v0, v[4:5]
	v_mad_u32_u24 v0, v8, 7, v8
	s_waitcnt lgkmcnt(0)
	s_barrier
	ds_read2st64_b64 v[4:7], v0 offset1:4
	ds_read2st64_b64 v[0:3], v0 offset0:8 offset1:12
	s_add_u32 s0, s38, s28
	s_addc_u32 s1, s39, 0
	v_mov_b32_e32 v11, s1
	v_add_co_u32_e32 v10, vcc, s0, v8
	v_addc_co_u32_e32 v11, vcc, 0, v11, vcc
	s_andn2_b64 vcc, exec, s[30:31]
	v_lshlrev_b32_e32 v12, 3, v8
	s_cbranch_vccnz .LBB108_37
; %bb.36:
	s_lshl_b64 s[0:1], s[28:29], 3
	s_add_u32 s0, s42, s0
	s_addc_u32 s1, s43, s1
	v_mov_b32_e32 v14, s1
	v_add_co_u32_e32 v15, vcc, s0, v12
	v_addc_co_u32_e32 v16, vcc, 0, v14, vcc
	v_add_co_u32_e32 v14, vcc, 0x1000, v15
	global_store_byte v[10:11], v19, off
	global_store_byte v[10:11], v18, off offset:256
	global_store_byte v[10:11], v13, off offset:512
	global_store_byte v[10:11], v9, off offset:768
	s_waitcnt lgkmcnt(1)
	global_store_dwordx2 v12, v[4:5], s[0:1]
	global_store_dwordx2 v12, v[6:7], s[0:1] offset:2048
	v_addc_co_u32_e32 v15, vcc, 0, v16, vcc
	s_mov_b64 s[6:7], -1
	s_waitcnt lgkmcnt(0)
	global_store_dwordx2 v[14:15], v[0:1], off
	s_cbranch_execz .LBB108_38
	s_branch .LBB108_51
.LBB108_37:
	s_mov_b64 s[6:7], 0
.LBB108_38:
	v_cmp_gt_u32_e32 vcc, s33, v8
	s_and_saveexec_b64 s[0:1], vcc
	s_cbranch_execz .LBB108_40
; %bb.39:
	global_store_byte v[10:11], v19, off
.LBB108_40:
	s_or_b64 exec, exec, s[0:1]
	v_add_u32_e32 v14, 0x100, v8
	v_cmp_gt_u32_e64 s[0:1], s33, v14
	s_and_saveexec_b64 s[2:3], s[0:1]
	s_cbranch_execz .LBB108_42
; %bb.41:
	global_store_byte v[10:11], v18, off offset:256
.LBB108_42:
	s_or_b64 exec, exec, s[2:3]
	v_add_u32_e32 v14, 0x200, v8
	v_cmp_gt_u32_e64 s[2:3], s33, v14
	s_and_saveexec_b64 s[4:5], s[2:3]
	s_cbranch_execz .LBB108_44
; %bb.43:
	global_store_byte v[10:11], v13, off offset:512
.LBB108_44:
	s_or_b64 exec, exec, s[4:5]
	v_add_u32_e32 v8, 0x300, v8
	v_cmp_gt_u32_e64 s[6:7], s33, v8
	s_and_saveexec_b64 s[4:5], s[6:7]
	s_cbranch_execz .LBB108_46
; %bb.45:
	global_store_byte v[10:11], v9, off offset:768
.LBB108_46:
	s_or_b64 exec, exec, s[4:5]
	s_lshl_b64 s[4:5], s[28:29], 3
	s_add_u32 s4, s42, s4
	s_addc_u32 s5, s43, s5
	v_mov_b32_e32 v9, s5
	v_add_co_u32_e64 v8, s[4:5], s4, v12
	v_addc_co_u32_e64 v9, s[4:5], 0, v9, s[4:5]
	s_and_saveexec_b64 s[4:5], vcc
	s_cbranch_execnz .LBB108_57
; %bb.47:
	s_or_b64 exec, exec, s[4:5]
	s_and_saveexec_b64 s[4:5], s[0:1]
	s_cbranch_execnz .LBB108_58
.LBB108_48:
	s_or_b64 exec, exec, s[4:5]
	s_and_saveexec_b64 s[0:1], s[2:3]
	s_cbranch_execz .LBB108_50
.LBB108_49:
	s_waitcnt lgkmcnt(1)
	v_add_co_u32_e32 v4, vcc, 0x1000, v8
	v_addc_co_u32_e32 v5, vcc, 0, v9, vcc
	s_waitcnt lgkmcnt(0)
	global_store_dwordx2 v[4:5], v[0:1], off
.LBB108_50:
	s_or_b64 exec, exec, s[0:1]
.LBB108_51:
	s_and_saveexec_b64 s[0:1], s[6:7]
	s_cbranch_execnz .LBB108_53
; %bb.52:
	s_endpgm
.LBB108_53:
	s_lshl_b64 s[0:1], s[28:29], 3
	s_add_u32 s0, s42, s0
	s_addc_u32 s1, s43, s1
	s_waitcnt lgkmcnt(0)
	v_mov_b32_e32 v0, s1
	v_add_co_u32_e32 v1, vcc, s0, v12
	v_addc_co_u32_e32 v4, vcc, 0, v0, vcc
	v_add_co_u32_e32 v0, vcc, 0x1000, v1
	v_addc_co_u32_e32 v1, vcc, 0, v4, vcc
	global_store_dwordx2 v[0:1], v[2:3], off offset:2048
	s_endpgm
.LBB108_54:
	global_load_dwordx2 v[2:3], v[4:5], off
	s_or_b64 exec, exec, s[8:9]
                                        ; implicit-def: $vgpr20_vgpr21
	s_and_saveexec_b64 s[8:9], s[0:1]
	s_cbranch_execz .LBB108_13
.LBB108_55:
	global_load_dwordx2 v[20:21], v[4:5], off offset:512
	s_or_b64 exec, exec, s[8:9]
                                        ; implicit-def: $vgpr22_vgpr23
	s_and_saveexec_b64 s[0:1], s[2:3]
	s_cbranch_execz .LBB108_14
.LBB108_56:
	global_load_dwordx2 v[22:23], v[4:5], off offset:1024
	s_or_b64 exec, exec, s[0:1]
                                        ; implicit-def: $vgpr24_vgpr25
	s_and_saveexec_b64 s[0:1], s[6:7]
	s_cbranch_execnz .LBB108_15
	s_branch .LBB108_16
.LBB108_57:
	s_waitcnt lgkmcnt(1)
	global_store_dwordx2 v[8:9], v[4:5], off
	s_or_b64 exec, exec, s[4:5]
	s_and_saveexec_b64 s[4:5], s[0:1]
	s_cbranch_execz .LBB108_48
.LBB108_58:
	s_waitcnt lgkmcnt(1)
	global_store_dwordx2 v[8:9], v[6:7], off offset:2048
	s_or_b64 exec, exec, s[4:5]
	s_and_saveexec_b64 s[0:1], s[2:3]
	s_cbranch_execnz .LBB108_49
	s_branch .LBB108_50
	.section	.rodata,"a",@progbits
	.p2align	6, 0x0
	.amdhsa_kernel _ZN7rocprim17ROCPRIM_400000_NS6detail17trampoline_kernelINS0_13kernel_configILj256ELj4ELj4294967295EEENS1_37radix_sort_block_sort_config_selectorIhlEEZNS1_21radix_sort_block_sortIS4_Lb0EPhS8_N6thrust23THRUST_200600_302600_NS10device_ptrIlEESC_NS0_19identity_decomposerEEE10hipError_tT1_T2_T3_T4_jRjT5_jjP12ihipStream_tbEUlT_E_NS1_11comp_targetILNS1_3genE4ELNS1_11target_archE910ELNS1_3gpuE8ELNS1_3repE0EEENS1_44radix_sort_block_sort_config_static_selectorELNS0_4arch9wavefront6targetE1EEEvSF_
		.amdhsa_group_segment_fixed_size 8192
		.amdhsa_private_segment_fixed_size 0
		.amdhsa_kernarg_size 304
		.amdhsa_user_sgpr_count 6
		.amdhsa_user_sgpr_private_segment_buffer 1
		.amdhsa_user_sgpr_dispatch_ptr 0
		.amdhsa_user_sgpr_queue_ptr 0
		.amdhsa_user_sgpr_kernarg_segment_ptr 1
		.amdhsa_user_sgpr_dispatch_id 0
		.amdhsa_user_sgpr_flat_scratch_init 0
		.amdhsa_user_sgpr_kernarg_preload_length 0
		.amdhsa_user_sgpr_kernarg_preload_offset 0
		.amdhsa_user_sgpr_private_segment_size 0
		.amdhsa_uses_dynamic_stack 0
		.amdhsa_system_sgpr_private_segment_wavefront_offset 0
		.amdhsa_system_sgpr_workgroup_id_x 1
		.amdhsa_system_sgpr_workgroup_id_y 0
		.amdhsa_system_sgpr_workgroup_id_z 0
		.amdhsa_system_sgpr_workgroup_info 0
		.amdhsa_system_vgpr_workitem_id 2
		.amdhsa_next_free_vgpr 54
		.amdhsa_next_free_sgpr 46
		.amdhsa_accum_offset 56
		.amdhsa_reserve_vcc 1
		.amdhsa_reserve_flat_scratch 0
		.amdhsa_float_round_mode_32 0
		.amdhsa_float_round_mode_16_64 0
		.amdhsa_float_denorm_mode_32 3
		.amdhsa_float_denorm_mode_16_64 3
		.amdhsa_dx10_clamp 1
		.amdhsa_ieee_mode 1
		.amdhsa_fp16_overflow 0
		.amdhsa_tg_split 0
		.amdhsa_exception_fp_ieee_invalid_op 0
		.amdhsa_exception_fp_denorm_src 0
		.amdhsa_exception_fp_ieee_div_zero 0
		.amdhsa_exception_fp_ieee_overflow 0
		.amdhsa_exception_fp_ieee_underflow 0
		.amdhsa_exception_fp_ieee_inexact 0
		.amdhsa_exception_int_div_zero 0
	.end_amdhsa_kernel
	.section	.text._ZN7rocprim17ROCPRIM_400000_NS6detail17trampoline_kernelINS0_13kernel_configILj256ELj4ELj4294967295EEENS1_37radix_sort_block_sort_config_selectorIhlEEZNS1_21radix_sort_block_sortIS4_Lb0EPhS8_N6thrust23THRUST_200600_302600_NS10device_ptrIlEESC_NS0_19identity_decomposerEEE10hipError_tT1_T2_T3_T4_jRjT5_jjP12ihipStream_tbEUlT_E_NS1_11comp_targetILNS1_3genE4ELNS1_11target_archE910ELNS1_3gpuE8ELNS1_3repE0EEENS1_44radix_sort_block_sort_config_static_selectorELNS0_4arch9wavefront6targetE1EEEvSF_,"axG",@progbits,_ZN7rocprim17ROCPRIM_400000_NS6detail17trampoline_kernelINS0_13kernel_configILj256ELj4ELj4294967295EEENS1_37radix_sort_block_sort_config_selectorIhlEEZNS1_21radix_sort_block_sortIS4_Lb0EPhS8_N6thrust23THRUST_200600_302600_NS10device_ptrIlEESC_NS0_19identity_decomposerEEE10hipError_tT1_T2_T3_T4_jRjT5_jjP12ihipStream_tbEUlT_E_NS1_11comp_targetILNS1_3genE4ELNS1_11target_archE910ELNS1_3gpuE8ELNS1_3repE0EEENS1_44radix_sort_block_sort_config_static_selectorELNS0_4arch9wavefront6targetE1EEEvSF_,comdat
.Lfunc_end108:
	.size	_ZN7rocprim17ROCPRIM_400000_NS6detail17trampoline_kernelINS0_13kernel_configILj256ELj4ELj4294967295EEENS1_37radix_sort_block_sort_config_selectorIhlEEZNS1_21radix_sort_block_sortIS4_Lb0EPhS8_N6thrust23THRUST_200600_302600_NS10device_ptrIlEESC_NS0_19identity_decomposerEEE10hipError_tT1_T2_T3_T4_jRjT5_jjP12ihipStream_tbEUlT_E_NS1_11comp_targetILNS1_3genE4ELNS1_11target_archE910ELNS1_3gpuE8ELNS1_3repE0EEENS1_44radix_sort_block_sort_config_static_selectorELNS0_4arch9wavefront6targetE1EEEvSF_, .Lfunc_end108-_ZN7rocprim17ROCPRIM_400000_NS6detail17trampoline_kernelINS0_13kernel_configILj256ELj4ELj4294967295EEENS1_37radix_sort_block_sort_config_selectorIhlEEZNS1_21radix_sort_block_sortIS4_Lb0EPhS8_N6thrust23THRUST_200600_302600_NS10device_ptrIlEESC_NS0_19identity_decomposerEEE10hipError_tT1_T2_T3_T4_jRjT5_jjP12ihipStream_tbEUlT_E_NS1_11comp_targetILNS1_3genE4ELNS1_11target_archE910ELNS1_3gpuE8ELNS1_3repE0EEENS1_44radix_sort_block_sort_config_static_selectorELNS0_4arch9wavefront6targetE1EEEvSF_
                                        ; -- End function
	.section	.AMDGPU.csdata,"",@progbits
; Kernel info:
; codeLenInByte = 3892
; NumSgprs: 50
; NumVgprs: 54
; NumAgprs: 0
; TotalNumVgprs: 54
; ScratchSize: 0
; MemoryBound: 0
; FloatMode: 240
; IeeeMode: 1
; LDSByteSize: 8192 bytes/workgroup (compile time only)
; SGPRBlocks: 6
; VGPRBlocks: 6
; NumSGPRsForWavesPerEU: 50
; NumVGPRsForWavesPerEU: 54
; AccumOffset: 56
; Occupancy: 8
; WaveLimiterHint : 1
; COMPUTE_PGM_RSRC2:SCRATCH_EN: 0
; COMPUTE_PGM_RSRC2:USER_SGPR: 6
; COMPUTE_PGM_RSRC2:TRAP_HANDLER: 0
; COMPUTE_PGM_RSRC2:TGID_X_EN: 1
; COMPUTE_PGM_RSRC2:TGID_Y_EN: 0
; COMPUTE_PGM_RSRC2:TGID_Z_EN: 0
; COMPUTE_PGM_RSRC2:TIDIG_COMP_CNT: 2
; COMPUTE_PGM_RSRC3_GFX90A:ACCUM_OFFSET: 13
; COMPUTE_PGM_RSRC3_GFX90A:TG_SPLIT: 0
	.section	.text._ZN7rocprim17ROCPRIM_400000_NS6detail17trampoline_kernelINS0_13kernel_configILj256ELj4ELj4294967295EEENS1_37radix_sort_block_sort_config_selectorIhlEEZNS1_21radix_sort_block_sortIS4_Lb0EPhS8_N6thrust23THRUST_200600_302600_NS10device_ptrIlEESC_NS0_19identity_decomposerEEE10hipError_tT1_T2_T3_T4_jRjT5_jjP12ihipStream_tbEUlT_E_NS1_11comp_targetILNS1_3genE3ELNS1_11target_archE908ELNS1_3gpuE7ELNS1_3repE0EEENS1_44radix_sort_block_sort_config_static_selectorELNS0_4arch9wavefront6targetE1EEEvSF_,"axG",@progbits,_ZN7rocprim17ROCPRIM_400000_NS6detail17trampoline_kernelINS0_13kernel_configILj256ELj4ELj4294967295EEENS1_37radix_sort_block_sort_config_selectorIhlEEZNS1_21radix_sort_block_sortIS4_Lb0EPhS8_N6thrust23THRUST_200600_302600_NS10device_ptrIlEESC_NS0_19identity_decomposerEEE10hipError_tT1_T2_T3_T4_jRjT5_jjP12ihipStream_tbEUlT_E_NS1_11comp_targetILNS1_3genE3ELNS1_11target_archE908ELNS1_3gpuE7ELNS1_3repE0EEENS1_44radix_sort_block_sort_config_static_selectorELNS0_4arch9wavefront6targetE1EEEvSF_,comdat
	.protected	_ZN7rocprim17ROCPRIM_400000_NS6detail17trampoline_kernelINS0_13kernel_configILj256ELj4ELj4294967295EEENS1_37radix_sort_block_sort_config_selectorIhlEEZNS1_21radix_sort_block_sortIS4_Lb0EPhS8_N6thrust23THRUST_200600_302600_NS10device_ptrIlEESC_NS0_19identity_decomposerEEE10hipError_tT1_T2_T3_T4_jRjT5_jjP12ihipStream_tbEUlT_E_NS1_11comp_targetILNS1_3genE3ELNS1_11target_archE908ELNS1_3gpuE7ELNS1_3repE0EEENS1_44radix_sort_block_sort_config_static_selectorELNS0_4arch9wavefront6targetE1EEEvSF_ ; -- Begin function _ZN7rocprim17ROCPRIM_400000_NS6detail17trampoline_kernelINS0_13kernel_configILj256ELj4ELj4294967295EEENS1_37radix_sort_block_sort_config_selectorIhlEEZNS1_21radix_sort_block_sortIS4_Lb0EPhS8_N6thrust23THRUST_200600_302600_NS10device_ptrIlEESC_NS0_19identity_decomposerEEE10hipError_tT1_T2_T3_T4_jRjT5_jjP12ihipStream_tbEUlT_E_NS1_11comp_targetILNS1_3genE3ELNS1_11target_archE908ELNS1_3gpuE7ELNS1_3repE0EEENS1_44radix_sort_block_sort_config_static_selectorELNS0_4arch9wavefront6targetE1EEEvSF_
	.globl	_ZN7rocprim17ROCPRIM_400000_NS6detail17trampoline_kernelINS0_13kernel_configILj256ELj4ELj4294967295EEENS1_37radix_sort_block_sort_config_selectorIhlEEZNS1_21radix_sort_block_sortIS4_Lb0EPhS8_N6thrust23THRUST_200600_302600_NS10device_ptrIlEESC_NS0_19identity_decomposerEEE10hipError_tT1_T2_T3_T4_jRjT5_jjP12ihipStream_tbEUlT_E_NS1_11comp_targetILNS1_3genE3ELNS1_11target_archE908ELNS1_3gpuE7ELNS1_3repE0EEENS1_44radix_sort_block_sort_config_static_selectorELNS0_4arch9wavefront6targetE1EEEvSF_
	.p2align	8
	.type	_ZN7rocprim17ROCPRIM_400000_NS6detail17trampoline_kernelINS0_13kernel_configILj256ELj4ELj4294967295EEENS1_37radix_sort_block_sort_config_selectorIhlEEZNS1_21radix_sort_block_sortIS4_Lb0EPhS8_N6thrust23THRUST_200600_302600_NS10device_ptrIlEESC_NS0_19identity_decomposerEEE10hipError_tT1_T2_T3_T4_jRjT5_jjP12ihipStream_tbEUlT_E_NS1_11comp_targetILNS1_3genE3ELNS1_11target_archE908ELNS1_3gpuE7ELNS1_3repE0EEENS1_44radix_sort_block_sort_config_static_selectorELNS0_4arch9wavefront6targetE1EEEvSF_,@function
_ZN7rocprim17ROCPRIM_400000_NS6detail17trampoline_kernelINS0_13kernel_configILj256ELj4ELj4294967295EEENS1_37radix_sort_block_sort_config_selectorIhlEEZNS1_21radix_sort_block_sortIS4_Lb0EPhS8_N6thrust23THRUST_200600_302600_NS10device_ptrIlEESC_NS0_19identity_decomposerEEE10hipError_tT1_T2_T3_T4_jRjT5_jjP12ihipStream_tbEUlT_E_NS1_11comp_targetILNS1_3genE3ELNS1_11target_archE908ELNS1_3gpuE7ELNS1_3repE0EEENS1_44radix_sort_block_sort_config_static_selectorELNS0_4arch9wavefront6targetE1EEEvSF_: ; @_ZN7rocprim17ROCPRIM_400000_NS6detail17trampoline_kernelINS0_13kernel_configILj256ELj4ELj4294967295EEENS1_37radix_sort_block_sort_config_selectorIhlEEZNS1_21radix_sort_block_sortIS4_Lb0EPhS8_N6thrust23THRUST_200600_302600_NS10device_ptrIlEESC_NS0_19identity_decomposerEEE10hipError_tT1_T2_T3_T4_jRjT5_jjP12ihipStream_tbEUlT_E_NS1_11comp_targetILNS1_3genE3ELNS1_11target_archE908ELNS1_3gpuE7ELNS1_3repE0EEENS1_44radix_sort_block_sort_config_static_selectorELNS0_4arch9wavefront6targetE1EEEvSF_
; %bb.0:
	.section	.rodata,"a",@progbits
	.p2align	6, 0x0
	.amdhsa_kernel _ZN7rocprim17ROCPRIM_400000_NS6detail17trampoline_kernelINS0_13kernel_configILj256ELj4ELj4294967295EEENS1_37radix_sort_block_sort_config_selectorIhlEEZNS1_21radix_sort_block_sortIS4_Lb0EPhS8_N6thrust23THRUST_200600_302600_NS10device_ptrIlEESC_NS0_19identity_decomposerEEE10hipError_tT1_T2_T3_T4_jRjT5_jjP12ihipStream_tbEUlT_E_NS1_11comp_targetILNS1_3genE3ELNS1_11target_archE908ELNS1_3gpuE7ELNS1_3repE0EEENS1_44radix_sort_block_sort_config_static_selectorELNS0_4arch9wavefront6targetE1EEEvSF_
		.amdhsa_group_segment_fixed_size 0
		.amdhsa_private_segment_fixed_size 0
		.amdhsa_kernarg_size 48
		.amdhsa_user_sgpr_count 6
		.amdhsa_user_sgpr_private_segment_buffer 1
		.amdhsa_user_sgpr_dispatch_ptr 0
		.amdhsa_user_sgpr_queue_ptr 0
		.amdhsa_user_sgpr_kernarg_segment_ptr 1
		.amdhsa_user_sgpr_dispatch_id 0
		.amdhsa_user_sgpr_flat_scratch_init 0
		.amdhsa_user_sgpr_kernarg_preload_length 0
		.amdhsa_user_sgpr_kernarg_preload_offset 0
		.amdhsa_user_sgpr_private_segment_size 0
		.amdhsa_uses_dynamic_stack 0
		.amdhsa_system_sgpr_private_segment_wavefront_offset 0
		.amdhsa_system_sgpr_workgroup_id_x 1
		.amdhsa_system_sgpr_workgroup_id_y 0
		.amdhsa_system_sgpr_workgroup_id_z 0
		.amdhsa_system_sgpr_workgroup_info 0
		.amdhsa_system_vgpr_workitem_id 0
		.amdhsa_next_free_vgpr 1
		.amdhsa_next_free_sgpr 0
		.amdhsa_accum_offset 4
		.amdhsa_reserve_vcc 0
		.amdhsa_reserve_flat_scratch 0
		.amdhsa_float_round_mode_32 0
		.amdhsa_float_round_mode_16_64 0
		.amdhsa_float_denorm_mode_32 3
		.amdhsa_float_denorm_mode_16_64 3
		.amdhsa_dx10_clamp 1
		.amdhsa_ieee_mode 1
		.amdhsa_fp16_overflow 0
		.amdhsa_tg_split 0
		.amdhsa_exception_fp_ieee_invalid_op 0
		.amdhsa_exception_fp_denorm_src 0
		.amdhsa_exception_fp_ieee_div_zero 0
		.amdhsa_exception_fp_ieee_overflow 0
		.amdhsa_exception_fp_ieee_underflow 0
		.amdhsa_exception_fp_ieee_inexact 0
		.amdhsa_exception_int_div_zero 0
	.end_amdhsa_kernel
	.section	.text._ZN7rocprim17ROCPRIM_400000_NS6detail17trampoline_kernelINS0_13kernel_configILj256ELj4ELj4294967295EEENS1_37radix_sort_block_sort_config_selectorIhlEEZNS1_21radix_sort_block_sortIS4_Lb0EPhS8_N6thrust23THRUST_200600_302600_NS10device_ptrIlEESC_NS0_19identity_decomposerEEE10hipError_tT1_T2_T3_T4_jRjT5_jjP12ihipStream_tbEUlT_E_NS1_11comp_targetILNS1_3genE3ELNS1_11target_archE908ELNS1_3gpuE7ELNS1_3repE0EEENS1_44radix_sort_block_sort_config_static_selectorELNS0_4arch9wavefront6targetE1EEEvSF_,"axG",@progbits,_ZN7rocprim17ROCPRIM_400000_NS6detail17trampoline_kernelINS0_13kernel_configILj256ELj4ELj4294967295EEENS1_37radix_sort_block_sort_config_selectorIhlEEZNS1_21radix_sort_block_sortIS4_Lb0EPhS8_N6thrust23THRUST_200600_302600_NS10device_ptrIlEESC_NS0_19identity_decomposerEEE10hipError_tT1_T2_T3_T4_jRjT5_jjP12ihipStream_tbEUlT_E_NS1_11comp_targetILNS1_3genE3ELNS1_11target_archE908ELNS1_3gpuE7ELNS1_3repE0EEENS1_44radix_sort_block_sort_config_static_selectorELNS0_4arch9wavefront6targetE1EEEvSF_,comdat
.Lfunc_end109:
	.size	_ZN7rocprim17ROCPRIM_400000_NS6detail17trampoline_kernelINS0_13kernel_configILj256ELj4ELj4294967295EEENS1_37radix_sort_block_sort_config_selectorIhlEEZNS1_21radix_sort_block_sortIS4_Lb0EPhS8_N6thrust23THRUST_200600_302600_NS10device_ptrIlEESC_NS0_19identity_decomposerEEE10hipError_tT1_T2_T3_T4_jRjT5_jjP12ihipStream_tbEUlT_E_NS1_11comp_targetILNS1_3genE3ELNS1_11target_archE908ELNS1_3gpuE7ELNS1_3repE0EEENS1_44radix_sort_block_sort_config_static_selectorELNS0_4arch9wavefront6targetE1EEEvSF_, .Lfunc_end109-_ZN7rocprim17ROCPRIM_400000_NS6detail17trampoline_kernelINS0_13kernel_configILj256ELj4ELj4294967295EEENS1_37radix_sort_block_sort_config_selectorIhlEEZNS1_21radix_sort_block_sortIS4_Lb0EPhS8_N6thrust23THRUST_200600_302600_NS10device_ptrIlEESC_NS0_19identity_decomposerEEE10hipError_tT1_T2_T3_T4_jRjT5_jjP12ihipStream_tbEUlT_E_NS1_11comp_targetILNS1_3genE3ELNS1_11target_archE908ELNS1_3gpuE7ELNS1_3repE0EEENS1_44radix_sort_block_sort_config_static_selectorELNS0_4arch9wavefront6targetE1EEEvSF_
                                        ; -- End function
	.section	.AMDGPU.csdata,"",@progbits
; Kernel info:
; codeLenInByte = 0
; NumSgprs: 4
; NumVgprs: 0
; NumAgprs: 0
; TotalNumVgprs: 0
; ScratchSize: 0
; MemoryBound: 0
; FloatMode: 240
; IeeeMode: 1
; LDSByteSize: 0 bytes/workgroup (compile time only)
; SGPRBlocks: 0
; VGPRBlocks: 0
; NumSGPRsForWavesPerEU: 4
; NumVGPRsForWavesPerEU: 1
; AccumOffset: 4
; Occupancy: 8
; WaveLimiterHint : 0
; COMPUTE_PGM_RSRC2:SCRATCH_EN: 0
; COMPUTE_PGM_RSRC2:USER_SGPR: 6
; COMPUTE_PGM_RSRC2:TRAP_HANDLER: 0
; COMPUTE_PGM_RSRC2:TGID_X_EN: 1
; COMPUTE_PGM_RSRC2:TGID_Y_EN: 0
; COMPUTE_PGM_RSRC2:TGID_Z_EN: 0
; COMPUTE_PGM_RSRC2:TIDIG_COMP_CNT: 0
; COMPUTE_PGM_RSRC3_GFX90A:ACCUM_OFFSET: 0
; COMPUTE_PGM_RSRC3_GFX90A:TG_SPLIT: 0
	.section	.text._ZN7rocprim17ROCPRIM_400000_NS6detail17trampoline_kernelINS0_13kernel_configILj256ELj4ELj4294967295EEENS1_37radix_sort_block_sort_config_selectorIhlEEZNS1_21radix_sort_block_sortIS4_Lb0EPhS8_N6thrust23THRUST_200600_302600_NS10device_ptrIlEESC_NS0_19identity_decomposerEEE10hipError_tT1_T2_T3_T4_jRjT5_jjP12ihipStream_tbEUlT_E_NS1_11comp_targetILNS1_3genE2ELNS1_11target_archE906ELNS1_3gpuE6ELNS1_3repE0EEENS1_44radix_sort_block_sort_config_static_selectorELNS0_4arch9wavefront6targetE1EEEvSF_,"axG",@progbits,_ZN7rocprim17ROCPRIM_400000_NS6detail17trampoline_kernelINS0_13kernel_configILj256ELj4ELj4294967295EEENS1_37radix_sort_block_sort_config_selectorIhlEEZNS1_21radix_sort_block_sortIS4_Lb0EPhS8_N6thrust23THRUST_200600_302600_NS10device_ptrIlEESC_NS0_19identity_decomposerEEE10hipError_tT1_T2_T3_T4_jRjT5_jjP12ihipStream_tbEUlT_E_NS1_11comp_targetILNS1_3genE2ELNS1_11target_archE906ELNS1_3gpuE6ELNS1_3repE0EEENS1_44radix_sort_block_sort_config_static_selectorELNS0_4arch9wavefront6targetE1EEEvSF_,comdat
	.protected	_ZN7rocprim17ROCPRIM_400000_NS6detail17trampoline_kernelINS0_13kernel_configILj256ELj4ELj4294967295EEENS1_37radix_sort_block_sort_config_selectorIhlEEZNS1_21radix_sort_block_sortIS4_Lb0EPhS8_N6thrust23THRUST_200600_302600_NS10device_ptrIlEESC_NS0_19identity_decomposerEEE10hipError_tT1_T2_T3_T4_jRjT5_jjP12ihipStream_tbEUlT_E_NS1_11comp_targetILNS1_3genE2ELNS1_11target_archE906ELNS1_3gpuE6ELNS1_3repE0EEENS1_44radix_sort_block_sort_config_static_selectorELNS0_4arch9wavefront6targetE1EEEvSF_ ; -- Begin function _ZN7rocprim17ROCPRIM_400000_NS6detail17trampoline_kernelINS0_13kernel_configILj256ELj4ELj4294967295EEENS1_37radix_sort_block_sort_config_selectorIhlEEZNS1_21radix_sort_block_sortIS4_Lb0EPhS8_N6thrust23THRUST_200600_302600_NS10device_ptrIlEESC_NS0_19identity_decomposerEEE10hipError_tT1_T2_T3_T4_jRjT5_jjP12ihipStream_tbEUlT_E_NS1_11comp_targetILNS1_3genE2ELNS1_11target_archE906ELNS1_3gpuE6ELNS1_3repE0EEENS1_44radix_sort_block_sort_config_static_selectorELNS0_4arch9wavefront6targetE1EEEvSF_
	.globl	_ZN7rocprim17ROCPRIM_400000_NS6detail17trampoline_kernelINS0_13kernel_configILj256ELj4ELj4294967295EEENS1_37radix_sort_block_sort_config_selectorIhlEEZNS1_21radix_sort_block_sortIS4_Lb0EPhS8_N6thrust23THRUST_200600_302600_NS10device_ptrIlEESC_NS0_19identity_decomposerEEE10hipError_tT1_T2_T3_T4_jRjT5_jjP12ihipStream_tbEUlT_E_NS1_11comp_targetILNS1_3genE2ELNS1_11target_archE906ELNS1_3gpuE6ELNS1_3repE0EEENS1_44radix_sort_block_sort_config_static_selectorELNS0_4arch9wavefront6targetE1EEEvSF_
	.p2align	8
	.type	_ZN7rocprim17ROCPRIM_400000_NS6detail17trampoline_kernelINS0_13kernel_configILj256ELj4ELj4294967295EEENS1_37radix_sort_block_sort_config_selectorIhlEEZNS1_21radix_sort_block_sortIS4_Lb0EPhS8_N6thrust23THRUST_200600_302600_NS10device_ptrIlEESC_NS0_19identity_decomposerEEE10hipError_tT1_T2_T3_T4_jRjT5_jjP12ihipStream_tbEUlT_E_NS1_11comp_targetILNS1_3genE2ELNS1_11target_archE906ELNS1_3gpuE6ELNS1_3repE0EEENS1_44radix_sort_block_sort_config_static_selectorELNS0_4arch9wavefront6targetE1EEEvSF_,@function
_ZN7rocprim17ROCPRIM_400000_NS6detail17trampoline_kernelINS0_13kernel_configILj256ELj4ELj4294967295EEENS1_37radix_sort_block_sort_config_selectorIhlEEZNS1_21radix_sort_block_sortIS4_Lb0EPhS8_N6thrust23THRUST_200600_302600_NS10device_ptrIlEESC_NS0_19identity_decomposerEEE10hipError_tT1_T2_T3_T4_jRjT5_jjP12ihipStream_tbEUlT_E_NS1_11comp_targetILNS1_3genE2ELNS1_11target_archE906ELNS1_3gpuE6ELNS1_3repE0EEENS1_44radix_sort_block_sort_config_static_selectorELNS0_4arch9wavefront6targetE1EEEvSF_: ; @_ZN7rocprim17ROCPRIM_400000_NS6detail17trampoline_kernelINS0_13kernel_configILj256ELj4ELj4294967295EEENS1_37radix_sort_block_sort_config_selectorIhlEEZNS1_21radix_sort_block_sortIS4_Lb0EPhS8_N6thrust23THRUST_200600_302600_NS10device_ptrIlEESC_NS0_19identity_decomposerEEE10hipError_tT1_T2_T3_T4_jRjT5_jjP12ihipStream_tbEUlT_E_NS1_11comp_targetILNS1_3genE2ELNS1_11target_archE906ELNS1_3gpuE6ELNS1_3repE0EEENS1_44radix_sort_block_sort_config_static_selectorELNS0_4arch9wavefront6targetE1EEEvSF_
; %bb.0:
	.section	.rodata,"a",@progbits
	.p2align	6, 0x0
	.amdhsa_kernel _ZN7rocprim17ROCPRIM_400000_NS6detail17trampoline_kernelINS0_13kernel_configILj256ELj4ELj4294967295EEENS1_37radix_sort_block_sort_config_selectorIhlEEZNS1_21radix_sort_block_sortIS4_Lb0EPhS8_N6thrust23THRUST_200600_302600_NS10device_ptrIlEESC_NS0_19identity_decomposerEEE10hipError_tT1_T2_T3_T4_jRjT5_jjP12ihipStream_tbEUlT_E_NS1_11comp_targetILNS1_3genE2ELNS1_11target_archE906ELNS1_3gpuE6ELNS1_3repE0EEENS1_44radix_sort_block_sort_config_static_selectorELNS0_4arch9wavefront6targetE1EEEvSF_
		.amdhsa_group_segment_fixed_size 0
		.amdhsa_private_segment_fixed_size 0
		.amdhsa_kernarg_size 48
		.amdhsa_user_sgpr_count 6
		.amdhsa_user_sgpr_private_segment_buffer 1
		.amdhsa_user_sgpr_dispatch_ptr 0
		.amdhsa_user_sgpr_queue_ptr 0
		.amdhsa_user_sgpr_kernarg_segment_ptr 1
		.amdhsa_user_sgpr_dispatch_id 0
		.amdhsa_user_sgpr_flat_scratch_init 0
		.amdhsa_user_sgpr_kernarg_preload_length 0
		.amdhsa_user_sgpr_kernarg_preload_offset 0
		.amdhsa_user_sgpr_private_segment_size 0
		.amdhsa_uses_dynamic_stack 0
		.amdhsa_system_sgpr_private_segment_wavefront_offset 0
		.amdhsa_system_sgpr_workgroup_id_x 1
		.amdhsa_system_sgpr_workgroup_id_y 0
		.amdhsa_system_sgpr_workgroup_id_z 0
		.amdhsa_system_sgpr_workgroup_info 0
		.amdhsa_system_vgpr_workitem_id 0
		.amdhsa_next_free_vgpr 1
		.amdhsa_next_free_sgpr 0
		.amdhsa_accum_offset 4
		.amdhsa_reserve_vcc 0
		.amdhsa_reserve_flat_scratch 0
		.amdhsa_float_round_mode_32 0
		.amdhsa_float_round_mode_16_64 0
		.amdhsa_float_denorm_mode_32 3
		.amdhsa_float_denorm_mode_16_64 3
		.amdhsa_dx10_clamp 1
		.amdhsa_ieee_mode 1
		.amdhsa_fp16_overflow 0
		.amdhsa_tg_split 0
		.amdhsa_exception_fp_ieee_invalid_op 0
		.amdhsa_exception_fp_denorm_src 0
		.amdhsa_exception_fp_ieee_div_zero 0
		.amdhsa_exception_fp_ieee_overflow 0
		.amdhsa_exception_fp_ieee_underflow 0
		.amdhsa_exception_fp_ieee_inexact 0
		.amdhsa_exception_int_div_zero 0
	.end_amdhsa_kernel
	.section	.text._ZN7rocprim17ROCPRIM_400000_NS6detail17trampoline_kernelINS0_13kernel_configILj256ELj4ELj4294967295EEENS1_37radix_sort_block_sort_config_selectorIhlEEZNS1_21radix_sort_block_sortIS4_Lb0EPhS8_N6thrust23THRUST_200600_302600_NS10device_ptrIlEESC_NS0_19identity_decomposerEEE10hipError_tT1_T2_T3_T4_jRjT5_jjP12ihipStream_tbEUlT_E_NS1_11comp_targetILNS1_3genE2ELNS1_11target_archE906ELNS1_3gpuE6ELNS1_3repE0EEENS1_44radix_sort_block_sort_config_static_selectorELNS0_4arch9wavefront6targetE1EEEvSF_,"axG",@progbits,_ZN7rocprim17ROCPRIM_400000_NS6detail17trampoline_kernelINS0_13kernel_configILj256ELj4ELj4294967295EEENS1_37radix_sort_block_sort_config_selectorIhlEEZNS1_21radix_sort_block_sortIS4_Lb0EPhS8_N6thrust23THRUST_200600_302600_NS10device_ptrIlEESC_NS0_19identity_decomposerEEE10hipError_tT1_T2_T3_T4_jRjT5_jjP12ihipStream_tbEUlT_E_NS1_11comp_targetILNS1_3genE2ELNS1_11target_archE906ELNS1_3gpuE6ELNS1_3repE0EEENS1_44radix_sort_block_sort_config_static_selectorELNS0_4arch9wavefront6targetE1EEEvSF_,comdat
.Lfunc_end110:
	.size	_ZN7rocprim17ROCPRIM_400000_NS6detail17trampoline_kernelINS0_13kernel_configILj256ELj4ELj4294967295EEENS1_37radix_sort_block_sort_config_selectorIhlEEZNS1_21radix_sort_block_sortIS4_Lb0EPhS8_N6thrust23THRUST_200600_302600_NS10device_ptrIlEESC_NS0_19identity_decomposerEEE10hipError_tT1_T2_T3_T4_jRjT5_jjP12ihipStream_tbEUlT_E_NS1_11comp_targetILNS1_3genE2ELNS1_11target_archE906ELNS1_3gpuE6ELNS1_3repE0EEENS1_44radix_sort_block_sort_config_static_selectorELNS0_4arch9wavefront6targetE1EEEvSF_, .Lfunc_end110-_ZN7rocprim17ROCPRIM_400000_NS6detail17trampoline_kernelINS0_13kernel_configILj256ELj4ELj4294967295EEENS1_37radix_sort_block_sort_config_selectorIhlEEZNS1_21radix_sort_block_sortIS4_Lb0EPhS8_N6thrust23THRUST_200600_302600_NS10device_ptrIlEESC_NS0_19identity_decomposerEEE10hipError_tT1_T2_T3_T4_jRjT5_jjP12ihipStream_tbEUlT_E_NS1_11comp_targetILNS1_3genE2ELNS1_11target_archE906ELNS1_3gpuE6ELNS1_3repE0EEENS1_44radix_sort_block_sort_config_static_selectorELNS0_4arch9wavefront6targetE1EEEvSF_
                                        ; -- End function
	.section	.AMDGPU.csdata,"",@progbits
; Kernel info:
; codeLenInByte = 0
; NumSgprs: 4
; NumVgprs: 0
; NumAgprs: 0
; TotalNumVgprs: 0
; ScratchSize: 0
; MemoryBound: 0
; FloatMode: 240
; IeeeMode: 1
; LDSByteSize: 0 bytes/workgroup (compile time only)
; SGPRBlocks: 0
; VGPRBlocks: 0
; NumSGPRsForWavesPerEU: 4
; NumVGPRsForWavesPerEU: 1
; AccumOffset: 4
; Occupancy: 8
; WaveLimiterHint : 0
; COMPUTE_PGM_RSRC2:SCRATCH_EN: 0
; COMPUTE_PGM_RSRC2:USER_SGPR: 6
; COMPUTE_PGM_RSRC2:TRAP_HANDLER: 0
; COMPUTE_PGM_RSRC2:TGID_X_EN: 1
; COMPUTE_PGM_RSRC2:TGID_Y_EN: 0
; COMPUTE_PGM_RSRC2:TGID_Z_EN: 0
; COMPUTE_PGM_RSRC2:TIDIG_COMP_CNT: 0
; COMPUTE_PGM_RSRC3_GFX90A:ACCUM_OFFSET: 0
; COMPUTE_PGM_RSRC3_GFX90A:TG_SPLIT: 0
	.section	.text._ZN7rocprim17ROCPRIM_400000_NS6detail17trampoline_kernelINS0_13kernel_configILj256ELj4ELj4294967295EEENS1_37radix_sort_block_sort_config_selectorIhlEEZNS1_21radix_sort_block_sortIS4_Lb0EPhS8_N6thrust23THRUST_200600_302600_NS10device_ptrIlEESC_NS0_19identity_decomposerEEE10hipError_tT1_T2_T3_T4_jRjT5_jjP12ihipStream_tbEUlT_E_NS1_11comp_targetILNS1_3genE10ELNS1_11target_archE1201ELNS1_3gpuE5ELNS1_3repE0EEENS1_44radix_sort_block_sort_config_static_selectorELNS0_4arch9wavefront6targetE1EEEvSF_,"axG",@progbits,_ZN7rocprim17ROCPRIM_400000_NS6detail17trampoline_kernelINS0_13kernel_configILj256ELj4ELj4294967295EEENS1_37radix_sort_block_sort_config_selectorIhlEEZNS1_21radix_sort_block_sortIS4_Lb0EPhS8_N6thrust23THRUST_200600_302600_NS10device_ptrIlEESC_NS0_19identity_decomposerEEE10hipError_tT1_T2_T3_T4_jRjT5_jjP12ihipStream_tbEUlT_E_NS1_11comp_targetILNS1_3genE10ELNS1_11target_archE1201ELNS1_3gpuE5ELNS1_3repE0EEENS1_44radix_sort_block_sort_config_static_selectorELNS0_4arch9wavefront6targetE1EEEvSF_,comdat
	.protected	_ZN7rocprim17ROCPRIM_400000_NS6detail17trampoline_kernelINS0_13kernel_configILj256ELj4ELj4294967295EEENS1_37radix_sort_block_sort_config_selectorIhlEEZNS1_21radix_sort_block_sortIS4_Lb0EPhS8_N6thrust23THRUST_200600_302600_NS10device_ptrIlEESC_NS0_19identity_decomposerEEE10hipError_tT1_T2_T3_T4_jRjT5_jjP12ihipStream_tbEUlT_E_NS1_11comp_targetILNS1_3genE10ELNS1_11target_archE1201ELNS1_3gpuE5ELNS1_3repE0EEENS1_44radix_sort_block_sort_config_static_selectorELNS0_4arch9wavefront6targetE1EEEvSF_ ; -- Begin function _ZN7rocprim17ROCPRIM_400000_NS6detail17trampoline_kernelINS0_13kernel_configILj256ELj4ELj4294967295EEENS1_37radix_sort_block_sort_config_selectorIhlEEZNS1_21radix_sort_block_sortIS4_Lb0EPhS8_N6thrust23THRUST_200600_302600_NS10device_ptrIlEESC_NS0_19identity_decomposerEEE10hipError_tT1_T2_T3_T4_jRjT5_jjP12ihipStream_tbEUlT_E_NS1_11comp_targetILNS1_3genE10ELNS1_11target_archE1201ELNS1_3gpuE5ELNS1_3repE0EEENS1_44radix_sort_block_sort_config_static_selectorELNS0_4arch9wavefront6targetE1EEEvSF_
	.globl	_ZN7rocprim17ROCPRIM_400000_NS6detail17trampoline_kernelINS0_13kernel_configILj256ELj4ELj4294967295EEENS1_37radix_sort_block_sort_config_selectorIhlEEZNS1_21radix_sort_block_sortIS4_Lb0EPhS8_N6thrust23THRUST_200600_302600_NS10device_ptrIlEESC_NS0_19identity_decomposerEEE10hipError_tT1_T2_T3_T4_jRjT5_jjP12ihipStream_tbEUlT_E_NS1_11comp_targetILNS1_3genE10ELNS1_11target_archE1201ELNS1_3gpuE5ELNS1_3repE0EEENS1_44radix_sort_block_sort_config_static_selectorELNS0_4arch9wavefront6targetE1EEEvSF_
	.p2align	8
	.type	_ZN7rocprim17ROCPRIM_400000_NS6detail17trampoline_kernelINS0_13kernel_configILj256ELj4ELj4294967295EEENS1_37radix_sort_block_sort_config_selectorIhlEEZNS1_21radix_sort_block_sortIS4_Lb0EPhS8_N6thrust23THRUST_200600_302600_NS10device_ptrIlEESC_NS0_19identity_decomposerEEE10hipError_tT1_T2_T3_T4_jRjT5_jjP12ihipStream_tbEUlT_E_NS1_11comp_targetILNS1_3genE10ELNS1_11target_archE1201ELNS1_3gpuE5ELNS1_3repE0EEENS1_44radix_sort_block_sort_config_static_selectorELNS0_4arch9wavefront6targetE1EEEvSF_,@function
_ZN7rocprim17ROCPRIM_400000_NS6detail17trampoline_kernelINS0_13kernel_configILj256ELj4ELj4294967295EEENS1_37radix_sort_block_sort_config_selectorIhlEEZNS1_21radix_sort_block_sortIS4_Lb0EPhS8_N6thrust23THRUST_200600_302600_NS10device_ptrIlEESC_NS0_19identity_decomposerEEE10hipError_tT1_T2_T3_T4_jRjT5_jjP12ihipStream_tbEUlT_E_NS1_11comp_targetILNS1_3genE10ELNS1_11target_archE1201ELNS1_3gpuE5ELNS1_3repE0EEENS1_44radix_sort_block_sort_config_static_selectorELNS0_4arch9wavefront6targetE1EEEvSF_: ; @_ZN7rocprim17ROCPRIM_400000_NS6detail17trampoline_kernelINS0_13kernel_configILj256ELj4ELj4294967295EEENS1_37radix_sort_block_sort_config_selectorIhlEEZNS1_21radix_sort_block_sortIS4_Lb0EPhS8_N6thrust23THRUST_200600_302600_NS10device_ptrIlEESC_NS0_19identity_decomposerEEE10hipError_tT1_T2_T3_T4_jRjT5_jjP12ihipStream_tbEUlT_E_NS1_11comp_targetILNS1_3genE10ELNS1_11target_archE1201ELNS1_3gpuE5ELNS1_3repE0EEENS1_44radix_sort_block_sort_config_static_selectorELNS0_4arch9wavefront6targetE1EEEvSF_
; %bb.0:
	.section	.rodata,"a",@progbits
	.p2align	6, 0x0
	.amdhsa_kernel _ZN7rocprim17ROCPRIM_400000_NS6detail17trampoline_kernelINS0_13kernel_configILj256ELj4ELj4294967295EEENS1_37radix_sort_block_sort_config_selectorIhlEEZNS1_21radix_sort_block_sortIS4_Lb0EPhS8_N6thrust23THRUST_200600_302600_NS10device_ptrIlEESC_NS0_19identity_decomposerEEE10hipError_tT1_T2_T3_T4_jRjT5_jjP12ihipStream_tbEUlT_E_NS1_11comp_targetILNS1_3genE10ELNS1_11target_archE1201ELNS1_3gpuE5ELNS1_3repE0EEENS1_44radix_sort_block_sort_config_static_selectorELNS0_4arch9wavefront6targetE1EEEvSF_
		.amdhsa_group_segment_fixed_size 0
		.amdhsa_private_segment_fixed_size 0
		.amdhsa_kernarg_size 48
		.amdhsa_user_sgpr_count 6
		.amdhsa_user_sgpr_private_segment_buffer 1
		.amdhsa_user_sgpr_dispatch_ptr 0
		.amdhsa_user_sgpr_queue_ptr 0
		.amdhsa_user_sgpr_kernarg_segment_ptr 1
		.amdhsa_user_sgpr_dispatch_id 0
		.amdhsa_user_sgpr_flat_scratch_init 0
		.amdhsa_user_sgpr_kernarg_preload_length 0
		.amdhsa_user_sgpr_kernarg_preload_offset 0
		.amdhsa_user_sgpr_private_segment_size 0
		.amdhsa_uses_dynamic_stack 0
		.amdhsa_system_sgpr_private_segment_wavefront_offset 0
		.amdhsa_system_sgpr_workgroup_id_x 1
		.amdhsa_system_sgpr_workgroup_id_y 0
		.amdhsa_system_sgpr_workgroup_id_z 0
		.amdhsa_system_sgpr_workgroup_info 0
		.amdhsa_system_vgpr_workitem_id 0
		.amdhsa_next_free_vgpr 1
		.amdhsa_next_free_sgpr 0
		.amdhsa_accum_offset 4
		.amdhsa_reserve_vcc 0
		.amdhsa_reserve_flat_scratch 0
		.amdhsa_float_round_mode_32 0
		.amdhsa_float_round_mode_16_64 0
		.amdhsa_float_denorm_mode_32 3
		.amdhsa_float_denorm_mode_16_64 3
		.amdhsa_dx10_clamp 1
		.amdhsa_ieee_mode 1
		.amdhsa_fp16_overflow 0
		.amdhsa_tg_split 0
		.amdhsa_exception_fp_ieee_invalid_op 0
		.amdhsa_exception_fp_denorm_src 0
		.amdhsa_exception_fp_ieee_div_zero 0
		.amdhsa_exception_fp_ieee_overflow 0
		.amdhsa_exception_fp_ieee_underflow 0
		.amdhsa_exception_fp_ieee_inexact 0
		.amdhsa_exception_int_div_zero 0
	.end_amdhsa_kernel
	.section	.text._ZN7rocprim17ROCPRIM_400000_NS6detail17trampoline_kernelINS0_13kernel_configILj256ELj4ELj4294967295EEENS1_37radix_sort_block_sort_config_selectorIhlEEZNS1_21radix_sort_block_sortIS4_Lb0EPhS8_N6thrust23THRUST_200600_302600_NS10device_ptrIlEESC_NS0_19identity_decomposerEEE10hipError_tT1_T2_T3_T4_jRjT5_jjP12ihipStream_tbEUlT_E_NS1_11comp_targetILNS1_3genE10ELNS1_11target_archE1201ELNS1_3gpuE5ELNS1_3repE0EEENS1_44radix_sort_block_sort_config_static_selectorELNS0_4arch9wavefront6targetE1EEEvSF_,"axG",@progbits,_ZN7rocprim17ROCPRIM_400000_NS6detail17trampoline_kernelINS0_13kernel_configILj256ELj4ELj4294967295EEENS1_37radix_sort_block_sort_config_selectorIhlEEZNS1_21radix_sort_block_sortIS4_Lb0EPhS8_N6thrust23THRUST_200600_302600_NS10device_ptrIlEESC_NS0_19identity_decomposerEEE10hipError_tT1_T2_T3_T4_jRjT5_jjP12ihipStream_tbEUlT_E_NS1_11comp_targetILNS1_3genE10ELNS1_11target_archE1201ELNS1_3gpuE5ELNS1_3repE0EEENS1_44radix_sort_block_sort_config_static_selectorELNS0_4arch9wavefront6targetE1EEEvSF_,comdat
.Lfunc_end111:
	.size	_ZN7rocprim17ROCPRIM_400000_NS6detail17trampoline_kernelINS0_13kernel_configILj256ELj4ELj4294967295EEENS1_37radix_sort_block_sort_config_selectorIhlEEZNS1_21radix_sort_block_sortIS4_Lb0EPhS8_N6thrust23THRUST_200600_302600_NS10device_ptrIlEESC_NS0_19identity_decomposerEEE10hipError_tT1_T2_T3_T4_jRjT5_jjP12ihipStream_tbEUlT_E_NS1_11comp_targetILNS1_3genE10ELNS1_11target_archE1201ELNS1_3gpuE5ELNS1_3repE0EEENS1_44radix_sort_block_sort_config_static_selectorELNS0_4arch9wavefront6targetE1EEEvSF_, .Lfunc_end111-_ZN7rocprim17ROCPRIM_400000_NS6detail17trampoline_kernelINS0_13kernel_configILj256ELj4ELj4294967295EEENS1_37radix_sort_block_sort_config_selectorIhlEEZNS1_21radix_sort_block_sortIS4_Lb0EPhS8_N6thrust23THRUST_200600_302600_NS10device_ptrIlEESC_NS0_19identity_decomposerEEE10hipError_tT1_T2_T3_T4_jRjT5_jjP12ihipStream_tbEUlT_E_NS1_11comp_targetILNS1_3genE10ELNS1_11target_archE1201ELNS1_3gpuE5ELNS1_3repE0EEENS1_44radix_sort_block_sort_config_static_selectorELNS0_4arch9wavefront6targetE1EEEvSF_
                                        ; -- End function
	.section	.AMDGPU.csdata,"",@progbits
; Kernel info:
; codeLenInByte = 0
; NumSgprs: 4
; NumVgprs: 0
; NumAgprs: 0
; TotalNumVgprs: 0
; ScratchSize: 0
; MemoryBound: 0
; FloatMode: 240
; IeeeMode: 1
; LDSByteSize: 0 bytes/workgroup (compile time only)
; SGPRBlocks: 0
; VGPRBlocks: 0
; NumSGPRsForWavesPerEU: 4
; NumVGPRsForWavesPerEU: 1
; AccumOffset: 4
; Occupancy: 8
; WaveLimiterHint : 0
; COMPUTE_PGM_RSRC2:SCRATCH_EN: 0
; COMPUTE_PGM_RSRC2:USER_SGPR: 6
; COMPUTE_PGM_RSRC2:TRAP_HANDLER: 0
; COMPUTE_PGM_RSRC2:TGID_X_EN: 1
; COMPUTE_PGM_RSRC2:TGID_Y_EN: 0
; COMPUTE_PGM_RSRC2:TGID_Z_EN: 0
; COMPUTE_PGM_RSRC2:TIDIG_COMP_CNT: 0
; COMPUTE_PGM_RSRC3_GFX90A:ACCUM_OFFSET: 0
; COMPUTE_PGM_RSRC3_GFX90A:TG_SPLIT: 0
	.section	.text._ZN7rocprim17ROCPRIM_400000_NS6detail17trampoline_kernelINS0_13kernel_configILj256ELj4ELj4294967295EEENS1_37radix_sort_block_sort_config_selectorIhlEEZNS1_21radix_sort_block_sortIS4_Lb0EPhS8_N6thrust23THRUST_200600_302600_NS10device_ptrIlEESC_NS0_19identity_decomposerEEE10hipError_tT1_T2_T3_T4_jRjT5_jjP12ihipStream_tbEUlT_E_NS1_11comp_targetILNS1_3genE10ELNS1_11target_archE1200ELNS1_3gpuE4ELNS1_3repE0EEENS1_44radix_sort_block_sort_config_static_selectorELNS0_4arch9wavefront6targetE1EEEvSF_,"axG",@progbits,_ZN7rocprim17ROCPRIM_400000_NS6detail17trampoline_kernelINS0_13kernel_configILj256ELj4ELj4294967295EEENS1_37radix_sort_block_sort_config_selectorIhlEEZNS1_21radix_sort_block_sortIS4_Lb0EPhS8_N6thrust23THRUST_200600_302600_NS10device_ptrIlEESC_NS0_19identity_decomposerEEE10hipError_tT1_T2_T3_T4_jRjT5_jjP12ihipStream_tbEUlT_E_NS1_11comp_targetILNS1_3genE10ELNS1_11target_archE1200ELNS1_3gpuE4ELNS1_3repE0EEENS1_44radix_sort_block_sort_config_static_selectorELNS0_4arch9wavefront6targetE1EEEvSF_,comdat
	.protected	_ZN7rocprim17ROCPRIM_400000_NS6detail17trampoline_kernelINS0_13kernel_configILj256ELj4ELj4294967295EEENS1_37radix_sort_block_sort_config_selectorIhlEEZNS1_21radix_sort_block_sortIS4_Lb0EPhS8_N6thrust23THRUST_200600_302600_NS10device_ptrIlEESC_NS0_19identity_decomposerEEE10hipError_tT1_T2_T3_T4_jRjT5_jjP12ihipStream_tbEUlT_E_NS1_11comp_targetILNS1_3genE10ELNS1_11target_archE1200ELNS1_3gpuE4ELNS1_3repE0EEENS1_44radix_sort_block_sort_config_static_selectorELNS0_4arch9wavefront6targetE1EEEvSF_ ; -- Begin function _ZN7rocprim17ROCPRIM_400000_NS6detail17trampoline_kernelINS0_13kernel_configILj256ELj4ELj4294967295EEENS1_37radix_sort_block_sort_config_selectorIhlEEZNS1_21radix_sort_block_sortIS4_Lb0EPhS8_N6thrust23THRUST_200600_302600_NS10device_ptrIlEESC_NS0_19identity_decomposerEEE10hipError_tT1_T2_T3_T4_jRjT5_jjP12ihipStream_tbEUlT_E_NS1_11comp_targetILNS1_3genE10ELNS1_11target_archE1200ELNS1_3gpuE4ELNS1_3repE0EEENS1_44radix_sort_block_sort_config_static_selectorELNS0_4arch9wavefront6targetE1EEEvSF_
	.globl	_ZN7rocprim17ROCPRIM_400000_NS6detail17trampoline_kernelINS0_13kernel_configILj256ELj4ELj4294967295EEENS1_37radix_sort_block_sort_config_selectorIhlEEZNS1_21radix_sort_block_sortIS4_Lb0EPhS8_N6thrust23THRUST_200600_302600_NS10device_ptrIlEESC_NS0_19identity_decomposerEEE10hipError_tT1_T2_T3_T4_jRjT5_jjP12ihipStream_tbEUlT_E_NS1_11comp_targetILNS1_3genE10ELNS1_11target_archE1200ELNS1_3gpuE4ELNS1_3repE0EEENS1_44radix_sort_block_sort_config_static_selectorELNS0_4arch9wavefront6targetE1EEEvSF_
	.p2align	8
	.type	_ZN7rocprim17ROCPRIM_400000_NS6detail17trampoline_kernelINS0_13kernel_configILj256ELj4ELj4294967295EEENS1_37radix_sort_block_sort_config_selectorIhlEEZNS1_21radix_sort_block_sortIS4_Lb0EPhS8_N6thrust23THRUST_200600_302600_NS10device_ptrIlEESC_NS0_19identity_decomposerEEE10hipError_tT1_T2_T3_T4_jRjT5_jjP12ihipStream_tbEUlT_E_NS1_11comp_targetILNS1_3genE10ELNS1_11target_archE1200ELNS1_3gpuE4ELNS1_3repE0EEENS1_44radix_sort_block_sort_config_static_selectorELNS0_4arch9wavefront6targetE1EEEvSF_,@function
_ZN7rocprim17ROCPRIM_400000_NS6detail17trampoline_kernelINS0_13kernel_configILj256ELj4ELj4294967295EEENS1_37radix_sort_block_sort_config_selectorIhlEEZNS1_21radix_sort_block_sortIS4_Lb0EPhS8_N6thrust23THRUST_200600_302600_NS10device_ptrIlEESC_NS0_19identity_decomposerEEE10hipError_tT1_T2_T3_T4_jRjT5_jjP12ihipStream_tbEUlT_E_NS1_11comp_targetILNS1_3genE10ELNS1_11target_archE1200ELNS1_3gpuE4ELNS1_3repE0EEENS1_44radix_sort_block_sort_config_static_selectorELNS0_4arch9wavefront6targetE1EEEvSF_: ; @_ZN7rocprim17ROCPRIM_400000_NS6detail17trampoline_kernelINS0_13kernel_configILj256ELj4ELj4294967295EEENS1_37radix_sort_block_sort_config_selectorIhlEEZNS1_21radix_sort_block_sortIS4_Lb0EPhS8_N6thrust23THRUST_200600_302600_NS10device_ptrIlEESC_NS0_19identity_decomposerEEE10hipError_tT1_T2_T3_T4_jRjT5_jjP12ihipStream_tbEUlT_E_NS1_11comp_targetILNS1_3genE10ELNS1_11target_archE1200ELNS1_3gpuE4ELNS1_3repE0EEENS1_44radix_sort_block_sort_config_static_selectorELNS0_4arch9wavefront6targetE1EEEvSF_
; %bb.0:
	.section	.rodata,"a",@progbits
	.p2align	6, 0x0
	.amdhsa_kernel _ZN7rocprim17ROCPRIM_400000_NS6detail17trampoline_kernelINS0_13kernel_configILj256ELj4ELj4294967295EEENS1_37radix_sort_block_sort_config_selectorIhlEEZNS1_21radix_sort_block_sortIS4_Lb0EPhS8_N6thrust23THRUST_200600_302600_NS10device_ptrIlEESC_NS0_19identity_decomposerEEE10hipError_tT1_T2_T3_T4_jRjT5_jjP12ihipStream_tbEUlT_E_NS1_11comp_targetILNS1_3genE10ELNS1_11target_archE1200ELNS1_3gpuE4ELNS1_3repE0EEENS1_44radix_sort_block_sort_config_static_selectorELNS0_4arch9wavefront6targetE1EEEvSF_
		.amdhsa_group_segment_fixed_size 0
		.amdhsa_private_segment_fixed_size 0
		.amdhsa_kernarg_size 48
		.amdhsa_user_sgpr_count 6
		.amdhsa_user_sgpr_private_segment_buffer 1
		.amdhsa_user_sgpr_dispatch_ptr 0
		.amdhsa_user_sgpr_queue_ptr 0
		.amdhsa_user_sgpr_kernarg_segment_ptr 1
		.amdhsa_user_sgpr_dispatch_id 0
		.amdhsa_user_sgpr_flat_scratch_init 0
		.amdhsa_user_sgpr_kernarg_preload_length 0
		.amdhsa_user_sgpr_kernarg_preload_offset 0
		.amdhsa_user_sgpr_private_segment_size 0
		.amdhsa_uses_dynamic_stack 0
		.amdhsa_system_sgpr_private_segment_wavefront_offset 0
		.amdhsa_system_sgpr_workgroup_id_x 1
		.amdhsa_system_sgpr_workgroup_id_y 0
		.amdhsa_system_sgpr_workgroup_id_z 0
		.amdhsa_system_sgpr_workgroup_info 0
		.amdhsa_system_vgpr_workitem_id 0
		.amdhsa_next_free_vgpr 1
		.amdhsa_next_free_sgpr 0
		.amdhsa_accum_offset 4
		.amdhsa_reserve_vcc 0
		.amdhsa_reserve_flat_scratch 0
		.amdhsa_float_round_mode_32 0
		.amdhsa_float_round_mode_16_64 0
		.amdhsa_float_denorm_mode_32 3
		.amdhsa_float_denorm_mode_16_64 3
		.amdhsa_dx10_clamp 1
		.amdhsa_ieee_mode 1
		.amdhsa_fp16_overflow 0
		.amdhsa_tg_split 0
		.amdhsa_exception_fp_ieee_invalid_op 0
		.amdhsa_exception_fp_denorm_src 0
		.amdhsa_exception_fp_ieee_div_zero 0
		.amdhsa_exception_fp_ieee_overflow 0
		.amdhsa_exception_fp_ieee_underflow 0
		.amdhsa_exception_fp_ieee_inexact 0
		.amdhsa_exception_int_div_zero 0
	.end_amdhsa_kernel
	.section	.text._ZN7rocprim17ROCPRIM_400000_NS6detail17trampoline_kernelINS0_13kernel_configILj256ELj4ELj4294967295EEENS1_37radix_sort_block_sort_config_selectorIhlEEZNS1_21radix_sort_block_sortIS4_Lb0EPhS8_N6thrust23THRUST_200600_302600_NS10device_ptrIlEESC_NS0_19identity_decomposerEEE10hipError_tT1_T2_T3_T4_jRjT5_jjP12ihipStream_tbEUlT_E_NS1_11comp_targetILNS1_3genE10ELNS1_11target_archE1200ELNS1_3gpuE4ELNS1_3repE0EEENS1_44radix_sort_block_sort_config_static_selectorELNS0_4arch9wavefront6targetE1EEEvSF_,"axG",@progbits,_ZN7rocprim17ROCPRIM_400000_NS6detail17trampoline_kernelINS0_13kernel_configILj256ELj4ELj4294967295EEENS1_37radix_sort_block_sort_config_selectorIhlEEZNS1_21radix_sort_block_sortIS4_Lb0EPhS8_N6thrust23THRUST_200600_302600_NS10device_ptrIlEESC_NS0_19identity_decomposerEEE10hipError_tT1_T2_T3_T4_jRjT5_jjP12ihipStream_tbEUlT_E_NS1_11comp_targetILNS1_3genE10ELNS1_11target_archE1200ELNS1_3gpuE4ELNS1_3repE0EEENS1_44radix_sort_block_sort_config_static_selectorELNS0_4arch9wavefront6targetE1EEEvSF_,comdat
.Lfunc_end112:
	.size	_ZN7rocprim17ROCPRIM_400000_NS6detail17trampoline_kernelINS0_13kernel_configILj256ELj4ELj4294967295EEENS1_37radix_sort_block_sort_config_selectorIhlEEZNS1_21radix_sort_block_sortIS4_Lb0EPhS8_N6thrust23THRUST_200600_302600_NS10device_ptrIlEESC_NS0_19identity_decomposerEEE10hipError_tT1_T2_T3_T4_jRjT5_jjP12ihipStream_tbEUlT_E_NS1_11comp_targetILNS1_3genE10ELNS1_11target_archE1200ELNS1_3gpuE4ELNS1_3repE0EEENS1_44radix_sort_block_sort_config_static_selectorELNS0_4arch9wavefront6targetE1EEEvSF_, .Lfunc_end112-_ZN7rocprim17ROCPRIM_400000_NS6detail17trampoline_kernelINS0_13kernel_configILj256ELj4ELj4294967295EEENS1_37radix_sort_block_sort_config_selectorIhlEEZNS1_21radix_sort_block_sortIS4_Lb0EPhS8_N6thrust23THRUST_200600_302600_NS10device_ptrIlEESC_NS0_19identity_decomposerEEE10hipError_tT1_T2_T3_T4_jRjT5_jjP12ihipStream_tbEUlT_E_NS1_11comp_targetILNS1_3genE10ELNS1_11target_archE1200ELNS1_3gpuE4ELNS1_3repE0EEENS1_44radix_sort_block_sort_config_static_selectorELNS0_4arch9wavefront6targetE1EEEvSF_
                                        ; -- End function
	.section	.AMDGPU.csdata,"",@progbits
; Kernel info:
; codeLenInByte = 0
; NumSgprs: 4
; NumVgprs: 0
; NumAgprs: 0
; TotalNumVgprs: 0
; ScratchSize: 0
; MemoryBound: 0
; FloatMode: 240
; IeeeMode: 1
; LDSByteSize: 0 bytes/workgroup (compile time only)
; SGPRBlocks: 0
; VGPRBlocks: 0
; NumSGPRsForWavesPerEU: 4
; NumVGPRsForWavesPerEU: 1
; AccumOffset: 4
; Occupancy: 8
; WaveLimiterHint : 0
; COMPUTE_PGM_RSRC2:SCRATCH_EN: 0
; COMPUTE_PGM_RSRC2:USER_SGPR: 6
; COMPUTE_PGM_RSRC2:TRAP_HANDLER: 0
; COMPUTE_PGM_RSRC2:TGID_X_EN: 1
; COMPUTE_PGM_RSRC2:TGID_Y_EN: 0
; COMPUTE_PGM_RSRC2:TGID_Z_EN: 0
; COMPUTE_PGM_RSRC2:TIDIG_COMP_CNT: 0
; COMPUTE_PGM_RSRC3_GFX90A:ACCUM_OFFSET: 0
; COMPUTE_PGM_RSRC3_GFX90A:TG_SPLIT: 0
	.section	.text._ZN7rocprim17ROCPRIM_400000_NS6detail17trampoline_kernelINS0_13kernel_configILj256ELj4ELj4294967295EEENS1_37radix_sort_block_sort_config_selectorIhlEEZNS1_21radix_sort_block_sortIS4_Lb0EPhS8_N6thrust23THRUST_200600_302600_NS10device_ptrIlEESC_NS0_19identity_decomposerEEE10hipError_tT1_T2_T3_T4_jRjT5_jjP12ihipStream_tbEUlT_E_NS1_11comp_targetILNS1_3genE9ELNS1_11target_archE1100ELNS1_3gpuE3ELNS1_3repE0EEENS1_44radix_sort_block_sort_config_static_selectorELNS0_4arch9wavefront6targetE1EEEvSF_,"axG",@progbits,_ZN7rocprim17ROCPRIM_400000_NS6detail17trampoline_kernelINS0_13kernel_configILj256ELj4ELj4294967295EEENS1_37radix_sort_block_sort_config_selectorIhlEEZNS1_21radix_sort_block_sortIS4_Lb0EPhS8_N6thrust23THRUST_200600_302600_NS10device_ptrIlEESC_NS0_19identity_decomposerEEE10hipError_tT1_T2_T3_T4_jRjT5_jjP12ihipStream_tbEUlT_E_NS1_11comp_targetILNS1_3genE9ELNS1_11target_archE1100ELNS1_3gpuE3ELNS1_3repE0EEENS1_44radix_sort_block_sort_config_static_selectorELNS0_4arch9wavefront6targetE1EEEvSF_,comdat
	.protected	_ZN7rocprim17ROCPRIM_400000_NS6detail17trampoline_kernelINS0_13kernel_configILj256ELj4ELj4294967295EEENS1_37radix_sort_block_sort_config_selectorIhlEEZNS1_21radix_sort_block_sortIS4_Lb0EPhS8_N6thrust23THRUST_200600_302600_NS10device_ptrIlEESC_NS0_19identity_decomposerEEE10hipError_tT1_T2_T3_T4_jRjT5_jjP12ihipStream_tbEUlT_E_NS1_11comp_targetILNS1_3genE9ELNS1_11target_archE1100ELNS1_3gpuE3ELNS1_3repE0EEENS1_44radix_sort_block_sort_config_static_selectorELNS0_4arch9wavefront6targetE1EEEvSF_ ; -- Begin function _ZN7rocprim17ROCPRIM_400000_NS6detail17trampoline_kernelINS0_13kernel_configILj256ELj4ELj4294967295EEENS1_37radix_sort_block_sort_config_selectorIhlEEZNS1_21radix_sort_block_sortIS4_Lb0EPhS8_N6thrust23THRUST_200600_302600_NS10device_ptrIlEESC_NS0_19identity_decomposerEEE10hipError_tT1_T2_T3_T4_jRjT5_jjP12ihipStream_tbEUlT_E_NS1_11comp_targetILNS1_3genE9ELNS1_11target_archE1100ELNS1_3gpuE3ELNS1_3repE0EEENS1_44radix_sort_block_sort_config_static_selectorELNS0_4arch9wavefront6targetE1EEEvSF_
	.globl	_ZN7rocprim17ROCPRIM_400000_NS6detail17trampoline_kernelINS0_13kernel_configILj256ELj4ELj4294967295EEENS1_37radix_sort_block_sort_config_selectorIhlEEZNS1_21radix_sort_block_sortIS4_Lb0EPhS8_N6thrust23THRUST_200600_302600_NS10device_ptrIlEESC_NS0_19identity_decomposerEEE10hipError_tT1_T2_T3_T4_jRjT5_jjP12ihipStream_tbEUlT_E_NS1_11comp_targetILNS1_3genE9ELNS1_11target_archE1100ELNS1_3gpuE3ELNS1_3repE0EEENS1_44radix_sort_block_sort_config_static_selectorELNS0_4arch9wavefront6targetE1EEEvSF_
	.p2align	8
	.type	_ZN7rocprim17ROCPRIM_400000_NS6detail17trampoline_kernelINS0_13kernel_configILj256ELj4ELj4294967295EEENS1_37radix_sort_block_sort_config_selectorIhlEEZNS1_21radix_sort_block_sortIS4_Lb0EPhS8_N6thrust23THRUST_200600_302600_NS10device_ptrIlEESC_NS0_19identity_decomposerEEE10hipError_tT1_T2_T3_T4_jRjT5_jjP12ihipStream_tbEUlT_E_NS1_11comp_targetILNS1_3genE9ELNS1_11target_archE1100ELNS1_3gpuE3ELNS1_3repE0EEENS1_44radix_sort_block_sort_config_static_selectorELNS0_4arch9wavefront6targetE1EEEvSF_,@function
_ZN7rocprim17ROCPRIM_400000_NS6detail17trampoline_kernelINS0_13kernel_configILj256ELj4ELj4294967295EEENS1_37radix_sort_block_sort_config_selectorIhlEEZNS1_21radix_sort_block_sortIS4_Lb0EPhS8_N6thrust23THRUST_200600_302600_NS10device_ptrIlEESC_NS0_19identity_decomposerEEE10hipError_tT1_T2_T3_T4_jRjT5_jjP12ihipStream_tbEUlT_E_NS1_11comp_targetILNS1_3genE9ELNS1_11target_archE1100ELNS1_3gpuE3ELNS1_3repE0EEENS1_44radix_sort_block_sort_config_static_selectorELNS0_4arch9wavefront6targetE1EEEvSF_: ; @_ZN7rocprim17ROCPRIM_400000_NS6detail17trampoline_kernelINS0_13kernel_configILj256ELj4ELj4294967295EEENS1_37radix_sort_block_sort_config_selectorIhlEEZNS1_21radix_sort_block_sortIS4_Lb0EPhS8_N6thrust23THRUST_200600_302600_NS10device_ptrIlEESC_NS0_19identity_decomposerEEE10hipError_tT1_T2_T3_T4_jRjT5_jjP12ihipStream_tbEUlT_E_NS1_11comp_targetILNS1_3genE9ELNS1_11target_archE1100ELNS1_3gpuE3ELNS1_3repE0EEENS1_44radix_sort_block_sort_config_static_selectorELNS0_4arch9wavefront6targetE1EEEvSF_
; %bb.0:
	.section	.rodata,"a",@progbits
	.p2align	6, 0x0
	.amdhsa_kernel _ZN7rocprim17ROCPRIM_400000_NS6detail17trampoline_kernelINS0_13kernel_configILj256ELj4ELj4294967295EEENS1_37radix_sort_block_sort_config_selectorIhlEEZNS1_21radix_sort_block_sortIS4_Lb0EPhS8_N6thrust23THRUST_200600_302600_NS10device_ptrIlEESC_NS0_19identity_decomposerEEE10hipError_tT1_T2_T3_T4_jRjT5_jjP12ihipStream_tbEUlT_E_NS1_11comp_targetILNS1_3genE9ELNS1_11target_archE1100ELNS1_3gpuE3ELNS1_3repE0EEENS1_44radix_sort_block_sort_config_static_selectorELNS0_4arch9wavefront6targetE1EEEvSF_
		.amdhsa_group_segment_fixed_size 0
		.amdhsa_private_segment_fixed_size 0
		.amdhsa_kernarg_size 48
		.amdhsa_user_sgpr_count 6
		.amdhsa_user_sgpr_private_segment_buffer 1
		.amdhsa_user_sgpr_dispatch_ptr 0
		.amdhsa_user_sgpr_queue_ptr 0
		.amdhsa_user_sgpr_kernarg_segment_ptr 1
		.amdhsa_user_sgpr_dispatch_id 0
		.amdhsa_user_sgpr_flat_scratch_init 0
		.amdhsa_user_sgpr_kernarg_preload_length 0
		.amdhsa_user_sgpr_kernarg_preload_offset 0
		.amdhsa_user_sgpr_private_segment_size 0
		.amdhsa_uses_dynamic_stack 0
		.amdhsa_system_sgpr_private_segment_wavefront_offset 0
		.amdhsa_system_sgpr_workgroup_id_x 1
		.amdhsa_system_sgpr_workgroup_id_y 0
		.amdhsa_system_sgpr_workgroup_id_z 0
		.amdhsa_system_sgpr_workgroup_info 0
		.amdhsa_system_vgpr_workitem_id 0
		.amdhsa_next_free_vgpr 1
		.amdhsa_next_free_sgpr 0
		.amdhsa_accum_offset 4
		.amdhsa_reserve_vcc 0
		.amdhsa_reserve_flat_scratch 0
		.amdhsa_float_round_mode_32 0
		.amdhsa_float_round_mode_16_64 0
		.amdhsa_float_denorm_mode_32 3
		.amdhsa_float_denorm_mode_16_64 3
		.amdhsa_dx10_clamp 1
		.amdhsa_ieee_mode 1
		.amdhsa_fp16_overflow 0
		.amdhsa_tg_split 0
		.amdhsa_exception_fp_ieee_invalid_op 0
		.amdhsa_exception_fp_denorm_src 0
		.amdhsa_exception_fp_ieee_div_zero 0
		.amdhsa_exception_fp_ieee_overflow 0
		.amdhsa_exception_fp_ieee_underflow 0
		.amdhsa_exception_fp_ieee_inexact 0
		.amdhsa_exception_int_div_zero 0
	.end_amdhsa_kernel
	.section	.text._ZN7rocprim17ROCPRIM_400000_NS6detail17trampoline_kernelINS0_13kernel_configILj256ELj4ELj4294967295EEENS1_37radix_sort_block_sort_config_selectorIhlEEZNS1_21radix_sort_block_sortIS4_Lb0EPhS8_N6thrust23THRUST_200600_302600_NS10device_ptrIlEESC_NS0_19identity_decomposerEEE10hipError_tT1_T2_T3_T4_jRjT5_jjP12ihipStream_tbEUlT_E_NS1_11comp_targetILNS1_3genE9ELNS1_11target_archE1100ELNS1_3gpuE3ELNS1_3repE0EEENS1_44radix_sort_block_sort_config_static_selectorELNS0_4arch9wavefront6targetE1EEEvSF_,"axG",@progbits,_ZN7rocprim17ROCPRIM_400000_NS6detail17trampoline_kernelINS0_13kernel_configILj256ELj4ELj4294967295EEENS1_37radix_sort_block_sort_config_selectorIhlEEZNS1_21radix_sort_block_sortIS4_Lb0EPhS8_N6thrust23THRUST_200600_302600_NS10device_ptrIlEESC_NS0_19identity_decomposerEEE10hipError_tT1_T2_T3_T4_jRjT5_jjP12ihipStream_tbEUlT_E_NS1_11comp_targetILNS1_3genE9ELNS1_11target_archE1100ELNS1_3gpuE3ELNS1_3repE0EEENS1_44radix_sort_block_sort_config_static_selectorELNS0_4arch9wavefront6targetE1EEEvSF_,comdat
.Lfunc_end113:
	.size	_ZN7rocprim17ROCPRIM_400000_NS6detail17trampoline_kernelINS0_13kernel_configILj256ELj4ELj4294967295EEENS1_37radix_sort_block_sort_config_selectorIhlEEZNS1_21radix_sort_block_sortIS4_Lb0EPhS8_N6thrust23THRUST_200600_302600_NS10device_ptrIlEESC_NS0_19identity_decomposerEEE10hipError_tT1_T2_T3_T4_jRjT5_jjP12ihipStream_tbEUlT_E_NS1_11comp_targetILNS1_3genE9ELNS1_11target_archE1100ELNS1_3gpuE3ELNS1_3repE0EEENS1_44radix_sort_block_sort_config_static_selectorELNS0_4arch9wavefront6targetE1EEEvSF_, .Lfunc_end113-_ZN7rocprim17ROCPRIM_400000_NS6detail17trampoline_kernelINS0_13kernel_configILj256ELj4ELj4294967295EEENS1_37radix_sort_block_sort_config_selectorIhlEEZNS1_21radix_sort_block_sortIS4_Lb0EPhS8_N6thrust23THRUST_200600_302600_NS10device_ptrIlEESC_NS0_19identity_decomposerEEE10hipError_tT1_T2_T3_T4_jRjT5_jjP12ihipStream_tbEUlT_E_NS1_11comp_targetILNS1_3genE9ELNS1_11target_archE1100ELNS1_3gpuE3ELNS1_3repE0EEENS1_44radix_sort_block_sort_config_static_selectorELNS0_4arch9wavefront6targetE1EEEvSF_
                                        ; -- End function
	.section	.AMDGPU.csdata,"",@progbits
; Kernel info:
; codeLenInByte = 0
; NumSgprs: 4
; NumVgprs: 0
; NumAgprs: 0
; TotalNumVgprs: 0
; ScratchSize: 0
; MemoryBound: 0
; FloatMode: 240
; IeeeMode: 1
; LDSByteSize: 0 bytes/workgroup (compile time only)
; SGPRBlocks: 0
; VGPRBlocks: 0
; NumSGPRsForWavesPerEU: 4
; NumVGPRsForWavesPerEU: 1
; AccumOffset: 4
; Occupancy: 8
; WaveLimiterHint : 0
; COMPUTE_PGM_RSRC2:SCRATCH_EN: 0
; COMPUTE_PGM_RSRC2:USER_SGPR: 6
; COMPUTE_PGM_RSRC2:TRAP_HANDLER: 0
; COMPUTE_PGM_RSRC2:TGID_X_EN: 1
; COMPUTE_PGM_RSRC2:TGID_Y_EN: 0
; COMPUTE_PGM_RSRC2:TGID_Z_EN: 0
; COMPUTE_PGM_RSRC2:TIDIG_COMP_CNT: 0
; COMPUTE_PGM_RSRC3_GFX90A:ACCUM_OFFSET: 0
; COMPUTE_PGM_RSRC3_GFX90A:TG_SPLIT: 0
	.section	.text._ZN7rocprim17ROCPRIM_400000_NS6detail17trampoline_kernelINS0_13kernel_configILj256ELj4ELj4294967295EEENS1_37radix_sort_block_sort_config_selectorIhlEEZNS1_21radix_sort_block_sortIS4_Lb0EPhS8_N6thrust23THRUST_200600_302600_NS10device_ptrIlEESC_NS0_19identity_decomposerEEE10hipError_tT1_T2_T3_T4_jRjT5_jjP12ihipStream_tbEUlT_E_NS1_11comp_targetILNS1_3genE8ELNS1_11target_archE1030ELNS1_3gpuE2ELNS1_3repE0EEENS1_44radix_sort_block_sort_config_static_selectorELNS0_4arch9wavefront6targetE1EEEvSF_,"axG",@progbits,_ZN7rocprim17ROCPRIM_400000_NS6detail17trampoline_kernelINS0_13kernel_configILj256ELj4ELj4294967295EEENS1_37radix_sort_block_sort_config_selectorIhlEEZNS1_21radix_sort_block_sortIS4_Lb0EPhS8_N6thrust23THRUST_200600_302600_NS10device_ptrIlEESC_NS0_19identity_decomposerEEE10hipError_tT1_T2_T3_T4_jRjT5_jjP12ihipStream_tbEUlT_E_NS1_11comp_targetILNS1_3genE8ELNS1_11target_archE1030ELNS1_3gpuE2ELNS1_3repE0EEENS1_44radix_sort_block_sort_config_static_selectorELNS0_4arch9wavefront6targetE1EEEvSF_,comdat
	.protected	_ZN7rocprim17ROCPRIM_400000_NS6detail17trampoline_kernelINS0_13kernel_configILj256ELj4ELj4294967295EEENS1_37radix_sort_block_sort_config_selectorIhlEEZNS1_21radix_sort_block_sortIS4_Lb0EPhS8_N6thrust23THRUST_200600_302600_NS10device_ptrIlEESC_NS0_19identity_decomposerEEE10hipError_tT1_T2_T3_T4_jRjT5_jjP12ihipStream_tbEUlT_E_NS1_11comp_targetILNS1_3genE8ELNS1_11target_archE1030ELNS1_3gpuE2ELNS1_3repE0EEENS1_44radix_sort_block_sort_config_static_selectorELNS0_4arch9wavefront6targetE1EEEvSF_ ; -- Begin function _ZN7rocprim17ROCPRIM_400000_NS6detail17trampoline_kernelINS0_13kernel_configILj256ELj4ELj4294967295EEENS1_37radix_sort_block_sort_config_selectorIhlEEZNS1_21radix_sort_block_sortIS4_Lb0EPhS8_N6thrust23THRUST_200600_302600_NS10device_ptrIlEESC_NS0_19identity_decomposerEEE10hipError_tT1_T2_T3_T4_jRjT5_jjP12ihipStream_tbEUlT_E_NS1_11comp_targetILNS1_3genE8ELNS1_11target_archE1030ELNS1_3gpuE2ELNS1_3repE0EEENS1_44radix_sort_block_sort_config_static_selectorELNS0_4arch9wavefront6targetE1EEEvSF_
	.globl	_ZN7rocprim17ROCPRIM_400000_NS6detail17trampoline_kernelINS0_13kernel_configILj256ELj4ELj4294967295EEENS1_37radix_sort_block_sort_config_selectorIhlEEZNS1_21radix_sort_block_sortIS4_Lb0EPhS8_N6thrust23THRUST_200600_302600_NS10device_ptrIlEESC_NS0_19identity_decomposerEEE10hipError_tT1_T2_T3_T4_jRjT5_jjP12ihipStream_tbEUlT_E_NS1_11comp_targetILNS1_3genE8ELNS1_11target_archE1030ELNS1_3gpuE2ELNS1_3repE0EEENS1_44radix_sort_block_sort_config_static_selectorELNS0_4arch9wavefront6targetE1EEEvSF_
	.p2align	8
	.type	_ZN7rocprim17ROCPRIM_400000_NS6detail17trampoline_kernelINS0_13kernel_configILj256ELj4ELj4294967295EEENS1_37radix_sort_block_sort_config_selectorIhlEEZNS1_21radix_sort_block_sortIS4_Lb0EPhS8_N6thrust23THRUST_200600_302600_NS10device_ptrIlEESC_NS0_19identity_decomposerEEE10hipError_tT1_T2_T3_T4_jRjT5_jjP12ihipStream_tbEUlT_E_NS1_11comp_targetILNS1_3genE8ELNS1_11target_archE1030ELNS1_3gpuE2ELNS1_3repE0EEENS1_44radix_sort_block_sort_config_static_selectorELNS0_4arch9wavefront6targetE1EEEvSF_,@function
_ZN7rocprim17ROCPRIM_400000_NS6detail17trampoline_kernelINS0_13kernel_configILj256ELj4ELj4294967295EEENS1_37radix_sort_block_sort_config_selectorIhlEEZNS1_21radix_sort_block_sortIS4_Lb0EPhS8_N6thrust23THRUST_200600_302600_NS10device_ptrIlEESC_NS0_19identity_decomposerEEE10hipError_tT1_T2_T3_T4_jRjT5_jjP12ihipStream_tbEUlT_E_NS1_11comp_targetILNS1_3genE8ELNS1_11target_archE1030ELNS1_3gpuE2ELNS1_3repE0EEENS1_44radix_sort_block_sort_config_static_selectorELNS0_4arch9wavefront6targetE1EEEvSF_: ; @_ZN7rocprim17ROCPRIM_400000_NS6detail17trampoline_kernelINS0_13kernel_configILj256ELj4ELj4294967295EEENS1_37radix_sort_block_sort_config_selectorIhlEEZNS1_21radix_sort_block_sortIS4_Lb0EPhS8_N6thrust23THRUST_200600_302600_NS10device_ptrIlEESC_NS0_19identity_decomposerEEE10hipError_tT1_T2_T3_T4_jRjT5_jjP12ihipStream_tbEUlT_E_NS1_11comp_targetILNS1_3genE8ELNS1_11target_archE1030ELNS1_3gpuE2ELNS1_3repE0EEENS1_44radix_sort_block_sort_config_static_selectorELNS0_4arch9wavefront6targetE1EEEvSF_
; %bb.0:
	.section	.rodata,"a",@progbits
	.p2align	6, 0x0
	.amdhsa_kernel _ZN7rocprim17ROCPRIM_400000_NS6detail17trampoline_kernelINS0_13kernel_configILj256ELj4ELj4294967295EEENS1_37radix_sort_block_sort_config_selectorIhlEEZNS1_21radix_sort_block_sortIS4_Lb0EPhS8_N6thrust23THRUST_200600_302600_NS10device_ptrIlEESC_NS0_19identity_decomposerEEE10hipError_tT1_T2_T3_T4_jRjT5_jjP12ihipStream_tbEUlT_E_NS1_11comp_targetILNS1_3genE8ELNS1_11target_archE1030ELNS1_3gpuE2ELNS1_3repE0EEENS1_44radix_sort_block_sort_config_static_selectorELNS0_4arch9wavefront6targetE1EEEvSF_
		.amdhsa_group_segment_fixed_size 0
		.amdhsa_private_segment_fixed_size 0
		.amdhsa_kernarg_size 48
		.amdhsa_user_sgpr_count 6
		.amdhsa_user_sgpr_private_segment_buffer 1
		.amdhsa_user_sgpr_dispatch_ptr 0
		.amdhsa_user_sgpr_queue_ptr 0
		.amdhsa_user_sgpr_kernarg_segment_ptr 1
		.amdhsa_user_sgpr_dispatch_id 0
		.amdhsa_user_sgpr_flat_scratch_init 0
		.amdhsa_user_sgpr_kernarg_preload_length 0
		.amdhsa_user_sgpr_kernarg_preload_offset 0
		.amdhsa_user_sgpr_private_segment_size 0
		.amdhsa_uses_dynamic_stack 0
		.amdhsa_system_sgpr_private_segment_wavefront_offset 0
		.amdhsa_system_sgpr_workgroup_id_x 1
		.amdhsa_system_sgpr_workgroup_id_y 0
		.amdhsa_system_sgpr_workgroup_id_z 0
		.amdhsa_system_sgpr_workgroup_info 0
		.amdhsa_system_vgpr_workitem_id 0
		.amdhsa_next_free_vgpr 1
		.amdhsa_next_free_sgpr 0
		.amdhsa_accum_offset 4
		.amdhsa_reserve_vcc 0
		.amdhsa_reserve_flat_scratch 0
		.amdhsa_float_round_mode_32 0
		.amdhsa_float_round_mode_16_64 0
		.amdhsa_float_denorm_mode_32 3
		.amdhsa_float_denorm_mode_16_64 3
		.amdhsa_dx10_clamp 1
		.amdhsa_ieee_mode 1
		.amdhsa_fp16_overflow 0
		.amdhsa_tg_split 0
		.amdhsa_exception_fp_ieee_invalid_op 0
		.amdhsa_exception_fp_denorm_src 0
		.amdhsa_exception_fp_ieee_div_zero 0
		.amdhsa_exception_fp_ieee_overflow 0
		.amdhsa_exception_fp_ieee_underflow 0
		.amdhsa_exception_fp_ieee_inexact 0
		.amdhsa_exception_int_div_zero 0
	.end_amdhsa_kernel
	.section	.text._ZN7rocprim17ROCPRIM_400000_NS6detail17trampoline_kernelINS0_13kernel_configILj256ELj4ELj4294967295EEENS1_37radix_sort_block_sort_config_selectorIhlEEZNS1_21radix_sort_block_sortIS4_Lb0EPhS8_N6thrust23THRUST_200600_302600_NS10device_ptrIlEESC_NS0_19identity_decomposerEEE10hipError_tT1_T2_T3_T4_jRjT5_jjP12ihipStream_tbEUlT_E_NS1_11comp_targetILNS1_3genE8ELNS1_11target_archE1030ELNS1_3gpuE2ELNS1_3repE0EEENS1_44radix_sort_block_sort_config_static_selectorELNS0_4arch9wavefront6targetE1EEEvSF_,"axG",@progbits,_ZN7rocprim17ROCPRIM_400000_NS6detail17trampoline_kernelINS0_13kernel_configILj256ELj4ELj4294967295EEENS1_37radix_sort_block_sort_config_selectorIhlEEZNS1_21radix_sort_block_sortIS4_Lb0EPhS8_N6thrust23THRUST_200600_302600_NS10device_ptrIlEESC_NS0_19identity_decomposerEEE10hipError_tT1_T2_T3_T4_jRjT5_jjP12ihipStream_tbEUlT_E_NS1_11comp_targetILNS1_3genE8ELNS1_11target_archE1030ELNS1_3gpuE2ELNS1_3repE0EEENS1_44radix_sort_block_sort_config_static_selectorELNS0_4arch9wavefront6targetE1EEEvSF_,comdat
.Lfunc_end114:
	.size	_ZN7rocprim17ROCPRIM_400000_NS6detail17trampoline_kernelINS0_13kernel_configILj256ELj4ELj4294967295EEENS1_37radix_sort_block_sort_config_selectorIhlEEZNS1_21radix_sort_block_sortIS4_Lb0EPhS8_N6thrust23THRUST_200600_302600_NS10device_ptrIlEESC_NS0_19identity_decomposerEEE10hipError_tT1_T2_T3_T4_jRjT5_jjP12ihipStream_tbEUlT_E_NS1_11comp_targetILNS1_3genE8ELNS1_11target_archE1030ELNS1_3gpuE2ELNS1_3repE0EEENS1_44radix_sort_block_sort_config_static_selectorELNS0_4arch9wavefront6targetE1EEEvSF_, .Lfunc_end114-_ZN7rocprim17ROCPRIM_400000_NS6detail17trampoline_kernelINS0_13kernel_configILj256ELj4ELj4294967295EEENS1_37radix_sort_block_sort_config_selectorIhlEEZNS1_21radix_sort_block_sortIS4_Lb0EPhS8_N6thrust23THRUST_200600_302600_NS10device_ptrIlEESC_NS0_19identity_decomposerEEE10hipError_tT1_T2_T3_T4_jRjT5_jjP12ihipStream_tbEUlT_E_NS1_11comp_targetILNS1_3genE8ELNS1_11target_archE1030ELNS1_3gpuE2ELNS1_3repE0EEENS1_44radix_sort_block_sort_config_static_selectorELNS0_4arch9wavefront6targetE1EEEvSF_
                                        ; -- End function
	.section	.AMDGPU.csdata,"",@progbits
; Kernel info:
; codeLenInByte = 0
; NumSgprs: 4
; NumVgprs: 0
; NumAgprs: 0
; TotalNumVgprs: 0
; ScratchSize: 0
; MemoryBound: 0
; FloatMode: 240
; IeeeMode: 1
; LDSByteSize: 0 bytes/workgroup (compile time only)
; SGPRBlocks: 0
; VGPRBlocks: 0
; NumSGPRsForWavesPerEU: 4
; NumVGPRsForWavesPerEU: 1
; AccumOffset: 4
; Occupancy: 8
; WaveLimiterHint : 0
; COMPUTE_PGM_RSRC2:SCRATCH_EN: 0
; COMPUTE_PGM_RSRC2:USER_SGPR: 6
; COMPUTE_PGM_RSRC2:TRAP_HANDLER: 0
; COMPUTE_PGM_RSRC2:TGID_X_EN: 1
; COMPUTE_PGM_RSRC2:TGID_Y_EN: 0
; COMPUTE_PGM_RSRC2:TGID_Z_EN: 0
; COMPUTE_PGM_RSRC2:TIDIG_COMP_CNT: 0
; COMPUTE_PGM_RSRC3_GFX90A:ACCUM_OFFSET: 0
; COMPUTE_PGM_RSRC3_GFX90A:TG_SPLIT: 0
	.section	.text._ZN7rocprim17ROCPRIM_400000_NS6detail44device_merge_sort_compile_time_verifier_archINS1_11comp_targetILNS1_3genE0ELNS1_11target_archE4294967295ELNS1_3gpuE0ELNS1_3repE0EEES8_NS1_28merge_sort_block_sort_configILj256ELj4ELNS0_20block_sort_algorithmE0EEENS0_14default_configENS1_37merge_sort_block_sort_config_selectorIhlEENS1_38merge_sort_block_merge_config_selectorIhlEEEEvv,"axG",@progbits,_ZN7rocprim17ROCPRIM_400000_NS6detail44device_merge_sort_compile_time_verifier_archINS1_11comp_targetILNS1_3genE0ELNS1_11target_archE4294967295ELNS1_3gpuE0ELNS1_3repE0EEES8_NS1_28merge_sort_block_sort_configILj256ELj4ELNS0_20block_sort_algorithmE0EEENS0_14default_configENS1_37merge_sort_block_sort_config_selectorIhlEENS1_38merge_sort_block_merge_config_selectorIhlEEEEvv,comdat
	.protected	_ZN7rocprim17ROCPRIM_400000_NS6detail44device_merge_sort_compile_time_verifier_archINS1_11comp_targetILNS1_3genE0ELNS1_11target_archE4294967295ELNS1_3gpuE0ELNS1_3repE0EEES8_NS1_28merge_sort_block_sort_configILj256ELj4ELNS0_20block_sort_algorithmE0EEENS0_14default_configENS1_37merge_sort_block_sort_config_selectorIhlEENS1_38merge_sort_block_merge_config_selectorIhlEEEEvv ; -- Begin function _ZN7rocprim17ROCPRIM_400000_NS6detail44device_merge_sort_compile_time_verifier_archINS1_11comp_targetILNS1_3genE0ELNS1_11target_archE4294967295ELNS1_3gpuE0ELNS1_3repE0EEES8_NS1_28merge_sort_block_sort_configILj256ELj4ELNS0_20block_sort_algorithmE0EEENS0_14default_configENS1_37merge_sort_block_sort_config_selectorIhlEENS1_38merge_sort_block_merge_config_selectorIhlEEEEvv
	.globl	_ZN7rocprim17ROCPRIM_400000_NS6detail44device_merge_sort_compile_time_verifier_archINS1_11comp_targetILNS1_3genE0ELNS1_11target_archE4294967295ELNS1_3gpuE0ELNS1_3repE0EEES8_NS1_28merge_sort_block_sort_configILj256ELj4ELNS0_20block_sort_algorithmE0EEENS0_14default_configENS1_37merge_sort_block_sort_config_selectorIhlEENS1_38merge_sort_block_merge_config_selectorIhlEEEEvv
	.p2align	8
	.type	_ZN7rocprim17ROCPRIM_400000_NS6detail44device_merge_sort_compile_time_verifier_archINS1_11comp_targetILNS1_3genE0ELNS1_11target_archE4294967295ELNS1_3gpuE0ELNS1_3repE0EEES8_NS1_28merge_sort_block_sort_configILj256ELj4ELNS0_20block_sort_algorithmE0EEENS0_14default_configENS1_37merge_sort_block_sort_config_selectorIhlEENS1_38merge_sort_block_merge_config_selectorIhlEEEEvv,@function
_ZN7rocprim17ROCPRIM_400000_NS6detail44device_merge_sort_compile_time_verifier_archINS1_11comp_targetILNS1_3genE0ELNS1_11target_archE4294967295ELNS1_3gpuE0ELNS1_3repE0EEES8_NS1_28merge_sort_block_sort_configILj256ELj4ELNS0_20block_sort_algorithmE0EEENS0_14default_configENS1_37merge_sort_block_sort_config_selectorIhlEENS1_38merge_sort_block_merge_config_selectorIhlEEEEvv: ; @_ZN7rocprim17ROCPRIM_400000_NS6detail44device_merge_sort_compile_time_verifier_archINS1_11comp_targetILNS1_3genE0ELNS1_11target_archE4294967295ELNS1_3gpuE0ELNS1_3repE0EEES8_NS1_28merge_sort_block_sort_configILj256ELj4ELNS0_20block_sort_algorithmE0EEENS0_14default_configENS1_37merge_sort_block_sort_config_selectorIhlEENS1_38merge_sort_block_merge_config_selectorIhlEEEEvv
; %bb.0:
	s_endpgm
	.section	.rodata,"a",@progbits
	.p2align	6, 0x0
	.amdhsa_kernel _ZN7rocprim17ROCPRIM_400000_NS6detail44device_merge_sort_compile_time_verifier_archINS1_11comp_targetILNS1_3genE0ELNS1_11target_archE4294967295ELNS1_3gpuE0ELNS1_3repE0EEES8_NS1_28merge_sort_block_sort_configILj256ELj4ELNS0_20block_sort_algorithmE0EEENS0_14default_configENS1_37merge_sort_block_sort_config_selectorIhlEENS1_38merge_sort_block_merge_config_selectorIhlEEEEvv
		.amdhsa_group_segment_fixed_size 0
		.amdhsa_private_segment_fixed_size 0
		.amdhsa_kernarg_size 0
		.amdhsa_user_sgpr_count 4
		.amdhsa_user_sgpr_private_segment_buffer 1
		.amdhsa_user_sgpr_dispatch_ptr 0
		.amdhsa_user_sgpr_queue_ptr 0
		.amdhsa_user_sgpr_kernarg_segment_ptr 0
		.amdhsa_user_sgpr_dispatch_id 0
		.amdhsa_user_sgpr_flat_scratch_init 0
		.amdhsa_user_sgpr_kernarg_preload_length 0
		.amdhsa_user_sgpr_kernarg_preload_offset 0
		.amdhsa_user_sgpr_private_segment_size 0
		.amdhsa_uses_dynamic_stack 0
		.amdhsa_system_sgpr_private_segment_wavefront_offset 0
		.amdhsa_system_sgpr_workgroup_id_x 1
		.amdhsa_system_sgpr_workgroup_id_y 0
		.amdhsa_system_sgpr_workgroup_id_z 0
		.amdhsa_system_sgpr_workgroup_info 0
		.amdhsa_system_vgpr_workitem_id 0
		.amdhsa_next_free_vgpr 1
		.amdhsa_next_free_sgpr 0
		.amdhsa_accum_offset 4
		.amdhsa_reserve_vcc 0
		.amdhsa_reserve_flat_scratch 0
		.amdhsa_float_round_mode_32 0
		.amdhsa_float_round_mode_16_64 0
		.amdhsa_float_denorm_mode_32 3
		.amdhsa_float_denorm_mode_16_64 3
		.amdhsa_dx10_clamp 1
		.amdhsa_ieee_mode 1
		.amdhsa_fp16_overflow 0
		.amdhsa_tg_split 0
		.amdhsa_exception_fp_ieee_invalid_op 0
		.amdhsa_exception_fp_denorm_src 0
		.amdhsa_exception_fp_ieee_div_zero 0
		.amdhsa_exception_fp_ieee_overflow 0
		.amdhsa_exception_fp_ieee_underflow 0
		.amdhsa_exception_fp_ieee_inexact 0
		.amdhsa_exception_int_div_zero 0
	.end_amdhsa_kernel
	.section	.text._ZN7rocprim17ROCPRIM_400000_NS6detail44device_merge_sort_compile_time_verifier_archINS1_11comp_targetILNS1_3genE0ELNS1_11target_archE4294967295ELNS1_3gpuE0ELNS1_3repE0EEES8_NS1_28merge_sort_block_sort_configILj256ELj4ELNS0_20block_sort_algorithmE0EEENS0_14default_configENS1_37merge_sort_block_sort_config_selectorIhlEENS1_38merge_sort_block_merge_config_selectorIhlEEEEvv,"axG",@progbits,_ZN7rocprim17ROCPRIM_400000_NS6detail44device_merge_sort_compile_time_verifier_archINS1_11comp_targetILNS1_3genE0ELNS1_11target_archE4294967295ELNS1_3gpuE0ELNS1_3repE0EEES8_NS1_28merge_sort_block_sort_configILj256ELj4ELNS0_20block_sort_algorithmE0EEENS0_14default_configENS1_37merge_sort_block_sort_config_selectorIhlEENS1_38merge_sort_block_merge_config_selectorIhlEEEEvv,comdat
.Lfunc_end115:
	.size	_ZN7rocprim17ROCPRIM_400000_NS6detail44device_merge_sort_compile_time_verifier_archINS1_11comp_targetILNS1_3genE0ELNS1_11target_archE4294967295ELNS1_3gpuE0ELNS1_3repE0EEES8_NS1_28merge_sort_block_sort_configILj256ELj4ELNS0_20block_sort_algorithmE0EEENS0_14default_configENS1_37merge_sort_block_sort_config_selectorIhlEENS1_38merge_sort_block_merge_config_selectorIhlEEEEvv, .Lfunc_end115-_ZN7rocprim17ROCPRIM_400000_NS6detail44device_merge_sort_compile_time_verifier_archINS1_11comp_targetILNS1_3genE0ELNS1_11target_archE4294967295ELNS1_3gpuE0ELNS1_3repE0EEES8_NS1_28merge_sort_block_sort_configILj256ELj4ELNS0_20block_sort_algorithmE0EEENS0_14default_configENS1_37merge_sort_block_sort_config_selectorIhlEENS1_38merge_sort_block_merge_config_selectorIhlEEEEvv
                                        ; -- End function
	.section	.AMDGPU.csdata,"",@progbits
; Kernel info:
; codeLenInByte = 4
; NumSgprs: 4
; NumVgprs: 0
; NumAgprs: 0
; TotalNumVgprs: 0
; ScratchSize: 0
; MemoryBound: 0
; FloatMode: 240
; IeeeMode: 1
; LDSByteSize: 0 bytes/workgroup (compile time only)
; SGPRBlocks: 0
; VGPRBlocks: 0
; NumSGPRsForWavesPerEU: 4
; NumVGPRsForWavesPerEU: 1
; AccumOffset: 4
; Occupancy: 8
; WaveLimiterHint : 0
; COMPUTE_PGM_RSRC2:SCRATCH_EN: 0
; COMPUTE_PGM_RSRC2:USER_SGPR: 4
; COMPUTE_PGM_RSRC2:TRAP_HANDLER: 0
; COMPUTE_PGM_RSRC2:TGID_X_EN: 1
; COMPUTE_PGM_RSRC2:TGID_Y_EN: 0
; COMPUTE_PGM_RSRC2:TGID_Z_EN: 0
; COMPUTE_PGM_RSRC2:TIDIG_COMP_CNT: 0
; COMPUTE_PGM_RSRC3_GFX90A:ACCUM_OFFSET: 0
; COMPUTE_PGM_RSRC3_GFX90A:TG_SPLIT: 0
	.section	.text._ZN7rocprim17ROCPRIM_400000_NS6detail44device_merge_sort_compile_time_verifier_archINS1_11comp_targetILNS1_3genE5ELNS1_11target_archE942ELNS1_3gpuE9ELNS1_3repE0EEES8_NS1_28merge_sort_block_sort_configILj256ELj4ELNS0_20block_sort_algorithmE0EEENS0_14default_configENS1_37merge_sort_block_sort_config_selectorIhlEENS1_38merge_sort_block_merge_config_selectorIhlEEEEvv,"axG",@progbits,_ZN7rocprim17ROCPRIM_400000_NS6detail44device_merge_sort_compile_time_verifier_archINS1_11comp_targetILNS1_3genE5ELNS1_11target_archE942ELNS1_3gpuE9ELNS1_3repE0EEES8_NS1_28merge_sort_block_sort_configILj256ELj4ELNS0_20block_sort_algorithmE0EEENS0_14default_configENS1_37merge_sort_block_sort_config_selectorIhlEENS1_38merge_sort_block_merge_config_selectorIhlEEEEvv,comdat
	.protected	_ZN7rocprim17ROCPRIM_400000_NS6detail44device_merge_sort_compile_time_verifier_archINS1_11comp_targetILNS1_3genE5ELNS1_11target_archE942ELNS1_3gpuE9ELNS1_3repE0EEES8_NS1_28merge_sort_block_sort_configILj256ELj4ELNS0_20block_sort_algorithmE0EEENS0_14default_configENS1_37merge_sort_block_sort_config_selectorIhlEENS1_38merge_sort_block_merge_config_selectorIhlEEEEvv ; -- Begin function _ZN7rocprim17ROCPRIM_400000_NS6detail44device_merge_sort_compile_time_verifier_archINS1_11comp_targetILNS1_3genE5ELNS1_11target_archE942ELNS1_3gpuE9ELNS1_3repE0EEES8_NS1_28merge_sort_block_sort_configILj256ELj4ELNS0_20block_sort_algorithmE0EEENS0_14default_configENS1_37merge_sort_block_sort_config_selectorIhlEENS1_38merge_sort_block_merge_config_selectorIhlEEEEvv
	.globl	_ZN7rocprim17ROCPRIM_400000_NS6detail44device_merge_sort_compile_time_verifier_archINS1_11comp_targetILNS1_3genE5ELNS1_11target_archE942ELNS1_3gpuE9ELNS1_3repE0EEES8_NS1_28merge_sort_block_sort_configILj256ELj4ELNS0_20block_sort_algorithmE0EEENS0_14default_configENS1_37merge_sort_block_sort_config_selectorIhlEENS1_38merge_sort_block_merge_config_selectorIhlEEEEvv
	.p2align	8
	.type	_ZN7rocprim17ROCPRIM_400000_NS6detail44device_merge_sort_compile_time_verifier_archINS1_11comp_targetILNS1_3genE5ELNS1_11target_archE942ELNS1_3gpuE9ELNS1_3repE0EEES8_NS1_28merge_sort_block_sort_configILj256ELj4ELNS0_20block_sort_algorithmE0EEENS0_14default_configENS1_37merge_sort_block_sort_config_selectorIhlEENS1_38merge_sort_block_merge_config_selectorIhlEEEEvv,@function
_ZN7rocprim17ROCPRIM_400000_NS6detail44device_merge_sort_compile_time_verifier_archINS1_11comp_targetILNS1_3genE5ELNS1_11target_archE942ELNS1_3gpuE9ELNS1_3repE0EEES8_NS1_28merge_sort_block_sort_configILj256ELj4ELNS0_20block_sort_algorithmE0EEENS0_14default_configENS1_37merge_sort_block_sort_config_selectorIhlEENS1_38merge_sort_block_merge_config_selectorIhlEEEEvv: ; @_ZN7rocprim17ROCPRIM_400000_NS6detail44device_merge_sort_compile_time_verifier_archINS1_11comp_targetILNS1_3genE5ELNS1_11target_archE942ELNS1_3gpuE9ELNS1_3repE0EEES8_NS1_28merge_sort_block_sort_configILj256ELj4ELNS0_20block_sort_algorithmE0EEENS0_14default_configENS1_37merge_sort_block_sort_config_selectorIhlEENS1_38merge_sort_block_merge_config_selectorIhlEEEEvv
; %bb.0:
	s_endpgm
	.section	.rodata,"a",@progbits
	.p2align	6, 0x0
	.amdhsa_kernel _ZN7rocprim17ROCPRIM_400000_NS6detail44device_merge_sort_compile_time_verifier_archINS1_11comp_targetILNS1_3genE5ELNS1_11target_archE942ELNS1_3gpuE9ELNS1_3repE0EEES8_NS1_28merge_sort_block_sort_configILj256ELj4ELNS0_20block_sort_algorithmE0EEENS0_14default_configENS1_37merge_sort_block_sort_config_selectorIhlEENS1_38merge_sort_block_merge_config_selectorIhlEEEEvv
		.amdhsa_group_segment_fixed_size 0
		.amdhsa_private_segment_fixed_size 0
		.amdhsa_kernarg_size 0
		.amdhsa_user_sgpr_count 4
		.amdhsa_user_sgpr_private_segment_buffer 1
		.amdhsa_user_sgpr_dispatch_ptr 0
		.amdhsa_user_sgpr_queue_ptr 0
		.amdhsa_user_sgpr_kernarg_segment_ptr 0
		.amdhsa_user_sgpr_dispatch_id 0
		.amdhsa_user_sgpr_flat_scratch_init 0
		.amdhsa_user_sgpr_kernarg_preload_length 0
		.amdhsa_user_sgpr_kernarg_preload_offset 0
		.amdhsa_user_sgpr_private_segment_size 0
		.amdhsa_uses_dynamic_stack 0
		.amdhsa_system_sgpr_private_segment_wavefront_offset 0
		.amdhsa_system_sgpr_workgroup_id_x 1
		.amdhsa_system_sgpr_workgroup_id_y 0
		.amdhsa_system_sgpr_workgroup_id_z 0
		.amdhsa_system_sgpr_workgroup_info 0
		.amdhsa_system_vgpr_workitem_id 0
		.amdhsa_next_free_vgpr 1
		.amdhsa_next_free_sgpr 0
		.amdhsa_accum_offset 4
		.amdhsa_reserve_vcc 0
		.amdhsa_reserve_flat_scratch 0
		.amdhsa_float_round_mode_32 0
		.amdhsa_float_round_mode_16_64 0
		.amdhsa_float_denorm_mode_32 3
		.amdhsa_float_denorm_mode_16_64 3
		.amdhsa_dx10_clamp 1
		.amdhsa_ieee_mode 1
		.amdhsa_fp16_overflow 0
		.amdhsa_tg_split 0
		.amdhsa_exception_fp_ieee_invalid_op 0
		.amdhsa_exception_fp_denorm_src 0
		.amdhsa_exception_fp_ieee_div_zero 0
		.amdhsa_exception_fp_ieee_overflow 0
		.amdhsa_exception_fp_ieee_underflow 0
		.amdhsa_exception_fp_ieee_inexact 0
		.amdhsa_exception_int_div_zero 0
	.end_amdhsa_kernel
	.section	.text._ZN7rocprim17ROCPRIM_400000_NS6detail44device_merge_sort_compile_time_verifier_archINS1_11comp_targetILNS1_3genE5ELNS1_11target_archE942ELNS1_3gpuE9ELNS1_3repE0EEES8_NS1_28merge_sort_block_sort_configILj256ELj4ELNS0_20block_sort_algorithmE0EEENS0_14default_configENS1_37merge_sort_block_sort_config_selectorIhlEENS1_38merge_sort_block_merge_config_selectorIhlEEEEvv,"axG",@progbits,_ZN7rocprim17ROCPRIM_400000_NS6detail44device_merge_sort_compile_time_verifier_archINS1_11comp_targetILNS1_3genE5ELNS1_11target_archE942ELNS1_3gpuE9ELNS1_3repE0EEES8_NS1_28merge_sort_block_sort_configILj256ELj4ELNS0_20block_sort_algorithmE0EEENS0_14default_configENS1_37merge_sort_block_sort_config_selectorIhlEENS1_38merge_sort_block_merge_config_selectorIhlEEEEvv,comdat
.Lfunc_end116:
	.size	_ZN7rocprim17ROCPRIM_400000_NS6detail44device_merge_sort_compile_time_verifier_archINS1_11comp_targetILNS1_3genE5ELNS1_11target_archE942ELNS1_3gpuE9ELNS1_3repE0EEES8_NS1_28merge_sort_block_sort_configILj256ELj4ELNS0_20block_sort_algorithmE0EEENS0_14default_configENS1_37merge_sort_block_sort_config_selectorIhlEENS1_38merge_sort_block_merge_config_selectorIhlEEEEvv, .Lfunc_end116-_ZN7rocprim17ROCPRIM_400000_NS6detail44device_merge_sort_compile_time_verifier_archINS1_11comp_targetILNS1_3genE5ELNS1_11target_archE942ELNS1_3gpuE9ELNS1_3repE0EEES8_NS1_28merge_sort_block_sort_configILj256ELj4ELNS0_20block_sort_algorithmE0EEENS0_14default_configENS1_37merge_sort_block_sort_config_selectorIhlEENS1_38merge_sort_block_merge_config_selectorIhlEEEEvv
                                        ; -- End function
	.section	.AMDGPU.csdata,"",@progbits
; Kernel info:
; codeLenInByte = 4
; NumSgprs: 4
; NumVgprs: 0
; NumAgprs: 0
; TotalNumVgprs: 0
; ScratchSize: 0
; MemoryBound: 0
; FloatMode: 240
; IeeeMode: 1
; LDSByteSize: 0 bytes/workgroup (compile time only)
; SGPRBlocks: 0
; VGPRBlocks: 0
; NumSGPRsForWavesPerEU: 4
; NumVGPRsForWavesPerEU: 1
; AccumOffset: 4
; Occupancy: 8
; WaveLimiterHint : 0
; COMPUTE_PGM_RSRC2:SCRATCH_EN: 0
; COMPUTE_PGM_RSRC2:USER_SGPR: 4
; COMPUTE_PGM_RSRC2:TRAP_HANDLER: 0
; COMPUTE_PGM_RSRC2:TGID_X_EN: 1
; COMPUTE_PGM_RSRC2:TGID_Y_EN: 0
; COMPUTE_PGM_RSRC2:TGID_Z_EN: 0
; COMPUTE_PGM_RSRC2:TIDIG_COMP_CNT: 0
; COMPUTE_PGM_RSRC3_GFX90A:ACCUM_OFFSET: 0
; COMPUTE_PGM_RSRC3_GFX90A:TG_SPLIT: 0
	.section	.text._ZN7rocprim17ROCPRIM_400000_NS6detail44device_merge_sort_compile_time_verifier_archINS1_11comp_targetILNS1_3genE4ELNS1_11target_archE910ELNS1_3gpuE8ELNS1_3repE0EEES8_NS1_28merge_sort_block_sort_configILj256ELj4ELNS0_20block_sort_algorithmE0EEENS0_14default_configENS1_37merge_sort_block_sort_config_selectorIhlEENS1_38merge_sort_block_merge_config_selectorIhlEEEEvv,"axG",@progbits,_ZN7rocprim17ROCPRIM_400000_NS6detail44device_merge_sort_compile_time_verifier_archINS1_11comp_targetILNS1_3genE4ELNS1_11target_archE910ELNS1_3gpuE8ELNS1_3repE0EEES8_NS1_28merge_sort_block_sort_configILj256ELj4ELNS0_20block_sort_algorithmE0EEENS0_14default_configENS1_37merge_sort_block_sort_config_selectorIhlEENS1_38merge_sort_block_merge_config_selectorIhlEEEEvv,comdat
	.protected	_ZN7rocprim17ROCPRIM_400000_NS6detail44device_merge_sort_compile_time_verifier_archINS1_11comp_targetILNS1_3genE4ELNS1_11target_archE910ELNS1_3gpuE8ELNS1_3repE0EEES8_NS1_28merge_sort_block_sort_configILj256ELj4ELNS0_20block_sort_algorithmE0EEENS0_14default_configENS1_37merge_sort_block_sort_config_selectorIhlEENS1_38merge_sort_block_merge_config_selectorIhlEEEEvv ; -- Begin function _ZN7rocprim17ROCPRIM_400000_NS6detail44device_merge_sort_compile_time_verifier_archINS1_11comp_targetILNS1_3genE4ELNS1_11target_archE910ELNS1_3gpuE8ELNS1_3repE0EEES8_NS1_28merge_sort_block_sort_configILj256ELj4ELNS0_20block_sort_algorithmE0EEENS0_14default_configENS1_37merge_sort_block_sort_config_selectorIhlEENS1_38merge_sort_block_merge_config_selectorIhlEEEEvv
	.globl	_ZN7rocprim17ROCPRIM_400000_NS6detail44device_merge_sort_compile_time_verifier_archINS1_11comp_targetILNS1_3genE4ELNS1_11target_archE910ELNS1_3gpuE8ELNS1_3repE0EEES8_NS1_28merge_sort_block_sort_configILj256ELj4ELNS0_20block_sort_algorithmE0EEENS0_14default_configENS1_37merge_sort_block_sort_config_selectorIhlEENS1_38merge_sort_block_merge_config_selectorIhlEEEEvv
	.p2align	8
	.type	_ZN7rocprim17ROCPRIM_400000_NS6detail44device_merge_sort_compile_time_verifier_archINS1_11comp_targetILNS1_3genE4ELNS1_11target_archE910ELNS1_3gpuE8ELNS1_3repE0EEES8_NS1_28merge_sort_block_sort_configILj256ELj4ELNS0_20block_sort_algorithmE0EEENS0_14default_configENS1_37merge_sort_block_sort_config_selectorIhlEENS1_38merge_sort_block_merge_config_selectorIhlEEEEvv,@function
_ZN7rocprim17ROCPRIM_400000_NS6detail44device_merge_sort_compile_time_verifier_archINS1_11comp_targetILNS1_3genE4ELNS1_11target_archE910ELNS1_3gpuE8ELNS1_3repE0EEES8_NS1_28merge_sort_block_sort_configILj256ELj4ELNS0_20block_sort_algorithmE0EEENS0_14default_configENS1_37merge_sort_block_sort_config_selectorIhlEENS1_38merge_sort_block_merge_config_selectorIhlEEEEvv: ; @_ZN7rocprim17ROCPRIM_400000_NS6detail44device_merge_sort_compile_time_verifier_archINS1_11comp_targetILNS1_3genE4ELNS1_11target_archE910ELNS1_3gpuE8ELNS1_3repE0EEES8_NS1_28merge_sort_block_sort_configILj256ELj4ELNS0_20block_sort_algorithmE0EEENS0_14default_configENS1_37merge_sort_block_sort_config_selectorIhlEENS1_38merge_sort_block_merge_config_selectorIhlEEEEvv
; %bb.0:
	s_endpgm
	.section	.rodata,"a",@progbits
	.p2align	6, 0x0
	.amdhsa_kernel _ZN7rocprim17ROCPRIM_400000_NS6detail44device_merge_sort_compile_time_verifier_archINS1_11comp_targetILNS1_3genE4ELNS1_11target_archE910ELNS1_3gpuE8ELNS1_3repE0EEES8_NS1_28merge_sort_block_sort_configILj256ELj4ELNS0_20block_sort_algorithmE0EEENS0_14default_configENS1_37merge_sort_block_sort_config_selectorIhlEENS1_38merge_sort_block_merge_config_selectorIhlEEEEvv
		.amdhsa_group_segment_fixed_size 0
		.amdhsa_private_segment_fixed_size 0
		.amdhsa_kernarg_size 0
		.amdhsa_user_sgpr_count 4
		.amdhsa_user_sgpr_private_segment_buffer 1
		.amdhsa_user_sgpr_dispatch_ptr 0
		.amdhsa_user_sgpr_queue_ptr 0
		.amdhsa_user_sgpr_kernarg_segment_ptr 0
		.amdhsa_user_sgpr_dispatch_id 0
		.amdhsa_user_sgpr_flat_scratch_init 0
		.amdhsa_user_sgpr_kernarg_preload_length 0
		.amdhsa_user_sgpr_kernarg_preload_offset 0
		.amdhsa_user_sgpr_private_segment_size 0
		.amdhsa_uses_dynamic_stack 0
		.amdhsa_system_sgpr_private_segment_wavefront_offset 0
		.amdhsa_system_sgpr_workgroup_id_x 1
		.amdhsa_system_sgpr_workgroup_id_y 0
		.amdhsa_system_sgpr_workgroup_id_z 0
		.amdhsa_system_sgpr_workgroup_info 0
		.amdhsa_system_vgpr_workitem_id 0
		.amdhsa_next_free_vgpr 1
		.amdhsa_next_free_sgpr 0
		.amdhsa_accum_offset 4
		.amdhsa_reserve_vcc 0
		.amdhsa_reserve_flat_scratch 0
		.amdhsa_float_round_mode_32 0
		.amdhsa_float_round_mode_16_64 0
		.amdhsa_float_denorm_mode_32 3
		.amdhsa_float_denorm_mode_16_64 3
		.amdhsa_dx10_clamp 1
		.amdhsa_ieee_mode 1
		.amdhsa_fp16_overflow 0
		.amdhsa_tg_split 0
		.amdhsa_exception_fp_ieee_invalid_op 0
		.amdhsa_exception_fp_denorm_src 0
		.amdhsa_exception_fp_ieee_div_zero 0
		.amdhsa_exception_fp_ieee_overflow 0
		.amdhsa_exception_fp_ieee_underflow 0
		.amdhsa_exception_fp_ieee_inexact 0
		.amdhsa_exception_int_div_zero 0
	.end_amdhsa_kernel
	.section	.text._ZN7rocprim17ROCPRIM_400000_NS6detail44device_merge_sort_compile_time_verifier_archINS1_11comp_targetILNS1_3genE4ELNS1_11target_archE910ELNS1_3gpuE8ELNS1_3repE0EEES8_NS1_28merge_sort_block_sort_configILj256ELj4ELNS0_20block_sort_algorithmE0EEENS0_14default_configENS1_37merge_sort_block_sort_config_selectorIhlEENS1_38merge_sort_block_merge_config_selectorIhlEEEEvv,"axG",@progbits,_ZN7rocprim17ROCPRIM_400000_NS6detail44device_merge_sort_compile_time_verifier_archINS1_11comp_targetILNS1_3genE4ELNS1_11target_archE910ELNS1_3gpuE8ELNS1_3repE0EEES8_NS1_28merge_sort_block_sort_configILj256ELj4ELNS0_20block_sort_algorithmE0EEENS0_14default_configENS1_37merge_sort_block_sort_config_selectorIhlEENS1_38merge_sort_block_merge_config_selectorIhlEEEEvv,comdat
.Lfunc_end117:
	.size	_ZN7rocprim17ROCPRIM_400000_NS6detail44device_merge_sort_compile_time_verifier_archINS1_11comp_targetILNS1_3genE4ELNS1_11target_archE910ELNS1_3gpuE8ELNS1_3repE0EEES8_NS1_28merge_sort_block_sort_configILj256ELj4ELNS0_20block_sort_algorithmE0EEENS0_14default_configENS1_37merge_sort_block_sort_config_selectorIhlEENS1_38merge_sort_block_merge_config_selectorIhlEEEEvv, .Lfunc_end117-_ZN7rocprim17ROCPRIM_400000_NS6detail44device_merge_sort_compile_time_verifier_archINS1_11comp_targetILNS1_3genE4ELNS1_11target_archE910ELNS1_3gpuE8ELNS1_3repE0EEES8_NS1_28merge_sort_block_sort_configILj256ELj4ELNS0_20block_sort_algorithmE0EEENS0_14default_configENS1_37merge_sort_block_sort_config_selectorIhlEENS1_38merge_sort_block_merge_config_selectorIhlEEEEvv
                                        ; -- End function
	.section	.AMDGPU.csdata,"",@progbits
; Kernel info:
; codeLenInByte = 4
; NumSgprs: 4
; NumVgprs: 0
; NumAgprs: 0
; TotalNumVgprs: 0
; ScratchSize: 0
; MemoryBound: 0
; FloatMode: 240
; IeeeMode: 1
; LDSByteSize: 0 bytes/workgroup (compile time only)
; SGPRBlocks: 0
; VGPRBlocks: 0
; NumSGPRsForWavesPerEU: 4
; NumVGPRsForWavesPerEU: 1
; AccumOffset: 4
; Occupancy: 8
; WaveLimiterHint : 0
; COMPUTE_PGM_RSRC2:SCRATCH_EN: 0
; COMPUTE_PGM_RSRC2:USER_SGPR: 4
; COMPUTE_PGM_RSRC2:TRAP_HANDLER: 0
; COMPUTE_PGM_RSRC2:TGID_X_EN: 1
; COMPUTE_PGM_RSRC2:TGID_Y_EN: 0
; COMPUTE_PGM_RSRC2:TGID_Z_EN: 0
; COMPUTE_PGM_RSRC2:TIDIG_COMP_CNT: 0
; COMPUTE_PGM_RSRC3_GFX90A:ACCUM_OFFSET: 0
; COMPUTE_PGM_RSRC3_GFX90A:TG_SPLIT: 0
	.section	.text._ZN7rocprim17ROCPRIM_400000_NS6detail44device_merge_sort_compile_time_verifier_archINS1_11comp_targetILNS1_3genE3ELNS1_11target_archE908ELNS1_3gpuE7ELNS1_3repE0EEES8_NS1_28merge_sort_block_sort_configILj256ELj4ELNS0_20block_sort_algorithmE0EEENS0_14default_configENS1_37merge_sort_block_sort_config_selectorIhlEENS1_38merge_sort_block_merge_config_selectorIhlEEEEvv,"axG",@progbits,_ZN7rocprim17ROCPRIM_400000_NS6detail44device_merge_sort_compile_time_verifier_archINS1_11comp_targetILNS1_3genE3ELNS1_11target_archE908ELNS1_3gpuE7ELNS1_3repE0EEES8_NS1_28merge_sort_block_sort_configILj256ELj4ELNS0_20block_sort_algorithmE0EEENS0_14default_configENS1_37merge_sort_block_sort_config_selectorIhlEENS1_38merge_sort_block_merge_config_selectorIhlEEEEvv,comdat
	.protected	_ZN7rocprim17ROCPRIM_400000_NS6detail44device_merge_sort_compile_time_verifier_archINS1_11comp_targetILNS1_3genE3ELNS1_11target_archE908ELNS1_3gpuE7ELNS1_3repE0EEES8_NS1_28merge_sort_block_sort_configILj256ELj4ELNS0_20block_sort_algorithmE0EEENS0_14default_configENS1_37merge_sort_block_sort_config_selectorIhlEENS1_38merge_sort_block_merge_config_selectorIhlEEEEvv ; -- Begin function _ZN7rocprim17ROCPRIM_400000_NS6detail44device_merge_sort_compile_time_verifier_archINS1_11comp_targetILNS1_3genE3ELNS1_11target_archE908ELNS1_3gpuE7ELNS1_3repE0EEES8_NS1_28merge_sort_block_sort_configILj256ELj4ELNS0_20block_sort_algorithmE0EEENS0_14default_configENS1_37merge_sort_block_sort_config_selectorIhlEENS1_38merge_sort_block_merge_config_selectorIhlEEEEvv
	.globl	_ZN7rocprim17ROCPRIM_400000_NS6detail44device_merge_sort_compile_time_verifier_archINS1_11comp_targetILNS1_3genE3ELNS1_11target_archE908ELNS1_3gpuE7ELNS1_3repE0EEES8_NS1_28merge_sort_block_sort_configILj256ELj4ELNS0_20block_sort_algorithmE0EEENS0_14default_configENS1_37merge_sort_block_sort_config_selectorIhlEENS1_38merge_sort_block_merge_config_selectorIhlEEEEvv
	.p2align	8
	.type	_ZN7rocprim17ROCPRIM_400000_NS6detail44device_merge_sort_compile_time_verifier_archINS1_11comp_targetILNS1_3genE3ELNS1_11target_archE908ELNS1_3gpuE7ELNS1_3repE0EEES8_NS1_28merge_sort_block_sort_configILj256ELj4ELNS0_20block_sort_algorithmE0EEENS0_14default_configENS1_37merge_sort_block_sort_config_selectorIhlEENS1_38merge_sort_block_merge_config_selectorIhlEEEEvv,@function
_ZN7rocprim17ROCPRIM_400000_NS6detail44device_merge_sort_compile_time_verifier_archINS1_11comp_targetILNS1_3genE3ELNS1_11target_archE908ELNS1_3gpuE7ELNS1_3repE0EEES8_NS1_28merge_sort_block_sort_configILj256ELj4ELNS0_20block_sort_algorithmE0EEENS0_14default_configENS1_37merge_sort_block_sort_config_selectorIhlEENS1_38merge_sort_block_merge_config_selectorIhlEEEEvv: ; @_ZN7rocprim17ROCPRIM_400000_NS6detail44device_merge_sort_compile_time_verifier_archINS1_11comp_targetILNS1_3genE3ELNS1_11target_archE908ELNS1_3gpuE7ELNS1_3repE0EEES8_NS1_28merge_sort_block_sort_configILj256ELj4ELNS0_20block_sort_algorithmE0EEENS0_14default_configENS1_37merge_sort_block_sort_config_selectorIhlEENS1_38merge_sort_block_merge_config_selectorIhlEEEEvv
; %bb.0:
	s_endpgm
	.section	.rodata,"a",@progbits
	.p2align	6, 0x0
	.amdhsa_kernel _ZN7rocprim17ROCPRIM_400000_NS6detail44device_merge_sort_compile_time_verifier_archINS1_11comp_targetILNS1_3genE3ELNS1_11target_archE908ELNS1_3gpuE7ELNS1_3repE0EEES8_NS1_28merge_sort_block_sort_configILj256ELj4ELNS0_20block_sort_algorithmE0EEENS0_14default_configENS1_37merge_sort_block_sort_config_selectorIhlEENS1_38merge_sort_block_merge_config_selectorIhlEEEEvv
		.amdhsa_group_segment_fixed_size 0
		.amdhsa_private_segment_fixed_size 0
		.amdhsa_kernarg_size 0
		.amdhsa_user_sgpr_count 4
		.amdhsa_user_sgpr_private_segment_buffer 1
		.amdhsa_user_sgpr_dispatch_ptr 0
		.amdhsa_user_sgpr_queue_ptr 0
		.amdhsa_user_sgpr_kernarg_segment_ptr 0
		.amdhsa_user_sgpr_dispatch_id 0
		.amdhsa_user_sgpr_flat_scratch_init 0
		.amdhsa_user_sgpr_kernarg_preload_length 0
		.amdhsa_user_sgpr_kernarg_preload_offset 0
		.amdhsa_user_sgpr_private_segment_size 0
		.amdhsa_uses_dynamic_stack 0
		.amdhsa_system_sgpr_private_segment_wavefront_offset 0
		.amdhsa_system_sgpr_workgroup_id_x 1
		.amdhsa_system_sgpr_workgroup_id_y 0
		.amdhsa_system_sgpr_workgroup_id_z 0
		.amdhsa_system_sgpr_workgroup_info 0
		.amdhsa_system_vgpr_workitem_id 0
		.amdhsa_next_free_vgpr 1
		.amdhsa_next_free_sgpr 0
		.amdhsa_accum_offset 4
		.amdhsa_reserve_vcc 0
		.amdhsa_reserve_flat_scratch 0
		.amdhsa_float_round_mode_32 0
		.amdhsa_float_round_mode_16_64 0
		.amdhsa_float_denorm_mode_32 3
		.amdhsa_float_denorm_mode_16_64 3
		.amdhsa_dx10_clamp 1
		.amdhsa_ieee_mode 1
		.amdhsa_fp16_overflow 0
		.amdhsa_tg_split 0
		.amdhsa_exception_fp_ieee_invalid_op 0
		.amdhsa_exception_fp_denorm_src 0
		.amdhsa_exception_fp_ieee_div_zero 0
		.amdhsa_exception_fp_ieee_overflow 0
		.amdhsa_exception_fp_ieee_underflow 0
		.amdhsa_exception_fp_ieee_inexact 0
		.amdhsa_exception_int_div_zero 0
	.end_amdhsa_kernel
	.section	.text._ZN7rocprim17ROCPRIM_400000_NS6detail44device_merge_sort_compile_time_verifier_archINS1_11comp_targetILNS1_3genE3ELNS1_11target_archE908ELNS1_3gpuE7ELNS1_3repE0EEES8_NS1_28merge_sort_block_sort_configILj256ELj4ELNS0_20block_sort_algorithmE0EEENS0_14default_configENS1_37merge_sort_block_sort_config_selectorIhlEENS1_38merge_sort_block_merge_config_selectorIhlEEEEvv,"axG",@progbits,_ZN7rocprim17ROCPRIM_400000_NS6detail44device_merge_sort_compile_time_verifier_archINS1_11comp_targetILNS1_3genE3ELNS1_11target_archE908ELNS1_3gpuE7ELNS1_3repE0EEES8_NS1_28merge_sort_block_sort_configILj256ELj4ELNS0_20block_sort_algorithmE0EEENS0_14default_configENS1_37merge_sort_block_sort_config_selectorIhlEENS1_38merge_sort_block_merge_config_selectorIhlEEEEvv,comdat
.Lfunc_end118:
	.size	_ZN7rocprim17ROCPRIM_400000_NS6detail44device_merge_sort_compile_time_verifier_archINS1_11comp_targetILNS1_3genE3ELNS1_11target_archE908ELNS1_3gpuE7ELNS1_3repE0EEES8_NS1_28merge_sort_block_sort_configILj256ELj4ELNS0_20block_sort_algorithmE0EEENS0_14default_configENS1_37merge_sort_block_sort_config_selectorIhlEENS1_38merge_sort_block_merge_config_selectorIhlEEEEvv, .Lfunc_end118-_ZN7rocprim17ROCPRIM_400000_NS6detail44device_merge_sort_compile_time_verifier_archINS1_11comp_targetILNS1_3genE3ELNS1_11target_archE908ELNS1_3gpuE7ELNS1_3repE0EEES8_NS1_28merge_sort_block_sort_configILj256ELj4ELNS0_20block_sort_algorithmE0EEENS0_14default_configENS1_37merge_sort_block_sort_config_selectorIhlEENS1_38merge_sort_block_merge_config_selectorIhlEEEEvv
                                        ; -- End function
	.section	.AMDGPU.csdata,"",@progbits
; Kernel info:
; codeLenInByte = 4
; NumSgprs: 4
; NumVgprs: 0
; NumAgprs: 0
; TotalNumVgprs: 0
; ScratchSize: 0
; MemoryBound: 0
; FloatMode: 240
; IeeeMode: 1
; LDSByteSize: 0 bytes/workgroup (compile time only)
; SGPRBlocks: 0
; VGPRBlocks: 0
; NumSGPRsForWavesPerEU: 4
; NumVGPRsForWavesPerEU: 1
; AccumOffset: 4
; Occupancy: 8
; WaveLimiterHint : 0
; COMPUTE_PGM_RSRC2:SCRATCH_EN: 0
; COMPUTE_PGM_RSRC2:USER_SGPR: 4
; COMPUTE_PGM_RSRC2:TRAP_HANDLER: 0
; COMPUTE_PGM_RSRC2:TGID_X_EN: 1
; COMPUTE_PGM_RSRC2:TGID_Y_EN: 0
; COMPUTE_PGM_RSRC2:TGID_Z_EN: 0
; COMPUTE_PGM_RSRC2:TIDIG_COMP_CNT: 0
; COMPUTE_PGM_RSRC3_GFX90A:ACCUM_OFFSET: 0
; COMPUTE_PGM_RSRC3_GFX90A:TG_SPLIT: 0
	.section	.text._ZN7rocprim17ROCPRIM_400000_NS6detail44device_merge_sort_compile_time_verifier_archINS1_11comp_targetILNS1_3genE2ELNS1_11target_archE906ELNS1_3gpuE6ELNS1_3repE0EEES8_NS1_28merge_sort_block_sort_configILj256ELj4ELNS0_20block_sort_algorithmE0EEENS0_14default_configENS1_37merge_sort_block_sort_config_selectorIhlEENS1_38merge_sort_block_merge_config_selectorIhlEEEEvv,"axG",@progbits,_ZN7rocprim17ROCPRIM_400000_NS6detail44device_merge_sort_compile_time_verifier_archINS1_11comp_targetILNS1_3genE2ELNS1_11target_archE906ELNS1_3gpuE6ELNS1_3repE0EEES8_NS1_28merge_sort_block_sort_configILj256ELj4ELNS0_20block_sort_algorithmE0EEENS0_14default_configENS1_37merge_sort_block_sort_config_selectorIhlEENS1_38merge_sort_block_merge_config_selectorIhlEEEEvv,comdat
	.protected	_ZN7rocprim17ROCPRIM_400000_NS6detail44device_merge_sort_compile_time_verifier_archINS1_11comp_targetILNS1_3genE2ELNS1_11target_archE906ELNS1_3gpuE6ELNS1_3repE0EEES8_NS1_28merge_sort_block_sort_configILj256ELj4ELNS0_20block_sort_algorithmE0EEENS0_14default_configENS1_37merge_sort_block_sort_config_selectorIhlEENS1_38merge_sort_block_merge_config_selectorIhlEEEEvv ; -- Begin function _ZN7rocprim17ROCPRIM_400000_NS6detail44device_merge_sort_compile_time_verifier_archINS1_11comp_targetILNS1_3genE2ELNS1_11target_archE906ELNS1_3gpuE6ELNS1_3repE0EEES8_NS1_28merge_sort_block_sort_configILj256ELj4ELNS0_20block_sort_algorithmE0EEENS0_14default_configENS1_37merge_sort_block_sort_config_selectorIhlEENS1_38merge_sort_block_merge_config_selectorIhlEEEEvv
	.globl	_ZN7rocprim17ROCPRIM_400000_NS6detail44device_merge_sort_compile_time_verifier_archINS1_11comp_targetILNS1_3genE2ELNS1_11target_archE906ELNS1_3gpuE6ELNS1_3repE0EEES8_NS1_28merge_sort_block_sort_configILj256ELj4ELNS0_20block_sort_algorithmE0EEENS0_14default_configENS1_37merge_sort_block_sort_config_selectorIhlEENS1_38merge_sort_block_merge_config_selectorIhlEEEEvv
	.p2align	8
	.type	_ZN7rocprim17ROCPRIM_400000_NS6detail44device_merge_sort_compile_time_verifier_archINS1_11comp_targetILNS1_3genE2ELNS1_11target_archE906ELNS1_3gpuE6ELNS1_3repE0EEES8_NS1_28merge_sort_block_sort_configILj256ELj4ELNS0_20block_sort_algorithmE0EEENS0_14default_configENS1_37merge_sort_block_sort_config_selectorIhlEENS1_38merge_sort_block_merge_config_selectorIhlEEEEvv,@function
_ZN7rocprim17ROCPRIM_400000_NS6detail44device_merge_sort_compile_time_verifier_archINS1_11comp_targetILNS1_3genE2ELNS1_11target_archE906ELNS1_3gpuE6ELNS1_3repE0EEES8_NS1_28merge_sort_block_sort_configILj256ELj4ELNS0_20block_sort_algorithmE0EEENS0_14default_configENS1_37merge_sort_block_sort_config_selectorIhlEENS1_38merge_sort_block_merge_config_selectorIhlEEEEvv: ; @_ZN7rocprim17ROCPRIM_400000_NS6detail44device_merge_sort_compile_time_verifier_archINS1_11comp_targetILNS1_3genE2ELNS1_11target_archE906ELNS1_3gpuE6ELNS1_3repE0EEES8_NS1_28merge_sort_block_sort_configILj256ELj4ELNS0_20block_sort_algorithmE0EEENS0_14default_configENS1_37merge_sort_block_sort_config_selectorIhlEENS1_38merge_sort_block_merge_config_selectorIhlEEEEvv
; %bb.0:
	s_endpgm
	.section	.rodata,"a",@progbits
	.p2align	6, 0x0
	.amdhsa_kernel _ZN7rocprim17ROCPRIM_400000_NS6detail44device_merge_sort_compile_time_verifier_archINS1_11comp_targetILNS1_3genE2ELNS1_11target_archE906ELNS1_3gpuE6ELNS1_3repE0EEES8_NS1_28merge_sort_block_sort_configILj256ELj4ELNS0_20block_sort_algorithmE0EEENS0_14default_configENS1_37merge_sort_block_sort_config_selectorIhlEENS1_38merge_sort_block_merge_config_selectorIhlEEEEvv
		.amdhsa_group_segment_fixed_size 0
		.amdhsa_private_segment_fixed_size 0
		.amdhsa_kernarg_size 0
		.amdhsa_user_sgpr_count 4
		.amdhsa_user_sgpr_private_segment_buffer 1
		.amdhsa_user_sgpr_dispatch_ptr 0
		.amdhsa_user_sgpr_queue_ptr 0
		.amdhsa_user_sgpr_kernarg_segment_ptr 0
		.amdhsa_user_sgpr_dispatch_id 0
		.amdhsa_user_sgpr_flat_scratch_init 0
		.amdhsa_user_sgpr_kernarg_preload_length 0
		.amdhsa_user_sgpr_kernarg_preload_offset 0
		.amdhsa_user_sgpr_private_segment_size 0
		.amdhsa_uses_dynamic_stack 0
		.amdhsa_system_sgpr_private_segment_wavefront_offset 0
		.amdhsa_system_sgpr_workgroup_id_x 1
		.amdhsa_system_sgpr_workgroup_id_y 0
		.amdhsa_system_sgpr_workgroup_id_z 0
		.amdhsa_system_sgpr_workgroup_info 0
		.amdhsa_system_vgpr_workitem_id 0
		.amdhsa_next_free_vgpr 1
		.amdhsa_next_free_sgpr 0
		.amdhsa_accum_offset 4
		.amdhsa_reserve_vcc 0
		.amdhsa_reserve_flat_scratch 0
		.amdhsa_float_round_mode_32 0
		.amdhsa_float_round_mode_16_64 0
		.amdhsa_float_denorm_mode_32 3
		.amdhsa_float_denorm_mode_16_64 3
		.amdhsa_dx10_clamp 1
		.amdhsa_ieee_mode 1
		.amdhsa_fp16_overflow 0
		.amdhsa_tg_split 0
		.amdhsa_exception_fp_ieee_invalid_op 0
		.amdhsa_exception_fp_denorm_src 0
		.amdhsa_exception_fp_ieee_div_zero 0
		.amdhsa_exception_fp_ieee_overflow 0
		.amdhsa_exception_fp_ieee_underflow 0
		.amdhsa_exception_fp_ieee_inexact 0
		.amdhsa_exception_int_div_zero 0
	.end_amdhsa_kernel
	.section	.text._ZN7rocprim17ROCPRIM_400000_NS6detail44device_merge_sort_compile_time_verifier_archINS1_11comp_targetILNS1_3genE2ELNS1_11target_archE906ELNS1_3gpuE6ELNS1_3repE0EEES8_NS1_28merge_sort_block_sort_configILj256ELj4ELNS0_20block_sort_algorithmE0EEENS0_14default_configENS1_37merge_sort_block_sort_config_selectorIhlEENS1_38merge_sort_block_merge_config_selectorIhlEEEEvv,"axG",@progbits,_ZN7rocprim17ROCPRIM_400000_NS6detail44device_merge_sort_compile_time_verifier_archINS1_11comp_targetILNS1_3genE2ELNS1_11target_archE906ELNS1_3gpuE6ELNS1_3repE0EEES8_NS1_28merge_sort_block_sort_configILj256ELj4ELNS0_20block_sort_algorithmE0EEENS0_14default_configENS1_37merge_sort_block_sort_config_selectorIhlEENS1_38merge_sort_block_merge_config_selectorIhlEEEEvv,comdat
.Lfunc_end119:
	.size	_ZN7rocprim17ROCPRIM_400000_NS6detail44device_merge_sort_compile_time_verifier_archINS1_11comp_targetILNS1_3genE2ELNS1_11target_archE906ELNS1_3gpuE6ELNS1_3repE0EEES8_NS1_28merge_sort_block_sort_configILj256ELj4ELNS0_20block_sort_algorithmE0EEENS0_14default_configENS1_37merge_sort_block_sort_config_selectorIhlEENS1_38merge_sort_block_merge_config_selectorIhlEEEEvv, .Lfunc_end119-_ZN7rocprim17ROCPRIM_400000_NS6detail44device_merge_sort_compile_time_verifier_archINS1_11comp_targetILNS1_3genE2ELNS1_11target_archE906ELNS1_3gpuE6ELNS1_3repE0EEES8_NS1_28merge_sort_block_sort_configILj256ELj4ELNS0_20block_sort_algorithmE0EEENS0_14default_configENS1_37merge_sort_block_sort_config_selectorIhlEENS1_38merge_sort_block_merge_config_selectorIhlEEEEvv
                                        ; -- End function
	.section	.AMDGPU.csdata,"",@progbits
; Kernel info:
; codeLenInByte = 4
; NumSgprs: 4
; NumVgprs: 0
; NumAgprs: 0
; TotalNumVgprs: 0
; ScratchSize: 0
; MemoryBound: 0
; FloatMode: 240
; IeeeMode: 1
; LDSByteSize: 0 bytes/workgroup (compile time only)
; SGPRBlocks: 0
; VGPRBlocks: 0
; NumSGPRsForWavesPerEU: 4
; NumVGPRsForWavesPerEU: 1
; AccumOffset: 4
; Occupancy: 8
; WaveLimiterHint : 0
; COMPUTE_PGM_RSRC2:SCRATCH_EN: 0
; COMPUTE_PGM_RSRC2:USER_SGPR: 4
; COMPUTE_PGM_RSRC2:TRAP_HANDLER: 0
; COMPUTE_PGM_RSRC2:TGID_X_EN: 1
; COMPUTE_PGM_RSRC2:TGID_Y_EN: 0
; COMPUTE_PGM_RSRC2:TGID_Z_EN: 0
; COMPUTE_PGM_RSRC2:TIDIG_COMP_CNT: 0
; COMPUTE_PGM_RSRC3_GFX90A:ACCUM_OFFSET: 0
; COMPUTE_PGM_RSRC3_GFX90A:TG_SPLIT: 0
	.section	.text._ZN7rocprim17ROCPRIM_400000_NS6detail44device_merge_sort_compile_time_verifier_archINS1_11comp_targetILNS1_3genE10ELNS1_11target_archE1201ELNS1_3gpuE5ELNS1_3repE0EEES8_NS1_28merge_sort_block_sort_configILj256ELj4ELNS0_20block_sort_algorithmE0EEENS0_14default_configENS1_37merge_sort_block_sort_config_selectorIhlEENS1_38merge_sort_block_merge_config_selectorIhlEEEEvv,"axG",@progbits,_ZN7rocprim17ROCPRIM_400000_NS6detail44device_merge_sort_compile_time_verifier_archINS1_11comp_targetILNS1_3genE10ELNS1_11target_archE1201ELNS1_3gpuE5ELNS1_3repE0EEES8_NS1_28merge_sort_block_sort_configILj256ELj4ELNS0_20block_sort_algorithmE0EEENS0_14default_configENS1_37merge_sort_block_sort_config_selectorIhlEENS1_38merge_sort_block_merge_config_selectorIhlEEEEvv,comdat
	.protected	_ZN7rocprim17ROCPRIM_400000_NS6detail44device_merge_sort_compile_time_verifier_archINS1_11comp_targetILNS1_3genE10ELNS1_11target_archE1201ELNS1_3gpuE5ELNS1_3repE0EEES8_NS1_28merge_sort_block_sort_configILj256ELj4ELNS0_20block_sort_algorithmE0EEENS0_14default_configENS1_37merge_sort_block_sort_config_selectorIhlEENS1_38merge_sort_block_merge_config_selectorIhlEEEEvv ; -- Begin function _ZN7rocprim17ROCPRIM_400000_NS6detail44device_merge_sort_compile_time_verifier_archINS1_11comp_targetILNS1_3genE10ELNS1_11target_archE1201ELNS1_3gpuE5ELNS1_3repE0EEES8_NS1_28merge_sort_block_sort_configILj256ELj4ELNS0_20block_sort_algorithmE0EEENS0_14default_configENS1_37merge_sort_block_sort_config_selectorIhlEENS1_38merge_sort_block_merge_config_selectorIhlEEEEvv
	.globl	_ZN7rocprim17ROCPRIM_400000_NS6detail44device_merge_sort_compile_time_verifier_archINS1_11comp_targetILNS1_3genE10ELNS1_11target_archE1201ELNS1_3gpuE5ELNS1_3repE0EEES8_NS1_28merge_sort_block_sort_configILj256ELj4ELNS0_20block_sort_algorithmE0EEENS0_14default_configENS1_37merge_sort_block_sort_config_selectorIhlEENS1_38merge_sort_block_merge_config_selectorIhlEEEEvv
	.p2align	8
	.type	_ZN7rocprim17ROCPRIM_400000_NS6detail44device_merge_sort_compile_time_verifier_archINS1_11comp_targetILNS1_3genE10ELNS1_11target_archE1201ELNS1_3gpuE5ELNS1_3repE0EEES8_NS1_28merge_sort_block_sort_configILj256ELj4ELNS0_20block_sort_algorithmE0EEENS0_14default_configENS1_37merge_sort_block_sort_config_selectorIhlEENS1_38merge_sort_block_merge_config_selectorIhlEEEEvv,@function
_ZN7rocprim17ROCPRIM_400000_NS6detail44device_merge_sort_compile_time_verifier_archINS1_11comp_targetILNS1_3genE10ELNS1_11target_archE1201ELNS1_3gpuE5ELNS1_3repE0EEES8_NS1_28merge_sort_block_sort_configILj256ELj4ELNS0_20block_sort_algorithmE0EEENS0_14default_configENS1_37merge_sort_block_sort_config_selectorIhlEENS1_38merge_sort_block_merge_config_selectorIhlEEEEvv: ; @_ZN7rocprim17ROCPRIM_400000_NS6detail44device_merge_sort_compile_time_verifier_archINS1_11comp_targetILNS1_3genE10ELNS1_11target_archE1201ELNS1_3gpuE5ELNS1_3repE0EEES8_NS1_28merge_sort_block_sort_configILj256ELj4ELNS0_20block_sort_algorithmE0EEENS0_14default_configENS1_37merge_sort_block_sort_config_selectorIhlEENS1_38merge_sort_block_merge_config_selectorIhlEEEEvv
; %bb.0:
	s_endpgm
	.section	.rodata,"a",@progbits
	.p2align	6, 0x0
	.amdhsa_kernel _ZN7rocprim17ROCPRIM_400000_NS6detail44device_merge_sort_compile_time_verifier_archINS1_11comp_targetILNS1_3genE10ELNS1_11target_archE1201ELNS1_3gpuE5ELNS1_3repE0EEES8_NS1_28merge_sort_block_sort_configILj256ELj4ELNS0_20block_sort_algorithmE0EEENS0_14default_configENS1_37merge_sort_block_sort_config_selectorIhlEENS1_38merge_sort_block_merge_config_selectorIhlEEEEvv
		.amdhsa_group_segment_fixed_size 0
		.amdhsa_private_segment_fixed_size 0
		.amdhsa_kernarg_size 0
		.amdhsa_user_sgpr_count 4
		.amdhsa_user_sgpr_private_segment_buffer 1
		.amdhsa_user_sgpr_dispatch_ptr 0
		.amdhsa_user_sgpr_queue_ptr 0
		.amdhsa_user_sgpr_kernarg_segment_ptr 0
		.amdhsa_user_sgpr_dispatch_id 0
		.amdhsa_user_sgpr_flat_scratch_init 0
		.amdhsa_user_sgpr_kernarg_preload_length 0
		.amdhsa_user_sgpr_kernarg_preload_offset 0
		.amdhsa_user_sgpr_private_segment_size 0
		.amdhsa_uses_dynamic_stack 0
		.amdhsa_system_sgpr_private_segment_wavefront_offset 0
		.amdhsa_system_sgpr_workgroup_id_x 1
		.amdhsa_system_sgpr_workgroup_id_y 0
		.amdhsa_system_sgpr_workgroup_id_z 0
		.amdhsa_system_sgpr_workgroup_info 0
		.amdhsa_system_vgpr_workitem_id 0
		.amdhsa_next_free_vgpr 1
		.amdhsa_next_free_sgpr 0
		.amdhsa_accum_offset 4
		.amdhsa_reserve_vcc 0
		.amdhsa_reserve_flat_scratch 0
		.amdhsa_float_round_mode_32 0
		.amdhsa_float_round_mode_16_64 0
		.amdhsa_float_denorm_mode_32 3
		.amdhsa_float_denorm_mode_16_64 3
		.amdhsa_dx10_clamp 1
		.amdhsa_ieee_mode 1
		.amdhsa_fp16_overflow 0
		.amdhsa_tg_split 0
		.amdhsa_exception_fp_ieee_invalid_op 0
		.amdhsa_exception_fp_denorm_src 0
		.amdhsa_exception_fp_ieee_div_zero 0
		.amdhsa_exception_fp_ieee_overflow 0
		.amdhsa_exception_fp_ieee_underflow 0
		.amdhsa_exception_fp_ieee_inexact 0
		.amdhsa_exception_int_div_zero 0
	.end_amdhsa_kernel
	.section	.text._ZN7rocprim17ROCPRIM_400000_NS6detail44device_merge_sort_compile_time_verifier_archINS1_11comp_targetILNS1_3genE10ELNS1_11target_archE1201ELNS1_3gpuE5ELNS1_3repE0EEES8_NS1_28merge_sort_block_sort_configILj256ELj4ELNS0_20block_sort_algorithmE0EEENS0_14default_configENS1_37merge_sort_block_sort_config_selectorIhlEENS1_38merge_sort_block_merge_config_selectorIhlEEEEvv,"axG",@progbits,_ZN7rocprim17ROCPRIM_400000_NS6detail44device_merge_sort_compile_time_verifier_archINS1_11comp_targetILNS1_3genE10ELNS1_11target_archE1201ELNS1_3gpuE5ELNS1_3repE0EEES8_NS1_28merge_sort_block_sort_configILj256ELj4ELNS0_20block_sort_algorithmE0EEENS0_14default_configENS1_37merge_sort_block_sort_config_selectorIhlEENS1_38merge_sort_block_merge_config_selectorIhlEEEEvv,comdat
.Lfunc_end120:
	.size	_ZN7rocprim17ROCPRIM_400000_NS6detail44device_merge_sort_compile_time_verifier_archINS1_11comp_targetILNS1_3genE10ELNS1_11target_archE1201ELNS1_3gpuE5ELNS1_3repE0EEES8_NS1_28merge_sort_block_sort_configILj256ELj4ELNS0_20block_sort_algorithmE0EEENS0_14default_configENS1_37merge_sort_block_sort_config_selectorIhlEENS1_38merge_sort_block_merge_config_selectorIhlEEEEvv, .Lfunc_end120-_ZN7rocprim17ROCPRIM_400000_NS6detail44device_merge_sort_compile_time_verifier_archINS1_11comp_targetILNS1_3genE10ELNS1_11target_archE1201ELNS1_3gpuE5ELNS1_3repE0EEES8_NS1_28merge_sort_block_sort_configILj256ELj4ELNS0_20block_sort_algorithmE0EEENS0_14default_configENS1_37merge_sort_block_sort_config_selectorIhlEENS1_38merge_sort_block_merge_config_selectorIhlEEEEvv
                                        ; -- End function
	.section	.AMDGPU.csdata,"",@progbits
; Kernel info:
; codeLenInByte = 4
; NumSgprs: 4
; NumVgprs: 0
; NumAgprs: 0
; TotalNumVgprs: 0
; ScratchSize: 0
; MemoryBound: 0
; FloatMode: 240
; IeeeMode: 1
; LDSByteSize: 0 bytes/workgroup (compile time only)
; SGPRBlocks: 0
; VGPRBlocks: 0
; NumSGPRsForWavesPerEU: 4
; NumVGPRsForWavesPerEU: 1
; AccumOffset: 4
; Occupancy: 8
; WaveLimiterHint : 0
; COMPUTE_PGM_RSRC2:SCRATCH_EN: 0
; COMPUTE_PGM_RSRC2:USER_SGPR: 4
; COMPUTE_PGM_RSRC2:TRAP_HANDLER: 0
; COMPUTE_PGM_RSRC2:TGID_X_EN: 1
; COMPUTE_PGM_RSRC2:TGID_Y_EN: 0
; COMPUTE_PGM_RSRC2:TGID_Z_EN: 0
; COMPUTE_PGM_RSRC2:TIDIG_COMP_CNT: 0
; COMPUTE_PGM_RSRC3_GFX90A:ACCUM_OFFSET: 0
; COMPUTE_PGM_RSRC3_GFX90A:TG_SPLIT: 0
	.section	.text._ZN7rocprim17ROCPRIM_400000_NS6detail44device_merge_sort_compile_time_verifier_archINS1_11comp_targetILNS1_3genE10ELNS1_11target_archE1200ELNS1_3gpuE4ELNS1_3repE0EEENS3_ILS4_10ELS5_1201ELS6_5ELS7_0EEENS1_28merge_sort_block_sort_configILj256ELj4ELNS0_20block_sort_algorithmE0EEENS0_14default_configENS1_37merge_sort_block_sort_config_selectorIhlEENS1_38merge_sort_block_merge_config_selectorIhlEEEEvv,"axG",@progbits,_ZN7rocprim17ROCPRIM_400000_NS6detail44device_merge_sort_compile_time_verifier_archINS1_11comp_targetILNS1_3genE10ELNS1_11target_archE1200ELNS1_3gpuE4ELNS1_3repE0EEENS3_ILS4_10ELS5_1201ELS6_5ELS7_0EEENS1_28merge_sort_block_sort_configILj256ELj4ELNS0_20block_sort_algorithmE0EEENS0_14default_configENS1_37merge_sort_block_sort_config_selectorIhlEENS1_38merge_sort_block_merge_config_selectorIhlEEEEvv,comdat
	.protected	_ZN7rocprim17ROCPRIM_400000_NS6detail44device_merge_sort_compile_time_verifier_archINS1_11comp_targetILNS1_3genE10ELNS1_11target_archE1200ELNS1_3gpuE4ELNS1_3repE0EEENS3_ILS4_10ELS5_1201ELS6_5ELS7_0EEENS1_28merge_sort_block_sort_configILj256ELj4ELNS0_20block_sort_algorithmE0EEENS0_14default_configENS1_37merge_sort_block_sort_config_selectorIhlEENS1_38merge_sort_block_merge_config_selectorIhlEEEEvv ; -- Begin function _ZN7rocprim17ROCPRIM_400000_NS6detail44device_merge_sort_compile_time_verifier_archINS1_11comp_targetILNS1_3genE10ELNS1_11target_archE1200ELNS1_3gpuE4ELNS1_3repE0EEENS3_ILS4_10ELS5_1201ELS6_5ELS7_0EEENS1_28merge_sort_block_sort_configILj256ELj4ELNS0_20block_sort_algorithmE0EEENS0_14default_configENS1_37merge_sort_block_sort_config_selectorIhlEENS1_38merge_sort_block_merge_config_selectorIhlEEEEvv
	.globl	_ZN7rocprim17ROCPRIM_400000_NS6detail44device_merge_sort_compile_time_verifier_archINS1_11comp_targetILNS1_3genE10ELNS1_11target_archE1200ELNS1_3gpuE4ELNS1_3repE0EEENS3_ILS4_10ELS5_1201ELS6_5ELS7_0EEENS1_28merge_sort_block_sort_configILj256ELj4ELNS0_20block_sort_algorithmE0EEENS0_14default_configENS1_37merge_sort_block_sort_config_selectorIhlEENS1_38merge_sort_block_merge_config_selectorIhlEEEEvv
	.p2align	8
	.type	_ZN7rocprim17ROCPRIM_400000_NS6detail44device_merge_sort_compile_time_verifier_archINS1_11comp_targetILNS1_3genE10ELNS1_11target_archE1200ELNS1_3gpuE4ELNS1_3repE0EEENS3_ILS4_10ELS5_1201ELS6_5ELS7_0EEENS1_28merge_sort_block_sort_configILj256ELj4ELNS0_20block_sort_algorithmE0EEENS0_14default_configENS1_37merge_sort_block_sort_config_selectorIhlEENS1_38merge_sort_block_merge_config_selectorIhlEEEEvv,@function
_ZN7rocprim17ROCPRIM_400000_NS6detail44device_merge_sort_compile_time_verifier_archINS1_11comp_targetILNS1_3genE10ELNS1_11target_archE1200ELNS1_3gpuE4ELNS1_3repE0EEENS3_ILS4_10ELS5_1201ELS6_5ELS7_0EEENS1_28merge_sort_block_sort_configILj256ELj4ELNS0_20block_sort_algorithmE0EEENS0_14default_configENS1_37merge_sort_block_sort_config_selectorIhlEENS1_38merge_sort_block_merge_config_selectorIhlEEEEvv: ; @_ZN7rocprim17ROCPRIM_400000_NS6detail44device_merge_sort_compile_time_verifier_archINS1_11comp_targetILNS1_3genE10ELNS1_11target_archE1200ELNS1_3gpuE4ELNS1_3repE0EEENS3_ILS4_10ELS5_1201ELS6_5ELS7_0EEENS1_28merge_sort_block_sort_configILj256ELj4ELNS0_20block_sort_algorithmE0EEENS0_14default_configENS1_37merge_sort_block_sort_config_selectorIhlEENS1_38merge_sort_block_merge_config_selectorIhlEEEEvv
; %bb.0:
	s_endpgm
	.section	.rodata,"a",@progbits
	.p2align	6, 0x0
	.amdhsa_kernel _ZN7rocprim17ROCPRIM_400000_NS6detail44device_merge_sort_compile_time_verifier_archINS1_11comp_targetILNS1_3genE10ELNS1_11target_archE1200ELNS1_3gpuE4ELNS1_3repE0EEENS3_ILS4_10ELS5_1201ELS6_5ELS7_0EEENS1_28merge_sort_block_sort_configILj256ELj4ELNS0_20block_sort_algorithmE0EEENS0_14default_configENS1_37merge_sort_block_sort_config_selectorIhlEENS1_38merge_sort_block_merge_config_selectorIhlEEEEvv
		.amdhsa_group_segment_fixed_size 0
		.amdhsa_private_segment_fixed_size 0
		.amdhsa_kernarg_size 0
		.amdhsa_user_sgpr_count 4
		.amdhsa_user_sgpr_private_segment_buffer 1
		.amdhsa_user_sgpr_dispatch_ptr 0
		.amdhsa_user_sgpr_queue_ptr 0
		.amdhsa_user_sgpr_kernarg_segment_ptr 0
		.amdhsa_user_sgpr_dispatch_id 0
		.amdhsa_user_sgpr_flat_scratch_init 0
		.amdhsa_user_sgpr_kernarg_preload_length 0
		.amdhsa_user_sgpr_kernarg_preload_offset 0
		.amdhsa_user_sgpr_private_segment_size 0
		.amdhsa_uses_dynamic_stack 0
		.amdhsa_system_sgpr_private_segment_wavefront_offset 0
		.amdhsa_system_sgpr_workgroup_id_x 1
		.amdhsa_system_sgpr_workgroup_id_y 0
		.amdhsa_system_sgpr_workgroup_id_z 0
		.amdhsa_system_sgpr_workgroup_info 0
		.amdhsa_system_vgpr_workitem_id 0
		.amdhsa_next_free_vgpr 1
		.amdhsa_next_free_sgpr 0
		.amdhsa_accum_offset 4
		.amdhsa_reserve_vcc 0
		.amdhsa_reserve_flat_scratch 0
		.amdhsa_float_round_mode_32 0
		.amdhsa_float_round_mode_16_64 0
		.amdhsa_float_denorm_mode_32 3
		.amdhsa_float_denorm_mode_16_64 3
		.amdhsa_dx10_clamp 1
		.amdhsa_ieee_mode 1
		.amdhsa_fp16_overflow 0
		.amdhsa_tg_split 0
		.amdhsa_exception_fp_ieee_invalid_op 0
		.amdhsa_exception_fp_denorm_src 0
		.amdhsa_exception_fp_ieee_div_zero 0
		.amdhsa_exception_fp_ieee_overflow 0
		.amdhsa_exception_fp_ieee_underflow 0
		.amdhsa_exception_fp_ieee_inexact 0
		.amdhsa_exception_int_div_zero 0
	.end_amdhsa_kernel
	.section	.text._ZN7rocprim17ROCPRIM_400000_NS6detail44device_merge_sort_compile_time_verifier_archINS1_11comp_targetILNS1_3genE10ELNS1_11target_archE1200ELNS1_3gpuE4ELNS1_3repE0EEENS3_ILS4_10ELS5_1201ELS6_5ELS7_0EEENS1_28merge_sort_block_sort_configILj256ELj4ELNS0_20block_sort_algorithmE0EEENS0_14default_configENS1_37merge_sort_block_sort_config_selectorIhlEENS1_38merge_sort_block_merge_config_selectorIhlEEEEvv,"axG",@progbits,_ZN7rocprim17ROCPRIM_400000_NS6detail44device_merge_sort_compile_time_verifier_archINS1_11comp_targetILNS1_3genE10ELNS1_11target_archE1200ELNS1_3gpuE4ELNS1_3repE0EEENS3_ILS4_10ELS5_1201ELS6_5ELS7_0EEENS1_28merge_sort_block_sort_configILj256ELj4ELNS0_20block_sort_algorithmE0EEENS0_14default_configENS1_37merge_sort_block_sort_config_selectorIhlEENS1_38merge_sort_block_merge_config_selectorIhlEEEEvv,comdat
.Lfunc_end121:
	.size	_ZN7rocprim17ROCPRIM_400000_NS6detail44device_merge_sort_compile_time_verifier_archINS1_11comp_targetILNS1_3genE10ELNS1_11target_archE1200ELNS1_3gpuE4ELNS1_3repE0EEENS3_ILS4_10ELS5_1201ELS6_5ELS7_0EEENS1_28merge_sort_block_sort_configILj256ELj4ELNS0_20block_sort_algorithmE0EEENS0_14default_configENS1_37merge_sort_block_sort_config_selectorIhlEENS1_38merge_sort_block_merge_config_selectorIhlEEEEvv, .Lfunc_end121-_ZN7rocprim17ROCPRIM_400000_NS6detail44device_merge_sort_compile_time_verifier_archINS1_11comp_targetILNS1_3genE10ELNS1_11target_archE1200ELNS1_3gpuE4ELNS1_3repE0EEENS3_ILS4_10ELS5_1201ELS6_5ELS7_0EEENS1_28merge_sort_block_sort_configILj256ELj4ELNS0_20block_sort_algorithmE0EEENS0_14default_configENS1_37merge_sort_block_sort_config_selectorIhlEENS1_38merge_sort_block_merge_config_selectorIhlEEEEvv
                                        ; -- End function
	.section	.AMDGPU.csdata,"",@progbits
; Kernel info:
; codeLenInByte = 4
; NumSgprs: 4
; NumVgprs: 0
; NumAgprs: 0
; TotalNumVgprs: 0
; ScratchSize: 0
; MemoryBound: 0
; FloatMode: 240
; IeeeMode: 1
; LDSByteSize: 0 bytes/workgroup (compile time only)
; SGPRBlocks: 0
; VGPRBlocks: 0
; NumSGPRsForWavesPerEU: 4
; NumVGPRsForWavesPerEU: 1
; AccumOffset: 4
; Occupancy: 8
; WaveLimiterHint : 0
; COMPUTE_PGM_RSRC2:SCRATCH_EN: 0
; COMPUTE_PGM_RSRC2:USER_SGPR: 4
; COMPUTE_PGM_RSRC2:TRAP_HANDLER: 0
; COMPUTE_PGM_RSRC2:TGID_X_EN: 1
; COMPUTE_PGM_RSRC2:TGID_Y_EN: 0
; COMPUTE_PGM_RSRC2:TGID_Z_EN: 0
; COMPUTE_PGM_RSRC2:TIDIG_COMP_CNT: 0
; COMPUTE_PGM_RSRC3_GFX90A:ACCUM_OFFSET: 0
; COMPUTE_PGM_RSRC3_GFX90A:TG_SPLIT: 0
	.section	.text._ZN7rocprim17ROCPRIM_400000_NS6detail44device_merge_sort_compile_time_verifier_archINS1_11comp_targetILNS1_3genE9ELNS1_11target_archE1100ELNS1_3gpuE3ELNS1_3repE0EEES8_NS1_28merge_sort_block_sort_configILj256ELj4ELNS0_20block_sort_algorithmE0EEENS0_14default_configENS1_37merge_sort_block_sort_config_selectorIhlEENS1_38merge_sort_block_merge_config_selectorIhlEEEEvv,"axG",@progbits,_ZN7rocprim17ROCPRIM_400000_NS6detail44device_merge_sort_compile_time_verifier_archINS1_11comp_targetILNS1_3genE9ELNS1_11target_archE1100ELNS1_3gpuE3ELNS1_3repE0EEES8_NS1_28merge_sort_block_sort_configILj256ELj4ELNS0_20block_sort_algorithmE0EEENS0_14default_configENS1_37merge_sort_block_sort_config_selectorIhlEENS1_38merge_sort_block_merge_config_selectorIhlEEEEvv,comdat
	.protected	_ZN7rocprim17ROCPRIM_400000_NS6detail44device_merge_sort_compile_time_verifier_archINS1_11comp_targetILNS1_3genE9ELNS1_11target_archE1100ELNS1_3gpuE3ELNS1_3repE0EEES8_NS1_28merge_sort_block_sort_configILj256ELj4ELNS0_20block_sort_algorithmE0EEENS0_14default_configENS1_37merge_sort_block_sort_config_selectorIhlEENS1_38merge_sort_block_merge_config_selectorIhlEEEEvv ; -- Begin function _ZN7rocprim17ROCPRIM_400000_NS6detail44device_merge_sort_compile_time_verifier_archINS1_11comp_targetILNS1_3genE9ELNS1_11target_archE1100ELNS1_3gpuE3ELNS1_3repE0EEES8_NS1_28merge_sort_block_sort_configILj256ELj4ELNS0_20block_sort_algorithmE0EEENS0_14default_configENS1_37merge_sort_block_sort_config_selectorIhlEENS1_38merge_sort_block_merge_config_selectorIhlEEEEvv
	.globl	_ZN7rocprim17ROCPRIM_400000_NS6detail44device_merge_sort_compile_time_verifier_archINS1_11comp_targetILNS1_3genE9ELNS1_11target_archE1100ELNS1_3gpuE3ELNS1_3repE0EEES8_NS1_28merge_sort_block_sort_configILj256ELj4ELNS0_20block_sort_algorithmE0EEENS0_14default_configENS1_37merge_sort_block_sort_config_selectorIhlEENS1_38merge_sort_block_merge_config_selectorIhlEEEEvv
	.p2align	8
	.type	_ZN7rocprim17ROCPRIM_400000_NS6detail44device_merge_sort_compile_time_verifier_archINS1_11comp_targetILNS1_3genE9ELNS1_11target_archE1100ELNS1_3gpuE3ELNS1_3repE0EEES8_NS1_28merge_sort_block_sort_configILj256ELj4ELNS0_20block_sort_algorithmE0EEENS0_14default_configENS1_37merge_sort_block_sort_config_selectorIhlEENS1_38merge_sort_block_merge_config_selectorIhlEEEEvv,@function
_ZN7rocprim17ROCPRIM_400000_NS6detail44device_merge_sort_compile_time_verifier_archINS1_11comp_targetILNS1_3genE9ELNS1_11target_archE1100ELNS1_3gpuE3ELNS1_3repE0EEES8_NS1_28merge_sort_block_sort_configILj256ELj4ELNS0_20block_sort_algorithmE0EEENS0_14default_configENS1_37merge_sort_block_sort_config_selectorIhlEENS1_38merge_sort_block_merge_config_selectorIhlEEEEvv: ; @_ZN7rocprim17ROCPRIM_400000_NS6detail44device_merge_sort_compile_time_verifier_archINS1_11comp_targetILNS1_3genE9ELNS1_11target_archE1100ELNS1_3gpuE3ELNS1_3repE0EEES8_NS1_28merge_sort_block_sort_configILj256ELj4ELNS0_20block_sort_algorithmE0EEENS0_14default_configENS1_37merge_sort_block_sort_config_selectorIhlEENS1_38merge_sort_block_merge_config_selectorIhlEEEEvv
; %bb.0:
	s_endpgm
	.section	.rodata,"a",@progbits
	.p2align	6, 0x0
	.amdhsa_kernel _ZN7rocprim17ROCPRIM_400000_NS6detail44device_merge_sort_compile_time_verifier_archINS1_11comp_targetILNS1_3genE9ELNS1_11target_archE1100ELNS1_3gpuE3ELNS1_3repE0EEES8_NS1_28merge_sort_block_sort_configILj256ELj4ELNS0_20block_sort_algorithmE0EEENS0_14default_configENS1_37merge_sort_block_sort_config_selectorIhlEENS1_38merge_sort_block_merge_config_selectorIhlEEEEvv
		.amdhsa_group_segment_fixed_size 0
		.amdhsa_private_segment_fixed_size 0
		.amdhsa_kernarg_size 0
		.amdhsa_user_sgpr_count 4
		.amdhsa_user_sgpr_private_segment_buffer 1
		.amdhsa_user_sgpr_dispatch_ptr 0
		.amdhsa_user_sgpr_queue_ptr 0
		.amdhsa_user_sgpr_kernarg_segment_ptr 0
		.amdhsa_user_sgpr_dispatch_id 0
		.amdhsa_user_sgpr_flat_scratch_init 0
		.amdhsa_user_sgpr_kernarg_preload_length 0
		.amdhsa_user_sgpr_kernarg_preload_offset 0
		.amdhsa_user_sgpr_private_segment_size 0
		.amdhsa_uses_dynamic_stack 0
		.amdhsa_system_sgpr_private_segment_wavefront_offset 0
		.amdhsa_system_sgpr_workgroup_id_x 1
		.amdhsa_system_sgpr_workgroup_id_y 0
		.amdhsa_system_sgpr_workgroup_id_z 0
		.amdhsa_system_sgpr_workgroup_info 0
		.amdhsa_system_vgpr_workitem_id 0
		.amdhsa_next_free_vgpr 1
		.amdhsa_next_free_sgpr 0
		.amdhsa_accum_offset 4
		.amdhsa_reserve_vcc 0
		.amdhsa_reserve_flat_scratch 0
		.amdhsa_float_round_mode_32 0
		.amdhsa_float_round_mode_16_64 0
		.amdhsa_float_denorm_mode_32 3
		.amdhsa_float_denorm_mode_16_64 3
		.amdhsa_dx10_clamp 1
		.amdhsa_ieee_mode 1
		.amdhsa_fp16_overflow 0
		.amdhsa_tg_split 0
		.amdhsa_exception_fp_ieee_invalid_op 0
		.amdhsa_exception_fp_denorm_src 0
		.amdhsa_exception_fp_ieee_div_zero 0
		.amdhsa_exception_fp_ieee_overflow 0
		.amdhsa_exception_fp_ieee_underflow 0
		.amdhsa_exception_fp_ieee_inexact 0
		.amdhsa_exception_int_div_zero 0
	.end_amdhsa_kernel
	.section	.text._ZN7rocprim17ROCPRIM_400000_NS6detail44device_merge_sort_compile_time_verifier_archINS1_11comp_targetILNS1_3genE9ELNS1_11target_archE1100ELNS1_3gpuE3ELNS1_3repE0EEES8_NS1_28merge_sort_block_sort_configILj256ELj4ELNS0_20block_sort_algorithmE0EEENS0_14default_configENS1_37merge_sort_block_sort_config_selectorIhlEENS1_38merge_sort_block_merge_config_selectorIhlEEEEvv,"axG",@progbits,_ZN7rocprim17ROCPRIM_400000_NS6detail44device_merge_sort_compile_time_verifier_archINS1_11comp_targetILNS1_3genE9ELNS1_11target_archE1100ELNS1_3gpuE3ELNS1_3repE0EEES8_NS1_28merge_sort_block_sort_configILj256ELj4ELNS0_20block_sort_algorithmE0EEENS0_14default_configENS1_37merge_sort_block_sort_config_selectorIhlEENS1_38merge_sort_block_merge_config_selectorIhlEEEEvv,comdat
.Lfunc_end122:
	.size	_ZN7rocprim17ROCPRIM_400000_NS6detail44device_merge_sort_compile_time_verifier_archINS1_11comp_targetILNS1_3genE9ELNS1_11target_archE1100ELNS1_3gpuE3ELNS1_3repE0EEES8_NS1_28merge_sort_block_sort_configILj256ELj4ELNS0_20block_sort_algorithmE0EEENS0_14default_configENS1_37merge_sort_block_sort_config_selectorIhlEENS1_38merge_sort_block_merge_config_selectorIhlEEEEvv, .Lfunc_end122-_ZN7rocprim17ROCPRIM_400000_NS6detail44device_merge_sort_compile_time_verifier_archINS1_11comp_targetILNS1_3genE9ELNS1_11target_archE1100ELNS1_3gpuE3ELNS1_3repE0EEES8_NS1_28merge_sort_block_sort_configILj256ELj4ELNS0_20block_sort_algorithmE0EEENS0_14default_configENS1_37merge_sort_block_sort_config_selectorIhlEENS1_38merge_sort_block_merge_config_selectorIhlEEEEvv
                                        ; -- End function
	.section	.AMDGPU.csdata,"",@progbits
; Kernel info:
; codeLenInByte = 4
; NumSgprs: 4
; NumVgprs: 0
; NumAgprs: 0
; TotalNumVgprs: 0
; ScratchSize: 0
; MemoryBound: 0
; FloatMode: 240
; IeeeMode: 1
; LDSByteSize: 0 bytes/workgroup (compile time only)
; SGPRBlocks: 0
; VGPRBlocks: 0
; NumSGPRsForWavesPerEU: 4
; NumVGPRsForWavesPerEU: 1
; AccumOffset: 4
; Occupancy: 8
; WaveLimiterHint : 0
; COMPUTE_PGM_RSRC2:SCRATCH_EN: 0
; COMPUTE_PGM_RSRC2:USER_SGPR: 4
; COMPUTE_PGM_RSRC2:TRAP_HANDLER: 0
; COMPUTE_PGM_RSRC2:TGID_X_EN: 1
; COMPUTE_PGM_RSRC2:TGID_Y_EN: 0
; COMPUTE_PGM_RSRC2:TGID_Z_EN: 0
; COMPUTE_PGM_RSRC2:TIDIG_COMP_CNT: 0
; COMPUTE_PGM_RSRC3_GFX90A:ACCUM_OFFSET: 0
; COMPUTE_PGM_RSRC3_GFX90A:TG_SPLIT: 0
	.section	.text._ZN7rocprim17ROCPRIM_400000_NS6detail44device_merge_sort_compile_time_verifier_archINS1_11comp_targetILNS1_3genE8ELNS1_11target_archE1030ELNS1_3gpuE2ELNS1_3repE0EEES8_NS1_28merge_sort_block_sort_configILj256ELj4ELNS0_20block_sort_algorithmE0EEENS0_14default_configENS1_37merge_sort_block_sort_config_selectorIhlEENS1_38merge_sort_block_merge_config_selectorIhlEEEEvv,"axG",@progbits,_ZN7rocprim17ROCPRIM_400000_NS6detail44device_merge_sort_compile_time_verifier_archINS1_11comp_targetILNS1_3genE8ELNS1_11target_archE1030ELNS1_3gpuE2ELNS1_3repE0EEES8_NS1_28merge_sort_block_sort_configILj256ELj4ELNS0_20block_sort_algorithmE0EEENS0_14default_configENS1_37merge_sort_block_sort_config_selectorIhlEENS1_38merge_sort_block_merge_config_selectorIhlEEEEvv,comdat
	.protected	_ZN7rocprim17ROCPRIM_400000_NS6detail44device_merge_sort_compile_time_verifier_archINS1_11comp_targetILNS1_3genE8ELNS1_11target_archE1030ELNS1_3gpuE2ELNS1_3repE0EEES8_NS1_28merge_sort_block_sort_configILj256ELj4ELNS0_20block_sort_algorithmE0EEENS0_14default_configENS1_37merge_sort_block_sort_config_selectorIhlEENS1_38merge_sort_block_merge_config_selectorIhlEEEEvv ; -- Begin function _ZN7rocprim17ROCPRIM_400000_NS6detail44device_merge_sort_compile_time_verifier_archINS1_11comp_targetILNS1_3genE8ELNS1_11target_archE1030ELNS1_3gpuE2ELNS1_3repE0EEES8_NS1_28merge_sort_block_sort_configILj256ELj4ELNS0_20block_sort_algorithmE0EEENS0_14default_configENS1_37merge_sort_block_sort_config_selectorIhlEENS1_38merge_sort_block_merge_config_selectorIhlEEEEvv
	.globl	_ZN7rocprim17ROCPRIM_400000_NS6detail44device_merge_sort_compile_time_verifier_archINS1_11comp_targetILNS1_3genE8ELNS1_11target_archE1030ELNS1_3gpuE2ELNS1_3repE0EEES8_NS1_28merge_sort_block_sort_configILj256ELj4ELNS0_20block_sort_algorithmE0EEENS0_14default_configENS1_37merge_sort_block_sort_config_selectorIhlEENS1_38merge_sort_block_merge_config_selectorIhlEEEEvv
	.p2align	8
	.type	_ZN7rocprim17ROCPRIM_400000_NS6detail44device_merge_sort_compile_time_verifier_archINS1_11comp_targetILNS1_3genE8ELNS1_11target_archE1030ELNS1_3gpuE2ELNS1_3repE0EEES8_NS1_28merge_sort_block_sort_configILj256ELj4ELNS0_20block_sort_algorithmE0EEENS0_14default_configENS1_37merge_sort_block_sort_config_selectorIhlEENS1_38merge_sort_block_merge_config_selectorIhlEEEEvv,@function
_ZN7rocprim17ROCPRIM_400000_NS6detail44device_merge_sort_compile_time_verifier_archINS1_11comp_targetILNS1_3genE8ELNS1_11target_archE1030ELNS1_3gpuE2ELNS1_3repE0EEES8_NS1_28merge_sort_block_sort_configILj256ELj4ELNS0_20block_sort_algorithmE0EEENS0_14default_configENS1_37merge_sort_block_sort_config_selectorIhlEENS1_38merge_sort_block_merge_config_selectorIhlEEEEvv: ; @_ZN7rocprim17ROCPRIM_400000_NS6detail44device_merge_sort_compile_time_verifier_archINS1_11comp_targetILNS1_3genE8ELNS1_11target_archE1030ELNS1_3gpuE2ELNS1_3repE0EEES8_NS1_28merge_sort_block_sort_configILj256ELj4ELNS0_20block_sort_algorithmE0EEENS0_14default_configENS1_37merge_sort_block_sort_config_selectorIhlEENS1_38merge_sort_block_merge_config_selectorIhlEEEEvv
; %bb.0:
	s_endpgm
	.section	.rodata,"a",@progbits
	.p2align	6, 0x0
	.amdhsa_kernel _ZN7rocprim17ROCPRIM_400000_NS6detail44device_merge_sort_compile_time_verifier_archINS1_11comp_targetILNS1_3genE8ELNS1_11target_archE1030ELNS1_3gpuE2ELNS1_3repE0EEES8_NS1_28merge_sort_block_sort_configILj256ELj4ELNS0_20block_sort_algorithmE0EEENS0_14default_configENS1_37merge_sort_block_sort_config_selectorIhlEENS1_38merge_sort_block_merge_config_selectorIhlEEEEvv
		.amdhsa_group_segment_fixed_size 0
		.amdhsa_private_segment_fixed_size 0
		.amdhsa_kernarg_size 0
		.amdhsa_user_sgpr_count 4
		.amdhsa_user_sgpr_private_segment_buffer 1
		.amdhsa_user_sgpr_dispatch_ptr 0
		.amdhsa_user_sgpr_queue_ptr 0
		.amdhsa_user_sgpr_kernarg_segment_ptr 0
		.amdhsa_user_sgpr_dispatch_id 0
		.amdhsa_user_sgpr_flat_scratch_init 0
		.amdhsa_user_sgpr_kernarg_preload_length 0
		.amdhsa_user_sgpr_kernarg_preload_offset 0
		.amdhsa_user_sgpr_private_segment_size 0
		.amdhsa_uses_dynamic_stack 0
		.amdhsa_system_sgpr_private_segment_wavefront_offset 0
		.amdhsa_system_sgpr_workgroup_id_x 1
		.amdhsa_system_sgpr_workgroup_id_y 0
		.amdhsa_system_sgpr_workgroup_id_z 0
		.amdhsa_system_sgpr_workgroup_info 0
		.amdhsa_system_vgpr_workitem_id 0
		.amdhsa_next_free_vgpr 1
		.amdhsa_next_free_sgpr 0
		.amdhsa_accum_offset 4
		.amdhsa_reserve_vcc 0
		.amdhsa_reserve_flat_scratch 0
		.amdhsa_float_round_mode_32 0
		.amdhsa_float_round_mode_16_64 0
		.amdhsa_float_denorm_mode_32 3
		.amdhsa_float_denorm_mode_16_64 3
		.amdhsa_dx10_clamp 1
		.amdhsa_ieee_mode 1
		.amdhsa_fp16_overflow 0
		.amdhsa_tg_split 0
		.amdhsa_exception_fp_ieee_invalid_op 0
		.amdhsa_exception_fp_denorm_src 0
		.amdhsa_exception_fp_ieee_div_zero 0
		.amdhsa_exception_fp_ieee_overflow 0
		.amdhsa_exception_fp_ieee_underflow 0
		.amdhsa_exception_fp_ieee_inexact 0
		.amdhsa_exception_int_div_zero 0
	.end_amdhsa_kernel
	.section	.text._ZN7rocprim17ROCPRIM_400000_NS6detail44device_merge_sort_compile_time_verifier_archINS1_11comp_targetILNS1_3genE8ELNS1_11target_archE1030ELNS1_3gpuE2ELNS1_3repE0EEES8_NS1_28merge_sort_block_sort_configILj256ELj4ELNS0_20block_sort_algorithmE0EEENS0_14default_configENS1_37merge_sort_block_sort_config_selectorIhlEENS1_38merge_sort_block_merge_config_selectorIhlEEEEvv,"axG",@progbits,_ZN7rocprim17ROCPRIM_400000_NS6detail44device_merge_sort_compile_time_verifier_archINS1_11comp_targetILNS1_3genE8ELNS1_11target_archE1030ELNS1_3gpuE2ELNS1_3repE0EEES8_NS1_28merge_sort_block_sort_configILj256ELj4ELNS0_20block_sort_algorithmE0EEENS0_14default_configENS1_37merge_sort_block_sort_config_selectorIhlEENS1_38merge_sort_block_merge_config_selectorIhlEEEEvv,comdat
.Lfunc_end123:
	.size	_ZN7rocprim17ROCPRIM_400000_NS6detail44device_merge_sort_compile_time_verifier_archINS1_11comp_targetILNS1_3genE8ELNS1_11target_archE1030ELNS1_3gpuE2ELNS1_3repE0EEES8_NS1_28merge_sort_block_sort_configILj256ELj4ELNS0_20block_sort_algorithmE0EEENS0_14default_configENS1_37merge_sort_block_sort_config_selectorIhlEENS1_38merge_sort_block_merge_config_selectorIhlEEEEvv, .Lfunc_end123-_ZN7rocprim17ROCPRIM_400000_NS6detail44device_merge_sort_compile_time_verifier_archINS1_11comp_targetILNS1_3genE8ELNS1_11target_archE1030ELNS1_3gpuE2ELNS1_3repE0EEES8_NS1_28merge_sort_block_sort_configILj256ELj4ELNS0_20block_sort_algorithmE0EEENS0_14default_configENS1_37merge_sort_block_sort_config_selectorIhlEENS1_38merge_sort_block_merge_config_selectorIhlEEEEvv
                                        ; -- End function
	.section	.AMDGPU.csdata,"",@progbits
; Kernel info:
; codeLenInByte = 4
; NumSgprs: 4
; NumVgprs: 0
; NumAgprs: 0
; TotalNumVgprs: 0
; ScratchSize: 0
; MemoryBound: 0
; FloatMode: 240
; IeeeMode: 1
; LDSByteSize: 0 bytes/workgroup (compile time only)
; SGPRBlocks: 0
; VGPRBlocks: 0
; NumSGPRsForWavesPerEU: 4
; NumVGPRsForWavesPerEU: 1
; AccumOffset: 4
; Occupancy: 8
; WaveLimiterHint : 0
; COMPUTE_PGM_RSRC2:SCRATCH_EN: 0
; COMPUTE_PGM_RSRC2:USER_SGPR: 4
; COMPUTE_PGM_RSRC2:TRAP_HANDLER: 0
; COMPUTE_PGM_RSRC2:TGID_X_EN: 1
; COMPUTE_PGM_RSRC2:TGID_Y_EN: 0
; COMPUTE_PGM_RSRC2:TGID_Z_EN: 0
; COMPUTE_PGM_RSRC2:TIDIG_COMP_CNT: 0
; COMPUTE_PGM_RSRC3_GFX90A:ACCUM_OFFSET: 0
; COMPUTE_PGM_RSRC3_GFX90A:TG_SPLIT: 0
	.section	.text._ZN7rocprim17ROCPRIM_400000_NS6detail17trampoline_kernelINS0_14default_configENS1_38merge_sort_block_merge_config_selectorIhlEEZZNS1_27merge_sort_block_merge_implIS3_PhN6thrust23THRUST_200600_302600_NS10device_ptrIlEEjNS1_19radix_merge_compareILb0ELb0EhNS0_19identity_decomposerEEEEE10hipError_tT0_T1_T2_jT3_P12ihipStream_tbPNSt15iterator_traitsISG_E10value_typeEPNSM_ISH_E10value_typeEPSI_NS1_7vsmem_tEENKUlT_SG_SH_SI_E_clIS7_S7_PlSB_EESF_SV_SG_SH_SI_EUlSV_E_NS1_11comp_targetILNS1_3genE0ELNS1_11target_archE4294967295ELNS1_3gpuE0ELNS1_3repE0EEENS1_48merge_mergepath_partition_config_static_selectorELNS0_4arch9wavefront6targetE1EEEvSH_,"axG",@progbits,_ZN7rocprim17ROCPRIM_400000_NS6detail17trampoline_kernelINS0_14default_configENS1_38merge_sort_block_merge_config_selectorIhlEEZZNS1_27merge_sort_block_merge_implIS3_PhN6thrust23THRUST_200600_302600_NS10device_ptrIlEEjNS1_19radix_merge_compareILb0ELb0EhNS0_19identity_decomposerEEEEE10hipError_tT0_T1_T2_jT3_P12ihipStream_tbPNSt15iterator_traitsISG_E10value_typeEPNSM_ISH_E10value_typeEPSI_NS1_7vsmem_tEENKUlT_SG_SH_SI_E_clIS7_S7_PlSB_EESF_SV_SG_SH_SI_EUlSV_E_NS1_11comp_targetILNS1_3genE0ELNS1_11target_archE4294967295ELNS1_3gpuE0ELNS1_3repE0EEENS1_48merge_mergepath_partition_config_static_selectorELNS0_4arch9wavefront6targetE1EEEvSH_,comdat
	.protected	_ZN7rocprim17ROCPRIM_400000_NS6detail17trampoline_kernelINS0_14default_configENS1_38merge_sort_block_merge_config_selectorIhlEEZZNS1_27merge_sort_block_merge_implIS3_PhN6thrust23THRUST_200600_302600_NS10device_ptrIlEEjNS1_19radix_merge_compareILb0ELb0EhNS0_19identity_decomposerEEEEE10hipError_tT0_T1_T2_jT3_P12ihipStream_tbPNSt15iterator_traitsISG_E10value_typeEPNSM_ISH_E10value_typeEPSI_NS1_7vsmem_tEENKUlT_SG_SH_SI_E_clIS7_S7_PlSB_EESF_SV_SG_SH_SI_EUlSV_E_NS1_11comp_targetILNS1_3genE0ELNS1_11target_archE4294967295ELNS1_3gpuE0ELNS1_3repE0EEENS1_48merge_mergepath_partition_config_static_selectorELNS0_4arch9wavefront6targetE1EEEvSH_ ; -- Begin function _ZN7rocprim17ROCPRIM_400000_NS6detail17trampoline_kernelINS0_14default_configENS1_38merge_sort_block_merge_config_selectorIhlEEZZNS1_27merge_sort_block_merge_implIS3_PhN6thrust23THRUST_200600_302600_NS10device_ptrIlEEjNS1_19radix_merge_compareILb0ELb0EhNS0_19identity_decomposerEEEEE10hipError_tT0_T1_T2_jT3_P12ihipStream_tbPNSt15iterator_traitsISG_E10value_typeEPNSM_ISH_E10value_typeEPSI_NS1_7vsmem_tEENKUlT_SG_SH_SI_E_clIS7_S7_PlSB_EESF_SV_SG_SH_SI_EUlSV_E_NS1_11comp_targetILNS1_3genE0ELNS1_11target_archE4294967295ELNS1_3gpuE0ELNS1_3repE0EEENS1_48merge_mergepath_partition_config_static_selectorELNS0_4arch9wavefront6targetE1EEEvSH_
	.globl	_ZN7rocprim17ROCPRIM_400000_NS6detail17trampoline_kernelINS0_14default_configENS1_38merge_sort_block_merge_config_selectorIhlEEZZNS1_27merge_sort_block_merge_implIS3_PhN6thrust23THRUST_200600_302600_NS10device_ptrIlEEjNS1_19radix_merge_compareILb0ELb0EhNS0_19identity_decomposerEEEEE10hipError_tT0_T1_T2_jT3_P12ihipStream_tbPNSt15iterator_traitsISG_E10value_typeEPNSM_ISH_E10value_typeEPSI_NS1_7vsmem_tEENKUlT_SG_SH_SI_E_clIS7_S7_PlSB_EESF_SV_SG_SH_SI_EUlSV_E_NS1_11comp_targetILNS1_3genE0ELNS1_11target_archE4294967295ELNS1_3gpuE0ELNS1_3repE0EEENS1_48merge_mergepath_partition_config_static_selectorELNS0_4arch9wavefront6targetE1EEEvSH_
	.p2align	8
	.type	_ZN7rocprim17ROCPRIM_400000_NS6detail17trampoline_kernelINS0_14default_configENS1_38merge_sort_block_merge_config_selectorIhlEEZZNS1_27merge_sort_block_merge_implIS3_PhN6thrust23THRUST_200600_302600_NS10device_ptrIlEEjNS1_19radix_merge_compareILb0ELb0EhNS0_19identity_decomposerEEEEE10hipError_tT0_T1_T2_jT3_P12ihipStream_tbPNSt15iterator_traitsISG_E10value_typeEPNSM_ISH_E10value_typeEPSI_NS1_7vsmem_tEENKUlT_SG_SH_SI_E_clIS7_S7_PlSB_EESF_SV_SG_SH_SI_EUlSV_E_NS1_11comp_targetILNS1_3genE0ELNS1_11target_archE4294967295ELNS1_3gpuE0ELNS1_3repE0EEENS1_48merge_mergepath_partition_config_static_selectorELNS0_4arch9wavefront6targetE1EEEvSH_,@function
_ZN7rocprim17ROCPRIM_400000_NS6detail17trampoline_kernelINS0_14default_configENS1_38merge_sort_block_merge_config_selectorIhlEEZZNS1_27merge_sort_block_merge_implIS3_PhN6thrust23THRUST_200600_302600_NS10device_ptrIlEEjNS1_19radix_merge_compareILb0ELb0EhNS0_19identity_decomposerEEEEE10hipError_tT0_T1_T2_jT3_P12ihipStream_tbPNSt15iterator_traitsISG_E10value_typeEPNSM_ISH_E10value_typeEPSI_NS1_7vsmem_tEENKUlT_SG_SH_SI_E_clIS7_S7_PlSB_EESF_SV_SG_SH_SI_EUlSV_E_NS1_11comp_targetILNS1_3genE0ELNS1_11target_archE4294967295ELNS1_3gpuE0ELNS1_3repE0EEENS1_48merge_mergepath_partition_config_static_selectorELNS0_4arch9wavefront6targetE1EEEvSH_: ; @_ZN7rocprim17ROCPRIM_400000_NS6detail17trampoline_kernelINS0_14default_configENS1_38merge_sort_block_merge_config_selectorIhlEEZZNS1_27merge_sort_block_merge_implIS3_PhN6thrust23THRUST_200600_302600_NS10device_ptrIlEEjNS1_19radix_merge_compareILb0ELb0EhNS0_19identity_decomposerEEEEE10hipError_tT0_T1_T2_jT3_P12ihipStream_tbPNSt15iterator_traitsISG_E10value_typeEPNSM_ISH_E10value_typeEPSI_NS1_7vsmem_tEENKUlT_SG_SH_SI_E_clIS7_S7_PlSB_EESF_SV_SG_SH_SI_EUlSV_E_NS1_11comp_targetILNS1_3genE0ELNS1_11target_archE4294967295ELNS1_3gpuE0ELNS1_3repE0EEENS1_48merge_mergepath_partition_config_static_selectorELNS0_4arch9wavefront6targetE1EEEvSH_
; %bb.0:
	.section	.rodata,"a",@progbits
	.p2align	6, 0x0
	.amdhsa_kernel _ZN7rocprim17ROCPRIM_400000_NS6detail17trampoline_kernelINS0_14default_configENS1_38merge_sort_block_merge_config_selectorIhlEEZZNS1_27merge_sort_block_merge_implIS3_PhN6thrust23THRUST_200600_302600_NS10device_ptrIlEEjNS1_19radix_merge_compareILb0ELb0EhNS0_19identity_decomposerEEEEE10hipError_tT0_T1_T2_jT3_P12ihipStream_tbPNSt15iterator_traitsISG_E10value_typeEPNSM_ISH_E10value_typeEPSI_NS1_7vsmem_tEENKUlT_SG_SH_SI_E_clIS7_S7_PlSB_EESF_SV_SG_SH_SI_EUlSV_E_NS1_11comp_targetILNS1_3genE0ELNS1_11target_archE4294967295ELNS1_3gpuE0ELNS1_3repE0EEENS1_48merge_mergepath_partition_config_static_selectorELNS0_4arch9wavefront6targetE1EEEvSH_
		.amdhsa_group_segment_fixed_size 0
		.amdhsa_private_segment_fixed_size 0
		.amdhsa_kernarg_size 40
		.amdhsa_user_sgpr_count 6
		.amdhsa_user_sgpr_private_segment_buffer 1
		.amdhsa_user_sgpr_dispatch_ptr 0
		.amdhsa_user_sgpr_queue_ptr 0
		.amdhsa_user_sgpr_kernarg_segment_ptr 1
		.amdhsa_user_sgpr_dispatch_id 0
		.amdhsa_user_sgpr_flat_scratch_init 0
		.amdhsa_user_sgpr_kernarg_preload_length 0
		.amdhsa_user_sgpr_kernarg_preload_offset 0
		.amdhsa_user_sgpr_private_segment_size 0
		.amdhsa_uses_dynamic_stack 0
		.amdhsa_system_sgpr_private_segment_wavefront_offset 0
		.amdhsa_system_sgpr_workgroup_id_x 1
		.amdhsa_system_sgpr_workgroup_id_y 0
		.amdhsa_system_sgpr_workgroup_id_z 0
		.amdhsa_system_sgpr_workgroup_info 0
		.amdhsa_system_vgpr_workitem_id 0
		.amdhsa_next_free_vgpr 1
		.amdhsa_next_free_sgpr 0
		.amdhsa_accum_offset 4
		.amdhsa_reserve_vcc 0
		.amdhsa_reserve_flat_scratch 0
		.amdhsa_float_round_mode_32 0
		.amdhsa_float_round_mode_16_64 0
		.amdhsa_float_denorm_mode_32 3
		.amdhsa_float_denorm_mode_16_64 3
		.amdhsa_dx10_clamp 1
		.amdhsa_ieee_mode 1
		.amdhsa_fp16_overflow 0
		.amdhsa_tg_split 0
		.amdhsa_exception_fp_ieee_invalid_op 0
		.amdhsa_exception_fp_denorm_src 0
		.amdhsa_exception_fp_ieee_div_zero 0
		.amdhsa_exception_fp_ieee_overflow 0
		.amdhsa_exception_fp_ieee_underflow 0
		.amdhsa_exception_fp_ieee_inexact 0
		.amdhsa_exception_int_div_zero 0
	.end_amdhsa_kernel
	.section	.text._ZN7rocprim17ROCPRIM_400000_NS6detail17trampoline_kernelINS0_14default_configENS1_38merge_sort_block_merge_config_selectorIhlEEZZNS1_27merge_sort_block_merge_implIS3_PhN6thrust23THRUST_200600_302600_NS10device_ptrIlEEjNS1_19radix_merge_compareILb0ELb0EhNS0_19identity_decomposerEEEEE10hipError_tT0_T1_T2_jT3_P12ihipStream_tbPNSt15iterator_traitsISG_E10value_typeEPNSM_ISH_E10value_typeEPSI_NS1_7vsmem_tEENKUlT_SG_SH_SI_E_clIS7_S7_PlSB_EESF_SV_SG_SH_SI_EUlSV_E_NS1_11comp_targetILNS1_3genE0ELNS1_11target_archE4294967295ELNS1_3gpuE0ELNS1_3repE0EEENS1_48merge_mergepath_partition_config_static_selectorELNS0_4arch9wavefront6targetE1EEEvSH_,"axG",@progbits,_ZN7rocprim17ROCPRIM_400000_NS6detail17trampoline_kernelINS0_14default_configENS1_38merge_sort_block_merge_config_selectorIhlEEZZNS1_27merge_sort_block_merge_implIS3_PhN6thrust23THRUST_200600_302600_NS10device_ptrIlEEjNS1_19radix_merge_compareILb0ELb0EhNS0_19identity_decomposerEEEEE10hipError_tT0_T1_T2_jT3_P12ihipStream_tbPNSt15iterator_traitsISG_E10value_typeEPNSM_ISH_E10value_typeEPSI_NS1_7vsmem_tEENKUlT_SG_SH_SI_E_clIS7_S7_PlSB_EESF_SV_SG_SH_SI_EUlSV_E_NS1_11comp_targetILNS1_3genE0ELNS1_11target_archE4294967295ELNS1_3gpuE0ELNS1_3repE0EEENS1_48merge_mergepath_partition_config_static_selectorELNS0_4arch9wavefront6targetE1EEEvSH_,comdat
.Lfunc_end124:
	.size	_ZN7rocprim17ROCPRIM_400000_NS6detail17trampoline_kernelINS0_14default_configENS1_38merge_sort_block_merge_config_selectorIhlEEZZNS1_27merge_sort_block_merge_implIS3_PhN6thrust23THRUST_200600_302600_NS10device_ptrIlEEjNS1_19radix_merge_compareILb0ELb0EhNS0_19identity_decomposerEEEEE10hipError_tT0_T1_T2_jT3_P12ihipStream_tbPNSt15iterator_traitsISG_E10value_typeEPNSM_ISH_E10value_typeEPSI_NS1_7vsmem_tEENKUlT_SG_SH_SI_E_clIS7_S7_PlSB_EESF_SV_SG_SH_SI_EUlSV_E_NS1_11comp_targetILNS1_3genE0ELNS1_11target_archE4294967295ELNS1_3gpuE0ELNS1_3repE0EEENS1_48merge_mergepath_partition_config_static_selectorELNS0_4arch9wavefront6targetE1EEEvSH_, .Lfunc_end124-_ZN7rocprim17ROCPRIM_400000_NS6detail17trampoline_kernelINS0_14default_configENS1_38merge_sort_block_merge_config_selectorIhlEEZZNS1_27merge_sort_block_merge_implIS3_PhN6thrust23THRUST_200600_302600_NS10device_ptrIlEEjNS1_19radix_merge_compareILb0ELb0EhNS0_19identity_decomposerEEEEE10hipError_tT0_T1_T2_jT3_P12ihipStream_tbPNSt15iterator_traitsISG_E10value_typeEPNSM_ISH_E10value_typeEPSI_NS1_7vsmem_tEENKUlT_SG_SH_SI_E_clIS7_S7_PlSB_EESF_SV_SG_SH_SI_EUlSV_E_NS1_11comp_targetILNS1_3genE0ELNS1_11target_archE4294967295ELNS1_3gpuE0ELNS1_3repE0EEENS1_48merge_mergepath_partition_config_static_selectorELNS0_4arch9wavefront6targetE1EEEvSH_
                                        ; -- End function
	.section	.AMDGPU.csdata,"",@progbits
; Kernel info:
; codeLenInByte = 0
; NumSgprs: 4
; NumVgprs: 0
; NumAgprs: 0
; TotalNumVgprs: 0
; ScratchSize: 0
; MemoryBound: 0
; FloatMode: 240
; IeeeMode: 1
; LDSByteSize: 0 bytes/workgroup (compile time only)
; SGPRBlocks: 0
; VGPRBlocks: 0
; NumSGPRsForWavesPerEU: 4
; NumVGPRsForWavesPerEU: 1
; AccumOffset: 4
; Occupancy: 8
; WaveLimiterHint : 0
; COMPUTE_PGM_RSRC2:SCRATCH_EN: 0
; COMPUTE_PGM_RSRC2:USER_SGPR: 6
; COMPUTE_PGM_RSRC2:TRAP_HANDLER: 0
; COMPUTE_PGM_RSRC2:TGID_X_EN: 1
; COMPUTE_PGM_RSRC2:TGID_Y_EN: 0
; COMPUTE_PGM_RSRC2:TGID_Z_EN: 0
; COMPUTE_PGM_RSRC2:TIDIG_COMP_CNT: 0
; COMPUTE_PGM_RSRC3_GFX90A:ACCUM_OFFSET: 0
; COMPUTE_PGM_RSRC3_GFX90A:TG_SPLIT: 0
	.section	.text._ZN7rocprim17ROCPRIM_400000_NS6detail17trampoline_kernelINS0_14default_configENS1_38merge_sort_block_merge_config_selectorIhlEEZZNS1_27merge_sort_block_merge_implIS3_PhN6thrust23THRUST_200600_302600_NS10device_ptrIlEEjNS1_19radix_merge_compareILb0ELb0EhNS0_19identity_decomposerEEEEE10hipError_tT0_T1_T2_jT3_P12ihipStream_tbPNSt15iterator_traitsISG_E10value_typeEPNSM_ISH_E10value_typeEPSI_NS1_7vsmem_tEENKUlT_SG_SH_SI_E_clIS7_S7_PlSB_EESF_SV_SG_SH_SI_EUlSV_E_NS1_11comp_targetILNS1_3genE10ELNS1_11target_archE1201ELNS1_3gpuE5ELNS1_3repE0EEENS1_48merge_mergepath_partition_config_static_selectorELNS0_4arch9wavefront6targetE1EEEvSH_,"axG",@progbits,_ZN7rocprim17ROCPRIM_400000_NS6detail17trampoline_kernelINS0_14default_configENS1_38merge_sort_block_merge_config_selectorIhlEEZZNS1_27merge_sort_block_merge_implIS3_PhN6thrust23THRUST_200600_302600_NS10device_ptrIlEEjNS1_19radix_merge_compareILb0ELb0EhNS0_19identity_decomposerEEEEE10hipError_tT0_T1_T2_jT3_P12ihipStream_tbPNSt15iterator_traitsISG_E10value_typeEPNSM_ISH_E10value_typeEPSI_NS1_7vsmem_tEENKUlT_SG_SH_SI_E_clIS7_S7_PlSB_EESF_SV_SG_SH_SI_EUlSV_E_NS1_11comp_targetILNS1_3genE10ELNS1_11target_archE1201ELNS1_3gpuE5ELNS1_3repE0EEENS1_48merge_mergepath_partition_config_static_selectorELNS0_4arch9wavefront6targetE1EEEvSH_,comdat
	.protected	_ZN7rocprim17ROCPRIM_400000_NS6detail17trampoline_kernelINS0_14default_configENS1_38merge_sort_block_merge_config_selectorIhlEEZZNS1_27merge_sort_block_merge_implIS3_PhN6thrust23THRUST_200600_302600_NS10device_ptrIlEEjNS1_19radix_merge_compareILb0ELb0EhNS0_19identity_decomposerEEEEE10hipError_tT0_T1_T2_jT3_P12ihipStream_tbPNSt15iterator_traitsISG_E10value_typeEPNSM_ISH_E10value_typeEPSI_NS1_7vsmem_tEENKUlT_SG_SH_SI_E_clIS7_S7_PlSB_EESF_SV_SG_SH_SI_EUlSV_E_NS1_11comp_targetILNS1_3genE10ELNS1_11target_archE1201ELNS1_3gpuE5ELNS1_3repE0EEENS1_48merge_mergepath_partition_config_static_selectorELNS0_4arch9wavefront6targetE1EEEvSH_ ; -- Begin function _ZN7rocprim17ROCPRIM_400000_NS6detail17trampoline_kernelINS0_14default_configENS1_38merge_sort_block_merge_config_selectorIhlEEZZNS1_27merge_sort_block_merge_implIS3_PhN6thrust23THRUST_200600_302600_NS10device_ptrIlEEjNS1_19radix_merge_compareILb0ELb0EhNS0_19identity_decomposerEEEEE10hipError_tT0_T1_T2_jT3_P12ihipStream_tbPNSt15iterator_traitsISG_E10value_typeEPNSM_ISH_E10value_typeEPSI_NS1_7vsmem_tEENKUlT_SG_SH_SI_E_clIS7_S7_PlSB_EESF_SV_SG_SH_SI_EUlSV_E_NS1_11comp_targetILNS1_3genE10ELNS1_11target_archE1201ELNS1_3gpuE5ELNS1_3repE0EEENS1_48merge_mergepath_partition_config_static_selectorELNS0_4arch9wavefront6targetE1EEEvSH_
	.globl	_ZN7rocprim17ROCPRIM_400000_NS6detail17trampoline_kernelINS0_14default_configENS1_38merge_sort_block_merge_config_selectorIhlEEZZNS1_27merge_sort_block_merge_implIS3_PhN6thrust23THRUST_200600_302600_NS10device_ptrIlEEjNS1_19radix_merge_compareILb0ELb0EhNS0_19identity_decomposerEEEEE10hipError_tT0_T1_T2_jT3_P12ihipStream_tbPNSt15iterator_traitsISG_E10value_typeEPNSM_ISH_E10value_typeEPSI_NS1_7vsmem_tEENKUlT_SG_SH_SI_E_clIS7_S7_PlSB_EESF_SV_SG_SH_SI_EUlSV_E_NS1_11comp_targetILNS1_3genE10ELNS1_11target_archE1201ELNS1_3gpuE5ELNS1_3repE0EEENS1_48merge_mergepath_partition_config_static_selectorELNS0_4arch9wavefront6targetE1EEEvSH_
	.p2align	8
	.type	_ZN7rocprim17ROCPRIM_400000_NS6detail17trampoline_kernelINS0_14default_configENS1_38merge_sort_block_merge_config_selectorIhlEEZZNS1_27merge_sort_block_merge_implIS3_PhN6thrust23THRUST_200600_302600_NS10device_ptrIlEEjNS1_19radix_merge_compareILb0ELb0EhNS0_19identity_decomposerEEEEE10hipError_tT0_T1_T2_jT3_P12ihipStream_tbPNSt15iterator_traitsISG_E10value_typeEPNSM_ISH_E10value_typeEPSI_NS1_7vsmem_tEENKUlT_SG_SH_SI_E_clIS7_S7_PlSB_EESF_SV_SG_SH_SI_EUlSV_E_NS1_11comp_targetILNS1_3genE10ELNS1_11target_archE1201ELNS1_3gpuE5ELNS1_3repE0EEENS1_48merge_mergepath_partition_config_static_selectorELNS0_4arch9wavefront6targetE1EEEvSH_,@function
_ZN7rocprim17ROCPRIM_400000_NS6detail17trampoline_kernelINS0_14default_configENS1_38merge_sort_block_merge_config_selectorIhlEEZZNS1_27merge_sort_block_merge_implIS3_PhN6thrust23THRUST_200600_302600_NS10device_ptrIlEEjNS1_19radix_merge_compareILb0ELb0EhNS0_19identity_decomposerEEEEE10hipError_tT0_T1_T2_jT3_P12ihipStream_tbPNSt15iterator_traitsISG_E10value_typeEPNSM_ISH_E10value_typeEPSI_NS1_7vsmem_tEENKUlT_SG_SH_SI_E_clIS7_S7_PlSB_EESF_SV_SG_SH_SI_EUlSV_E_NS1_11comp_targetILNS1_3genE10ELNS1_11target_archE1201ELNS1_3gpuE5ELNS1_3repE0EEENS1_48merge_mergepath_partition_config_static_selectorELNS0_4arch9wavefront6targetE1EEEvSH_: ; @_ZN7rocprim17ROCPRIM_400000_NS6detail17trampoline_kernelINS0_14default_configENS1_38merge_sort_block_merge_config_selectorIhlEEZZNS1_27merge_sort_block_merge_implIS3_PhN6thrust23THRUST_200600_302600_NS10device_ptrIlEEjNS1_19radix_merge_compareILb0ELb0EhNS0_19identity_decomposerEEEEE10hipError_tT0_T1_T2_jT3_P12ihipStream_tbPNSt15iterator_traitsISG_E10value_typeEPNSM_ISH_E10value_typeEPSI_NS1_7vsmem_tEENKUlT_SG_SH_SI_E_clIS7_S7_PlSB_EESF_SV_SG_SH_SI_EUlSV_E_NS1_11comp_targetILNS1_3genE10ELNS1_11target_archE1201ELNS1_3gpuE5ELNS1_3repE0EEENS1_48merge_mergepath_partition_config_static_selectorELNS0_4arch9wavefront6targetE1EEEvSH_
; %bb.0:
	.section	.rodata,"a",@progbits
	.p2align	6, 0x0
	.amdhsa_kernel _ZN7rocprim17ROCPRIM_400000_NS6detail17trampoline_kernelINS0_14default_configENS1_38merge_sort_block_merge_config_selectorIhlEEZZNS1_27merge_sort_block_merge_implIS3_PhN6thrust23THRUST_200600_302600_NS10device_ptrIlEEjNS1_19radix_merge_compareILb0ELb0EhNS0_19identity_decomposerEEEEE10hipError_tT0_T1_T2_jT3_P12ihipStream_tbPNSt15iterator_traitsISG_E10value_typeEPNSM_ISH_E10value_typeEPSI_NS1_7vsmem_tEENKUlT_SG_SH_SI_E_clIS7_S7_PlSB_EESF_SV_SG_SH_SI_EUlSV_E_NS1_11comp_targetILNS1_3genE10ELNS1_11target_archE1201ELNS1_3gpuE5ELNS1_3repE0EEENS1_48merge_mergepath_partition_config_static_selectorELNS0_4arch9wavefront6targetE1EEEvSH_
		.amdhsa_group_segment_fixed_size 0
		.amdhsa_private_segment_fixed_size 0
		.amdhsa_kernarg_size 40
		.amdhsa_user_sgpr_count 6
		.amdhsa_user_sgpr_private_segment_buffer 1
		.amdhsa_user_sgpr_dispatch_ptr 0
		.amdhsa_user_sgpr_queue_ptr 0
		.amdhsa_user_sgpr_kernarg_segment_ptr 1
		.amdhsa_user_sgpr_dispatch_id 0
		.amdhsa_user_sgpr_flat_scratch_init 0
		.amdhsa_user_sgpr_kernarg_preload_length 0
		.amdhsa_user_sgpr_kernarg_preload_offset 0
		.amdhsa_user_sgpr_private_segment_size 0
		.amdhsa_uses_dynamic_stack 0
		.amdhsa_system_sgpr_private_segment_wavefront_offset 0
		.amdhsa_system_sgpr_workgroup_id_x 1
		.amdhsa_system_sgpr_workgroup_id_y 0
		.amdhsa_system_sgpr_workgroup_id_z 0
		.amdhsa_system_sgpr_workgroup_info 0
		.amdhsa_system_vgpr_workitem_id 0
		.amdhsa_next_free_vgpr 1
		.amdhsa_next_free_sgpr 0
		.amdhsa_accum_offset 4
		.amdhsa_reserve_vcc 0
		.amdhsa_reserve_flat_scratch 0
		.amdhsa_float_round_mode_32 0
		.amdhsa_float_round_mode_16_64 0
		.amdhsa_float_denorm_mode_32 3
		.amdhsa_float_denorm_mode_16_64 3
		.amdhsa_dx10_clamp 1
		.amdhsa_ieee_mode 1
		.amdhsa_fp16_overflow 0
		.amdhsa_tg_split 0
		.amdhsa_exception_fp_ieee_invalid_op 0
		.amdhsa_exception_fp_denorm_src 0
		.amdhsa_exception_fp_ieee_div_zero 0
		.amdhsa_exception_fp_ieee_overflow 0
		.amdhsa_exception_fp_ieee_underflow 0
		.amdhsa_exception_fp_ieee_inexact 0
		.amdhsa_exception_int_div_zero 0
	.end_amdhsa_kernel
	.section	.text._ZN7rocprim17ROCPRIM_400000_NS6detail17trampoline_kernelINS0_14default_configENS1_38merge_sort_block_merge_config_selectorIhlEEZZNS1_27merge_sort_block_merge_implIS3_PhN6thrust23THRUST_200600_302600_NS10device_ptrIlEEjNS1_19radix_merge_compareILb0ELb0EhNS0_19identity_decomposerEEEEE10hipError_tT0_T1_T2_jT3_P12ihipStream_tbPNSt15iterator_traitsISG_E10value_typeEPNSM_ISH_E10value_typeEPSI_NS1_7vsmem_tEENKUlT_SG_SH_SI_E_clIS7_S7_PlSB_EESF_SV_SG_SH_SI_EUlSV_E_NS1_11comp_targetILNS1_3genE10ELNS1_11target_archE1201ELNS1_3gpuE5ELNS1_3repE0EEENS1_48merge_mergepath_partition_config_static_selectorELNS0_4arch9wavefront6targetE1EEEvSH_,"axG",@progbits,_ZN7rocprim17ROCPRIM_400000_NS6detail17trampoline_kernelINS0_14default_configENS1_38merge_sort_block_merge_config_selectorIhlEEZZNS1_27merge_sort_block_merge_implIS3_PhN6thrust23THRUST_200600_302600_NS10device_ptrIlEEjNS1_19radix_merge_compareILb0ELb0EhNS0_19identity_decomposerEEEEE10hipError_tT0_T1_T2_jT3_P12ihipStream_tbPNSt15iterator_traitsISG_E10value_typeEPNSM_ISH_E10value_typeEPSI_NS1_7vsmem_tEENKUlT_SG_SH_SI_E_clIS7_S7_PlSB_EESF_SV_SG_SH_SI_EUlSV_E_NS1_11comp_targetILNS1_3genE10ELNS1_11target_archE1201ELNS1_3gpuE5ELNS1_3repE0EEENS1_48merge_mergepath_partition_config_static_selectorELNS0_4arch9wavefront6targetE1EEEvSH_,comdat
.Lfunc_end125:
	.size	_ZN7rocprim17ROCPRIM_400000_NS6detail17trampoline_kernelINS0_14default_configENS1_38merge_sort_block_merge_config_selectorIhlEEZZNS1_27merge_sort_block_merge_implIS3_PhN6thrust23THRUST_200600_302600_NS10device_ptrIlEEjNS1_19radix_merge_compareILb0ELb0EhNS0_19identity_decomposerEEEEE10hipError_tT0_T1_T2_jT3_P12ihipStream_tbPNSt15iterator_traitsISG_E10value_typeEPNSM_ISH_E10value_typeEPSI_NS1_7vsmem_tEENKUlT_SG_SH_SI_E_clIS7_S7_PlSB_EESF_SV_SG_SH_SI_EUlSV_E_NS1_11comp_targetILNS1_3genE10ELNS1_11target_archE1201ELNS1_3gpuE5ELNS1_3repE0EEENS1_48merge_mergepath_partition_config_static_selectorELNS0_4arch9wavefront6targetE1EEEvSH_, .Lfunc_end125-_ZN7rocprim17ROCPRIM_400000_NS6detail17trampoline_kernelINS0_14default_configENS1_38merge_sort_block_merge_config_selectorIhlEEZZNS1_27merge_sort_block_merge_implIS3_PhN6thrust23THRUST_200600_302600_NS10device_ptrIlEEjNS1_19radix_merge_compareILb0ELb0EhNS0_19identity_decomposerEEEEE10hipError_tT0_T1_T2_jT3_P12ihipStream_tbPNSt15iterator_traitsISG_E10value_typeEPNSM_ISH_E10value_typeEPSI_NS1_7vsmem_tEENKUlT_SG_SH_SI_E_clIS7_S7_PlSB_EESF_SV_SG_SH_SI_EUlSV_E_NS1_11comp_targetILNS1_3genE10ELNS1_11target_archE1201ELNS1_3gpuE5ELNS1_3repE0EEENS1_48merge_mergepath_partition_config_static_selectorELNS0_4arch9wavefront6targetE1EEEvSH_
                                        ; -- End function
	.section	.AMDGPU.csdata,"",@progbits
; Kernel info:
; codeLenInByte = 0
; NumSgprs: 4
; NumVgprs: 0
; NumAgprs: 0
; TotalNumVgprs: 0
; ScratchSize: 0
; MemoryBound: 0
; FloatMode: 240
; IeeeMode: 1
; LDSByteSize: 0 bytes/workgroup (compile time only)
; SGPRBlocks: 0
; VGPRBlocks: 0
; NumSGPRsForWavesPerEU: 4
; NumVGPRsForWavesPerEU: 1
; AccumOffset: 4
; Occupancy: 8
; WaveLimiterHint : 0
; COMPUTE_PGM_RSRC2:SCRATCH_EN: 0
; COMPUTE_PGM_RSRC2:USER_SGPR: 6
; COMPUTE_PGM_RSRC2:TRAP_HANDLER: 0
; COMPUTE_PGM_RSRC2:TGID_X_EN: 1
; COMPUTE_PGM_RSRC2:TGID_Y_EN: 0
; COMPUTE_PGM_RSRC2:TGID_Z_EN: 0
; COMPUTE_PGM_RSRC2:TIDIG_COMP_CNT: 0
; COMPUTE_PGM_RSRC3_GFX90A:ACCUM_OFFSET: 0
; COMPUTE_PGM_RSRC3_GFX90A:TG_SPLIT: 0
	.section	.text._ZN7rocprim17ROCPRIM_400000_NS6detail17trampoline_kernelINS0_14default_configENS1_38merge_sort_block_merge_config_selectorIhlEEZZNS1_27merge_sort_block_merge_implIS3_PhN6thrust23THRUST_200600_302600_NS10device_ptrIlEEjNS1_19radix_merge_compareILb0ELb0EhNS0_19identity_decomposerEEEEE10hipError_tT0_T1_T2_jT3_P12ihipStream_tbPNSt15iterator_traitsISG_E10value_typeEPNSM_ISH_E10value_typeEPSI_NS1_7vsmem_tEENKUlT_SG_SH_SI_E_clIS7_S7_PlSB_EESF_SV_SG_SH_SI_EUlSV_E_NS1_11comp_targetILNS1_3genE5ELNS1_11target_archE942ELNS1_3gpuE9ELNS1_3repE0EEENS1_48merge_mergepath_partition_config_static_selectorELNS0_4arch9wavefront6targetE1EEEvSH_,"axG",@progbits,_ZN7rocprim17ROCPRIM_400000_NS6detail17trampoline_kernelINS0_14default_configENS1_38merge_sort_block_merge_config_selectorIhlEEZZNS1_27merge_sort_block_merge_implIS3_PhN6thrust23THRUST_200600_302600_NS10device_ptrIlEEjNS1_19radix_merge_compareILb0ELb0EhNS0_19identity_decomposerEEEEE10hipError_tT0_T1_T2_jT3_P12ihipStream_tbPNSt15iterator_traitsISG_E10value_typeEPNSM_ISH_E10value_typeEPSI_NS1_7vsmem_tEENKUlT_SG_SH_SI_E_clIS7_S7_PlSB_EESF_SV_SG_SH_SI_EUlSV_E_NS1_11comp_targetILNS1_3genE5ELNS1_11target_archE942ELNS1_3gpuE9ELNS1_3repE0EEENS1_48merge_mergepath_partition_config_static_selectorELNS0_4arch9wavefront6targetE1EEEvSH_,comdat
	.protected	_ZN7rocprim17ROCPRIM_400000_NS6detail17trampoline_kernelINS0_14default_configENS1_38merge_sort_block_merge_config_selectorIhlEEZZNS1_27merge_sort_block_merge_implIS3_PhN6thrust23THRUST_200600_302600_NS10device_ptrIlEEjNS1_19radix_merge_compareILb0ELb0EhNS0_19identity_decomposerEEEEE10hipError_tT0_T1_T2_jT3_P12ihipStream_tbPNSt15iterator_traitsISG_E10value_typeEPNSM_ISH_E10value_typeEPSI_NS1_7vsmem_tEENKUlT_SG_SH_SI_E_clIS7_S7_PlSB_EESF_SV_SG_SH_SI_EUlSV_E_NS1_11comp_targetILNS1_3genE5ELNS1_11target_archE942ELNS1_3gpuE9ELNS1_3repE0EEENS1_48merge_mergepath_partition_config_static_selectorELNS0_4arch9wavefront6targetE1EEEvSH_ ; -- Begin function _ZN7rocprim17ROCPRIM_400000_NS6detail17trampoline_kernelINS0_14default_configENS1_38merge_sort_block_merge_config_selectorIhlEEZZNS1_27merge_sort_block_merge_implIS3_PhN6thrust23THRUST_200600_302600_NS10device_ptrIlEEjNS1_19radix_merge_compareILb0ELb0EhNS0_19identity_decomposerEEEEE10hipError_tT0_T1_T2_jT3_P12ihipStream_tbPNSt15iterator_traitsISG_E10value_typeEPNSM_ISH_E10value_typeEPSI_NS1_7vsmem_tEENKUlT_SG_SH_SI_E_clIS7_S7_PlSB_EESF_SV_SG_SH_SI_EUlSV_E_NS1_11comp_targetILNS1_3genE5ELNS1_11target_archE942ELNS1_3gpuE9ELNS1_3repE0EEENS1_48merge_mergepath_partition_config_static_selectorELNS0_4arch9wavefront6targetE1EEEvSH_
	.globl	_ZN7rocprim17ROCPRIM_400000_NS6detail17trampoline_kernelINS0_14default_configENS1_38merge_sort_block_merge_config_selectorIhlEEZZNS1_27merge_sort_block_merge_implIS3_PhN6thrust23THRUST_200600_302600_NS10device_ptrIlEEjNS1_19radix_merge_compareILb0ELb0EhNS0_19identity_decomposerEEEEE10hipError_tT0_T1_T2_jT3_P12ihipStream_tbPNSt15iterator_traitsISG_E10value_typeEPNSM_ISH_E10value_typeEPSI_NS1_7vsmem_tEENKUlT_SG_SH_SI_E_clIS7_S7_PlSB_EESF_SV_SG_SH_SI_EUlSV_E_NS1_11comp_targetILNS1_3genE5ELNS1_11target_archE942ELNS1_3gpuE9ELNS1_3repE0EEENS1_48merge_mergepath_partition_config_static_selectorELNS0_4arch9wavefront6targetE1EEEvSH_
	.p2align	8
	.type	_ZN7rocprim17ROCPRIM_400000_NS6detail17trampoline_kernelINS0_14default_configENS1_38merge_sort_block_merge_config_selectorIhlEEZZNS1_27merge_sort_block_merge_implIS3_PhN6thrust23THRUST_200600_302600_NS10device_ptrIlEEjNS1_19radix_merge_compareILb0ELb0EhNS0_19identity_decomposerEEEEE10hipError_tT0_T1_T2_jT3_P12ihipStream_tbPNSt15iterator_traitsISG_E10value_typeEPNSM_ISH_E10value_typeEPSI_NS1_7vsmem_tEENKUlT_SG_SH_SI_E_clIS7_S7_PlSB_EESF_SV_SG_SH_SI_EUlSV_E_NS1_11comp_targetILNS1_3genE5ELNS1_11target_archE942ELNS1_3gpuE9ELNS1_3repE0EEENS1_48merge_mergepath_partition_config_static_selectorELNS0_4arch9wavefront6targetE1EEEvSH_,@function
_ZN7rocprim17ROCPRIM_400000_NS6detail17trampoline_kernelINS0_14default_configENS1_38merge_sort_block_merge_config_selectorIhlEEZZNS1_27merge_sort_block_merge_implIS3_PhN6thrust23THRUST_200600_302600_NS10device_ptrIlEEjNS1_19radix_merge_compareILb0ELb0EhNS0_19identity_decomposerEEEEE10hipError_tT0_T1_T2_jT3_P12ihipStream_tbPNSt15iterator_traitsISG_E10value_typeEPNSM_ISH_E10value_typeEPSI_NS1_7vsmem_tEENKUlT_SG_SH_SI_E_clIS7_S7_PlSB_EESF_SV_SG_SH_SI_EUlSV_E_NS1_11comp_targetILNS1_3genE5ELNS1_11target_archE942ELNS1_3gpuE9ELNS1_3repE0EEENS1_48merge_mergepath_partition_config_static_selectorELNS0_4arch9wavefront6targetE1EEEvSH_: ; @_ZN7rocprim17ROCPRIM_400000_NS6detail17trampoline_kernelINS0_14default_configENS1_38merge_sort_block_merge_config_selectorIhlEEZZNS1_27merge_sort_block_merge_implIS3_PhN6thrust23THRUST_200600_302600_NS10device_ptrIlEEjNS1_19radix_merge_compareILb0ELb0EhNS0_19identity_decomposerEEEEE10hipError_tT0_T1_T2_jT3_P12ihipStream_tbPNSt15iterator_traitsISG_E10value_typeEPNSM_ISH_E10value_typeEPSI_NS1_7vsmem_tEENKUlT_SG_SH_SI_E_clIS7_S7_PlSB_EESF_SV_SG_SH_SI_EUlSV_E_NS1_11comp_targetILNS1_3genE5ELNS1_11target_archE942ELNS1_3gpuE9ELNS1_3repE0EEENS1_48merge_mergepath_partition_config_static_selectorELNS0_4arch9wavefront6targetE1EEEvSH_
; %bb.0:
	.section	.rodata,"a",@progbits
	.p2align	6, 0x0
	.amdhsa_kernel _ZN7rocprim17ROCPRIM_400000_NS6detail17trampoline_kernelINS0_14default_configENS1_38merge_sort_block_merge_config_selectorIhlEEZZNS1_27merge_sort_block_merge_implIS3_PhN6thrust23THRUST_200600_302600_NS10device_ptrIlEEjNS1_19radix_merge_compareILb0ELb0EhNS0_19identity_decomposerEEEEE10hipError_tT0_T1_T2_jT3_P12ihipStream_tbPNSt15iterator_traitsISG_E10value_typeEPNSM_ISH_E10value_typeEPSI_NS1_7vsmem_tEENKUlT_SG_SH_SI_E_clIS7_S7_PlSB_EESF_SV_SG_SH_SI_EUlSV_E_NS1_11comp_targetILNS1_3genE5ELNS1_11target_archE942ELNS1_3gpuE9ELNS1_3repE0EEENS1_48merge_mergepath_partition_config_static_selectorELNS0_4arch9wavefront6targetE1EEEvSH_
		.amdhsa_group_segment_fixed_size 0
		.amdhsa_private_segment_fixed_size 0
		.amdhsa_kernarg_size 40
		.amdhsa_user_sgpr_count 6
		.amdhsa_user_sgpr_private_segment_buffer 1
		.amdhsa_user_sgpr_dispatch_ptr 0
		.amdhsa_user_sgpr_queue_ptr 0
		.amdhsa_user_sgpr_kernarg_segment_ptr 1
		.amdhsa_user_sgpr_dispatch_id 0
		.amdhsa_user_sgpr_flat_scratch_init 0
		.amdhsa_user_sgpr_kernarg_preload_length 0
		.amdhsa_user_sgpr_kernarg_preload_offset 0
		.amdhsa_user_sgpr_private_segment_size 0
		.amdhsa_uses_dynamic_stack 0
		.amdhsa_system_sgpr_private_segment_wavefront_offset 0
		.amdhsa_system_sgpr_workgroup_id_x 1
		.amdhsa_system_sgpr_workgroup_id_y 0
		.amdhsa_system_sgpr_workgroup_id_z 0
		.amdhsa_system_sgpr_workgroup_info 0
		.amdhsa_system_vgpr_workitem_id 0
		.amdhsa_next_free_vgpr 1
		.amdhsa_next_free_sgpr 0
		.amdhsa_accum_offset 4
		.amdhsa_reserve_vcc 0
		.amdhsa_reserve_flat_scratch 0
		.amdhsa_float_round_mode_32 0
		.amdhsa_float_round_mode_16_64 0
		.amdhsa_float_denorm_mode_32 3
		.amdhsa_float_denorm_mode_16_64 3
		.amdhsa_dx10_clamp 1
		.amdhsa_ieee_mode 1
		.amdhsa_fp16_overflow 0
		.amdhsa_tg_split 0
		.amdhsa_exception_fp_ieee_invalid_op 0
		.amdhsa_exception_fp_denorm_src 0
		.amdhsa_exception_fp_ieee_div_zero 0
		.amdhsa_exception_fp_ieee_overflow 0
		.amdhsa_exception_fp_ieee_underflow 0
		.amdhsa_exception_fp_ieee_inexact 0
		.amdhsa_exception_int_div_zero 0
	.end_amdhsa_kernel
	.section	.text._ZN7rocprim17ROCPRIM_400000_NS6detail17trampoline_kernelINS0_14default_configENS1_38merge_sort_block_merge_config_selectorIhlEEZZNS1_27merge_sort_block_merge_implIS3_PhN6thrust23THRUST_200600_302600_NS10device_ptrIlEEjNS1_19radix_merge_compareILb0ELb0EhNS0_19identity_decomposerEEEEE10hipError_tT0_T1_T2_jT3_P12ihipStream_tbPNSt15iterator_traitsISG_E10value_typeEPNSM_ISH_E10value_typeEPSI_NS1_7vsmem_tEENKUlT_SG_SH_SI_E_clIS7_S7_PlSB_EESF_SV_SG_SH_SI_EUlSV_E_NS1_11comp_targetILNS1_3genE5ELNS1_11target_archE942ELNS1_3gpuE9ELNS1_3repE0EEENS1_48merge_mergepath_partition_config_static_selectorELNS0_4arch9wavefront6targetE1EEEvSH_,"axG",@progbits,_ZN7rocprim17ROCPRIM_400000_NS6detail17trampoline_kernelINS0_14default_configENS1_38merge_sort_block_merge_config_selectorIhlEEZZNS1_27merge_sort_block_merge_implIS3_PhN6thrust23THRUST_200600_302600_NS10device_ptrIlEEjNS1_19radix_merge_compareILb0ELb0EhNS0_19identity_decomposerEEEEE10hipError_tT0_T1_T2_jT3_P12ihipStream_tbPNSt15iterator_traitsISG_E10value_typeEPNSM_ISH_E10value_typeEPSI_NS1_7vsmem_tEENKUlT_SG_SH_SI_E_clIS7_S7_PlSB_EESF_SV_SG_SH_SI_EUlSV_E_NS1_11comp_targetILNS1_3genE5ELNS1_11target_archE942ELNS1_3gpuE9ELNS1_3repE0EEENS1_48merge_mergepath_partition_config_static_selectorELNS0_4arch9wavefront6targetE1EEEvSH_,comdat
.Lfunc_end126:
	.size	_ZN7rocprim17ROCPRIM_400000_NS6detail17trampoline_kernelINS0_14default_configENS1_38merge_sort_block_merge_config_selectorIhlEEZZNS1_27merge_sort_block_merge_implIS3_PhN6thrust23THRUST_200600_302600_NS10device_ptrIlEEjNS1_19radix_merge_compareILb0ELb0EhNS0_19identity_decomposerEEEEE10hipError_tT0_T1_T2_jT3_P12ihipStream_tbPNSt15iterator_traitsISG_E10value_typeEPNSM_ISH_E10value_typeEPSI_NS1_7vsmem_tEENKUlT_SG_SH_SI_E_clIS7_S7_PlSB_EESF_SV_SG_SH_SI_EUlSV_E_NS1_11comp_targetILNS1_3genE5ELNS1_11target_archE942ELNS1_3gpuE9ELNS1_3repE0EEENS1_48merge_mergepath_partition_config_static_selectorELNS0_4arch9wavefront6targetE1EEEvSH_, .Lfunc_end126-_ZN7rocprim17ROCPRIM_400000_NS6detail17trampoline_kernelINS0_14default_configENS1_38merge_sort_block_merge_config_selectorIhlEEZZNS1_27merge_sort_block_merge_implIS3_PhN6thrust23THRUST_200600_302600_NS10device_ptrIlEEjNS1_19radix_merge_compareILb0ELb0EhNS0_19identity_decomposerEEEEE10hipError_tT0_T1_T2_jT3_P12ihipStream_tbPNSt15iterator_traitsISG_E10value_typeEPNSM_ISH_E10value_typeEPSI_NS1_7vsmem_tEENKUlT_SG_SH_SI_E_clIS7_S7_PlSB_EESF_SV_SG_SH_SI_EUlSV_E_NS1_11comp_targetILNS1_3genE5ELNS1_11target_archE942ELNS1_3gpuE9ELNS1_3repE0EEENS1_48merge_mergepath_partition_config_static_selectorELNS0_4arch9wavefront6targetE1EEEvSH_
                                        ; -- End function
	.section	.AMDGPU.csdata,"",@progbits
; Kernel info:
; codeLenInByte = 0
; NumSgprs: 4
; NumVgprs: 0
; NumAgprs: 0
; TotalNumVgprs: 0
; ScratchSize: 0
; MemoryBound: 0
; FloatMode: 240
; IeeeMode: 1
; LDSByteSize: 0 bytes/workgroup (compile time only)
; SGPRBlocks: 0
; VGPRBlocks: 0
; NumSGPRsForWavesPerEU: 4
; NumVGPRsForWavesPerEU: 1
; AccumOffset: 4
; Occupancy: 8
; WaveLimiterHint : 0
; COMPUTE_PGM_RSRC2:SCRATCH_EN: 0
; COMPUTE_PGM_RSRC2:USER_SGPR: 6
; COMPUTE_PGM_RSRC2:TRAP_HANDLER: 0
; COMPUTE_PGM_RSRC2:TGID_X_EN: 1
; COMPUTE_PGM_RSRC2:TGID_Y_EN: 0
; COMPUTE_PGM_RSRC2:TGID_Z_EN: 0
; COMPUTE_PGM_RSRC2:TIDIG_COMP_CNT: 0
; COMPUTE_PGM_RSRC3_GFX90A:ACCUM_OFFSET: 0
; COMPUTE_PGM_RSRC3_GFX90A:TG_SPLIT: 0
	.section	.text._ZN7rocprim17ROCPRIM_400000_NS6detail17trampoline_kernelINS0_14default_configENS1_38merge_sort_block_merge_config_selectorIhlEEZZNS1_27merge_sort_block_merge_implIS3_PhN6thrust23THRUST_200600_302600_NS10device_ptrIlEEjNS1_19radix_merge_compareILb0ELb0EhNS0_19identity_decomposerEEEEE10hipError_tT0_T1_T2_jT3_P12ihipStream_tbPNSt15iterator_traitsISG_E10value_typeEPNSM_ISH_E10value_typeEPSI_NS1_7vsmem_tEENKUlT_SG_SH_SI_E_clIS7_S7_PlSB_EESF_SV_SG_SH_SI_EUlSV_E_NS1_11comp_targetILNS1_3genE4ELNS1_11target_archE910ELNS1_3gpuE8ELNS1_3repE0EEENS1_48merge_mergepath_partition_config_static_selectorELNS0_4arch9wavefront6targetE1EEEvSH_,"axG",@progbits,_ZN7rocprim17ROCPRIM_400000_NS6detail17trampoline_kernelINS0_14default_configENS1_38merge_sort_block_merge_config_selectorIhlEEZZNS1_27merge_sort_block_merge_implIS3_PhN6thrust23THRUST_200600_302600_NS10device_ptrIlEEjNS1_19radix_merge_compareILb0ELb0EhNS0_19identity_decomposerEEEEE10hipError_tT0_T1_T2_jT3_P12ihipStream_tbPNSt15iterator_traitsISG_E10value_typeEPNSM_ISH_E10value_typeEPSI_NS1_7vsmem_tEENKUlT_SG_SH_SI_E_clIS7_S7_PlSB_EESF_SV_SG_SH_SI_EUlSV_E_NS1_11comp_targetILNS1_3genE4ELNS1_11target_archE910ELNS1_3gpuE8ELNS1_3repE0EEENS1_48merge_mergepath_partition_config_static_selectorELNS0_4arch9wavefront6targetE1EEEvSH_,comdat
	.protected	_ZN7rocprim17ROCPRIM_400000_NS6detail17trampoline_kernelINS0_14default_configENS1_38merge_sort_block_merge_config_selectorIhlEEZZNS1_27merge_sort_block_merge_implIS3_PhN6thrust23THRUST_200600_302600_NS10device_ptrIlEEjNS1_19radix_merge_compareILb0ELb0EhNS0_19identity_decomposerEEEEE10hipError_tT0_T1_T2_jT3_P12ihipStream_tbPNSt15iterator_traitsISG_E10value_typeEPNSM_ISH_E10value_typeEPSI_NS1_7vsmem_tEENKUlT_SG_SH_SI_E_clIS7_S7_PlSB_EESF_SV_SG_SH_SI_EUlSV_E_NS1_11comp_targetILNS1_3genE4ELNS1_11target_archE910ELNS1_3gpuE8ELNS1_3repE0EEENS1_48merge_mergepath_partition_config_static_selectorELNS0_4arch9wavefront6targetE1EEEvSH_ ; -- Begin function _ZN7rocprim17ROCPRIM_400000_NS6detail17trampoline_kernelINS0_14default_configENS1_38merge_sort_block_merge_config_selectorIhlEEZZNS1_27merge_sort_block_merge_implIS3_PhN6thrust23THRUST_200600_302600_NS10device_ptrIlEEjNS1_19radix_merge_compareILb0ELb0EhNS0_19identity_decomposerEEEEE10hipError_tT0_T1_T2_jT3_P12ihipStream_tbPNSt15iterator_traitsISG_E10value_typeEPNSM_ISH_E10value_typeEPSI_NS1_7vsmem_tEENKUlT_SG_SH_SI_E_clIS7_S7_PlSB_EESF_SV_SG_SH_SI_EUlSV_E_NS1_11comp_targetILNS1_3genE4ELNS1_11target_archE910ELNS1_3gpuE8ELNS1_3repE0EEENS1_48merge_mergepath_partition_config_static_selectorELNS0_4arch9wavefront6targetE1EEEvSH_
	.globl	_ZN7rocprim17ROCPRIM_400000_NS6detail17trampoline_kernelINS0_14default_configENS1_38merge_sort_block_merge_config_selectorIhlEEZZNS1_27merge_sort_block_merge_implIS3_PhN6thrust23THRUST_200600_302600_NS10device_ptrIlEEjNS1_19radix_merge_compareILb0ELb0EhNS0_19identity_decomposerEEEEE10hipError_tT0_T1_T2_jT3_P12ihipStream_tbPNSt15iterator_traitsISG_E10value_typeEPNSM_ISH_E10value_typeEPSI_NS1_7vsmem_tEENKUlT_SG_SH_SI_E_clIS7_S7_PlSB_EESF_SV_SG_SH_SI_EUlSV_E_NS1_11comp_targetILNS1_3genE4ELNS1_11target_archE910ELNS1_3gpuE8ELNS1_3repE0EEENS1_48merge_mergepath_partition_config_static_selectorELNS0_4arch9wavefront6targetE1EEEvSH_
	.p2align	8
	.type	_ZN7rocprim17ROCPRIM_400000_NS6detail17trampoline_kernelINS0_14default_configENS1_38merge_sort_block_merge_config_selectorIhlEEZZNS1_27merge_sort_block_merge_implIS3_PhN6thrust23THRUST_200600_302600_NS10device_ptrIlEEjNS1_19radix_merge_compareILb0ELb0EhNS0_19identity_decomposerEEEEE10hipError_tT0_T1_T2_jT3_P12ihipStream_tbPNSt15iterator_traitsISG_E10value_typeEPNSM_ISH_E10value_typeEPSI_NS1_7vsmem_tEENKUlT_SG_SH_SI_E_clIS7_S7_PlSB_EESF_SV_SG_SH_SI_EUlSV_E_NS1_11comp_targetILNS1_3genE4ELNS1_11target_archE910ELNS1_3gpuE8ELNS1_3repE0EEENS1_48merge_mergepath_partition_config_static_selectorELNS0_4arch9wavefront6targetE1EEEvSH_,@function
_ZN7rocprim17ROCPRIM_400000_NS6detail17trampoline_kernelINS0_14default_configENS1_38merge_sort_block_merge_config_selectorIhlEEZZNS1_27merge_sort_block_merge_implIS3_PhN6thrust23THRUST_200600_302600_NS10device_ptrIlEEjNS1_19radix_merge_compareILb0ELb0EhNS0_19identity_decomposerEEEEE10hipError_tT0_T1_T2_jT3_P12ihipStream_tbPNSt15iterator_traitsISG_E10value_typeEPNSM_ISH_E10value_typeEPSI_NS1_7vsmem_tEENKUlT_SG_SH_SI_E_clIS7_S7_PlSB_EESF_SV_SG_SH_SI_EUlSV_E_NS1_11comp_targetILNS1_3genE4ELNS1_11target_archE910ELNS1_3gpuE8ELNS1_3repE0EEENS1_48merge_mergepath_partition_config_static_selectorELNS0_4arch9wavefront6targetE1EEEvSH_: ; @_ZN7rocprim17ROCPRIM_400000_NS6detail17trampoline_kernelINS0_14default_configENS1_38merge_sort_block_merge_config_selectorIhlEEZZNS1_27merge_sort_block_merge_implIS3_PhN6thrust23THRUST_200600_302600_NS10device_ptrIlEEjNS1_19radix_merge_compareILb0ELb0EhNS0_19identity_decomposerEEEEE10hipError_tT0_T1_T2_jT3_P12ihipStream_tbPNSt15iterator_traitsISG_E10value_typeEPNSM_ISH_E10value_typeEPSI_NS1_7vsmem_tEENKUlT_SG_SH_SI_E_clIS7_S7_PlSB_EESF_SV_SG_SH_SI_EUlSV_E_NS1_11comp_targetILNS1_3genE4ELNS1_11target_archE910ELNS1_3gpuE8ELNS1_3repE0EEENS1_48merge_mergepath_partition_config_static_selectorELNS0_4arch9wavefront6targetE1EEEvSH_
; %bb.0:
	s_load_dword s0, s[4:5], 0x0
	v_lshl_or_b32 v0, s6, 7, v0
	s_waitcnt lgkmcnt(0)
	v_cmp_gt_u32_e32 vcc, s0, v0
	s_and_saveexec_b64 s[0:1], vcc
	s_cbranch_execz .LBB127_6
; %bb.1:
	s_load_dwordx2 s[2:3], s[4:5], 0x4
	s_load_dwordx2 s[0:1], s[4:5], 0x20
	s_waitcnt lgkmcnt(0)
	s_lshr_b32 s6, s2, 9
	s_and_b32 s6, s6, 0x7ffffe
	s_add_i32 s7, s6, -1
	s_sub_i32 s6, 0, s6
	v_and_b32_e32 v1, s6, v0
	v_lshlrev_b32_e32 v3, 10, v1
	v_min_u32_e32 v1, s3, v3
	v_add_u32_e32 v3, s2, v3
	v_min_u32_e32 v7, s3, v3
	v_add_u32_e32 v3, s2, v7
	v_and_b32_e32 v2, s7, v0
	v_min_u32_e32 v4, s3, v3
	v_sub_u32_e32 v3, v4, v1
	v_lshlrev_b32_e32 v2, 10, v2
	v_min_u32_e32 v3, v3, v2
	v_sub_u32_e32 v5, v7, v1
	v_sub_u32_e32 v2, v4, v7
	v_sub_u32_e64 v2, v3, v2 clamp
	v_min_u32_e32 v4, v3, v5
	v_cmp_lt_u32_e32 vcc, v2, v4
	s_and_saveexec_b64 s[2:3], vcc
	s_cbranch_execz .LBB127_5
; %bb.2:
	s_load_dwordx2 s[4:5], s[4:5], 0x10
	s_waitcnt lgkmcnt(0)
	v_mov_b32_e32 v8, s5
	v_add_co_u32_e32 v5, vcc, s4, v1
	v_addc_co_u32_e32 v6, vcc, 0, v8, vcc
	v_add_co_u32_e32 v7, vcc, s4, v7
	v_addc_co_u32_e32 v8, vcc, 0, v8, vcc
	s_mov_b64 s[4:5], 0
.LBB127_3:                              ; =>This Inner Loop Header: Depth=1
	v_add_u32_e32 v9, v4, v2
	v_lshrrev_b32_e32 v9, 1, v9
	v_add_co_u32_e32 v10, vcc, v5, v9
	v_xad_u32 v12, v9, -1, v3
	v_addc_co_u32_e32 v11, vcc, 0, v6, vcc
	v_add_co_u32_e32 v12, vcc, v7, v12
	v_addc_co_u32_e32 v13, vcc, 0, v8, vcc
	global_load_ubyte v14, v[10:11], off
	global_load_ubyte v15, v[12:13], off
	v_add_u32_e32 v10, 1, v9
	s_waitcnt vmcnt(0)
	v_cmp_gt_u16_e32 vcc, v14, v15
	v_cndmask_b32_e32 v4, v4, v9, vcc
	v_cndmask_b32_e32 v2, v10, v2, vcc
	v_cmp_ge_u32_e32 vcc, v2, v4
	s_or_b64 s[4:5], vcc, s[4:5]
	s_andn2_b64 exec, exec, s[4:5]
	s_cbranch_execnz .LBB127_3
; %bb.4:
	s_or_b64 exec, exec, s[4:5]
.LBB127_5:
	s_or_b64 exec, exec, s[2:3]
	v_add_u32_e32 v2, v2, v1
	v_mov_b32_e32 v1, 0
	v_lshlrev_b64 v[0:1], 2, v[0:1]
	v_mov_b32_e32 v3, s1
	v_add_co_u32_e32 v0, vcc, s0, v0
	v_addc_co_u32_e32 v1, vcc, v3, v1, vcc
	global_store_dword v[0:1], v2, off
.LBB127_6:
	s_endpgm
	.section	.rodata,"a",@progbits
	.p2align	6, 0x0
	.amdhsa_kernel _ZN7rocprim17ROCPRIM_400000_NS6detail17trampoline_kernelINS0_14default_configENS1_38merge_sort_block_merge_config_selectorIhlEEZZNS1_27merge_sort_block_merge_implIS3_PhN6thrust23THRUST_200600_302600_NS10device_ptrIlEEjNS1_19radix_merge_compareILb0ELb0EhNS0_19identity_decomposerEEEEE10hipError_tT0_T1_T2_jT3_P12ihipStream_tbPNSt15iterator_traitsISG_E10value_typeEPNSM_ISH_E10value_typeEPSI_NS1_7vsmem_tEENKUlT_SG_SH_SI_E_clIS7_S7_PlSB_EESF_SV_SG_SH_SI_EUlSV_E_NS1_11comp_targetILNS1_3genE4ELNS1_11target_archE910ELNS1_3gpuE8ELNS1_3repE0EEENS1_48merge_mergepath_partition_config_static_selectorELNS0_4arch9wavefront6targetE1EEEvSH_
		.amdhsa_group_segment_fixed_size 0
		.amdhsa_private_segment_fixed_size 0
		.amdhsa_kernarg_size 40
		.amdhsa_user_sgpr_count 6
		.amdhsa_user_sgpr_private_segment_buffer 1
		.amdhsa_user_sgpr_dispatch_ptr 0
		.amdhsa_user_sgpr_queue_ptr 0
		.amdhsa_user_sgpr_kernarg_segment_ptr 1
		.amdhsa_user_sgpr_dispatch_id 0
		.amdhsa_user_sgpr_flat_scratch_init 0
		.amdhsa_user_sgpr_kernarg_preload_length 0
		.amdhsa_user_sgpr_kernarg_preload_offset 0
		.amdhsa_user_sgpr_private_segment_size 0
		.amdhsa_uses_dynamic_stack 0
		.amdhsa_system_sgpr_private_segment_wavefront_offset 0
		.amdhsa_system_sgpr_workgroup_id_x 1
		.amdhsa_system_sgpr_workgroup_id_y 0
		.amdhsa_system_sgpr_workgroup_id_z 0
		.amdhsa_system_sgpr_workgroup_info 0
		.amdhsa_system_vgpr_workitem_id 0
		.amdhsa_next_free_vgpr 16
		.amdhsa_next_free_sgpr 8
		.amdhsa_accum_offset 16
		.amdhsa_reserve_vcc 1
		.amdhsa_reserve_flat_scratch 0
		.amdhsa_float_round_mode_32 0
		.amdhsa_float_round_mode_16_64 0
		.amdhsa_float_denorm_mode_32 3
		.amdhsa_float_denorm_mode_16_64 3
		.amdhsa_dx10_clamp 1
		.amdhsa_ieee_mode 1
		.amdhsa_fp16_overflow 0
		.amdhsa_tg_split 0
		.amdhsa_exception_fp_ieee_invalid_op 0
		.amdhsa_exception_fp_denorm_src 0
		.amdhsa_exception_fp_ieee_div_zero 0
		.amdhsa_exception_fp_ieee_overflow 0
		.amdhsa_exception_fp_ieee_underflow 0
		.amdhsa_exception_fp_ieee_inexact 0
		.amdhsa_exception_int_div_zero 0
	.end_amdhsa_kernel
	.section	.text._ZN7rocprim17ROCPRIM_400000_NS6detail17trampoline_kernelINS0_14default_configENS1_38merge_sort_block_merge_config_selectorIhlEEZZNS1_27merge_sort_block_merge_implIS3_PhN6thrust23THRUST_200600_302600_NS10device_ptrIlEEjNS1_19radix_merge_compareILb0ELb0EhNS0_19identity_decomposerEEEEE10hipError_tT0_T1_T2_jT3_P12ihipStream_tbPNSt15iterator_traitsISG_E10value_typeEPNSM_ISH_E10value_typeEPSI_NS1_7vsmem_tEENKUlT_SG_SH_SI_E_clIS7_S7_PlSB_EESF_SV_SG_SH_SI_EUlSV_E_NS1_11comp_targetILNS1_3genE4ELNS1_11target_archE910ELNS1_3gpuE8ELNS1_3repE0EEENS1_48merge_mergepath_partition_config_static_selectorELNS0_4arch9wavefront6targetE1EEEvSH_,"axG",@progbits,_ZN7rocprim17ROCPRIM_400000_NS6detail17trampoline_kernelINS0_14default_configENS1_38merge_sort_block_merge_config_selectorIhlEEZZNS1_27merge_sort_block_merge_implIS3_PhN6thrust23THRUST_200600_302600_NS10device_ptrIlEEjNS1_19radix_merge_compareILb0ELb0EhNS0_19identity_decomposerEEEEE10hipError_tT0_T1_T2_jT3_P12ihipStream_tbPNSt15iterator_traitsISG_E10value_typeEPNSM_ISH_E10value_typeEPSI_NS1_7vsmem_tEENKUlT_SG_SH_SI_E_clIS7_S7_PlSB_EESF_SV_SG_SH_SI_EUlSV_E_NS1_11comp_targetILNS1_3genE4ELNS1_11target_archE910ELNS1_3gpuE8ELNS1_3repE0EEENS1_48merge_mergepath_partition_config_static_selectorELNS0_4arch9wavefront6targetE1EEEvSH_,comdat
.Lfunc_end127:
	.size	_ZN7rocprim17ROCPRIM_400000_NS6detail17trampoline_kernelINS0_14default_configENS1_38merge_sort_block_merge_config_selectorIhlEEZZNS1_27merge_sort_block_merge_implIS3_PhN6thrust23THRUST_200600_302600_NS10device_ptrIlEEjNS1_19radix_merge_compareILb0ELb0EhNS0_19identity_decomposerEEEEE10hipError_tT0_T1_T2_jT3_P12ihipStream_tbPNSt15iterator_traitsISG_E10value_typeEPNSM_ISH_E10value_typeEPSI_NS1_7vsmem_tEENKUlT_SG_SH_SI_E_clIS7_S7_PlSB_EESF_SV_SG_SH_SI_EUlSV_E_NS1_11comp_targetILNS1_3genE4ELNS1_11target_archE910ELNS1_3gpuE8ELNS1_3repE0EEENS1_48merge_mergepath_partition_config_static_selectorELNS0_4arch9wavefront6targetE1EEEvSH_, .Lfunc_end127-_ZN7rocprim17ROCPRIM_400000_NS6detail17trampoline_kernelINS0_14default_configENS1_38merge_sort_block_merge_config_selectorIhlEEZZNS1_27merge_sort_block_merge_implIS3_PhN6thrust23THRUST_200600_302600_NS10device_ptrIlEEjNS1_19radix_merge_compareILb0ELb0EhNS0_19identity_decomposerEEEEE10hipError_tT0_T1_T2_jT3_P12ihipStream_tbPNSt15iterator_traitsISG_E10value_typeEPNSM_ISH_E10value_typeEPSI_NS1_7vsmem_tEENKUlT_SG_SH_SI_E_clIS7_S7_PlSB_EESF_SV_SG_SH_SI_EUlSV_E_NS1_11comp_targetILNS1_3genE4ELNS1_11target_archE910ELNS1_3gpuE8ELNS1_3repE0EEENS1_48merge_mergepath_partition_config_static_selectorELNS0_4arch9wavefront6targetE1EEEvSH_
                                        ; -- End function
	.section	.AMDGPU.csdata,"",@progbits
; Kernel info:
; codeLenInByte = 316
; NumSgprs: 12
; NumVgprs: 16
; NumAgprs: 0
; TotalNumVgprs: 16
; ScratchSize: 0
; MemoryBound: 0
; FloatMode: 240
; IeeeMode: 1
; LDSByteSize: 0 bytes/workgroup (compile time only)
; SGPRBlocks: 1
; VGPRBlocks: 1
; NumSGPRsForWavesPerEU: 12
; NumVGPRsForWavesPerEU: 16
; AccumOffset: 16
; Occupancy: 8
; WaveLimiterHint : 0
; COMPUTE_PGM_RSRC2:SCRATCH_EN: 0
; COMPUTE_PGM_RSRC2:USER_SGPR: 6
; COMPUTE_PGM_RSRC2:TRAP_HANDLER: 0
; COMPUTE_PGM_RSRC2:TGID_X_EN: 1
; COMPUTE_PGM_RSRC2:TGID_Y_EN: 0
; COMPUTE_PGM_RSRC2:TGID_Z_EN: 0
; COMPUTE_PGM_RSRC2:TIDIG_COMP_CNT: 0
; COMPUTE_PGM_RSRC3_GFX90A:ACCUM_OFFSET: 3
; COMPUTE_PGM_RSRC3_GFX90A:TG_SPLIT: 0
	.section	.text._ZN7rocprim17ROCPRIM_400000_NS6detail17trampoline_kernelINS0_14default_configENS1_38merge_sort_block_merge_config_selectorIhlEEZZNS1_27merge_sort_block_merge_implIS3_PhN6thrust23THRUST_200600_302600_NS10device_ptrIlEEjNS1_19radix_merge_compareILb0ELb0EhNS0_19identity_decomposerEEEEE10hipError_tT0_T1_T2_jT3_P12ihipStream_tbPNSt15iterator_traitsISG_E10value_typeEPNSM_ISH_E10value_typeEPSI_NS1_7vsmem_tEENKUlT_SG_SH_SI_E_clIS7_S7_PlSB_EESF_SV_SG_SH_SI_EUlSV_E_NS1_11comp_targetILNS1_3genE3ELNS1_11target_archE908ELNS1_3gpuE7ELNS1_3repE0EEENS1_48merge_mergepath_partition_config_static_selectorELNS0_4arch9wavefront6targetE1EEEvSH_,"axG",@progbits,_ZN7rocprim17ROCPRIM_400000_NS6detail17trampoline_kernelINS0_14default_configENS1_38merge_sort_block_merge_config_selectorIhlEEZZNS1_27merge_sort_block_merge_implIS3_PhN6thrust23THRUST_200600_302600_NS10device_ptrIlEEjNS1_19radix_merge_compareILb0ELb0EhNS0_19identity_decomposerEEEEE10hipError_tT0_T1_T2_jT3_P12ihipStream_tbPNSt15iterator_traitsISG_E10value_typeEPNSM_ISH_E10value_typeEPSI_NS1_7vsmem_tEENKUlT_SG_SH_SI_E_clIS7_S7_PlSB_EESF_SV_SG_SH_SI_EUlSV_E_NS1_11comp_targetILNS1_3genE3ELNS1_11target_archE908ELNS1_3gpuE7ELNS1_3repE0EEENS1_48merge_mergepath_partition_config_static_selectorELNS0_4arch9wavefront6targetE1EEEvSH_,comdat
	.protected	_ZN7rocprim17ROCPRIM_400000_NS6detail17trampoline_kernelINS0_14default_configENS1_38merge_sort_block_merge_config_selectorIhlEEZZNS1_27merge_sort_block_merge_implIS3_PhN6thrust23THRUST_200600_302600_NS10device_ptrIlEEjNS1_19radix_merge_compareILb0ELb0EhNS0_19identity_decomposerEEEEE10hipError_tT0_T1_T2_jT3_P12ihipStream_tbPNSt15iterator_traitsISG_E10value_typeEPNSM_ISH_E10value_typeEPSI_NS1_7vsmem_tEENKUlT_SG_SH_SI_E_clIS7_S7_PlSB_EESF_SV_SG_SH_SI_EUlSV_E_NS1_11comp_targetILNS1_3genE3ELNS1_11target_archE908ELNS1_3gpuE7ELNS1_3repE0EEENS1_48merge_mergepath_partition_config_static_selectorELNS0_4arch9wavefront6targetE1EEEvSH_ ; -- Begin function _ZN7rocprim17ROCPRIM_400000_NS6detail17trampoline_kernelINS0_14default_configENS1_38merge_sort_block_merge_config_selectorIhlEEZZNS1_27merge_sort_block_merge_implIS3_PhN6thrust23THRUST_200600_302600_NS10device_ptrIlEEjNS1_19radix_merge_compareILb0ELb0EhNS0_19identity_decomposerEEEEE10hipError_tT0_T1_T2_jT3_P12ihipStream_tbPNSt15iterator_traitsISG_E10value_typeEPNSM_ISH_E10value_typeEPSI_NS1_7vsmem_tEENKUlT_SG_SH_SI_E_clIS7_S7_PlSB_EESF_SV_SG_SH_SI_EUlSV_E_NS1_11comp_targetILNS1_3genE3ELNS1_11target_archE908ELNS1_3gpuE7ELNS1_3repE0EEENS1_48merge_mergepath_partition_config_static_selectorELNS0_4arch9wavefront6targetE1EEEvSH_
	.globl	_ZN7rocprim17ROCPRIM_400000_NS6detail17trampoline_kernelINS0_14default_configENS1_38merge_sort_block_merge_config_selectorIhlEEZZNS1_27merge_sort_block_merge_implIS3_PhN6thrust23THRUST_200600_302600_NS10device_ptrIlEEjNS1_19radix_merge_compareILb0ELb0EhNS0_19identity_decomposerEEEEE10hipError_tT0_T1_T2_jT3_P12ihipStream_tbPNSt15iterator_traitsISG_E10value_typeEPNSM_ISH_E10value_typeEPSI_NS1_7vsmem_tEENKUlT_SG_SH_SI_E_clIS7_S7_PlSB_EESF_SV_SG_SH_SI_EUlSV_E_NS1_11comp_targetILNS1_3genE3ELNS1_11target_archE908ELNS1_3gpuE7ELNS1_3repE0EEENS1_48merge_mergepath_partition_config_static_selectorELNS0_4arch9wavefront6targetE1EEEvSH_
	.p2align	8
	.type	_ZN7rocprim17ROCPRIM_400000_NS6detail17trampoline_kernelINS0_14default_configENS1_38merge_sort_block_merge_config_selectorIhlEEZZNS1_27merge_sort_block_merge_implIS3_PhN6thrust23THRUST_200600_302600_NS10device_ptrIlEEjNS1_19radix_merge_compareILb0ELb0EhNS0_19identity_decomposerEEEEE10hipError_tT0_T1_T2_jT3_P12ihipStream_tbPNSt15iterator_traitsISG_E10value_typeEPNSM_ISH_E10value_typeEPSI_NS1_7vsmem_tEENKUlT_SG_SH_SI_E_clIS7_S7_PlSB_EESF_SV_SG_SH_SI_EUlSV_E_NS1_11comp_targetILNS1_3genE3ELNS1_11target_archE908ELNS1_3gpuE7ELNS1_3repE0EEENS1_48merge_mergepath_partition_config_static_selectorELNS0_4arch9wavefront6targetE1EEEvSH_,@function
_ZN7rocprim17ROCPRIM_400000_NS6detail17trampoline_kernelINS0_14default_configENS1_38merge_sort_block_merge_config_selectorIhlEEZZNS1_27merge_sort_block_merge_implIS3_PhN6thrust23THRUST_200600_302600_NS10device_ptrIlEEjNS1_19radix_merge_compareILb0ELb0EhNS0_19identity_decomposerEEEEE10hipError_tT0_T1_T2_jT3_P12ihipStream_tbPNSt15iterator_traitsISG_E10value_typeEPNSM_ISH_E10value_typeEPSI_NS1_7vsmem_tEENKUlT_SG_SH_SI_E_clIS7_S7_PlSB_EESF_SV_SG_SH_SI_EUlSV_E_NS1_11comp_targetILNS1_3genE3ELNS1_11target_archE908ELNS1_3gpuE7ELNS1_3repE0EEENS1_48merge_mergepath_partition_config_static_selectorELNS0_4arch9wavefront6targetE1EEEvSH_: ; @_ZN7rocprim17ROCPRIM_400000_NS6detail17trampoline_kernelINS0_14default_configENS1_38merge_sort_block_merge_config_selectorIhlEEZZNS1_27merge_sort_block_merge_implIS3_PhN6thrust23THRUST_200600_302600_NS10device_ptrIlEEjNS1_19radix_merge_compareILb0ELb0EhNS0_19identity_decomposerEEEEE10hipError_tT0_T1_T2_jT3_P12ihipStream_tbPNSt15iterator_traitsISG_E10value_typeEPNSM_ISH_E10value_typeEPSI_NS1_7vsmem_tEENKUlT_SG_SH_SI_E_clIS7_S7_PlSB_EESF_SV_SG_SH_SI_EUlSV_E_NS1_11comp_targetILNS1_3genE3ELNS1_11target_archE908ELNS1_3gpuE7ELNS1_3repE0EEENS1_48merge_mergepath_partition_config_static_selectorELNS0_4arch9wavefront6targetE1EEEvSH_
; %bb.0:
	.section	.rodata,"a",@progbits
	.p2align	6, 0x0
	.amdhsa_kernel _ZN7rocprim17ROCPRIM_400000_NS6detail17trampoline_kernelINS0_14default_configENS1_38merge_sort_block_merge_config_selectorIhlEEZZNS1_27merge_sort_block_merge_implIS3_PhN6thrust23THRUST_200600_302600_NS10device_ptrIlEEjNS1_19radix_merge_compareILb0ELb0EhNS0_19identity_decomposerEEEEE10hipError_tT0_T1_T2_jT3_P12ihipStream_tbPNSt15iterator_traitsISG_E10value_typeEPNSM_ISH_E10value_typeEPSI_NS1_7vsmem_tEENKUlT_SG_SH_SI_E_clIS7_S7_PlSB_EESF_SV_SG_SH_SI_EUlSV_E_NS1_11comp_targetILNS1_3genE3ELNS1_11target_archE908ELNS1_3gpuE7ELNS1_3repE0EEENS1_48merge_mergepath_partition_config_static_selectorELNS0_4arch9wavefront6targetE1EEEvSH_
		.amdhsa_group_segment_fixed_size 0
		.amdhsa_private_segment_fixed_size 0
		.amdhsa_kernarg_size 40
		.amdhsa_user_sgpr_count 6
		.amdhsa_user_sgpr_private_segment_buffer 1
		.amdhsa_user_sgpr_dispatch_ptr 0
		.amdhsa_user_sgpr_queue_ptr 0
		.amdhsa_user_sgpr_kernarg_segment_ptr 1
		.amdhsa_user_sgpr_dispatch_id 0
		.amdhsa_user_sgpr_flat_scratch_init 0
		.amdhsa_user_sgpr_kernarg_preload_length 0
		.amdhsa_user_sgpr_kernarg_preload_offset 0
		.amdhsa_user_sgpr_private_segment_size 0
		.amdhsa_uses_dynamic_stack 0
		.amdhsa_system_sgpr_private_segment_wavefront_offset 0
		.amdhsa_system_sgpr_workgroup_id_x 1
		.amdhsa_system_sgpr_workgroup_id_y 0
		.amdhsa_system_sgpr_workgroup_id_z 0
		.amdhsa_system_sgpr_workgroup_info 0
		.amdhsa_system_vgpr_workitem_id 0
		.amdhsa_next_free_vgpr 1
		.amdhsa_next_free_sgpr 0
		.amdhsa_accum_offset 4
		.amdhsa_reserve_vcc 0
		.amdhsa_reserve_flat_scratch 0
		.amdhsa_float_round_mode_32 0
		.amdhsa_float_round_mode_16_64 0
		.amdhsa_float_denorm_mode_32 3
		.amdhsa_float_denorm_mode_16_64 3
		.amdhsa_dx10_clamp 1
		.amdhsa_ieee_mode 1
		.amdhsa_fp16_overflow 0
		.amdhsa_tg_split 0
		.amdhsa_exception_fp_ieee_invalid_op 0
		.amdhsa_exception_fp_denorm_src 0
		.amdhsa_exception_fp_ieee_div_zero 0
		.amdhsa_exception_fp_ieee_overflow 0
		.amdhsa_exception_fp_ieee_underflow 0
		.amdhsa_exception_fp_ieee_inexact 0
		.amdhsa_exception_int_div_zero 0
	.end_amdhsa_kernel
	.section	.text._ZN7rocprim17ROCPRIM_400000_NS6detail17trampoline_kernelINS0_14default_configENS1_38merge_sort_block_merge_config_selectorIhlEEZZNS1_27merge_sort_block_merge_implIS3_PhN6thrust23THRUST_200600_302600_NS10device_ptrIlEEjNS1_19radix_merge_compareILb0ELb0EhNS0_19identity_decomposerEEEEE10hipError_tT0_T1_T2_jT3_P12ihipStream_tbPNSt15iterator_traitsISG_E10value_typeEPNSM_ISH_E10value_typeEPSI_NS1_7vsmem_tEENKUlT_SG_SH_SI_E_clIS7_S7_PlSB_EESF_SV_SG_SH_SI_EUlSV_E_NS1_11comp_targetILNS1_3genE3ELNS1_11target_archE908ELNS1_3gpuE7ELNS1_3repE0EEENS1_48merge_mergepath_partition_config_static_selectorELNS0_4arch9wavefront6targetE1EEEvSH_,"axG",@progbits,_ZN7rocprim17ROCPRIM_400000_NS6detail17trampoline_kernelINS0_14default_configENS1_38merge_sort_block_merge_config_selectorIhlEEZZNS1_27merge_sort_block_merge_implIS3_PhN6thrust23THRUST_200600_302600_NS10device_ptrIlEEjNS1_19radix_merge_compareILb0ELb0EhNS0_19identity_decomposerEEEEE10hipError_tT0_T1_T2_jT3_P12ihipStream_tbPNSt15iterator_traitsISG_E10value_typeEPNSM_ISH_E10value_typeEPSI_NS1_7vsmem_tEENKUlT_SG_SH_SI_E_clIS7_S7_PlSB_EESF_SV_SG_SH_SI_EUlSV_E_NS1_11comp_targetILNS1_3genE3ELNS1_11target_archE908ELNS1_3gpuE7ELNS1_3repE0EEENS1_48merge_mergepath_partition_config_static_selectorELNS0_4arch9wavefront6targetE1EEEvSH_,comdat
.Lfunc_end128:
	.size	_ZN7rocprim17ROCPRIM_400000_NS6detail17trampoline_kernelINS0_14default_configENS1_38merge_sort_block_merge_config_selectorIhlEEZZNS1_27merge_sort_block_merge_implIS3_PhN6thrust23THRUST_200600_302600_NS10device_ptrIlEEjNS1_19radix_merge_compareILb0ELb0EhNS0_19identity_decomposerEEEEE10hipError_tT0_T1_T2_jT3_P12ihipStream_tbPNSt15iterator_traitsISG_E10value_typeEPNSM_ISH_E10value_typeEPSI_NS1_7vsmem_tEENKUlT_SG_SH_SI_E_clIS7_S7_PlSB_EESF_SV_SG_SH_SI_EUlSV_E_NS1_11comp_targetILNS1_3genE3ELNS1_11target_archE908ELNS1_3gpuE7ELNS1_3repE0EEENS1_48merge_mergepath_partition_config_static_selectorELNS0_4arch9wavefront6targetE1EEEvSH_, .Lfunc_end128-_ZN7rocprim17ROCPRIM_400000_NS6detail17trampoline_kernelINS0_14default_configENS1_38merge_sort_block_merge_config_selectorIhlEEZZNS1_27merge_sort_block_merge_implIS3_PhN6thrust23THRUST_200600_302600_NS10device_ptrIlEEjNS1_19radix_merge_compareILb0ELb0EhNS0_19identity_decomposerEEEEE10hipError_tT0_T1_T2_jT3_P12ihipStream_tbPNSt15iterator_traitsISG_E10value_typeEPNSM_ISH_E10value_typeEPSI_NS1_7vsmem_tEENKUlT_SG_SH_SI_E_clIS7_S7_PlSB_EESF_SV_SG_SH_SI_EUlSV_E_NS1_11comp_targetILNS1_3genE3ELNS1_11target_archE908ELNS1_3gpuE7ELNS1_3repE0EEENS1_48merge_mergepath_partition_config_static_selectorELNS0_4arch9wavefront6targetE1EEEvSH_
                                        ; -- End function
	.section	.AMDGPU.csdata,"",@progbits
; Kernel info:
; codeLenInByte = 0
; NumSgprs: 4
; NumVgprs: 0
; NumAgprs: 0
; TotalNumVgprs: 0
; ScratchSize: 0
; MemoryBound: 0
; FloatMode: 240
; IeeeMode: 1
; LDSByteSize: 0 bytes/workgroup (compile time only)
; SGPRBlocks: 0
; VGPRBlocks: 0
; NumSGPRsForWavesPerEU: 4
; NumVGPRsForWavesPerEU: 1
; AccumOffset: 4
; Occupancy: 8
; WaveLimiterHint : 0
; COMPUTE_PGM_RSRC2:SCRATCH_EN: 0
; COMPUTE_PGM_RSRC2:USER_SGPR: 6
; COMPUTE_PGM_RSRC2:TRAP_HANDLER: 0
; COMPUTE_PGM_RSRC2:TGID_X_EN: 1
; COMPUTE_PGM_RSRC2:TGID_Y_EN: 0
; COMPUTE_PGM_RSRC2:TGID_Z_EN: 0
; COMPUTE_PGM_RSRC2:TIDIG_COMP_CNT: 0
; COMPUTE_PGM_RSRC3_GFX90A:ACCUM_OFFSET: 0
; COMPUTE_PGM_RSRC3_GFX90A:TG_SPLIT: 0
	.section	.text._ZN7rocprim17ROCPRIM_400000_NS6detail17trampoline_kernelINS0_14default_configENS1_38merge_sort_block_merge_config_selectorIhlEEZZNS1_27merge_sort_block_merge_implIS3_PhN6thrust23THRUST_200600_302600_NS10device_ptrIlEEjNS1_19radix_merge_compareILb0ELb0EhNS0_19identity_decomposerEEEEE10hipError_tT0_T1_T2_jT3_P12ihipStream_tbPNSt15iterator_traitsISG_E10value_typeEPNSM_ISH_E10value_typeEPSI_NS1_7vsmem_tEENKUlT_SG_SH_SI_E_clIS7_S7_PlSB_EESF_SV_SG_SH_SI_EUlSV_E_NS1_11comp_targetILNS1_3genE2ELNS1_11target_archE906ELNS1_3gpuE6ELNS1_3repE0EEENS1_48merge_mergepath_partition_config_static_selectorELNS0_4arch9wavefront6targetE1EEEvSH_,"axG",@progbits,_ZN7rocprim17ROCPRIM_400000_NS6detail17trampoline_kernelINS0_14default_configENS1_38merge_sort_block_merge_config_selectorIhlEEZZNS1_27merge_sort_block_merge_implIS3_PhN6thrust23THRUST_200600_302600_NS10device_ptrIlEEjNS1_19radix_merge_compareILb0ELb0EhNS0_19identity_decomposerEEEEE10hipError_tT0_T1_T2_jT3_P12ihipStream_tbPNSt15iterator_traitsISG_E10value_typeEPNSM_ISH_E10value_typeEPSI_NS1_7vsmem_tEENKUlT_SG_SH_SI_E_clIS7_S7_PlSB_EESF_SV_SG_SH_SI_EUlSV_E_NS1_11comp_targetILNS1_3genE2ELNS1_11target_archE906ELNS1_3gpuE6ELNS1_3repE0EEENS1_48merge_mergepath_partition_config_static_selectorELNS0_4arch9wavefront6targetE1EEEvSH_,comdat
	.protected	_ZN7rocprim17ROCPRIM_400000_NS6detail17trampoline_kernelINS0_14default_configENS1_38merge_sort_block_merge_config_selectorIhlEEZZNS1_27merge_sort_block_merge_implIS3_PhN6thrust23THRUST_200600_302600_NS10device_ptrIlEEjNS1_19radix_merge_compareILb0ELb0EhNS0_19identity_decomposerEEEEE10hipError_tT0_T1_T2_jT3_P12ihipStream_tbPNSt15iterator_traitsISG_E10value_typeEPNSM_ISH_E10value_typeEPSI_NS1_7vsmem_tEENKUlT_SG_SH_SI_E_clIS7_S7_PlSB_EESF_SV_SG_SH_SI_EUlSV_E_NS1_11comp_targetILNS1_3genE2ELNS1_11target_archE906ELNS1_3gpuE6ELNS1_3repE0EEENS1_48merge_mergepath_partition_config_static_selectorELNS0_4arch9wavefront6targetE1EEEvSH_ ; -- Begin function _ZN7rocprim17ROCPRIM_400000_NS6detail17trampoline_kernelINS0_14default_configENS1_38merge_sort_block_merge_config_selectorIhlEEZZNS1_27merge_sort_block_merge_implIS3_PhN6thrust23THRUST_200600_302600_NS10device_ptrIlEEjNS1_19radix_merge_compareILb0ELb0EhNS0_19identity_decomposerEEEEE10hipError_tT0_T1_T2_jT3_P12ihipStream_tbPNSt15iterator_traitsISG_E10value_typeEPNSM_ISH_E10value_typeEPSI_NS1_7vsmem_tEENKUlT_SG_SH_SI_E_clIS7_S7_PlSB_EESF_SV_SG_SH_SI_EUlSV_E_NS1_11comp_targetILNS1_3genE2ELNS1_11target_archE906ELNS1_3gpuE6ELNS1_3repE0EEENS1_48merge_mergepath_partition_config_static_selectorELNS0_4arch9wavefront6targetE1EEEvSH_
	.globl	_ZN7rocprim17ROCPRIM_400000_NS6detail17trampoline_kernelINS0_14default_configENS1_38merge_sort_block_merge_config_selectorIhlEEZZNS1_27merge_sort_block_merge_implIS3_PhN6thrust23THRUST_200600_302600_NS10device_ptrIlEEjNS1_19radix_merge_compareILb0ELb0EhNS0_19identity_decomposerEEEEE10hipError_tT0_T1_T2_jT3_P12ihipStream_tbPNSt15iterator_traitsISG_E10value_typeEPNSM_ISH_E10value_typeEPSI_NS1_7vsmem_tEENKUlT_SG_SH_SI_E_clIS7_S7_PlSB_EESF_SV_SG_SH_SI_EUlSV_E_NS1_11comp_targetILNS1_3genE2ELNS1_11target_archE906ELNS1_3gpuE6ELNS1_3repE0EEENS1_48merge_mergepath_partition_config_static_selectorELNS0_4arch9wavefront6targetE1EEEvSH_
	.p2align	8
	.type	_ZN7rocprim17ROCPRIM_400000_NS6detail17trampoline_kernelINS0_14default_configENS1_38merge_sort_block_merge_config_selectorIhlEEZZNS1_27merge_sort_block_merge_implIS3_PhN6thrust23THRUST_200600_302600_NS10device_ptrIlEEjNS1_19radix_merge_compareILb0ELb0EhNS0_19identity_decomposerEEEEE10hipError_tT0_T1_T2_jT3_P12ihipStream_tbPNSt15iterator_traitsISG_E10value_typeEPNSM_ISH_E10value_typeEPSI_NS1_7vsmem_tEENKUlT_SG_SH_SI_E_clIS7_S7_PlSB_EESF_SV_SG_SH_SI_EUlSV_E_NS1_11comp_targetILNS1_3genE2ELNS1_11target_archE906ELNS1_3gpuE6ELNS1_3repE0EEENS1_48merge_mergepath_partition_config_static_selectorELNS0_4arch9wavefront6targetE1EEEvSH_,@function
_ZN7rocprim17ROCPRIM_400000_NS6detail17trampoline_kernelINS0_14default_configENS1_38merge_sort_block_merge_config_selectorIhlEEZZNS1_27merge_sort_block_merge_implIS3_PhN6thrust23THRUST_200600_302600_NS10device_ptrIlEEjNS1_19radix_merge_compareILb0ELb0EhNS0_19identity_decomposerEEEEE10hipError_tT0_T1_T2_jT3_P12ihipStream_tbPNSt15iterator_traitsISG_E10value_typeEPNSM_ISH_E10value_typeEPSI_NS1_7vsmem_tEENKUlT_SG_SH_SI_E_clIS7_S7_PlSB_EESF_SV_SG_SH_SI_EUlSV_E_NS1_11comp_targetILNS1_3genE2ELNS1_11target_archE906ELNS1_3gpuE6ELNS1_3repE0EEENS1_48merge_mergepath_partition_config_static_selectorELNS0_4arch9wavefront6targetE1EEEvSH_: ; @_ZN7rocprim17ROCPRIM_400000_NS6detail17trampoline_kernelINS0_14default_configENS1_38merge_sort_block_merge_config_selectorIhlEEZZNS1_27merge_sort_block_merge_implIS3_PhN6thrust23THRUST_200600_302600_NS10device_ptrIlEEjNS1_19radix_merge_compareILb0ELb0EhNS0_19identity_decomposerEEEEE10hipError_tT0_T1_T2_jT3_P12ihipStream_tbPNSt15iterator_traitsISG_E10value_typeEPNSM_ISH_E10value_typeEPSI_NS1_7vsmem_tEENKUlT_SG_SH_SI_E_clIS7_S7_PlSB_EESF_SV_SG_SH_SI_EUlSV_E_NS1_11comp_targetILNS1_3genE2ELNS1_11target_archE906ELNS1_3gpuE6ELNS1_3repE0EEENS1_48merge_mergepath_partition_config_static_selectorELNS0_4arch9wavefront6targetE1EEEvSH_
; %bb.0:
	.section	.rodata,"a",@progbits
	.p2align	6, 0x0
	.amdhsa_kernel _ZN7rocprim17ROCPRIM_400000_NS6detail17trampoline_kernelINS0_14default_configENS1_38merge_sort_block_merge_config_selectorIhlEEZZNS1_27merge_sort_block_merge_implIS3_PhN6thrust23THRUST_200600_302600_NS10device_ptrIlEEjNS1_19radix_merge_compareILb0ELb0EhNS0_19identity_decomposerEEEEE10hipError_tT0_T1_T2_jT3_P12ihipStream_tbPNSt15iterator_traitsISG_E10value_typeEPNSM_ISH_E10value_typeEPSI_NS1_7vsmem_tEENKUlT_SG_SH_SI_E_clIS7_S7_PlSB_EESF_SV_SG_SH_SI_EUlSV_E_NS1_11comp_targetILNS1_3genE2ELNS1_11target_archE906ELNS1_3gpuE6ELNS1_3repE0EEENS1_48merge_mergepath_partition_config_static_selectorELNS0_4arch9wavefront6targetE1EEEvSH_
		.amdhsa_group_segment_fixed_size 0
		.amdhsa_private_segment_fixed_size 0
		.amdhsa_kernarg_size 40
		.amdhsa_user_sgpr_count 6
		.amdhsa_user_sgpr_private_segment_buffer 1
		.amdhsa_user_sgpr_dispatch_ptr 0
		.amdhsa_user_sgpr_queue_ptr 0
		.amdhsa_user_sgpr_kernarg_segment_ptr 1
		.amdhsa_user_sgpr_dispatch_id 0
		.amdhsa_user_sgpr_flat_scratch_init 0
		.amdhsa_user_sgpr_kernarg_preload_length 0
		.amdhsa_user_sgpr_kernarg_preload_offset 0
		.amdhsa_user_sgpr_private_segment_size 0
		.amdhsa_uses_dynamic_stack 0
		.amdhsa_system_sgpr_private_segment_wavefront_offset 0
		.amdhsa_system_sgpr_workgroup_id_x 1
		.amdhsa_system_sgpr_workgroup_id_y 0
		.amdhsa_system_sgpr_workgroup_id_z 0
		.amdhsa_system_sgpr_workgroup_info 0
		.amdhsa_system_vgpr_workitem_id 0
		.amdhsa_next_free_vgpr 1
		.amdhsa_next_free_sgpr 0
		.amdhsa_accum_offset 4
		.amdhsa_reserve_vcc 0
		.amdhsa_reserve_flat_scratch 0
		.amdhsa_float_round_mode_32 0
		.amdhsa_float_round_mode_16_64 0
		.amdhsa_float_denorm_mode_32 3
		.amdhsa_float_denorm_mode_16_64 3
		.amdhsa_dx10_clamp 1
		.amdhsa_ieee_mode 1
		.amdhsa_fp16_overflow 0
		.amdhsa_tg_split 0
		.amdhsa_exception_fp_ieee_invalid_op 0
		.amdhsa_exception_fp_denorm_src 0
		.amdhsa_exception_fp_ieee_div_zero 0
		.amdhsa_exception_fp_ieee_overflow 0
		.amdhsa_exception_fp_ieee_underflow 0
		.amdhsa_exception_fp_ieee_inexact 0
		.amdhsa_exception_int_div_zero 0
	.end_amdhsa_kernel
	.section	.text._ZN7rocprim17ROCPRIM_400000_NS6detail17trampoline_kernelINS0_14default_configENS1_38merge_sort_block_merge_config_selectorIhlEEZZNS1_27merge_sort_block_merge_implIS3_PhN6thrust23THRUST_200600_302600_NS10device_ptrIlEEjNS1_19radix_merge_compareILb0ELb0EhNS0_19identity_decomposerEEEEE10hipError_tT0_T1_T2_jT3_P12ihipStream_tbPNSt15iterator_traitsISG_E10value_typeEPNSM_ISH_E10value_typeEPSI_NS1_7vsmem_tEENKUlT_SG_SH_SI_E_clIS7_S7_PlSB_EESF_SV_SG_SH_SI_EUlSV_E_NS1_11comp_targetILNS1_3genE2ELNS1_11target_archE906ELNS1_3gpuE6ELNS1_3repE0EEENS1_48merge_mergepath_partition_config_static_selectorELNS0_4arch9wavefront6targetE1EEEvSH_,"axG",@progbits,_ZN7rocprim17ROCPRIM_400000_NS6detail17trampoline_kernelINS0_14default_configENS1_38merge_sort_block_merge_config_selectorIhlEEZZNS1_27merge_sort_block_merge_implIS3_PhN6thrust23THRUST_200600_302600_NS10device_ptrIlEEjNS1_19radix_merge_compareILb0ELb0EhNS0_19identity_decomposerEEEEE10hipError_tT0_T1_T2_jT3_P12ihipStream_tbPNSt15iterator_traitsISG_E10value_typeEPNSM_ISH_E10value_typeEPSI_NS1_7vsmem_tEENKUlT_SG_SH_SI_E_clIS7_S7_PlSB_EESF_SV_SG_SH_SI_EUlSV_E_NS1_11comp_targetILNS1_3genE2ELNS1_11target_archE906ELNS1_3gpuE6ELNS1_3repE0EEENS1_48merge_mergepath_partition_config_static_selectorELNS0_4arch9wavefront6targetE1EEEvSH_,comdat
.Lfunc_end129:
	.size	_ZN7rocprim17ROCPRIM_400000_NS6detail17trampoline_kernelINS0_14default_configENS1_38merge_sort_block_merge_config_selectorIhlEEZZNS1_27merge_sort_block_merge_implIS3_PhN6thrust23THRUST_200600_302600_NS10device_ptrIlEEjNS1_19radix_merge_compareILb0ELb0EhNS0_19identity_decomposerEEEEE10hipError_tT0_T1_T2_jT3_P12ihipStream_tbPNSt15iterator_traitsISG_E10value_typeEPNSM_ISH_E10value_typeEPSI_NS1_7vsmem_tEENKUlT_SG_SH_SI_E_clIS7_S7_PlSB_EESF_SV_SG_SH_SI_EUlSV_E_NS1_11comp_targetILNS1_3genE2ELNS1_11target_archE906ELNS1_3gpuE6ELNS1_3repE0EEENS1_48merge_mergepath_partition_config_static_selectorELNS0_4arch9wavefront6targetE1EEEvSH_, .Lfunc_end129-_ZN7rocprim17ROCPRIM_400000_NS6detail17trampoline_kernelINS0_14default_configENS1_38merge_sort_block_merge_config_selectorIhlEEZZNS1_27merge_sort_block_merge_implIS3_PhN6thrust23THRUST_200600_302600_NS10device_ptrIlEEjNS1_19radix_merge_compareILb0ELb0EhNS0_19identity_decomposerEEEEE10hipError_tT0_T1_T2_jT3_P12ihipStream_tbPNSt15iterator_traitsISG_E10value_typeEPNSM_ISH_E10value_typeEPSI_NS1_7vsmem_tEENKUlT_SG_SH_SI_E_clIS7_S7_PlSB_EESF_SV_SG_SH_SI_EUlSV_E_NS1_11comp_targetILNS1_3genE2ELNS1_11target_archE906ELNS1_3gpuE6ELNS1_3repE0EEENS1_48merge_mergepath_partition_config_static_selectorELNS0_4arch9wavefront6targetE1EEEvSH_
                                        ; -- End function
	.section	.AMDGPU.csdata,"",@progbits
; Kernel info:
; codeLenInByte = 0
; NumSgprs: 4
; NumVgprs: 0
; NumAgprs: 0
; TotalNumVgprs: 0
; ScratchSize: 0
; MemoryBound: 0
; FloatMode: 240
; IeeeMode: 1
; LDSByteSize: 0 bytes/workgroup (compile time only)
; SGPRBlocks: 0
; VGPRBlocks: 0
; NumSGPRsForWavesPerEU: 4
; NumVGPRsForWavesPerEU: 1
; AccumOffset: 4
; Occupancy: 8
; WaveLimiterHint : 0
; COMPUTE_PGM_RSRC2:SCRATCH_EN: 0
; COMPUTE_PGM_RSRC2:USER_SGPR: 6
; COMPUTE_PGM_RSRC2:TRAP_HANDLER: 0
; COMPUTE_PGM_RSRC2:TGID_X_EN: 1
; COMPUTE_PGM_RSRC2:TGID_Y_EN: 0
; COMPUTE_PGM_RSRC2:TGID_Z_EN: 0
; COMPUTE_PGM_RSRC2:TIDIG_COMP_CNT: 0
; COMPUTE_PGM_RSRC3_GFX90A:ACCUM_OFFSET: 0
; COMPUTE_PGM_RSRC3_GFX90A:TG_SPLIT: 0
	.section	.text._ZN7rocprim17ROCPRIM_400000_NS6detail17trampoline_kernelINS0_14default_configENS1_38merge_sort_block_merge_config_selectorIhlEEZZNS1_27merge_sort_block_merge_implIS3_PhN6thrust23THRUST_200600_302600_NS10device_ptrIlEEjNS1_19radix_merge_compareILb0ELb0EhNS0_19identity_decomposerEEEEE10hipError_tT0_T1_T2_jT3_P12ihipStream_tbPNSt15iterator_traitsISG_E10value_typeEPNSM_ISH_E10value_typeEPSI_NS1_7vsmem_tEENKUlT_SG_SH_SI_E_clIS7_S7_PlSB_EESF_SV_SG_SH_SI_EUlSV_E_NS1_11comp_targetILNS1_3genE9ELNS1_11target_archE1100ELNS1_3gpuE3ELNS1_3repE0EEENS1_48merge_mergepath_partition_config_static_selectorELNS0_4arch9wavefront6targetE1EEEvSH_,"axG",@progbits,_ZN7rocprim17ROCPRIM_400000_NS6detail17trampoline_kernelINS0_14default_configENS1_38merge_sort_block_merge_config_selectorIhlEEZZNS1_27merge_sort_block_merge_implIS3_PhN6thrust23THRUST_200600_302600_NS10device_ptrIlEEjNS1_19radix_merge_compareILb0ELb0EhNS0_19identity_decomposerEEEEE10hipError_tT0_T1_T2_jT3_P12ihipStream_tbPNSt15iterator_traitsISG_E10value_typeEPNSM_ISH_E10value_typeEPSI_NS1_7vsmem_tEENKUlT_SG_SH_SI_E_clIS7_S7_PlSB_EESF_SV_SG_SH_SI_EUlSV_E_NS1_11comp_targetILNS1_3genE9ELNS1_11target_archE1100ELNS1_3gpuE3ELNS1_3repE0EEENS1_48merge_mergepath_partition_config_static_selectorELNS0_4arch9wavefront6targetE1EEEvSH_,comdat
	.protected	_ZN7rocprim17ROCPRIM_400000_NS6detail17trampoline_kernelINS0_14default_configENS1_38merge_sort_block_merge_config_selectorIhlEEZZNS1_27merge_sort_block_merge_implIS3_PhN6thrust23THRUST_200600_302600_NS10device_ptrIlEEjNS1_19radix_merge_compareILb0ELb0EhNS0_19identity_decomposerEEEEE10hipError_tT0_T1_T2_jT3_P12ihipStream_tbPNSt15iterator_traitsISG_E10value_typeEPNSM_ISH_E10value_typeEPSI_NS1_7vsmem_tEENKUlT_SG_SH_SI_E_clIS7_S7_PlSB_EESF_SV_SG_SH_SI_EUlSV_E_NS1_11comp_targetILNS1_3genE9ELNS1_11target_archE1100ELNS1_3gpuE3ELNS1_3repE0EEENS1_48merge_mergepath_partition_config_static_selectorELNS0_4arch9wavefront6targetE1EEEvSH_ ; -- Begin function _ZN7rocprim17ROCPRIM_400000_NS6detail17trampoline_kernelINS0_14default_configENS1_38merge_sort_block_merge_config_selectorIhlEEZZNS1_27merge_sort_block_merge_implIS3_PhN6thrust23THRUST_200600_302600_NS10device_ptrIlEEjNS1_19radix_merge_compareILb0ELb0EhNS0_19identity_decomposerEEEEE10hipError_tT0_T1_T2_jT3_P12ihipStream_tbPNSt15iterator_traitsISG_E10value_typeEPNSM_ISH_E10value_typeEPSI_NS1_7vsmem_tEENKUlT_SG_SH_SI_E_clIS7_S7_PlSB_EESF_SV_SG_SH_SI_EUlSV_E_NS1_11comp_targetILNS1_3genE9ELNS1_11target_archE1100ELNS1_3gpuE3ELNS1_3repE0EEENS1_48merge_mergepath_partition_config_static_selectorELNS0_4arch9wavefront6targetE1EEEvSH_
	.globl	_ZN7rocprim17ROCPRIM_400000_NS6detail17trampoline_kernelINS0_14default_configENS1_38merge_sort_block_merge_config_selectorIhlEEZZNS1_27merge_sort_block_merge_implIS3_PhN6thrust23THRUST_200600_302600_NS10device_ptrIlEEjNS1_19radix_merge_compareILb0ELb0EhNS0_19identity_decomposerEEEEE10hipError_tT0_T1_T2_jT3_P12ihipStream_tbPNSt15iterator_traitsISG_E10value_typeEPNSM_ISH_E10value_typeEPSI_NS1_7vsmem_tEENKUlT_SG_SH_SI_E_clIS7_S7_PlSB_EESF_SV_SG_SH_SI_EUlSV_E_NS1_11comp_targetILNS1_3genE9ELNS1_11target_archE1100ELNS1_3gpuE3ELNS1_3repE0EEENS1_48merge_mergepath_partition_config_static_selectorELNS0_4arch9wavefront6targetE1EEEvSH_
	.p2align	8
	.type	_ZN7rocprim17ROCPRIM_400000_NS6detail17trampoline_kernelINS0_14default_configENS1_38merge_sort_block_merge_config_selectorIhlEEZZNS1_27merge_sort_block_merge_implIS3_PhN6thrust23THRUST_200600_302600_NS10device_ptrIlEEjNS1_19radix_merge_compareILb0ELb0EhNS0_19identity_decomposerEEEEE10hipError_tT0_T1_T2_jT3_P12ihipStream_tbPNSt15iterator_traitsISG_E10value_typeEPNSM_ISH_E10value_typeEPSI_NS1_7vsmem_tEENKUlT_SG_SH_SI_E_clIS7_S7_PlSB_EESF_SV_SG_SH_SI_EUlSV_E_NS1_11comp_targetILNS1_3genE9ELNS1_11target_archE1100ELNS1_3gpuE3ELNS1_3repE0EEENS1_48merge_mergepath_partition_config_static_selectorELNS0_4arch9wavefront6targetE1EEEvSH_,@function
_ZN7rocprim17ROCPRIM_400000_NS6detail17trampoline_kernelINS0_14default_configENS1_38merge_sort_block_merge_config_selectorIhlEEZZNS1_27merge_sort_block_merge_implIS3_PhN6thrust23THRUST_200600_302600_NS10device_ptrIlEEjNS1_19radix_merge_compareILb0ELb0EhNS0_19identity_decomposerEEEEE10hipError_tT0_T1_T2_jT3_P12ihipStream_tbPNSt15iterator_traitsISG_E10value_typeEPNSM_ISH_E10value_typeEPSI_NS1_7vsmem_tEENKUlT_SG_SH_SI_E_clIS7_S7_PlSB_EESF_SV_SG_SH_SI_EUlSV_E_NS1_11comp_targetILNS1_3genE9ELNS1_11target_archE1100ELNS1_3gpuE3ELNS1_3repE0EEENS1_48merge_mergepath_partition_config_static_selectorELNS0_4arch9wavefront6targetE1EEEvSH_: ; @_ZN7rocprim17ROCPRIM_400000_NS6detail17trampoline_kernelINS0_14default_configENS1_38merge_sort_block_merge_config_selectorIhlEEZZNS1_27merge_sort_block_merge_implIS3_PhN6thrust23THRUST_200600_302600_NS10device_ptrIlEEjNS1_19radix_merge_compareILb0ELb0EhNS0_19identity_decomposerEEEEE10hipError_tT0_T1_T2_jT3_P12ihipStream_tbPNSt15iterator_traitsISG_E10value_typeEPNSM_ISH_E10value_typeEPSI_NS1_7vsmem_tEENKUlT_SG_SH_SI_E_clIS7_S7_PlSB_EESF_SV_SG_SH_SI_EUlSV_E_NS1_11comp_targetILNS1_3genE9ELNS1_11target_archE1100ELNS1_3gpuE3ELNS1_3repE0EEENS1_48merge_mergepath_partition_config_static_selectorELNS0_4arch9wavefront6targetE1EEEvSH_
; %bb.0:
	.section	.rodata,"a",@progbits
	.p2align	6, 0x0
	.amdhsa_kernel _ZN7rocprim17ROCPRIM_400000_NS6detail17trampoline_kernelINS0_14default_configENS1_38merge_sort_block_merge_config_selectorIhlEEZZNS1_27merge_sort_block_merge_implIS3_PhN6thrust23THRUST_200600_302600_NS10device_ptrIlEEjNS1_19radix_merge_compareILb0ELb0EhNS0_19identity_decomposerEEEEE10hipError_tT0_T1_T2_jT3_P12ihipStream_tbPNSt15iterator_traitsISG_E10value_typeEPNSM_ISH_E10value_typeEPSI_NS1_7vsmem_tEENKUlT_SG_SH_SI_E_clIS7_S7_PlSB_EESF_SV_SG_SH_SI_EUlSV_E_NS1_11comp_targetILNS1_3genE9ELNS1_11target_archE1100ELNS1_3gpuE3ELNS1_3repE0EEENS1_48merge_mergepath_partition_config_static_selectorELNS0_4arch9wavefront6targetE1EEEvSH_
		.amdhsa_group_segment_fixed_size 0
		.amdhsa_private_segment_fixed_size 0
		.amdhsa_kernarg_size 40
		.amdhsa_user_sgpr_count 6
		.amdhsa_user_sgpr_private_segment_buffer 1
		.amdhsa_user_sgpr_dispatch_ptr 0
		.amdhsa_user_sgpr_queue_ptr 0
		.amdhsa_user_sgpr_kernarg_segment_ptr 1
		.amdhsa_user_sgpr_dispatch_id 0
		.amdhsa_user_sgpr_flat_scratch_init 0
		.amdhsa_user_sgpr_kernarg_preload_length 0
		.amdhsa_user_sgpr_kernarg_preload_offset 0
		.amdhsa_user_sgpr_private_segment_size 0
		.amdhsa_uses_dynamic_stack 0
		.amdhsa_system_sgpr_private_segment_wavefront_offset 0
		.amdhsa_system_sgpr_workgroup_id_x 1
		.amdhsa_system_sgpr_workgroup_id_y 0
		.amdhsa_system_sgpr_workgroup_id_z 0
		.amdhsa_system_sgpr_workgroup_info 0
		.amdhsa_system_vgpr_workitem_id 0
		.amdhsa_next_free_vgpr 1
		.amdhsa_next_free_sgpr 0
		.amdhsa_accum_offset 4
		.amdhsa_reserve_vcc 0
		.amdhsa_reserve_flat_scratch 0
		.amdhsa_float_round_mode_32 0
		.amdhsa_float_round_mode_16_64 0
		.amdhsa_float_denorm_mode_32 3
		.amdhsa_float_denorm_mode_16_64 3
		.amdhsa_dx10_clamp 1
		.amdhsa_ieee_mode 1
		.amdhsa_fp16_overflow 0
		.amdhsa_tg_split 0
		.amdhsa_exception_fp_ieee_invalid_op 0
		.amdhsa_exception_fp_denorm_src 0
		.amdhsa_exception_fp_ieee_div_zero 0
		.amdhsa_exception_fp_ieee_overflow 0
		.amdhsa_exception_fp_ieee_underflow 0
		.amdhsa_exception_fp_ieee_inexact 0
		.amdhsa_exception_int_div_zero 0
	.end_amdhsa_kernel
	.section	.text._ZN7rocprim17ROCPRIM_400000_NS6detail17trampoline_kernelINS0_14default_configENS1_38merge_sort_block_merge_config_selectorIhlEEZZNS1_27merge_sort_block_merge_implIS3_PhN6thrust23THRUST_200600_302600_NS10device_ptrIlEEjNS1_19radix_merge_compareILb0ELb0EhNS0_19identity_decomposerEEEEE10hipError_tT0_T1_T2_jT3_P12ihipStream_tbPNSt15iterator_traitsISG_E10value_typeEPNSM_ISH_E10value_typeEPSI_NS1_7vsmem_tEENKUlT_SG_SH_SI_E_clIS7_S7_PlSB_EESF_SV_SG_SH_SI_EUlSV_E_NS1_11comp_targetILNS1_3genE9ELNS1_11target_archE1100ELNS1_3gpuE3ELNS1_3repE0EEENS1_48merge_mergepath_partition_config_static_selectorELNS0_4arch9wavefront6targetE1EEEvSH_,"axG",@progbits,_ZN7rocprim17ROCPRIM_400000_NS6detail17trampoline_kernelINS0_14default_configENS1_38merge_sort_block_merge_config_selectorIhlEEZZNS1_27merge_sort_block_merge_implIS3_PhN6thrust23THRUST_200600_302600_NS10device_ptrIlEEjNS1_19radix_merge_compareILb0ELb0EhNS0_19identity_decomposerEEEEE10hipError_tT0_T1_T2_jT3_P12ihipStream_tbPNSt15iterator_traitsISG_E10value_typeEPNSM_ISH_E10value_typeEPSI_NS1_7vsmem_tEENKUlT_SG_SH_SI_E_clIS7_S7_PlSB_EESF_SV_SG_SH_SI_EUlSV_E_NS1_11comp_targetILNS1_3genE9ELNS1_11target_archE1100ELNS1_3gpuE3ELNS1_3repE0EEENS1_48merge_mergepath_partition_config_static_selectorELNS0_4arch9wavefront6targetE1EEEvSH_,comdat
.Lfunc_end130:
	.size	_ZN7rocprim17ROCPRIM_400000_NS6detail17trampoline_kernelINS0_14default_configENS1_38merge_sort_block_merge_config_selectorIhlEEZZNS1_27merge_sort_block_merge_implIS3_PhN6thrust23THRUST_200600_302600_NS10device_ptrIlEEjNS1_19radix_merge_compareILb0ELb0EhNS0_19identity_decomposerEEEEE10hipError_tT0_T1_T2_jT3_P12ihipStream_tbPNSt15iterator_traitsISG_E10value_typeEPNSM_ISH_E10value_typeEPSI_NS1_7vsmem_tEENKUlT_SG_SH_SI_E_clIS7_S7_PlSB_EESF_SV_SG_SH_SI_EUlSV_E_NS1_11comp_targetILNS1_3genE9ELNS1_11target_archE1100ELNS1_3gpuE3ELNS1_3repE0EEENS1_48merge_mergepath_partition_config_static_selectorELNS0_4arch9wavefront6targetE1EEEvSH_, .Lfunc_end130-_ZN7rocprim17ROCPRIM_400000_NS6detail17trampoline_kernelINS0_14default_configENS1_38merge_sort_block_merge_config_selectorIhlEEZZNS1_27merge_sort_block_merge_implIS3_PhN6thrust23THRUST_200600_302600_NS10device_ptrIlEEjNS1_19radix_merge_compareILb0ELb0EhNS0_19identity_decomposerEEEEE10hipError_tT0_T1_T2_jT3_P12ihipStream_tbPNSt15iterator_traitsISG_E10value_typeEPNSM_ISH_E10value_typeEPSI_NS1_7vsmem_tEENKUlT_SG_SH_SI_E_clIS7_S7_PlSB_EESF_SV_SG_SH_SI_EUlSV_E_NS1_11comp_targetILNS1_3genE9ELNS1_11target_archE1100ELNS1_3gpuE3ELNS1_3repE0EEENS1_48merge_mergepath_partition_config_static_selectorELNS0_4arch9wavefront6targetE1EEEvSH_
                                        ; -- End function
	.section	.AMDGPU.csdata,"",@progbits
; Kernel info:
; codeLenInByte = 0
; NumSgprs: 4
; NumVgprs: 0
; NumAgprs: 0
; TotalNumVgprs: 0
; ScratchSize: 0
; MemoryBound: 0
; FloatMode: 240
; IeeeMode: 1
; LDSByteSize: 0 bytes/workgroup (compile time only)
; SGPRBlocks: 0
; VGPRBlocks: 0
; NumSGPRsForWavesPerEU: 4
; NumVGPRsForWavesPerEU: 1
; AccumOffset: 4
; Occupancy: 8
; WaveLimiterHint : 0
; COMPUTE_PGM_RSRC2:SCRATCH_EN: 0
; COMPUTE_PGM_RSRC2:USER_SGPR: 6
; COMPUTE_PGM_RSRC2:TRAP_HANDLER: 0
; COMPUTE_PGM_RSRC2:TGID_X_EN: 1
; COMPUTE_PGM_RSRC2:TGID_Y_EN: 0
; COMPUTE_PGM_RSRC2:TGID_Z_EN: 0
; COMPUTE_PGM_RSRC2:TIDIG_COMP_CNT: 0
; COMPUTE_PGM_RSRC3_GFX90A:ACCUM_OFFSET: 0
; COMPUTE_PGM_RSRC3_GFX90A:TG_SPLIT: 0
	.section	.text._ZN7rocprim17ROCPRIM_400000_NS6detail17trampoline_kernelINS0_14default_configENS1_38merge_sort_block_merge_config_selectorIhlEEZZNS1_27merge_sort_block_merge_implIS3_PhN6thrust23THRUST_200600_302600_NS10device_ptrIlEEjNS1_19radix_merge_compareILb0ELb0EhNS0_19identity_decomposerEEEEE10hipError_tT0_T1_T2_jT3_P12ihipStream_tbPNSt15iterator_traitsISG_E10value_typeEPNSM_ISH_E10value_typeEPSI_NS1_7vsmem_tEENKUlT_SG_SH_SI_E_clIS7_S7_PlSB_EESF_SV_SG_SH_SI_EUlSV_E_NS1_11comp_targetILNS1_3genE8ELNS1_11target_archE1030ELNS1_3gpuE2ELNS1_3repE0EEENS1_48merge_mergepath_partition_config_static_selectorELNS0_4arch9wavefront6targetE1EEEvSH_,"axG",@progbits,_ZN7rocprim17ROCPRIM_400000_NS6detail17trampoline_kernelINS0_14default_configENS1_38merge_sort_block_merge_config_selectorIhlEEZZNS1_27merge_sort_block_merge_implIS3_PhN6thrust23THRUST_200600_302600_NS10device_ptrIlEEjNS1_19radix_merge_compareILb0ELb0EhNS0_19identity_decomposerEEEEE10hipError_tT0_T1_T2_jT3_P12ihipStream_tbPNSt15iterator_traitsISG_E10value_typeEPNSM_ISH_E10value_typeEPSI_NS1_7vsmem_tEENKUlT_SG_SH_SI_E_clIS7_S7_PlSB_EESF_SV_SG_SH_SI_EUlSV_E_NS1_11comp_targetILNS1_3genE8ELNS1_11target_archE1030ELNS1_3gpuE2ELNS1_3repE0EEENS1_48merge_mergepath_partition_config_static_selectorELNS0_4arch9wavefront6targetE1EEEvSH_,comdat
	.protected	_ZN7rocprim17ROCPRIM_400000_NS6detail17trampoline_kernelINS0_14default_configENS1_38merge_sort_block_merge_config_selectorIhlEEZZNS1_27merge_sort_block_merge_implIS3_PhN6thrust23THRUST_200600_302600_NS10device_ptrIlEEjNS1_19radix_merge_compareILb0ELb0EhNS0_19identity_decomposerEEEEE10hipError_tT0_T1_T2_jT3_P12ihipStream_tbPNSt15iterator_traitsISG_E10value_typeEPNSM_ISH_E10value_typeEPSI_NS1_7vsmem_tEENKUlT_SG_SH_SI_E_clIS7_S7_PlSB_EESF_SV_SG_SH_SI_EUlSV_E_NS1_11comp_targetILNS1_3genE8ELNS1_11target_archE1030ELNS1_3gpuE2ELNS1_3repE0EEENS1_48merge_mergepath_partition_config_static_selectorELNS0_4arch9wavefront6targetE1EEEvSH_ ; -- Begin function _ZN7rocprim17ROCPRIM_400000_NS6detail17trampoline_kernelINS0_14default_configENS1_38merge_sort_block_merge_config_selectorIhlEEZZNS1_27merge_sort_block_merge_implIS3_PhN6thrust23THRUST_200600_302600_NS10device_ptrIlEEjNS1_19radix_merge_compareILb0ELb0EhNS0_19identity_decomposerEEEEE10hipError_tT0_T1_T2_jT3_P12ihipStream_tbPNSt15iterator_traitsISG_E10value_typeEPNSM_ISH_E10value_typeEPSI_NS1_7vsmem_tEENKUlT_SG_SH_SI_E_clIS7_S7_PlSB_EESF_SV_SG_SH_SI_EUlSV_E_NS1_11comp_targetILNS1_3genE8ELNS1_11target_archE1030ELNS1_3gpuE2ELNS1_3repE0EEENS1_48merge_mergepath_partition_config_static_selectorELNS0_4arch9wavefront6targetE1EEEvSH_
	.globl	_ZN7rocprim17ROCPRIM_400000_NS6detail17trampoline_kernelINS0_14default_configENS1_38merge_sort_block_merge_config_selectorIhlEEZZNS1_27merge_sort_block_merge_implIS3_PhN6thrust23THRUST_200600_302600_NS10device_ptrIlEEjNS1_19radix_merge_compareILb0ELb0EhNS0_19identity_decomposerEEEEE10hipError_tT0_T1_T2_jT3_P12ihipStream_tbPNSt15iterator_traitsISG_E10value_typeEPNSM_ISH_E10value_typeEPSI_NS1_7vsmem_tEENKUlT_SG_SH_SI_E_clIS7_S7_PlSB_EESF_SV_SG_SH_SI_EUlSV_E_NS1_11comp_targetILNS1_3genE8ELNS1_11target_archE1030ELNS1_3gpuE2ELNS1_3repE0EEENS1_48merge_mergepath_partition_config_static_selectorELNS0_4arch9wavefront6targetE1EEEvSH_
	.p2align	8
	.type	_ZN7rocprim17ROCPRIM_400000_NS6detail17trampoline_kernelINS0_14default_configENS1_38merge_sort_block_merge_config_selectorIhlEEZZNS1_27merge_sort_block_merge_implIS3_PhN6thrust23THRUST_200600_302600_NS10device_ptrIlEEjNS1_19radix_merge_compareILb0ELb0EhNS0_19identity_decomposerEEEEE10hipError_tT0_T1_T2_jT3_P12ihipStream_tbPNSt15iterator_traitsISG_E10value_typeEPNSM_ISH_E10value_typeEPSI_NS1_7vsmem_tEENKUlT_SG_SH_SI_E_clIS7_S7_PlSB_EESF_SV_SG_SH_SI_EUlSV_E_NS1_11comp_targetILNS1_3genE8ELNS1_11target_archE1030ELNS1_3gpuE2ELNS1_3repE0EEENS1_48merge_mergepath_partition_config_static_selectorELNS0_4arch9wavefront6targetE1EEEvSH_,@function
_ZN7rocprim17ROCPRIM_400000_NS6detail17trampoline_kernelINS0_14default_configENS1_38merge_sort_block_merge_config_selectorIhlEEZZNS1_27merge_sort_block_merge_implIS3_PhN6thrust23THRUST_200600_302600_NS10device_ptrIlEEjNS1_19radix_merge_compareILb0ELb0EhNS0_19identity_decomposerEEEEE10hipError_tT0_T1_T2_jT3_P12ihipStream_tbPNSt15iterator_traitsISG_E10value_typeEPNSM_ISH_E10value_typeEPSI_NS1_7vsmem_tEENKUlT_SG_SH_SI_E_clIS7_S7_PlSB_EESF_SV_SG_SH_SI_EUlSV_E_NS1_11comp_targetILNS1_3genE8ELNS1_11target_archE1030ELNS1_3gpuE2ELNS1_3repE0EEENS1_48merge_mergepath_partition_config_static_selectorELNS0_4arch9wavefront6targetE1EEEvSH_: ; @_ZN7rocprim17ROCPRIM_400000_NS6detail17trampoline_kernelINS0_14default_configENS1_38merge_sort_block_merge_config_selectorIhlEEZZNS1_27merge_sort_block_merge_implIS3_PhN6thrust23THRUST_200600_302600_NS10device_ptrIlEEjNS1_19radix_merge_compareILb0ELb0EhNS0_19identity_decomposerEEEEE10hipError_tT0_T1_T2_jT3_P12ihipStream_tbPNSt15iterator_traitsISG_E10value_typeEPNSM_ISH_E10value_typeEPSI_NS1_7vsmem_tEENKUlT_SG_SH_SI_E_clIS7_S7_PlSB_EESF_SV_SG_SH_SI_EUlSV_E_NS1_11comp_targetILNS1_3genE8ELNS1_11target_archE1030ELNS1_3gpuE2ELNS1_3repE0EEENS1_48merge_mergepath_partition_config_static_selectorELNS0_4arch9wavefront6targetE1EEEvSH_
; %bb.0:
	.section	.rodata,"a",@progbits
	.p2align	6, 0x0
	.amdhsa_kernel _ZN7rocprim17ROCPRIM_400000_NS6detail17trampoline_kernelINS0_14default_configENS1_38merge_sort_block_merge_config_selectorIhlEEZZNS1_27merge_sort_block_merge_implIS3_PhN6thrust23THRUST_200600_302600_NS10device_ptrIlEEjNS1_19radix_merge_compareILb0ELb0EhNS0_19identity_decomposerEEEEE10hipError_tT0_T1_T2_jT3_P12ihipStream_tbPNSt15iterator_traitsISG_E10value_typeEPNSM_ISH_E10value_typeEPSI_NS1_7vsmem_tEENKUlT_SG_SH_SI_E_clIS7_S7_PlSB_EESF_SV_SG_SH_SI_EUlSV_E_NS1_11comp_targetILNS1_3genE8ELNS1_11target_archE1030ELNS1_3gpuE2ELNS1_3repE0EEENS1_48merge_mergepath_partition_config_static_selectorELNS0_4arch9wavefront6targetE1EEEvSH_
		.amdhsa_group_segment_fixed_size 0
		.amdhsa_private_segment_fixed_size 0
		.amdhsa_kernarg_size 40
		.amdhsa_user_sgpr_count 6
		.amdhsa_user_sgpr_private_segment_buffer 1
		.amdhsa_user_sgpr_dispatch_ptr 0
		.amdhsa_user_sgpr_queue_ptr 0
		.amdhsa_user_sgpr_kernarg_segment_ptr 1
		.amdhsa_user_sgpr_dispatch_id 0
		.amdhsa_user_sgpr_flat_scratch_init 0
		.amdhsa_user_sgpr_kernarg_preload_length 0
		.amdhsa_user_sgpr_kernarg_preload_offset 0
		.amdhsa_user_sgpr_private_segment_size 0
		.amdhsa_uses_dynamic_stack 0
		.amdhsa_system_sgpr_private_segment_wavefront_offset 0
		.amdhsa_system_sgpr_workgroup_id_x 1
		.amdhsa_system_sgpr_workgroup_id_y 0
		.amdhsa_system_sgpr_workgroup_id_z 0
		.amdhsa_system_sgpr_workgroup_info 0
		.amdhsa_system_vgpr_workitem_id 0
		.amdhsa_next_free_vgpr 1
		.amdhsa_next_free_sgpr 0
		.amdhsa_accum_offset 4
		.amdhsa_reserve_vcc 0
		.amdhsa_reserve_flat_scratch 0
		.amdhsa_float_round_mode_32 0
		.amdhsa_float_round_mode_16_64 0
		.amdhsa_float_denorm_mode_32 3
		.amdhsa_float_denorm_mode_16_64 3
		.amdhsa_dx10_clamp 1
		.amdhsa_ieee_mode 1
		.amdhsa_fp16_overflow 0
		.amdhsa_tg_split 0
		.amdhsa_exception_fp_ieee_invalid_op 0
		.amdhsa_exception_fp_denorm_src 0
		.amdhsa_exception_fp_ieee_div_zero 0
		.amdhsa_exception_fp_ieee_overflow 0
		.amdhsa_exception_fp_ieee_underflow 0
		.amdhsa_exception_fp_ieee_inexact 0
		.amdhsa_exception_int_div_zero 0
	.end_amdhsa_kernel
	.section	.text._ZN7rocprim17ROCPRIM_400000_NS6detail17trampoline_kernelINS0_14default_configENS1_38merge_sort_block_merge_config_selectorIhlEEZZNS1_27merge_sort_block_merge_implIS3_PhN6thrust23THRUST_200600_302600_NS10device_ptrIlEEjNS1_19radix_merge_compareILb0ELb0EhNS0_19identity_decomposerEEEEE10hipError_tT0_T1_T2_jT3_P12ihipStream_tbPNSt15iterator_traitsISG_E10value_typeEPNSM_ISH_E10value_typeEPSI_NS1_7vsmem_tEENKUlT_SG_SH_SI_E_clIS7_S7_PlSB_EESF_SV_SG_SH_SI_EUlSV_E_NS1_11comp_targetILNS1_3genE8ELNS1_11target_archE1030ELNS1_3gpuE2ELNS1_3repE0EEENS1_48merge_mergepath_partition_config_static_selectorELNS0_4arch9wavefront6targetE1EEEvSH_,"axG",@progbits,_ZN7rocprim17ROCPRIM_400000_NS6detail17trampoline_kernelINS0_14default_configENS1_38merge_sort_block_merge_config_selectorIhlEEZZNS1_27merge_sort_block_merge_implIS3_PhN6thrust23THRUST_200600_302600_NS10device_ptrIlEEjNS1_19radix_merge_compareILb0ELb0EhNS0_19identity_decomposerEEEEE10hipError_tT0_T1_T2_jT3_P12ihipStream_tbPNSt15iterator_traitsISG_E10value_typeEPNSM_ISH_E10value_typeEPSI_NS1_7vsmem_tEENKUlT_SG_SH_SI_E_clIS7_S7_PlSB_EESF_SV_SG_SH_SI_EUlSV_E_NS1_11comp_targetILNS1_3genE8ELNS1_11target_archE1030ELNS1_3gpuE2ELNS1_3repE0EEENS1_48merge_mergepath_partition_config_static_selectorELNS0_4arch9wavefront6targetE1EEEvSH_,comdat
.Lfunc_end131:
	.size	_ZN7rocprim17ROCPRIM_400000_NS6detail17trampoline_kernelINS0_14default_configENS1_38merge_sort_block_merge_config_selectorIhlEEZZNS1_27merge_sort_block_merge_implIS3_PhN6thrust23THRUST_200600_302600_NS10device_ptrIlEEjNS1_19radix_merge_compareILb0ELb0EhNS0_19identity_decomposerEEEEE10hipError_tT0_T1_T2_jT3_P12ihipStream_tbPNSt15iterator_traitsISG_E10value_typeEPNSM_ISH_E10value_typeEPSI_NS1_7vsmem_tEENKUlT_SG_SH_SI_E_clIS7_S7_PlSB_EESF_SV_SG_SH_SI_EUlSV_E_NS1_11comp_targetILNS1_3genE8ELNS1_11target_archE1030ELNS1_3gpuE2ELNS1_3repE0EEENS1_48merge_mergepath_partition_config_static_selectorELNS0_4arch9wavefront6targetE1EEEvSH_, .Lfunc_end131-_ZN7rocprim17ROCPRIM_400000_NS6detail17trampoline_kernelINS0_14default_configENS1_38merge_sort_block_merge_config_selectorIhlEEZZNS1_27merge_sort_block_merge_implIS3_PhN6thrust23THRUST_200600_302600_NS10device_ptrIlEEjNS1_19radix_merge_compareILb0ELb0EhNS0_19identity_decomposerEEEEE10hipError_tT0_T1_T2_jT3_P12ihipStream_tbPNSt15iterator_traitsISG_E10value_typeEPNSM_ISH_E10value_typeEPSI_NS1_7vsmem_tEENKUlT_SG_SH_SI_E_clIS7_S7_PlSB_EESF_SV_SG_SH_SI_EUlSV_E_NS1_11comp_targetILNS1_3genE8ELNS1_11target_archE1030ELNS1_3gpuE2ELNS1_3repE0EEENS1_48merge_mergepath_partition_config_static_selectorELNS0_4arch9wavefront6targetE1EEEvSH_
                                        ; -- End function
	.section	.AMDGPU.csdata,"",@progbits
; Kernel info:
; codeLenInByte = 0
; NumSgprs: 4
; NumVgprs: 0
; NumAgprs: 0
; TotalNumVgprs: 0
; ScratchSize: 0
; MemoryBound: 0
; FloatMode: 240
; IeeeMode: 1
; LDSByteSize: 0 bytes/workgroup (compile time only)
; SGPRBlocks: 0
; VGPRBlocks: 0
; NumSGPRsForWavesPerEU: 4
; NumVGPRsForWavesPerEU: 1
; AccumOffset: 4
; Occupancy: 8
; WaveLimiterHint : 0
; COMPUTE_PGM_RSRC2:SCRATCH_EN: 0
; COMPUTE_PGM_RSRC2:USER_SGPR: 6
; COMPUTE_PGM_RSRC2:TRAP_HANDLER: 0
; COMPUTE_PGM_RSRC2:TGID_X_EN: 1
; COMPUTE_PGM_RSRC2:TGID_Y_EN: 0
; COMPUTE_PGM_RSRC2:TGID_Z_EN: 0
; COMPUTE_PGM_RSRC2:TIDIG_COMP_CNT: 0
; COMPUTE_PGM_RSRC3_GFX90A:ACCUM_OFFSET: 0
; COMPUTE_PGM_RSRC3_GFX90A:TG_SPLIT: 0
	.section	.text._ZN7rocprim17ROCPRIM_400000_NS6detail17trampoline_kernelINS0_14default_configENS1_38merge_sort_block_merge_config_selectorIhlEEZZNS1_27merge_sort_block_merge_implIS3_PhN6thrust23THRUST_200600_302600_NS10device_ptrIlEEjNS1_19radix_merge_compareILb0ELb0EhNS0_19identity_decomposerEEEEE10hipError_tT0_T1_T2_jT3_P12ihipStream_tbPNSt15iterator_traitsISG_E10value_typeEPNSM_ISH_E10value_typeEPSI_NS1_7vsmem_tEENKUlT_SG_SH_SI_E_clIS7_S7_PlSB_EESF_SV_SG_SH_SI_EUlSV_E0_NS1_11comp_targetILNS1_3genE0ELNS1_11target_archE4294967295ELNS1_3gpuE0ELNS1_3repE0EEENS1_38merge_mergepath_config_static_selectorELNS0_4arch9wavefront6targetE1EEEvSH_,"axG",@progbits,_ZN7rocprim17ROCPRIM_400000_NS6detail17trampoline_kernelINS0_14default_configENS1_38merge_sort_block_merge_config_selectorIhlEEZZNS1_27merge_sort_block_merge_implIS3_PhN6thrust23THRUST_200600_302600_NS10device_ptrIlEEjNS1_19radix_merge_compareILb0ELb0EhNS0_19identity_decomposerEEEEE10hipError_tT0_T1_T2_jT3_P12ihipStream_tbPNSt15iterator_traitsISG_E10value_typeEPNSM_ISH_E10value_typeEPSI_NS1_7vsmem_tEENKUlT_SG_SH_SI_E_clIS7_S7_PlSB_EESF_SV_SG_SH_SI_EUlSV_E0_NS1_11comp_targetILNS1_3genE0ELNS1_11target_archE4294967295ELNS1_3gpuE0ELNS1_3repE0EEENS1_38merge_mergepath_config_static_selectorELNS0_4arch9wavefront6targetE1EEEvSH_,comdat
	.protected	_ZN7rocprim17ROCPRIM_400000_NS6detail17trampoline_kernelINS0_14default_configENS1_38merge_sort_block_merge_config_selectorIhlEEZZNS1_27merge_sort_block_merge_implIS3_PhN6thrust23THRUST_200600_302600_NS10device_ptrIlEEjNS1_19radix_merge_compareILb0ELb0EhNS0_19identity_decomposerEEEEE10hipError_tT0_T1_T2_jT3_P12ihipStream_tbPNSt15iterator_traitsISG_E10value_typeEPNSM_ISH_E10value_typeEPSI_NS1_7vsmem_tEENKUlT_SG_SH_SI_E_clIS7_S7_PlSB_EESF_SV_SG_SH_SI_EUlSV_E0_NS1_11comp_targetILNS1_3genE0ELNS1_11target_archE4294967295ELNS1_3gpuE0ELNS1_3repE0EEENS1_38merge_mergepath_config_static_selectorELNS0_4arch9wavefront6targetE1EEEvSH_ ; -- Begin function _ZN7rocprim17ROCPRIM_400000_NS6detail17trampoline_kernelINS0_14default_configENS1_38merge_sort_block_merge_config_selectorIhlEEZZNS1_27merge_sort_block_merge_implIS3_PhN6thrust23THRUST_200600_302600_NS10device_ptrIlEEjNS1_19radix_merge_compareILb0ELb0EhNS0_19identity_decomposerEEEEE10hipError_tT0_T1_T2_jT3_P12ihipStream_tbPNSt15iterator_traitsISG_E10value_typeEPNSM_ISH_E10value_typeEPSI_NS1_7vsmem_tEENKUlT_SG_SH_SI_E_clIS7_S7_PlSB_EESF_SV_SG_SH_SI_EUlSV_E0_NS1_11comp_targetILNS1_3genE0ELNS1_11target_archE4294967295ELNS1_3gpuE0ELNS1_3repE0EEENS1_38merge_mergepath_config_static_selectorELNS0_4arch9wavefront6targetE1EEEvSH_
	.globl	_ZN7rocprim17ROCPRIM_400000_NS6detail17trampoline_kernelINS0_14default_configENS1_38merge_sort_block_merge_config_selectorIhlEEZZNS1_27merge_sort_block_merge_implIS3_PhN6thrust23THRUST_200600_302600_NS10device_ptrIlEEjNS1_19radix_merge_compareILb0ELb0EhNS0_19identity_decomposerEEEEE10hipError_tT0_T1_T2_jT3_P12ihipStream_tbPNSt15iterator_traitsISG_E10value_typeEPNSM_ISH_E10value_typeEPSI_NS1_7vsmem_tEENKUlT_SG_SH_SI_E_clIS7_S7_PlSB_EESF_SV_SG_SH_SI_EUlSV_E0_NS1_11comp_targetILNS1_3genE0ELNS1_11target_archE4294967295ELNS1_3gpuE0ELNS1_3repE0EEENS1_38merge_mergepath_config_static_selectorELNS0_4arch9wavefront6targetE1EEEvSH_
	.p2align	8
	.type	_ZN7rocprim17ROCPRIM_400000_NS6detail17trampoline_kernelINS0_14default_configENS1_38merge_sort_block_merge_config_selectorIhlEEZZNS1_27merge_sort_block_merge_implIS3_PhN6thrust23THRUST_200600_302600_NS10device_ptrIlEEjNS1_19radix_merge_compareILb0ELb0EhNS0_19identity_decomposerEEEEE10hipError_tT0_T1_T2_jT3_P12ihipStream_tbPNSt15iterator_traitsISG_E10value_typeEPNSM_ISH_E10value_typeEPSI_NS1_7vsmem_tEENKUlT_SG_SH_SI_E_clIS7_S7_PlSB_EESF_SV_SG_SH_SI_EUlSV_E0_NS1_11comp_targetILNS1_3genE0ELNS1_11target_archE4294967295ELNS1_3gpuE0ELNS1_3repE0EEENS1_38merge_mergepath_config_static_selectorELNS0_4arch9wavefront6targetE1EEEvSH_,@function
_ZN7rocprim17ROCPRIM_400000_NS6detail17trampoline_kernelINS0_14default_configENS1_38merge_sort_block_merge_config_selectorIhlEEZZNS1_27merge_sort_block_merge_implIS3_PhN6thrust23THRUST_200600_302600_NS10device_ptrIlEEjNS1_19radix_merge_compareILb0ELb0EhNS0_19identity_decomposerEEEEE10hipError_tT0_T1_T2_jT3_P12ihipStream_tbPNSt15iterator_traitsISG_E10value_typeEPNSM_ISH_E10value_typeEPSI_NS1_7vsmem_tEENKUlT_SG_SH_SI_E_clIS7_S7_PlSB_EESF_SV_SG_SH_SI_EUlSV_E0_NS1_11comp_targetILNS1_3genE0ELNS1_11target_archE4294967295ELNS1_3gpuE0ELNS1_3repE0EEENS1_38merge_mergepath_config_static_selectorELNS0_4arch9wavefront6targetE1EEEvSH_: ; @_ZN7rocprim17ROCPRIM_400000_NS6detail17trampoline_kernelINS0_14default_configENS1_38merge_sort_block_merge_config_selectorIhlEEZZNS1_27merge_sort_block_merge_implIS3_PhN6thrust23THRUST_200600_302600_NS10device_ptrIlEEjNS1_19radix_merge_compareILb0ELb0EhNS0_19identity_decomposerEEEEE10hipError_tT0_T1_T2_jT3_P12ihipStream_tbPNSt15iterator_traitsISG_E10value_typeEPNSM_ISH_E10value_typeEPSI_NS1_7vsmem_tEENKUlT_SG_SH_SI_E_clIS7_S7_PlSB_EESF_SV_SG_SH_SI_EUlSV_E0_NS1_11comp_targetILNS1_3genE0ELNS1_11target_archE4294967295ELNS1_3gpuE0ELNS1_3repE0EEENS1_38merge_mergepath_config_static_selectorELNS0_4arch9wavefront6targetE1EEEvSH_
; %bb.0:
	.section	.rodata,"a",@progbits
	.p2align	6, 0x0
	.amdhsa_kernel _ZN7rocprim17ROCPRIM_400000_NS6detail17trampoline_kernelINS0_14default_configENS1_38merge_sort_block_merge_config_selectorIhlEEZZNS1_27merge_sort_block_merge_implIS3_PhN6thrust23THRUST_200600_302600_NS10device_ptrIlEEjNS1_19radix_merge_compareILb0ELb0EhNS0_19identity_decomposerEEEEE10hipError_tT0_T1_T2_jT3_P12ihipStream_tbPNSt15iterator_traitsISG_E10value_typeEPNSM_ISH_E10value_typeEPSI_NS1_7vsmem_tEENKUlT_SG_SH_SI_E_clIS7_S7_PlSB_EESF_SV_SG_SH_SI_EUlSV_E0_NS1_11comp_targetILNS1_3genE0ELNS1_11target_archE4294967295ELNS1_3gpuE0ELNS1_3repE0EEENS1_38merge_mergepath_config_static_selectorELNS0_4arch9wavefront6targetE1EEEvSH_
		.amdhsa_group_segment_fixed_size 0
		.amdhsa_private_segment_fixed_size 0
		.amdhsa_kernarg_size 64
		.amdhsa_user_sgpr_count 6
		.amdhsa_user_sgpr_private_segment_buffer 1
		.amdhsa_user_sgpr_dispatch_ptr 0
		.amdhsa_user_sgpr_queue_ptr 0
		.amdhsa_user_sgpr_kernarg_segment_ptr 1
		.amdhsa_user_sgpr_dispatch_id 0
		.amdhsa_user_sgpr_flat_scratch_init 0
		.amdhsa_user_sgpr_kernarg_preload_length 0
		.amdhsa_user_sgpr_kernarg_preload_offset 0
		.amdhsa_user_sgpr_private_segment_size 0
		.amdhsa_uses_dynamic_stack 0
		.amdhsa_system_sgpr_private_segment_wavefront_offset 0
		.amdhsa_system_sgpr_workgroup_id_x 1
		.amdhsa_system_sgpr_workgroup_id_y 0
		.amdhsa_system_sgpr_workgroup_id_z 0
		.amdhsa_system_sgpr_workgroup_info 0
		.amdhsa_system_vgpr_workitem_id 0
		.amdhsa_next_free_vgpr 1
		.amdhsa_next_free_sgpr 0
		.amdhsa_accum_offset 4
		.amdhsa_reserve_vcc 0
		.amdhsa_reserve_flat_scratch 0
		.amdhsa_float_round_mode_32 0
		.amdhsa_float_round_mode_16_64 0
		.amdhsa_float_denorm_mode_32 3
		.amdhsa_float_denorm_mode_16_64 3
		.amdhsa_dx10_clamp 1
		.amdhsa_ieee_mode 1
		.amdhsa_fp16_overflow 0
		.amdhsa_tg_split 0
		.amdhsa_exception_fp_ieee_invalid_op 0
		.amdhsa_exception_fp_denorm_src 0
		.amdhsa_exception_fp_ieee_div_zero 0
		.amdhsa_exception_fp_ieee_overflow 0
		.amdhsa_exception_fp_ieee_underflow 0
		.amdhsa_exception_fp_ieee_inexact 0
		.amdhsa_exception_int_div_zero 0
	.end_amdhsa_kernel
	.section	.text._ZN7rocprim17ROCPRIM_400000_NS6detail17trampoline_kernelINS0_14default_configENS1_38merge_sort_block_merge_config_selectorIhlEEZZNS1_27merge_sort_block_merge_implIS3_PhN6thrust23THRUST_200600_302600_NS10device_ptrIlEEjNS1_19radix_merge_compareILb0ELb0EhNS0_19identity_decomposerEEEEE10hipError_tT0_T1_T2_jT3_P12ihipStream_tbPNSt15iterator_traitsISG_E10value_typeEPNSM_ISH_E10value_typeEPSI_NS1_7vsmem_tEENKUlT_SG_SH_SI_E_clIS7_S7_PlSB_EESF_SV_SG_SH_SI_EUlSV_E0_NS1_11comp_targetILNS1_3genE0ELNS1_11target_archE4294967295ELNS1_3gpuE0ELNS1_3repE0EEENS1_38merge_mergepath_config_static_selectorELNS0_4arch9wavefront6targetE1EEEvSH_,"axG",@progbits,_ZN7rocprim17ROCPRIM_400000_NS6detail17trampoline_kernelINS0_14default_configENS1_38merge_sort_block_merge_config_selectorIhlEEZZNS1_27merge_sort_block_merge_implIS3_PhN6thrust23THRUST_200600_302600_NS10device_ptrIlEEjNS1_19radix_merge_compareILb0ELb0EhNS0_19identity_decomposerEEEEE10hipError_tT0_T1_T2_jT3_P12ihipStream_tbPNSt15iterator_traitsISG_E10value_typeEPNSM_ISH_E10value_typeEPSI_NS1_7vsmem_tEENKUlT_SG_SH_SI_E_clIS7_S7_PlSB_EESF_SV_SG_SH_SI_EUlSV_E0_NS1_11comp_targetILNS1_3genE0ELNS1_11target_archE4294967295ELNS1_3gpuE0ELNS1_3repE0EEENS1_38merge_mergepath_config_static_selectorELNS0_4arch9wavefront6targetE1EEEvSH_,comdat
.Lfunc_end132:
	.size	_ZN7rocprim17ROCPRIM_400000_NS6detail17trampoline_kernelINS0_14default_configENS1_38merge_sort_block_merge_config_selectorIhlEEZZNS1_27merge_sort_block_merge_implIS3_PhN6thrust23THRUST_200600_302600_NS10device_ptrIlEEjNS1_19radix_merge_compareILb0ELb0EhNS0_19identity_decomposerEEEEE10hipError_tT0_T1_T2_jT3_P12ihipStream_tbPNSt15iterator_traitsISG_E10value_typeEPNSM_ISH_E10value_typeEPSI_NS1_7vsmem_tEENKUlT_SG_SH_SI_E_clIS7_S7_PlSB_EESF_SV_SG_SH_SI_EUlSV_E0_NS1_11comp_targetILNS1_3genE0ELNS1_11target_archE4294967295ELNS1_3gpuE0ELNS1_3repE0EEENS1_38merge_mergepath_config_static_selectorELNS0_4arch9wavefront6targetE1EEEvSH_, .Lfunc_end132-_ZN7rocprim17ROCPRIM_400000_NS6detail17trampoline_kernelINS0_14default_configENS1_38merge_sort_block_merge_config_selectorIhlEEZZNS1_27merge_sort_block_merge_implIS3_PhN6thrust23THRUST_200600_302600_NS10device_ptrIlEEjNS1_19radix_merge_compareILb0ELb0EhNS0_19identity_decomposerEEEEE10hipError_tT0_T1_T2_jT3_P12ihipStream_tbPNSt15iterator_traitsISG_E10value_typeEPNSM_ISH_E10value_typeEPSI_NS1_7vsmem_tEENKUlT_SG_SH_SI_E_clIS7_S7_PlSB_EESF_SV_SG_SH_SI_EUlSV_E0_NS1_11comp_targetILNS1_3genE0ELNS1_11target_archE4294967295ELNS1_3gpuE0ELNS1_3repE0EEENS1_38merge_mergepath_config_static_selectorELNS0_4arch9wavefront6targetE1EEEvSH_
                                        ; -- End function
	.section	.AMDGPU.csdata,"",@progbits
; Kernel info:
; codeLenInByte = 0
; NumSgprs: 4
; NumVgprs: 0
; NumAgprs: 0
; TotalNumVgprs: 0
; ScratchSize: 0
; MemoryBound: 0
; FloatMode: 240
; IeeeMode: 1
; LDSByteSize: 0 bytes/workgroup (compile time only)
; SGPRBlocks: 0
; VGPRBlocks: 0
; NumSGPRsForWavesPerEU: 4
; NumVGPRsForWavesPerEU: 1
; AccumOffset: 4
; Occupancy: 8
; WaveLimiterHint : 0
; COMPUTE_PGM_RSRC2:SCRATCH_EN: 0
; COMPUTE_PGM_RSRC2:USER_SGPR: 6
; COMPUTE_PGM_RSRC2:TRAP_HANDLER: 0
; COMPUTE_PGM_RSRC2:TGID_X_EN: 1
; COMPUTE_PGM_RSRC2:TGID_Y_EN: 0
; COMPUTE_PGM_RSRC2:TGID_Z_EN: 0
; COMPUTE_PGM_RSRC2:TIDIG_COMP_CNT: 0
; COMPUTE_PGM_RSRC3_GFX90A:ACCUM_OFFSET: 0
; COMPUTE_PGM_RSRC3_GFX90A:TG_SPLIT: 0
	.section	.text._ZN7rocprim17ROCPRIM_400000_NS6detail17trampoline_kernelINS0_14default_configENS1_38merge_sort_block_merge_config_selectorIhlEEZZNS1_27merge_sort_block_merge_implIS3_PhN6thrust23THRUST_200600_302600_NS10device_ptrIlEEjNS1_19radix_merge_compareILb0ELb0EhNS0_19identity_decomposerEEEEE10hipError_tT0_T1_T2_jT3_P12ihipStream_tbPNSt15iterator_traitsISG_E10value_typeEPNSM_ISH_E10value_typeEPSI_NS1_7vsmem_tEENKUlT_SG_SH_SI_E_clIS7_S7_PlSB_EESF_SV_SG_SH_SI_EUlSV_E0_NS1_11comp_targetILNS1_3genE10ELNS1_11target_archE1201ELNS1_3gpuE5ELNS1_3repE0EEENS1_38merge_mergepath_config_static_selectorELNS0_4arch9wavefront6targetE1EEEvSH_,"axG",@progbits,_ZN7rocprim17ROCPRIM_400000_NS6detail17trampoline_kernelINS0_14default_configENS1_38merge_sort_block_merge_config_selectorIhlEEZZNS1_27merge_sort_block_merge_implIS3_PhN6thrust23THRUST_200600_302600_NS10device_ptrIlEEjNS1_19radix_merge_compareILb0ELb0EhNS0_19identity_decomposerEEEEE10hipError_tT0_T1_T2_jT3_P12ihipStream_tbPNSt15iterator_traitsISG_E10value_typeEPNSM_ISH_E10value_typeEPSI_NS1_7vsmem_tEENKUlT_SG_SH_SI_E_clIS7_S7_PlSB_EESF_SV_SG_SH_SI_EUlSV_E0_NS1_11comp_targetILNS1_3genE10ELNS1_11target_archE1201ELNS1_3gpuE5ELNS1_3repE0EEENS1_38merge_mergepath_config_static_selectorELNS0_4arch9wavefront6targetE1EEEvSH_,comdat
	.protected	_ZN7rocprim17ROCPRIM_400000_NS6detail17trampoline_kernelINS0_14default_configENS1_38merge_sort_block_merge_config_selectorIhlEEZZNS1_27merge_sort_block_merge_implIS3_PhN6thrust23THRUST_200600_302600_NS10device_ptrIlEEjNS1_19radix_merge_compareILb0ELb0EhNS0_19identity_decomposerEEEEE10hipError_tT0_T1_T2_jT3_P12ihipStream_tbPNSt15iterator_traitsISG_E10value_typeEPNSM_ISH_E10value_typeEPSI_NS1_7vsmem_tEENKUlT_SG_SH_SI_E_clIS7_S7_PlSB_EESF_SV_SG_SH_SI_EUlSV_E0_NS1_11comp_targetILNS1_3genE10ELNS1_11target_archE1201ELNS1_3gpuE5ELNS1_3repE0EEENS1_38merge_mergepath_config_static_selectorELNS0_4arch9wavefront6targetE1EEEvSH_ ; -- Begin function _ZN7rocprim17ROCPRIM_400000_NS6detail17trampoline_kernelINS0_14default_configENS1_38merge_sort_block_merge_config_selectorIhlEEZZNS1_27merge_sort_block_merge_implIS3_PhN6thrust23THRUST_200600_302600_NS10device_ptrIlEEjNS1_19radix_merge_compareILb0ELb0EhNS0_19identity_decomposerEEEEE10hipError_tT0_T1_T2_jT3_P12ihipStream_tbPNSt15iterator_traitsISG_E10value_typeEPNSM_ISH_E10value_typeEPSI_NS1_7vsmem_tEENKUlT_SG_SH_SI_E_clIS7_S7_PlSB_EESF_SV_SG_SH_SI_EUlSV_E0_NS1_11comp_targetILNS1_3genE10ELNS1_11target_archE1201ELNS1_3gpuE5ELNS1_3repE0EEENS1_38merge_mergepath_config_static_selectorELNS0_4arch9wavefront6targetE1EEEvSH_
	.globl	_ZN7rocprim17ROCPRIM_400000_NS6detail17trampoline_kernelINS0_14default_configENS1_38merge_sort_block_merge_config_selectorIhlEEZZNS1_27merge_sort_block_merge_implIS3_PhN6thrust23THRUST_200600_302600_NS10device_ptrIlEEjNS1_19radix_merge_compareILb0ELb0EhNS0_19identity_decomposerEEEEE10hipError_tT0_T1_T2_jT3_P12ihipStream_tbPNSt15iterator_traitsISG_E10value_typeEPNSM_ISH_E10value_typeEPSI_NS1_7vsmem_tEENKUlT_SG_SH_SI_E_clIS7_S7_PlSB_EESF_SV_SG_SH_SI_EUlSV_E0_NS1_11comp_targetILNS1_3genE10ELNS1_11target_archE1201ELNS1_3gpuE5ELNS1_3repE0EEENS1_38merge_mergepath_config_static_selectorELNS0_4arch9wavefront6targetE1EEEvSH_
	.p2align	8
	.type	_ZN7rocprim17ROCPRIM_400000_NS6detail17trampoline_kernelINS0_14default_configENS1_38merge_sort_block_merge_config_selectorIhlEEZZNS1_27merge_sort_block_merge_implIS3_PhN6thrust23THRUST_200600_302600_NS10device_ptrIlEEjNS1_19radix_merge_compareILb0ELb0EhNS0_19identity_decomposerEEEEE10hipError_tT0_T1_T2_jT3_P12ihipStream_tbPNSt15iterator_traitsISG_E10value_typeEPNSM_ISH_E10value_typeEPSI_NS1_7vsmem_tEENKUlT_SG_SH_SI_E_clIS7_S7_PlSB_EESF_SV_SG_SH_SI_EUlSV_E0_NS1_11comp_targetILNS1_3genE10ELNS1_11target_archE1201ELNS1_3gpuE5ELNS1_3repE0EEENS1_38merge_mergepath_config_static_selectorELNS0_4arch9wavefront6targetE1EEEvSH_,@function
_ZN7rocprim17ROCPRIM_400000_NS6detail17trampoline_kernelINS0_14default_configENS1_38merge_sort_block_merge_config_selectorIhlEEZZNS1_27merge_sort_block_merge_implIS3_PhN6thrust23THRUST_200600_302600_NS10device_ptrIlEEjNS1_19radix_merge_compareILb0ELb0EhNS0_19identity_decomposerEEEEE10hipError_tT0_T1_T2_jT3_P12ihipStream_tbPNSt15iterator_traitsISG_E10value_typeEPNSM_ISH_E10value_typeEPSI_NS1_7vsmem_tEENKUlT_SG_SH_SI_E_clIS7_S7_PlSB_EESF_SV_SG_SH_SI_EUlSV_E0_NS1_11comp_targetILNS1_3genE10ELNS1_11target_archE1201ELNS1_3gpuE5ELNS1_3repE0EEENS1_38merge_mergepath_config_static_selectorELNS0_4arch9wavefront6targetE1EEEvSH_: ; @_ZN7rocprim17ROCPRIM_400000_NS6detail17trampoline_kernelINS0_14default_configENS1_38merge_sort_block_merge_config_selectorIhlEEZZNS1_27merge_sort_block_merge_implIS3_PhN6thrust23THRUST_200600_302600_NS10device_ptrIlEEjNS1_19radix_merge_compareILb0ELb0EhNS0_19identity_decomposerEEEEE10hipError_tT0_T1_T2_jT3_P12ihipStream_tbPNSt15iterator_traitsISG_E10value_typeEPNSM_ISH_E10value_typeEPSI_NS1_7vsmem_tEENKUlT_SG_SH_SI_E_clIS7_S7_PlSB_EESF_SV_SG_SH_SI_EUlSV_E0_NS1_11comp_targetILNS1_3genE10ELNS1_11target_archE1201ELNS1_3gpuE5ELNS1_3repE0EEENS1_38merge_mergepath_config_static_selectorELNS0_4arch9wavefront6targetE1EEEvSH_
; %bb.0:
	.section	.rodata,"a",@progbits
	.p2align	6, 0x0
	.amdhsa_kernel _ZN7rocprim17ROCPRIM_400000_NS6detail17trampoline_kernelINS0_14default_configENS1_38merge_sort_block_merge_config_selectorIhlEEZZNS1_27merge_sort_block_merge_implIS3_PhN6thrust23THRUST_200600_302600_NS10device_ptrIlEEjNS1_19radix_merge_compareILb0ELb0EhNS0_19identity_decomposerEEEEE10hipError_tT0_T1_T2_jT3_P12ihipStream_tbPNSt15iterator_traitsISG_E10value_typeEPNSM_ISH_E10value_typeEPSI_NS1_7vsmem_tEENKUlT_SG_SH_SI_E_clIS7_S7_PlSB_EESF_SV_SG_SH_SI_EUlSV_E0_NS1_11comp_targetILNS1_3genE10ELNS1_11target_archE1201ELNS1_3gpuE5ELNS1_3repE0EEENS1_38merge_mergepath_config_static_selectorELNS0_4arch9wavefront6targetE1EEEvSH_
		.amdhsa_group_segment_fixed_size 0
		.amdhsa_private_segment_fixed_size 0
		.amdhsa_kernarg_size 64
		.amdhsa_user_sgpr_count 6
		.amdhsa_user_sgpr_private_segment_buffer 1
		.amdhsa_user_sgpr_dispatch_ptr 0
		.amdhsa_user_sgpr_queue_ptr 0
		.amdhsa_user_sgpr_kernarg_segment_ptr 1
		.amdhsa_user_sgpr_dispatch_id 0
		.amdhsa_user_sgpr_flat_scratch_init 0
		.amdhsa_user_sgpr_kernarg_preload_length 0
		.amdhsa_user_sgpr_kernarg_preload_offset 0
		.amdhsa_user_sgpr_private_segment_size 0
		.amdhsa_uses_dynamic_stack 0
		.amdhsa_system_sgpr_private_segment_wavefront_offset 0
		.amdhsa_system_sgpr_workgroup_id_x 1
		.amdhsa_system_sgpr_workgroup_id_y 0
		.amdhsa_system_sgpr_workgroup_id_z 0
		.amdhsa_system_sgpr_workgroup_info 0
		.amdhsa_system_vgpr_workitem_id 0
		.amdhsa_next_free_vgpr 1
		.amdhsa_next_free_sgpr 0
		.amdhsa_accum_offset 4
		.amdhsa_reserve_vcc 0
		.amdhsa_reserve_flat_scratch 0
		.amdhsa_float_round_mode_32 0
		.amdhsa_float_round_mode_16_64 0
		.amdhsa_float_denorm_mode_32 3
		.amdhsa_float_denorm_mode_16_64 3
		.amdhsa_dx10_clamp 1
		.amdhsa_ieee_mode 1
		.amdhsa_fp16_overflow 0
		.amdhsa_tg_split 0
		.amdhsa_exception_fp_ieee_invalid_op 0
		.amdhsa_exception_fp_denorm_src 0
		.amdhsa_exception_fp_ieee_div_zero 0
		.amdhsa_exception_fp_ieee_overflow 0
		.amdhsa_exception_fp_ieee_underflow 0
		.amdhsa_exception_fp_ieee_inexact 0
		.amdhsa_exception_int_div_zero 0
	.end_amdhsa_kernel
	.section	.text._ZN7rocprim17ROCPRIM_400000_NS6detail17trampoline_kernelINS0_14default_configENS1_38merge_sort_block_merge_config_selectorIhlEEZZNS1_27merge_sort_block_merge_implIS3_PhN6thrust23THRUST_200600_302600_NS10device_ptrIlEEjNS1_19radix_merge_compareILb0ELb0EhNS0_19identity_decomposerEEEEE10hipError_tT0_T1_T2_jT3_P12ihipStream_tbPNSt15iterator_traitsISG_E10value_typeEPNSM_ISH_E10value_typeEPSI_NS1_7vsmem_tEENKUlT_SG_SH_SI_E_clIS7_S7_PlSB_EESF_SV_SG_SH_SI_EUlSV_E0_NS1_11comp_targetILNS1_3genE10ELNS1_11target_archE1201ELNS1_3gpuE5ELNS1_3repE0EEENS1_38merge_mergepath_config_static_selectorELNS0_4arch9wavefront6targetE1EEEvSH_,"axG",@progbits,_ZN7rocprim17ROCPRIM_400000_NS6detail17trampoline_kernelINS0_14default_configENS1_38merge_sort_block_merge_config_selectorIhlEEZZNS1_27merge_sort_block_merge_implIS3_PhN6thrust23THRUST_200600_302600_NS10device_ptrIlEEjNS1_19radix_merge_compareILb0ELb0EhNS0_19identity_decomposerEEEEE10hipError_tT0_T1_T2_jT3_P12ihipStream_tbPNSt15iterator_traitsISG_E10value_typeEPNSM_ISH_E10value_typeEPSI_NS1_7vsmem_tEENKUlT_SG_SH_SI_E_clIS7_S7_PlSB_EESF_SV_SG_SH_SI_EUlSV_E0_NS1_11comp_targetILNS1_3genE10ELNS1_11target_archE1201ELNS1_3gpuE5ELNS1_3repE0EEENS1_38merge_mergepath_config_static_selectorELNS0_4arch9wavefront6targetE1EEEvSH_,comdat
.Lfunc_end133:
	.size	_ZN7rocprim17ROCPRIM_400000_NS6detail17trampoline_kernelINS0_14default_configENS1_38merge_sort_block_merge_config_selectorIhlEEZZNS1_27merge_sort_block_merge_implIS3_PhN6thrust23THRUST_200600_302600_NS10device_ptrIlEEjNS1_19radix_merge_compareILb0ELb0EhNS0_19identity_decomposerEEEEE10hipError_tT0_T1_T2_jT3_P12ihipStream_tbPNSt15iterator_traitsISG_E10value_typeEPNSM_ISH_E10value_typeEPSI_NS1_7vsmem_tEENKUlT_SG_SH_SI_E_clIS7_S7_PlSB_EESF_SV_SG_SH_SI_EUlSV_E0_NS1_11comp_targetILNS1_3genE10ELNS1_11target_archE1201ELNS1_3gpuE5ELNS1_3repE0EEENS1_38merge_mergepath_config_static_selectorELNS0_4arch9wavefront6targetE1EEEvSH_, .Lfunc_end133-_ZN7rocprim17ROCPRIM_400000_NS6detail17trampoline_kernelINS0_14default_configENS1_38merge_sort_block_merge_config_selectorIhlEEZZNS1_27merge_sort_block_merge_implIS3_PhN6thrust23THRUST_200600_302600_NS10device_ptrIlEEjNS1_19radix_merge_compareILb0ELb0EhNS0_19identity_decomposerEEEEE10hipError_tT0_T1_T2_jT3_P12ihipStream_tbPNSt15iterator_traitsISG_E10value_typeEPNSM_ISH_E10value_typeEPSI_NS1_7vsmem_tEENKUlT_SG_SH_SI_E_clIS7_S7_PlSB_EESF_SV_SG_SH_SI_EUlSV_E0_NS1_11comp_targetILNS1_3genE10ELNS1_11target_archE1201ELNS1_3gpuE5ELNS1_3repE0EEENS1_38merge_mergepath_config_static_selectorELNS0_4arch9wavefront6targetE1EEEvSH_
                                        ; -- End function
	.section	.AMDGPU.csdata,"",@progbits
; Kernel info:
; codeLenInByte = 0
; NumSgprs: 4
; NumVgprs: 0
; NumAgprs: 0
; TotalNumVgprs: 0
; ScratchSize: 0
; MemoryBound: 0
; FloatMode: 240
; IeeeMode: 1
; LDSByteSize: 0 bytes/workgroup (compile time only)
; SGPRBlocks: 0
; VGPRBlocks: 0
; NumSGPRsForWavesPerEU: 4
; NumVGPRsForWavesPerEU: 1
; AccumOffset: 4
; Occupancy: 8
; WaveLimiterHint : 0
; COMPUTE_PGM_RSRC2:SCRATCH_EN: 0
; COMPUTE_PGM_RSRC2:USER_SGPR: 6
; COMPUTE_PGM_RSRC2:TRAP_HANDLER: 0
; COMPUTE_PGM_RSRC2:TGID_X_EN: 1
; COMPUTE_PGM_RSRC2:TGID_Y_EN: 0
; COMPUTE_PGM_RSRC2:TGID_Z_EN: 0
; COMPUTE_PGM_RSRC2:TIDIG_COMP_CNT: 0
; COMPUTE_PGM_RSRC3_GFX90A:ACCUM_OFFSET: 0
; COMPUTE_PGM_RSRC3_GFX90A:TG_SPLIT: 0
	.section	.text._ZN7rocprim17ROCPRIM_400000_NS6detail17trampoline_kernelINS0_14default_configENS1_38merge_sort_block_merge_config_selectorIhlEEZZNS1_27merge_sort_block_merge_implIS3_PhN6thrust23THRUST_200600_302600_NS10device_ptrIlEEjNS1_19radix_merge_compareILb0ELb0EhNS0_19identity_decomposerEEEEE10hipError_tT0_T1_T2_jT3_P12ihipStream_tbPNSt15iterator_traitsISG_E10value_typeEPNSM_ISH_E10value_typeEPSI_NS1_7vsmem_tEENKUlT_SG_SH_SI_E_clIS7_S7_PlSB_EESF_SV_SG_SH_SI_EUlSV_E0_NS1_11comp_targetILNS1_3genE5ELNS1_11target_archE942ELNS1_3gpuE9ELNS1_3repE0EEENS1_38merge_mergepath_config_static_selectorELNS0_4arch9wavefront6targetE1EEEvSH_,"axG",@progbits,_ZN7rocprim17ROCPRIM_400000_NS6detail17trampoline_kernelINS0_14default_configENS1_38merge_sort_block_merge_config_selectorIhlEEZZNS1_27merge_sort_block_merge_implIS3_PhN6thrust23THRUST_200600_302600_NS10device_ptrIlEEjNS1_19radix_merge_compareILb0ELb0EhNS0_19identity_decomposerEEEEE10hipError_tT0_T1_T2_jT3_P12ihipStream_tbPNSt15iterator_traitsISG_E10value_typeEPNSM_ISH_E10value_typeEPSI_NS1_7vsmem_tEENKUlT_SG_SH_SI_E_clIS7_S7_PlSB_EESF_SV_SG_SH_SI_EUlSV_E0_NS1_11comp_targetILNS1_3genE5ELNS1_11target_archE942ELNS1_3gpuE9ELNS1_3repE0EEENS1_38merge_mergepath_config_static_selectorELNS0_4arch9wavefront6targetE1EEEvSH_,comdat
	.protected	_ZN7rocprim17ROCPRIM_400000_NS6detail17trampoline_kernelINS0_14default_configENS1_38merge_sort_block_merge_config_selectorIhlEEZZNS1_27merge_sort_block_merge_implIS3_PhN6thrust23THRUST_200600_302600_NS10device_ptrIlEEjNS1_19radix_merge_compareILb0ELb0EhNS0_19identity_decomposerEEEEE10hipError_tT0_T1_T2_jT3_P12ihipStream_tbPNSt15iterator_traitsISG_E10value_typeEPNSM_ISH_E10value_typeEPSI_NS1_7vsmem_tEENKUlT_SG_SH_SI_E_clIS7_S7_PlSB_EESF_SV_SG_SH_SI_EUlSV_E0_NS1_11comp_targetILNS1_3genE5ELNS1_11target_archE942ELNS1_3gpuE9ELNS1_3repE0EEENS1_38merge_mergepath_config_static_selectorELNS0_4arch9wavefront6targetE1EEEvSH_ ; -- Begin function _ZN7rocprim17ROCPRIM_400000_NS6detail17trampoline_kernelINS0_14default_configENS1_38merge_sort_block_merge_config_selectorIhlEEZZNS1_27merge_sort_block_merge_implIS3_PhN6thrust23THRUST_200600_302600_NS10device_ptrIlEEjNS1_19radix_merge_compareILb0ELb0EhNS0_19identity_decomposerEEEEE10hipError_tT0_T1_T2_jT3_P12ihipStream_tbPNSt15iterator_traitsISG_E10value_typeEPNSM_ISH_E10value_typeEPSI_NS1_7vsmem_tEENKUlT_SG_SH_SI_E_clIS7_S7_PlSB_EESF_SV_SG_SH_SI_EUlSV_E0_NS1_11comp_targetILNS1_3genE5ELNS1_11target_archE942ELNS1_3gpuE9ELNS1_3repE0EEENS1_38merge_mergepath_config_static_selectorELNS0_4arch9wavefront6targetE1EEEvSH_
	.globl	_ZN7rocprim17ROCPRIM_400000_NS6detail17trampoline_kernelINS0_14default_configENS1_38merge_sort_block_merge_config_selectorIhlEEZZNS1_27merge_sort_block_merge_implIS3_PhN6thrust23THRUST_200600_302600_NS10device_ptrIlEEjNS1_19radix_merge_compareILb0ELb0EhNS0_19identity_decomposerEEEEE10hipError_tT0_T1_T2_jT3_P12ihipStream_tbPNSt15iterator_traitsISG_E10value_typeEPNSM_ISH_E10value_typeEPSI_NS1_7vsmem_tEENKUlT_SG_SH_SI_E_clIS7_S7_PlSB_EESF_SV_SG_SH_SI_EUlSV_E0_NS1_11comp_targetILNS1_3genE5ELNS1_11target_archE942ELNS1_3gpuE9ELNS1_3repE0EEENS1_38merge_mergepath_config_static_selectorELNS0_4arch9wavefront6targetE1EEEvSH_
	.p2align	8
	.type	_ZN7rocprim17ROCPRIM_400000_NS6detail17trampoline_kernelINS0_14default_configENS1_38merge_sort_block_merge_config_selectorIhlEEZZNS1_27merge_sort_block_merge_implIS3_PhN6thrust23THRUST_200600_302600_NS10device_ptrIlEEjNS1_19radix_merge_compareILb0ELb0EhNS0_19identity_decomposerEEEEE10hipError_tT0_T1_T2_jT3_P12ihipStream_tbPNSt15iterator_traitsISG_E10value_typeEPNSM_ISH_E10value_typeEPSI_NS1_7vsmem_tEENKUlT_SG_SH_SI_E_clIS7_S7_PlSB_EESF_SV_SG_SH_SI_EUlSV_E0_NS1_11comp_targetILNS1_3genE5ELNS1_11target_archE942ELNS1_3gpuE9ELNS1_3repE0EEENS1_38merge_mergepath_config_static_selectorELNS0_4arch9wavefront6targetE1EEEvSH_,@function
_ZN7rocprim17ROCPRIM_400000_NS6detail17trampoline_kernelINS0_14default_configENS1_38merge_sort_block_merge_config_selectorIhlEEZZNS1_27merge_sort_block_merge_implIS3_PhN6thrust23THRUST_200600_302600_NS10device_ptrIlEEjNS1_19radix_merge_compareILb0ELb0EhNS0_19identity_decomposerEEEEE10hipError_tT0_T1_T2_jT3_P12ihipStream_tbPNSt15iterator_traitsISG_E10value_typeEPNSM_ISH_E10value_typeEPSI_NS1_7vsmem_tEENKUlT_SG_SH_SI_E_clIS7_S7_PlSB_EESF_SV_SG_SH_SI_EUlSV_E0_NS1_11comp_targetILNS1_3genE5ELNS1_11target_archE942ELNS1_3gpuE9ELNS1_3repE0EEENS1_38merge_mergepath_config_static_selectorELNS0_4arch9wavefront6targetE1EEEvSH_: ; @_ZN7rocprim17ROCPRIM_400000_NS6detail17trampoline_kernelINS0_14default_configENS1_38merge_sort_block_merge_config_selectorIhlEEZZNS1_27merge_sort_block_merge_implIS3_PhN6thrust23THRUST_200600_302600_NS10device_ptrIlEEjNS1_19radix_merge_compareILb0ELb0EhNS0_19identity_decomposerEEEEE10hipError_tT0_T1_T2_jT3_P12ihipStream_tbPNSt15iterator_traitsISG_E10value_typeEPNSM_ISH_E10value_typeEPSI_NS1_7vsmem_tEENKUlT_SG_SH_SI_E_clIS7_S7_PlSB_EESF_SV_SG_SH_SI_EUlSV_E0_NS1_11comp_targetILNS1_3genE5ELNS1_11target_archE942ELNS1_3gpuE9ELNS1_3repE0EEENS1_38merge_mergepath_config_static_selectorELNS0_4arch9wavefront6targetE1EEEvSH_
; %bb.0:
	.section	.rodata,"a",@progbits
	.p2align	6, 0x0
	.amdhsa_kernel _ZN7rocprim17ROCPRIM_400000_NS6detail17trampoline_kernelINS0_14default_configENS1_38merge_sort_block_merge_config_selectorIhlEEZZNS1_27merge_sort_block_merge_implIS3_PhN6thrust23THRUST_200600_302600_NS10device_ptrIlEEjNS1_19radix_merge_compareILb0ELb0EhNS0_19identity_decomposerEEEEE10hipError_tT0_T1_T2_jT3_P12ihipStream_tbPNSt15iterator_traitsISG_E10value_typeEPNSM_ISH_E10value_typeEPSI_NS1_7vsmem_tEENKUlT_SG_SH_SI_E_clIS7_S7_PlSB_EESF_SV_SG_SH_SI_EUlSV_E0_NS1_11comp_targetILNS1_3genE5ELNS1_11target_archE942ELNS1_3gpuE9ELNS1_3repE0EEENS1_38merge_mergepath_config_static_selectorELNS0_4arch9wavefront6targetE1EEEvSH_
		.amdhsa_group_segment_fixed_size 0
		.amdhsa_private_segment_fixed_size 0
		.amdhsa_kernarg_size 64
		.amdhsa_user_sgpr_count 6
		.amdhsa_user_sgpr_private_segment_buffer 1
		.amdhsa_user_sgpr_dispatch_ptr 0
		.amdhsa_user_sgpr_queue_ptr 0
		.amdhsa_user_sgpr_kernarg_segment_ptr 1
		.amdhsa_user_sgpr_dispatch_id 0
		.amdhsa_user_sgpr_flat_scratch_init 0
		.amdhsa_user_sgpr_kernarg_preload_length 0
		.amdhsa_user_sgpr_kernarg_preload_offset 0
		.amdhsa_user_sgpr_private_segment_size 0
		.amdhsa_uses_dynamic_stack 0
		.amdhsa_system_sgpr_private_segment_wavefront_offset 0
		.amdhsa_system_sgpr_workgroup_id_x 1
		.amdhsa_system_sgpr_workgroup_id_y 0
		.amdhsa_system_sgpr_workgroup_id_z 0
		.amdhsa_system_sgpr_workgroup_info 0
		.amdhsa_system_vgpr_workitem_id 0
		.amdhsa_next_free_vgpr 1
		.amdhsa_next_free_sgpr 0
		.amdhsa_accum_offset 4
		.amdhsa_reserve_vcc 0
		.amdhsa_reserve_flat_scratch 0
		.amdhsa_float_round_mode_32 0
		.amdhsa_float_round_mode_16_64 0
		.amdhsa_float_denorm_mode_32 3
		.amdhsa_float_denorm_mode_16_64 3
		.amdhsa_dx10_clamp 1
		.amdhsa_ieee_mode 1
		.amdhsa_fp16_overflow 0
		.amdhsa_tg_split 0
		.amdhsa_exception_fp_ieee_invalid_op 0
		.amdhsa_exception_fp_denorm_src 0
		.amdhsa_exception_fp_ieee_div_zero 0
		.amdhsa_exception_fp_ieee_overflow 0
		.amdhsa_exception_fp_ieee_underflow 0
		.amdhsa_exception_fp_ieee_inexact 0
		.amdhsa_exception_int_div_zero 0
	.end_amdhsa_kernel
	.section	.text._ZN7rocprim17ROCPRIM_400000_NS6detail17trampoline_kernelINS0_14default_configENS1_38merge_sort_block_merge_config_selectorIhlEEZZNS1_27merge_sort_block_merge_implIS3_PhN6thrust23THRUST_200600_302600_NS10device_ptrIlEEjNS1_19radix_merge_compareILb0ELb0EhNS0_19identity_decomposerEEEEE10hipError_tT0_T1_T2_jT3_P12ihipStream_tbPNSt15iterator_traitsISG_E10value_typeEPNSM_ISH_E10value_typeEPSI_NS1_7vsmem_tEENKUlT_SG_SH_SI_E_clIS7_S7_PlSB_EESF_SV_SG_SH_SI_EUlSV_E0_NS1_11comp_targetILNS1_3genE5ELNS1_11target_archE942ELNS1_3gpuE9ELNS1_3repE0EEENS1_38merge_mergepath_config_static_selectorELNS0_4arch9wavefront6targetE1EEEvSH_,"axG",@progbits,_ZN7rocprim17ROCPRIM_400000_NS6detail17trampoline_kernelINS0_14default_configENS1_38merge_sort_block_merge_config_selectorIhlEEZZNS1_27merge_sort_block_merge_implIS3_PhN6thrust23THRUST_200600_302600_NS10device_ptrIlEEjNS1_19radix_merge_compareILb0ELb0EhNS0_19identity_decomposerEEEEE10hipError_tT0_T1_T2_jT3_P12ihipStream_tbPNSt15iterator_traitsISG_E10value_typeEPNSM_ISH_E10value_typeEPSI_NS1_7vsmem_tEENKUlT_SG_SH_SI_E_clIS7_S7_PlSB_EESF_SV_SG_SH_SI_EUlSV_E0_NS1_11comp_targetILNS1_3genE5ELNS1_11target_archE942ELNS1_3gpuE9ELNS1_3repE0EEENS1_38merge_mergepath_config_static_selectorELNS0_4arch9wavefront6targetE1EEEvSH_,comdat
.Lfunc_end134:
	.size	_ZN7rocprim17ROCPRIM_400000_NS6detail17trampoline_kernelINS0_14default_configENS1_38merge_sort_block_merge_config_selectorIhlEEZZNS1_27merge_sort_block_merge_implIS3_PhN6thrust23THRUST_200600_302600_NS10device_ptrIlEEjNS1_19radix_merge_compareILb0ELb0EhNS0_19identity_decomposerEEEEE10hipError_tT0_T1_T2_jT3_P12ihipStream_tbPNSt15iterator_traitsISG_E10value_typeEPNSM_ISH_E10value_typeEPSI_NS1_7vsmem_tEENKUlT_SG_SH_SI_E_clIS7_S7_PlSB_EESF_SV_SG_SH_SI_EUlSV_E0_NS1_11comp_targetILNS1_3genE5ELNS1_11target_archE942ELNS1_3gpuE9ELNS1_3repE0EEENS1_38merge_mergepath_config_static_selectorELNS0_4arch9wavefront6targetE1EEEvSH_, .Lfunc_end134-_ZN7rocprim17ROCPRIM_400000_NS6detail17trampoline_kernelINS0_14default_configENS1_38merge_sort_block_merge_config_selectorIhlEEZZNS1_27merge_sort_block_merge_implIS3_PhN6thrust23THRUST_200600_302600_NS10device_ptrIlEEjNS1_19radix_merge_compareILb0ELb0EhNS0_19identity_decomposerEEEEE10hipError_tT0_T1_T2_jT3_P12ihipStream_tbPNSt15iterator_traitsISG_E10value_typeEPNSM_ISH_E10value_typeEPSI_NS1_7vsmem_tEENKUlT_SG_SH_SI_E_clIS7_S7_PlSB_EESF_SV_SG_SH_SI_EUlSV_E0_NS1_11comp_targetILNS1_3genE5ELNS1_11target_archE942ELNS1_3gpuE9ELNS1_3repE0EEENS1_38merge_mergepath_config_static_selectorELNS0_4arch9wavefront6targetE1EEEvSH_
                                        ; -- End function
	.section	.AMDGPU.csdata,"",@progbits
; Kernel info:
; codeLenInByte = 0
; NumSgprs: 4
; NumVgprs: 0
; NumAgprs: 0
; TotalNumVgprs: 0
; ScratchSize: 0
; MemoryBound: 0
; FloatMode: 240
; IeeeMode: 1
; LDSByteSize: 0 bytes/workgroup (compile time only)
; SGPRBlocks: 0
; VGPRBlocks: 0
; NumSGPRsForWavesPerEU: 4
; NumVGPRsForWavesPerEU: 1
; AccumOffset: 4
; Occupancy: 8
; WaveLimiterHint : 0
; COMPUTE_PGM_RSRC2:SCRATCH_EN: 0
; COMPUTE_PGM_RSRC2:USER_SGPR: 6
; COMPUTE_PGM_RSRC2:TRAP_HANDLER: 0
; COMPUTE_PGM_RSRC2:TGID_X_EN: 1
; COMPUTE_PGM_RSRC2:TGID_Y_EN: 0
; COMPUTE_PGM_RSRC2:TGID_Z_EN: 0
; COMPUTE_PGM_RSRC2:TIDIG_COMP_CNT: 0
; COMPUTE_PGM_RSRC3_GFX90A:ACCUM_OFFSET: 0
; COMPUTE_PGM_RSRC3_GFX90A:TG_SPLIT: 0
	.section	.text._ZN7rocprim17ROCPRIM_400000_NS6detail17trampoline_kernelINS0_14default_configENS1_38merge_sort_block_merge_config_selectorIhlEEZZNS1_27merge_sort_block_merge_implIS3_PhN6thrust23THRUST_200600_302600_NS10device_ptrIlEEjNS1_19radix_merge_compareILb0ELb0EhNS0_19identity_decomposerEEEEE10hipError_tT0_T1_T2_jT3_P12ihipStream_tbPNSt15iterator_traitsISG_E10value_typeEPNSM_ISH_E10value_typeEPSI_NS1_7vsmem_tEENKUlT_SG_SH_SI_E_clIS7_S7_PlSB_EESF_SV_SG_SH_SI_EUlSV_E0_NS1_11comp_targetILNS1_3genE4ELNS1_11target_archE910ELNS1_3gpuE8ELNS1_3repE0EEENS1_38merge_mergepath_config_static_selectorELNS0_4arch9wavefront6targetE1EEEvSH_,"axG",@progbits,_ZN7rocprim17ROCPRIM_400000_NS6detail17trampoline_kernelINS0_14default_configENS1_38merge_sort_block_merge_config_selectorIhlEEZZNS1_27merge_sort_block_merge_implIS3_PhN6thrust23THRUST_200600_302600_NS10device_ptrIlEEjNS1_19radix_merge_compareILb0ELb0EhNS0_19identity_decomposerEEEEE10hipError_tT0_T1_T2_jT3_P12ihipStream_tbPNSt15iterator_traitsISG_E10value_typeEPNSM_ISH_E10value_typeEPSI_NS1_7vsmem_tEENKUlT_SG_SH_SI_E_clIS7_S7_PlSB_EESF_SV_SG_SH_SI_EUlSV_E0_NS1_11comp_targetILNS1_3genE4ELNS1_11target_archE910ELNS1_3gpuE8ELNS1_3repE0EEENS1_38merge_mergepath_config_static_selectorELNS0_4arch9wavefront6targetE1EEEvSH_,comdat
	.protected	_ZN7rocprim17ROCPRIM_400000_NS6detail17trampoline_kernelINS0_14default_configENS1_38merge_sort_block_merge_config_selectorIhlEEZZNS1_27merge_sort_block_merge_implIS3_PhN6thrust23THRUST_200600_302600_NS10device_ptrIlEEjNS1_19radix_merge_compareILb0ELb0EhNS0_19identity_decomposerEEEEE10hipError_tT0_T1_T2_jT3_P12ihipStream_tbPNSt15iterator_traitsISG_E10value_typeEPNSM_ISH_E10value_typeEPSI_NS1_7vsmem_tEENKUlT_SG_SH_SI_E_clIS7_S7_PlSB_EESF_SV_SG_SH_SI_EUlSV_E0_NS1_11comp_targetILNS1_3genE4ELNS1_11target_archE910ELNS1_3gpuE8ELNS1_3repE0EEENS1_38merge_mergepath_config_static_selectorELNS0_4arch9wavefront6targetE1EEEvSH_ ; -- Begin function _ZN7rocprim17ROCPRIM_400000_NS6detail17trampoline_kernelINS0_14default_configENS1_38merge_sort_block_merge_config_selectorIhlEEZZNS1_27merge_sort_block_merge_implIS3_PhN6thrust23THRUST_200600_302600_NS10device_ptrIlEEjNS1_19radix_merge_compareILb0ELb0EhNS0_19identity_decomposerEEEEE10hipError_tT0_T1_T2_jT3_P12ihipStream_tbPNSt15iterator_traitsISG_E10value_typeEPNSM_ISH_E10value_typeEPSI_NS1_7vsmem_tEENKUlT_SG_SH_SI_E_clIS7_S7_PlSB_EESF_SV_SG_SH_SI_EUlSV_E0_NS1_11comp_targetILNS1_3genE4ELNS1_11target_archE910ELNS1_3gpuE8ELNS1_3repE0EEENS1_38merge_mergepath_config_static_selectorELNS0_4arch9wavefront6targetE1EEEvSH_
	.globl	_ZN7rocprim17ROCPRIM_400000_NS6detail17trampoline_kernelINS0_14default_configENS1_38merge_sort_block_merge_config_selectorIhlEEZZNS1_27merge_sort_block_merge_implIS3_PhN6thrust23THRUST_200600_302600_NS10device_ptrIlEEjNS1_19radix_merge_compareILb0ELb0EhNS0_19identity_decomposerEEEEE10hipError_tT0_T1_T2_jT3_P12ihipStream_tbPNSt15iterator_traitsISG_E10value_typeEPNSM_ISH_E10value_typeEPSI_NS1_7vsmem_tEENKUlT_SG_SH_SI_E_clIS7_S7_PlSB_EESF_SV_SG_SH_SI_EUlSV_E0_NS1_11comp_targetILNS1_3genE4ELNS1_11target_archE910ELNS1_3gpuE8ELNS1_3repE0EEENS1_38merge_mergepath_config_static_selectorELNS0_4arch9wavefront6targetE1EEEvSH_
	.p2align	8
	.type	_ZN7rocprim17ROCPRIM_400000_NS6detail17trampoline_kernelINS0_14default_configENS1_38merge_sort_block_merge_config_selectorIhlEEZZNS1_27merge_sort_block_merge_implIS3_PhN6thrust23THRUST_200600_302600_NS10device_ptrIlEEjNS1_19radix_merge_compareILb0ELb0EhNS0_19identity_decomposerEEEEE10hipError_tT0_T1_T2_jT3_P12ihipStream_tbPNSt15iterator_traitsISG_E10value_typeEPNSM_ISH_E10value_typeEPSI_NS1_7vsmem_tEENKUlT_SG_SH_SI_E_clIS7_S7_PlSB_EESF_SV_SG_SH_SI_EUlSV_E0_NS1_11comp_targetILNS1_3genE4ELNS1_11target_archE910ELNS1_3gpuE8ELNS1_3repE0EEENS1_38merge_mergepath_config_static_selectorELNS0_4arch9wavefront6targetE1EEEvSH_,@function
_ZN7rocprim17ROCPRIM_400000_NS6detail17trampoline_kernelINS0_14default_configENS1_38merge_sort_block_merge_config_selectorIhlEEZZNS1_27merge_sort_block_merge_implIS3_PhN6thrust23THRUST_200600_302600_NS10device_ptrIlEEjNS1_19radix_merge_compareILb0ELb0EhNS0_19identity_decomposerEEEEE10hipError_tT0_T1_T2_jT3_P12ihipStream_tbPNSt15iterator_traitsISG_E10value_typeEPNSM_ISH_E10value_typeEPSI_NS1_7vsmem_tEENKUlT_SG_SH_SI_E_clIS7_S7_PlSB_EESF_SV_SG_SH_SI_EUlSV_E0_NS1_11comp_targetILNS1_3genE4ELNS1_11target_archE910ELNS1_3gpuE8ELNS1_3repE0EEENS1_38merge_mergepath_config_static_selectorELNS0_4arch9wavefront6targetE1EEEvSH_: ; @_ZN7rocprim17ROCPRIM_400000_NS6detail17trampoline_kernelINS0_14default_configENS1_38merge_sort_block_merge_config_selectorIhlEEZZNS1_27merge_sort_block_merge_implIS3_PhN6thrust23THRUST_200600_302600_NS10device_ptrIlEEjNS1_19radix_merge_compareILb0ELb0EhNS0_19identity_decomposerEEEEE10hipError_tT0_T1_T2_jT3_P12ihipStream_tbPNSt15iterator_traitsISG_E10value_typeEPNSM_ISH_E10value_typeEPSI_NS1_7vsmem_tEENKUlT_SG_SH_SI_E_clIS7_S7_PlSB_EESF_SV_SG_SH_SI_EUlSV_E0_NS1_11comp_targetILNS1_3genE4ELNS1_11target_archE910ELNS1_3gpuE8ELNS1_3repE0EEENS1_38merge_mergepath_config_static_selectorELNS0_4arch9wavefront6targetE1EEEvSH_
; %bb.0:
	s_load_dwordx2 s[24:25], s[4:5], 0x40
	s_load_dword s0, s[4:5], 0x30
	s_add_u32 s22, s4, 64
	s_addc_u32 s23, s5, 0
	s_waitcnt lgkmcnt(0)
	s_mul_i32 s1, s25, s8
	s_add_i32 s1, s1, s7
	s_mul_i32 s1, s1, s24
	s_add_i32 s20, s1, s6
	s_cmp_ge_u32 s20, s0
	s_cbranch_scc1 .LBB135_53
; %bb.1:
	s_load_dwordx8 s[8:15], s[4:5], 0x10
	s_load_dwordx2 s[30:31], s[4:5], 0x8
	s_load_dwordx2 s[0:1], s[4:5], 0x38
	s_mov_b32 s21, 0
	v_mov_b32_e32 v1, 0
	s_waitcnt lgkmcnt(0)
	s_lshr_b32 s7, s14, 10
	s_cmp_lg_u32 s20, s7
	s_cselect_b64 s[18:19], -1, 0
	s_lshl_b64 s[2:3], s[20:21], 2
	s_add_u32 s0, s0, s2
	s_addc_u32 s1, s1, s3
	s_lshr_b32 s2, s15, 9
	s_and_b32 s2, s2, 0x7ffffe
	s_load_dwordx2 s[0:1], s[0:1], 0x0
	s_sub_i32 s3, 0, s2
	s_and_b32 s2, s20, s3
	s_lshl_b32 s4, s2, 10
	s_lshl_b32 s16, s20, 10
	;; [unrolled: 1-line block ×3, first 2 shown]
	s_sub_i32 s5, s16, s4
	s_add_i32 s17, s2, s15
	s_add_i32 s5, s17, s5
	s_waitcnt lgkmcnt(0)
	s_sub_i32 s2, s5, s0
	s_sub_i32 s5, s5, s1
	;; [unrolled: 1-line block ×3, first 2 shown]
	s_min_u32 s2, s14, s2
	s_addk_i32 s5, 0x400
	s_or_b32 s3, s20, s3
	s_min_u32 s17, s14, s4
	s_add_i32 s4, s4, s15
	s_cmp_eq_u32 s3, -1
	s_cselect_b32 s3, s4, s5
	s_cselect_b32 s1, s17, s1
	s_min_u32 s17, s3, s14
	s_sub_i32 s15, s1, s0
	s_add_u32 s26, s30, s0
	s_addc_u32 s28, s31, 0
	s_add_u32 s25, s30, s2
	s_addc_u32 s27, s31, 0
	s_cmp_lt_u32 s6, s24
	s_cselect_b32 s1, 12, 18
	global_load_dword v2, v1, s[22:23] offset:14
	s_add_u32 s4, s22, s1
	s_addc_u32 s5, s23, 0
	global_load_ushort v1, v1, s[4:5]
	s_mov_b32 s1, s21
	s_mov_b32 s3, s21
	s_cmp_eq_u32 s20, s7
	s_waitcnt vmcnt(1)
	v_lshrrev_b32_e32 v3, 16, v2
	v_and_b32_e32 v2, 0xffff, v2
	v_mul_lo_u32 v2, v2, v3
	s_waitcnt vmcnt(0)
	v_mul_lo_u32 v17, v2, v1
	v_add_u32_e32 v4, v17, v0
	v_add_u32_e32 v2, v4, v17
	s_cbranch_scc1 .LBB135_3
; %bb.2:
	v_mov_b32_e32 v1, s28
	v_add_co_u32_e32 v3, vcc, s26, v0
	v_addc_co_u32_e32 v1, vcc, 0, v1, vcc
	v_subrev_u32_e32 v5, s15, v0
	v_mov_b32_e32 v6, s27
	v_add_co_u32_e32 v5, vcc, s25, v5
	v_addc_co_u32_e32 v6, vcc, 0, v6, vcc
	v_cmp_gt_u32_e32 vcc, s15, v0
	v_cndmask_b32_e32 v7, v6, v1, vcc
	v_cndmask_b32_e32 v6, v5, v3, vcc
	v_mov_b32_e32 v1, s28
	v_add_co_u32_e32 v3, vcc, s26, v4
	v_addc_co_u32_e32 v1, vcc, 0, v1, vcc
	v_subrev_u32_e32 v5, s15, v4
	v_mov_b32_e32 v8, s27
	v_add_co_u32_e32 v5, vcc, s25, v5
	v_addc_co_u32_e32 v8, vcc, 0, v8, vcc
	v_cmp_gt_u32_e32 vcc, s15, v4
	v_cndmask_b32_e32 v9, v8, v1, vcc
	v_cndmask_b32_e32 v8, v5, v3, vcc
	;; [unrolled: 10-line block ×3, first 2 shown]
	global_load_ubyte v1, v[6:7], off
	global_load_ubyte v15, v[8:9], off
	;; [unrolled: 1-line block ×3, first 2 shown]
	v_add_u32_e32 v3, v2, v17
	s_mov_b64 s[4:5], -1
	s_sub_i32 s17, s17, s2
	s_cbranch_execz .LBB135_4
	s_branch .LBB135_11
.LBB135_3:
	s_mov_b64 s[4:5], 0
                                        ; implicit-def: $vgpr1
                                        ; implicit-def: $vgpr15
                                        ; implicit-def: $vgpr16
                                        ; implicit-def: $vgpr3
	s_sub_i32 s17, s17, s2
.LBB135_4:
	s_add_i32 s6, s17, s15
	v_cmp_gt_u32_e32 vcc, s6, v0
                                        ; implicit-def: $vgpr1
	s_and_saveexec_b64 s[4:5], vcc
	s_cbranch_execz .LBB135_6
; %bb.5:
	s_waitcnt vmcnt(2)
	v_mov_b32_e32 v1, s28
	v_add_co_u32_e32 v3, vcc, s26, v0
	v_addc_co_u32_e32 v1, vcc, 0, v1, vcc
	v_subrev_u32_e32 v5, s15, v0
	v_mov_b32_e32 v6, s27
	v_add_co_u32_e32 v5, vcc, s25, v5
	v_addc_co_u32_e32 v6, vcc, 0, v6, vcc
	v_cmp_gt_u32_e32 vcc, s15, v0
	v_cndmask_b32_e32 v7, v6, v1, vcc
	v_cndmask_b32_e32 v6, v5, v3, vcc
	global_load_ubyte v1, v[6:7], off
.LBB135_6:
	s_or_b64 exec, exec, s[4:5]
	v_cmp_gt_u32_e32 vcc, s6, v4
                                        ; implicit-def: $vgpr15
	s_and_saveexec_b64 s[4:5], vcc
	s_cbranch_execz .LBB135_8
; %bb.7:
	v_mov_b32_e32 v3, s28
	v_add_co_u32_e32 v5, vcc, s26, v4
	v_addc_co_u32_e32 v3, vcc, 0, v3, vcc
	v_subrev_u32_e32 v6, s15, v4
	v_mov_b32_e32 v7, s27
	v_add_co_u32_e32 v6, vcc, s25, v6
	v_addc_co_u32_e32 v7, vcc, 0, v7, vcc
	v_cmp_gt_u32_e32 vcc, s15, v4
	v_cndmask_b32_e32 v7, v7, v3, vcc
	v_cndmask_b32_e32 v6, v6, v5, vcc
	global_load_ubyte v15, v[6:7], off
.LBB135_8:
	s_or_b64 exec, exec, s[4:5]
	v_cmp_gt_u32_e32 vcc, s6, v2
                                        ; implicit-def: $vgpr16
	s_and_saveexec_b64 s[4:5], vcc
	s_cbranch_execz .LBB135_10
; %bb.9:
	v_mov_b32_e32 v3, s28
	v_add_co_u32_e32 v5, vcc, s26, v2
	v_addc_co_u32_e32 v3, vcc, 0, v3, vcc
	v_subrev_u32_e32 v6, s15, v2
	v_mov_b32_e32 v7, s27
	v_add_co_u32_e32 v6, vcc, s25, v6
	v_addc_co_u32_e32 v7, vcc, 0, v7, vcc
	v_cmp_gt_u32_e32 vcc, s15, v2
	v_cndmask_b32_e32 v7, v7, v3, vcc
	v_cndmask_b32_e32 v6, v6, v5, vcc
	global_load_ubyte v16, v[6:7], off
.LBB135_10:
	s_or_b64 exec, exec, s[4:5]
	v_add_u32_e32 v3, v2, v17
	v_cmp_gt_u32_e64 s[4:5], s6, v3
.LBB135_11:
                                        ; implicit-def: $vgpr18
	s_and_saveexec_b64 s[6:7], s[4:5]
	s_cbranch_execz .LBB135_13
; %bb.12:
	v_mov_b32_e32 v5, s28
	v_add_co_u32_e32 v6, vcc, s26, v3
	v_addc_co_u32_e32 v5, vcc, 0, v5, vcc
	v_subrev_u32_e32 v7, s15, v3
	v_mov_b32_e32 v8, s27
	v_add_co_u32_e32 v9, vcc, s25, v7
	v_addc_co_u32_e32 v7, vcc, 0, v8, vcc
	v_cmp_gt_u32_e32 vcc, s15, v3
	v_cndmask_b32_e32 v7, v7, v5, vcc
	v_cndmask_b32_e32 v6, v9, v6, vcc
	global_load_ubyte v18, v[6:7], off
.LBB135_13:
	s_or_b64 exec, exec, s[6:7]
	s_lshl_b64 s[0:1], s[0:1], 3
	s_add_u32 s6, s10, s0
	s_addc_u32 s7, s11, s1
	s_lshl_b64 s[0:1], s[2:3], 3
	s_add_u32 s4, s10, s0
	s_addc_u32 s5, s11, s1
	s_andn2_b64 vcc, exec, s[18:19]
	v_lshlrev_b32_e32 v14, 3, v0
	s_waitcnt vmcnt(0)
	ds_write_b8 v0, v1
	ds_write_b8 v0, v15 offset:256
	ds_write_b8 v0, v16 offset:512
	;; [unrolled: 1-line block ×3, first 2 shown]
	s_cbranch_vccnz .LBB135_15
; %bb.14:
	v_mov_b32_e32 v13, 0
	v_mov_b32_e32 v3, s7
	v_add_co_u32_e32 v5, vcc, s6, v14
	v_subrev_u32_e32 v12, s15, v0
	v_addc_co_u32_e32 v3, vcc, 0, v3, vcc
	v_lshlrev_b64 v[6:7], 3, v[12:13]
	v_mov_b32_e32 v8, s5
	v_add_co_u32_e32 v6, vcc, s4, v6
	v_addc_co_u32_e32 v7, vcc, v8, v7, vcc
	v_cmp_gt_u32_e32 vcc, s15, v0
	v_cndmask_b32_e32 v6, v6, v5, vcc
	v_mov_b32_e32 v5, v13
	v_lshlrev_b64 v[8:9], 3, v[4:5]
	v_cndmask_b32_e32 v7, v7, v3, vcc
	v_mov_b32_e32 v3, s7
	v_add_co_u32_e32 v5, vcc, s6, v8
	v_subrev_u32_e32 v12, s15, v4
	v_addc_co_u32_e32 v3, vcc, v3, v9, vcc
	v_lshlrev_b64 v[8:9], 3, v[12:13]
	v_mov_b32_e32 v10, s5
	v_add_co_u32_e32 v8, vcc, s4, v8
	v_addc_co_u32_e32 v9, vcc, v10, v9, vcc
	v_cmp_gt_u32_e32 vcc, s15, v4
	v_cndmask_b32_e32 v9, v9, v3, vcc
	v_mov_b32_e32 v3, v13
	v_lshlrev_b64 v[10:11], 3, v[2:3]
	v_cndmask_b32_e32 v8, v8, v5, vcc
	v_mov_b32_e32 v3, s7
	v_add_co_u32_e32 v5, vcc, s6, v10
	v_subrev_u32_e32 v12, s15, v2
	v_addc_co_u32_e32 v3, vcc, v3, v11, vcc
	v_lshlrev_b64 v[10:11], 3, v[12:13]
	v_mov_b32_e32 v12, s5
	v_add_co_u32_e32 v10, vcc, s4, v10
	v_addc_co_u32_e32 v11, vcc, v12, v11, vcc
	v_add_u32_e32 v12, v2, v17
	v_cmp_gt_u32_e32 vcc, s15, v2
	v_lshlrev_b64 v[20:21], 3, v[12:13]
	v_cndmask_b32_e32 v11, v11, v3, vcc
	v_cndmask_b32_e32 v10, v10, v5, vcc
	v_mov_b32_e32 v3, s7
	v_add_co_u32_e32 v5, vcc, s6, v20
	v_addc_co_u32_e32 v3, vcc, v3, v21, vcc
	v_cmp_gt_u32_e32 vcc, s15, v12
	v_subrev_u32_e32 v12, s15, v12
	v_lshlrev_b64 v[12:13], 3, v[12:13]
	v_mov_b32_e32 v19, s5
	v_add_co_u32_e64 v12, s[0:1], s4, v12
	v_addc_co_u32_e64 v13, s[0:1], v19, v13, s[0:1]
	v_cndmask_b32_e32 v13, v13, v3, vcc
	v_cndmask_b32_e32 v12, v12, v5, vcc
	global_load_dwordx2 v[6:7], v[6:7], off
	s_add_i32 s10, s17, s15
	global_load_dwordx2 v[8:9], v[8:9], off
	s_nop 0
	global_load_dwordx2 v[10:11], v[10:11], off
	s_nop 0
	global_load_dwordx2 v[12:13], v[12:13], off
	s_cbranch_execz .LBB135_16
	s_branch .LBB135_25
.LBB135_15:
                                        ; implicit-def: $vgpr6_vgpr7
                                        ; implicit-def: $vgpr8_vgpr9
                                        ; implicit-def: $vgpr10_vgpr11
                                        ; implicit-def: $vgpr12_vgpr13
                                        ; implicit-def: $sgpr10
.LBB135_16:
	s_add_i32 s10, s17, s15
	v_cmp_gt_u32_e32 vcc, s10, v0
                                        ; implicit-def: $vgpr6_vgpr7
	s_and_saveexec_b64 s[0:1], vcc
	s_cbranch_execz .LBB135_18
; %bb.17:
	s_waitcnt vmcnt(3)
	v_mov_b32_e32 v7, 0
	v_mov_b32_e32 v3, s7
	v_add_co_u32_e32 v5, vcc, s6, v14
	v_subrev_u32_e32 v6, s15, v0
	v_addc_co_u32_e32 v3, vcc, 0, v3, vcc
	v_lshlrev_b64 v[6:7], 3, v[6:7]
	s_waitcnt vmcnt(2)
	v_mov_b32_e32 v8, s5
	v_add_co_u32_e32 v6, vcc, s4, v6
	v_addc_co_u32_e32 v7, vcc, v8, v7, vcc
	v_cmp_gt_u32_e32 vcc, s15, v0
	v_cndmask_b32_e32 v7, v7, v3, vcc
	v_cndmask_b32_e32 v6, v6, v5, vcc
	global_load_dwordx2 v[6:7], v[6:7], off
.LBB135_18:
	s_or_b64 exec, exec, s[0:1]
	v_cmp_gt_u32_e32 vcc, s10, v4
                                        ; implicit-def: $vgpr8_vgpr9
	s_and_saveexec_b64 s[2:3], vcc
	s_cbranch_execz .LBB135_20
; %bb.19:
	v_mov_b32_e32 v5, 0
	s_waitcnt vmcnt(2)
	v_lshlrev_b64 v[8:9], 3, v[4:5]
	v_mov_b32_e32 v3, s7
	v_add_co_u32_e32 v8, vcc, s6, v8
	v_addc_co_u32_e32 v3, vcc, v3, v9, vcc
	v_cmp_gt_u32_e32 vcc, s15, v4
	v_subrev_u32_e32 v4, s15, v4
	v_lshlrev_b64 v[4:5], 3, v[4:5]
	v_mov_b32_e32 v9, s5
	v_add_co_u32_e64 v4, s[0:1], s4, v4
	v_addc_co_u32_e64 v5, s[0:1], v9, v5, s[0:1]
	v_cndmask_b32_e32 v5, v5, v3, vcc
	v_cndmask_b32_e32 v4, v4, v8, vcc
	global_load_dwordx2 v[8:9], v[4:5], off
.LBB135_20:
	s_or_b64 exec, exec, s[2:3]
	v_cmp_gt_u32_e32 vcc, s10, v2
                                        ; implicit-def: $vgpr10_vgpr11
	s_and_saveexec_b64 s[0:1], vcc
	s_cbranch_execz .LBB135_22
; %bb.21:
	v_mov_b32_e32 v3, 0
	v_lshlrev_b64 v[4:5], 3, v[2:3]
	s_waitcnt vmcnt(1)
	v_mov_b32_e32 v10, s7
	v_add_co_u32_e32 v11, vcc, s6, v4
	v_addc_co_u32_e32 v10, vcc, v10, v5, vcc
	v_subrev_u32_e32 v4, s15, v2
	v_mov_b32_e32 v5, v3
	v_lshlrev_b64 v[4:5], 3, v[4:5]
	v_mov_b32_e32 v3, s5
	v_add_co_u32_e32 v4, vcc, s4, v4
	v_addc_co_u32_e32 v3, vcc, v3, v5, vcc
	v_cmp_gt_u32_e32 vcc, s15, v2
	v_cndmask_b32_e32 v5, v3, v10, vcc
	v_cndmask_b32_e32 v4, v4, v11, vcc
	global_load_dwordx2 v[10:11], v[4:5], off
.LBB135_22:
	s_or_b64 exec, exec, s[0:1]
	v_add_u32_e32 v2, v2, v17
	v_cmp_gt_u32_e32 vcc, s10, v2
                                        ; implicit-def: $vgpr12_vgpr13
	s_and_saveexec_b64 s[2:3], vcc
	s_cbranch_execz .LBB135_24
; %bb.23:
	v_mov_b32_e32 v3, 0
	v_lshlrev_b64 v[4:5], 3, v[2:3]
	s_waitcnt vmcnt(0)
	v_mov_b32_e32 v12, s7
	v_add_co_u32_e32 v4, vcc, s6, v4
	v_addc_co_u32_e32 v5, vcc, v12, v5, vcc
	v_cmp_gt_u32_e32 vcc, s15, v2
	v_subrev_u32_e32 v2, s15, v2
	v_lshlrev_b64 v[2:3], 3, v[2:3]
	v_mov_b32_e32 v12, s5
	v_add_co_u32_e64 v2, s[0:1], s4, v2
	v_addc_co_u32_e64 v3, s[0:1], v12, v3, s[0:1]
	v_cndmask_b32_e32 v3, v3, v5, vcc
	v_cndmask_b32_e32 v2, v2, v4, vcc
	global_load_dwordx2 v[12:13], v[2:3], off
.LBB135_24:
	s_or_b64 exec, exec, s[2:3]
.LBB135_25:
	v_lshlrev_b32_e32 v19, 2, v0
	v_min_u32_e32 v3, s10, v19
	v_sub_u32_e64 v2, v3, s17 clamp
	v_min_u32_e32 v4, s15, v3
	v_cmp_lt_u32_e32 vcc, v2, v4
	s_waitcnt lgkmcnt(0)
	s_barrier
	s_and_saveexec_b64 s[0:1], vcc
	s_cbranch_execz .LBB135_29
; %bb.26:
	v_add_u32_e32 v5, s15, v3
	s_mov_b64 s[2:3], 0
.LBB135_27:                             ; =>This Inner Loop Header: Depth=1
	v_add_u32_e32 v17, v4, v2
	v_lshrrev_b32_e32 v17, 1, v17
	v_xad_u32 v20, v17, -1, v5
	ds_read_u8 v21, v17
	ds_read_u8 v20, v20
	v_add_u32_e32 v22, 1, v17
	s_waitcnt lgkmcnt(0)
	v_cmp_gt_u16_e32 vcc, v21, v20
	v_cndmask_b32_e32 v4, v4, v17, vcc
	v_cndmask_b32_e32 v2, v22, v2, vcc
	v_cmp_ge_u32_e32 vcc, v2, v4
	s_or_b64 s[2:3], vcc, s[2:3]
	s_andn2_b64 exec, exec, s[2:3]
	s_cbranch_execnz .LBB135_27
; %bb.28:
	s_or_b64 exec, exec, s[2:3]
.LBB135_29:
	s_or_b64 exec, exec, s[0:1]
	v_sub_u32_e32 v3, v3, v2
	v_add_u32_e32 v17, s15, v3
	v_cmp_ge_u32_e32 vcc, s15, v2
	v_cmp_ge_u32_e64 s[0:1], s10, v17
	s_or_b64 s[0:1], vcc, s[0:1]
                                        ; implicit-def: $vgpr20
                                        ; implicit-def: $vgpr5
                                        ; implicit-def: $vgpr4
                                        ; implicit-def: $vgpr3
	s_and_saveexec_b64 s[6:7], s[0:1]
	s_cbranch_execz .LBB135_35
; %bb.30:
	v_cmp_gt_u32_e32 vcc, s15, v2
                                        ; implicit-def: $vgpr1
	s_and_saveexec_b64 s[0:1], vcc
	s_cbranch_execz .LBB135_32
; %bb.31:
	ds_read_u8 v1, v2
.LBB135_32:
	s_or_b64 exec, exec, s[0:1]
	v_cmp_le_u32_e64 s[0:1], s10, v17
	v_cmp_gt_u32_e64 s[2:3], s10, v17
                                        ; implicit-def: $vgpr15
	s_and_saveexec_b64 s[4:5], s[2:3]
	s_cbranch_execz .LBB135_34
; %bb.33:
	ds_read_u8 v15, v17
.LBB135_34:
	s_or_b64 exec, exec, s[4:5]
	s_waitcnt lgkmcnt(0)
	v_cmp_le_u16_sdwa s[2:3], v1, v15 src0_sel:BYTE_0 src1_sel:BYTE_0
	s_and_b64 s[2:3], vcc, s[2:3]
	s_or_b64 vcc, s[0:1], s[2:3]
	v_mov_b32_e32 v16, s10
	v_mov_b32_e32 v18, s15
	v_cndmask_b32_e32 v3, v17, v2, vcc
	v_cndmask_b32_e32 v4, v16, v18, vcc
	v_add_u32_e32 v5, 1, v3
	v_add_u32_e32 v4, -1, v4
	v_min_u32_e32 v4, v5, v4
	ds_read_u8 v4, v4
	v_cndmask_b32_e32 v2, v2, v5, vcc
	v_cndmask_b32_e32 v17, v5, v17, vcc
	v_cmp_gt_u32_e64 s[2:3], s15, v2
	v_cmp_le_u32_e64 s[0:1], s10, v17
	s_waitcnt lgkmcnt(0)
	v_cndmask_b32_e32 v20, v4, v15, vcc
	v_cndmask_b32_e32 v21, v1, v4, vcc
	v_cmp_le_u16_sdwa s[4:5], v21, v20 src0_sel:BYTE_0 src1_sel:BYTE_0
	s_and_b64 s[2:3], s[2:3], s[4:5]
	s_or_b64 s[0:1], s[0:1], s[2:3]
	v_cndmask_b32_e64 v4, v17, v2, s[0:1]
	v_cndmask_b32_e64 v5, v16, v18, s[0:1]
	v_add_u32_e32 v22, 1, v4
	v_add_u32_e32 v5, -1, v5
	v_min_u32_e32 v5, v22, v5
	ds_read_u8 v5, v5
	v_cndmask_b32_e64 v2, v2, v22, s[0:1]
	v_cndmask_b32_e64 v17, v22, v17, s[0:1]
	v_cmp_gt_u32_e64 s[4:5], s15, v2
	v_cmp_le_u32_e64 s[2:3], s10, v17
	s_waitcnt lgkmcnt(0)
	v_cndmask_b32_e64 v23, v5, v20, s[0:1]
	v_cndmask_b32_e64 v24, v21, v5, s[0:1]
	v_cmp_le_u16_sdwa s[20:21], v24, v23 src0_sel:BYTE_0 src1_sel:BYTE_0
	s_and_b64 s[4:5], s[4:5], s[20:21]
	s_or_b64 s[2:3], s[2:3], s[4:5]
	v_cndmask_b32_e64 v5, v17, v2, s[2:3]
	v_cndmask_b32_e64 v16, v16, v18, s[2:3]
	v_add_u32_e32 v18, 1, v5
	v_add_u32_e32 v16, -1, v16
	v_min_u32_e32 v16, v18, v16
	ds_read_u8 v22, v16
	v_cndmask_b32_e32 v1, v15, v1, vcc
	v_cndmask_b32_e64 v15, v20, v21, s[0:1]
	v_cndmask_b32_e64 v2, v2, v18, s[2:3]
	;; [unrolled: 1-line block ×3, first 2 shown]
	s_waitcnt lgkmcnt(0)
	v_cndmask_b32_e64 v21, v22, v23, s[2:3]
	v_cndmask_b32_e64 v22, v24, v22, s[2:3]
	;; [unrolled: 1-line block ×3, first 2 shown]
	v_cmp_gt_u32_e64 s[0:1], s15, v2
	v_cmp_le_u16_sdwa s[2:3], v22, v21 src0_sel:BYTE_0 src1_sel:BYTE_0
	v_cmp_le_u32_e32 vcc, s10, v17
	s_and_b64 s[0:1], s[0:1], s[2:3]
	s_or_b64 vcc, vcc, s[0:1]
	v_cndmask_b32_e32 v20, v17, v2, vcc
	v_cndmask_b32_e32 v18, v21, v22, vcc
.LBB135_35:
	s_or_b64 exec, exec, s[6:7]
	v_mad_u32_u24 v17, v0, 7, v0
	v_lshlrev_b32_e32 v2, 3, v3
	v_lshlrev_b32_e32 v3, 3, v4
	;; [unrolled: 1-line block ×4, first 2 shown]
	s_barrier
	s_waitcnt vmcnt(0)
	ds_write2st64_b64 v17, v[6:7], v[8:9] offset1:4
	ds_write2st64_b64 v17, v[10:11], v[12:13] offset0:8 offset1:12
	s_waitcnt lgkmcnt(0)
	s_barrier
	ds_read_b64 v[6:7], v2
	ds_read_b64 v[8:9], v3
	;; [unrolled: 1-line block ×4, first 2 shown]
	v_lshlrev_b16_e32 v11, 8, v15
	v_lshrrev_b32_e32 v20, 3, v0
	v_or_b32_sdwa v1, v1, v11 dst_sel:DWORD dst_unused:UNUSED_PAD src0_sel:BYTE_0 src1_sel:DWORD
	v_lshlrev_b16_e32 v11, 8, v18
	s_add_u32 s0, s8, s16
	v_and_b32_e32 v10, 28, v20
	v_or_b32_sdwa v11, v16, v11 dst_sel:WORD_1 dst_unused:UNUSED_PAD src0_sel:BYTE_0 src1_sel:DWORD
	s_addc_u32 s1, s9, 0
	v_add_u32_e32 v10, v10, v19
	v_or_b32_sdwa v1, v1, v11 dst_sel:DWORD dst_unused:UNUSED_PAD src0_sel:WORD_0 src1_sel:DWORD
	v_or_b32_e32 v23, 0x100, v0
	v_or_b32_e32 v22, 0x200, v0
	;; [unrolled: 1-line block ×3, first 2 shown]
	s_waitcnt lgkmcnt(0)
	s_barrier
	s_barrier
	ds_write_b32 v10, v1
	v_lshrrev_b32_e32 v1, 5, v23
	v_lshrrev_b32_e32 v13, 5, v22
	;; [unrolled: 1-line block ×3, first 2 shown]
	v_mov_b32_e32 v11, s1
	v_add_co_u32_e32 v10, vcc, s0, v0
	v_lshrrev_b32_e32 v15, 5, v0
	v_and_b32_e32 v12, 12, v1
	v_and_b32_e32 v16, 20, v13
	;; [unrolled: 1-line block ×3, first 2 shown]
	v_addc_co_u32_e32 v11, vcc, 0, v11, vcc
	s_mov_b32 s17, 0
	v_and_b32_e32 v24, 4, v15
	s_and_b64 vcc, exec, s[18:19]
	v_add_u32_e32 v25, v0, v12
	v_add_u32_e32 v26, v0, v16
	v_add_u32_e32 v27, v0, v27
	v_lshlrev_b32_e32 v19, 3, v19
	v_lshl_add_u32 v1, v1, 3, v17
	v_lshl_add_u32 v16, v13, 3, v17
	;; [unrolled: 1-line block ×3, first 2 shown]
	s_waitcnt lgkmcnt(0)
	s_cbranch_vccz .LBB135_37
; %bb.36:
	v_add_u32_e32 v12, v0, v24
	s_barrier
	ds_read_u8 v12, v12
	ds_read_u8 v13, v25 offset:256
	ds_read_u8 v28, v26 offset:512
	;; [unrolled: 1-line block ×3, first 2 shown]
	s_lshl_b64 s[0:1], s[16:17], 3
	s_add_u32 s0, s12, s0
	s_waitcnt lgkmcnt(3)
	global_store_byte v[10:11], v12, off
	s_waitcnt lgkmcnt(2)
	global_store_byte v[10:11], v13, off offset:256
	s_waitcnt lgkmcnt(1)
	global_store_byte v[10:11], v28, off offset:512
	;; [unrolled: 2-line block ×3, first 2 shown]
	v_lshl_add_u32 v12, v20, 3, v19
	s_barrier
	ds_write2_b64 v12, v[6:7], v[8:9] offset1:1
	ds_write2_b64 v12, v[2:3], v[4:5] offset0:2 offset1:3
	v_lshl_add_u32 v12, v15, 3, v17
	s_addc_u32 s1, s13, s1
	s_waitcnt lgkmcnt(0)
	s_barrier
	ds_read_b64 v[28:29], v12
	ds_read_b64 v[30:31], v1 offset:2048
	ds_read_b64 v[32:33], v16 offset:4096
	ds_read_b64 v[12:13], v18 offset:6144
	v_mov_b32_e32 v34, s1
	v_add_co_u32_e32 v35, vcc, s0, v14
	v_addc_co_u32_e32 v34, vcc, 0, v34, vcc
	s_waitcnt lgkmcnt(3)
	global_store_dwordx2 v14, v[28:29], s[0:1]
	s_waitcnt lgkmcnt(2)
	global_store_dwordx2 v14, v[30:31], s[0:1] offset:2048
	v_add_co_u32_e32 v28, vcc, 0x1000, v35
	v_addc_co_u32_e32 v29, vcc, 0, v34, vcc
	s_waitcnt lgkmcnt(1)
	global_store_dwordx2 v[28:29], v[32:33], off
	s_mov_b64 s[6:7], -1
	s_cbranch_execz .LBB135_38
	s_branch .LBB135_51
.LBB135_37:
	s_mov_b64 s[6:7], 0
                                        ; implicit-def: $vgpr12_vgpr13
.LBB135_38:
	s_barrier
	s_waitcnt lgkmcnt(0)
	ds_read_u8 v25, v25 offset:256
	ds_read_u8 v13, v26 offset:512
	;; [unrolled: 1-line block ×3, first 2 shown]
	s_sub_i32 s6, s14, s16
	v_cmp_gt_u32_e32 vcc, s6, v0
	s_and_saveexec_b64 s[0:1], vcc
	s_cbranch_execz .LBB135_42
; %bb.39:
	v_add_u32_e32 v0, v0, v24
	ds_read_u8 v0, v0
	s_waitcnt lgkmcnt(0)
	global_store_byte v[10:11], v0, off
	s_or_b64 exec, exec, s[0:1]
	v_cmp_gt_u32_e64 s[0:1], s6, v23
	s_and_saveexec_b64 s[2:3], s[0:1]
	s_cbranch_execnz .LBB135_43
.LBB135_40:
	s_or_b64 exec, exec, s[2:3]
	v_cmp_gt_u32_e64 s[2:3], s6, v22
	s_and_saveexec_b64 s[4:5], s[2:3]
	s_cbranch_execz .LBB135_44
.LBB135_41:
	s_waitcnt lgkmcnt(1)
	global_store_byte v[10:11], v13, off offset:512
	s_or_b64 exec, exec, s[4:5]
	v_cmp_gt_u32_e64 s[6:7], s6, v21
	s_and_saveexec_b64 s[4:5], s[6:7]
	s_cbranch_execnz .LBB135_45
	s_branch .LBB135_46
.LBB135_42:
	s_or_b64 exec, exec, s[0:1]
	v_cmp_gt_u32_e64 s[0:1], s6, v23
	s_and_saveexec_b64 s[2:3], s[0:1]
	s_cbranch_execz .LBB135_40
.LBB135_43:
	s_waitcnt lgkmcnt(2)
	global_store_byte v[10:11], v25, off offset:256
	s_or_b64 exec, exec, s[2:3]
	v_cmp_gt_u32_e64 s[2:3], s6, v22
	s_and_saveexec_b64 s[4:5], s[2:3]
	s_cbranch_execnz .LBB135_41
.LBB135_44:
	s_or_b64 exec, exec, s[4:5]
	v_cmp_gt_u32_e64 s[6:7], s6, v21
	s_and_saveexec_b64 s[4:5], s[6:7]
	s_cbranch_execz .LBB135_46
.LBB135_45:
	s_waitcnt lgkmcnt(0)
	global_store_byte v[10:11], v12, off offset:768
.LBB135_46:
	s_or_b64 exec, exec, s[4:5]
	v_lshl_add_u32 v0, v20, 3, v19
	s_waitcnt lgkmcnt(0)
	s_barrier
	ds_write2_b64 v0, v[6:7], v[8:9] offset1:1
	ds_write2_b64 v0, v[2:3], v[4:5] offset0:2 offset1:3
	s_waitcnt lgkmcnt(0)
	s_barrier
	ds_read_b64 v[4:5], v1 offset:2048
	ds_read_b64 v[0:1], v16 offset:4096
	;; [unrolled: 1-line block ×3, first 2 shown]
	s_lshl_b64 s[4:5], s[16:17], 3
	s_add_u32 s4, s12, s4
	s_addc_u32 s5, s13, s5
	v_mov_b32_e32 v3, s5
	v_add_co_u32_e64 v2, s[4:5], s4, v14
	v_addc_co_u32_e64 v3, s[4:5], 0, v3, s[4:5]
	s_and_saveexec_b64 s[4:5], vcc
	s_cbranch_execz .LBB135_54
; %bb.47:
	v_lshl_add_u32 v6, v15, 3, v17
	ds_read_b64 v[6:7], v6
	s_waitcnt lgkmcnt(0)
	global_store_dwordx2 v[2:3], v[6:7], off
	s_or_b64 exec, exec, s[4:5]
	s_and_saveexec_b64 s[4:5], s[0:1]
	s_cbranch_execnz .LBB135_55
.LBB135_48:
	s_or_b64 exec, exec, s[4:5]
	s_and_saveexec_b64 s[0:1], s[2:3]
	s_cbranch_execz .LBB135_50
.LBB135_49:
	v_add_co_u32_e32 v2, vcc, 0x1000, v2
	v_addc_co_u32_e32 v3, vcc, 0, v3, vcc
	s_waitcnt lgkmcnt(1)
	global_store_dwordx2 v[2:3], v[0:1], off
.LBB135_50:
	s_or_b64 exec, exec, s[0:1]
.LBB135_51:
	s_and_saveexec_b64 s[0:1], s[6:7]
	s_cbranch_execz .LBB135_53
; %bb.52:
	s_lshl_b64 s[0:1], s[16:17], 3
	s_add_u32 s0, s12, s0
	s_addc_u32 s1, s13, s1
	s_waitcnt lgkmcnt(1)
	v_mov_b32_e32 v0, s1
	v_add_co_u32_e32 v1, vcc, s0, v14
	v_addc_co_u32_e32 v2, vcc, 0, v0, vcc
	v_add_co_u32_e32 v0, vcc, 0x1000, v1
	v_addc_co_u32_e32 v1, vcc, 0, v2, vcc
	s_waitcnt lgkmcnt(0)
	global_store_dwordx2 v[0:1], v[12:13], off offset:2048
.LBB135_53:
	s_endpgm
.LBB135_54:
	s_or_b64 exec, exec, s[4:5]
	s_and_saveexec_b64 s[4:5], s[0:1]
	s_cbranch_execz .LBB135_48
.LBB135_55:
	s_waitcnt lgkmcnt(2)
	global_store_dwordx2 v[2:3], v[4:5], off offset:2048
	s_or_b64 exec, exec, s[4:5]
	s_and_saveexec_b64 s[0:1], s[2:3]
	s_cbranch_execnz .LBB135_49
	s_branch .LBB135_50
	.section	.rodata,"a",@progbits
	.p2align	6, 0x0
	.amdhsa_kernel _ZN7rocprim17ROCPRIM_400000_NS6detail17trampoline_kernelINS0_14default_configENS1_38merge_sort_block_merge_config_selectorIhlEEZZNS1_27merge_sort_block_merge_implIS3_PhN6thrust23THRUST_200600_302600_NS10device_ptrIlEEjNS1_19radix_merge_compareILb0ELb0EhNS0_19identity_decomposerEEEEE10hipError_tT0_T1_T2_jT3_P12ihipStream_tbPNSt15iterator_traitsISG_E10value_typeEPNSM_ISH_E10value_typeEPSI_NS1_7vsmem_tEENKUlT_SG_SH_SI_E_clIS7_S7_PlSB_EESF_SV_SG_SH_SI_EUlSV_E0_NS1_11comp_targetILNS1_3genE4ELNS1_11target_archE910ELNS1_3gpuE8ELNS1_3repE0EEENS1_38merge_mergepath_config_static_selectorELNS0_4arch9wavefront6targetE1EEEvSH_
		.amdhsa_group_segment_fixed_size 8448
		.amdhsa_private_segment_fixed_size 0
		.amdhsa_kernarg_size 320
		.amdhsa_user_sgpr_count 6
		.amdhsa_user_sgpr_private_segment_buffer 1
		.amdhsa_user_sgpr_dispatch_ptr 0
		.amdhsa_user_sgpr_queue_ptr 0
		.amdhsa_user_sgpr_kernarg_segment_ptr 1
		.amdhsa_user_sgpr_dispatch_id 0
		.amdhsa_user_sgpr_flat_scratch_init 0
		.amdhsa_user_sgpr_kernarg_preload_length 0
		.amdhsa_user_sgpr_kernarg_preload_offset 0
		.amdhsa_user_sgpr_private_segment_size 0
		.amdhsa_uses_dynamic_stack 0
		.amdhsa_system_sgpr_private_segment_wavefront_offset 0
		.amdhsa_system_sgpr_workgroup_id_x 1
		.amdhsa_system_sgpr_workgroup_id_y 1
		.amdhsa_system_sgpr_workgroup_id_z 1
		.amdhsa_system_sgpr_workgroup_info 0
		.amdhsa_system_vgpr_workitem_id 0
		.amdhsa_next_free_vgpr 36
		.amdhsa_next_free_sgpr 32
		.amdhsa_accum_offset 36
		.amdhsa_reserve_vcc 1
		.amdhsa_reserve_flat_scratch 0
		.amdhsa_float_round_mode_32 0
		.amdhsa_float_round_mode_16_64 0
		.amdhsa_float_denorm_mode_32 3
		.amdhsa_float_denorm_mode_16_64 3
		.amdhsa_dx10_clamp 1
		.amdhsa_ieee_mode 1
		.amdhsa_fp16_overflow 0
		.amdhsa_tg_split 0
		.amdhsa_exception_fp_ieee_invalid_op 0
		.amdhsa_exception_fp_denorm_src 0
		.amdhsa_exception_fp_ieee_div_zero 0
		.amdhsa_exception_fp_ieee_overflow 0
		.amdhsa_exception_fp_ieee_underflow 0
		.amdhsa_exception_fp_ieee_inexact 0
		.amdhsa_exception_int_div_zero 0
	.end_amdhsa_kernel
	.section	.text._ZN7rocprim17ROCPRIM_400000_NS6detail17trampoline_kernelINS0_14default_configENS1_38merge_sort_block_merge_config_selectorIhlEEZZNS1_27merge_sort_block_merge_implIS3_PhN6thrust23THRUST_200600_302600_NS10device_ptrIlEEjNS1_19radix_merge_compareILb0ELb0EhNS0_19identity_decomposerEEEEE10hipError_tT0_T1_T2_jT3_P12ihipStream_tbPNSt15iterator_traitsISG_E10value_typeEPNSM_ISH_E10value_typeEPSI_NS1_7vsmem_tEENKUlT_SG_SH_SI_E_clIS7_S7_PlSB_EESF_SV_SG_SH_SI_EUlSV_E0_NS1_11comp_targetILNS1_3genE4ELNS1_11target_archE910ELNS1_3gpuE8ELNS1_3repE0EEENS1_38merge_mergepath_config_static_selectorELNS0_4arch9wavefront6targetE1EEEvSH_,"axG",@progbits,_ZN7rocprim17ROCPRIM_400000_NS6detail17trampoline_kernelINS0_14default_configENS1_38merge_sort_block_merge_config_selectorIhlEEZZNS1_27merge_sort_block_merge_implIS3_PhN6thrust23THRUST_200600_302600_NS10device_ptrIlEEjNS1_19radix_merge_compareILb0ELb0EhNS0_19identity_decomposerEEEEE10hipError_tT0_T1_T2_jT3_P12ihipStream_tbPNSt15iterator_traitsISG_E10value_typeEPNSM_ISH_E10value_typeEPSI_NS1_7vsmem_tEENKUlT_SG_SH_SI_E_clIS7_S7_PlSB_EESF_SV_SG_SH_SI_EUlSV_E0_NS1_11comp_targetILNS1_3genE4ELNS1_11target_archE910ELNS1_3gpuE8ELNS1_3repE0EEENS1_38merge_mergepath_config_static_selectorELNS0_4arch9wavefront6targetE1EEEvSH_,comdat
.Lfunc_end135:
	.size	_ZN7rocprim17ROCPRIM_400000_NS6detail17trampoline_kernelINS0_14default_configENS1_38merge_sort_block_merge_config_selectorIhlEEZZNS1_27merge_sort_block_merge_implIS3_PhN6thrust23THRUST_200600_302600_NS10device_ptrIlEEjNS1_19radix_merge_compareILb0ELb0EhNS0_19identity_decomposerEEEEE10hipError_tT0_T1_T2_jT3_P12ihipStream_tbPNSt15iterator_traitsISG_E10value_typeEPNSM_ISH_E10value_typeEPSI_NS1_7vsmem_tEENKUlT_SG_SH_SI_E_clIS7_S7_PlSB_EESF_SV_SG_SH_SI_EUlSV_E0_NS1_11comp_targetILNS1_3genE4ELNS1_11target_archE910ELNS1_3gpuE8ELNS1_3repE0EEENS1_38merge_mergepath_config_static_selectorELNS0_4arch9wavefront6targetE1EEEvSH_, .Lfunc_end135-_ZN7rocprim17ROCPRIM_400000_NS6detail17trampoline_kernelINS0_14default_configENS1_38merge_sort_block_merge_config_selectorIhlEEZZNS1_27merge_sort_block_merge_implIS3_PhN6thrust23THRUST_200600_302600_NS10device_ptrIlEEjNS1_19radix_merge_compareILb0ELb0EhNS0_19identity_decomposerEEEEE10hipError_tT0_T1_T2_jT3_P12ihipStream_tbPNSt15iterator_traitsISG_E10value_typeEPNSM_ISH_E10value_typeEPSI_NS1_7vsmem_tEENKUlT_SG_SH_SI_E_clIS7_S7_PlSB_EESF_SV_SG_SH_SI_EUlSV_E0_NS1_11comp_targetILNS1_3genE4ELNS1_11target_archE910ELNS1_3gpuE8ELNS1_3repE0EEENS1_38merge_mergepath_config_static_selectorELNS0_4arch9wavefront6targetE1EEEvSH_
                                        ; -- End function
	.section	.AMDGPU.csdata,"",@progbits
; Kernel info:
; codeLenInByte = 3132
; NumSgprs: 36
; NumVgprs: 36
; NumAgprs: 0
; TotalNumVgprs: 36
; ScratchSize: 0
; MemoryBound: 0
; FloatMode: 240
; IeeeMode: 1
; LDSByteSize: 8448 bytes/workgroup (compile time only)
; SGPRBlocks: 4
; VGPRBlocks: 4
; NumSGPRsForWavesPerEU: 36
; NumVGPRsForWavesPerEU: 36
; AccumOffset: 36
; Occupancy: 7
; WaveLimiterHint : 1
; COMPUTE_PGM_RSRC2:SCRATCH_EN: 0
; COMPUTE_PGM_RSRC2:USER_SGPR: 6
; COMPUTE_PGM_RSRC2:TRAP_HANDLER: 0
; COMPUTE_PGM_RSRC2:TGID_X_EN: 1
; COMPUTE_PGM_RSRC2:TGID_Y_EN: 1
; COMPUTE_PGM_RSRC2:TGID_Z_EN: 1
; COMPUTE_PGM_RSRC2:TIDIG_COMP_CNT: 0
; COMPUTE_PGM_RSRC3_GFX90A:ACCUM_OFFSET: 8
; COMPUTE_PGM_RSRC3_GFX90A:TG_SPLIT: 0
	.section	.text._ZN7rocprim17ROCPRIM_400000_NS6detail17trampoline_kernelINS0_14default_configENS1_38merge_sort_block_merge_config_selectorIhlEEZZNS1_27merge_sort_block_merge_implIS3_PhN6thrust23THRUST_200600_302600_NS10device_ptrIlEEjNS1_19radix_merge_compareILb0ELb0EhNS0_19identity_decomposerEEEEE10hipError_tT0_T1_T2_jT3_P12ihipStream_tbPNSt15iterator_traitsISG_E10value_typeEPNSM_ISH_E10value_typeEPSI_NS1_7vsmem_tEENKUlT_SG_SH_SI_E_clIS7_S7_PlSB_EESF_SV_SG_SH_SI_EUlSV_E0_NS1_11comp_targetILNS1_3genE3ELNS1_11target_archE908ELNS1_3gpuE7ELNS1_3repE0EEENS1_38merge_mergepath_config_static_selectorELNS0_4arch9wavefront6targetE1EEEvSH_,"axG",@progbits,_ZN7rocprim17ROCPRIM_400000_NS6detail17trampoline_kernelINS0_14default_configENS1_38merge_sort_block_merge_config_selectorIhlEEZZNS1_27merge_sort_block_merge_implIS3_PhN6thrust23THRUST_200600_302600_NS10device_ptrIlEEjNS1_19radix_merge_compareILb0ELb0EhNS0_19identity_decomposerEEEEE10hipError_tT0_T1_T2_jT3_P12ihipStream_tbPNSt15iterator_traitsISG_E10value_typeEPNSM_ISH_E10value_typeEPSI_NS1_7vsmem_tEENKUlT_SG_SH_SI_E_clIS7_S7_PlSB_EESF_SV_SG_SH_SI_EUlSV_E0_NS1_11comp_targetILNS1_3genE3ELNS1_11target_archE908ELNS1_3gpuE7ELNS1_3repE0EEENS1_38merge_mergepath_config_static_selectorELNS0_4arch9wavefront6targetE1EEEvSH_,comdat
	.protected	_ZN7rocprim17ROCPRIM_400000_NS6detail17trampoline_kernelINS0_14default_configENS1_38merge_sort_block_merge_config_selectorIhlEEZZNS1_27merge_sort_block_merge_implIS3_PhN6thrust23THRUST_200600_302600_NS10device_ptrIlEEjNS1_19radix_merge_compareILb0ELb0EhNS0_19identity_decomposerEEEEE10hipError_tT0_T1_T2_jT3_P12ihipStream_tbPNSt15iterator_traitsISG_E10value_typeEPNSM_ISH_E10value_typeEPSI_NS1_7vsmem_tEENKUlT_SG_SH_SI_E_clIS7_S7_PlSB_EESF_SV_SG_SH_SI_EUlSV_E0_NS1_11comp_targetILNS1_3genE3ELNS1_11target_archE908ELNS1_3gpuE7ELNS1_3repE0EEENS1_38merge_mergepath_config_static_selectorELNS0_4arch9wavefront6targetE1EEEvSH_ ; -- Begin function _ZN7rocprim17ROCPRIM_400000_NS6detail17trampoline_kernelINS0_14default_configENS1_38merge_sort_block_merge_config_selectorIhlEEZZNS1_27merge_sort_block_merge_implIS3_PhN6thrust23THRUST_200600_302600_NS10device_ptrIlEEjNS1_19radix_merge_compareILb0ELb0EhNS0_19identity_decomposerEEEEE10hipError_tT0_T1_T2_jT3_P12ihipStream_tbPNSt15iterator_traitsISG_E10value_typeEPNSM_ISH_E10value_typeEPSI_NS1_7vsmem_tEENKUlT_SG_SH_SI_E_clIS7_S7_PlSB_EESF_SV_SG_SH_SI_EUlSV_E0_NS1_11comp_targetILNS1_3genE3ELNS1_11target_archE908ELNS1_3gpuE7ELNS1_3repE0EEENS1_38merge_mergepath_config_static_selectorELNS0_4arch9wavefront6targetE1EEEvSH_
	.globl	_ZN7rocprim17ROCPRIM_400000_NS6detail17trampoline_kernelINS0_14default_configENS1_38merge_sort_block_merge_config_selectorIhlEEZZNS1_27merge_sort_block_merge_implIS3_PhN6thrust23THRUST_200600_302600_NS10device_ptrIlEEjNS1_19radix_merge_compareILb0ELb0EhNS0_19identity_decomposerEEEEE10hipError_tT0_T1_T2_jT3_P12ihipStream_tbPNSt15iterator_traitsISG_E10value_typeEPNSM_ISH_E10value_typeEPSI_NS1_7vsmem_tEENKUlT_SG_SH_SI_E_clIS7_S7_PlSB_EESF_SV_SG_SH_SI_EUlSV_E0_NS1_11comp_targetILNS1_3genE3ELNS1_11target_archE908ELNS1_3gpuE7ELNS1_3repE0EEENS1_38merge_mergepath_config_static_selectorELNS0_4arch9wavefront6targetE1EEEvSH_
	.p2align	8
	.type	_ZN7rocprim17ROCPRIM_400000_NS6detail17trampoline_kernelINS0_14default_configENS1_38merge_sort_block_merge_config_selectorIhlEEZZNS1_27merge_sort_block_merge_implIS3_PhN6thrust23THRUST_200600_302600_NS10device_ptrIlEEjNS1_19radix_merge_compareILb0ELb0EhNS0_19identity_decomposerEEEEE10hipError_tT0_T1_T2_jT3_P12ihipStream_tbPNSt15iterator_traitsISG_E10value_typeEPNSM_ISH_E10value_typeEPSI_NS1_7vsmem_tEENKUlT_SG_SH_SI_E_clIS7_S7_PlSB_EESF_SV_SG_SH_SI_EUlSV_E0_NS1_11comp_targetILNS1_3genE3ELNS1_11target_archE908ELNS1_3gpuE7ELNS1_3repE0EEENS1_38merge_mergepath_config_static_selectorELNS0_4arch9wavefront6targetE1EEEvSH_,@function
_ZN7rocprim17ROCPRIM_400000_NS6detail17trampoline_kernelINS0_14default_configENS1_38merge_sort_block_merge_config_selectorIhlEEZZNS1_27merge_sort_block_merge_implIS3_PhN6thrust23THRUST_200600_302600_NS10device_ptrIlEEjNS1_19radix_merge_compareILb0ELb0EhNS0_19identity_decomposerEEEEE10hipError_tT0_T1_T2_jT3_P12ihipStream_tbPNSt15iterator_traitsISG_E10value_typeEPNSM_ISH_E10value_typeEPSI_NS1_7vsmem_tEENKUlT_SG_SH_SI_E_clIS7_S7_PlSB_EESF_SV_SG_SH_SI_EUlSV_E0_NS1_11comp_targetILNS1_3genE3ELNS1_11target_archE908ELNS1_3gpuE7ELNS1_3repE0EEENS1_38merge_mergepath_config_static_selectorELNS0_4arch9wavefront6targetE1EEEvSH_: ; @_ZN7rocprim17ROCPRIM_400000_NS6detail17trampoline_kernelINS0_14default_configENS1_38merge_sort_block_merge_config_selectorIhlEEZZNS1_27merge_sort_block_merge_implIS3_PhN6thrust23THRUST_200600_302600_NS10device_ptrIlEEjNS1_19radix_merge_compareILb0ELb0EhNS0_19identity_decomposerEEEEE10hipError_tT0_T1_T2_jT3_P12ihipStream_tbPNSt15iterator_traitsISG_E10value_typeEPNSM_ISH_E10value_typeEPSI_NS1_7vsmem_tEENKUlT_SG_SH_SI_E_clIS7_S7_PlSB_EESF_SV_SG_SH_SI_EUlSV_E0_NS1_11comp_targetILNS1_3genE3ELNS1_11target_archE908ELNS1_3gpuE7ELNS1_3repE0EEENS1_38merge_mergepath_config_static_selectorELNS0_4arch9wavefront6targetE1EEEvSH_
; %bb.0:
	.section	.rodata,"a",@progbits
	.p2align	6, 0x0
	.amdhsa_kernel _ZN7rocprim17ROCPRIM_400000_NS6detail17trampoline_kernelINS0_14default_configENS1_38merge_sort_block_merge_config_selectorIhlEEZZNS1_27merge_sort_block_merge_implIS3_PhN6thrust23THRUST_200600_302600_NS10device_ptrIlEEjNS1_19radix_merge_compareILb0ELb0EhNS0_19identity_decomposerEEEEE10hipError_tT0_T1_T2_jT3_P12ihipStream_tbPNSt15iterator_traitsISG_E10value_typeEPNSM_ISH_E10value_typeEPSI_NS1_7vsmem_tEENKUlT_SG_SH_SI_E_clIS7_S7_PlSB_EESF_SV_SG_SH_SI_EUlSV_E0_NS1_11comp_targetILNS1_3genE3ELNS1_11target_archE908ELNS1_3gpuE7ELNS1_3repE0EEENS1_38merge_mergepath_config_static_selectorELNS0_4arch9wavefront6targetE1EEEvSH_
		.amdhsa_group_segment_fixed_size 0
		.amdhsa_private_segment_fixed_size 0
		.amdhsa_kernarg_size 64
		.amdhsa_user_sgpr_count 6
		.amdhsa_user_sgpr_private_segment_buffer 1
		.amdhsa_user_sgpr_dispatch_ptr 0
		.amdhsa_user_sgpr_queue_ptr 0
		.amdhsa_user_sgpr_kernarg_segment_ptr 1
		.amdhsa_user_sgpr_dispatch_id 0
		.amdhsa_user_sgpr_flat_scratch_init 0
		.amdhsa_user_sgpr_kernarg_preload_length 0
		.amdhsa_user_sgpr_kernarg_preload_offset 0
		.amdhsa_user_sgpr_private_segment_size 0
		.amdhsa_uses_dynamic_stack 0
		.amdhsa_system_sgpr_private_segment_wavefront_offset 0
		.amdhsa_system_sgpr_workgroup_id_x 1
		.amdhsa_system_sgpr_workgroup_id_y 0
		.amdhsa_system_sgpr_workgroup_id_z 0
		.amdhsa_system_sgpr_workgroup_info 0
		.amdhsa_system_vgpr_workitem_id 0
		.amdhsa_next_free_vgpr 1
		.amdhsa_next_free_sgpr 0
		.amdhsa_accum_offset 4
		.amdhsa_reserve_vcc 0
		.amdhsa_reserve_flat_scratch 0
		.amdhsa_float_round_mode_32 0
		.amdhsa_float_round_mode_16_64 0
		.amdhsa_float_denorm_mode_32 3
		.amdhsa_float_denorm_mode_16_64 3
		.amdhsa_dx10_clamp 1
		.amdhsa_ieee_mode 1
		.amdhsa_fp16_overflow 0
		.amdhsa_tg_split 0
		.amdhsa_exception_fp_ieee_invalid_op 0
		.amdhsa_exception_fp_denorm_src 0
		.amdhsa_exception_fp_ieee_div_zero 0
		.amdhsa_exception_fp_ieee_overflow 0
		.amdhsa_exception_fp_ieee_underflow 0
		.amdhsa_exception_fp_ieee_inexact 0
		.amdhsa_exception_int_div_zero 0
	.end_amdhsa_kernel
	.section	.text._ZN7rocprim17ROCPRIM_400000_NS6detail17trampoline_kernelINS0_14default_configENS1_38merge_sort_block_merge_config_selectorIhlEEZZNS1_27merge_sort_block_merge_implIS3_PhN6thrust23THRUST_200600_302600_NS10device_ptrIlEEjNS1_19radix_merge_compareILb0ELb0EhNS0_19identity_decomposerEEEEE10hipError_tT0_T1_T2_jT3_P12ihipStream_tbPNSt15iterator_traitsISG_E10value_typeEPNSM_ISH_E10value_typeEPSI_NS1_7vsmem_tEENKUlT_SG_SH_SI_E_clIS7_S7_PlSB_EESF_SV_SG_SH_SI_EUlSV_E0_NS1_11comp_targetILNS1_3genE3ELNS1_11target_archE908ELNS1_3gpuE7ELNS1_3repE0EEENS1_38merge_mergepath_config_static_selectorELNS0_4arch9wavefront6targetE1EEEvSH_,"axG",@progbits,_ZN7rocprim17ROCPRIM_400000_NS6detail17trampoline_kernelINS0_14default_configENS1_38merge_sort_block_merge_config_selectorIhlEEZZNS1_27merge_sort_block_merge_implIS3_PhN6thrust23THRUST_200600_302600_NS10device_ptrIlEEjNS1_19radix_merge_compareILb0ELb0EhNS0_19identity_decomposerEEEEE10hipError_tT0_T1_T2_jT3_P12ihipStream_tbPNSt15iterator_traitsISG_E10value_typeEPNSM_ISH_E10value_typeEPSI_NS1_7vsmem_tEENKUlT_SG_SH_SI_E_clIS7_S7_PlSB_EESF_SV_SG_SH_SI_EUlSV_E0_NS1_11comp_targetILNS1_3genE3ELNS1_11target_archE908ELNS1_3gpuE7ELNS1_3repE0EEENS1_38merge_mergepath_config_static_selectorELNS0_4arch9wavefront6targetE1EEEvSH_,comdat
.Lfunc_end136:
	.size	_ZN7rocprim17ROCPRIM_400000_NS6detail17trampoline_kernelINS0_14default_configENS1_38merge_sort_block_merge_config_selectorIhlEEZZNS1_27merge_sort_block_merge_implIS3_PhN6thrust23THRUST_200600_302600_NS10device_ptrIlEEjNS1_19radix_merge_compareILb0ELb0EhNS0_19identity_decomposerEEEEE10hipError_tT0_T1_T2_jT3_P12ihipStream_tbPNSt15iterator_traitsISG_E10value_typeEPNSM_ISH_E10value_typeEPSI_NS1_7vsmem_tEENKUlT_SG_SH_SI_E_clIS7_S7_PlSB_EESF_SV_SG_SH_SI_EUlSV_E0_NS1_11comp_targetILNS1_3genE3ELNS1_11target_archE908ELNS1_3gpuE7ELNS1_3repE0EEENS1_38merge_mergepath_config_static_selectorELNS0_4arch9wavefront6targetE1EEEvSH_, .Lfunc_end136-_ZN7rocprim17ROCPRIM_400000_NS6detail17trampoline_kernelINS0_14default_configENS1_38merge_sort_block_merge_config_selectorIhlEEZZNS1_27merge_sort_block_merge_implIS3_PhN6thrust23THRUST_200600_302600_NS10device_ptrIlEEjNS1_19radix_merge_compareILb0ELb0EhNS0_19identity_decomposerEEEEE10hipError_tT0_T1_T2_jT3_P12ihipStream_tbPNSt15iterator_traitsISG_E10value_typeEPNSM_ISH_E10value_typeEPSI_NS1_7vsmem_tEENKUlT_SG_SH_SI_E_clIS7_S7_PlSB_EESF_SV_SG_SH_SI_EUlSV_E0_NS1_11comp_targetILNS1_3genE3ELNS1_11target_archE908ELNS1_3gpuE7ELNS1_3repE0EEENS1_38merge_mergepath_config_static_selectorELNS0_4arch9wavefront6targetE1EEEvSH_
                                        ; -- End function
	.section	.AMDGPU.csdata,"",@progbits
; Kernel info:
; codeLenInByte = 0
; NumSgprs: 4
; NumVgprs: 0
; NumAgprs: 0
; TotalNumVgprs: 0
; ScratchSize: 0
; MemoryBound: 0
; FloatMode: 240
; IeeeMode: 1
; LDSByteSize: 0 bytes/workgroup (compile time only)
; SGPRBlocks: 0
; VGPRBlocks: 0
; NumSGPRsForWavesPerEU: 4
; NumVGPRsForWavesPerEU: 1
; AccumOffset: 4
; Occupancy: 8
; WaveLimiterHint : 0
; COMPUTE_PGM_RSRC2:SCRATCH_EN: 0
; COMPUTE_PGM_RSRC2:USER_SGPR: 6
; COMPUTE_PGM_RSRC2:TRAP_HANDLER: 0
; COMPUTE_PGM_RSRC2:TGID_X_EN: 1
; COMPUTE_PGM_RSRC2:TGID_Y_EN: 0
; COMPUTE_PGM_RSRC2:TGID_Z_EN: 0
; COMPUTE_PGM_RSRC2:TIDIG_COMP_CNT: 0
; COMPUTE_PGM_RSRC3_GFX90A:ACCUM_OFFSET: 0
; COMPUTE_PGM_RSRC3_GFX90A:TG_SPLIT: 0
	.section	.text._ZN7rocprim17ROCPRIM_400000_NS6detail17trampoline_kernelINS0_14default_configENS1_38merge_sort_block_merge_config_selectorIhlEEZZNS1_27merge_sort_block_merge_implIS3_PhN6thrust23THRUST_200600_302600_NS10device_ptrIlEEjNS1_19radix_merge_compareILb0ELb0EhNS0_19identity_decomposerEEEEE10hipError_tT0_T1_T2_jT3_P12ihipStream_tbPNSt15iterator_traitsISG_E10value_typeEPNSM_ISH_E10value_typeEPSI_NS1_7vsmem_tEENKUlT_SG_SH_SI_E_clIS7_S7_PlSB_EESF_SV_SG_SH_SI_EUlSV_E0_NS1_11comp_targetILNS1_3genE2ELNS1_11target_archE906ELNS1_3gpuE6ELNS1_3repE0EEENS1_38merge_mergepath_config_static_selectorELNS0_4arch9wavefront6targetE1EEEvSH_,"axG",@progbits,_ZN7rocprim17ROCPRIM_400000_NS6detail17trampoline_kernelINS0_14default_configENS1_38merge_sort_block_merge_config_selectorIhlEEZZNS1_27merge_sort_block_merge_implIS3_PhN6thrust23THRUST_200600_302600_NS10device_ptrIlEEjNS1_19radix_merge_compareILb0ELb0EhNS0_19identity_decomposerEEEEE10hipError_tT0_T1_T2_jT3_P12ihipStream_tbPNSt15iterator_traitsISG_E10value_typeEPNSM_ISH_E10value_typeEPSI_NS1_7vsmem_tEENKUlT_SG_SH_SI_E_clIS7_S7_PlSB_EESF_SV_SG_SH_SI_EUlSV_E0_NS1_11comp_targetILNS1_3genE2ELNS1_11target_archE906ELNS1_3gpuE6ELNS1_3repE0EEENS1_38merge_mergepath_config_static_selectorELNS0_4arch9wavefront6targetE1EEEvSH_,comdat
	.protected	_ZN7rocprim17ROCPRIM_400000_NS6detail17trampoline_kernelINS0_14default_configENS1_38merge_sort_block_merge_config_selectorIhlEEZZNS1_27merge_sort_block_merge_implIS3_PhN6thrust23THRUST_200600_302600_NS10device_ptrIlEEjNS1_19radix_merge_compareILb0ELb0EhNS0_19identity_decomposerEEEEE10hipError_tT0_T1_T2_jT3_P12ihipStream_tbPNSt15iterator_traitsISG_E10value_typeEPNSM_ISH_E10value_typeEPSI_NS1_7vsmem_tEENKUlT_SG_SH_SI_E_clIS7_S7_PlSB_EESF_SV_SG_SH_SI_EUlSV_E0_NS1_11comp_targetILNS1_3genE2ELNS1_11target_archE906ELNS1_3gpuE6ELNS1_3repE0EEENS1_38merge_mergepath_config_static_selectorELNS0_4arch9wavefront6targetE1EEEvSH_ ; -- Begin function _ZN7rocprim17ROCPRIM_400000_NS6detail17trampoline_kernelINS0_14default_configENS1_38merge_sort_block_merge_config_selectorIhlEEZZNS1_27merge_sort_block_merge_implIS3_PhN6thrust23THRUST_200600_302600_NS10device_ptrIlEEjNS1_19radix_merge_compareILb0ELb0EhNS0_19identity_decomposerEEEEE10hipError_tT0_T1_T2_jT3_P12ihipStream_tbPNSt15iterator_traitsISG_E10value_typeEPNSM_ISH_E10value_typeEPSI_NS1_7vsmem_tEENKUlT_SG_SH_SI_E_clIS7_S7_PlSB_EESF_SV_SG_SH_SI_EUlSV_E0_NS1_11comp_targetILNS1_3genE2ELNS1_11target_archE906ELNS1_3gpuE6ELNS1_3repE0EEENS1_38merge_mergepath_config_static_selectorELNS0_4arch9wavefront6targetE1EEEvSH_
	.globl	_ZN7rocprim17ROCPRIM_400000_NS6detail17trampoline_kernelINS0_14default_configENS1_38merge_sort_block_merge_config_selectorIhlEEZZNS1_27merge_sort_block_merge_implIS3_PhN6thrust23THRUST_200600_302600_NS10device_ptrIlEEjNS1_19radix_merge_compareILb0ELb0EhNS0_19identity_decomposerEEEEE10hipError_tT0_T1_T2_jT3_P12ihipStream_tbPNSt15iterator_traitsISG_E10value_typeEPNSM_ISH_E10value_typeEPSI_NS1_7vsmem_tEENKUlT_SG_SH_SI_E_clIS7_S7_PlSB_EESF_SV_SG_SH_SI_EUlSV_E0_NS1_11comp_targetILNS1_3genE2ELNS1_11target_archE906ELNS1_3gpuE6ELNS1_3repE0EEENS1_38merge_mergepath_config_static_selectorELNS0_4arch9wavefront6targetE1EEEvSH_
	.p2align	8
	.type	_ZN7rocprim17ROCPRIM_400000_NS6detail17trampoline_kernelINS0_14default_configENS1_38merge_sort_block_merge_config_selectorIhlEEZZNS1_27merge_sort_block_merge_implIS3_PhN6thrust23THRUST_200600_302600_NS10device_ptrIlEEjNS1_19radix_merge_compareILb0ELb0EhNS0_19identity_decomposerEEEEE10hipError_tT0_T1_T2_jT3_P12ihipStream_tbPNSt15iterator_traitsISG_E10value_typeEPNSM_ISH_E10value_typeEPSI_NS1_7vsmem_tEENKUlT_SG_SH_SI_E_clIS7_S7_PlSB_EESF_SV_SG_SH_SI_EUlSV_E0_NS1_11comp_targetILNS1_3genE2ELNS1_11target_archE906ELNS1_3gpuE6ELNS1_3repE0EEENS1_38merge_mergepath_config_static_selectorELNS0_4arch9wavefront6targetE1EEEvSH_,@function
_ZN7rocprim17ROCPRIM_400000_NS6detail17trampoline_kernelINS0_14default_configENS1_38merge_sort_block_merge_config_selectorIhlEEZZNS1_27merge_sort_block_merge_implIS3_PhN6thrust23THRUST_200600_302600_NS10device_ptrIlEEjNS1_19radix_merge_compareILb0ELb0EhNS0_19identity_decomposerEEEEE10hipError_tT0_T1_T2_jT3_P12ihipStream_tbPNSt15iterator_traitsISG_E10value_typeEPNSM_ISH_E10value_typeEPSI_NS1_7vsmem_tEENKUlT_SG_SH_SI_E_clIS7_S7_PlSB_EESF_SV_SG_SH_SI_EUlSV_E0_NS1_11comp_targetILNS1_3genE2ELNS1_11target_archE906ELNS1_3gpuE6ELNS1_3repE0EEENS1_38merge_mergepath_config_static_selectorELNS0_4arch9wavefront6targetE1EEEvSH_: ; @_ZN7rocprim17ROCPRIM_400000_NS6detail17trampoline_kernelINS0_14default_configENS1_38merge_sort_block_merge_config_selectorIhlEEZZNS1_27merge_sort_block_merge_implIS3_PhN6thrust23THRUST_200600_302600_NS10device_ptrIlEEjNS1_19radix_merge_compareILb0ELb0EhNS0_19identity_decomposerEEEEE10hipError_tT0_T1_T2_jT3_P12ihipStream_tbPNSt15iterator_traitsISG_E10value_typeEPNSM_ISH_E10value_typeEPSI_NS1_7vsmem_tEENKUlT_SG_SH_SI_E_clIS7_S7_PlSB_EESF_SV_SG_SH_SI_EUlSV_E0_NS1_11comp_targetILNS1_3genE2ELNS1_11target_archE906ELNS1_3gpuE6ELNS1_3repE0EEENS1_38merge_mergepath_config_static_selectorELNS0_4arch9wavefront6targetE1EEEvSH_
; %bb.0:
	.section	.rodata,"a",@progbits
	.p2align	6, 0x0
	.amdhsa_kernel _ZN7rocprim17ROCPRIM_400000_NS6detail17trampoline_kernelINS0_14default_configENS1_38merge_sort_block_merge_config_selectorIhlEEZZNS1_27merge_sort_block_merge_implIS3_PhN6thrust23THRUST_200600_302600_NS10device_ptrIlEEjNS1_19radix_merge_compareILb0ELb0EhNS0_19identity_decomposerEEEEE10hipError_tT0_T1_T2_jT3_P12ihipStream_tbPNSt15iterator_traitsISG_E10value_typeEPNSM_ISH_E10value_typeEPSI_NS1_7vsmem_tEENKUlT_SG_SH_SI_E_clIS7_S7_PlSB_EESF_SV_SG_SH_SI_EUlSV_E0_NS1_11comp_targetILNS1_3genE2ELNS1_11target_archE906ELNS1_3gpuE6ELNS1_3repE0EEENS1_38merge_mergepath_config_static_selectorELNS0_4arch9wavefront6targetE1EEEvSH_
		.amdhsa_group_segment_fixed_size 0
		.amdhsa_private_segment_fixed_size 0
		.amdhsa_kernarg_size 64
		.amdhsa_user_sgpr_count 6
		.amdhsa_user_sgpr_private_segment_buffer 1
		.amdhsa_user_sgpr_dispatch_ptr 0
		.amdhsa_user_sgpr_queue_ptr 0
		.amdhsa_user_sgpr_kernarg_segment_ptr 1
		.amdhsa_user_sgpr_dispatch_id 0
		.amdhsa_user_sgpr_flat_scratch_init 0
		.amdhsa_user_sgpr_kernarg_preload_length 0
		.amdhsa_user_sgpr_kernarg_preload_offset 0
		.amdhsa_user_sgpr_private_segment_size 0
		.amdhsa_uses_dynamic_stack 0
		.amdhsa_system_sgpr_private_segment_wavefront_offset 0
		.amdhsa_system_sgpr_workgroup_id_x 1
		.amdhsa_system_sgpr_workgroup_id_y 0
		.amdhsa_system_sgpr_workgroup_id_z 0
		.amdhsa_system_sgpr_workgroup_info 0
		.amdhsa_system_vgpr_workitem_id 0
		.amdhsa_next_free_vgpr 1
		.amdhsa_next_free_sgpr 0
		.amdhsa_accum_offset 4
		.amdhsa_reserve_vcc 0
		.amdhsa_reserve_flat_scratch 0
		.amdhsa_float_round_mode_32 0
		.amdhsa_float_round_mode_16_64 0
		.amdhsa_float_denorm_mode_32 3
		.amdhsa_float_denorm_mode_16_64 3
		.amdhsa_dx10_clamp 1
		.amdhsa_ieee_mode 1
		.amdhsa_fp16_overflow 0
		.amdhsa_tg_split 0
		.amdhsa_exception_fp_ieee_invalid_op 0
		.amdhsa_exception_fp_denorm_src 0
		.amdhsa_exception_fp_ieee_div_zero 0
		.amdhsa_exception_fp_ieee_overflow 0
		.amdhsa_exception_fp_ieee_underflow 0
		.amdhsa_exception_fp_ieee_inexact 0
		.amdhsa_exception_int_div_zero 0
	.end_amdhsa_kernel
	.section	.text._ZN7rocprim17ROCPRIM_400000_NS6detail17trampoline_kernelINS0_14default_configENS1_38merge_sort_block_merge_config_selectorIhlEEZZNS1_27merge_sort_block_merge_implIS3_PhN6thrust23THRUST_200600_302600_NS10device_ptrIlEEjNS1_19radix_merge_compareILb0ELb0EhNS0_19identity_decomposerEEEEE10hipError_tT0_T1_T2_jT3_P12ihipStream_tbPNSt15iterator_traitsISG_E10value_typeEPNSM_ISH_E10value_typeEPSI_NS1_7vsmem_tEENKUlT_SG_SH_SI_E_clIS7_S7_PlSB_EESF_SV_SG_SH_SI_EUlSV_E0_NS1_11comp_targetILNS1_3genE2ELNS1_11target_archE906ELNS1_3gpuE6ELNS1_3repE0EEENS1_38merge_mergepath_config_static_selectorELNS0_4arch9wavefront6targetE1EEEvSH_,"axG",@progbits,_ZN7rocprim17ROCPRIM_400000_NS6detail17trampoline_kernelINS0_14default_configENS1_38merge_sort_block_merge_config_selectorIhlEEZZNS1_27merge_sort_block_merge_implIS3_PhN6thrust23THRUST_200600_302600_NS10device_ptrIlEEjNS1_19radix_merge_compareILb0ELb0EhNS0_19identity_decomposerEEEEE10hipError_tT0_T1_T2_jT3_P12ihipStream_tbPNSt15iterator_traitsISG_E10value_typeEPNSM_ISH_E10value_typeEPSI_NS1_7vsmem_tEENKUlT_SG_SH_SI_E_clIS7_S7_PlSB_EESF_SV_SG_SH_SI_EUlSV_E0_NS1_11comp_targetILNS1_3genE2ELNS1_11target_archE906ELNS1_3gpuE6ELNS1_3repE0EEENS1_38merge_mergepath_config_static_selectorELNS0_4arch9wavefront6targetE1EEEvSH_,comdat
.Lfunc_end137:
	.size	_ZN7rocprim17ROCPRIM_400000_NS6detail17trampoline_kernelINS0_14default_configENS1_38merge_sort_block_merge_config_selectorIhlEEZZNS1_27merge_sort_block_merge_implIS3_PhN6thrust23THRUST_200600_302600_NS10device_ptrIlEEjNS1_19radix_merge_compareILb0ELb0EhNS0_19identity_decomposerEEEEE10hipError_tT0_T1_T2_jT3_P12ihipStream_tbPNSt15iterator_traitsISG_E10value_typeEPNSM_ISH_E10value_typeEPSI_NS1_7vsmem_tEENKUlT_SG_SH_SI_E_clIS7_S7_PlSB_EESF_SV_SG_SH_SI_EUlSV_E0_NS1_11comp_targetILNS1_3genE2ELNS1_11target_archE906ELNS1_3gpuE6ELNS1_3repE0EEENS1_38merge_mergepath_config_static_selectorELNS0_4arch9wavefront6targetE1EEEvSH_, .Lfunc_end137-_ZN7rocprim17ROCPRIM_400000_NS6detail17trampoline_kernelINS0_14default_configENS1_38merge_sort_block_merge_config_selectorIhlEEZZNS1_27merge_sort_block_merge_implIS3_PhN6thrust23THRUST_200600_302600_NS10device_ptrIlEEjNS1_19radix_merge_compareILb0ELb0EhNS0_19identity_decomposerEEEEE10hipError_tT0_T1_T2_jT3_P12ihipStream_tbPNSt15iterator_traitsISG_E10value_typeEPNSM_ISH_E10value_typeEPSI_NS1_7vsmem_tEENKUlT_SG_SH_SI_E_clIS7_S7_PlSB_EESF_SV_SG_SH_SI_EUlSV_E0_NS1_11comp_targetILNS1_3genE2ELNS1_11target_archE906ELNS1_3gpuE6ELNS1_3repE0EEENS1_38merge_mergepath_config_static_selectorELNS0_4arch9wavefront6targetE1EEEvSH_
                                        ; -- End function
	.section	.AMDGPU.csdata,"",@progbits
; Kernel info:
; codeLenInByte = 0
; NumSgprs: 4
; NumVgprs: 0
; NumAgprs: 0
; TotalNumVgprs: 0
; ScratchSize: 0
; MemoryBound: 0
; FloatMode: 240
; IeeeMode: 1
; LDSByteSize: 0 bytes/workgroup (compile time only)
; SGPRBlocks: 0
; VGPRBlocks: 0
; NumSGPRsForWavesPerEU: 4
; NumVGPRsForWavesPerEU: 1
; AccumOffset: 4
; Occupancy: 8
; WaveLimiterHint : 0
; COMPUTE_PGM_RSRC2:SCRATCH_EN: 0
; COMPUTE_PGM_RSRC2:USER_SGPR: 6
; COMPUTE_PGM_RSRC2:TRAP_HANDLER: 0
; COMPUTE_PGM_RSRC2:TGID_X_EN: 1
; COMPUTE_PGM_RSRC2:TGID_Y_EN: 0
; COMPUTE_PGM_RSRC2:TGID_Z_EN: 0
; COMPUTE_PGM_RSRC2:TIDIG_COMP_CNT: 0
; COMPUTE_PGM_RSRC3_GFX90A:ACCUM_OFFSET: 0
; COMPUTE_PGM_RSRC3_GFX90A:TG_SPLIT: 0
	.section	.text._ZN7rocprim17ROCPRIM_400000_NS6detail17trampoline_kernelINS0_14default_configENS1_38merge_sort_block_merge_config_selectorIhlEEZZNS1_27merge_sort_block_merge_implIS3_PhN6thrust23THRUST_200600_302600_NS10device_ptrIlEEjNS1_19radix_merge_compareILb0ELb0EhNS0_19identity_decomposerEEEEE10hipError_tT0_T1_T2_jT3_P12ihipStream_tbPNSt15iterator_traitsISG_E10value_typeEPNSM_ISH_E10value_typeEPSI_NS1_7vsmem_tEENKUlT_SG_SH_SI_E_clIS7_S7_PlSB_EESF_SV_SG_SH_SI_EUlSV_E0_NS1_11comp_targetILNS1_3genE9ELNS1_11target_archE1100ELNS1_3gpuE3ELNS1_3repE0EEENS1_38merge_mergepath_config_static_selectorELNS0_4arch9wavefront6targetE1EEEvSH_,"axG",@progbits,_ZN7rocprim17ROCPRIM_400000_NS6detail17trampoline_kernelINS0_14default_configENS1_38merge_sort_block_merge_config_selectorIhlEEZZNS1_27merge_sort_block_merge_implIS3_PhN6thrust23THRUST_200600_302600_NS10device_ptrIlEEjNS1_19radix_merge_compareILb0ELb0EhNS0_19identity_decomposerEEEEE10hipError_tT0_T1_T2_jT3_P12ihipStream_tbPNSt15iterator_traitsISG_E10value_typeEPNSM_ISH_E10value_typeEPSI_NS1_7vsmem_tEENKUlT_SG_SH_SI_E_clIS7_S7_PlSB_EESF_SV_SG_SH_SI_EUlSV_E0_NS1_11comp_targetILNS1_3genE9ELNS1_11target_archE1100ELNS1_3gpuE3ELNS1_3repE0EEENS1_38merge_mergepath_config_static_selectorELNS0_4arch9wavefront6targetE1EEEvSH_,comdat
	.protected	_ZN7rocprim17ROCPRIM_400000_NS6detail17trampoline_kernelINS0_14default_configENS1_38merge_sort_block_merge_config_selectorIhlEEZZNS1_27merge_sort_block_merge_implIS3_PhN6thrust23THRUST_200600_302600_NS10device_ptrIlEEjNS1_19radix_merge_compareILb0ELb0EhNS0_19identity_decomposerEEEEE10hipError_tT0_T1_T2_jT3_P12ihipStream_tbPNSt15iterator_traitsISG_E10value_typeEPNSM_ISH_E10value_typeEPSI_NS1_7vsmem_tEENKUlT_SG_SH_SI_E_clIS7_S7_PlSB_EESF_SV_SG_SH_SI_EUlSV_E0_NS1_11comp_targetILNS1_3genE9ELNS1_11target_archE1100ELNS1_3gpuE3ELNS1_3repE0EEENS1_38merge_mergepath_config_static_selectorELNS0_4arch9wavefront6targetE1EEEvSH_ ; -- Begin function _ZN7rocprim17ROCPRIM_400000_NS6detail17trampoline_kernelINS0_14default_configENS1_38merge_sort_block_merge_config_selectorIhlEEZZNS1_27merge_sort_block_merge_implIS3_PhN6thrust23THRUST_200600_302600_NS10device_ptrIlEEjNS1_19radix_merge_compareILb0ELb0EhNS0_19identity_decomposerEEEEE10hipError_tT0_T1_T2_jT3_P12ihipStream_tbPNSt15iterator_traitsISG_E10value_typeEPNSM_ISH_E10value_typeEPSI_NS1_7vsmem_tEENKUlT_SG_SH_SI_E_clIS7_S7_PlSB_EESF_SV_SG_SH_SI_EUlSV_E0_NS1_11comp_targetILNS1_3genE9ELNS1_11target_archE1100ELNS1_3gpuE3ELNS1_3repE0EEENS1_38merge_mergepath_config_static_selectorELNS0_4arch9wavefront6targetE1EEEvSH_
	.globl	_ZN7rocprim17ROCPRIM_400000_NS6detail17trampoline_kernelINS0_14default_configENS1_38merge_sort_block_merge_config_selectorIhlEEZZNS1_27merge_sort_block_merge_implIS3_PhN6thrust23THRUST_200600_302600_NS10device_ptrIlEEjNS1_19radix_merge_compareILb0ELb0EhNS0_19identity_decomposerEEEEE10hipError_tT0_T1_T2_jT3_P12ihipStream_tbPNSt15iterator_traitsISG_E10value_typeEPNSM_ISH_E10value_typeEPSI_NS1_7vsmem_tEENKUlT_SG_SH_SI_E_clIS7_S7_PlSB_EESF_SV_SG_SH_SI_EUlSV_E0_NS1_11comp_targetILNS1_3genE9ELNS1_11target_archE1100ELNS1_3gpuE3ELNS1_3repE0EEENS1_38merge_mergepath_config_static_selectorELNS0_4arch9wavefront6targetE1EEEvSH_
	.p2align	8
	.type	_ZN7rocprim17ROCPRIM_400000_NS6detail17trampoline_kernelINS0_14default_configENS1_38merge_sort_block_merge_config_selectorIhlEEZZNS1_27merge_sort_block_merge_implIS3_PhN6thrust23THRUST_200600_302600_NS10device_ptrIlEEjNS1_19radix_merge_compareILb0ELb0EhNS0_19identity_decomposerEEEEE10hipError_tT0_T1_T2_jT3_P12ihipStream_tbPNSt15iterator_traitsISG_E10value_typeEPNSM_ISH_E10value_typeEPSI_NS1_7vsmem_tEENKUlT_SG_SH_SI_E_clIS7_S7_PlSB_EESF_SV_SG_SH_SI_EUlSV_E0_NS1_11comp_targetILNS1_3genE9ELNS1_11target_archE1100ELNS1_3gpuE3ELNS1_3repE0EEENS1_38merge_mergepath_config_static_selectorELNS0_4arch9wavefront6targetE1EEEvSH_,@function
_ZN7rocprim17ROCPRIM_400000_NS6detail17trampoline_kernelINS0_14default_configENS1_38merge_sort_block_merge_config_selectorIhlEEZZNS1_27merge_sort_block_merge_implIS3_PhN6thrust23THRUST_200600_302600_NS10device_ptrIlEEjNS1_19radix_merge_compareILb0ELb0EhNS0_19identity_decomposerEEEEE10hipError_tT0_T1_T2_jT3_P12ihipStream_tbPNSt15iterator_traitsISG_E10value_typeEPNSM_ISH_E10value_typeEPSI_NS1_7vsmem_tEENKUlT_SG_SH_SI_E_clIS7_S7_PlSB_EESF_SV_SG_SH_SI_EUlSV_E0_NS1_11comp_targetILNS1_3genE9ELNS1_11target_archE1100ELNS1_3gpuE3ELNS1_3repE0EEENS1_38merge_mergepath_config_static_selectorELNS0_4arch9wavefront6targetE1EEEvSH_: ; @_ZN7rocprim17ROCPRIM_400000_NS6detail17trampoline_kernelINS0_14default_configENS1_38merge_sort_block_merge_config_selectorIhlEEZZNS1_27merge_sort_block_merge_implIS3_PhN6thrust23THRUST_200600_302600_NS10device_ptrIlEEjNS1_19radix_merge_compareILb0ELb0EhNS0_19identity_decomposerEEEEE10hipError_tT0_T1_T2_jT3_P12ihipStream_tbPNSt15iterator_traitsISG_E10value_typeEPNSM_ISH_E10value_typeEPSI_NS1_7vsmem_tEENKUlT_SG_SH_SI_E_clIS7_S7_PlSB_EESF_SV_SG_SH_SI_EUlSV_E0_NS1_11comp_targetILNS1_3genE9ELNS1_11target_archE1100ELNS1_3gpuE3ELNS1_3repE0EEENS1_38merge_mergepath_config_static_selectorELNS0_4arch9wavefront6targetE1EEEvSH_
; %bb.0:
	.section	.rodata,"a",@progbits
	.p2align	6, 0x0
	.amdhsa_kernel _ZN7rocprim17ROCPRIM_400000_NS6detail17trampoline_kernelINS0_14default_configENS1_38merge_sort_block_merge_config_selectorIhlEEZZNS1_27merge_sort_block_merge_implIS3_PhN6thrust23THRUST_200600_302600_NS10device_ptrIlEEjNS1_19radix_merge_compareILb0ELb0EhNS0_19identity_decomposerEEEEE10hipError_tT0_T1_T2_jT3_P12ihipStream_tbPNSt15iterator_traitsISG_E10value_typeEPNSM_ISH_E10value_typeEPSI_NS1_7vsmem_tEENKUlT_SG_SH_SI_E_clIS7_S7_PlSB_EESF_SV_SG_SH_SI_EUlSV_E0_NS1_11comp_targetILNS1_3genE9ELNS1_11target_archE1100ELNS1_3gpuE3ELNS1_3repE0EEENS1_38merge_mergepath_config_static_selectorELNS0_4arch9wavefront6targetE1EEEvSH_
		.amdhsa_group_segment_fixed_size 0
		.amdhsa_private_segment_fixed_size 0
		.amdhsa_kernarg_size 64
		.amdhsa_user_sgpr_count 6
		.amdhsa_user_sgpr_private_segment_buffer 1
		.amdhsa_user_sgpr_dispatch_ptr 0
		.amdhsa_user_sgpr_queue_ptr 0
		.amdhsa_user_sgpr_kernarg_segment_ptr 1
		.amdhsa_user_sgpr_dispatch_id 0
		.amdhsa_user_sgpr_flat_scratch_init 0
		.amdhsa_user_sgpr_kernarg_preload_length 0
		.amdhsa_user_sgpr_kernarg_preload_offset 0
		.amdhsa_user_sgpr_private_segment_size 0
		.amdhsa_uses_dynamic_stack 0
		.amdhsa_system_sgpr_private_segment_wavefront_offset 0
		.amdhsa_system_sgpr_workgroup_id_x 1
		.amdhsa_system_sgpr_workgroup_id_y 0
		.amdhsa_system_sgpr_workgroup_id_z 0
		.amdhsa_system_sgpr_workgroup_info 0
		.amdhsa_system_vgpr_workitem_id 0
		.amdhsa_next_free_vgpr 1
		.amdhsa_next_free_sgpr 0
		.amdhsa_accum_offset 4
		.amdhsa_reserve_vcc 0
		.amdhsa_reserve_flat_scratch 0
		.amdhsa_float_round_mode_32 0
		.amdhsa_float_round_mode_16_64 0
		.amdhsa_float_denorm_mode_32 3
		.amdhsa_float_denorm_mode_16_64 3
		.amdhsa_dx10_clamp 1
		.amdhsa_ieee_mode 1
		.amdhsa_fp16_overflow 0
		.amdhsa_tg_split 0
		.amdhsa_exception_fp_ieee_invalid_op 0
		.amdhsa_exception_fp_denorm_src 0
		.amdhsa_exception_fp_ieee_div_zero 0
		.amdhsa_exception_fp_ieee_overflow 0
		.amdhsa_exception_fp_ieee_underflow 0
		.amdhsa_exception_fp_ieee_inexact 0
		.amdhsa_exception_int_div_zero 0
	.end_amdhsa_kernel
	.section	.text._ZN7rocprim17ROCPRIM_400000_NS6detail17trampoline_kernelINS0_14default_configENS1_38merge_sort_block_merge_config_selectorIhlEEZZNS1_27merge_sort_block_merge_implIS3_PhN6thrust23THRUST_200600_302600_NS10device_ptrIlEEjNS1_19radix_merge_compareILb0ELb0EhNS0_19identity_decomposerEEEEE10hipError_tT0_T1_T2_jT3_P12ihipStream_tbPNSt15iterator_traitsISG_E10value_typeEPNSM_ISH_E10value_typeEPSI_NS1_7vsmem_tEENKUlT_SG_SH_SI_E_clIS7_S7_PlSB_EESF_SV_SG_SH_SI_EUlSV_E0_NS1_11comp_targetILNS1_3genE9ELNS1_11target_archE1100ELNS1_3gpuE3ELNS1_3repE0EEENS1_38merge_mergepath_config_static_selectorELNS0_4arch9wavefront6targetE1EEEvSH_,"axG",@progbits,_ZN7rocprim17ROCPRIM_400000_NS6detail17trampoline_kernelINS0_14default_configENS1_38merge_sort_block_merge_config_selectorIhlEEZZNS1_27merge_sort_block_merge_implIS3_PhN6thrust23THRUST_200600_302600_NS10device_ptrIlEEjNS1_19radix_merge_compareILb0ELb0EhNS0_19identity_decomposerEEEEE10hipError_tT0_T1_T2_jT3_P12ihipStream_tbPNSt15iterator_traitsISG_E10value_typeEPNSM_ISH_E10value_typeEPSI_NS1_7vsmem_tEENKUlT_SG_SH_SI_E_clIS7_S7_PlSB_EESF_SV_SG_SH_SI_EUlSV_E0_NS1_11comp_targetILNS1_3genE9ELNS1_11target_archE1100ELNS1_3gpuE3ELNS1_3repE0EEENS1_38merge_mergepath_config_static_selectorELNS0_4arch9wavefront6targetE1EEEvSH_,comdat
.Lfunc_end138:
	.size	_ZN7rocprim17ROCPRIM_400000_NS6detail17trampoline_kernelINS0_14default_configENS1_38merge_sort_block_merge_config_selectorIhlEEZZNS1_27merge_sort_block_merge_implIS3_PhN6thrust23THRUST_200600_302600_NS10device_ptrIlEEjNS1_19radix_merge_compareILb0ELb0EhNS0_19identity_decomposerEEEEE10hipError_tT0_T1_T2_jT3_P12ihipStream_tbPNSt15iterator_traitsISG_E10value_typeEPNSM_ISH_E10value_typeEPSI_NS1_7vsmem_tEENKUlT_SG_SH_SI_E_clIS7_S7_PlSB_EESF_SV_SG_SH_SI_EUlSV_E0_NS1_11comp_targetILNS1_3genE9ELNS1_11target_archE1100ELNS1_3gpuE3ELNS1_3repE0EEENS1_38merge_mergepath_config_static_selectorELNS0_4arch9wavefront6targetE1EEEvSH_, .Lfunc_end138-_ZN7rocprim17ROCPRIM_400000_NS6detail17trampoline_kernelINS0_14default_configENS1_38merge_sort_block_merge_config_selectorIhlEEZZNS1_27merge_sort_block_merge_implIS3_PhN6thrust23THRUST_200600_302600_NS10device_ptrIlEEjNS1_19radix_merge_compareILb0ELb0EhNS0_19identity_decomposerEEEEE10hipError_tT0_T1_T2_jT3_P12ihipStream_tbPNSt15iterator_traitsISG_E10value_typeEPNSM_ISH_E10value_typeEPSI_NS1_7vsmem_tEENKUlT_SG_SH_SI_E_clIS7_S7_PlSB_EESF_SV_SG_SH_SI_EUlSV_E0_NS1_11comp_targetILNS1_3genE9ELNS1_11target_archE1100ELNS1_3gpuE3ELNS1_3repE0EEENS1_38merge_mergepath_config_static_selectorELNS0_4arch9wavefront6targetE1EEEvSH_
                                        ; -- End function
	.section	.AMDGPU.csdata,"",@progbits
; Kernel info:
; codeLenInByte = 0
; NumSgprs: 4
; NumVgprs: 0
; NumAgprs: 0
; TotalNumVgprs: 0
; ScratchSize: 0
; MemoryBound: 0
; FloatMode: 240
; IeeeMode: 1
; LDSByteSize: 0 bytes/workgroup (compile time only)
; SGPRBlocks: 0
; VGPRBlocks: 0
; NumSGPRsForWavesPerEU: 4
; NumVGPRsForWavesPerEU: 1
; AccumOffset: 4
; Occupancy: 8
; WaveLimiterHint : 0
; COMPUTE_PGM_RSRC2:SCRATCH_EN: 0
; COMPUTE_PGM_RSRC2:USER_SGPR: 6
; COMPUTE_PGM_RSRC2:TRAP_HANDLER: 0
; COMPUTE_PGM_RSRC2:TGID_X_EN: 1
; COMPUTE_PGM_RSRC2:TGID_Y_EN: 0
; COMPUTE_PGM_RSRC2:TGID_Z_EN: 0
; COMPUTE_PGM_RSRC2:TIDIG_COMP_CNT: 0
; COMPUTE_PGM_RSRC3_GFX90A:ACCUM_OFFSET: 0
; COMPUTE_PGM_RSRC3_GFX90A:TG_SPLIT: 0
	.section	.text._ZN7rocprim17ROCPRIM_400000_NS6detail17trampoline_kernelINS0_14default_configENS1_38merge_sort_block_merge_config_selectorIhlEEZZNS1_27merge_sort_block_merge_implIS3_PhN6thrust23THRUST_200600_302600_NS10device_ptrIlEEjNS1_19radix_merge_compareILb0ELb0EhNS0_19identity_decomposerEEEEE10hipError_tT0_T1_T2_jT3_P12ihipStream_tbPNSt15iterator_traitsISG_E10value_typeEPNSM_ISH_E10value_typeEPSI_NS1_7vsmem_tEENKUlT_SG_SH_SI_E_clIS7_S7_PlSB_EESF_SV_SG_SH_SI_EUlSV_E0_NS1_11comp_targetILNS1_3genE8ELNS1_11target_archE1030ELNS1_3gpuE2ELNS1_3repE0EEENS1_38merge_mergepath_config_static_selectorELNS0_4arch9wavefront6targetE1EEEvSH_,"axG",@progbits,_ZN7rocprim17ROCPRIM_400000_NS6detail17trampoline_kernelINS0_14default_configENS1_38merge_sort_block_merge_config_selectorIhlEEZZNS1_27merge_sort_block_merge_implIS3_PhN6thrust23THRUST_200600_302600_NS10device_ptrIlEEjNS1_19radix_merge_compareILb0ELb0EhNS0_19identity_decomposerEEEEE10hipError_tT0_T1_T2_jT3_P12ihipStream_tbPNSt15iterator_traitsISG_E10value_typeEPNSM_ISH_E10value_typeEPSI_NS1_7vsmem_tEENKUlT_SG_SH_SI_E_clIS7_S7_PlSB_EESF_SV_SG_SH_SI_EUlSV_E0_NS1_11comp_targetILNS1_3genE8ELNS1_11target_archE1030ELNS1_3gpuE2ELNS1_3repE0EEENS1_38merge_mergepath_config_static_selectorELNS0_4arch9wavefront6targetE1EEEvSH_,comdat
	.protected	_ZN7rocprim17ROCPRIM_400000_NS6detail17trampoline_kernelINS0_14default_configENS1_38merge_sort_block_merge_config_selectorIhlEEZZNS1_27merge_sort_block_merge_implIS3_PhN6thrust23THRUST_200600_302600_NS10device_ptrIlEEjNS1_19radix_merge_compareILb0ELb0EhNS0_19identity_decomposerEEEEE10hipError_tT0_T1_T2_jT3_P12ihipStream_tbPNSt15iterator_traitsISG_E10value_typeEPNSM_ISH_E10value_typeEPSI_NS1_7vsmem_tEENKUlT_SG_SH_SI_E_clIS7_S7_PlSB_EESF_SV_SG_SH_SI_EUlSV_E0_NS1_11comp_targetILNS1_3genE8ELNS1_11target_archE1030ELNS1_3gpuE2ELNS1_3repE0EEENS1_38merge_mergepath_config_static_selectorELNS0_4arch9wavefront6targetE1EEEvSH_ ; -- Begin function _ZN7rocprim17ROCPRIM_400000_NS6detail17trampoline_kernelINS0_14default_configENS1_38merge_sort_block_merge_config_selectorIhlEEZZNS1_27merge_sort_block_merge_implIS3_PhN6thrust23THRUST_200600_302600_NS10device_ptrIlEEjNS1_19radix_merge_compareILb0ELb0EhNS0_19identity_decomposerEEEEE10hipError_tT0_T1_T2_jT3_P12ihipStream_tbPNSt15iterator_traitsISG_E10value_typeEPNSM_ISH_E10value_typeEPSI_NS1_7vsmem_tEENKUlT_SG_SH_SI_E_clIS7_S7_PlSB_EESF_SV_SG_SH_SI_EUlSV_E0_NS1_11comp_targetILNS1_3genE8ELNS1_11target_archE1030ELNS1_3gpuE2ELNS1_3repE0EEENS1_38merge_mergepath_config_static_selectorELNS0_4arch9wavefront6targetE1EEEvSH_
	.globl	_ZN7rocprim17ROCPRIM_400000_NS6detail17trampoline_kernelINS0_14default_configENS1_38merge_sort_block_merge_config_selectorIhlEEZZNS1_27merge_sort_block_merge_implIS3_PhN6thrust23THRUST_200600_302600_NS10device_ptrIlEEjNS1_19radix_merge_compareILb0ELb0EhNS0_19identity_decomposerEEEEE10hipError_tT0_T1_T2_jT3_P12ihipStream_tbPNSt15iterator_traitsISG_E10value_typeEPNSM_ISH_E10value_typeEPSI_NS1_7vsmem_tEENKUlT_SG_SH_SI_E_clIS7_S7_PlSB_EESF_SV_SG_SH_SI_EUlSV_E0_NS1_11comp_targetILNS1_3genE8ELNS1_11target_archE1030ELNS1_3gpuE2ELNS1_3repE0EEENS1_38merge_mergepath_config_static_selectorELNS0_4arch9wavefront6targetE1EEEvSH_
	.p2align	8
	.type	_ZN7rocprim17ROCPRIM_400000_NS6detail17trampoline_kernelINS0_14default_configENS1_38merge_sort_block_merge_config_selectorIhlEEZZNS1_27merge_sort_block_merge_implIS3_PhN6thrust23THRUST_200600_302600_NS10device_ptrIlEEjNS1_19radix_merge_compareILb0ELb0EhNS0_19identity_decomposerEEEEE10hipError_tT0_T1_T2_jT3_P12ihipStream_tbPNSt15iterator_traitsISG_E10value_typeEPNSM_ISH_E10value_typeEPSI_NS1_7vsmem_tEENKUlT_SG_SH_SI_E_clIS7_S7_PlSB_EESF_SV_SG_SH_SI_EUlSV_E0_NS1_11comp_targetILNS1_3genE8ELNS1_11target_archE1030ELNS1_3gpuE2ELNS1_3repE0EEENS1_38merge_mergepath_config_static_selectorELNS0_4arch9wavefront6targetE1EEEvSH_,@function
_ZN7rocprim17ROCPRIM_400000_NS6detail17trampoline_kernelINS0_14default_configENS1_38merge_sort_block_merge_config_selectorIhlEEZZNS1_27merge_sort_block_merge_implIS3_PhN6thrust23THRUST_200600_302600_NS10device_ptrIlEEjNS1_19radix_merge_compareILb0ELb0EhNS0_19identity_decomposerEEEEE10hipError_tT0_T1_T2_jT3_P12ihipStream_tbPNSt15iterator_traitsISG_E10value_typeEPNSM_ISH_E10value_typeEPSI_NS1_7vsmem_tEENKUlT_SG_SH_SI_E_clIS7_S7_PlSB_EESF_SV_SG_SH_SI_EUlSV_E0_NS1_11comp_targetILNS1_3genE8ELNS1_11target_archE1030ELNS1_3gpuE2ELNS1_3repE0EEENS1_38merge_mergepath_config_static_selectorELNS0_4arch9wavefront6targetE1EEEvSH_: ; @_ZN7rocprim17ROCPRIM_400000_NS6detail17trampoline_kernelINS0_14default_configENS1_38merge_sort_block_merge_config_selectorIhlEEZZNS1_27merge_sort_block_merge_implIS3_PhN6thrust23THRUST_200600_302600_NS10device_ptrIlEEjNS1_19radix_merge_compareILb0ELb0EhNS0_19identity_decomposerEEEEE10hipError_tT0_T1_T2_jT3_P12ihipStream_tbPNSt15iterator_traitsISG_E10value_typeEPNSM_ISH_E10value_typeEPSI_NS1_7vsmem_tEENKUlT_SG_SH_SI_E_clIS7_S7_PlSB_EESF_SV_SG_SH_SI_EUlSV_E0_NS1_11comp_targetILNS1_3genE8ELNS1_11target_archE1030ELNS1_3gpuE2ELNS1_3repE0EEENS1_38merge_mergepath_config_static_selectorELNS0_4arch9wavefront6targetE1EEEvSH_
; %bb.0:
	.section	.rodata,"a",@progbits
	.p2align	6, 0x0
	.amdhsa_kernel _ZN7rocprim17ROCPRIM_400000_NS6detail17trampoline_kernelINS0_14default_configENS1_38merge_sort_block_merge_config_selectorIhlEEZZNS1_27merge_sort_block_merge_implIS3_PhN6thrust23THRUST_200600_302600_NS10device_ptrIlEEjNS1_19radix_merge_compareILb0ELb0EhNS0_19identity_decomposerEEEEE10hipError_tT0_T1_T2_jT3_P12ihipStream_tbPNSt15iterator_traitsISG_E10value_typeEPNSM_ISH_E10value_typeEPSI_NS1_7vsmem_tEENKUlT_SG_SH_SI_E_clIS7_S7_PlSB_EESF_SV_SG_SH_SI_EUlSV_E0_NS1_11comp_targetILNS1_3genE8ELNS1_11target_archE1030ELNS1_3gpuE2ELNS1_3repE0EEENS1_38merge_mergepath_config_static_selectorELNS0_4arch9wavefront6targetE1EEEvSH_
		.amdhsa_group_segment_fixed_size 0
		.amdhsa_private_segment_fixed_size 0
		.amdhsa_kernarg_size 64
		.amdhsa_user_sgpr_count 6
		.amdhsa_user_sgpr_private_segment_buffer 1
		.amdhsa_user_sgpr_dispatch_ptr 0
		.amdhsa_user_sgpr_queue_ptr 0
		.amdhsa_user_sgpr_kernarg_segment_ptr 1
		.amdhsa_user_sgpr_dispatch_id 0
		.amdhsa_user_sgpr_flat_scratch_init 0
		.amdhsa_user_sgpr_kernarg_preload_length 0
		.amdhsa_user_sgpr_kernarg_preload_offset 0
		.amdhsa_user_sgpr_private_segment_size 0
		.amdhsa_uses_dynamic_stack 0
		.amdhsa_system_sgpr_private_segment_wavefront_offset 0
		.amdhsa_system_sgpr_workgroup_id_x 1
		.amdhsa_system_sgpr_workgroup_id_y 0
		.amdhsa_system_sgpr_workgroup_id_z 0
		.amdhsa_system_sgpr_workgroup_info 0
		.amdhsa_system_vgpr_workitem_id 0
		.amdhsa_next_free_vgpr 1
		.amdhsa_next_free_sgpr 0
		.amdhsa_accum_offset 4
		.amdhsa_reserve_vcc 0
		.amdhsa_reserve_flat_scratch 0
		.amdhsa_float_round_mode_32 0
		.amdhsa_float_round_mode_16_64 0
		.amdhsa_float_denorm_mode_32 3
		.amdhsa_float_denorm_mode_16_64 3
		.amdhsa_dx10_clamp 1
		.amdhsa_ieee_mode 1
		.amdhsa_fp16_overflow 0
		.amdhsa_tg_split 0
		.amdhsa_exception_fp_ieee_invalid_op 0
		.amdhsa_exception_fp_denorm_src 0
		.amdhsa_exception_fp_ieee_div_zero 0
		.amdhsa_exception_fp_ieee_overflow 0
		.amdhsa_exception_fp_ieee_underflow 0
		.amdhsa_exception_fp_ieee_inexact 0
		.amdhsa_exception_int_div_zero 0
	.end_amdhsa_kernel
	.section	.text._ZN7rocprim17ROCPRIM_400000_NS6detail17trampoline_kernelINS0_14default_configENS1_38merge_sort_block_merge_config_selectorIhlEEZZNS1_27merge_sort_block_merge_implIS3_PhN6thrust23THRUST_200600_302600_NS10device_ptrIlEEjNS1_19radix_merge_compareILb0ELb0EhNS0_19identity_decomposerEEEEE10hipError_tT0_T1_T2_jT3_P12ihipStream_tbPNSt15iterator_traitsISG_E10value_typeEPNSM_ISH_E10value_typeEPSI_NS1_7vsmem_tEENKUlT_SG_SH_SI_E_clIS7_S7_PlSB_EESF_SV_SG_SH_SI_EUlSV_E0_NS1_11comp_targetILNS1_3genE8ELNS1_11target_archE1030ELNS1_3gpuE2ELNS1_3repE0EEENS1_38merge_mergepath_config_static_selectorELNS0_4arch9wavefront6targetE1EEEvSH_,"axG",@progbits,_ZN7rocprim17ROCPRIM_400000_NS6detail17trampoline_kernelINS0_14default_configENS1_38merge_sort_block_merge_config_selectorIhlEEZZNS1_27merge_sort_block_merge_implIS3_PhN6thrust23THRUST_200600_302600_NS10device_ptrIlEEjNS1_19radix_merge_compareILb0ELb0EhNS0_19identity_decomposerEEEEE10hipError_tT0_T1_T2_jT3_P12ihipStream_tbPNSt15iterator_traitsISG_E10value_typeEPNSM_ISH_E10value_typeEPSI_NS1_7vsmem_tEENKUlT_SG_SH_SI_E_clIS7_S7_PlSB_EESF_SV_SG_SH_SI_EUlSV_E0_NS1_11comp_targetILNS1_3genE8ELNS1_11target_archE1030ELNS1_3gpuE2ELNS1_3repE0EEENS1_38merge_mergepath_config_static_selectorELNS0_4arch9wavefront6targetE1EEEvSH_,comdat
.Lfunc_end139:
	.size	_ZN7rocprim17ROCPRIM_400000_NS6detail17trampoline_kernelINS0_14default_configENS1_38merge_sort_block_merge_config_selectorIhlEEZZNS1_27merge_sort_block_merge_implIS3_PhN6thrust23THRUST_200600_302600_NS10device_ptrIlEEjNS1_19radix_merge_compareILb0ELb0EhNS0_19identity_decomposerEEEEE10hipError_tT0_T1_T2_jT3_P12ihipStream_tbPNSt15iterator_traitsISG_E10value_typeEPNSM_ISH_E10value_typeEPSI_NS1_7vsmem_tEENKUlT_SG_SH_SI_E_clIS7_S7_PlSB_EESF_SV_SG_SH_SI_EUlSV_E0_NS1_11comp_targetILNS1_3genE8ELNS1_11target_archE1030ELNS1_3gpuE2ELNS1_3repE0EEENS1_38merge_mergepath_config_static_selectorELNS0_4arch9wavefront6targetE1EEEvSH_, .Lfunc_end139-_ZN7rocprim17ROCPRIM_400000_NS6detail17trampoline_kernelINS0_14default_configENS1_38merge_sort_block_merge_config_selectorIhlEEZZNS1_27merge_sort_block_merge_implIS3_PhN6thrust23THRUST_200600_302600_NS10device_ptrIlEEjNS1_19radix_merge_compareILb0ELb0EhNS0_19identity_decomposerEEEEE10hipError_tT0_T1_T2_jT3_P12ihipStream_tbPNSt15iterator_traitsISG_E10value_typeEPNSM_ISH_E10value_typeEPSI_NS1_7vsmem_tEENKUlT_SG_SH_SI_E_clIS7_S7_PlSB_EESF_SV_SG_SH_SI_EUlSV_E0_NS1_11comp_targetILNS1_3genE8ELNS1_11target_archE1030ELNS1_3gpuE2ELNS1_3repE0EEENS1_38merge_mergepath_config_static_selectorELNS0_4arch9wavefront6targetE1EEEvSH_
                                        ; -- End function
	.section	.AMDGPU.csdata,"",@progbits
; Kernel info:
; codeLenInByte = 0
; NumSgprs: 4
; NumVgprs: 0
; NumAgprs: 0
; TotalNumVgprs: 0
; ScratchSize: 0
; MemoryBound: 0
; FloatMode: 240
; IeeeMode: 1
; LDSByteSize: 0 bytes/workgroup (compile time only)
; SGPRBlocks: 0
; VGPRBlocks: 0
; NumSGPRsForWavesPerEU: 4
; NumVGPRsForWavesPerEU: 1
; AccumOffset: 4
; Occupancy: 8
; WaveLimiterHint : 0
; COMPUTE_PGM_RSRC2:SCRATCH_EN: 0
; COMPUTE_PGM_RSRC2:USER_SGPR: 6
; COMPUTE_PGM_RSRC2:TRAP_HANDLER: 0
; COMPUTE_PGM_RSRC2:TGID_X_EN: 1
; COMPUTE_PGM_RSRC2:TGID_Y_EN: 0
; COMPUTE_PGM_RSRC2:TGID_Z_EN: 0
; COMPUTE_PGM_RSRC2:TIDIG_COMP_CNT: 0
; COMPUTE_PGM_RSRC3_GFX90A:ACCUM_OFFSET: 0
; COMPUTE_PGM_RSRC3_GFX90A:TG_SPLIT: 0
	.section	.text._ZN7rocprim17ROCPRIM_400000_NS6detail17trampoline_kernelINS0_14default_configENS1_38merge_sort_block_merge_config_selectorIhlEEZZNS1_27merge_sort_block_merge_implIS3_PhN6thrust23THRUST_200600_302600_NS10device_ptrIlEEjNS1_19radix_merge_compareILb0ELb0EhNS0_19identity_decomposerEEEEE10hipError_tT0_T1_T2_jT3_P12ihipStream_tbPNSt15iterator_traitsISG_E10value_typeEPNSM_ISH_E10value_typeEPSI_NS1_7vsmem_tEENKUlT_SG_SH_SI_E_clIS7_S7_PlSB_EESF_SV_SG_SH_SI_EUlSV_E1_NS1_11comp_targetILNS1_3genE0ELNS1_11target_archE4294967295ELNS1_3gpuE0ELNS1_3repE0EEENS1_36merge_oddeven_config_static_selectorELNS0_4arch9wavefront6targetE1EEEvSH_,"axG",@progbits,_ZN7rocprim17ROCPRIM_400000_NS6detail17trampoline_kernelINS0_14default_configENS1_38merge_sort_block_merge_config_selectorIhlEEZZNS1_27merge_sort_block_merge_implIS3_PhN6thrust23THRUST_200600_302600_NS10device_ptrIlEEjNS1_19radix_merge_compareILb0ELb0EhNS0_19identity_decomposerEEEEE10hipError_tT0_T1_T2_jT3_P12ihipStream_tbPNSt15iterator_traitsISG_E10value_typeEPNSM_ISH_E10value_typeEPSI_NS1_7vsmem_tEENKUlT_SG_SH_SI_E_clIS7_S7_PlSB_EESF_SV_SG_SH_SI_EUlSV_E1_NS1_11comp_targetILNS1_3genE0ELNS1_11target_archE4294967295ELNS1_3gpuE0ELNS1_3repE0EEENS1_36merge_oddeven_config_static_selectorELNS0_4arch9wavefront6targetE1EEEvSH_,comdat
	.protected	_ZN7rocprim17ROCPRIM_400000_NS6detail17trampoline_kernelINS0_14default_configENS1_38merge_sort_block_merge_config_selectorIhlEEZZNS1_27merge_sort_block_merge_implIS3_PhN6thrust23THRUST_200600_302600_NS10device_ptrIlEEjNS1_19radix_merge_compareILb0ELb0EhNS0_19identity_decomposerEEEEE10hipError_tT0_T1_T2_jT3_P12ihipStream_tbPNSt15iterator_traitsISG_E10value_typeEPNSM_ISH_E10value_typeEPSI_NS1_7vsmem_tEENKUlT_SG_SH_SI_E_clIS7_S7_PlSB_EESF_SV_SG_SH_SI_EUlSV_E1_NS1_11comp_targetILNS1_3genE0ELNS1_11target_archE4294967295ELNS1_3gpuE0ELNS1_3repE0EEENS1_36merge_oddeven_config_static_selectorELNS0_4arch9wavefront6targetE1EEEvSH_ ; -- Begin function _ZN7rocprim17ROCPRIM_400000_NS6detail17trampoline_kernelINS0_14default_configENS1_38merge_sort_block_merge_config_selectorIhlEEZZNS1_27merge_sort_block_merge_implIS3_PhN6thrust23THRUST_200600_302600_NS10device_ptrIlEEjNS1_19radix_merge_compareILb0ELb0EhNS0_19identity_decomposerEEEEE10hipError_tT0_T1_T2_jT3_P12ihipStream_tbPNSt15iterator_traitsISG_E10value_typeEPNSM_ISH_E10value_typeEPSI_NS1_7vsmem_tEENKUlT_SG_SH_SI_E_clIS7_S7_PlSB_EESF_SV_SG_SH_SI_EUlSV_E1_NS1_11comp_targetILNS1_3genE0ELNS1_11target_archE4294967295ELNS1_3gpuE0ELNS1_3repE0EEENS1_36merge_oddeven_config_static_selectorELNS0_4arch9wavefront6targetE1EEEvSH_
	.globl	_ZN7rocprim17ROCPRIM_400000_NS6detail17trampoline_kernelINS0_14default_configENS1_38merge_sort_block_merge_config_selectorIhlEEZZNS1_27merge_sort_block_merge_implIS3_PhN6thrust23THRUST_200600_302600_NS10device_ptrIlEEjNS1_19radix_merge_compareILb0ELb0EhNS0_19identity_decomposerEEEEE10hipError_tT0_T1_T2_jT3_P12ihipStream_tbPNSt15iterator_traitsISG_E10value_typeEPNSM_ISH_E10value_typeEPSI_NS1_7vsmem_tEENKUlT_SG_SH_SI_E_clIS7_S7_PlSB_EESF_SV_SG_SH_SI_EUlSV_E1_NS1_11comp_targetILNS1_3genE0ELNS1_11target_archE4294967295ELNS1_3gpuE0ELNS1_3repE0EEENS1_36merge_oddeven_config_static_selectorELNS0_4arch9wavefront6targetE1EEEvSH_
	.p2align	8
	.type	_ZN7rocprim17ROCPRIM_400000_NS6detail17trampoline_kernelINS0_14default_configENS1_38merge_sort_block_merge_config_selectorIhlEEZZNS1_27merge_sort_block_merge_implIS3_PhN6thrust23THRUST_200600_302600_NS10device_ptrIlEEjNS1_19radix_merge_compareILb0ELb0EhNS0_19identity_decomposerEEEEE10hipError_tT0_T1_T2_jT3_P12ihipStream_tbPNSt15iterator_traitsISG_E10value_typeEPNSM_ISH_E10value_typeEPSI_NS1_7vsmem_tEENKUlT_SG_SH_SI_E_clIS7_S7_PlSB_EESF_SV_SG_SH_SI_EUlSV_E1_NS1_11comp_targetILNS1_3genE0ELNS1_11target_archE4294967295ELNS1_3gpuE0ELNS1_3repE0EEENS1_36merge_oddeven_config_static_selectorELNS0_4arch9wavefront6targetE1EEEvSH_,@function
_ZN7rocprim17ROCPRIM_400000_NS6detail17trampoline_kernelINS0_14default_configENS1_38merge_sort_block_merge_config_selectorIhlEEZZNS1_27merge_sort_block_merge_implIS3_PhN6thrust23THRUST_200600_302600_NS10device_ptrIlEEjNS1_19radix_merge_compareILb0ELb0EhNS0_19identity_decomposerEEEEE10hipError_tT0_T1_T2_jT3_P12ihipStream_tbPNSt15iterator_traitsISG_E10value_typeEPNSM_ISH_E10value_typeEPSI_NS1_7vsmem_tEENKUlT_SG_SH_SI_E_clIS7_S7_PlSB_EESF_SV_SG_SH_SI_EUlSV_E1_NS1_11comp_targetILNS1_3genE0ELNS1_11target_archE4294967295ELNS1_3gpuE0ELNS1_3repE0EEENS1_36merge_oddeven_config_static_selectorELNS0_4arch9wavefront6targetE1EEEvSH_: ; @_ZN7rocprim17ROCPRIM_400000_NS6detail17trampoline_kernelINS0_14default_configENS1_38merge_sort_block_merge_config_selectorIhlEEZZNS1_27merge_sort_block_merge_implIS3_PhN6thrust23THRUST_200600_302600_NS10device_ptrIlEEjNS1_19radix_merge_compareILb0ELb0EhNS0_19identity_decomposerEEEEE10hipError_tT0_T1_T2_jT3_P12ihipStream_tbPNSt15iterator_traitsISG_E10value_typeEPNSM_ISH_E10value_typeEPSI_NS1_7vsmem_tEENKUlT_SG_SH_SI_E_clIS7_S7_PlSB_EESF_SV_SG_SH_SI_EUlSV_E1_NS1_11comp_targetILNS1_3genE0ELNS1_11target_archE4294967295ELNS1_3gpuE0ELNS1_3repE0EEENS1_36merge_oddeven_config_static_selectorELNS0_4arch9wavefront6targetE1EEEvSH_
; %bb.0:
	.section	.rodata,"a",@progbits
	.p2align	6, 0x0
	.amdhsa_kernel _ZN7rocprim17ROCPRIM_400000_NS6detail17trampoline_kernelINS0_14default_configENS1_38merge_sort_block_merge_config_selectorIhlEEZZNS1_27merge_sort_block_merge_implIS3_PhN6thrust23THRUST_200600_302600_NS10device_ptrIlEEjNS1_19radix_merge_compareILb0ELb0EhNS0_19identity_decomposerEEEEE10hipError_tT0_T1_T2_jT3_P12ihipStream_tbPNSt15iterator_traitsISG_E10value_typeEPNSM_ISH_E10value_typeEPSI_NS1_7vsmem_tEENKUlT_SG_SH_SI_E_clIS7_S7_PlSB_EESF_SV_SG_SH_SI_EUlSV_E1_NS1_11comp_targetILNS1_3genE0ELNS1_11target_archE4294967295ELNS1_3gpuE0ELNS1_3repE0EEENS1_36merge_oddeven_config_static_selectorELNS0_4arch9wavefront6targetE1EEEvSH_
		.amdhsa_group_segment_fixed_size 0
		.amdhsa_private_segment_fixed_size 0
		.amdhsa_kernarg_size 48
		.amdhsa_user_sgpr_count 6
		.amdhsa_user_sgpr_private_segment_buffer 1
		.amdhsa_user_sgpr_dispatch_ptr 0
		.amdhsa_user_sgpr_queue_ptr 0
		.amdhsa_user_sgpr_kernarg_segment_ptr 1
		.amdhsa_user_sgpr_dispatch_id 0
		.amdhsa_user_sgpr_flat_scratch_init 0
		.amdhsa_user_sgpr_kernarg_preload_length 0
		.amdhsa_user_sgpr_kernarg_preload_offset 0
		.amdhsa_user_sgpr_private_segment_size 0
		.amdhsa_uses_dynamic_stack 0
		.amdhsa_system_sgpr_private_segment_wavefront_offset 0
		.amdhsa_system_sgpr_workgroup_id_x 1
		.amdhsa_system_sgpr_workgroup_id_y 0
		.amdhsa_system_sgpr_workgroup_id_z 0
		.amdhsa_system_sgpr_workgroup_info 0
		.amdhsa_system_vgpr_workitem_id 0
		.amdhsa_next_free_vgpr 1
		.amdhsa_next_free_sgpr 0
		.amdhsa_accum_offset 4
		.amdhsa_reserve_vcc 0
		.amdhsa_reserve_flat_scratch 0
		.amdhsa_float_round_mode_32 0
		.amdhsa_float_round_mode_16_64 0
		.amdhsa_float_denorm_mode_32 3
		.amdhsa_float_denorm_mode_16_64 3
		.amdhsa_dx10_clamp 1
		.amdhsa_ieee_mode 1
		.amdhsa_fp16_overflow 0
		.amdhsa_tg_split 0
		.amdhsa_exception_fp_ieee_invalid_op 0
		.amdhsa_exception_fp_denorm_src 0
		.amdhsa_exception_fp_ieee_div_zero 0
		.amdhsa_exception_fp_ieee_overflow 0
		.amdhsa_exception_fp_ieee_underflow 0
		.amdhsa_exception_fp_ieee_inexact 0
		.amdhsa_exception_int_div_zero 0
	.end_amdhsa_kernel
	.section	.text._ZN7rocprim17ROCPRIM_400000_NS6detail17trampoline_kernelINS0_14default_configENS1_38merge_sort_block_merge_config_selectorIhlEEZZNS1_27merge_sort_block_merge_implIS3_PhN6thrust23THRUST_200600_302600_NS10device_ptrIlEEjNS1_19radix_merge_compareILb0ELb0EhNS0_19identity_decomposerEEEEE10hipError_tT0_T1_T2_jT3_P12ihipStream_tbPNSt15iterator_traitsISG_E10value_typeEPNSM_ISH_E10value_typeEPSI_NS1_7vsmem_tEENKUlT_SG_SH_SI_E_clIS7_S7_PlSB_EESF_SV_SG_SH_SI_EUlSV_E1_NS1_11comp_targetILNS1_3genE0ELNS1_11target_archE4294967295ELNS1_3gpuE0ELNS1_3repE0EEENS1_36merge_oddeven_config_static_selectorELNS0_4arch9wavefront6targetE1EEEvSH_,"axG",@progbits,_ZN7rocprim17ROCPRIM_400000_NS6detail17trampoline_kernelINS0_14default_configENS1_38merge_sort_block_merge_config_selectorIhlEEZZNS1_27merge_sort_block_merge_implIS3_PhN6thrust23THRUST_200600_302600_NS10device_ptrIlEEjNS1_19radix_merge_compareILb0ELb0EhNS0_19identity_decomposerEEEEE10hipError_tT0_T1_T2_jT3_P12ihipStream_tbPNSt15iterator_traitsISG_E10value_typeEPNSM_ISH_E10value_typeEPSI_NS1_7vsmem_tEENKUlT_SG_SH_SI_E_clIS7_S7_PlSB_EESF_SV_SG_SH_SI_EUlSV_E1_NS1_11comp_targetILNS1_3genE0ELNS1_11target_archE4294967295ELNS1_3gpuE0ELNS1_3repE0EEENS1_36merge_oddeven_config_static_selectorELNS0_4arch9wavefront6targetE1EEEvSH_,comdat
.Lfunc_end140:
	.size	_ZN7rocprim17ROCPRIM_400000_NS6detail17trampoline_kernelINS0_14default_configENS1_38merge_sort_block_merge_config_selectorIhlEEZZNS1_27merge_sort_block_merge_implIS3_PhN6thrust23THRUST_200600_302600_NS10device_ptrIlEEjNS1_19radix_merge_compareILb0ELb0EhNS0_19identity_decomposerEEEEE10hipError_tT0_T1_T2_jT3_P12ihipStream_tbPNSt15iterator_traitsISG_E10value_typeEPNSM_ISH_E10value_typeEPSI_NS1_7vsmem_tEENKUlT_SG_SH_SI_E_clIS7_S7_PlSB_EESF_SV_SG_SH_SI_EUlSV_E1_NS1_11comp_targetILNS1_3genE0ELNS1_11target_archE4294967295ELNS1_3gpuE0ELNS1_3repE0EEENS1_36merge_oddeven_config_static_selectorELNS0_4arch9wavefront6targetE1EEEvSH_, .Lfunc_end140-_ZN7rocprim17ROCPRIM_400000_NS6detail17trampoline_kernelINS0_14default_configENS1_38merge_sort_block_merge_config_selectorIhlEEZZNS1_27merge_sort_block_merge_implIS3_PhN6thrust23THRUST_200600_302600_NS10device_ptrIlEEjNS1_19radix_merge_compareILb0ELb0EhNS0_19identity_decomposerEEEEE10hipError_tT0_T1_T2_jT3_P12ihipStream_tbPNSt15iterator_traitsISG_E10value_typeEPNSM_ISH_E10value_typeEPSI_NS1_7vsmem_tEENKUlT_SG_SH_SI_E_clIS7_S7_PlSB_EESF_SV_SG_SH_SI_EUlSV_E1_NS1_11comp_targetILNS1_3genE0ELNS1_11target_archE4294967295ELNS1_3gpuE0ELNS1_3repE0EEENS1_36merge_oddeven_config_static_selectorELNS0_4arch9wavefront6targetE1EEEvSH_
                                        ; -- End function
	.section	.AMDGPU.csdata,"",@progbits
; Kernel info:
; codeLenInByte = 0
; NumSgprs: 4
; NumVgprs: 0
; NumAgprs: 0
; TotalNumVgprs: 0
; ScratchSize: 0
; MemoryBound: 0
; FloatMode: 240
; IeeeMode: 1
; LDSByteSize: 0 bytes/workgroup (compile time only)
; SGPRBlocks: 0
; VGPRBlocks: 0
; NumSGPRsForWavesPerEU: 4
; NumVGPRsForWavesPerEU: 1
; AccumOffset: 4
; Occupancy: 8
; WaveLimiterHint : 0
; COMPUTE_PGM_RSRC2:SCRATCH_EN: 0
; COMPUTE_PGM_RSRC2:USER_SGPR: 6
; COMPUTE_PGM_RSRC2:TRAP_HANDLER: 0
; COMPUTE_PGM_RSRC2:TGID_X_EN: 1
; COMPUTE_PGM_RSRC2:TGID_Y_EN: 0
; COMPUTE_PGM_RSRC2:TGID_Z_EN: 0
; COMPUTE_PGM_RSRC2:TIDIG_COMP_CNT: 0
; COMPUTE_PGM_RSRC3_GFX90A:ACCUM_OFFSET: 0
; COMPUTE_PGM_RSRC3_GFX90A:TG_SPLIT: 0
	.section	.text._ZN7rocprim17ROCPRIM_400000_NS6detail17trampoline_kernelINS0_14default_configENS1_38merge_sort_block_merge_config_selectorIhlEEZZNS1_27merge_sort_block_merge_implIS3_PhN6thrust23THRUST_200600_302600_NS10device_ptrIlEEjNS1_19radix_merge_compareILb0ELb0EhNS0_19identity_decomposerEEEEE10hipError_tT0_T1_T2_jT3_P12ihipStream_tbPNSt15iterator_traitsISG_E10value_typeEPNSM_ISH_E10value_typeEPSI_NS1_7vsmem_tEENKUlT_SG_SH_SI_E_clIS7_S7_PlSB_EESF_SV_SG_SH_SI_EUlSV_E1_NS1_11comp_targetILNS1_3genE10ELNS1_11target_archE1201ELNS1_3gpuE5ELNS1_3repE0EEENS1_36merge_oddeven_config_static_selectorELNS0_4arch9wavefront6targetE1EEEvSH_,"axG",@progbits,_ZN7rocprim17ROCPRIM_400000_NS6detail17trampoline_kernelINS0_14default_configENS1_38merge_sort_block_merge_config_selectorIhlEEZZNS1_27merge_sort_block_merge_implIS3_PhN6thrust23THRUST_200600_302600_NS10device_ptrIlEEjNS1_19radix_merge_compareILb0ELb0EhNS0_19identity_decomposerEEEEE10hipError_tT0_T1_T2_jT3_P12ihipStream_tbPNSt15iterator_traitsISG_E10value_typeEPNSM_ISH_E10value_typeEPSI_NS1_7vsmem_tEENKUlT_SG_SH_SI_E_clIS7_S7_PlSB_EESF_SV_SG_SH_SI_EUlSV_E1_NS1_11comp_targetILNS1_3genE10ELNS1_11target_archE1201ELNS1_3gpuE5ELNS1_3repE0EEENS1_36merge_oddeven_config_static_selectorELNS0_4arch9wavefront6targetE1EEEvSH_,comdat
	.protected	_ZN7rocprim17ROCPRIM_400000_NS6detail17trampoline_kernelINS0_14default_configENS1_38merge_sort_block_merge_config_selectorIhlEEZZNS1_27merge_sort_block_merge_implIS3_PhN6thrust23THRUST_200600_302600_NS10device_ptrIlEEjNS1_19radix_merge_compareILb0ELb0EhNS0_19identity_decomposerEEEEE10hipError_tT0_T1_T2_jT3_P12ihipStream_tbPNSt15iterator_traitsISG_E10value_typeEPNSM_ISH_E10value_typeEPSI_NS1_7vsmem_tEENKUlT_SG_SH_SI_E_clIS7_S7_PlSB_EESF_SV_SG_SH_SI_EUlSV_E1_NS1_11comp_targetILNS1_3genE10ELNS1_11target_archE1201ELNS1_3gpuE5ELNS1_3repE0EEENS1_36merge_oddeven_config_static_selectorELNS0_4arch9wavefront6targetE1EEEvSH_ ; -- Begin function _ZN7rocprim17ROCPRIM_400000_NS6detail17trampoline_kernelINS0_14default_configENS1_38merge_sort_block_merge_config_selectorIhlEEZZNS1_27merge_sort_block_merge_implIS3_PhN6thrust23THRUST_200600_302600_NS10device_ptrIlEEjNS1_19radix_merge_compareILb0ELb0EhNS0_19identity_decomposerEEEEE10hipError_tT0_T1_T2_jT3_P12ihipStream_tbPNSt15iterator_traitsISG_E10value_typeEPNSM_ISH_E10value_typeEPSI_NS1_7vsmem_tEENKUlT_SG_SH_SI_E_clIS7_S7_PlSB_EESF_SV_SG_SH_SI_EUlSV_E1_NS1_11comp_targetILNS1_3genE10ELNS1_11target_archE1201ELNS1_3gpuE5ELNS1_3repE0EEENS1_36merge_oddeven_config_static_selectorELNS0_4arch9wavefront6targetE1EEEvSH_
	.globl	_ZN7rocprim17ROCPRIM_400000_NS6detail17trampoline_kernelINS0_14default_configENS1_38merge_sort_block_merge_config_selectorIhlEEZZNS1_27merge_sort_block_merge_implIS3_PhN6thrust23THRUST_200600_302600_NS10device_ptrIlEEjNS1_19radix_merge_compareILb0ELb0EhNS0_19identity_decomposerEEEEE10hipError_tT0_T1_T2_jT3_P12ihipStream_tbPNSt15iterator_traitsISG_E10value_typeEPNSM_ISH_E10value_typeEPSI_NS1_7vsmem_tEENKUlT_SG_SH_SI_E_clIS7_S7_PlSB_EESF_SV_SG_SH_SI_EUlSV_E1_NS1_11comp_targetILNS1_3genE10ELNS1_11target_archE1201ELNS1_3gpuE5ELNS1_3repE0EEENS1_36merge_oddeven_config_static_selectorELNS0_4arch9wavefront6targetE1EEEvSH_
	.p2align	8
	.type	_ZN7rocprim17ROCPRIM_400000_NS6detail17trampoline_kernelINS0_14default_configENS1_38merge_sort_block_merge_config_selectorIhlEEZZNS1_27merge_sort_block_merge_implIS3_PhN6thrust23THRUST_200600_302600_NS10device_ptrIlEEjNS1_19radix_merge_compareILb0ELb0EhNS0_19identity_decomposerEEEEE10hipError_tT0_T1_T2_jT3_P12ihipStream_tbPNSt15iterator_traitsISG_E10value_typeEPNSM_ISH_E10value_typeEPSI_NS1_7vsmem_tEENKUlT_SG_SH_SI_E_clIS7_S7_PlSB_EESF_SV_SG_SH_SI_EUlSV_E1_NS1_11comp_targetILNS1_3genE10ELNS1_11target_archE1201ELNS1_3gpuE5ELNS1_3repE0EEENS1_36merge_oddeven_config_static_selectorELNS0_4arch9wavefront6targetE1EEEvSH_,@function
_ZN7rocprim17ROCPRIM_400000_NS6detail17trampoline_kernelINS0_14default_configENS1_38merge_sort_block_merge_config_selectorIhlEEZZNS1_27merge_sort_block_merge_implIS3_PhN6thrust23THRUST_200600_302600_NS10device_ptrIlEEjNS1_19radix_merge_compareILb0ELb0EhNS0_19identity_decomposerEEEEE10hipError_tT0_T1_T2_jT3_P12ihipStream_tbPNSt15iterator_traitsISG_E10value_typeEPNSM_ISH_E10value_typeEPSI_NS1_7vsmem_tEENKUlT_SG_SH_SI_E_clIS7_S7_PlSB_EESF_SV_SG_SH_SI_EUlSV_E1_NS1_11comp_targetILNS1_3genE10ELNS1_11target_archE1201ELNS1_3gpuE5ELNS1_3repE0EEENS1_36merge_oddeven_config_static_selectorELNS0_4arch9wavefront6targetE1EEEvSH_: ; @_ZN7rocprim17ROCPRIM_400000_NS6detail17trampoline_kernelINS0_14default_configENS1_38merge_sort_block_merge_config_selectorIhlEEZZNS1_27merge_sort_block_merge_implIS3_PhN6thrust23THRUST_200600_302600_NS10device_ptrIlEEjNS1_19radix_merge_compareILb0ELb0EhNS0_19identity_decomposerEEEEE10hipError_tT0_T1_T2_jT3_P12ihipStream_tbPNSt15iterator_traitsISG_E10value_typeEPNSM_ISH_E10value_typeEPSI_NS1_7vsmem_tEENKUlT_SG_SH_SI_E_clIS7_S7_PlSB_EESF_SV_SG_SH_SI_EUlSV_E1_NS1_11comp_targetILNS1_3genE10ELNS1_11target_archE1201ELNS1_3gpuE5ELNS1_3repE0EEENS1_36merge_oddeven_config_static_selectorELNS0_4arch9wavefront6targetE1EEEvSH_
; %bb.0:
	.section	.rodata,"a",@progbits
	.p2align	6, 0x0
	.amdhsa_kernel _ZN7rocprim17ROCPRIM_400000_NS6detail17trampoline_kernelINS0_14default_configENS1_38merge_sort_block_merge_config_selectorIhlEEZZNS1_27merge_sort_block_merge_implIS3_PhN6thrust23THRUST_200600_302600_NS10device_ptrIlEEjNS1_19radix_merge_compareILb0ELb0EhNS0_19identity_decomposerEEEEE10hipError_tT0_T1_T2_jT3_P12ihipStream_tbPNSt15iterator_traitsISG_E10value_typeEPNSM_ISH_E10value_typeEPSI_NS1_7vsmem_tEENKUlT_SG_SH_SI_E_clIS7_S7_PlSB_EESF_SV_SG_SH_SI_EUlSV_E1_NS1_11comp_targetILNS1_3genE10ELNS1_11target_archE1201ELNS1_3gpuE5ELNS1_3repE0EEENS1_36merge_oddeven_config_static_selectorELNS0_4arch9wavefront6targetE1EEEvSH_
		.amdhsa_group_segment_fixed_size 0
		.amdhsa_private_segment_fixed_size 0
		.amdhsa_kernarg_size 48
		.amdhsa_user_sgpr_count 6
		.amdhsa_user_sgpr_private_segment_buffer 1
		.amdhsa_user_sgpr_dispatch_ptr 0
		.amdhsa_user_sgpr_queue_ptr 0
		.amdhsa_user_sgpr_kernarg_segment_ptr 1
		.amdhsa_user_sgpr_dispatch_id 0
		.amdhsa_user_sgpr_flat_scratch_init 0
		.amdhsa_user_sgpr_kernarg_preload_length 0
		.amdhsa_user_sgpr_kernarg_preload_offset 0
		.amdhsa_user_sgpr_private_segment_size 0
		.amdhsa_uses_dynamic_stack 0
		.amdhsa_system_sgpr_private_segment_wavefront_offset 0
		.amdhsa_system_sgpr_workgroup_id_x 1
		.amdhsa_system_sgpr_workgroup_id_y 0
		.amdhsa_system_sgpr_workgroup_id_z 0
		.amdhsa_system_sgpr_workgroup_info 0
		.amdhsa_system_vgpr_workitem_id 0
		.amdhsa_next_free_vgpr 1
		.amdhsa_next_free_sgpr 0
		.amdhsa_accum_offset 4
		.amdhsa_reserve_vcc 0
		.amdhsa_reserve_flat_scratch 0
		.amdhsa_float_round_mode_32 0
		.amdhsa_float_round_mode_16_64 0
		.amdhsa_float_denorm_mode_32 3
		.amdhsa_float_denorm_mode_16_64 3
		.amdhsa_dx10_clamp 1
		.amdhsa_ieee_mode 1
		.amdhsa_fp16_overflow 0
		.amdhsa_tg_split 0
		.amdhsa_exception_fp_ieee_invalid_op 0
		.amdhsa_exception_fp_denorm_src 0
		.amdhsa_exception_fp_ieee_div_zero 0
		.amdhsa_exception_fp_ieee_overflow 0
		.amdhsa_exception_fp_ieee_underflow 0
		.amdhsa_exception_fp_ieee_inexact 0
		.amdhsa_exception_int_div_zero 0
	.end_amdhsa_kernel
	.section	.text._ZN7rocprim17ROCPRIM_400000_NS6detail17trampoline_kernelINS0_14default_configENS1_38merge_sort_block_merge_config_selectorIhlEEZZNS1_27merge_sort_block_merge_implIS3_PhN6thrust23THRUST_200600_302600_NS10device_ptrIlEEjNS1_19radix_merge_compareILb0ELb0EhNS0_19identity_decomposerEEEEE10hipError_tT0_T1_T2_jT3_P12ihipStream_tbPNSt15iterator_traitsISG_E10value_typeEPNSM_ISH_E10value_typeEPSI_NS1_7vsmem_tEENKUlT_SG_SH_SI_E_clIS7_S7_PlSB_EESF_SV_SG_SH_SI_EUlSV_E1_NS1_11comp_targetILNS1_3genE10ELNS1_11target_archE1201ELNS1_3gpuE5ELNS1_3repE0EEENS1_36merge_oddeven_config_static_selectorELNS0_4arch9wavefront6targetE1EEEvSH_,"axG",@progbits,_ZN7rocprim17ROCPRIM_400000_NS6detail17trampoline_kernelINS0_14default_configENS1_38merge_sort_block_merge_config_selectorIhlEEZZNS1_27merge_sort_block_merge_implIS3_PhN6thrust23THRUST_200600_302600_NS10device_ptrIlEEjNS1_19radix_merge_compareILb0ELb0EhNS0_19identity_decomposerEEEEE10hipError_tT0_T1_T2_jT3_P12ihipStream_tbPNSt15iterator_traitsISG_E10value_typeEPNSM_ISH_E10value_typeEPSI_NS1_7vsmem_tEENKUlT_SG_SH_SI_E_clIS7_S7_PlSB_EESF_SV_SG_SH_SI_EUlSV_E1_NS1_11comp_targetILNS1_3genE10ELNS1_11target_archE1201ELNS1_3gpuE5ELNS1_3repE0EEENS1_36merge_oddeven_config_static_selectorELNS0_4arch9wavefront6targetE1EEEvSH_,comdat
.Lfunc_end141:
	.size	_ZN7rocprim17ROCPRIM_400000_NS6detail17trampoline_kernelINS0_14default_configENS1_38merge_sort_block_merge_config_selectorIhlEEZZNS1_27merge_sort_block_merge_implIS3_PhN6thrust23THRUST_200600_302600_NS10device_ptrIlEEjNS1_19radix_merge_compareILb0ELb0EhNS0_19identity_decomposerEEEEE10hipError_tT0_T1_T2_jT3_P12ihipStream_tbPNSt15iterator_traitsISG_E10value_typeEPNSM_ISH_E10value_typeEPSI_NS1_7vsmem_tEENKUlT_SG_SH_SI_E_clIS7_S7_PlSB_EESF_SV_SG_SH_SI_EUlSV_E1_NS1_11comp_targetILNS1_3genE10ELNS1_11target_archE1201ELNS1_3gpuE5ELNS1_3repE0EEENS1_36merge_oddeven_config_static_selectorELNS0_4arch9wavefront6targetE1EEEvSH_, .Lfunc_end141-_ZN7rocprim17ROCPRIM_400000_NS6detail17trampoline_kernelINS0_14default_configENS1_38merge_sort_block_merge_config_selectorIhlEEZZNS1_27merge_sort_block_merge_implIS3_PhN6thrust23THRUST_200600_302600_NS10device_ptrIlEEjNS1_19radix_merge_compareILb0ELb0EhNS0_19identity_decomposerEEEEE10hipError_tT0_T1_T2_jT3_P12ihipStream_tbPNSt15iterator_traitsISG_E10value_typeEPNSM_ISH_E10value_typeEPSI_NS1_7vsmem_tEENKUlT_SG_SH_SI_E_clIS7_S7_PlSB_EESF_SV_SG_SH_SI_EUlSV_E1_NS1_11comp_targetILNS1_3genE10ELNS1_11target_archE1201ELNS1_3gpuE5ELNS1_3repE0EEENS1_36merge_oddeven_config_static_selectorELNS0_4arch9wavefront6targetE1EEEvSH_
                                        ; -- End function
	.section	.AMDGPU.csdata,"",@progbits
; Kernel info:
; codeLenInByte = 0
; NumSgprs: 4
; NumVgprs: 0
; NumAgprs: 0
; TotalNumVgprs: 0
; ScratchSize: 0
; MemoryBound: 0
; FloatMode: 240
; IeeeMode: 1
; LDSByteSize: 0 bytes/workgroup (compile time only)
; SGPRBlocks: 0
; VGPRBlocks: 0
; NumSGPRsForWavesPerEU: 4
; NumVGPRsForWavesPerEU: 1
; AccumOffset: 4
; Occupancy: 8
; WaveLimiterHint : 0
; COMPUTE_PGM_RSRC2:SCRATCH_EN: 0
; COMPUTE_PGM_RSRC2:USER_SGPR: 6
; COMPUTE_PGM_RSRC2:TRAP_HANDLER: 0
; COMPUTE_PGM_RSRC2:TGID_X_EN: 1
; COMPUTE_PGM_RSRC2:TGID_Y_EN: 0
; COMPUTE_PGM_RSRC2:TGID_Z_EN: 0
; COMPUTE_PGM_RSRC2:TIDIG_COMP_CNT: 0
; COMPUTE_PGM_RSRC3_GFX90A:ACCUM_OFFSET: 0
; COMPUTE_PGM_RSRC3_GFX90A:TG_SPLIT: 0
	.section	.text._ZN7rocprim17ROCPRIM_400000_NS6detail17trampoline_kernelINS0_14default_configENS1_38merge_sort_block_merge_config_selectorIhlEEZZNS1_27merge_sort_block_merge_implIS3_PhN6thrust23THRUST_200600_302600_NS10device_ptrIlEEjNS1_19radix_merge_compareILb0ELb0EhNS0_19identity_decomposerEEEEE10hipError_tT0_T1_T2_jT3_P12ihipStream_tbPNSt15iterator_traitsISG_E10value_typeEPNSM_ISH_E10value_typeEPSI_NS1_7vsmem_tEENKUlT_SG_SH_SI_E_clIS7_S7_PlSB_EESF_SV_SG_SH_SI_EUlSV_E1_NS1_11comp_targetILNS1_3genE5ELNS1_11target_archE942ELNS1_3gpuE9ELNS1_3repE0EEENS1_36merge_oddeven_config_static_selectorELNS0_4arch9wavefront6targetE1EEEvSH_,"axG",@progbits,_ZN7rocprim17ROCPRIM_400000_NS6detail17trampoline_kernelINS0_14default_configENS1_38merge_sort_block_merge_config_selectorIhlEEZZNS1_27merge_sort_block_merge_implIS3_PhN6thrust23THRUST_200600_302600_NS10device_ptrIlEEjNS1_19radix_merge_compareILb0ELb0EhNS0_19identity_decomposerEEEEE10hipError_tT0_T1_T2_jT3_P12ihipStream_tbPNSt15iterator_traitsISG_E10value_typeEPNSM_ISH_E10value_typeEPSI_NS1_7vsmem_tEENKUlT_SG_SH_SI_E_clIS7_S7_PlSB_EESF_SV_SG_SH_SI_EUlSV_E1_NS1_11comp_targetILNS1_3genE5ELNS1_11target_archE942ELNS1_3gpuE9ELNS1_3repE0EEENS1_36merge_oddeven_config_static_selectorELNS0_4arch9wavefront6targetE1EEEvSH_,comdat
	.protected	_ZN7rocprim17ROCPRIM_400000_NS6detail17trampoline_kernelINS0_14default_configENS1_38merge_sort_block_merge_config_selectorIhlEEZZNS1_27merge_sort_block_merge_implIS3_PhN6thrust23THRUST_200600_302600_NS10device_ptrIlEEjNS1_19radix_merge_compareILb0ELb0EhNS0_19identity_decomposerEEEEE10hipError_tT0_T1_T2_jT3_P12ihipStream_tbPNSt15iterator_traitsISG_E10value_typeEPNSM_ISH_E10value_typeEPSI_NS1_7vsmem_tEENKUlT_SG_SH_SI_E_clIS7_S7_PlSB_EESF_SV_SG_SH_SI_EUlSV_E1_NS1_11comp_targetILNS1_3genE5ELNS1_11target_archE942ELNS1_3gpuE9ELNS1_3repE0EEENS1_36merge_oddeven_config_static_selectorELNS0_4arch9wavefront6targetE1EEEvSH_ ; -- Begin function _ZN7rocprim17ROCPRIM_400000_NS6detail17trampoline_kernelINS0_14default_configENS1_38merge_sort_block_merge_config_selectorIhlEEZZNS1_27merge_sort_block_merge_implIS3_PhN6thrust23THRUST_200600_302600_NS10device_ptrIlEEjNS1_19radix_merge_compareILb0ELb0EhNS0_19identity_decomposerEEEEE10hipError_tT0_T1_T2_jT3_P12ihipStream_tbPNSt15iterator_traitsISG_E10value_typeEPNSM_ISH_E10value_typeEPSI_NS1_7vsmem_tEENKUlT_SG_SH_SI_E_clIS7_S7_PlSB_EESF_SV_SG_SH_SI_EUlSV_E1_NS1_11comp_targetILNS1_3genE5ELNS1_11target_archE942ELNS1_3gpuE9ELNS1_3repE0EEENS1_36merge_oddeven_config_static_selectorELNS0_4arch9wavefront6targetE1EEEvSH_
	.globl	_ZN7rocprim17ROCPRIM_400000_NS6detail17trampoline_kernelINS0_14default_configENS1_38merge_sort_block_merge_config_selectorIhlEEZZNS1_27merge_sort_block_merge_implIS3_PhN6thrust23THRUST_200600_302600_NS10device_ptrIlEEjNS1_19radix_merge_compareILb0ELb0EhNS0_19identity_decomposerEEEEE10hipError_tT0_T1_T2_jT3_P12ihipStream_tbPNSt15iterator_traitsISG_E10value_typeEPNSM_ISH_E10value_typeEPSI_NS1_7vsmem_tEENKUlT_SG_SH_SI_E_clIS7_S7_PlSB_EESF_SV_SG_SH_SI_EUlSV_E1_NS1_11comp_targetILNS1_3genE5ELNS1_11target_archE942ELNS1_3gpuE9ELNS1_3repE0EEENS1_36merge_oddeven_config_static_selectorELNS0_4arch9wavefront6targetE1EEEvSH_
	.p2align	8
	.type	_ZN7rocprim17ROCPRIM_400000_NS6detail17trampoline_kernelINS0_14default_configENS1_38merge_sort_block_merge_config_selectorIhlEEZZNS1_27merge_sort_block_merge_implIS3_PhN6thrust23THRUST_200600_302600_NS10device_ptrIlEEjNS1_19radix_merge_compareILb0ELb0EhNS0_19identity_decomposerEEEEE10hipError_tT0_T1_T2_jT3_P12ihipStream_tbPNSt15iterator_traitsISG_E10value_typeEPNSM_ISH_E10value_typeEPSI_NS1_7vsmem_tEENKUlT_SG_SH_SI_E_clIS7_S7_PlSB_EESF_SV_SG_SH_SI_EUlSV_E1_NS1_11comp_targetILNS1_3genE5ELNS1_11target_archE942ELNS1_3gpuE9ELNS1_3repE0EEENS1_36merge_oddeven_config_static_selectorELNS0_4arch9wavefront6targetE1EEEvSH_,@function
_ZN7rocprim17ROCPRIM_400000_NS6detail17trampoline_kernelINS0_14default_configENS1_38merge_sort_block_merge_config_selectorIhlEEZZNS1_27merge_sort_block_merge_implIS3_PhN6thrust23THRUST_200600_302600_NS10device_ptrIlEEjNS1_19radix_merge_compareILb0ELb0EhNS0_19identity_decomposerEEEEE10hipError_tT0_T1_T2_jT3_P12ihipStream_tbPNSt15iterator_traitsISG_E10value_typeEPNSM_ISH_E10value_typeEPSI_NS1_7vsmem_tEENKUlT_SG_SH_SI_E_clIS7_S7_PlSB_EESF_SV_SG_SH_SI_EUlSV_E1_NS1_11comp_targetILNS1_3genE5ELNS1_11target_archE942ELNS1_3gpuE9ELNS1_3repE0EEENS1_36merge_oddeven_config_static_selectorELNS0_4arch9wavefront6targetE1EEEvSH_: ; @_ZN7rocprim17ROCPRIM_400000_NS6detail17trampoline_kernelINS0_14default_configENS1_38merge_sort_block_merge_config_selectorIhlEEZZNS1_27merge_sort_block_merge_implIS3_PhN6thrust23THRUST_200600_302600_NS10device_ptrIlEEjNS1_19radix_merge_compareILb0ELb0EhNS0_19identity_decomposerEEEEE10hipError_tT0_T1_T2_jT3_P12ihipStream_tbPNSt15iterator_traitsISG_E10value_typeEPNSM_ISH_E10value_typeEPSI_NS1_7vsmem_tEENKUlT_SG_SH_SI_E_clIS7_S7_PlSB_EESF_SV_SG_SH_SI_EUlSV_E1_NS1_11comp_targetILNS1_3genE5ELNS1_11target_archE942ELNS1_3gpuE9ELNS1_3repE0EEENS1_36merge_oddeven_config_static_selectorELNS0_4arch9wavefront6targetE1EEEvSH_
; %bb.0:
	.section	.rodata,"a",@progbits
	.p2align	6, 0x0
	.amdhsa_kernel _ZN7rocprim17ROCPRIM_400000_NS6detail17trampoline_kernelINS0_14default_configENS1_38merge_sort_block_merge_config_selectorIhlEEZZNS1_27merge_sort_block_merge_implIS3_PhN6thrust23THRUST_200600_302600_NS10device_ptrIlEEjNS1_19radix_merge_compareILb0ELb0EhNS0_19identity_decomposerEEEEE10hipError_tT0_T1_T2_jT3_P12ihipStream_tbPNSt15iterator_traitsISG_E10value_typeEPNSM_ISH_E10value_typeEPSI_NS1_7vsmem_tEENKUlT_SG_SH_SI_E_clIS7_S7_PlSB_EESF_SV_SG_SH_SI_EUlSV_E1_NS1_11comp_targetILNS1_3genE5ELNS1_11target_archE942ELNS1_3gpuE9ELNS1_3repE0EEENS1_36merge_oddeven_config_static_selectorELNS0_4arch9wavefront6targetE1EEEvSH_
		.amdhsa_group_segment_fixed_size 0
		.amdhsa_private_segment_fixed_size 0
		.amdhsa_kernarg_size 48
		.amdhsa_user_sgpr_count 6
		.amdhsa_user_sgpr_private_segment_buffer 1
		.amdhsa_user_sgpr_dispatch_ptr 0
		.amdhsa_user_sgpr_queue_ptr 0
		.amdhsa_user_sgpr_kernarg_segment_ptr 1
		.amdhsa_user_sgpr_dispatch_id 0
		.amdhsa_user_sgpr_flat_scratch_init 0
		.amdhsa_user_sgpr_kernarg_preload_length 0
		.amdhsa_user_sgpr_kernarg_preload_offset 0
		.amdhsa_user_sgpr_private_segment_size 0
		.amdhsa_uses_dynamic_stack 0
		.amdhsa_system_sgpr_private_segment_wavefront_offset 0
		.amdhsa_system_sgpr_workgroup_id_x 1
		.amdhsa_system_sgpr_workgroup_id_y 0
		.amdhsa_system_sgpr_workgroup_id_z 0
		.amdhsa_system_sgpr_workgroup_info 0
		.amdhsa_system_vgpr_workitem_id 0
		.amdhsa_next_free_vgpr 1
		.amdhsa_next_free_sgpr 0
		.amdhsa_accum_offset 4
		.amdhsa_reserve_vcc 0
		.amdhsa_reserve_flat_scratch 0
		.amdhsa_float_round_mode_32 0
		.amdhsa_float_round_mode_16_64 0
		.amdhsa_float_denorm_mode_32 3
		.amdhsa_float_denorm_mode_16_64 3
		.amdhsa_dx10_clamp 1
		.amdhsa_ieee_mode 1
		.amdhsa_fp16_overflow 0
		.amdhsa_tg_split 0
		.amdhsa_exception_fp_ieee_invalid_op 0
		.amdhsa_exception_fp_denorm_src 0
		.amdhsa_exception_fp_ieee_div_zero 0
		.amdhsa_exception_fp_ieee_overflow 0
		.amdhsa_exception_fp_ieee_underflow 0
		.amdhsa_exception_fp_ieee_inexact 0
		.amdhsa_exception_int_div_zero 0
	.end_amdhsa_kernel
	.section	.text._ZN7rocprim17ROCPRIM_400000_NS6detail17trampoline_kernelINS0_14default_configENS1_38merge_sort_block_merge_config_selectorIhlEEZZNS1_27merge_sort_block_merge_implIS3_PhN6thrust23THRUST_200600_302600_NS10device_ptrIlEEjNS1_19radix_merge_compareILb0ELb0EhNS0_19identity_decomposerEEEEE10hipError_tT0_T1_T2_jT3_P12ihipStream_tbPNSt15iterator_traitsISG_E10value_typeEPNSM_ISH_E10value_typeEPSI_NS1_7vsmem_tEENKUlT_SG_SH_SI_E_clIS7_S7_PlSB_EESF_SV_SG_SH_SI_EUlSV_E1_NS1_11comp_targetILNS1_3genE5ELNS1_11target_archE942ELNS1_3gpuE9ELNS1_3repE0EEENS1_36merge_oddeven_config_static_selectorELNS0_4arch9wavefront6targetE1EEEvSH_,"axG",@progbits,_ZN7rocprim17ROCPRIM_400000_NS6detail17trampoline_kernelINS0_14default_configENS1_38merge_sort_block_merge_config_selectorIhlEEZZNS1_27merge_sort_block_merge_implIS3_PhN6thrust23THRUST_200600_302600_NS10device_ptrIlEEjNS1_19radix_merge_compareILb0ELb0EhNS0_19identity_decomposerEEEEE10hipError_tT0_T1_T2_jT3_P12ihipStream_tbPNSt15iterator_traitsISG_E10value_typeEPNSM_ISH_E10value_typeEPSI_NS1_7vsmem_tEENKUlT_SG_SH_SI_E_clIS7_S7_PlSB_EESF_SV_SG_SH_SI_EUlSV_E1_NS1_11comp_targetILNS1_3genE5ELNS1_11target_archE942ELNS1_3gpuE9ELNS1_3repE0EEENS1_36merge_oddeven_config_static_selectorELNS0_4arch9wavefront6targetE1EEEvSH_,comdat
.Lfunc_end142:
	.size	_ZN7rocprim17ROCPRIM_400000_NS6detail17trampoline_kernelINS0_14default_configENS1_38merge_sort_block_merge_config_selectorIhlEEZZNS1_27merge_sort_block_merge_implIS3_PhN6thrust23THRUST_200600_302600_NS10device_ptrIlEEjNS1_19radix_merge_compareILb0ELb0EhNS0_19identity_decomposerEEEEE10hipError_tT0_T1_T2_jT3_P12ihipStream_tbPNSt15iterator_traitsISG_E10value_typeEPNSM_ISH_E10value_typeEPSI_NS1_7vsmem_tEENKUlT_SG_SH_SI_E_clIS7_S7_PlSB_EESF_SV_SG_SH_SI_EUlSV_E1_NS1_11comp_targetILNS1_3genE5ELNS1_11target_archE942ELNS1_3gpuE9ELNS1_3repE0EEENS1_36merge_oddeven_config_static_selectorELNS0_4arch9wavefront6targetE1EEEvSH_, .Lfunc_end142-_ZN7rocprim17ROCPRIM_400000_NS6detail17trampoline_kernelINS0_14default_configENS1_38merge_sort_block_merge_config_selectorIhlEEZZNS1_27merge_sort_block_merge_implIS3_PhN6thrust23THRUST_200600_302600_NS10device_ptrIlEEjNS1_19radix_merge_compareILb0ELb0EhNS0_19identity_decomposerEEEEE10hipError_tT0_T1_T2_jT3_P12ihipStream_tbPNSt15iterator_traitsISG_E10value_typeEPNSM_ISH_E10value_typeEPSI_NS1_7vsmem_tEENKUlT_SG_SH_SI_E_clIS7_S7_PlSB_EESF_SV_SG_SH_SI_EUlSV_E1_NS1_11comp_targetILNS1_3genE5ELNS1_11target_archE942ELNS1_3gpuE9ELNS1_3repE0EEENS1_36merge_oddeven_config_static_selectorELNS0_4arch9wavefront6targetE1EEEvSH_
                                        ; -- End function
	.section	.AMDGPU.csdata,"",@progbits
; Kernel info:
; codeLenInByte = 0
; NumSgprs: 4
; NumVgprs: 0
; NumAgprs: 0
; TotalNumVgprs: 0
; ScratchSize: 0
; MemoryBound: 0
; FloatMode: 240
; IeeeMode: 1
; LDSByteSize: 0 bytes/workgroup (compile time only)
; SGPRBlocks: 0
; VGPRBlocks: 0
; NumSGPRsForWavesPerEU: 4
; NumVGPRsForWavesPerEU: 1
; AccumOffset: 4
; Occupancy: 8
; WaveLimiterHint : 0
; COMPUTE_PGM_RSRC2:SCRATCH_EN: 0
; COMPUTE_PGM_RSRC2:USER_SGPR: 6
; COMPUTE_PGM_RSRC2:TRAP_HANDLER: 0
; COMPUTE_PGM_RSRC2:TGID_X_EN: 1
; COMPUTE_PGM_RSRC2:TGID_Y_EN: 0
; COMPUTE_PGM_RSRC2:TGID_Z_EN: 0
; COMPUTE_PGM_RSRC2:TIDIG_COMP_CNT: 0
; COMPUTE_PGM_RSRC3_GFX90A:ACCUM_OFFSET: 0
; COMPUTE_PGM_RSRC3_GFX90A:TG_SPLIT: 0
	.section	.text._ZN7rocprim17ROCPRIM_400000_NS6detail17trampoline_kernelINS0_14default_configENS1_38merge_sort_block_merge_config_selectorIhlEEZZNS1_27merge_sort_block_merge_implIS3_PhN6thrust23THRUST_200600_302600_NS10device_ptrIlEEjNS1_19radix_merge_compareILb0ELb0EhNS0_19identity_decomposerEEEEE10hipError_tT0_T1_T2_jT3_P12ihipStream_tbPNSt15iterator_traitsISG_E10value_typeEPNSM_ISH_E10value_typeEPSI_NS1_7vsmem_tEENKUlT_SG_SH_SI_E_clIS7_S7_PlSB_EESF_SV_SG_SH_SI_EUlSV_E1_NS1_11comp_targetILNS1_3genE4ELNS1_11target_archE910ELNS1_3gpuE8ELNS1_3repE0EEENS1_36merge_oddeven_config_static_selectorELNS0_4arch9wavefront6targetE1EEEvSH_,"axG",@progbits,_ZN7rocprim17ROCPRIM_400000_NS6detail17trampoline_kernelINS0_14default_configENS1_38merge_sort_block_merge_config_selectorIhlEEZZNS1_27merge_sort_block_merge_implIS3_PhN6thrust23THRUST_200600_302600_NS10device_ptrIlEEjNS1_19radix_merge_compareILb0ELb0EhNS0_19identity_decomposerEEEEE10hipError_tT0_T1_T2_jT3_P12ihipStream_tbPNSt15iterator_traitsISG_E10value_typeEPNSM_ISH_E10value_typeEPSI_NS1_7vsmem_tEENKUlT_SG_SH_SI_E_clIS7_S7_PlSB_EESF_SV_SG_SH_SI_EUlSV_E1_NS1_11comp_targetILNS1_3genE4ELNS1_11target_archE910ELNS1_3gpuE8ELNS1_3repE0EEENS1_36merge_oddeven_config_static_selectorELNS0_4arch9wavefront6targetE1EEEvSH_,comdat
	.protected	_ZN7rocprim17ROCPRIM_400000_NS6detail17trampoline_kernelINS0_14default_configENS1_38merge_sort_block_merge_config_selectorIhlEEZZNS1_27merge_sort_block_merge_implIS3_PhN6thrust23THRUST_200600_302600_NS10device_ptrIlEEjNS1_19radix_merge_compareILb0ELb0EhNS0_19identity_decomposerEEEEE10hipError_tT0_T1_T2_jT3_P12ihipStream_tbPNSt15iterator_traitsISG_E10value_typeEPNSM_ISH_E10value_typeEPSI_NS1_7vsmem_tEENKUlT_SG_SH_SI_E_clIS7_S7_PlSB_EESF_SV_SG_SH_SI_EUlSV_E1_NS1_11comp_targetILNS1_3genE4ELNS1_11target_archE910ELNS1_3gpuE8ELNS1_3repE0EEENS1_36merge_oddeven_config_static_selectorELNS0_4arch9wavefront6targetE1EEEvSH_ ; -- Begin function _ZN7rocprim17ROCPRIM_400000_NS6detail17trampoline_kernelINS0_14default_configENS1_38merge_sort_block_merge_config_selectorIhlEEZZNS1_27merge_sort_block_merge_implIS3_PhN6thrust23THRUST_200600_302600_NS10device_ptrIlEEjNS1_19radix_merge_compareILb0ELb0EhNS0_19identity_decomposerEEEEE10hipError_tT0_T1_T2_jT3_P12ihipStream_tbPNSt15iterator_traitsISG_E10value_typeEPNSM_ISH_E10value_typeEPSI_NS1_7vsmem_tEENKUlT_SG_SH_SI_E_clIS7_S7_PlSB_EESF_SV_SG_SH_SI_EUlSV_E1_NS1_11comp_targetILNS1_3genE4ELNS1_11target_archE910ELNS1_3gpuE8ELNS1_3repE0EEENS1_36merge_oddeven_config_static_selectorELNS0_4arch9wavefront6targetE1EEEvSH_
	.globl	_ZN7rocprim17ROCPRIM_400000_NS6detail17trampoline_kernelINS0_14default_configENS1_38merge_sort_block_merge_config_selectorIhlEEZZNS1_27merge_sort_block_merge_implIS3_PhN6thrust23THRUST_200600_302600_NS10device_ptrIlEEjNS1_19radix_merge_compareILb0ELb0EhNS0_19identity_decomposerEEEEE10hipError_tT0_T1_T2_jT3_P12ihipStream_tbPNSt15iterator_traitsISG_E10value_typeEPNSM_ISH_E10value_typeEPSI_NS1_7vsmem_tEENKUlT_SG_SH_SI_E_clIS7_S7_PlSB_EESF_SV_SG_SH_SI_EUlSV_E1_NS1_11comp_targetILNS1_3genE4ELNS1_11target_archE910ELNS1_3gpuE8ELNS1_3repE0EEENS1_36merge_oddeven_config_static_selectorELNS0_4arch9wavefront6targetE1EEEvSH_
	.p2align	8
	.type	_ZN7rocprim17ROCPRIM_400000_NS6detail17trampoline_kernelINS0_14default_configENS1_38merge_sort_block_merge_config_selectorIhlEEZZNS1_27merge_sort_block_merge_implIS3_PhN6thrust23THRUST_200600_302600_NS10device_ptrIlEEjNS1_19radix_merge_compareILb0ELb0EhNS0_19identity_decomposerEEEEE10hipError_tT0_T1_T2_jT3_P12ihipStream_tbPNSt15iterator_traitsISG_E10value_typeEPNSM_ISH_E10value_typeEPSI_NS1_7vsmem_tEENKUlT_SG_SH_SI_E_clIS7_S7_PlSB_EESF_SV_SG_SH_SI_EUlSV_E1_NS1_11comp_targetILNS1_3genE4ELNS1_11target_archE910ELNS1_3gpuE8ELNS1_3repE0EEENS1_36merge_oddeven_config_static_selectorELNS0_4arch9wavefront6targetE1EEEvSH_,@function
_ZN7rocprim17ROCPRIM_400000_NS6detail17trampoline_kernelINS0_14default_configENS1_38merge_sort_block_merge_config_selectorIhlEEZZNS1_27merge_sort_block_merge_implIS3_PhN6thrust23THRUST_200600_302600_NS10device_ptrIlEEjNS1_19radix_merge_compareILb0ELb0EhNS0_19identity_decomposerEEEEE10hipError_tT0_T1_T2_jT3_P12ihipStream_tbPNSt15iterator_traitsISG_E10value_typeEPNSM_ISH_E10value_typeEPSI_NS1_7vsmem_tEENKUlT_SG_SH_SI_E_clIS7_S7_PlSB_EESF_SV_SG_SH_SI_EUlSV_E1_NS1_11comp_targetILNS1_3genE4ELNS1_11target_archE910ELNS1_3gpuE8ELNS1_3repE0EEENS1_36merge_oddeven_config_static_selectorELNS0_4arch9wavefront6targetE1EEEvSH_: ; @_ZN7rocprim17ROCPRIM_400000_NS6detail17trampoline_kernelINS0_14default_configENS1_38merge_sort_block_merge_config_selectorIhlEEZZNS1_27merge_sort_block_merge_implIS3_PhN6thrust23THRUST_200600_302600_NS10device_ptrIlEEjNS1_19radix_merge_compareILb0ELb0EhNS0_19identity_decomposerEEEEE10hipError_tT0_T1_T2_jT3_P12ihipStream_tbPNSt15iterator_traitsISG_E10value_typeEPNSM_ISH_E10value_typeEPSI_NS1_7vsmem_tEENKUlT_SG_SH_SI_E_clIS7_S7_PlSB_EESF_SV_SG_SH_SI_EUlSV_E1_NS1_11comp_targetILNS1_3genE4ELNS1_11target_archE910ELNS1_3gpuE8ELNS1_3repE0EEENS1_36merge_oddeven_config_static_selectorELNS0_4arch9wavefront6targetE1EEEvSH_
; %bb.0:
	s_load_dword s20, s[4:5], 0x20
	s_waitcnt lgkmcnt(0)
	s_lshr_b32 s2, s20, 8
	s_cmp_lg_u32 s6, s2
	s_cselect_b64 s[0:1], -1, 0
	s_cmp_eq_u32 s6, s2
	s_cselect_b64 s[16:17], -1, 0
	s_lshl_b32 s18, s6, 8
	s_sub_i32 s2, s20, s18
	v_cmp_gt_u32_e64 s[2:3], s2, v0
	s_or_b64 s[0:1], s[0:1], s[2:3]
	s_and_saveexec_b64 s[8:9], s[0:1]
	s_cbranch_execz .LBB143_26
; %bb.1:
	s_load_dwordx8 s[8:15], s[4:5], 0x0
	s_mov_b32 s19, 0
	v_lshlrev_b32_e32 v1, 3, v0
	s_load_dword s21, s[4:5], 0x24
	v_add_u32_e32 v4, s18, v0
	s_waitcnt lgkmcnt(0)
	s_add_u32 s0, s8, s18
	s_addc_u32 s1, s9, 0
	s_lshl_b64 s[22:23], s[18:19], 3
	s_add_u32 s12, s12, s22
	s_addc_u32 s13, s13, s23
	global_load_dwordx2 v[2:3], v1, s[12:13]
	global_load_ubyte v6, v0, s[0:1]
	s_lshr_b32 s0, s21, 8
	s_sub_i32 s1, 0, s0
	s_and_b32 s1, s6, s1
	s_and_b32 s0, s1, s0
	s_lshl_b32 s22, s1, 8
	s_sub_i32 s6, 0, s21
	s_cmp_eq_u32 s0, 0
	s_cselect_b64 s[0:1], -1, 0
	s_and_b64 s[4:5], s[0:1], exec
	s_cselect_b32 s19, s21, s6
	s_add_i32 s19, s19, s22
	s_cmp_lt_u32 s19, s20
	s_cbranch_scc1 .LBB143_6
; %bb.2:
	s_and_b64 vcc, exec, s[16:17]
	s_cbranch_vccz .LBB143_7
; %bb.3:
	v_cmp_gt_u32_e32 vcc, s20, v4
	s_mov_b64 s[6:7], 0
	s_mov_b64 s[4:5], 0
                                        ; implicit-def: $vgpr0_vgpr1
	s_and_saveexec_b64 s[12:13], vcc
	s_cbranch_execz .LBB143_5
; %bb.4:
	v_mov_b32_e32 v5, 0
	v_lshlrev_b64 v[0:1], 3, v[4:5]
	v_mov_b32_e32 v5, s15
	v_add_co_u32_e32 v0, vcc, s14, v0
	s_mov_b64 s[4:5], exec
	v_addc_co_u32_e32 v1, vcc, v5, v1, vcc
	s_waitcnt vmcnt(0)
	global_store_byte v4, v6, s[10:11]
.LBB143_5:
	s_or_b64 exec, exec, s[12:13]
	s_and_b64 vcc, exec, s[6:7]
	s_cbranch_vccnz .LBB143_8
	s_branch .LBB143_9
.LBB143_6:
	s_mov_b64 s[4:5], 0
                                        ; implicit-def: $vgpr0_vgpr1
	s_cbranch_execnz .LBB143_10
	s_branch .LBB143_24
.LBB143_7:
	s_mov_b64 s[4:5], 0
                                        ; implicit-def: $vgpr0_vgpr1
	s_cbranch_execz .LBB143_9
.LBB143_8:
	v_mov_b32_e32 v5, 0
	v_lshlrev_b64 v[0:1], 3, v[4:5]
	v_mov_b32_e32 v5, s15
	v_add_co_u32_e32 v0, vcc, s14, v0
	v_addc_co_u32_e32 v1, vcc, v5, v1, vcc
	s_or_b64 s[4:5], s[4:5], exec
	s_waitcnt vmcnt(0)
	global_store_byte v4, v6, s[10:11]
.LBB143_9:
	s_branch .LBB143_24
.LBB143_10:
	s_min_u32 s12, s19, s20
	s_add_i32 s6, s12, s21
	s_min_u32 s13, s6, s20
	s_min_u32 s6, s22, s12
	s_add_i32 s22, s22, s12
	v_subrev_u32_e32 v0, s22, v4
	v_add_u32_e32 v4, s6, v0
	s_and_b64 vcc, exec, s[16:17]
	s_cbranch_vccz .LBB143_18
; %bb.11:
                                        ; implicit-def: $vgpr0_vgpr1
	s_and_saveexec_b64 s[6:7], s[2:3]
	s_cbranch_execz .LBB143_17
; %bb.12:
	s_cmp_ge_u32 s19, s13
	v_mov_b32_e32 v0, s12
	s_cbranch_scc1 .LBB143_16
; %bb.13:
	s_mov_b64 s[2:3], 0
	v_mov_b32_e32 v1, s13
	v_mov_b32_e32 v0, s12
.LBB143_14:                             ; =>This Inner Loop Header: Depth=1
	v_add_u32_e32 v5, v0, v1
	v_lshrrev_b32_e32 v5, 1, v5
	global_load_ubyte v7, v5, s[8:9]
	v_add_u32_e32 v8, 1, v5
	s_waitcnt vmcnt(0)
	v_cmp_gt_u16_sdwa s[16:17], v6, v7 src0_sel:BYTE_0 src1_sel:DWORD
	v_cndmask_b32_e64 v9, 0, 1, s[16:17]
	v_cmp_le_u16_sdwa s[16:17], v7, v6 src0_sel:DWORD src1_sel:BYTE_0
	v_cndmask_b32_e64 v7, 0, 1, s[16:17]
	v_cndmask_b32_e64 v7, v7, v9, s[0:1]
	v_and_b32_e32 v7, 1, v7
	v_cmp_eq_u32_e32 vcc, 1, v7
	v_cndmask_b32_e32 v1, v5, v1, vcc
	v_cndmask_b32_e32 v0, v0, v8, vcc
	v_cmp_ge_u32_e32 vcc, v0, v1
	s_or_b64 s[2:3], vcc, s[2:3]
	s_andn2_b64 exec, exec, s[2:3]
	s_cbranch_execnz .LBB143_14
; %bb.15:
	s_or_b64 exec, exec, s[2:3]
.LBB143_16:
	v_add_u32_e32 v0, v0, v4
	v_mov_b32_e32 v1, 0
	s_waitcnt vmcnt(0)
	global_store_byte v0, v6, s[10:11]
	v_lshlrev_b64 v[0:1], 3, v[0:1]
	v_mov_b32_e32 v5, s15
	v_add_co_u32_e32 v0, vcc, s14, v0
	v_addc_co_u32_e32 v1, vcc, v5, v1, vcc
	s_or_b64 s[4:5], s[4:5], exec
.LBB143_17:
	s_or_b64 exec, exec, s[6:7]
	s_branch .LBB143_24
.LBB143_18:
                                        ; implicit-def: $vgpr0_vgpr1
	s_cbranch_execz .LBB143_24
; %bb.19:
	s_cmp_ge_u32 s19, s13
	v_mov_b32_e32 v0, s12
	s_cbranch_scc1 .LBB143_23
; %bb.20:
	s_mov_b64 s[2:3], 0
	v_mov_b32_e32 v1, s13
	v_mov_b32_e32 v0, s12
.LBB143_21:                             ; =>This Inner Loop Header: Depth=1
	v_add_u32_e32 v5, v0, v1
	v_lshrrev_b32_e32 v5, 1, v5
	global_load_ubyte v7, v5, s[8:9]
	v_add_u32_e32 v8, 1, v5
	s_waitcnt vmcnt(0)
	v_cmp_gt_u16_sdwa s[4:5], v6, v7 src0_sel:BYTE_0 src1_sel:DWORD
	v_cndmask_b32_e64 v9, 0, 1, s[4:5]
	v_cmp_le_u16_sdwa s[4:5], v7, v6 src0_sel:DWORD src1_sel:BYTE_0
	v_cndmask_b32_e64 v7, 0, 1, s[4:5]
	v_cndmask_b32_e64 v7, v7, v9, s[0:1]
	v_and_b32_e32 v7, 1, v7
	v_cmp_eq_u32_e32 vcc, 1, v7
	v_cndmask_b32_e32 v1, v5, v1, vcc
	v_cndmask_b32_e32 v0, v0, v8, vcc
	v_cmp_ge_u32_e32 vcc, v0, v1
	s_or_b64 s[2:3], vcc, s[2:3]
	s_andn2_b64 exec, exec, s[2:3]
	s_cbranch_execnz .LBB143_21
; %bb.22:
	s_or_b64 exec, exec, s[2:3]
.LBB143_23:
	v_add_u32_e32 v0, v0, v4
	v_mov_b32_e32 v1, 0
	s_waitcnt vmcnt(0)
	global_store_byte v0, v6, s[10:11]
	v_lshlrev_b64 v[0:1], 3, v[0:1]
	v_mov_b32_e32 v4, s15
	v_add_co_u32_e32 v0, vcc, s14, v0
	v_addc_co_u32_e32 v1, vcc, v4, v1, vcc
	s_mov_b64 s[4:5], -1
.LBB143_24:
	s_and_b64 exec, exec, s[4:5]
	s_cbranch_execz .LBB143_26
; %bb.25:
	s_waitcnt vmcnt(1)
	global_store_dwordx2 v[0:1], v[2:3], off
.LBB143_26:
	s_endpgm
	.section	.rodata,"a",@progbits
	.p2align	6, 0x0
	.amdhsa_kernel _ZN7rocprim17ROCPRIM_400000_NS6detail17trampoline_kernelINS0_14default_configENS1_38merge_sort_block_merge_config_selectorIhlEEZZNS1_27merge_sort_block_merge_implIS3_PhN6thrust23THRUST_200600_302600_NS10device_ptrIlEEjNS1_19radix_merge_compareILb0ELb0EhNS0_19identity_decomposerEEEEE10hipError_tT0_T1_T2_jT3_P12ihipStream_tbPNSt15iterator_traitsISG_E10value_typeEPNSM_ISH_E10value_typeEPSI_NS1_7vsmem_tEENKUlT_SG_SH_SI_E_clIS7_S7_PlSB_EESF_SV_SG_SH_SI_EUlSV_E1_NS1_11comp_targetILNS1_3genE4ELNS1_11target_archE910ELNS1_3gpuE8ELNS1_3repE0EEENS1_36merge_oddeven_config_static_selectorELNS0_4arch9wavefront6targetE1EEEvSH_
		.amdhsa_group_segment_fixed_size 0
		.amdhsa_private_segment_fixed_size 0
		.amdhsa_kernarg_size 48
		.amdhsa_user_sgpr_count 6
		.amdhsa_user_sgpr_private_segment_buffer 1
		.amdhsa_user_sgpr_dispatch_ptr 0
		.amdhsa_user_sgpr_queue_ptr 0
		.amdhsa_user_sgpr_kernarg_segment_ptr 1
		.amdhsa_user_sgpr_dispatch_id 0
		.amdhsa_user_sgpr_flat_scratch_init 0
		.amdhsa_user_sgpr_kernarg_preload_length 0
		.amdhsa_user_sgpr_kernarg_preload_offset 0
		.amdhsa_user_sgpr_private_segment_size 0
		.amdhsa_uses_dynamic_stack 0
		.amdhsa_system_sgpr_private_segment_wavefront_offset 0
		.amdhsa_system_sgpr_workgroup_id_x 1
		.amdhsa_system_sgpr_workgroup_id_y 0
		.amdhsa_system_sgpr_workgroup_id_z 0
		.amdhsa_system_sgpr_workgroup_info 0
		.amdhsa_system_vgpr_workitem_id 0
		.amdhsa_next_free_vgpr 10
		.amdhsa_next_free_sgpr 24
		.amdhsa_accum_offset 12
		.amdhsa_reserve_vcc 1
		.amdhsa_reserve_flat_scratch 0
		.amdhsa_float_round_mode_32 0
		.amdhsa_float_round_mode_16_64 0
		.amdhsa_float_denorm_mode_32 3
		.amdhsa_float_denorm_mode_16_64 3
		.amdhsa_dx10_clamp 1
		.amdhsa_ieee_mode 1
		.amdhsa_fp16_overflow 0
		.amdhsa_tg_split 0
		.amdhsa_exception_fp_ieee_invalid_op 0
		.amdhsa_exception_fp_denorm_src 0
		.amdhsa_exception_fp_ieee_div_zero 0
		.amdhsa_exception_fp_ieee_overflow 0
		.amdhsa_exception_fp_ieee_underflow 0
		.amdhsa_exception_fp_ieee_inexact 0
		.amdhsa_exception_int_div_zero 0
	.end_amdhsa_kernel
	.section	.text._ZN7rocprim17ROCPRIM_400000_NS6detail17trampoline_kernelINS0_14default_configENS1_38merge_sort_block_merge_config_selectorIhlEEZZNS1_27merge_sort_block_merge_implIS3_PhN6thrust23THRUST_200600_302600_NS10device_ptrIlEEjNS1_19radix_merge_compareILb0ELb0EhNS0_19identity_decomposerEEEEE10hipError_tT0_T1_T2_jT3_P12ihipStream_tbPNSt15iterator_traitsISG_E10value_typeEPNSM_ISH_E10value_typeEPSI_NS1_7vsmem_tEENKUlT_SG_SH_SI_E_clIS7_S7_PlSB_EESF_SV_SG_SH_SI_EUlSV_E1_NS1_11comp_targetILNS1_3genE4ELNS1_11target_archE910ELNS1_3gpuE8ELNS1_3repE0EEENS1_36merge_oddeven_config_static_selectorELNS0_4arch9wavefront6targetE1EEEvSH_,"axG",@progbits,_ZN7rocprim17ROCPRIM_400000_NS6detail17trampoline_kernelINS0_14default_configENS1_38merge_sort_block_merge_config_selectorIhlEEZZNS1_27merge_sort_block_merge_implIS3_PhN6thrust23THRUST_200600_302600_NS10device_ptrIlEEjNS1_19radix_merge_compareILb0ELb0EhNS0_19identity_decomposerEEEEE10hipError_tT0_T1_T2_jT3_P12ihipStream_tbPNSt15iterator_traitsISG_E10value_typeEPNSM_ISH_E10value_typeEPSI_NS1_7vsmem_tEENKUlT_SG_SH_SI_E_clIS7_S7_PlSB_EESF_SV_SG_SH_SI_EUlSV_E1_NS1_11comp_targetILNS1_3genE4ELNS1_11target_archE910ELNS1_3gpuE8ELNS1_3repE0EEENS1_36merge_oddeven_config_static_selectorELNS0_4arch9wavefront6targetE1EEEvSH_,comdat
.Lfunc_end143:
	.size	_ZN7rocprim17ROCPRIM_400000_NS6detail17trampoline_kernelINS0_14default_configENS1_38merge_sort_block_merge_config_selectorIhlEEZZNS1_27merge_sort_block_merge_implIS3_PhN6thrust23THRUST_200600_302600_NS10device_ptrIlEEjNS1_19radix_merge_compareILb0ELb0EhNS0_19identity_decomposerEEEEE10hipError_tT0_T1_T2_jT3_P12ihipStream_tbPNSt15iterator_traitsISG_E10value_typeEPNSM_ISH_E10value_typeEPSI_NS1_7vsmem_tEENKUlT_SG_SH_SI_E_clIS7_S7_PlSB_EESF_SV_SG_SH_SI_EUlSV_E1_NS1_11comp_targetILNS1_3genE4ELNS1_11target_archE910ELNS1_3gpuE8ELNS1_3repE0EEENS1_36merge_oddeven_config_static_selectorELNS0_4arch9wavefront6targetE1EEEvSH_, .Lfunc_end143-_ZN7rocprim17ROCPRIM_400000_NS6detail17trampoline_kernelINS0_14default_configENS1_38merge_sort_block_merge_config_selectorIhlEEZZNS1_27merge_sort_block_merge_implIS3_PhN6thrust23THRUST_200600_302600_NS10device_ptrIlEEjNS1_19radix_merge_compareILb0ELb0EhNS0_19identity_decomposerEEEEE10hipError_tT0_T1_T2_jT3_P12ihipStream_tbPNSt15iterator_traitsISG_E10value_typeEPNSM_ISH_E10value_typeEPSI_NS1_7vsmem_tEENKUlT_SG_SH_SI_E_clIS7_S7_PlSB_EESF_SV_SG_SH_SI_EUlSV_E1_NS1_11comp_targetILNS1_3genE4ELNS1_11target_archE910ELNS1_3gpuE8ELNS1_3repE0EEENS1_36merge_oddeven_config_static_selectorELNS0_4arch9wavefront6targetE1EEEvSH_
                                        ; -- End function
	.section	.AMDGPU.csdata,"",@progbits
; Kernel info:
; codeLenInByte = 744
; NumSgprs: 28
; NumVgprs: 10
; NumAgprs: 0
; TotalNumVgprs: 10
; ScratchSize: 0
; MemoryBound: 0
; FloatMode: 240
; IeeeMode: 1
; LDSByteSize: 0 bytes/workgroup (compile time only)
; SGPRBlocks: 3
; VGPRBlocks: 1
; NumSGPRsForWavesPerEU: 28
; NumVGPRsForWavesPerEU: 10
; AccumOffset: 12
; Occupancy: 8
; WaveLimiterHint : 0
; COMPUTE_PGM_RSRC2:SCRATCH_EN: 0
; COMPUTE_PGM_RSRC2:USER_SGPR: 6
; COMPUTE_PGM_RSRC2:TRAP_HANDLER: 0
; COMPUTE_PGM_RSRC2:TGID_X_EN: 1
; COMPUTE_PGM_RSRC2:TGID_Y_EN: 0
; COMPUTE_PGM_RSRC2:TGID_Z_EN: 0
; COMPUTE_PGM_RSRC2:TIDIG_COMP_CNT: 0
; COMPUTE_PGM_RSRC3_GFX90A:ACCUM_OFFSET: 2
; COMPUTE_PGM_RSRC3_GFX90A:TG_SPLIT: 0
	.section	.text._ZN7rocprim17ROCPRIM_400000_NS6detail17trampoline_kernelINS0_14default_configENS1_38merge_sort_block_merge_config_selectorIhlEEZZNS1_27merge_sort_block_merge_implIS3_PhN6thrust23THRUST_200600_302600_NS10device_ptrIlEEjNS1_19radix_merge_compareILb0ELb0EhNS0_19identity_decomposerEEEEE10hipError_tT0_T1_T2_jT3_P12ihipStream_tbPNSt15iterator_traitsISG_E10value_typeEPNSM_ISH_E10value_typeEPSI_NS1_7vsmem_tEENKUlT_SG_SH_SI_E_clIS7_S7_PlSB_EESF_SV_SG_SH_SI_EUlSV_E1_NS1_11comp_targetILNS1_3genE3ELNS1_11target_archE908ELNS1_3gpuE7ELNS1_3repE0EEENS1_36merge_oddeven_config_static_selectorELNS0_4arch9wavefront6targetE1EEEvSH_,"axG",@progbits,_ZN7rocprim17ROCPRIM_400000_NS6detail17trampoline_kernelINS0_14default_configENS1_38merge_sort_block_merge_config_selectorIhlEEZZNS1_27merge_sort_block_merge_implIS3_PhN6thrust23THRUST_200600_302600_NS10device_ptrIlEEjNS1_19radix_merge_compareILb0ELb0EhNS0_19identity_decomposerEEEEE10hipError_tT0_T1_T2_jT3_P12ihipStream_tbPNSt15iterator_traitsISG_E10value_typeEPNSM_ISH_E10value_typeEPSI_NS1_7vsmem_tEENKUlT_SG_SH_SI_E_clIS7_S7_PlSB_EESF_SV_SG_SH_SI_EUlSV_E1_NS1_11comp_targetILNS1_3genE3ELNS1_11target_archE908ELNS1_3gpuE7ELNS1_3repE0EEENS1_36merge_oddeven_config_static_selectorELNS0_4arch9wavefront6targetE1EEEvSH_,comdat
	.protected	_ZN7rocprim17ROCPRIM_400000_NS6detail17trampoline_kernelINS0_14default_configENS1_38merge_sort_block_merge_config_selectorIhlEEZZNS1_27merge_sort_block_merge_implIS3_PhN6thrust23THRUST_200600_302600_NS10device_ptrIlEEjNS1_19radix_merge_compareILb0ELb0EhNS0_19identity_decomposerEEEEE10hipError_tT0_T1_T2_jT3_P12ihipStream_tbPNSt15iterator_traitsISG_E10value_typeEPNSM_ISH_E10value_typeEPSI_NS1_7vsmem_tEENKUlT_SG_SH_SI_E_clIS7_S7_PlSB_EESF_SV_SG_SH_SI_EUlSV_E1_NS1_11comp_targetILNS1_3genE3ELNS1_11target_archE908ELNS1_3gpuE7ELNS1_3repE0EEENS1_36merge_oddeven_config_static_selectorELNS0_4arch9wavefront6targetE1EEEvSH_ ; -- Begin function _ZN7rocprim17ROCPRIM_400000_NS6detail17trampoline_kernelINS0_14default_configENS1_38merge_sort_block_merge_config_selectorIhlEEZZNS1_27merge_sort_block_merge_implIS3_PhN6thrust23THRUST_200600_302600_NS10device_ptrIlEEjNS1_19radix_merge_compareILb0ELb0EhNS0_19identity_decomposerEEEEE10hipError_tT0_T1_T2_jT3_P12ihipStream_tbPNSt15iterator_traitsISG_E10value_typeEPNSM_ISH_E10value_typeEPSI_NS1_7vsmem_tEENKUlT_SG_SH_SI_E_clIS7_S7_PlSB_EESF_SV_SG_SH_SI_EUlSV_E1_NS1_11comp_targetILNS1_3genE3ELNS1_11target_archE908ELNS1_3gpuE7ELNS1_3repE0EEENS1_36merge_oddeven_config_static_selectorELNS0_4arch9wavefront6targetE1EEEvSH_
	.globl	_ZN7rocprim17ROCPRIM_400000_NS6detail17trampoline_kernelINS0_14default_configENS1_38merge_sort_block_merge_config_selectorIhlEEZZNS1_27merge_sort_block_merge_implIS3_PhN6thrust23THRUST_200600_302600_NS10device_ptrIlEEjNS1_19radix_merge_compareILb0ELb0EhNS0_19identity_decomposerEEEEE10hipError_tT0_T1_T2_jT3_P12ihipStream_tbPNSt15iterator_traitsISG_E10value_typeEPNSM_ISH_E10value_typeEPSI_NS1_7vsmem_tEENKUlT_SG_SH_SI_E_clIS7_S7_PlSB_EESF_SV_SG_SH_SI_EUlSV_E1_NS1_11comp_targetILNS1_3genE3ELNS1_11target_archE908ELNS1_3gpuE7ELNS1_3repE0EEENS1_36merge_oddeven_config_static_selectorELNS0_4arch9wavefront6targetE1EEEvSH_
	.p2align	8
	.type	_ZN7rocprim17ROCPRIM_400000_NS6detail17trampoline_kernelINS0_14default_configENS1_38merge_sort_block_merge_config_selectorIhlEEZZNS1_27merge_sort_block_merge_implIS3_PhN6thrust23THRUST_200600_302600_NS10device_ptrIlEEjNS1_19radix_merge_compareILb0ELb0EhNS0_19identity_decomposerEEEEE10hipError_tT0_T1_T2_jT3_P12ihipStream_tbPNSt15iterator_traitsISG_E10value_typeEPNSM_ISH_E10value_typeEPSI_NS1_7vsmem_tEENKUlT_SG_SH_SI_E_clIS7_S7_PlSB_EESF_SV_SG_SH_SI_EUlSV_E1_NS1_11comp_targetILNS1_3genE3ELNS1_11target_archE908ELNS1_3gpuE7ELNS1_3repE0EEENS1_36merge_oddeven_config_static_selectorELNS0_4arch9wavefront6targetE1EEEvSH_,@function
_ZN7rocprim17ROCPRIM_400000_NS6detail17trampoline_kernelINS0_14default_configENS1_38merge_sort_block_merge_config_selectorIhlEEZZNS1_27merge_sort_block_merge_implIS3_PhN6thrust23THRUST_200600_302600_NS10device_ptrIlEEjNS1_19radix_merge_compareILb0ELb0EhNS0_19identity_decomposerEEEEE10hipError_tT0_T1_T2_jT3_P12ihipStream_tbPNSt15iterator_traitsISG_E10value_typeEPNSM_ISH_E10value_typeEPSI_NS1_7vsmem_tEENKUlT_SG_SH_SI_E_clIS7_S7_PlSB_EESF_SV_SG_SH_SI_EUlSV_E1_NS1_11comp_targetILNS1_3genE3ELNS1_11target_archE908ELNS1_3gpuE7ELNS1_3repE0EEENS1_36merge_oddeven_config_static_selectorELNS0_4arch9wavefront6targetE1EEEvSH_: ; @_ZN7rocprim17ROCPRIM_400000_NS6detail17trampoline_kernelINS0_14default_configENS1_38merge_sort_block_merge_config_selectorIhlEEZZNS1_27merge_sort_block_merge_implIS3_PhN6thrust23THRUST_200600_302600_NS10device_ptrIlEEjNS1_19radix_merge_compareILb0ELb0EhNS0_19identity_decomposerEEEEE10hipError_tT0_T1_T2_jT3_P12ihipStream_tbPNSt15iterator_traitsISG_E10value_typeEPNSM_ISH_E10value_typeEPSI_NS1_7vsmem_tEENKUlT_SG_SH_SI_E_clIS7_S7_PlSB_EESF_SV_SG_SH_SI_EUlSV_E1_NS1_11comp_targetILNS1_3genE3ELNS1_11target_archE908ELNS1_3gpuE7ELNS1_3repE0EEENS1_36merge_oddeven_config_static_selectorELNS0_4arch9wavefront6targetE1EEEvSH_
; %bb.0:
	.section	.rodata,"a",@progbits
	.p2align	6, 0x0
	.amdhsa_kernel _ZN7rocprim17ROCPRIM_400000_NS6detail17trampoline_kernelINS0_14default_configENS1_38merge_sort_block_merge_config_selectorIhlEEZZNS1_27merge_sort_block_merge_implIS3_PhN6thrust23THRUST_200600_302600_NS10device_ptrIlEEjNS1_19radix_merge_compareILb0ELb0EhNS0_19identity_decomposerEEEEE10hipError_tT0_T1_T2_jT3_P12ihipStream_tbPNSt15iterator_traitsISG_E10value_typeEPNSM_ISH_E10value_typeEPSI_NS1_7vsmem_tEENKUlT_SG_SH_SI_E_clIS7_S7_PlSB_EESF_SV_SG_SH_SI_EUlSV_E1_NS1_11comp_targetILNS1_3genE3ELNS1_11target_archE908ELNS1_3gpuE7ELNS1_3repE0EEENS1_36merge_oddeven_config_static_selectorELNS0_4arch9wavefront6targetE1EEEvSH_
		.amdhsa_group_segment_fixed_size 0
		.amdhsa_private_segment_fixed_size 0
		.amdhsa_kernarg_size 48
		.amdhsa_user_sgpr_count 6
		.amdhsa_user_sgpr_private_segment_buffer 1
		.amdhsa_user_sgpr_dispatch_ptr 0
		.amdhsa_user_sgpr_queue_ptr 0
		.amdhsa_user_sgpr_kernarg_segment_ptr 1
		.amdhsa_user_sgpr_dispatch_id 0
		.amdhsa_user_sgpr_flat_scratch_init 0
		.amdhsa_user_sgpr_kernarg_preload_length 0
		.amdhsa_user_sgpr_kernarg_preload_offset 0
		.amdhsa_user_sgpr_private_segment_size 0
		.amdhsa_uses_dynamic_stack 0
		.amdhsa_system_sgpr_private_segment_wavefront_offset 0
		.amdhsa_system_sgpr_workgroup_id_x 1
		.amdhsa_system_sgpr_workgroup_id_y 0
		.amdhsa_system_sgpr_workgroup_id_z 0
		.amdhsa_system_sgpr_workgroup_info 0
		.amdhsa_system_vgpr_workitem_id 0
		.amdhsa_next_free_vgpr 1
		.amdhsa_next_free_sgpr 0
		.amdhsa_accum_offset 4
		.amdhsa_reserve_vcc 0
		.amdhsa_reserve_flat_scratch 0
		.amdhsa_float_round_mode_32 0
		.amdhsa_float_round_mode_16_64 0
		.amdhsa_float_denorm_mode_32 3
		.amdhsa_float_denorm_mode_16_64 3
		.amdhsa_dx10_clamp 1
		.amdhsa_ieee_mode 1
		.amdhsa_fp16_overflow 0
		.amdhsa_tg_split 0
		.amdhsa_exception_fp_ieee_invalid_op 0
		.amdhsa_exception_fp_denorm_src 0
		.amdhsa_exception_fp_ieee_div_zero 0
		.amdhsa_exception_fp_ieee_overflow 0
		.amdhsa_exception_fp_ieee_underflow 0
		.amdhsa_exception_fp_ieee_inexact 0
		.amdhsa_exception_int_div_zero 0
	.end_amdhsa_kernel
	.section	.text._ZN7rocprim17ROCPRIM_400000_NS6detail17trampoline_kernelINS0_14default_configENS1_38merge_sort_block_merge_config_selectorIhlEEZZNS1_27merge_sort_block_merge_implIS3_PhN6thrust23THRUST_200600_302600_NS10device_ptrIlEEjNS1_19radix_merge_compareILb0ELb0EhNS0_19identity_decomposerEEEEE10hipError_tT0_T1_T2_jT3_P12ihipStream_tbPNSt15iterator_traitsISG_E10value_typeEPNSM_ISH_E10value_typeEPSI_NS1_7vsmem_tEENKUlT_SG_SH_SI_E_clIS7_S7_PlSB_EESF_SV_SG_SH_SI_EUlSV_E1_NS1_11comp_targetILNS1_3genE3ELNS1_11target_archE908ELNS1_3gpuE7ELNS1_3repE0EEENS1_36merge_oddeven_config_static_selectorELNS0_4arch9wavefront6targetE1EEEvSH_,"axG",@progbits,_ZN7rocprim17ROCPRIM_400000_NS6detail17trampoline_kernelINS0_14default_configENS1_38merge_sort_block_merge_config_selectorIhlEEZZNS1_27merge_sort_block_merge_implIS3_PhN6thrust23THRUST_200600_302600_NS10device_ptrIlEEjNS1_19radix_merge_compareILb0ELb0EhNS0_19identity_decomposerEEEEE10hipError_tT0_T1_T2_jT3_P12ihipStream_tbPNSt15iterator_traitsISG_E10value_typeEPNSM_ISH_E10value_typeEPSI_NS1_7vsmem_tEENKUlT_SG_SH_SI_E_clIS7_S7_PlSB_EESF_SV_SG_SH_SI_EUlSV_E1_NS1_11comp_targetILNS1_3genE3ELNS1_11target_archE908ELNS1_3gpuE7ELNS1_3repE0EEENS1_36merge_oddeven_config_static_selectorELNS0_4arch9wavefront6targetE1EEEvSH_,comdat
.Lfunc_end144:
	.size	_ZN7rocprim17ROCPRIM_400000_NS6detail17trampoline_kernelINS0_14default_configENS1_38merge_sort_block_merge_config_selectorIhlEEZZNS1_27merge_sort_block_merge_implIS3_PhN6thrust23THRUST_200600_302600_NS10device_ptrIlEEjNS1_19radix_merge_compareILb0ELb0EhNS0_19identity_decomposerEEEEE10hipError_tT0_T1_T2_jT3_P12ihipStream_tbPNSt15iterator_traitsISG_E10value_typeEPNSM_ISH_E10value_typeEPSI_NS1_7vsmem_tEENKUlT_SG_SH_SI_E_clIS7_S7_PlSB_EESF_SV_SG_SH_SI_EUlSV_E1_NS1_11comp_targetILNS1_3genE3ELNS1_11target_archE908ELNS1_3gpuE7ELNS1_3repE0EEENS1_36merge_oddeven_config_static_selectorELNS0_4arch9wavefront6targetE1EEEvSH_, .Lfunc_end144-_ZN7rocprim17ROCPRIM_400000_NS6detail17trampoline_kernelINS0_14default_configENS1_38merge_sort_block_merge_config_selectorIhlEEZZNS1_27merge_sort_block_merge_implIS3_PhN6thrust23THRUST_200600_302600_NS10device_ptrIlEEjNS1_19radix_merge_compareILb0ELb0EhNS0_19identity_decomposerEEEEE10hipError_tT0_T1_T2_jT3_P12ihipStream_tbPNSt15iterator_traitsISG_E10value_typeEPNSM_ISH_E10value_typeEPSI_NS1_7vsmem_tEENKUlT_SG_SH_SI_E_clIS7_S7_PlSB_EESF_SV_SG_SH_SI_EUlSV_E1_NS1_11comp_targetILNS1_3genE3ELNS1_11target_archE908ELNS1_3gpuE7ELNS1_3repE0EEENS1_36merge_oddeven_config_static_selectorELNS0_4arch9wavefront6targetE1EEEvSH_
                                        ; -- End function
	.section	.AMDGPU.csdata,"",@progbits
; Kernel info:
; codeLenInByte = 0
; NumSgprs: 4
; NumVgprs: 0
; NumAgprs: 0
; TotalNumVgprs: 0
; ScratchSize: 0
; MemoryBound: 0
; FloatMode: 240
; IeeeMode: 1
; LDSByteSize: 0 bytes/workgroup (compile time only)
; SGPRBlocks: 0
; VGPRBlocks: 0
; NumSGPRsForWavesPerEU: 4
; NumVGPRsForWavesPerEU: 1
; AccumOffset: 4
; Occupancy: 8
; WaveLimiterHint : 0
; COMPUTE_PGM_RSRC2:SCRATCH_EN: 0
; COMPUTE_PGM_RSRC2:USER_SGPR: 6
; COMPUTE_PGM_RSRC2:TRAP_HANDLER: 0
; COMPUTE_PGM_RSRC2:TGID_X_EN: 1
; COMPUTE_PGM_RSRC2:TGID_Y_EN: 0
; COMPUTE_PGM_RSRC2:TGID_Z_EN: 0
; COMPUTE_PGM_RSRC2:TIDIG_COMP_CNT: 0
; COMPUTE_PGM_RSRC3_GFX90A:ACCUM_OFFSET: 0
; COMPUTE_PGM_RSRC3_GFX90A:TG_SPLIT: 0
	.section	.text._ZN7rocprim17ROCPRIM_400000_NS6detail17trampoline_kernelINS0_14default_configENS1_38merge_sort_block_merge_config_selectorIhlEEZZNS1_27merge_sort_block_merge_implIS3_PhN6thrust23THRUST_200600_302600_NS10device_ptrIlEEjNS1_19radix_merge_compareILb0ELb0EhNS0_19identity_decomposerEEEEE10hipError_tT0_T1_T2_jT3_P12ihipStream_tbPNSt15iterator_traitsISG_E10value_typeEPNSM_ISH_E10value_typeEPSI_NS1_7vsmem_tEENKUlT_SG_SH_SI_E_clIS7_S7_PlSB_EESF_SV_SG_SH_SI_EUlSV_E1_NS1_11comp_targetILNS1_3genE2ELNS1_11target_archE906ELNS1_3gpuE6ELNS1_3repE0EEENS1_36merge_oddeven_config_static_selectorELNS0_4arch9wavefront6targetE1EEEvSH_,"axG",@progbits,_ZN7rocprim17ROCPRIM_400000_NS6detail17trampoline_kernelINS0_14default_configENS1_38merge_sort_block_merge_config_selectorIhlEEZZNS1_27merge_sort_block_merge_implIS3_PhN6thrust23THRUST_200600_302600_NS10device_ptrIlEEjNS1_19radix_merge_compareILb0ELb0EhNS0_19identity_decomposerEEEEE10hipError_tT0_T1_T2_jT3_P12ihipStream_tbPNSt15iterator_traitsISG_E10value_typeEPNSM_ISH_E10value_typeEPSI_NS1_7vsmem_tEENKUlT_SG_SH_SI_E_clIS7_S7_PlSB_EESF_SV_SG_SH_SI_EUlSV_E1_NS1_11comp_targetILNS1_3genE2ELNS1_11target_archE906ELNS1_3gpuE6ELNS1_3repE0EEENS1_36merge_oddeven_config_static_selectorELNS0_4arch9wavefront6targetE1EEEvSH_,comdat
	.protected	_ZN7rocprim17ROCPRIM_400000_NS6detail17trampoline_kernelINS0_14default_configENS1_38merge_sort_block_merge_config_selectorIhlEEZZNS1_27merge_sort_block_merge_implIS3_PhN6thrust23THRUST_200600_302600_NS10device_ptrIlEEjNS1_19radix_merge_compareILb0ELb0EhNS0_19identity_decomposerEEEEE10hipError_tT0_T1_T2_jT3_P12ihipStream_tbPNSt15iterator_traitsISG_E10value_typeEPNSM_ISH_E10value_typeEPSI_NS1_7vsmem_tEENKUlT_SG_SH_SI_E_clIS7_S7_PlSB_EESF_SV_SG_SH_SI_EUlSV_E1_NS1_11comp_targetILNS1_3genE2ELNS1_11target_archE906ELNS1_3gpuE6ELNS1_3repE0EEENS1_36merge_oddeven_config_static_selectorELNS0_4arch9wavefront6targetE1EEEvSH_ ; -- Begin function _ZN7rocprim17ROCPRIM_400000_NS6detail17trampoline_kernelINS0_14default_configENS1_38merge_sort_block_merge_config_selectorIhlEEZZNS1_27merge_sort_block_merge_implIS3_PhN6thrust23THRUST_200600_302600_NS10device_ptrIlEEjNS1_19radix_merge_compareILb0ELb0EhNS0_19identity_decomposerEEEEE10hipError_tT0_T1_T2_jT3_P12ihipStream_tbPNSt15iterator_traitsISG_E10value_typeEPNSM_ISH_E10value_typeEPSI_NS1_7vsmem_tEENKUlT_SG_SH_SI_E_clIS7_S7_PlSB_EESF_SV_SG_SH_SI_EUlSV_E1_NS1_11comp_targetILNS1_3genE2ELNS1_11target_archE906ELNS1_3gpuE6ELNS1_3repE0EEENS1_36merge_oddeven_config_static_selectorELNS0_4arch9wavefront6targetE1EEEvSH_
	.globl	_ZN7rocprim17ROCPRIM_400000_NS6detail17trampoline_kernelINS0_14default_configENS1_38merge_sort_block_merge_config_selectorIhlEEZZNS1_27merge_sort_block_merge_implIS3_PhN6thrust23THRUST_200600_302600_NS10device_ptrIlEEjNS1_19radix_merge_compareILb0ELb0EhNS0_19identity_decomposerEEEEE10hipError_tT0_T1_T2_jT3_P12ihipStream_tbPNSt15iterator_traitsISG_E10value_typeEPNSM_ISH_E10value_typeEPSI_NS1_7vsmem_tEENKUlT_SG_SH_SI_E_clIS7_S7_PlSB_EESF_SV_SG_SH_SI_EUlSV_E1_NS1_11comp_targetILNS1_3genE2ELNS1_11target_archE906ELNS1_3gpuE6ELNS1_3repE0EEENS1_36merge_oddeven_config_static_selectorELNS0_4arch9wavefront6targetE1EEEvSH_
	.p2align	8
	.type	_ZN7rocprim17ROCPRIM_400000_NS6detail17trampoline_kernelINS0_14default_configENS1_38merge_sort_block_merge_config_selectorIhlEEZZNS1_27merge_sort_block_merge_implIS3_PhN6thrust23THRUST_200600_302600_NS10device_ptrIlEEjNS1_19radix_merge_compareILb0ELb0EhNS0_19identity_decomposerEEEEE10hipError_tT0_T1_T2_jT3_P12ihipStream_tbPNSt15iterator_traitsISG_E10value_typeEPNSM_ISH_E10value_typeEPSI_NS1_7vsmem_tEENKUlT_SG_SH_SI_E_clIS7_S7_PlSB_EESF_SV_SG_SH_SI_EUlSV_E1_NS1_11comp_targetILNS1_3genE2ELNS1_11target_archE906ELNS1_3gpuE6ELNS1_3repE0EEENS1_36merge_oddeven_config_static_selectorELNS0_4arch9wavefront6targetE1EEEvSH_,@function
_ZN7rocprim17ROCPRIM_400000_NS6detail17trampoline_kernelINS0_14default_configENS1_38merge_sort_block_merge_config_selectorIhlEEZZNS1_27merge_sort_block_merge_implIS3_PhN6thrust23THRUST_200600_302600_NS10device_ptrIlEEjNS1_19radix_merge_compareILb0ELb0EhNS0_19identity_decomposerEEEEE10hipError_tT0_T1_T2_jT3_P12ihipStream_tbPNSt15iterator_traitsISG_E10value_typeEPNSM_ISH_E10value_typeEPSI_NS1_7vsmem_tEENKUlT_SG_SH_SI_E_clIS7_S7_PlSB_EESF_SV_SG_SH_SI_EUlSV_E1_NS1_11comp_targetILNS1_3genE2ELNS1_11target_archE906ELNS1_3gpuE6ELNS1_3repE0EEENS1_36merge_oddeven_config_static_selectorELNS0_4arch9wavefront6targetE1EEEvSH_: ; @_ZN7rocprim17ROCPRIM_400000_NS6detail17trampoline_kernelINS0_14default_configENS1_38merge_sort_block_merge_config_selectorIhlEEZZNS1_27merge_sort_block_merge_implIS3_PhN6thrust23THRUST_200600_302600_NS10device_ptrIlEEjNS1_19radix_merge_compareILb0ELb0EhNS0_19identity_decomposerEEEEE10hipError_tT0_T1_T2_jT3_P12ihipStream_tbPNSt15iterator_traitsISG_E10value_typeEPNSM_ISH_E10value_typeEPSI_NS1_7vsmem_tEENKUlT_SG_SH_SI_E_clIS7_S7_PlSB_EESF_SV_SG_SH_SI_EUlSV_E1_NS1_11comp_targetILNS1_3genE2ELNS1_11target_archE906ELNS1_3gpuE6ELNS1_3repE0EEENS1_36merge_oddeven_config_static_selectorELNS0_4arch9wavefront6targetE1EEEvSH_
; %bb.0:
	.section	.rodata,"a",@progbits
	.p2align	6, 0x0
	.amdhsa_kernel _ZN7rocprim17ROCPRIM_400000_NS6detail17trampoline_kernelINS0_14default_configENS1_38merge_sort_block_merge_config_selectorIhlEEZZNS1_27merge_sort_block_merge_implIS3_PhN6thrust23THRUST_200600_302600_NS10device_ptrIlEEjNS1_19radix_merge_compareILb0ELb0EhNS0_19identity_decomposerEEEEE10hipError_tT0_T1_T2_jT3_P12ihipStream_tbPNSt15iterator_traitsISG_E10value_typeEPNSM_ISH_E10value_typeEPSI_NS1_7vsmem_tEENKUlT_SG_SH_SI_E_clIS7_S7_PlSB_EESF_SV_SG_SH_SI_EUlSV_E1_NS1_11comp_targetILNS1_3genE2ELNS1_11target_archE906ELNS1_3gpuE6ELNS1_3repE0EEENS1_36merge_oddeven_config_static_selectorELNS0_4arch9wavefront6targetE1EEEvSH_
		.amdhsa_group_segment_fixed_size 0
		.amdhsa_private_segment_fixed_size 0
		.amdhsa_kernarg_size 48
		.amdhsa_user_sgpr_count 6
		.amdhsa_user_sgpr_private_segment_buffer 1
		.amdhsa_user_sgpr_dispatch_ptr 0
		.amdhsa_user_sgpr_queue_ptr 0
		.amdhsa_user_sgpr_kernarg_segment_ptr 1
		.amdhsa_user_sgpr_dispatch_id 0
		.amdhsa_user_sgpr_flat_scratch_init 0
		.amdhsa_user_sgpr_kernarg_preload_length 0
		.amdhsa_user_sgpr_kernarg_preload_offset 0
		.amdhsa_user_sgpr_private_segment_size 0
		.amdhsa_uses_dynamic_stack 0
		.amdhsa_system_sgpr_private_segment_wavefront_offset 0
		.amdhsa_system_sgpr_workgroup_id_x 1
		.amdhsa_system_sgpr_workgroup_id_y 0
		.amdhsa_system_sgpr_workgroup_id_z 0
		.amdhsa_system_sgpr_workgroup_info 0
		.amdhsa_system_vgpr_workitem_id 0
		.amdhsa_next_free_vgpr 1
		.amdhsa_next_free_sgpr 0
		.amdhsa_accum_offset 4
		.amdhsa_reserve_vcc 0
		.amdhsa_reserve_flat_scratch 0
		.amdhsa_float_round_mode_32 0
		.amdhsa_float_round_mode_16_64 0
		.amdhsa_float_denorm_mode_32 3
		.amdhsa_float_denorm_mode_16_64 3
		.amdhsa_dx10_clamp 1
		.amdhsa_ieee_mode 1
		.amdhsa_fp16_overflow 0
		.amdhsa_tg_split 0
		.amdhsa_exception_fp_ieee_invalid_op 0
		.amdhsa_exception_fp_denorm_src 0
		.amdhsa_exception_fp_ieee_div_zero 0
		.amdhsa_exception_fp_ieee_overflow 0
		.amdhsa_exception_fp_ieee_underflow 0
		.amdhsa_exception_fp_ieee_inexact 0
		.amdhsa_exception_int_div_zero 0
	.end_amdhsa_kernel
	.section	.text._ZN7rocprim17ROCPRIM_400000_NS6detail17trampoline_kernelINS0_14default_configENS1_38merge_sort_block_merge_config_selectorIhlEEZZNS1_27merge_sort_block_merge_implIS3_PhN6thrust23THRUST_200600_302600_NS10device_ptrIlEEjNS1_19radix_merge_compareILb0ELb0EhNS0_19identity_decomposerEEEEE10hipError_tT0_T1_T2_jT3_P12ihipStream_tbPNSt15iterator_traitsISG_E10value_typeEPNSM_ISH_E10value_typeEPSI_NS1_7vsmem_tEENKUlT_SG_SH_SI_E_clIS7_S7_PlSB_EESF_SV_SG_SH_SI_EUlSV_E1_NS1_11comp_targetILNS1_3genE2ELNS1_11target_archE906ELNS1_3gpuE6ELNS1_3repE0EEENS1_36merge_oddeven_config_static_selectorELNS0_4arch9wavefront6targetE1EEEvSH_,"axG",@progbits,_ZN7rocprim17ROCPRIM_400000_NS6detail17trampoline_kernelINS0_14default_configENS1_38merge_sort_block_merge_config_selectorIhlEEZZNS1_27merge_sort_block_merge_implIS3_PhN6thrust23THRUST_200600_302600_NS10device_ptrIlEEjNS1_19radix_merge_compareILb0ELb0EhNS0_19identity_decomposerEEEEE10hipError_tT0_T1_T2_jT3_P12ihipStream_tbPNSt15iterator_traitsISG_E10value_typeEPNSM_ISH_E10value_typeEPSI_NS1_7vsmem_tEENKUlT_SG_SH_SI_E_clIS7_S7_PlSB_EESF_SV_SG_SH_SI_EUlSV_E1_NS1_11comp_targetILNS1_3genE2ELNS1_11target_archE906ELNS1_3gpuE6ELNS1_3repE0EEENS1_36merge_oddeven_config_static_selectorELNS0_4arch9wavefront6targetE1EEEvSH_,comdat
.Lfunc_end145:
	.size	_ZN7rocprim17ROCPRIM_400000_NS6detail17trampoline_kernelINS0_14default_configENS1_38merge_sort_block_merge_config_selectorIhlEEZZNS1_27merge_sort_block_merge_implIS3_PhN6thrust23THRUST_200600_302600_NS10device_ptrIlEEjNS1_19radix_merge_compareILb0ELb0EhNS0_19identity_decomposerEEEEE10hipError_tT0_T1_T2_jT3_P12ihipStream_tbPNSt15iterator_traitsISG_E10value_typeEPNSM_ISH_E10value_typeEPSI_NS1_7vsmem_tEENKUlT_SG_SH_SI_E_clIS7_S7_PlSB_EESF_SV_SG_SH_SI_EUlSV_E1_NS1_11comp_targetILNS1_3genE2ELNS1_11target_archE906ELNS1_3gpuE6ELNS1_3repE0EEENS1_36merge_oddeven_config_static_selectorELNS0_4arch9wavefront6targetE1EEEvSH_, .Lfunc_end145-_ZN7rocprim17ROCPRIM_400000_NS6detail17trampoline_kernelINS0_14default_configENS1_38merge_sort_block_merge_config_selectorIhlEEZZNS1_27merge_sort_block_merge_implIS3_PhN6thrust23THRUST_200600_302600_NS10device_ptrIlEEjNS1_19radix_merge_compareILb0ELb0EhNS0_19identity_decomposerEEEEE10hipError_tT0_T1_T2_jT3_P12ihipStream_tbPNSt15iterator_traitsISG_E10value_typeEPNSM_ISH_E10value_typeEPSI_NS1_7vsmem_tEENKUlT_SG_SH_SI_E_clIS7_S7_PlSB_EESF_SV_SG_SH_SI_EUlSV_E1_NS1_11comp_targetILNS1_3genE2ELNS1_11target_archE906ELNS1_3gpuE6ELNS1_3repE0EEENS1_36merge_oddeven_config_static_selectorELNS0_4arch9wavefront6targetE1EEEvSH_
                                        ; -- End function
	.section	.AMDGPU.csdata,"",@progbits
; Kernel info:
; codeLenInByte = 0
; NumSgprs: 4
; NumVgprs: 0
; NumAgprs: 0
; TotalNumVgprs: 0
; ScratchSize: 0
; MemoryBound: 0
; FloatMode: 240
; IeeeMode: 1
; LDSByteSize: 0 bytes/workgroup (compile time only)
; SGPRBlocks: 0
; VGPRBlocks: 0
; NumSGPRsForWavesPerEU: 4
; NumVGPRsForWavesPerEU: 1
; AccumOffset: 4
; Occupancy: 8
; WaveLimiterHint : 0
; COMPUTE_PGM_RSRC2:SCRATCH_EN: 0
; COMPUTE_PGM_RSRC2:USER_SGPR: 6
; COMPUTE_PGM_RSRC2:TRAP_HANDLER: 0
; COMPUTE_PGM_RSRC2:TGID_X_EN: 1
; COMPUTE_PGM_RSRC2:TGID_Y_EN: 0
; COMPUTE_PGM_RSRC2:TGID_Z_EN: 0
; COMPUTE_PGM_RSRC2:TIDIG_COMP_CNT: 0
; COMPUTE_PGM_RSRC3_GFX90A:ACCUM_OFFSET: 0
; COMPUTE_PGM_RSRC3_GFX90A:TG_SPLIT: 0
	.section	.text._ZN7rocprim17ROCPRIM_400000_NS6detail17trampoline_kernelINS0_14default_configENS1_38merge_sort_block_merge_config_selectorIhlEEZZNS1_27merge_sort_block_merge_implIS3_PhN6thrust23THRUST_200600_302600_NS10device_ptrIlEEjNS1_19radix_merge_compareILb0ELb0EhNS0_19identity_decomposerEEEEE10hipError_tT0_T1_T2_jT3_P12ihipStream_tbPNSt15iterator_traitsISG_E10value_typeEPNSM_ISH_E10value_typeEPSI_NS1_7vsmem_tEENKUlT_SG_SH_SI_E_clIS7_S7_PlSB_EESF_SV_SG_SH_SI_EUlSV_E1_NS1_11comp_targetILNS1_3genE9ELNS1_11target_archE1100ELNS1_3gpuE3ELNS1_3repE0EEENS1_36merge_oddeven_config_static_selectorELNS0_4arch9wavefront6targetE1EEEvSH_,"axG",@progbits,_ZN7rocprim17ROCPRIM_400000_NS6detail17trampoline_kernelINS0_14default_configENS1_38merge_sort_block_merge_config_selectorIhlEEZZNS1_27merge_sort_block_merge_implIS3_PhN6thrust23THRUST_200600_302600_NS10device_ptrIlEEjNS1_19radix_merge_compareILb0ELb0EhNS0_19identity_decomposerEEEEE10hipError_tT0_T1_T2_jT3_P12ihipStream_tbPNSt15iterator_traitsISG_E10value_typeEPNSM_ISH_E10value_typeEPSI_NS1_7vsmem_tEENKUlT_SG_SH_SI_E_clIS7_S7_PlSB_EESF_SV_SG_SH_SI_EUlSV_E1_NS1_11comp_targetILNS1_3genE9ELNS1_11target_archE1100ELNS1_3gpuE3ELNS1_3repE0EEENS1_36merge_oddeven_config_static_selectorELNS0_4arch9wavefront6targetE1EEEvSH_,comdat
	.protected	_ZN7rocprim17ROCPRIM_400000_NS6detail17trampoline_kernelINS0_14default_configENS1_38merge_sort_block_merge_config_selectorIhlEEZZNS1_27merge_sort_block_merge_implIS3_PhN6thrust23THRUST_200600_302600_NS10device_ptrIlEEjNS1_19radix_merge_compareILb0ELb0EhNS0_19identity_decomposerEEEEE10hipError_tT0_T1_T2_jT3_P12ihipStream_tbPNSt15iterator_traitsISG_E10value_typeEPNSM_ISH_E10value_typeEPSI_NS1_7vsmem_tEENKUlT_SG_SH_SI_E_clIS7_S7_PlSB_EESF_SV_SG_SH_SI_EUlSV_E1_NS1_11comp_targetILNS1_3genE9ELNS1_11target_archE1100ELNS1_3gpuE3ELNS1_3repE0EEENS1_36merge_oddeven_config_static_selectorELNS0_4arch9wavefront6targetE1EEEvSH_ ; -- Begin function _ZN7rocprim17ROCPRIM_400000_NS6detail17trampoline_kernelINS0_14default_configENS1_38merge_sort_block_merge_config_selectorIhlEEZZNS1_27merge_sort_block_merge_implIS3_PhN6thrust23THRUST_200600_302600_NS10device_ptrIlEEjNS1_19radix_merge_compareILb0ELb0EhNS0_19identity_decomposerEEEEE10hipError_tT0_T1_T2_jT3_P12ihipStream_tbPNSt15iterator_traitsISG_E10value_typeEPNSM_ISH_E10value_typeEPSI_NS1_7vsmem_tEENKUlT_SG_SH_SI_E_clIS7_S7_PlSB_EESF_SV_SG_SH_SI_EUlSV_E1_NS1_11comp_targetILNS1_3genE9ELNS1_11target_archE1100ELNS1_3gpuE3ELNS1_3repE0EEENS1_36merge_oddeven_config_static_selectorELNS0_4arch9wavefront6targetE1EEEvSH_
	.globl	_ZN7rocprim17ROCPRIM_400000_NS6detail17trampoline_kernelINS0_14default_configENS1_38merge_sort_block_merge_config_selectorIhlEEZZNS1_27merge_sort_block_merge_implIS3_PhN6thrust23THRUST_200600_302600_NS10device_ptrIlEEjNS1_19radix_merge_compareILb0ELb0EhNS0_19identity_decomposerEEEEE10hipError_tT0_T1_T2_jT3_P12ihipStream_tbPNSt15iterator_traitsISG_E10value_typeEPNSM_ISH_E10value_typeEPSI_NS1_7vsmem_tEENKUlT_SG_SH_SI_E_clIS7_S7_PlSB_EESF_SV_SG_SH_SI_EUlSV_E1_NS1_11comp_targetILNS1_3genE9ELNS1_11target_archE1100ELNS1_3gpuE3ELNS1_3repE0EEENS1_36merge_oddeven_config_static_selectorELNS0_4arch9wavefront6targetE1EEEvSH_
	.p2align	8
	.type	_ZN7rocprim17ROCPRIM_400000_NS6detail17trampoline_kernelINS0_14default_configENS1_38merge_sort_block_merge_config_selectorIhlEEZZNS1_27merge_sort_block_merge_implIS3_PhN6thrust23THRUST_200600_302600_NS10device_ptrIlEEjNS1_19radix_merge_compareILb0ELb0EhNS0_19identity_decomposerEEEEE10hipError_tT0_T1_T2_jT3_P12ihipStream_tbPNSt15iterator_traitsISG_E10value_typeEPNSM_ISH_E10value_typeEPSI_NS1_7vsmem_tEENKUlT_SG_SH_SI_E_clIS7_S7_PlSB_EESF_SV_SG_SH_SI_EUlSV_E1_NS1_11comp_targetILNS1_3genE9ELNS1_11target_archE1100ELNS1_3gpuE3ELNS1_3repE0EEENS1_36merge_oddeven_config_static_selectorELNS0_4arch9wavefront6targetE1EEEvSH_,@function
_ZN7rocprim17ROCPRIM_400000_NS6detail17trampoline_kernelINS0_14default_configENS1_38merge_sort_block_merge_config_selectorIhlEEZZNS1_27merge_sort_block_merge_implIS3_PhN6thrust23THRUST_200600_302600_NS10device_ptrIlEEjNS1_19radix_merge_compareILb0ELb0EhNS0_19identity_decomposerEEEEE10hipError_tT0_T1_T2_jT3_P12ihipStream_tbPNSt15iterator_traitsISG_E10value_typeEPNSM_ISH_E10value_typeEPSI_NS1_7vsmem_tEENKUlT_SG_SH_SI_E_clIS7_S7_PlSB_EESF_SV_SG_SH_SI_EUlSV_E1_NS1_11comp_targetILNS1_3genE9ELNS1_11target_archE1100ELNS1_3gpuE3ELNS1_3repE0EEENS1_36merge_oddeven_config_static_selectorELNS0_4arch9wavefront6targetE1EEEvSH_: ; @_ZN7rocprim17ROCPRIM_400000_NS6detail17trampoline_kernelINS0_14default_configENS1_38merge_sort_block_merge_config_selectorIhlEEZZNS1_27merge_sort_block_merge_implIS3_PhN6thrust23THRUST_200600_302600_NS10device_ptrIlEEjNS1_19radix_merge_compareILb0ELb0EhNS0_19identity_decomposerEEEEE10hipError_tT0_T1_T2_jT3_P12ihipStream_tbPNSt15iterator_traitsISG_E10value_typeEPNSM_ISH_E10value_typeEPSI_NS1_7vsmem_tEENKUlT_SG_SH_SI_E_clIS7_S7_PlSB_EESF_SV_SG_SH_SI_EUlSV_E1_NS1_11comp_targetILNS1_3genE9ELNS1_11target_archE1100ELNS1_3gpuE3ELNS1_3repE0EEENS1_36merge_oddeven_config_static_selectorELNS0_4arch9wavefront6targetE1EEEvSH_
; %bb.0:
	.section	.rodata,"a",@progbits
	.p2align	6, 0x0
	.amdhsa_kernel _ZN7rocprim17ROCPRIM_400000_NS6detail17trampoline_kernelINS0_14default_configENS1_38merge_sort_block_merge_config_selectorIhlEEZZNS1_27merge_sort_block_merge_implIS3_PhN6thrust23THRUST_200600_302600_NS10device_ptrIlEEjNS1_19radix_merge_compareILb0ELb0EhNS0_19identity_decomposerEEEEE10hipError_tT0_T1_T2_jT3_P12ihipStream_tbPNSt15iterator_traitsISG_E10value_typeEPNSM_ISH_E10value_typeEPSI_NS1_7vsmem_tEENKUlT_SG_SH_SI_E_clIS7_S7_PlSB_EESF_SV_SG_SH_SI_EUlSV_E1_NS1_11comp_targetILNS1_3genE9ELNS1_11target_archE1100ELNS1_3gpuE3ELNS1_3repE0EEENS1_36merge_oddeven_config_static_selectorELNS0_4arch9wavefront6targetE1EEEvSH_
		.amdhsa_group_segment_fixed_size 0
		.amdhsa_private_segment_fixed_size 0
		.amdhsa_kernarg_size 48
		.amdhsa_user_sgpr_count 6
		.amdhsa_user_sgpr_private_segment_buffer 1
		.amdhsa_user_sgpr_dispatch_ptr 0
		.amdhsa_user_sgpr_queue_ptr 0
		.amdhsa_user_sgpr_kernarg_segment_ptr 1
		.amdhsa_user_sgpr_dispatch_id 0
		.amdhsa_user_sgpr_flat_scratch_init 0
		.amdhsa_user_sgpr_kernarg_preload_length 0
		.amdhsa_user_sgpr_kernarg_preload_offset 0
		.amdhsa_user_sgpr_private_segment_size 0
		.amdhsa_uses_dynamic_stack 0
		.amdhsa_system_sgpr_private_segment_wavefront_offset 0
		.amdhsa_system_sgpr_workgroup_id_x 1
		.amdhsa_system_sgpr_workgroup_id_y 0
		.amdhsa_system_sgpr_workgroup_id_z 0
		.amdhsa_system_sgpr_workgroup_info 0
		.amdhsa_system_vgpr_workitem_id 0
		.amdhsa_next_free_vgpr 1
		.amdhsa_next_free_sgpr 0
		.amdhsa_accum_offset 4
		.amdhsa_reserve_vcc 0
		.amdhsa_reserve_flat_scratch 0
		.amdhsa_float_round_mode_32 0
		.amdhsa_float_round_mode_16_64 0
		.amdhsa_float_denorm_mode_32 3
		.amdhsa_float_denorm_mode_16_64 3
		.amdhsa_dx10_clamp 1
		.amdhsa_ieee_mode 1
		.amdhsa_fp16_overflow 0
		.amdhsa_tg_split 0
		.amdhsa_exception_fp_ieee_invalid_op 0
		.amdhsa_exception_fp_denorm_src 0
		.amdhsa_exception_fp_ieee_div_zero 0
		.amdhsa_exception_fp_ieee_overflow 0
		.amdhsa_exception_fp_ieee_underflow 0
		.amdhsa_exception_fp_ieee_inexact 0
		.amdhsa_exception_int_div_zero 0
	.end_amdhsa_kernel
	.section	.text._ZN7rocprim17ROCPRIM_400000_NS6detail17trampoline_kernelINS0_14default_configENS1_38merge_sort_block_merge_config_selectorIhlEEZZNS1_27merge_sort_block_merge_implIS3_PhN6thrust23THRUST_200600_302600_NS10device_ptrIlEEjNS1_19radix_merge_compareILb0ELb0EhNS0_19identity_decomposerEEEEE10hipError_tT0_T1_T2_jT3_P12ihipStream_tbPNSt15iterator_traitsISG_E10value_typeEPNSM_ISH_E10value_typeEPSI_NS1_7vsmem_tEENKUlT_SG_SH_SI_E_clIS7_S7_PlSB_EESF_SV_SG_SH_SI_EUlSV_E1_NS1_11comp_targetILNS1_3genE9ELNS1_11target_archE1100ELNS1_3gpuE3ELNS1_3repE0EEENS1_36merge_oddeven_config_static_selectorELNS0_4arch9wavefront6targetE1EEEvSH_,"axG",@progbits,_ZN7rocprim17ROCPRIM_400000_NS6detail17trampoline_kernelINS0_14default_configENS1_38merge_sort_block_merge_config_selectorIhlEEZZNS1_27merge_sort_block_merge_implIS3_PhN6thrust23THRUST_200600_302600_NS10device_ptrIlEEjNS1_19radix_merge_compareILb0ELb0EhNS0_19identity_decomposerEEEEE10hipError_tT0_T1_T2_jT3_P12ihipStream_tbPNSt15iterator_traitsISG_E10value_typeEPNSM_ISH_E10value_typeEPSI_NS1_7vsmem_tEENKUlT_SG_SH_SI_E_clIS7_S7_PlSB_EESF_SV_SG_SH_SI_EUlSV_E1_NS1_11comp_targetILNS1_3genE9ELNS1_11target_archE1100ELNS1_3gpuE3ELNS1_3repE0EEENS1_36merge_oddeven_config_static_selectorELNS0_4arch9wavefront6targetE1EEEvSH_,comdat
.Lfunc_end146:
	.size	_ZN7rocprim17ROCPRIM_400000_NS6detail17trampoline_kernelINS0_14default_configENS1_38merge_sort_block_merge_config_selectorIhlEEZZNS1_27merge_sort_block_merge_implIS3_PhN6thrust23THRUST_200600_302600_NS10device_ptrIlEEjNS1_19radix_merge_compareILb0ELb0EhNS0_19identity_decomposerEEEEE10hipError_tT0_T1_T2_jT3_P12ihipStream_tbPNSt15iterator_traitsISG_E10value_typeEPNSM_ISH_E10value_typeEPSI_NS1_7vsmem_tEENKUlT_SG_SH_SI_E_clIS7_S7_PlSB_EESF_SV_SG_SH_SI_EUlSV_E1_NS1_11comp_targetILNS1_3genE9ELNS1_11target_archE1100ELNS1_3gpuE3ELNS1_3repE0EEENS1_36merge_oddeven_config_static_selectorELNS0_4arch9wavefront6targetE1EEEvSH_, .Lfunc_end146-_ZN7rocprim17ROCPRIM_400000_NS6detail17trampoline_kernelINS0_14default_configENS1_38merge_sort_block_merge_config_selectorIhlEEZZNS1_27merge_sort_block_merge_implIS3_PhN6thrust23THRUST_200600_302600_NS10device_ptrIlEEjNS1_19radix_merge_compareILb0ELb0EhNS0_19identity_decomposerEEEEE10hipError_tT0_T1_T2_jT3_P12ihipStream_tbPNSt15iterator_traitsISG_E10value_typeEPNSM_ISH_E10value_typeEPSI_NS1_7vsmem_tEENKUlT_SG_SH_SI_E_clIS7_S7_PlSB_EESF_SV_SG_SH_SI_EUlSV_E1_NS1_11comp_targetILNS1_3genE9ELNS1_11target_archE1100ELNS1_3gpuE3ELNS1_3repE0EEENS1_36merge_oddeven_config_static_selectorELNS0_4arch9wavefront6targetE1EEEvSH_
                                        ; -- End function
	.section	.AMDGPU.csdata,"",@progbits
; Kernel info:
; codeLenInByte = 0
; NumSgprs: 4
; NumVgprs: 0
; NumAgprs: 0
; TotalNumVgprs: 0
; ScratchSize: 0
; MemoryBound: 0
; FloatMode: 240
; IeeeMode: 1
; LDSByteSize: 0 bytes/workgroup (compile time only)
; SGPRBlocks: 0
; VGPRBlocks: 0
; NumSGPRsForWavesPerEU: 4
; NumVGPRsForWavesPerEU: 1
; AccumOffset: 4
; Occupancy: 8
; WaveLimiterHint : 0
; COMPUTE_PGM_RSRC2:SCRATCH_EN: 0
; COMPUTE_PGM_RSRC2:USER_SGPR: 6
; COMPUTE_PGM_RSRC2:TRAP_HANDLER: 0
; COMPUTE_PGM_RSRC2:TGID_X_EN: 1
; COMPUTE_PGM_RSRC2:TGID_Y_EN: 0
; COMPUTE_PGM_RSRC2:TGID_Z_EN: 0
; COMPUTE_PGM_RSRC2:TIDIG_COMP_CNT: 0
; COMPUTE_PGM_RSRC3_GFX90A:ACCUM_OFFSET: 0
; COMPUTE_PGM_RSRC3_GFX90A:TG_SPLIT: 0
	.section	.text._ZN7rocprim17ROCPRIM_400000_NS6detail17trampoline_kernelINS0_14default_configENS1_38merge_sort_block_merge_config_selectorIhlEEZZNS1_27merge_sort_block_merge_implIS3_PhN6thrust23THRUST_200600_302600_NS10device_ptrIlEEjNS1_19radix_merge_compareILb0ELb0EhNS0_19identity_decomposerEEEEE10hipError_tT0_T1_T2_jT3_P12ihipStream_tbPNSt15iterator_traitsISG_E10value_typeEPNSM_ISH_E10value_typeEPSI_NS1_7vsmem_tEENKUlT_SG_SH_SI_E_clIS7_S7_PlSB_EESF_SV_SG_SH_SI_EUlSV_E1_NS1_11comp_targetILNS1_3genE8ELNS1_11target_archE1030ELNS1_3gpuE2ELNS1_3repE0EEENS1_36merge_oddeven_config_static_selectorELNS0_4arch9wavefront6targetE1EEEvSH_,"axG",@progbits,_ZN7rocprim17ROCPRIM_400000_NS6detail17trampoline_kernelINS0_14default_configENS1_38merge_sort_block_merge_config_selectorIhlEEZZNS1_27merge_sort_block_merge_implIS3_PhN6thrust23THRUST_200600_302600_NS10device_ptrIlEEjNS1_19radix_merge_compareILb0ELb0EhNS0_19identity_decomposerEEEEE10hipError_tT0_T1_T2_jT3_P12ihipStream_tbPNSt15iterator_traitsISG_E10value_typeEPNSM_ISH_E10value_typeEPSI_NS1_7vsmem_tEENKUlT_SG_SH_SI_E_clIS7_S7_PlSB_EESF_SV_SG_SH_SI_EUlSV_E1_NS1_11comp_targetILNS1_3genE8ELNS1_11target_archE1030ELNS1_3gpuE2ELNS1_3repE0EEENS1_36merge_oddeven_config_static_selectorELNS0_4arch9wavefront6targetE1EEEvSH_,comdat
	.protected	_ZN7rocprim17ROCPRIM_400000_NS6detail17trampoline_kernelINS0_14default_configENS1_38merge_sort_block_merge_config_selectorIhlEEZZNS1_27merge_sort_block_merge_implIS3_PhN6thrust23THRUST_200600_302600_NS10device_ptrIlEEjNS1_19radix_merge_compareILb0ELb0EhNS0_19identity_decomposerEEEEE10hipError_tT0_T1_T2_jT3_P12ihipStream_tbPNSt15iterator_traitsISG_E10value_typeEPNSM_ISH_E10value_typeEPSI_NS1_7vsmem_tEENKUlT_SG_SH_SI_E_clIS7_S7_PlSB_EESF_SV_SG_SH_SI_EUlSV_E1_NS1_11comp_targetILNS1_3genE8ELNS1_11target_archE1030ELNS1_3gpuE2ELNS1_3repE0EEENS1_36merge_oddeven_config_static_selectorELNS0_4arch9wavefront6targetE1EEEvSH_ ; -- Begin function _ZN7rocprim17ROCPRIM_400000_NS6detail17trampoline_kernelINS0_14default_configENS1_38merge_sort_block_merge_config_selectorIhlEEZZNS1_27merge_sort_block_merge_implIS3_PhN6thrust23THRUST_200600_302600_NS10device_ptrIlEEjNS1_19radix_merge_compareILb0ELb0EhNS0_19identity_decomposerEEEEE10hipError_tT0_T1_T2_jT3_P12ihipStream_tbPNSt15iterator_traitsISG_E10value_typeEPNSM_ISH_E10value_typeEPSI_NS1_7vsmem_tEENKUlT_SG_SH_SI_E_clIS7_S7_PlSB_EESF_SV_SG_SH_SI_EUlSV_E1_NS1_11comp_targetILNS1_3genE8ELNS1_11target_archE1030ELNS1_3gpuE2ELNS1_3repE0EEENS1_36merge_oddeven_config_static_selectorELNS0_4arch9wavefront6targetE1EEEvSH_
	.globl	_ZN7rocprim17ROCPRIM_400000_NS6detail17trampoline_kernelINS0_14default_configENS1_38merge_sort_block_merge_config_selectorIhlEEZZNS1_27merge_sort_block_merge_implIS3_PhN6thrust23THRUST_200600_302600_NS10device_ptrIlEEjNS1_19radix_merge_compareILb0ELb0EhNS0_19identity_decomposerEEEEE10hipError_tT0_T1_T2_jT3_P12ihipStream_tbPNSt15iterator_traitsISG_E10value_typeEPNSM_ISH_E10value_typeEPSI_NS1_7vsmem_tEENKUlT_SG_SH_SI_E_clIS7_S7_PlSB_EESF_SV_SG_SH_SI_EUlSV_E1_NS1_11comp_targetILNS1_3genE8ELNS1_11target_archE1030ELNS1_3gpuE2ELNS1_3repE0EEENS1_36merge_oddeven_config_static_selectorELNS0_4arch9wavefront6targetE1EEEvSH_
	.p2align	8
	.type	_ZN7rocprim17ROCPRIM_400000_NS6detail17trampoline_kernelINS0_14default_configENS1_38merge_sort_block_merge_config_selectorIhlEEZZNS1_27merge_sort_block_merge_implIS3_PhN6thrust23THRUST_200600_302600_NS10device_ptrIlEEjNS1_19radix_merge_compareILb0ELb0EhNS0_19identity_decomposerEEEEE10hipError_tT0_T1_T2_jT3_P12ihipStream_tbPNSt15iterator_traitsISG_E10value_typeEPNSM_ISH_E10value_typeEPSI_NS1_7vsmem_tEENKUlT_SG_SH_SI_E_clIS7_S7_PlSB_EESF_SV_SG_SH_SI_EUlSV_E1_NS1_11comp_targetILNS1_3genE8ELNS1_11target_archE1030ELNS1_3gpuE2ELNS1_3repE0EEENS1_36merge_oddeven_config_static_selectorELNS0_4arch9wavefront6targetE1EEEvSH_,@function
_ZN7rocprim17ROCPRIM_400000_NS6detail17trampoline_kernelINS0_14default_configENS1_38merge_sort_block_merge_config_selectorIhlEEZZNS1_27merge_sort_block_merge_implIS3_PhN6thrust23THRUST_200600_302600_NS10device_ptrIlEEjNS1_19radix_merge_compareILb0ELb0EhNS0_19identity_decomposerEEEEE10hipError_tT0_T1_T2_jT3_P12ihipStream_tbPNSt15iterator_traitsISG_E10value_typeEPNSM_ISH_E10value_typeEPSI_NS1_7vsmem_tEENKUlT_SG_SH_SI_E_clIS7_S7_PlSB_EESF_SV_SG_SH_SI_EUlSV_E1_NS1_11comp_targetILNS1_3genE8ELNS1_11target_archE1030ELNS1_3gpuE2ELNS1_3repE0EEENS1_36merge_oddeven_config_static_selectorELNS0_4arch9wavefront6targetE1EEEvSH_: ; @_ZN7rocprim17ROCPRIM_400000_NS6detail17trampoline_kernelINS0_14default_configENS1_38merge_sort_block_merge_config_selectorIhlEEZZNS1_27merge_sort_block_merge_implIS3_PhN6thrust23THRUST_200600_302600_NS10device_ptrIlEEjNS1_19radix_merge_compareILb0ELb0EhNS0_19identity_decomposerEEEEE10hipError_tT0_T1_T2_jT3_P12ihipStream_tbPNSt15iterator_traitsISG_E10value_typeEPNSM_ISH_E10value_typeEPSI_NS1_7vsmem_tEENKUlT_SG_SH_SI_E_clIS7_S7_PlSB_EESF_SV_SG_SH_SI_EUlSV_E1_NS1_11comp_targetILNS1_3genE8ELNS1_11target_archE1030ELNS1_3gpuE2ELNS1_3repE0EEENS1_36merge_oddeven_config_static_selectorELNS0_4arch9wavefront6targetE1EEEvSH_
; %bb.0:
	.section	.rodata,"a",@progbits
	.p2align	6, 0x0
	.amdhsa_kernel _ZN7rocprim17ROCPRIM_400000_NS6detail17trampoline_kernelINS0_14default_configENS1_38merge_sort_block_merge_config_selectorIhlEEZZNS1_27merge_sort_block_merge_implIS3_PhN6thrust23THRUST_200600_302600_NS10device_ptrIlEEjNS1_19radix_merge_compareILb0ELb0EhNS0_19identity_decomposerEEEEE10hipError_tT0_T1_T2_jT3_P12ihipStream_tbPNSt15iterator_traitsISG_E10value_typeEPNSM_ISH_E10value_typeEPSI_NS1_7vsmem_tEENKUlT_SG_SH_SI_E_clIS7_S7_PlSB_EESF_SV_SG_SH_SI_EUlSV_E1_NS1_11comp_targetILNS1_3genE8ELNS1_11target_archE1030ELNS1_3gpuE2ELNS1_3repE0EEENS1_36merge_oddeven_config_static_selectorELNS0_4arch9wavefront6targetE1EEEvSH_
		.amdhsa_group_segment_fixed_size 0
		.amdhsa_private_segment_fixed_size 0
		.amdhsa_kernarg_size 48
		.amdhsa_user_sgpr_count 6
		.amdhsa_user_sgpr_private_segment_buffer 1
		.amdhsa_user_sgpr_dispatch_ptr 0
		.amdhsa_user_sgpr_queue_ptr 0
		.amdhsa_user_sgpr_kernarg_segment_ptr 1
		.amdhsa_user_sgpr_dispatch_id 0
		.amdhsa_user_sgpr_flat_scratch_init 0
		.amdhsa_user_sgpr_kernarg_preload_length 0
		.amdhsa_user_sgpr_kernarg_preload_offset 0
		.amdhsa_user_sgpr_private_segment_size 0
		.amdhsa_uses_dynamic_stack 0
		.amdhsa_system_sgpr_private_segment_wavefront_offset 0
		.amdhsa_system_sgpr_workgroup_id_x 1
		.amdhsa_system_sgpr_workgroup_id_y 0
		.amdhsa_system_sgpr_workgroup_id_z 0
		.amdhsa_system_sgpr_workgroup_info 0
		.amdhsa_system_vgpr_workitem_id 0
		.amdhsa_next_free_vgpr 1
		.amdhsa_next_free_sgpr 0
		.amdhsa_accum_offset 4
		.amdhsa_reserve_vcc 0
		.amdhsa_reserve_flat_scratch 0
		.amdhsa_float_round_mode_32 0
		.amdhsa_float_round_mode_16_64 0
		.amdhsa_float_denorm_mode_32 3
		.amdhsa_float_denorm_mode_16_64 3
		.amdhsa_dx10_clamp 1
		.amdhsa_ieee_mode 1
		.amdhsa_fp16_overflow 0
		.amdhsa_tg_split 0
		.amdhsa_exception_fp_ieee_invalid_op 0
		.amdhsa_exception_fp_denorm_src 0
		.amdhsa_exception_fp_ieee_div_zero 0
		.amdhsa_exception_fp_ieee_overflow 0
		.amdhsa_exception_fp_ieee_underflow 0
		.amdhsa_exception_fp_ieee_inexact 0
		.amdhsa_exception_int_div_zero 0
	.end_amdhsa_kernel
	.section	.text._ZN7rocprim17ROCPRIM_400000_NS6detail17trampoline_kernelINS0_14default_configENS1_38merge_sort_block_merge_config_selectorIhlEEZZNS1_27merge_sort_block_merge_implIS3_PhN6thrust23THRUST_200600_302600_NS10device_ptrIlEEjNS1_19radix_merge_compareILb0ELb0EhNS0_19identity_decomposerEEEEE10hipError_tT0_T1_T2_jT3_P12ihipStream_tbPNSt15iterator_traitsISG_E10value_typeEPNSM_ISH_E10value_typeEPSI_NS1_7vsmem_tEENKUlT_SG_SH_SI_E_clIS7_S7_PlSB_EESF_SV_SG_SH_SI_EUlSV_E1_NS1_11comp_targetILNS1_3genE8ELNS1_11target_archE1030ELNS1_3gpuE2ELNS1_3repE0EEENS1_36merge_oddeven_config_static_selectorELNS0_4arch9wavefront6targetE1EEEvSH_,"axG",@progbits,_ZN7rocprim17ROCPRIM_400000_NS6detail17trampoline_kernelINS0_14default_configENS1_38merge_sort_block_merge_config_selectorIhlEEZZNS1_27merge_sort_block_merge_implIS3_PhN6thrust23THRUST_200600_302600_NS10device_ptrIlEEjNS1_19radix_merge_compareILb0ELb0EhNS0_19identity_decomposerEEEEE10hipError_tT0_T1_T2_jT3_P12ihipStream_tbPNSt15iterator_traitsISG_E10value_typeEPNSM_ISH_E10value_typeEPSI_NS1_7vsmem_tEENKUlT_SG_SH_SI_E_clIS7_S7_PlSB_EESF_SV_SG_SH_SI_EUlSV_E1_NS1_11comp_targetILNS1_3genE8ELNS1_11target_archE1030ELNS1_3gpuE2ELNS1_3repE0EEENS1_36merge_oddeven_config_static_selectorELNS0_4arch9wavefront6targetE1EEEvSH_,comdat
.Lfunc_end147:
	.size	_ZN7rocprim17ROCPRIM_400000_NS6detail17trampoline_kernelINS0_14default_configENS1_38merge_sort_block_merge_config_selectorIhlEEZZNS1_27merge_sort_block_merge_implIS3_PhN6thrust23THRUST_200600_302600_NS10device_ptrIlEEjNS1_19radix_merge_compareILb0ELb0EhNS0_19identity_decomposerEEEEE10hipError_tT0_T1_T2_jT3_P12ihipStream_tbPNSt15iterator_traitsISG_E10value_typeEPNSM_ISH_E10value_typeEPSI_NS1_7vsmem_tEENKUlT_SG_SH_SI_E_clIS7_S7_PlSB_EESF_SV_SG_SH_SI_EUlSV_E1_NS1_11comp_targetILNS1_3genE8ELNS1_11target_archE1030ELNS1_3gpuE2ELNS1_3repE0EEENS1_36merge_oddeven_config_static_selectorELNS0_4arch9wavefront6targetE1EEEvSH_, .Lfunc_end147-_ZN7rocprim17ROCPRIM_400000_NS6detail17trampoline_kernelINS0_14default_configENS1_38merge_sort_block_merge_config_selectorIhlEEZZNS1_27merge_sort_block_merge_implIS3_PhN6thrust23THRUST_200600_302600_NS10device_ptrIlEEjNS1_19radix_merge_compareILb0ELb0EhNS0_19identity_decomposerEEEEE10hipError_tT0_T1_T2_jT3_P12ihipStream_tbPNSt15iterator_traitsISG_E10value_typeEPNSM_ISH_E10value_typeEPSI_NS1_7vsmem_tEENKUlT_SG_SH_SI_E_clIS7_S7_PlSB_EESF_SV_SG_SH_SI_EUlSV_E1_NS1_11comp_targetILNS1_3genE8ELNS1_11target_archE1030ELNS1_3gpuE2ELNS1_3repE0EEENS1_36merge_oddeven_config_static_selectorELNS0_4arch9wavefront6targetE1EEEvSH_
                                        ; -- End function
	.section	.AMDGPU.csdata,"",@progbits
; Kernel info:
; codeLenInByte = 0
; NumSgprs: 4
; NumVgprs: 0
; NumAgprs: 0
; TotalNumVgprs: 0
; ScratchSize: 0
; MemoryBound: 0
; FloatMode: 240
; IeeeMode: 1
; LDSByteSize: 0 bytes/workgroup (compile time only)
; SGPRBlocks: 0
; VGPRBlocks: 0
; NumSGPRsForWavesPerEU: 4
; NumVGPRsForWavesPerEU: 1
; AccumOffset: 4
; Occupancy: 8
; WaveLimiterHint : 0
; COMPUTE_PGM_RSRC2:SCRATCH_EN: 0
; COMPUTE_PGM_RSRC2:USER_SGPR: 6
; COMPUTE_PGM_RSRC2:TRAP_HANDLER: 0
; COMPUTE_PGM_RSRC2:TGID_X_EN: 1
; COMPUTE_PGM_RSRC2:TGID_Y_EN: 0
; COMPUTE_PGM_RSRC2:TGID_Z_EN: 0
; COMPUTE_PGM_RSRC2:TIDIG_COMP_CNT: 0
; COMPUTE_PGM_RSRC3_GFX90A:ACCUM_OFFSET: 0
; COMPUTE_PGM_RSRC3_GFX90A:TG_SPLIT: 0
	.section	.text._ZN7rocprim17ROCPRIM_400000_NS6detail17trampoline_kernelINS0_14default_configENS1_38merge_sort_block_merge_config_selectorIhlEEZZNS1_27merge_sort_block_merge_implIS3_PhN6thrust23THRUST_200600_302600_NS10device_ptrIlEEjNS1_19radix_merge_compareILb0ELb0EhNS0_19identity_decomposerEEEEE10hipError_tT0_T1_T2_jT3_P12ihipStream_tbPNSt15iterator_traitsISG_E10value_typeEPNSM_ISH_E10value_typeEPSI_NS1_7vsmem_tEENKUlT_SG_SH_SI_E_clIS7_S7_SB_PlEESF_SV_SG_SH_SI_EUlSV_E_NS1_11comp_targetILNS1_3genE0ELNS1_11target_archE4294967295ELNS1_3gpuE0ELNS1_3repE0EEENS1_48merge_mergepath_partition_config_static_selectorELNS0_4arch9wavefront6targetE1EEEvSH_,"axG",@progbits,_ZN7rocprim17ROCPRIM_400000_NS6detail17trampoline_kernelINS0_14default_configENS1_38merge_sort_block_merge_config_selectorIhlEEZZNS1_27merge_sort_block_merge_implIS3_PhN6thrust23THRUST_200600_302600_NS10device_ptrIlEEjNS1_19radix_merge_compareILb0ELb0EhNS0_19identity_decomposerEEEEE10hipError_tT0_T1_T2_jT3_P12ihipStream_tbPNSt15iterator_traitsISG_E10value_typeEPNSM_ISH_E10value_typeEPSI_NS1_7vsmem_tEENKUlT_SG_SH_SI_E_clIS7_S7_SB_PlEESF_SV_SG_SH_SI_EUlSV_E_NS1_11comp_targetILNS1_3genE0ELNS1_11target_archE4294967295ELNS1_3gpuE0ELNS1_3repE0EEENS1_48merge_mergepath_partition_config_static_selectorELNS0_4arch9wavefront6targetE1EEEvSH_,comdat
	.protected	_ZN7rocprim17ROCPRIM_400000_NS6detail17trampoline_kernelINS0_14default_configENS1_38merge_sort_block_merge_config_selectorIhlEEZZNS1_27merge_sort_block_merge_implIS3_PhN6thrust23THRUST_200600_302600_NS10device_ptrIlEEjNS1_19radix_merge_compareILb0ELb0EhNS0_19identity_decomposerEEEEE10hipError_tT0_T1_T2_jT3_P12ihipStream_tbPNSt15iterator_traitsISG_E10value_typeEPNSM_ISH_E10value_typeEPSI_NS1_7vsmem_tEENKUlT_SG_SH_SI_E_clIS7_S7_SB_PlEESF_SV_SG_SH_SI_EUlSV_E_NS1_11comp_targetILNS1_3genE0ELNS1_11target_archE4294967295ELNS1_3gpuE0ELNS1_3repE0EEENS1_48merge_mergepath_partition_config_static_selectorELNS0_4arch9wavefront6targetE1EEEvSH_ ; -- Begin function _ZN7rocprim17ROCPRIM_400000_NS6detail17trampoline_kernelINS0_14default_configENS1_38merge_sort_block_merge_config_selectorIhlEEZZNS1_27merge_sort_block_merge_implIS3_PhN6thrust23THRUST_200600_302600_NS10device_ptrIlEEjNS1_19radix_merge_compareILb0ELb0EhNS0_19identity_decomposerEEEEE10hipError_tT0_T1_T2_jT3_P12ihipStream_tbPNSt15iterator_traitsISG_E10value_typeEPNSM_ISH_E10value_typeEPSI_NS1_7vsmem_tEENKUlT_SG_SH_SI_E_clIS7_S7_SB_PlEESF_SV_SG_SH_SI_EUlSV_E_NS1_11comp_targetILNS1_3genE0ELNS1_11target_archE4294967295ELNS1_3gpuE0ELNS1_3repE0EEENS1_48merge_mergepath_partition_config_static_selectorELNS0_4arch9wavefront6targetE1EEEvSH_
	.globl	_ZN7rocprim17ROCPRIM_400000_NS6detail17trampoline_kernelINS0_14default_configENS1_38merge_sort_block_merge_config_selectorIhlEEZZNS1_27merge_sort_block_merge_implIS3_PhN6thrust23THRUST_200600_302600_NS10device_ptrIlEEjNS1_19radix_merge_compareILb0ELb0EhNS0_19identity_decomposerEEEEE10hipError_tT0_T1_T2_jT3_P12ihipStream_tbPNSt15iterator_traitsISG_E10value_typeEPNSM_ISH_E10value_typeEPSI_NS1_7vsmem_tEENKUlT_SG_SH_SI_E_clIS7_S7_SB_PlEESF_SV_SG_SH_SI_EUlSV_E_NS1_11comp_targetILNS1_3genE0ELNS1_11target_archE4294967295ELNS1_3gpuE0ELNS1_3repE0EEENS1_48merge_mergepath_partition_config_static_selectorELNS0_4arch9wavefront6targetE1EEEvSH_
	.p2align	8
	.type	_ZN7rocprim17ROCPRIM_400000_NS6detail17trampoline_kernelINS0_14default_configENS1_38merge_sort_block_merge_config_selectorIhlEEZZNS1_27merge_sort_block_merge_implIS3_PhN6thrust23THRUST_200600_302600_NS10device_ptrIlEEjNS1_19radix_merge_compareILb0ELb0EhNS0_19identity_decomposerEEEEE10hipError_tT0_T1_T2_jT3_P12ihipStream_tbPNSt15iterator_traitsISG_E10value_typeEPNSM_ISH_E10value_typeEPSI_NS1_7vsmem_tEENKUlT_SG_SH_SI_E_clIS7_S7_SB_PlEESF_SV_SG_SH_SI_EUlSV_E_NS1_11comp_targetILNS1_3genE0ELNS1_11target_archE4294967295ELNS1_3gpuE0ELNS1_3repE0EEENS1_48merge_mergepath_partition_config_static_selectorELNS0_4arch9wavefront6targetE1EEEvSH_,@function
_ZN7rocprim17ROCPRIM_400000_NS6detail17trampoline_kernelINS0_14default_configENS1_38merge_sort_block_merge_config_selectorIhlEEZZNS1_27merge_sort_block_merge_implIS3_PhN6thrust23THRUST_200600_302600_NS10device_ptrIlEEjNS1_19radix_merge_compareILb0ELb0EhNS0_19identity_decomposerEEEEE10hipError_tT0_T1_T2_jT3_P12ihipStream_tbPNSt15iterator_traitsISG_E10value_typeEPNSM_ISH_E10value_typeEPSI_NS1_7vsmem_tEENKUlT_SG_SH_SI_E_clIS7_S7_SB_PlEESF_SV_SG_SH_SI_EUlSV_E_NS1_11comp_targetILNS1_3genE0ELNS1_11target_archE4294967295ELNS1_3gpuE0ELNS1_3repE0EEENS1_48merge_mergepath_partition_config_static_selectorELNS0_4arch9wavefront6targetE1EEEvSH_: ; @_ZN7rocprim17ROCPRIM_400000_NS6detail17trampoline_kernelINS0_14default_configENS1_38merge_sort_block_merge_config_selectorIhlEEZZNS1_27merge_sort_block_merge_implIS3_PhN6thrust23THRUST_200600_302600_NS10device_ptrIlEEjNS1_19radix_merge_compareILb0ELb0EhNS0_19identity_decomposerEEEEE10hipError_tT0_T1_T2_jT3_P12ihipStream_tbPNSt15iterator_traitsISG_E10value_typeEPNSM_ISH_E10value_typeEPSI_NS1_7vsmem_tEENKUlT_SG_SH_SI_E_clIS7_S7_SB_PlEESF_SV_SG_SH_SI_EUlSV_E_NS1_11comp_targetILNS1_3genE0ELNS1_11target_archE4294967295ELNS1_3gpuE0ELNS1_3repE0EEENS1_48merge_mergepath_partition_config_static_selectorELNS0_4arch9wavefront6targetE1EEEvSH_
; %bb.0:
	.section	.rodata,"a",@progbits
	.p2align	6, 0x0
	.amdhsa_kernel _ZN7rocprim17ROCPRIM_400000_NS6detail17trampoline_kernelINS0_14default_configENS1_38merge_sort_block_merge_config_selectorIhlEEZZNS1_27merge_sort_block_merge_implIS3_PhN6thrust23THRUST_200600_302600_NS10device_ptrIlEEjNS1_19radix_merge_compareILb0ELb0EhNS0_19identity_decomposerEEEEE10hipError_tT0_T1_T2_jT3_P12ihipStream_tbPNSt15iterator_traitsISG_E10value_typeEPNSM_ISH_E10value_typeEPSI_NS1_7vsmem_tEENKUlT_SG_SH_SI_E_clIS7_S7_SB_PlEESF_SV_SG_SH_SI_EUlSV_E_NS1_11comp_targetILNS1_3genE0ELNS1_11target_archE4294967295ELNS1_3gpuE0ELNS1_3repE0EEENS1_48merge_mergepath_partition_config_static_selectorELNS0_4arch9wavefront6targetE1EEEvSH_
		.amdhsa_group_segment_fixed_size 0
		.amdhsa_private_segment_fixed_size 0
		.amdhsa_kernarg_size 40
		.amdhsa_user_sgpr_count 6
		.amdhsa_user_sgpr_private_segment_buffer 1
		.amdhsa_user_sgpr_dispatch_ptr 0
		.amdhsa_user_sgpr_queue_ptr 0
		.amdhsa_user_sgpr_kernarg_segment_ptr 1
		.amdhsa_user_sgpr_dispatch_id 0
		.amdhsa_user_sgpr_flat_scratch_init 0
		.amdhsa_user_sgpr_kernarg_preload_length 0
		.amdhsa_user_sgpr_kernarg_preload_offset 0
		.amdhsa_user_sgpr_private_segment_size 0
		.amdhsa_uses_dynamic_stack 0
		.amdhsa_system_sgpr_private_segment_wavefront_offset 0
		.amdhsa_system_sgpr_workgroup_id_x 1
		.amdhsa_system_sgpr_workgroup_id_y 0
		.amdhsa_system_sgpr_workgroup_id_z 0
		.amdhsa_system_sgpr_workgroup_info 0
		.amdhsa_system_vgpr_workitem_id 0
		.amdhsa_next_free_vgpr 1
		.amdhsa_next_free_sgpr 0
		.amdhsa_accum_offset 4
		.amdhsa_reserve_vcc 0
		.amdhsa_reserve_flat_scratch 0
		.amdhsa_float_round_mode_32 0
		.amdhsa_float_round_mode_16_64 0
		.amdhsa_float_denorm_mode_32 3
		.amdhsa_float_denorm_mode_16_64 3
		.amdhsa_dx10_clamp 1
		.amdhsa_ieee_mode 1
		.amdhsa_fp16_overflow 0
		.amdhsa_tg_split 0
		.amdhsa_exception_fp_ieee_invalid_op 0
		.amdhsa_exception_fp_denorm_src 0
		.amdhsa_exception_fp_ieee_div_zero 0
		.amdhsa_exception_fp_ieee_overflow 0
		.amdhsa_exception_fp_ieee_underflow 0
		.amdhsa_exception_fp_ieee_inexact 0
		.amdhsa_exception_int_div_zero 0
	.end_amdhsa_kernel
	.section	.text._ZN7rocprim17ROCPRIM_400000_NS6detail17trampoline_kernelINS0_14default_configENS1_38merge_sort_block_merge_config_selectorIhlEEZZNS1_27merge_sort_block_merge_implIS3_PhN6thrust23THRUST_200600_302600_NS10device_ptrIlEEjNS1_19radix_merge_compareILb0ELb0EhNS0_19identity_decomposerEEEEE10hipError_tT0_T1_T2_jT3_P12ihipStream_tbPNSt15iterator_traitsISG_E10value_typeEPNSM_ISH_E10value_typeEPSI_NS1_7vsmem_tEENKUlT_SG_SH_SI_E_clIS7_S7_SB_PlEESF_SV_SG_SH_SI_EUlSV_E_NS1_11comp_targetILNS1_3genE0ELNS1_11target_archE4294967295ELNS1_3gpuE0ELNS1_3repE0EEENS1_48merge_mergepath_partition_config_static_selectorELNS0_4arch9wavefront6targetE1EEEvSH_,"axG",@progbits,_ZN7rocprim17ROCPRIM_400000_NS6detail17trampoline_kernelINS0_14default_configENS1_38merge_sort_block_merge_config_selectorIhlEEZZNS1_27merge_sort_block_merge_implIS3_PhN6thrust23THRUST_200600_302600_NS10device_ptrIlEEjNS1_19radix_merge_compareILb0ELb0EhNS0_19identity_decomposerEEEEE10hipError_tT0_T1_T2_jT3_P12ihipStream_tbPNSt15iterator_traitsISG_E10value_typeEPNSM_ISH_E10value_typeEPSI_NS1_7vsmem_tEENKUlT_SG_SH_SI_E_clIS7_S7_SB_PlEESF_SV_SG_SH_SI_EUlSV_E_NS1_11comp_targetILNS1_3genE0ELNS1_11target_archE4294967295ELNS1_3gpuE0ELNS1_3repE0EEENS1_48merge_mergepath_partition_config_static_selectorELNS0_4arch9wavefront6targetE1EEEvSH_,comdat
.Lfunc_end148:
	.size	_ZN7rocprim17ROCPRIM_400000_NS6detail17trampoline_kernelINS0_14default_configENS1_38merge_sort_block_merge_config_selectorIhlEEZZNS1_27merge_sort_block_merge_implIS3_PhN6thrust23THRUST_200600_302600_NS10device_ptrIlEEjNS1_19radix_merge_compareILb0ELb0EhNS0_19identity_decomposerEEEEE10hipError_tT0_T1_T2_jT3_P12ihipStream_tbPNSt15iterator_traitsISG_E10value_typeEPNSM_ISH_E10value_typeEPSI_NS1_7vsmem_tEENKUlT_SG_SH_SI_E_clIS7_S7_SB_PlEESF_SV_SG_SH_SI_EUlSV_E_NS1_11comp_targetILNS1_3genE0ELNS1_11target_archE4294967295ELNS1_3gpuE0ELNS1_3repE0EEENS1_48merge_mergepath_partition_config_static_selectorELNS0_4arch9wavefront6targetE1EEEvSH_, .Lfunc_end148-_ZN7rocprim17ROCPRIM_400000_NS6detail17trampoline_kernelINS0_14default_configENS1_38merge_sort_block_merge_config_selectorIhlEEZZNS1_27merge_sort_block_merge_implIS3_PhN6thrust23THRUST_200600_302600_NS10device_ptrIlEEjNS1_19radix_merge_compareILb0ELb0EhNS0_19identity_decomposerEEEEE10hipError_tT0_T1_T2_jT3_P12ihipStream_tbPNSt15iterator_traitsISG_E10value_typeEPNSM_ISH_E10value_typeEPSI_NS1_7vsmem_tEENKUlT_SG_SH_SI_E_clIS7_S7_SB_PlEESF_SV_SG_SH_SI_EUlSV_E_NS1_11comp_targetILNS1_3genE0ELNS1_11target_archE4294967295ELNS1_3gpuE0ELNS1_3repE0EEENS1_48merge_mergepath_partition_config_static_selectorELNS0_4arch9wavefront6targetE1EEEvSH_
                                        ; -- End function
	.section	.AMDGPU.csdata,"",@progbits
; Kernel info:
; codeLenInByte = 0
; NumSgprs: 4
; NumVgprs: 0
; NumAgprs: 0
; TotalNumVgprs: 0
; ScratchSize: 0
; MemoryBound: 0
; FloatMode: 240
; IeeeMode: 1
; LDSByteSize: 0 bytes/workgroup (compile time only)
; SGPRBlocks: 0
; VGPRBlocks: 0
; NumSGPRsForWavesPerEU: 4
; NumVGPRsForWavesPerEU: 1
; AccumOffset: 4
; Occupancy: 8
; WaveLimiterHint : 0
; COMPUTE_PGM_RSRC2:SCRATCH_EN: 0
; COMPUTE_PGM_RSRC2:USER_SGPR: 6
; COMPUTE_PGM_RSRC2:TRAP_HANDLER: 0
; COMPUTE_PGM_RSRC2:TGID_X_EN: 1
; COMPUTE_PGM_RSRC2:TGID_Y_EN: 0
; COMPUTE_PGM_RSRC2:TGID_Z_EN: 0
; COMPUTE_PGM_RSRC2:TIDIG_COMP_CNT: 0
; COMPUTE_PGM_RSRC3_GFX90A:ACCUM_OFFSET: 0
; COMPUTE_PGM_RSRC3_GFX90A:TG_SPLIT: 0
	.section	.text._ZN7rocprim17ROCPRIM_400000_NS6detail17trampoline_kernelINS0_14default_configENS1_38merge_sort_block_merge_config_selectorIhlEEZZNS1_27merge_sort_block_merge_implIS3_PhN6thrust23THRUST_200600_302600_NS10device_ptrIlEEjNS1_19radix_merge_compareILb0ELb0EhNS0_19identity_decomposerEEEEE10hipError_tT0_T1_T2_jT3_P12ihipStream_tbPNSt15iterator_traitsISG_E10value_typeEPNSM_ISH_E10value_typeEPSI_NS1_7vsmem_tEENKUlT_SG_SH_SI_E_clIS7_S7_SB_PlEESF_SV_SG_SH_SI_EUlSV_E_NS1_11comp_targetILNS1_3genE10ELNS1_11target_archE1201ELNS1_3gpuE5ELNS1_3repE0EEENS1_48merge_mergepath_partition_config_static_selectorELNS0_4arch9wavefront6targetE1EEEvSH_,"axG",@progbits,_ZN7rocprim17ROCPRIM_400000_NS6detail17trampoline_kernelINS0_14default_configENS1_38merge_sort_block_merge_config_selectorIhlEEZZNS1_27merge_sort_block_merge_implIS3_PhN6thrust23THRUST_200600_302600_NS10device_ptrIlEEjNS1_19radix_merge_compareILb0ELb0EhNS0_19identity_decomposerEEEEE10hipError_tT0_T1_T2_jT3_P12ihipStream_tbPNSt15iterator_traitsISG_E10value_typeEPNSM_ISH_E10value_typeEPSI_NS1_7vsmem_tEENKUlT_SG_SH_SI_E_clIS7_S7_SB_PlEESF_SV_SG_SH_SI_EUlSV_E_NS1_11comp_targetILNS1_3genE10ELNS1_11target_archE1201ELNS1_3gpuE5ELNS1_3repE0EEENS1_48merge_mergepath_partition_config_static_selectorELNS0_4arch9wavefront6targetE1EEEvSH_,comdat
	.protected	_ZN7rocprim17ROCPRIM_400000_NS6detail17trampoline_kernelINS0_14default_configENS1_38merge_sort_block_merge_config_selectorIhlEEZZNS1_27merge_sort_block_merge_implIS3_PhN6thrust23THRUST_200600_302600_NS10device_ptrIlEEjNS1_19radix_merge_compareILb0ELb0EhNS0_19identity_decomposerEEEEE10hipError_tT0_T1_T2_jT3_P12ihipStream_tbPNSt15iterator_traitsISG_E10value_typeEPNSM_ISH_E10value_typeEPSI_NS1_7vsmem_tEENKUlT_SG_SH_SI_E_clIS7_S7_SB_PlEESF_SV_SG_SH_SI_EUlSV_E_NS1_11comp_targetILNS1_3genE10ELNS1_11target_archE1201ELNS1_3gpuE5ELNS1_3repE0EEENS1_48merge_mergepath_partition_config_static_selectorELNS0_4arch9wavefront6targetE1EEEvSH_ ; -- Begin function _ZN7rocprim17ROCPRIM_400000_NS6detail17trampoline_kernelINS0_14default_configENS1_38merge_sort_block_merge_config_selectorIhlEEZZNS1_27merge_sort_block_merge_implIS3_PhN6thrust23THRUST_200600_302600_NS10device_ptrIlEEjNS1_19radix_merge_compareILb0ELb0EhNS0_19identity_decomposerEEEEE10hipError_tT0_T1_T2_jT3_P12ihipStream_tbPNSt15iterator_traitsISG_E10value_typeEPNSM_ISH_E10value_typeEPSI_NS1_7vsmem_tEENKUlT_SG_SH_SI_E_clIS7_S7_SB_PlEESF_SV_SG_SH_SI_EUlSV_E_NS1_11comp_targetILNS1_3genE10ELNS1_11target_archE1201ELNS1_3gpuE5ELNS1_3repE0EEENS1_48merge_mergepath_partition_config_static_selectorELNS0_4arch9wavefront6targetE1EEEvSH_
	.globl	_ZN7rocprim17ROCPRIM_400000_NS6detail17trampoline_kernelINS0_14default_configENS1_38merge_sort_block_merge_config_selectorIhlEEZZNS1_27merge_sort_block_merge_implIS3_PhN6thrust23THRUST_200600_302600_NS10device_ptrIlEEjNS1_19radix_merge_compareILb0ELb0EhNS0_19identity_decomposerEEEEE10hipError_tT0_T1_T2_jT3_P12ihipStream_tbPNSt15iterator_traitsISG_E10value_typeEPNSM_ISH_E10value_typeEPSI_NS1_7vsmem_tEENKUlT_SG_SH_SI_E_clIS7_S7_SB_PlEESF_SV_SG_SH_SI_EUlSV_E_NS1_11comp_targetILNS1_3genE10ELNS1_11target_archE1201ELNS1_3gpuE5ELNS1_3repE0EEENS1_48merge_mergepath_partition_config_static_selectorELNS0_4arch9wavefront6targetE1EEEvSH_
	.p2align	8
	.type	_ZN7rocprim17ROCPRIM_400000_NS6detail17trampoline_kernelINS0_14default_configENS1_38merge_sort_block_merge_config_selectorIhlEEZZNS1_27merge_sort_block_merge_implIS3_PhN6thrust23THRUST_200600_302600_NS10device_ptrIlEEjNS1_19radix_merge_compareILb0ELb0EhNS0_19identity_decomposerEEEEE10hipError_tT0_T1_T2_jT3_P12ihipStream_tbPNSt15iterator_traitsISG_E10value_typeEPNSM_ISH_E10value_typeEPSI_NS1_7vsmem_tEENKUlT_SG_SH_SI_E_clIS7_S7_SB_PlEESF_SV_SG_SH_SI_EUlSV_E_NS1_11comp_targetILNS1_3genE10ELNS1_11target_archE1201ELNS1_3gpuE5ELNS1_3repE0EEENS1_48merge_mergepath_partition_config_static_selectorELNS0_4arch9wavefront6targetE1EEEvSH_,@function
_ZN7rocprim17ROCPRIM_400000_NS6detail17trampoline_kernelINS0_14default_configENS1_38merge_sort_block_merge_config_selectorIhlEEZZNS1_27merge_sort_block_merge_implIS3_PhN6thrust23THRUST_200600_302600_NS10device_ptrIlEEjNS1_19radix_merge_compareILb0ELb0EhNS0_19identity_decomposerEEEEE10hipError_tT0_T1_T2_jT3_P12ihipStream_tbPNSt15iterator_traitsISG_E10value_typeEPNSM_ISH_E10value_typeEPSI_NS1_7vsmem_tEENKUlT_SG_SH_SI_E_clIS7_S7_SB_PlEESF_SV_SG_SH_SI_EUlSV_E_NS1_11comp_targetILNS1_3genE10ELNS1_11target_archE1201ELNS1_3gpuE5ELNS1_3repE0EEENS1_48merge_mergepath_partition_config_static_selectorELNS0_4arch9wavefront6targetE1EEEvSH_: ; @_ZN7rocprim17ROCPRIM_400000_NS6detail17trampoline_kernelINS0_14default_configENS1_38merge_sort_block_merge_config_selectorIhlEEZZNS1_27merge_sort_block_merge_implIS3_PhN6thrust23THRUST_200600_302600_NS10device_ptrIlEEjNS1_19radix_merge_compareILb0ELb0EhNS0_19identity_decomposerEEEEE10hipError_tT0_T1_T2_jT3_P12ihipStream_tbPNSt15iterator_traitsISG_E10value_typeEPNSM_ISH_E10value_typeEPSI_NS1_7vsmem_tEENKUlT_SG_SH_SI_E_clIS7_S7_SB_PlEESF_SV_SG_SH_SI_EUlSV_E_NS1_11comp_targetILNS1_3genE10ELNS1_11target_archE1201ELNS1_3gpuE5ELNS1_3repE0EEENS1_48merge_mergepath_partition_config_static_selectorELNS0_4arch9wavefront6targetE1EEEvSH_
; %bb.0:
	.section	.rodata,"a",@progbits
	.p2align	6, 0x0
	.amdhsa_kernel _ZN7rocprim17ROCPRIM_400000_NS6detail17trampoline_kernelINS0_14default_configENS1_38merge_sort_block_merge_config_selectorIhlEEZZNS1_27merge_sort_block_merge_implIS3_PhN6thrust23THRUST_200600_302600_NS10device_ptrIlEEjNS1_19radix_merge_compareILb0ELb0EhNS0_19identity_decomposerEEEEE10hipError_tT0_T1_T2_jT3_P12ihipStream_tbPNSt15iterator_traitsISG_E10value_typeEPNSM_ISH_E10value_typeEPSI_NS1_7vsmem_tEENKUlT_SG_SH_SI_E_clIS7_S7_SB_PlEESF_SV_SG_SH_SI_EUlSV_E_NS1_11comp_targetILNS1_3genE10ELNS1_11target_archE1201ELNS1_3gpuE5ELNS1_3repE0EEENS1_48merge_mergepath_partition_config_static_selectorELNS0_4arch9wavefront6targetE1EEEvSH_
		.amdhsa_group_segment_fixed_size 0
		.amdhsa_private_segment_fixed_size 0
		.amdhsa_kernarg_size 40
		.amdhsa_user_sgpr_count 6
		.amdhsa_user_sgpr_private_segment_buffer 1
		.amdhsa_user_sgpr_dispatch_ptr 0
		.amdhsa_user_sgpr_queue_ptr 0
		.amdhsa_user_sgpr_kernarg_segment_ptr 1
		.amdhsa_user_sgpr_dispatch_id 0
		.amdhsa_user_sgpr_flat_scratch_init 0
		.amdhsa_user_sgpr_kernarg_preload_length 0
		.amdhsa_user_sgpr_kernarg_preload_offset 0
		.amdhsa_user_sgpr_private_segment_size 0
		.amdhsa_uses_dynamic_stack 0
		.amdhsa_system_sgpr_private_segment_wavefront_offset 0
		.amdhsa_system_sgpr_workgroup_id_x 1
		.amdhsa_system_sgpr_workgroup_id_y 0
		.amdhsa_system_sgpr_workgroup_id_z 0
		.amdhsa_system_sgpr_workgroup_info 0
		.amdhsa_system_vgpr_workitem_id 0
		.amdhsa_next_free_vgpr 1
		.amdhsa_next_free_sgpr 0
		.amdhsa_accum_offset 4
		.amdhsa_reserve_vcc 0
		.amdhsa_reserve_flat_scratch 0
		.amdhsa_float_round_mode_32 0
		.amdhsa_float_round_mode_16_64 0
		.amdhsa_float_denorm_mode_32 3
		.amdhsa_float_denorm_mode_16_64 3
		.amdhsa_dx10_clamp 1
		.amdhsa_ieee_mode 1
		.amdhsa_fp16_overflow 0
		.amdhsa_tg_split 0
		.amdhsa_exception_fp_ieee_invalid_op 0
		.amdhsa_exception_fp_denorm_src 0
		.amdhsa_exception_fp_ieee_div_zero 0
		.amdhsa_exception_fp_ieee_overflow 0
		.amdhsa_exception_fp_ieee_underflow 0
		.amdhsa_exception_fp_ieee_inexact 0
		.amdhsa_exception_int_div_zero 0
	.end_amdhsa_kernel
	.section	.text._ZN7rocprim17ROCPRIM_400000_NS6detail17trampoline_kernelINS0_14default_configENS1_38merge_sort_block_merge_config_selectorIhlEEZZNS1_27merge_sort_block_merge_implIS3_PhN6thrust23THRUST_200600_302600_NS10device_ptrIlEEjNS1_19radix_merge_compareILb0ELb0EhNS0_19identity_decomposerEEEEE10hipError_tT0_T1_T2_jT3_P12ihipStream_tbPNSt15iterator_traitsISG_E10value_typeEPNSM_ISH_E10value_typeEPSI_NS1_7vsmem_tEENKUlT_SG_SH_SI_E_clIS7_S7_SB_PlEESF_SV_SG_SH_SI_EUlSV_E_NS1_11comp_targetILNS1_3genE10ELNS1_11target_archE1201ELNS1_3gpuE5ELNS1_3repE0EEENS1_48merge_mergepath_partition_config_static_selectorELNS0_4arch9wavefront6targetE1EEEvSH_,"axG",@progbits,_ZN7rocprim17ROCPRIM_400000_NS6detail17trampoline_kernelINS0_14default_configENS1_38merge_sort_block_merge_config_selectorIhlEEZZNS1_27merge_sort_block_merge_implIS3_PhN6thrust23THRUST_200600_302600_NS10device_ptrIlEEjNS1_19radix_merge_compareILb0ELb0EhNS0_19identity_decomposerEEEEE10hipError_tT0_T1_T2_jT3_P12ihipStream_tbPNSt15iterator_traitsISG_E10value_typeEPNSM_ISH_E10value_typeEPSI_NS1_7vsmem_tEENKUlT_SG_SH_SI_E_clIS7_S7_SB_PlEESF_SV_SG_SH_SI_EUlSV_E_NS1_11comp_targetILNS1_3genE10ELNS1_11target_archE1201ELNS1_3gpuE5ELNS1_3repE0EEENS1_48merge_mergepath_partition_config_static_selectorELNS0_4arch9wavefront6targetE1EEEvSH_,comdat
.Lfunc_end149:
	.size	_ZN7rocprim17ROCPRIM_400000_NS6detail17trampoline_kernelINS0_14default_configENS1_38merge_sort_block_merge_config_selectorIhlEEZZNS1_27merge_sort_block_merge_implIS3_PhN6thrust23THRUST_200600_302600_NS10device_ptrIlEEjNS1_19radix_merge_compareILb0ELb0EhNS0_19identity_decomposerEEEEE10hipError_tT0_T1_T2_jT3_P12ihipStream_tbPNSt15iterator_traitsISG_E10value_typeEPNSM_ISH_E10value_typeEPSI_NS1_7vsmem_tEENKUlT_SG_SH_SI_E_clIS7_S7_SB_PlEESF_SV_SG_SH_SI_EUlSV_E_NS1_11comp_targetILNS1_3genE10ELNS1_11target_archE1201ELNS1_3gpuE5ELNS1_3repE0EEENS1_48merge_mergepath_partition_config_static_selectorELNS0_4arch9wavefront6targetE1EEEvSH_, .Lfunc_end149-_ZN7rocprim17ROCPRIM_400000_NS6detail17trampoline_kernelINS0_14default_configENS1_38merge_sort_block_merge_config_selectorIhlEEZZNS1_27merge_sort_block_merge_implIS3_PhN6thrust23THRUST_200600_302600_NS10device_ptrIlEEjNS1_19radix_merge_compareILb0ELb0EhNS0_19identity_decomposerEEEEE10hipError_tT0_T1_T2_jT3_P12ihipStream_tbPNSt15iterator_traitsISG_E10value_typeEPNSM_ISH_E10value_typeEPSI_NS1_7vsmem_tEENKUlT_SG_SH_SI_E_clIS7_S7_SB_PlEESF_SV_SG_SH_SI_EUlSV_E_NS1_11comp_targetILNS1_3genE10ELNS1_11target_archE1201ELNS1_3gpuE5ELNS1_3repE0EEENS1_48merge_mergepath_partition_config_static_selectorELNS0_4arch9wavefront6targetE1EEEvSH_
                                        ; -- End function
	.section	.AMDGPU.csdata,"",@progbits
; Kernel info:
; codeLenInByte = 0
; NumSgprs: 4
; NumVgprs: 0
; NumAgprs: 0
; TotalNumVgprs: 0
; ScratchSize: 0
; MemoryBound: 0
; FloatMode: 240
; IeeeMode: 1
; LDSByteSize: 0 bytes/workgroup (compile time only)
; SGPRBlocks: 0
; VGPRBlocks: 0
; NumSGPRsForWavesPerEU: 4
; NumVGPRsForWavesPerEU: 1
; AccumOffset: 4
; Occupancy: 8
; WaveLimiterHint : 0
; COMPUTE_PGM_RSRC2:SCRATCH_EN: 0
; COMPUTE_PGM_RSRC2:USER_SGPR: 6
; COMPUTE_PGM_RSRC2:TRAP_HANDLER: 0
; COMPUTE_PGM_RSRC2:TGID_X_EN: 1
; COMPUTE_PGM_RSRC2:TGID_Y_EN: 0
; COMPUTE_PGM_RSRC2:TGID_Z_EN: 0
; COMPUTE_PGM_RSRC2:TIDIG_COMP_CNT: 0
; COMPUTE_PGM_RSRC3_GFX90A:ACCUM_OFFSET: 0
; COMPUTE_PGM_RSRC3_GFX90A:TG_SPLIT: 0
	.section	.text._ZN7rocprim17ROCPRIM_400000_NS6detail17trampoline_kernelINS0_14default_configENS1_38merge_sort_block_merge_config_selectorIhlEEZZNS1_27merge_sort_block_merge_implIS3_PhN6thrust23THRUST_200600_302600_NS10device_ptrIlEEjNS1_19radix_merge_compareILb0ELb0EhNS0_19identity_decomposerEEEEE10hipError_tT0_T1_T2_jT3_P12ihipStream_tbPNSt15iterator_traitsISG_E10value_typeEPNSM_ISH_E10value_typeEPSI_NS1_7vsmem_tEENKUlT_SG_SH_SI_E_clIS7_S7_SB_PlEESF_SV_SG_SH_SI_EUlSV_E_NS1_11comp_targetILNS1_3genE5ELNS1_11target_archE942ELNS1_3gpuE9ELNS1_3repE0EEENS1_48merge_mergepath_partition_config_static_selectorELNS0_4arch9wavefront6targetE1EEEvSH_,"axG",@progbits,_ZN7rocprim17ROCPRIM_400000_NS6detail17trampoline_kernelINS0_14default_configENS1_38merge_sort_block_merge_config_selectorIhlEEZZNS1_27merge_sort_block_merge_implIS3_PhN6thrust23THRUST_200600_302600_NS10device_ptrIlEEjNS1_19radix_merge_compareILb0ELb0EhNS0_19identity_decomposerEEEEE10hipError_tT0_T1_T2_jT3_P12ihipStream_tbPNSt15iterator_traitsISG_E10value_typeEPNSM_ISH_E10value_typeEPSI_NS1_7vsmem_tEENKUlT_SG_SH_SI_E_clIS7_S7_SB_PlEESF_SV_SG_SH_SI_EUlSV_E_NS1_11comp_targetILNS1_3genE5ELNS1_11target_archE942ELNS1_3gpuE9ELNS1_3repE0EEENS1_48merge_mergepath_partition_config_static_selectorELNS0_4arch9wavefront6targetE1EEEvSH_,comdat
	.protected	_ZN7rocprim17ROCPRIM_400000_NS6detail17trampoline_kernelINS0_14default_configENS1_38merge_sort_block_merge_config_selectorIhlEEZZNS1_27merge_sort_block_merge_implIS3_PhN6thrust23THRUST_200600_302600_NS10device_ptrIlEEjNS1_19radix_merge_compareILb0ELb0EhNS0_19identity_decomposerEEEEE10hipError_tT0_T1_T2_jT3_P12ihipStream_tbPNSt15iterator_traitsISG_E10value_typeEPNSM_ISH_E10value_typeEPSI_NS1_7vsmem_tEENKUlT_SG_SH_SI_E_clIS7_S7_SB_PlEESF_SV_SG_SH_SI_EUlSV_E_NS1_11comp_targetILNS1_3genE5ELNS1_11target_archE942ELNS1_3gpuE9ELNS1_3repE0EEENS1_48merge_mergepath_partition_config_static_selectorELNS0_4arch9wavefront6targetE1EEEvSH_ ; -- Begin function _ZN7rocprim17ROCPRIM_400000_NS6detail17trampoline_kernelINS0_14default_configENS1_38merge_sort_block_merge_config_selectorIhlEEZZNS1_27merge_sort_block_merge_implIS3_PhN6thrust23THRUST_200600_302600_NS10device_ptrIlEEjNS1_19radix_merge_compareILb0ELb0EhNS0_19identity_decomposerEEEEE10hipError_tT0_T1_T2_jT3_P12ihipStream_tbPNSt15iterator_traitsISG_E10value_typeEPNSM_ISH_E10value_typeEPSI_NS1_7vsmem_tEENKUlT_SG_SH_SI_E_clIS7_S7_SB_PlEESF_SV_SG_SH_SI_EUlSV_E_NS1_11comp_targetILNS1_3genE5ELNS1_11target_archE942ELNS1_3gpuE9ELNS1_3repE0EEENS1_48merge_mergepath_partition_config_static_selectorELNS0_4arch9wavefront6targetE1EEEvSH_
	.globl	_ZN7rocprim17ROCPRIM_400000_NS6detail17trampoline_kernelINS0_14default_configENS1_38merge_sort_block_merge_config_selectorIhlEEZZNS1_27merge_sort_block_merge_implIS3_PhN6thrust23THRUST_200600_302600_NS10device_ptrIlEEjNS1_19radix_merge_compareILb0ELb0EhNS0_19identity_decomposerEEEEE10hipError_tT0_T1_T2_jT3_P12ihipStream_tbPNSt15iterator_traitsISG_E10value_typeEPNSM_ISH_E10value_typeEPSI_NS1_7vsmem_tEENKUlT_SG_SH_SI_E_clIS7_S7_SB_PlEESF_SV_SG_SH_SI_EUlSV_E_NS1_11comp_targetILNS1_3genE5ELNS1_11target_archE942ELNS1_3gpuE9ELNS1_3repE0EEENS1_48merge_mergepath_partition_config_static_selectorELNS0_4arch9wavefront6targetE1EEEvSH_
	.p2align	8
	.type	_ZN7rocprim17ROCPRIM_400000_NS6detail17trampoline_kernelINS0_14default_configENS1_38merge_sort_block_merge_config_selectorIhlEEZZNS1_27merge_sort_block_merge_implIS3_PhN6thrust23THRUST_200600_302600_NS10device_ptrIlEEjNS1_19radix_merge_compareILb0ELb0EhNS0_19identity_decomposerEEEEE10hipError_tT0_T1_T2_jT3_P12ihipStream_tbPNSt15iterator_traitsISG_E10value_typeEPNSM_ISH_E10value_typeEPSI_NS1_7vsmem_tEENKUlT_SG_SH_SI_E_clIS7_S7_SB_PlEESF_SV_SG_SH_SI_EUlSV_E_NS1_11comp_targetILNS1_3genE5ELNS1_11target_archE942ELNS1_3gpuE9ELNS1_3repE0EEENS1_48merge_mergepath_partition_config_static_selectorELNS0_4arch9wavefront6targetE1EEEvSH_,@function
_ZN7rocprim17ROCPRIM_400000_NS6detail17trampoline_kernelINS0_14default_configENS1_38merge_sort_block_merge_config_selectorIhlEEZZNS1_27merge_sort_block_merge_implIS3_PhN6thrust23THRUST_200600_302600_NS10device_ptrIlEEjNS1_19radix_merge_compareILb0ELb0EhNS0_19identity_decomposerEEEEE10hipError_tT0_T1_T2_jT3_P12ihipStream_tbPNSt15iterator_traitsISG_E10value_typeEPNSM_ISH_E10value_typeEPSI_NS1_7vsmem_tEENKUlT_SG_SH_SI_E_clIS7_S7_SB_PlEESF_SV_SG_SH_SI_EUlSV_E_NS1_11comp_targetILNS1_3genE5ELNS1_11target_archE942ELNS1_3gpuE9ELNS1_3repE0EEENS1_48merge_mergepath_partition_config_static_selectorELNS0_4arch9wavefront6targetE1EEEvSH_: ; @_ZN7rocprim17ROCPRIM_400000_NS6detail17trampoline_kernelINS0_14default_configENS1_38merge_sort_block_merge_config_selectorIhlEEZZNS1_27merge_sort_block_merge_implIS3_PhN6thrust23THRUST_200600_302600_NS10device_ptrIlEEjNS1_19radix_merge_compareILb0ELb0EhNS0_19identity_decomposerEEEEE10hipError_tT0_T1_T2_jT3_P12ihipStream_tbPNSt15iterator_traitsISG_E10value_typeEPNSM_ISH_E10value_typeEPSI_NS1_7vsmem_tEENKUlT_SG_SH_SI_E_clIS7_S7_SB_PlEESF_SV_SG_SH_SI_EUlSV_E_NS1_11comp_targetILNS1_3genE5ELNS1_11target_archE942ELNS1_3gpuE9ELNS1_3repE0EEENS1_48merge_mergepath_partition_config_static_selectorELNS0_4arch9wavefront6targetE1EEEvSH_
; %bb.0:
	.section	.rodata,"a",@progbits
	.p2align	6, 0x0
	.amdhsa_kernel _ZN7rocprim17ROCPRIM_400000_NS6detail17trampoline_kernelINS0_14default_configENS1_38merge_sort_block_merge_config_selectorIhlEEZZNS1_27merge_sort_block_merge_implIS3_PhN6thrust23THRUST_200600_302600_NS10device_ptrIlEEjNS1_19radix_merge_compareILb0ELb0EhNS0_19identity_decomposerEEEEE10hipError_tT0_T1_T2_jT3_P12ihipStream_tbPNSt15iterator_traitsISG_E10value_typeEPNSM_ISH_E10value_typeEPSI_NS1_7vsmem_tEENKUlT_SG_SH_SI_E_clIS7_S7_SB_PlEESF_SV_SG_SH_SI_EUlSV_E_NS1_11comp_targetILNS1_3genE5ELNS1_11target_archE942ELNS1_3gpuE9ELNS1_3repE0EEENS1_48merge_mergepath_partition_config_static_selectorELNS0_4arch9wavefront6targetE1EEEvSH_
		.amdhsa_group_segment_fixed_size 0
		.amdhsa_private_segment_fixed_size 0
		.amdhsa_kernarg_size 40
		.amdhsa_user_sgpr_count 6
		.amdhsa_user_sgpr_private_segment_buffer 1
		.amdhsa_user_sgpr_dispatch_ptr 0
		.amdhsa_user_sgpr_queue_ptr 0
		.amdhsa_user_sgpr_kernarg_segment_ptr 1
		.amdhsa_user_sgpr_dispatch_id 0
		.amdhsa_user_sgpr_flat_scratch_init 0
		.amdhsa_user_sgpr_kernarg_preload_length 0
		.amdhsa_user_sgpr_kernarg_preload_offset 0
		.amdhsa_user_sgpr_private_segment_size 0
		.amdhsa_uses_dynamic_stack 0
		.amdhsa_system_sgpr_private_segment_wavefront_offset 0
		.amdhsa_system_sgpr_workgroup_id_x 1
		.amdhsa_system_sgpr_workgroup_id_y 0
		.amdhsa_system_sgpr_workgroup_id_z 0
		.amdhsa_system_sgpr_workgroup_info 0
		.amdhsa_system_vgpr_workitem_id 0
		.amdhsa_next_free_vgpr 1
		.amdhsa_next_free_sgpr 0
		.amdhsa_accum_offset 4
		.amdhsa_reserve_vcc 0
		.amdhsa_reserve_flat_scratch 0
		.amdhsa_float_round_mode_32 0
		.amdhsa_float_round_mode_16_64 0
		.amdhsa_float_denorm_mode_32 3
		.amdhsa_float_denorm_mode_16_64 3
		.amdhsa_dx10_clamp 1
		.amdhsa_ieee_mode 1
		.amdhsa_fp16_overflow 0
		.amdhsa_tg_split 0
		.amdhsa_exception_fp_ieee_invalid_op 0
		.amdhsa_exception_fp_denorm_src 0
		.amdhsa_exception_fp_ieee_div_zero 0
		.amdhsa_exception_fp_ieee_overflow 0
		.amdhsa_exception_fp_ieee_underflow 0
		.amdhsa_exception_fp_ieee_inexact 0
		.amdhsa_exception_int_div_zero 0
	.end_amdhsa_kernel
	.section	.text._ZN7rocprim17ROCPRIM_400000_NS6detail17trampoline_kernelINS0_14default_configENS1_38merge_sort_block_merge_config_selectorIhlEEZZNS1_27merge_sort_block_merge_implIS3_PhN6thrust23THRUST_200600_302600_NS10device_ptrIlEEjNS1_19radix_merge_compareILb0ELb0EhNS0_19identity_decomposerEEEEE10hipError_tT0_T1_T2_jT3_P12ihipStream_tbPNSt15iterator_traitsISG_E10value_typeEPNSM_ISH_E10value_typeEPSI_NS1_7vsmem_tEENKUlT_SG_SH_SI_E_clIS7_S7_SB_PlEESF_SV_SG_SH_SI_EUlSV_E_NS1_11comp_targetILNS1_3genE5ELNS1_11target_archE942ELNS1_3gpuE9ELNS1_3repE0EEENS1_48merge_mergepath_partition_config_static_selectorELNS0_4arch9wavefront6targetE1EEEvSH_,"axG",@progbits,_ZN7rocprim17ROCPRIM_400000_NS6detail17trampoline_kernelINS0_14default_configENS1_38merge_sort_block_merge_config_selectorIhlEEZZNS1_27merge_sort_block_merge_implIS3_PhN6thrust23THRUST_200600_302600_NS10device_ptrIlEEjNS1_19radix_merge_compareILb0ELb0EhNS0_19identity_decomposerEEEEE10hipError_tT0_T1_T2_jT3_P12ihipStream_tbPNSt15iterator_traitsISG_E10value_typeEPNSM_ISH_E10value_typeEPSI_NS1_7vsmem_tEENKUlT_SG_SH_SI_E_clIS7_S7_SB_PlEESF_SV_SG_SH_SI_EUlSV_E_NS1_11comp_targetILNS1_3genE5ELNS1_11target_archE942ELNS1_3gpuE9ELNS1_3repE0EEENS1_48merge_mergepath_partition_config_static_selectorELNS0_4arch9wavefront6targetE1EEEvSH_,comdat
.Lfunc_end150:
	.size	_ZN7rocprim17ROCPRIM_400000_NS6detail17trampoline_kernelINS0_14default_configENS1_38merge_sort_block_merge_config_selectorIhlEEZZNS1_27merge_sort_block_merge_implIS3_PhN6thrust23THRUST_200600_302600_NS10device_ptrIlEEjNS1_19radix_merge_compareILb0ELb0EhNS0_19identity_decomposerEEEEE10hipError_tT0_T1_T2_jT3_P12ihipStream_tbPNSt15iterator_traitsISG_E10value_typeEPNSM_ISH_E10value_typeEPSI_NS1_7vsmem_tEENKUlT_SG_SH_SI_E_clIS7_S7_SB_PlEESF_SV_SG_SH_SI_EUlSV_E_NS1_11comp_targetILNS1_3genE5ELNS1_11target_archE942ELNS1_3gpuE9ELNS1_3repE0EEENS1_48merge_mergepath_partition_config_static_selectorELNS0_4arch9wavefront6targetE1EEEvSH_, .Lfunc_end150-_ZN7rocprim17ROCPRIM_400000_NS6detail17trampoline_kernelINS0_14default_configENS1_38merge_sort_block_merge_config_selectorIhlEEZZNS1_27merge_sort_block_merge_implIS3_PhN6thrust23THRUST_200600_302600_NS10device_ptrIlEEjNS1_19radix_merge_compareILb0ELb0EhNS0_19identity_decomposerEEEEE10hipError_tT0_T1_T2_jT3_P12ihipStream_tbPNSt15iterator_traitsISG_E10value_typeEPNSM_ISH_E10value_typeEPSI_NS1_7vsmem_tEENKUlT_SG_SH_SI_E_clIS7_S7_SB_PlEESF_SV_SG_SH_SI_EUlSV_E_NS1_11comp_targetILNS1_3genE5ELNS1_11target_archE942ELNS1_3gpuE9ELNS1_3repE0EEENS1_48merge_mergepath_partition_config_static_selectorELNS0_4arch9wavefront6targetE1EEEvSH_
                                        ; -- End function
	.section	.AMDGPU.csdata,"",@progbits
; Kernel info:
; codeLenInByte = 0
; NumSgprs: 4
; NumVgprs: 0
; NumAgprs: 0
; TotalNumVgprs: 0
; ScratchSize: 0
; MemoryBound: 0
; FloatMode: 240
; IeeeMode: 1
; LDSByteSize: 0 bytes/workgroup (compile time only)
; SGPRBlocks: 0
; VGPRBlocks: 0
; NumSGPRsForWavesPerEU: 4
; NumVGPRsForWavesPerEU: 1
; AccumOffset: 4
; Occupancy: 8
; WaveLimiterHint : 0
; COMPUTE_PGM_RSRC2:SCRATCH_EN: 0
; COMPUTE_PGM_RSRC2:USER_SGPR: 6
; COMPUTE_PGM_RSRC2:TRAP_HANDLER: 0
; COMPUTE_PGM_RSRC2:TGID_X_EN: 1
; COMPUTE_PGM_RSRC2:TGID_Y_EN: 0
; COMPUTE_PGM_RSRC2:TGID_Z_EN: 0
; COMPUTE_PGM_RSRC2:TIDIG_COMP_CNT: 0
; COMPUTE_PGM_RSRC3_GFX90A:ACCUM_OFFSET: 0
; COMPUTE_PGM_RSRC3_GFX90A:TG_SPLIT: 0
	.section	.text._ZN7rocprim17ROCPRIM_400000_NS6detail17trampoline_kernelINS0_14default_configENS1_38merge_sort_block_merge_config_selectorIhlEEZZNS1_27merge_sort_block_merge_implIS3_PhN6thrust23THRUST_200600_302600_NS10device_ptrIlEEjNS1_19radix_merge_compareILb0ELb0EhNS0_19identity_decomposerEEEEE10hipError_tT0_T1_T2_jT3_P12ihipStream_tbPNSt15iterator_traitsISG_E10value_typeEPNSM_ISH_E10value_typeEPSI_NS1_7vsmem_tEENKUlT_SG_SH_SI_E_clIS7_S7_SB_PlEESF_SV_SG_SH_SI_EUlSV_E_NS1_11comp_targetILNS1_3genE4ELNS1_11target_archE910ELNS1_3gpuE8ELNS1_3repE0EEENS1_48merge_mergepath_partition_config_static_selectorELNS0_4arch9wavefront6targetE1EEEvSH_,"axG",@progbits,_ZN7rocprim17ROCPRIM_400000_NS6detail17trampoline_kernelINS0_14default_configENS1_38merge_sort_block_merge_config_selectorIhlEEZZNS1_27merge_sort_block_merge_implIS3_PhN6thrust23THRUST_200600_302600_NS10device_ptrIlEEjNS1_19radix_merge_compareILb0ELb0EhNS0_19identity_decomposerEEEEE10hipError_tT0_T1_T2_jT3_P12ihipStream_tbPNSt15iterator_traitsISG_E10value_typeEPNSM_ISH_E10value_typeEPSI_NS1_7vsmem_tEENKUlT_SG_SH_SI_E_clIS7_S7_SB_PlEESF_SV_SG_SH_SI_EUlSV_E_NS1_11comp_targetILNS1_3genE4ELNS1_11target_archE910ELNS1_3gpuE8ELNS1_3repE0EEENS1_48merge_mergepath_partition_config_static_selectorELNS0_4arch9wavefront6targetE1EEEvSH_,comdat
	.protected	_ZN7rocprim17ROCPRIM_400000_NS6detail17trampoline_kernelINS0_14default_configENS1_38merge_sort_block_merge_config_selectorIhlEEZZNS1_27merge_sort_block_merge_implIS3_PhN6thrust23THRUST_200600_302600_NS10device_ptrIlEEjNS1_19radix_merge_compareILb0ELb0EhNS0_19identity_decomposerEEEEE10hipError_tT0_T1_T2_jT3_P12ihipStream_tbPNSt15iterator_traitsISG_E10value_typeEPNSM_ISH_E10value_typeEPSI_NS1_7vsmem_tEENKUlT_SG_SH_SI_E_clIS7_S7_SB_PlEESF_SV_SG_SH_SI_EUlSV_E_NS1_11comp_targetILNS1_3genE4ELNS1_11target_archE910ELNS1_3gpuE8ELNS1_3repE0EEENS1_48merge_mergepath_partition_config_static_selectorELNS0_4arch9wavefront6targetE1EEEvSH_ ; -- Begin function _ZN7rocprim17ROCPRIM_400000_NS6detail17trampoline_kernelINS0_14default_configENS1_38merge_sort_block_merge_config_selectorIhlEEZZNS1_27merge_sort_block_merge_implIS3_PhN6thrust23THRUST_200600_302600_NS10device_ptrIlEEjNS1_19radix_merge_compareILb0ELb0EhNS0_19identity_decomposerEEEEE10hipError_tT0_T1_T2_jT3_P12ihipStream_tbPNSt15iterator_traitsISG_E10value_typeEPNSM_ISH_E10value_typeEPSI_NS1_7vsmem_tEENKUlT_SG_SH_SI_E_clIS7_S7_SB_PlEESF_SV_SG_SH_SI_EUlSV_E_NS1_11comp_targetILNS1_3genE4ELNS1_11target_archE910ELNS1_3gpuE8ELNS1_3repE0EEENS1_48merge_mergepath_partition_config_static_selectorELNS0_4arch9wavefront6targetE1EEEvSH_
	.globl	_ZN7rocprim17ROCPRIM_400000_NS6detail17trampoline_kernelINS0_14default_configENS1_38merge_sort_block_merge_config_selectorIhlEEZZNS1_27merge_sort_block_merge_implIS3_PhN6thrust23THRUST_200600_302600_NS10device_ptrIlEEjNS1_19radix_merge_compareILb0ELb0EhNS0_19identity_decomposerEEEEE10hipError_tT0_T1_T2_jT3_P12ihipStream_tbPNSt15iterator_traitsISG_E10value_typeEPNSM_ISH_E10value_typeEPSI_NS1_7vsmem_tEENKUlT_SG_SH_SI_E_clIS7_S7_SB_PlEESF_SV_SG_SH_SI_EUlSV_E_NS1_11comp_targetILNS1_3genE4ELNS1_11target_archE910ELNS1_3gpuE8ELNS1_3repE0EEENS1_48merge_mergepath_partition_config_static_selectorELNS0_4arch9wavefront6targetE1EEEvSH_
	.p2align	8
	.type	_ZN7rocprim17ROCPRIM_400000_NS6detail17trampoline_kernelINS0_14default_configENS1_38merge_sort_block_merge_config_selectorIhlEEZZNS1_27merge_sort_block_merge_implIS3_PhN6thrust23THRUST_200600_302600_NS10device_ptrIlEEjNS1_19radix_merge_compareILb0ELb0EhNS0_19identity_decomposerEEEEE10hipError_tT0_T1_T2_jT3_P12ihipStream_tbPNSt15iterator_traitsISG_E10value_typeEPNSM_ISH_E10value_typeEPSI_NS1_7vsmem_tEENKUlT_SG_SH_SI_E_clIS7_S7_SB_PlEESF_SV_SG_SH_SI_EUlSV_E_NS1_11comp_targetILNS1_3genE4ELNS1_11target_archE910ELNS1_3gpuE8ELNS1_3repE0EEENS1_48merge_mergepath_partition_config_static_selectorELNS0_4arch9wavefront6targetE1EEEvSH_,@function
_ZN7rocprim17ROCPRIM_400000_NS6detail17trampoline_kernelINS0_14default_configENS1_38merge_sort_block_merge_config_selectorIhlEEZZNS1_27merge_sort_block_merge_implIS3_PhN6thrust23THRUST_200600_302600_NS10device_ptrIlEEjNS1_19radix_merge_compareILb0ELb0EhNS0_19identity_decomposerEEEEE10hipError_tT0_T1_T2_jT3_P12ihipStream_tbPNSt15iterator_traitsISG_E10value_typeEPNSM_ISH_E10value_typeEPSI_NS1_7vsmem_tEENKUlT_SG_SH_SI_E_clIS7_S7_SB_PlEESF_SV_SG_SH_SI_EUlSV_E_NS1_11comp_targetILNS1_3genE4ELNS1_11target_archE910ELNS1_3gpuE8ELNS1_3repE0EEENS1_48merge_mergepath_partition_config_static_selectorELNS0_4arch9wavefront6targetE1EEEvSH_: ; @_ZN7rocprim17ROCPRIM_400000_NS6detail17trampoline_kernelINS0_14default_configENS1_38merge_sort_block_merge_config_selectorIhlEEZZNS1_27merge_sort_block_merge_implIS3_PhN6thrust23THRUST_200600_302600_NS10device_ptrIlEEjNS1_19radix_merge_compareILb0ELb0EhNS0_19identity_decomposerEEEEE10hipError_tT0_T1_T2_jT3_P12ihipStream_tbPNSt15iterator_traitsISG_E10value_typeEPNSM_ISH_E10value_typeEPSI_NS1_7vsmem_tEENKUlT_SG_SH_SI_E_clIS7_S7_SB_PlEESF_SV_SG_SH_SI_EUlSV_E_NS1_11comp_targetILNS1_3genE4ELNS1_11target_archE910ELNS1_3gpuE8ELNS1_3repE0EEENS1_48merge_mergepath_partition_config_static_selectorELNS0_4arch9wavefront6targetE1EEEvSH_
; %bb.0:
	s_load_dword s0, s[4:5], 0x0
	v_lshl_or_b32 v0, s6, 7, v0
	s_waitcnt lgkmcnt(0)
	v_cmp_gt_u32_e32 vcc, s0, v0
	s_and_saveexec_b64 s[0:1], vcc
	s_cbranch_execz .LBB151_6
; %bb.1:
	s_load_dwordx2 s[2:3], s[4:5], 0x4
	s_load_dwordx2 s[0:1], s[4:5], 0x20
	s_waitcnt lgkmcnt(0)
	s_lshr_b32 s6, s2, 9
	s_and_b32 s6, s6, 0x7ffffe
	s_add_i32 s7, s6, -1
	s_sub_i32 s6, 0, s6
	v_and_b32_e32 v1, s6, v0
	v_lshlrev_b32_e32 v3, 10, v1
	v_min_u32_e32 v1, s3, v3
	v_add_u32_e32 v3, s2, v3
	v_min_u32_e32 v7, s3, v3
	v_add_u32_e32 v3, s2, v7
	v_and_b32_e32 v2, s7, v0
	v_min_u32_e32 v4, s3, v3
	v_sub_u32_e32 v3, v4, v1
	v_lshlrev_b32_e32 v2, 10, v2
	v_min_u32_e32 v3, v3, v2
	v_sub_u32_e32 v5, v7, v1
	v_sub_u32_e32 v2, v4, v7
	v_sub_u32_e64 v2, v3, v2 clamp
	v_min_u32_e32 v4, v3, v5
	v_cmp_lt_u32_e32 vcc, v2, v4
	s_and_saveexec_b64 s[2:3], vcc
	s_cbranch_execz .LBB151_5
; %bb.2:
	s_load_dwordx2 s[4:5], s[4:5], 0x10
	s_waitcnt lgkmcnt(0)
	v_mov_b32_e32 v8, s5
	v_add_co_u32_e32 v5, vcc, s4, v1
	v_addc_co_u32_e32 v6, vcc, 0, v8, vcc
	v_add_co_u32_e32 v7, vcc, s4, v7
	v_addc_co_u32_e32 v8, vcc, 0, v8, vcc
	s_mov_b64 s[4:5], 0
.LBB151_3:                              ; =>This Inner Loop Header: Depth=1
	v_add_u32_e32 v9, v4, v2
	v_lshrrev_b32_e32 v9, 1, v9
	v_add_co_u32_e32 v10, vcc, v5, v9
	v_xad_u32 v12, v9, -1, v3
	v_addc_co_u32_e32 v11, vcc, 0, v6, vcc
	v_add_co_u32_e32 v12, vcc, v7, v12
	v_addc_co_u32_e32 v13, vcc, 0, v8, vcc
	global_load_ubyte v14, v[10:11], off
	global_load_ubyte v15, v[12:13], off
	v_add_u32_e32 v10, 1, v9
	s_waitcnt vmcnt(0)
	v_cmp_gt_u16_e32 vcc, v14, v15
	v_cndmask_b32_e32 v4, v4, v9, vcc
	v_cndmask_b32_e32 v2, v10, v2, vcc
	v_cmp_ge_u32_e32 vcc, v2, v4
	s_or_b64 s[4:5], vcc, s[4:5]
	s_andn2_b64 exec, exec, s[4:5]
	s_cbranch_execnz .LBB151_3
; %bb.4:
	s_or_b64 exec, exec, s[4:5]
.LBB151_5:
	s_or_b64 exec, exec, s[2:3]
	v_add_u32_e32 v2, v2, v1
	v_mov_b32_e32 v1, 0
	v_lshlrev_b64 v[0:1], 2, v[0:1]
	v_mov_b32_e32 v3, s1
	v_add_co_u32_e32 v0, vcc, s0, v0
	v_addc_co_u32_e32 v1, vcc, v3, v1, vcc
	global_store_dword v[0:1], v2, off
.LBB151_6:
	s_endpgm
	.section	.rodata,"a",@progbits
	.p2align	6, 0x0
	.amdhsa_kernel _ZN7rocprim17ROCPRIM_400000_NS6detail17trampoline_kernelINS0_14default_configENS1_38merge_sort_block_merge_config_selectorIhlEEZZNS1_27merge_sort_block_merge_implIS3_PhN6thrust23THRUST_200600_302600_NS10device_ptrIlEEjNS1_19radix_merge_compareILb0ELb0EhNS0_19identity_decomposerEEEEE10hipError_tT0_T1_T2_jT3_P12ihipStream_tbPNSt15iterator_traitsISG_E10value_typeEPNSM_ISH_E10value_typeEPSI_NS1_7vsmem_tEENKUlT_SG_SH_SI_E_clIS7_S7_SB_PlEESF_SV_SG_SH_SI_EUlSV_E_NS1_11comp_targetILNS1_3genE4ELNS1_11target_archE910ELNS1_3gpuE8ELNS1_3repE0EEENS1_48merge_mergepath_partition_config_static_selectorELNS0_4arch9wavefront6targetE1EEEvSH_
		.amdhsa_group_segment_fixed_size 0
		.amdhsa_private_segment_fixed_size 0
		.amdhsa_kernarg_size 40
		.amdhsa_user_sgpr_count 6
		.amdhsa_user_sgpr_private_segment_buffer 1
		.amdhsa_user_sgpr_dispatch_ptr 0
		.amdhsa_user_sgpr_queue_ptr 0
		.amdhsa_user_sgpr_kernarg_segment_ptr 1
		.amdhsa_user_sgpr_dispatch_id 0
		.amdhsa_user_sgpr_flat_scratch_init 0
		.amdhsa_user_sgpr_kernarg_preload_length 0
		.amdhsa_user_sgpr_kernarg_preload_offset 0
		.amdhsa_user_sgpr_private_segment_size 0
		.amdhsa_uses_dynamic_stack 0
		.amdhsa_system_sgpr_private_segment_wavefront_offset 0
		.amdhsa_system_sgpr_workgroup_id_x 1
		.amdhsa_system_sgpr_workgroup_id_y 0
		.amdhsa_system_sgpr_workgroup_id_z 0
		.amdhsa_system_sgpr_workgroup_info 0
		.amdhsa_system_vgpr_workitem_id 0
		.amdhsa_next_free_vgpr 16
		.amdhsa_next_free_sgpr 8
		.amdhsa_accum_offset 16
		.amdhsa_reserve_vcc 1
		.amdhsa_reserve_flat_scratch 0
		.amdhsa_float_round_mode_32 0
		.amdhsa_float_round_mode_16_64 0
		.amdhsa_float_denorm_mode_32 3
		.amdhsa_float_denorm_mode_16_64 3
		.amdhsa_dx10_clamp 1
		.amdhsa_ieee_mode 1
		.amdhsa_fp16_overflow 0
		.amdhsa_tg_split 0
		.amdhsa_exception_fp_ieee_invalid_op 0
		.amdhsa_exception_fp_denorm_src 0
		.amdhsa_exception_fp_ieee_div_zero 0
		.amdhsa_exception_fp_ieee_overflow 0
		.amdhsa_exception_fp_ieee_underflow 0
		.amdhsa_exception_fp_ieee_inexact 0
		.amdhsa_exception_int_div_zero 0
	.end_amdhsa_kernel
	.section	.text._ZN7rocprim17ROCPRIM_400000_NS6detail17trampoline_kernelINS0_14default_configENS1_38merge_sort_block_merge_config_selectorIhlEEZZNS1_27merge_sort_block_merge_implIS3_PhN6thrust23THRUST_200600_302600_NS10device_ptrIlEEjNS1_19radix_merge_compareILb0ELb0EhNS0_19identity_decomposerEEEEE10hipError_tT0_T1_T2_jT3_P12ihipStream_tbPNSt15iterator_traitsISG_E10value_typeEPNSM_ISH_E10value_typeEPSI_NS1_7vsmem_tEENKUlT_SG_SH_SI_E_clIS7_S7_SB_PlEESF_SV_SG_SH_SI_EUlSV_E_NS1_11comp_targetILNS1_3genE4ELNS1_11target_archE910ELNS1_3gpuE8ELNS1_3repE0EEENS1_48merge_mergepath_partition_config_static_selectorELNS0_4arch9wavefront6targetE1EEEvSH_,"axG",@progbits,_ZN7rocprim17ROCPRIM_400000_NS6detail17trampoline_kernelINS0_14default_configENS1_38merge_sort_block_merge_config_selectorIhlEEZZNS1_27merge_sort_block_merge_implIS3_PhN6thrust23THRUST_200600_302600_NS10device_ptrIlEEjNS1_19radix_merge_compareILb0ELb0EhNS0_19identity_decomposerEEEEE10hipError_tT0_T1_T2_jT3_P12ihipStream_tbPNSt15iterator_traitsISG_E10value_typeEPNSM_ISH_E10value_typeEPSI_NS1_7vsmem_tEENKUlT_SG_SH_SI_E_clIS7_S7_SB_PlEESF_SV_SG_SH_SI_EUlSV_E_NS1_11comp_targetILNS1_3genE4ELNS1_11target_archE910ELNS1_3gpuE8ELNS1_3repE0EEENS1_48merge_mergepath_partition_config_static_selectorELNS0_4arch9wavefront6targetE1EEEvSH_,comdat
.Lfunc_end151:
	.size	_ZN7rocprim17ROCPRIM_400000_NS6detail17trampoline_kernelINS0_14default_configENS1_38merge_sort_block_merge_config_selectorIhlEEZZNS1_27merge_sort_block_merge_implIS3_PhN6thrust23THRUST_200600_302600_NS10device_ptrIlEEjNS1_19radix_merge_compareILb0ELb0EhNS0_19identity_decomposerEEEEE10hipError_tT0_T1_T2_jT3_P12ihipStream_tbPNSt15iterator_traitsISG_E10value_typeEPNSM_ISH_E10value_typeEPSI_NS1_7vsmem_tEENKUlT_SG_SH_SI_E_clIS7_S7_SB_PlEESF_SV_SG_SH_SI_EUlSV_E_NS1_11comp_targetILNS1_3genE4ELNS1_11target_archE910ELNS1_3gpuE8ELNS1_3repE0EEENS1_48merge_mergepath_partition_config_static_selectorELNS0_4arch9wavefront6targetE1EEEvSH_, .Lfunc_end151-_ZN7rocprim17ROCPRIM_400000_NS6detail17trampoline_kernelINS0_14default_configENS1_38merge_sort_block_merge_config_selectorIhlEEZZNS1_27merge_sort_block_merge_implIS3_PhN6thrust23THRUST_200600_302600_NS10device_ptrIlEEjNS1_19radix_merge_compareILb0ELb0EhNS0_19identity_decomposerEEEEE10hipError_tT0_T1_T2_jT3_P12ihipStream_tbPNSt15iterator_traitsISG_E10value_typeEPNSM_ISH_E10value_typeEPSI_NS1_7vsmem_tEENKUlT_SG_SH_SI_E_clIS7_S7_SB_PlEESF_SV_SG_SH_SI_EUlSV_E_NS1_11comp_targetILNS1_3genE4ELNS1_11target_archE910ELNS1_3gpuE8ELNS1_3repE0EEENS1_48merge_mergepath_partition_config_static_selectorELNS0_4arch9wavefront6targetE1EEEvSH_
                                        ; -- End function
	.section	.AMDGPU.csdata,"",@progbits
; Kernel info:
; codeLenInByte = 316
; NumSgprs: 12
; NumVgprs: 16
; NumAgprs: 0
; TotalNumVgprs: 16
; ScratchSize: 0
; MemoryBound: 0
; FloatMode: 240
; IeeeMode: 1
; LDSByteSize: 0 bytes/workgroup (compile time only)
; SGPRBlocks: 1
; VGPRBlocks: 1
; NumSGPRsForWavesPerEU: 12
; NumVGPRsForWavesPerEU: 16
; AccumOffset: 16
; Occupancy: 8
; WaveLimiterHint : 0
; COMPUTE_PGM_RSRC2:SCRATCH_EN: 0
; COMPUTE_PGM_RSRC2:USER_SGPR: 6
; COMPUTE_PGM_RSRC2:TRAP_HANDLER: 0
; COMPUTE_PGM_RSRC2:TGID_X_EN: 1
; COMPUTE_PGM_RSRC2:TGID_Y_EN: 0
; COMPUTE_PGM_RSRC2:TGID_Z_EN: 0
; COMPUTE_PGM_RSRC2:TIDIG_COMP_CNT: 0
; COMPUTE_PGM_RSRC3_GFX90A:ACCUM_OFFSET: 3
; COMPUTE_PGM_RSRC3_GFX90A:TG_SPLIT: 0
	.section	.text._ZN7rocprim17ROCPRIM_400000_NS6detail17trampoline_kernelINS0_14default_configENS1_38merge_sort_block_merge_config_selectorIhlEEZZNS1_27merge_sort_block_merge_implIS3_PhN6thrust23THRUST_200600_302600_NS10device_ptrIlEEjNS1_19radix_merge_compareILb0ELb0EhNS0_19identity_decomposerEEEEE10hipError_tT0_T1_T2_jT3_P12ihipStream_tbPNSt15iterator_traitsISG_E10value_typeEPNSM_ISH_E10value_typeEPSI_NS1_7vsmem_tEENKUlT_SG_SH_SI_E_clIS7_S7_SB_PlEESF_SV_SG_SH_SI_EUlSV_E_NS1_11comp_targetILNS1_3genE3ELNS1_11target_archE908ELNS1_3gpuE7ELNS1_3repE0EEENS1_48merge_mergepath_partition_config_static_selectorELNS0_4arch9wavefront6targetE1EEEvSH_,"axG",@progbits,_ZN7rocprim17ROCPRIM_400000_NS6detail17trampoline_kernelINS0_14default_configENS1_38merge_sort_block_merge_config_selectorIhlEEZZNS1_27merge_sort_block_merge_implIS3_PhN6thrust23THRUST_200600_302600_NS10device_ptrIlEEjNS1_19radix_merge_compareILb0ELb0EhNS0_19identity_decomposerEEEEE10hipError_tT0_T1_T2_jT3_P12ihipStream_tbPNSt15iterator_traitsISG_E10value_typeEPNSM_ISH_E10value_typeEPSI_NS1_7vsmem_tEENKUlT_SG_SH_SI_E_clIS7_S7_SB_PlEESF_SV_SG_SH_SI_EUlSV_E_NS1_11comp_targetILNS1_3genE3ELNS1_11target_archE908ELNS1_3gpuE7ELNS1_3repE0EEENS1_48merge_mergepath_partition_config_static_selectorELNS0_4arch9wavefront6targetE1EEEvSH_,comdat
	.protected	_ZN7rocprim17ROCPRIM_400000_NS6detail17trampoline_kernelINS0_14default_configENS1_38merge_sort_block_merge_config_selectorIhlEEZZNS1_27merge_sort_block_merge_implIS3_PhN6thrust23THRUST_200600_302600_NS10device_ptrIlEEjNS1_19radix_merge_compareILb0ELb0EhNS0_19identity_decomposerEEEEE10hipError_tT0_T1_T2_jT3_P12ihipStream_tbPNSt15iterator_traitsISG_E10value_typeEPNSM_ISH_E10value_typeEPSI_NS1_7vsmem_tEENKUlT_SG_SH_SI_E_clIS7_S7_SB_PlEESF_SV_SG_SH_SI_EUlSV_E_NS1_11comp_targetILNS1_3genE3ELNS1_11target_archE908ELNS1_3gpuE7ELNS1_3repE0EEENS1_48merge_mergepath_partition_config_static_selectorELNS0_4arch9wavefront6targetE1EEEvSH_ ; -- Begin function _ZN7rocprim17ROCPRIM_400000_NS6detail17trampoline_kernelINS0_14default_configENS1_38merge_sort_block_merge_config_selectorIhlEEZZNS1_27merge_sort_block_merge_implIS3_PhN6thrust23THRUST_200600_302600_NS10device_ptrIlEEjNS1_19radix_merge_compareILb0ELb0EhNS0_19identity_decomposerEEEEE10hipError_tT0_T1_T2_jT3_P12ihipStream_tbPNSt15iterator_traitsISG_E10value_typeEPNSM_ISH_E10value_typeEPSI_NS1_7vsmem_tEENKUlT_SG_SH_SI_E_clIS7_S7_SB_PlEESF_SV_SG_SH_SI_EUlSV_E_NS1_11comp_targetILNS1_3genE3ELNS1_11target_archE908ELNS1_3gpuE7ELNS1_3repE0EEENS1_48merge_mergepath_partition_config_static_selectorELNS0_4arch9wavefront6targetE1EEEvSH_
	.globl	_ZN7rocprim17ROCPRIM_400000_NS6detail17trampoline_kernelINS0_14default_configENS1_38merge_sort_block_merge_config_selectorIhlEEZZNS1_27merge_sort_block_merge_implIS3_PhN6thrust23THRUST_200600_302600_NS10device_ptrIlEEjNS1_19radix_merge_compareILb0ELb0EhNS0_19identity_decomposerEEEEE10hipError_tT0_T1_T2_jT3_P12ihipStream_tbPNSt15iterator_traitsISG_E10value_typeEPNSM_ISH_E10value_typeEPSI_NS1_7vsmem_tEENKUlT_SG_SH_SI_E_clIS7_S7_SB_PlEESF_SV_SG_SH_SI_EUlSV_E_NS1_11comp_targetILNS1_3genE3ELNS1_11target_archE908ELNS1_3gpuE7ELNS1_3repE0EEENS1_48merge_mergepath_partition_config_static_selectorELNS0_4arch9wavefront6targetE1EEEvSH_
	.p2align	8
	.type	_ZN7rocprim17ROCPRIM_400000_NS6detail17trampoline_kernelINS0_14default_configENS1_38merge_sort_block_merge_config_selectorIhlEEZZNS1_27merge_sort_block_merge_implIS3_PhN6thrust23THRUST_200600_302600_NS10device_ptrIlEEjNS1_19radix_merge_compareILb0ELb0EhNS0_19identity_decomposerEEEEE10hipError_tT0_T1_T2_jT3_P12ihipStream_tbPNSt15iterator_traitsISG_E10value_typeEPNSM_ISH_E10value_typeEPSI_NS1_7vsmem_tEENKUlT_SG_SH_SI_E_clIS7_S7_SB_PlEESF_SV_SG_SH_SI_EUlSV_E_NS1_11comp_targetILNS1_3genE3ELNS1_11target_archE908ELNS1_3gpuE7ELNS1_3repE0EEENS1_48merge_mergepath_partition_config_static_selectorELNS0_4arch9wavefront6targetE1EEEvSH_,@function
_ZN7rocprim17ROCPRIM_400000_NS6detail17trampoline_kernelINS0_14default_configENS1_38merge_sort_block_merge_config_selectorIhlEEZZNS1_27merge_sort_block_merge_implIS3_PhN6thrust23THRUST_200600_302600_NS10device_ptrIlEEjNS1_19radix_merge_compareILb0ELb0EhNS0_19identity_decomposerEEEEE10hipError_tT0_T1_T2_jT3_P12ihipStream_tbPNSt15iterator_traitsISG_E10value_typeEPNSM_ISH_E10value_typeEPSI_NS1_7vsmem_tEENKUlT_SG_SH_SI_E_clIS7_S7_SB_PlEESF_SV_SG_SH_SI_EUlSV_E_NS1_11comp_targetILNS1_3genE3ELNS1_11target_archE908ELNS1_3gpuE7ELNS1_3repE0EEENS1_48merge_mergepath_partition_config_static_selectorELNS0_4arch9wavefront6targetE1EEEvSH_: ; @_ZN7rocprim17ROCPRIM_400000_NS6detail17trampoline_kernelINS0_14default_configENS1_38merge_sort_block_merge_config_selectorIhlEEZZNS1_27merge_sort_block_merge_implIS3_PhN6thrust23THRUST_200600_302600_NS10device_ptrIlEEjNS1_19radix_merge_compareILb0ELb0EhNS0_19identity_decomposerEEEEE10hipError_tT0_T1_T2_jT3_P12ihipStream_tbPNSt15iterator_traitsISG_E10value_typeEPNSM_ISH_E10value_typeEPSI_NS1_7vsmem_tEENKUlT_SG_SH_SI_E_clIS7_S7_SB_PlEESF_SV_SG_SH_SI_EUlSV_E_NS1_11comp_targetILNS1_3genE3ELNS1_11target_archE908ELNS1_3gpuE7ELNS1_3repE0EEENS1_48merge_mergepath_partition_config_static_selectorELNS0_4arch9wavefront6targetE1EEEvSH_
; %bb.0:
	.section	.rodata,"a",@progbits
	.p2align	6, 0x0
	.amdhsa_kernel _ZN7rocprim17ROCPRIM_400000_NS6detail17trampoline_kernelINS0_14default_configENS1_38merge_sort_block_merge_config_selectorIhlEEZZNS1_27merge_sort_block_merge_implIS3_PhN6thrust23THRUST_200600_302600_NS10device_ptrIlEEjNS1_19radix_merge_compareILb0ELb0EhNS0_19identity_decomposerEEEEE10hipError_tT0_T1_T2_jT3_P12ihipStream_tbPNSt15iterator_traitsISG_E10value_typeEPNSM_ISH_E10value_typeEPSI_NS1_7vsmem_tEENKUlT_SG_SH_SI_E_clIS7_S7_SB_PlEESF_SV_SG_SH_SI_EUlSV_E_NS1_11comp_targetILNS1_3genE3ELNS1_11target_archE908ELNS1_3gpuE7ELNS1_3repE0EEENS1_48merge_mergepath_partition_config_static_selectorELNS0_4arch9wavefront6targetE1EEEvSH_
		.amdhsa_group_segment_fixed_size 0
		.amdhsa_private_segment_fixed_size 0
		.amdhsa_kernarg_size 40
		.amdhsa_user_sgpr_count 6
		.amdhsa_user_sgpr_private_segment_buffer 1
		.amdhsa_user_sgpr_dispatch_ptr 0
		.amdhsa_user_sgpr_queue_ptr 0
		.amdhsa_user_sgpr_kernarg_segment_ptr 1
		.amdhsa_user_sgpr_dispatch_id 0
		.amdhsa_user_sgpr_flat_scratch_init 0
		.amdhsa_user_sgpr_kernarg_preload_length 0
		.amdhsa_user_sgpr_kernarg_preload_offset 0
		.amdhsa_user_sgpr_private_segment_size 0
		.amdhsa_uses_dynamic_stack 0
		.amdhsa_system_sgpr_private_segment_wavefront_offset 0
		.amdhsa_system_sgpr_workgroup_id_x 1
		.amdhsa_system_sgpr_workgroup_id_y 0
		.amdhsa_system_sgpr_workgroup_id_z 0
		.amdhsa_system_sgpr_workgroup_info 0
		.amdhsa_system_vgpr_workitem_id 0
		.amdhsa_next_free_vgpr 1
		.amdhsa_next_free_sgpr 0
		.amdhsa_accum_offset 4
		.amdhsa_reserve_vcc 0
		.amdhsa_reserve_flat_scratch 0
		.amdhsa_float_round_mode_32 0
		.amdhsa_float_round_mode_16_64 0
		.amdhsa_float_denorm_mode_32 3
		.amdhsa_float_denorm_mode_16_64 3
		.amdhsa_dx10_clamp 1
		.amdhsa_ieee_mode 1
		.amdhsa_fp16_overflow 0
		.amdhsa_tg_split 0
		.amdhsa_exception_fp_ieee_invalid_op 0
		.amdhsa_exception_fp_denorm_src 0
		.amdhsa_exception_fp_ieee_div_zero 0
		.amdhsa_exception_fp_ieee_overflow 0
		.amdhsa_exception_fp_ieee_underflow 0
		.amdhsa_exception_fp_ieee_inexact 0
		.amdhsa_exception_int_div_zero 0
	.end_amdhsa_kernel
	.section	.text._ZN7rocprim17ROCPRIM_400000_NS6detail17trampoline_kernelINS0_14default_configENS1_38merge_sort_block_merge_config_selectorIhlEEZZNS1_27merge_sort_block_merge_implIS3_PhN6thrust23THRUST_200600_302600_NS10device_ptrIlEEjNS1_19radix_merge_compareILb0ELb0EhNS0_19identity_decomposerEEEEE10hipError_tT0_T1_T2_jT3_P12ihipStream_tbPNSt15iterator_traitsISG_E10value_typeEPNSM_ISH_E10value_typeEPSI_NS1_7vsmem_tEENKUlT_SG_SH_SI_E_clIS7_S7_SB_PlEESF_SV_SG_SH_SI_EUlSV_E_NS1_11comp_targetILNS1_3genE3ELNS1_11target_archE908ELNS1_3gpuE7ELNS1_3repE0EEENS1_48merge_mergepath_partition_config_static_selectorELNS0_4arch9wavefront6targetE1EEEvSH_,"axG",@progbits,_ZN7rocprim17ROCPRIM_400000_NS6detail17trampoline_kernelINS0_14default_configENS1_38merge_sort_block_merge_config_selectorIhlEEZZNS1_27merge_sort_block_merge_implIS3_PhN6thrust23THRUST_200600_302600_NS10device_ptrIlEEjNS1_19radix_merge_compareILb0ELb0EhNS0_19identity_decomposerEEEEE10hipError_tT0_T1_T2_jT3_P12ihipStream_tbPNSt15iterator_traitsISG_E10value_typeEPNSM_ISH_E10value_typeEPSI_NS1_7vsmem_tEENKUlT_SG_SH_SI_E_clIS7_S7_SB_PlEESF_SV_SG_SH_SI_EUlSV_E_NS1_11comp_targetILNS1_3genE3ELNS1_11target_archE908ELNS1_3gpuE7ELNS1_3repE0EEENS1_48merge_mergepath_partition_config_static_selectorELNS0_4arch9wavefront6targetE1EEEvSH_,comdat
.Lfunc_end152:
	.size	_ZN7rocprim17ROCPRIM_400000_NS6detail17trampoline_kernelINS0_14default_configENS1_38merge_sort_block_merge_config_selectorIhlEEZZNS1_27merge_sort_block_merge_implIS3_PhN6thrust23THRUST_200600_302600_NS10device_ptrIlEEjNS1_19radix_merge_compareILb0ELb0EhNS0_19identity_decomposerEEEEE10hipError_tT0_T1_T2_jT3_P12ihipStream_tbPNSt15iterator_traitsISG_E10value_typeEPNSM_ISH_E10value_typeEPSI_NS1_7vsmem_tEENKUlT_SG_SH_SI_E_clIS7_S7_SB_PlEESF_SV_SG_SH_SI_EUlSV_E_NS1_11comp_targetILNS1_3genE3ELNS1_11target_archE908ELNS1_3gpuE7ELNS1_3repE0EEENS1_48merge_mergepath_partition_config_static_selectorELNS0_4arch9wavefront6targetE1EEEvSH_, .Lfunc_end152-_ZN7rocprim17ROCPRIM_400000_NS6detail17trampoline_kernelINS0_14default_configENS1_38merge_sort_block_merge_config_selectorIhlEEZZNS1_27merge_sort_block_merge_implIS3_PhN6thrust23THRUST_200600_302600_NS10device_ptrIlEEjNS1_19radix_merge_compareILb0ELb0EhNS0_19identity_decomposerEEEEE10hipError_tT0_T1_T2_jT3_P12ihipStream_tbPNSt15iterator_traitsISG_E10value_typeEPNSM_ISH_E10value_typeEPSI_NS1_7vsmem_tEENKUlT_SG_SH_SI_E_clIS7_S7_SB_PlEESF_SV_SG_SH_SI_EUlSV_E_NS1_11comp_targetILNS1_3genE3ELNS1_11target_archE908ELNS1_3gpuE7ELNS1_3repE0EEENS1_48merge_mergepath_partition_config_static_selectorELNS0_4arch9wavefront6targetE1EEEvSH_
                                        ; -- End function
	.section	.AMDGPU.csdata,"",@progbits
; Kernel info:
; codeLenInByte = 0
; NumSgprs: 4
; NumVgprs: 0
; NumAgprs: 0
; TotalNumVgprs: 0
; ScratchSize: 0
; MemoryBound: 0
; FloatMode: 240
; IeeeMode: 1
; LDSByteSize: 0 bytes/workgroup (compile time only)
; SGPRBlocks: 0
; VGPRBlocks: 0
; NumSGPRsForWavesPerEU: 4
; NumVGPRsForWavesPerEU: 1
; AccumOffset: 4
; Occupancy: 8
; WaveLimiterHint : 0
; COMPUTE_PGM_RSRC2:SCRATCH_EN: 0
; COMPUTE_PGM_RSRC2:USER_SGPR: 6
; COMPUTE_PGM_RSRC2:TRAP_HANDLER: 0
; COMPUTE_PGM_RSRC2:TGID_X_EN: 1
; COMPUTE_PGM_RSRC2:TGID_Y_EN: 0
; COMPUTE_PGM_RSRC2:TGID_Z_EN: 0
; COMPUTE_PGM_RSRC2:TIDIG_COMP_CNT: 0
; COMPUTE_PGM_RSRC3_GFX90A:ACCUM_OFFSET: 0
; COMPUTE_PGM_RSRC3_GFX90A:TG_SPLIT: 0
	.section	.text._ZN7rocprim17ROCPRIM_400000_NS6detail17trampoline_kernelINS0_14default_configENS1_38merge_sort_block_merge_config_selectorIhlEEZZNS1_27merge_sort_block_merge_implIS3_PhN6thrust23THRUST_200600_302600_NS10device_ptrIlEEjNS1_19radix_merge_compareILb0ELb0EhNS0_19identity_decomposerEEEEE10hipError_tT0_T1_T2_jT3_P12ihipStream_tbPNSt15iterator_traitsISG_E10value_typeEPNSM_ISH_E10value_typeEPSI_NS1_7vsmem_tEENKUlT_SG_SH_SI_E_clIS7_S7_SB_PlEESF_SV_SG_SH_SI_EUlSV_E_NS1_11comp_targetILNS1_3genE2ELNS1_11target_archE906ELNS1_3gpuE6ELNS1_3repE0EEENS1_48merge_mergepath_partition_config_static_selectorELNS0_4arch9wavefront6targetE1EEEvSH_,"axG",@progbits,_ZN7rocprim17ROCPRIM_400000_NS6detail17trampoline_kernelINS0_14default_configENS1_38merge_sort_block_merge_config_selectorIhlEEZZNS1_27merge_sort_block_merge_implIS3_PhN6thrust23THRUST_200600_302600_NS10device_ptrIlEEjNS1_19radix_merge_compareILb0ELb0EhNS0_19identity_decomposerEEEEE10hipError_tT0_T1_T2_jT3_P12ihipStream_tbPNSt15iterator_traitsISG_E10value_typeEPNSM_ISH_E10value_typeEPSI_NS1_7vsmem_tEENKUlT_SG_SH_SI_E_clIS7_S7_SB_PlEESF_SV_SG_SH_SI_EUlSV_E_NS1_11comp_targetILNS1_3genE2ELNS1_11target_archE906ELNS1_3gpuE6ELNS1_3repE0EEENS1_48merge_mergepath_partition_config_static_selectorELNS0_4arch9wavefront6targetE1EEEvSH_,comdat
	.protected	_ZN7rocprim17ROCPRIM_400000_NS6detail17trampoline_kernelINS0_14default_configENS1_38merge_sort_block_merge_config_selectorIhlEEZZNS1_27merge_sort_block_merge_implIS3_PhN6thrust23THRUST_200600_302600_NS10device_ptrIlEEjNS1_19radix_merge_compareILb0ELb0EhNS0_19identity_decomposerEEEEE10hipError_tT0_T1_T2_jT3_P12ihipStream_tbPNSt15iterator_traitsISG_E10value_typeEPNSM_ISH_E10value_typeEPSI_NS1_7vsmem_tEENKUlT_SG_SH_SI_E_clIS7_S7_SB_PlEESF_SV_SG_SH_SI_EUlSV_E_NS1_11comp_targetILNS1_3genE2ELNS1_11target_archE906ELNS1_3gpuE6ELNS1_3repE0EEENS1_48merge_mergepath_partition_config_static_selectorELNS0_4arch9wavefront6targetE1EEEvSH_ ; -- Begin function _ZN7rocprim17ROCPRIM_400000_NS6detail17trampoline_kernelINS0_14default_configENS1_38merge_sort_block_merge_config_selectorIhlEEZZNS1_27merge_sort_block_merge_implIS3_PhN6thrust23THRUST_200600_302600_NS10device_ptrIlEEjNS1_19radix_merge_compareILb0ELb0EhNS0_19identity_decomposerEEEEE10hipError_tT0_T1_T2_jT3_P12ihipStream_tbPNSt15iterator_traitsISG_E10value_typeEPNSM_ISH_E10value_typeEPSI_NS1_7vsmem_tEENKUlT_SG_SH_SI_E_clIS7_S7_SB_PlEESF_SV_SG_SH_SI_EUlSV_E_NS1_11comp_targetILNS1_3genE2ELNS1_11target_archE906ELNS1_3gpuE6ELNS1_3repE0EEENS1_48merge_mergepath_partition_config_static_selectorELNS0_4arch9wavefront6targetE1EEEvSH_
	.globl	_ZN7rocprim17ROCPRIM_400000_NS6detail17trampoline_kernelINS0_14default_configENS1_38merge_sort_block_merge_config_selectorIhlEEZZNS1_27merge_sort_block_merge_implIS3_PhN6thrust23THRUST_200600_302600_NS10device_ptrIlEEjNS1_19radix_merge_compareILb0ELb0EhNS0_19identity_decomposerEEEEE10hipError_tT0_T1_T2_jT3_P12ihipStream_tbPNSt15iterator_traitsISG_E10value_typeEPNSM_ISH_E10value_typeEPSI_NS1_7vsmem_tEENKUlT_SG_SH_SI_E_clIS7_S7_SB_PlEESF_SV_SG_SH_SI_EUlSV_E_NS1_11comp_targetILNS1_3genE2ELNS1_11target_archE906ELNS1_3gpuE6ELNS1_3repE0EEENS1_48merge_mergepath_partition_config_static_selectorELNS0_4arch9wavefront6targetE1EEEvSH_
	.p2align	8
	.type	_ZN7rocprim17ROCPRIM_400000_NS6detail17trampoline_kernelINS0_14default_configENS1_38merge_sort_block_merge_config_selectorIhlEEZZNS1_27merge_sort_block_merge_implIS3_PhN6thrust23THRUST_200600_302600_NS10device_ptrIlEEjNS1_19radix_merge_compareILb0ELb0EhNS0_19identity_decomposerEEEEE10hipError_tT0_T1_T2_jT3_P12ihipStream_tbPNSt15iterator_traitsISG_E10value_typeEPNSM_ISH_E10value_typeEPSI_NS1_7vsmem_tEENKUlT_SG_SH_SI_E_clIS7_S7_SB_PlEESF_SV_SG_SH_SI_EUlSV_E_NS1_11comp_targetILNS1_3genE2ELNS1_11target_archE906ELNS1_3gpuE6ELNS1_3repE0EEENS1_48merge_mergepath_partition_config_static_selectorELNS0_4arch9wavefront6targetE1EEEvSH_,@function
_ZN7rocprim17ROCPRIM_400000_NS6detail17trampoline_kernelINS0_14default_configENS1_38merge_sort_block_merge_config_selectorIhlEEZZNS1_27merge_sort_block_merge_implIS3_PhN6thrust23THRUST_200600_302600_NS10device_ptrIlEEjNS1_19radix_merge_compareILb0ELb0EhNS0_19identity_decomposerEEEEE10hipError_tT0_T1_T2_jT3_P12ihipStream_tbPNSt15iterator_traitsISG_E10value_typeEPNSM_ISH_E10value_typeEPSI_NS1_7vsmem_tEENKUlT_SG_SH_SI_E_clIS7_S7_SB_PlEESF_SV_SG_SH_SI_EUlSV_E_NS1_11comp_targetILNS1_3genE2ELNS1_11target_archE906ELNS1_3gpuE6ELNS1_3repE0EEENS1_48merge_mergepath_partition_config_static_selectorELNS0_4arch9wavefront6targetE1EEEvSH_: ; @_ZN7rocprim17ROCPRIM_400000_NS6detail17trampoline_kernelINS0_14default_configENS1_38merge_sort_block_merge_config_selectorIhlEEZZNS1_27merge_sort_block_merge_implIS3_PhN6thrust23THRUST_200600_302600_NS10device_ptrIlEEjNS1_19radix_merge_compareILb0ELb0EhNS0_19identity_decomposerEEEEE10hipError_tT0_T1_T2_jT3_P12ihipStream_tbPNSt15iterator_traitsISG_E10value_typeEPNSM_ISH_E10value_typeEPSI_NS1_7vsmem_tEENKUlT_SG_SH_SI_E_clIS7_S7_SB_PlEESF_SV_SG_SH_SI_EUlSV_E_NS1_11comp_targetILNS1_3genE2ELNS1_11target_archE906ELNS1_3gpuE6ELNS1_3repE0EEENS1_48merge_mergepath_partition_config_static_selectorELNS0_4arch9wavefront6targetE1EEEvSH_
; %bb.0:
	.section	.rodata,"a",@progbits
	.p2align	6, 0x0
	.amdhsa_kernel _ZN7rocprim17ROCPRIM_400000_NS6detail17trampoline_kernelINS0_14default_configENS1_38merge_sort_block_merge_config_selectorIhlEEZZNS1_27merge_sort_block_merge_implIS3_PhN6thrust23THRUST_200600_302600_NS10device_ptrIlEEjNS1_19radix_merge_compareILb0ELb0EhNS0_19identity_decomposerEEEEE10hipError_tT0_T1_T2_jT3_P12ihipStream_tbPNSt15iterator_traitsISG_E10value_typeEPNSM_ISH_E10value_typeEPSI_NS1_7vsmem_tEENKUlT_SG_SH_SI_E_clIS7_S7_SB_PlEESF_SV_SG_SH_SI_EUlSV_E_NS1_11comp_targetILNS1_3genE2ELNS1_11target_archE906ELNS1_3gpuE6ELNS1_3repE0EEENS1_48merge_mergepath_partition_config_static_selectorELNS0_4arch9wavefront6targetE1EEEvSH_
		.amdhsa_group_segment_fixed_size 0
		.amdhsa_private_segment_fixed_size 0
		.amdhsa_kernarg_size 40
		.amdhsa_user_sgpr_count 6
		.amdhsa_user_sgpr_private_segment_buffer 1
		.amdhsa_user_sgpr_dispatch_ptr 0
		.amdhsa_user_sgpr_queue_ptr 0
		.amdhsa_user_sgpr_kernarg_segment_ptr 1
		.amdhsa_user_sgpr_dispatch_id 0
		.amdhsa_user_sgpr_flat_scratch_init 0
		.amdhsa_user_sgpr_kernarg_preload_length 0
		.amdhsa_user_sgpr_kernarg_preload_offset 0
		.amdhsa_user_sgpr_private_segment_size 0
		.amdhsa_uses_dynamic_stack 0
		.amdhsa_system_sgpr_private_segment_wavefront_offset 0
		.amdhsa_system_sgpr_workgroup_id_x 1
		.amdhsa_system_sgpr_workgroup_id_y 0
		.amdhsa_system_sgpr_workgroup_id_z 0
		.amdhsa_system_sgpr_workgroup_info 0
		.amdhsa_system_vgpr_workitem_id 0
		.amdhsa_next_free_vgpr 1
		.amdhsa_next_free_sgpr 0
		.amdhsa_accum_offset 4
		.amdhsa_reserve_vcc 0
		.amdhsa_reserve_flat_scratch 0
		.amdhsa_float_round_mode_32 0
		.amdhsa_float_round_mode_16_64 0
		.amdhsa_float_denorm_mode_32 3
		.amdhsa_float_denorm_mode_16_64 3
		.amdhsa_dx10_clamp 1
		.amdhsa_ieee_mode 1
		.amdhsa_fp16_overflow 0
		.amdhsa_tg_split 0
		.amdhsa_exception_fp_ieee_invalid_op 0
		.amdhsa_exception_fp_denorm_src 0
		.amdhsa_exception_fp_ieee_div_zero 0
		.amdhsa_exception_fp_ieee_overflow 0
		.amdhsa_exception_fp_ieee_underflow 0
		.amdhsa_exception_fp_ieee_inexact 0
		.amdhsa_exception_int_div_zero 0
	.end_amdhsa_kernel
	.section	.text._ZN7rocprim17ROCPRIM_400000_NS6detail17trampoline_kernelINS0_14default_configENS1_38merge_sort_block_merge_config_selectorIhlEEZZNS1_27merge_sort_block_merge_implIS3_PhN6thrust23THRUST_200600_302600_NS10device_ptrIlEEjNS1_19radix_merge_compareILb0ELb0EhNS0_19identity_decomposerEEEEE10hipError_tT0_T1_T2_jT3_P12ihipStream_tbPNSt15iterator_traitsISG_E10value_typeEPNSM_ISH_E10value_typeEPSI_NS1_7vsmem_tEENKUlT_SG_SH_SI_E_clIS7_S7_SB_PlEESF_SV_SG_SH_SI_EUlSV_E_NS1_11comp_targetILNS1_3genE2ELNS1_11target_archE906ELNS1_3gpuE6ELNS1_3repE0EEENS1_48merge_mergepath_partition_config_static_selectorELNS0_4arch9wavefront6targetE1EEEvSH_,"axG",@progbits,_ZN7rocprim17ROCPRIM_400000_NS6detail17trampoline_kernelINS0_14default_configENS1_38merge_sort_block_merge_config_selectorIhlEEZZNS1_27merge_sort_block_merge_implIS3_PhN6thrust23THRUST_200600_302600_NS10device_ptrIlEEjNS1_19radix_merge_compareILb0ELb0EhNS0_19identity_decomposerEEEEE10hipError_tT0_T1_T2_jT3_P12ihipStream_tbPNSt15iterator_traitsISG_E10value_typeEPNSM_ISH_E10value_typeEPSI_NS1_7vsmem_tEENKUlT_SG_SH_SI_E_clIS7_S7_SB_PlEESF_SV_SG_SH_SI_EUlSV_E_NS1_11comp_targetILNS1_3genE2ELNS1_11target_archE906ELNS1_3gpuE6ELNS1_3repE0EEENS1_48merge_mergepath_partition_config_static_selectorELNS0_4arch9wavefront6targetE1EEEvSH_,comdat
.Lfunc_end153:
	.size	_ZN7rocprim17ROCPRIM_400000_NS6detail17trampoline_kernelINS0_14default_configENS1_38merge_sort_block_merge_config_selectorIhlEEZZNS1_27merge_sort_block_merge_implIS3_PhN6thrust23THRUST_200600_302600_NS10device_ptrIlEEjNS1_19radix_merge_compareILb0ELb0EhNS0_19identity_decomposerEEEEE10hipError_tT0_T1_T2_jT3_P12ihipStream_tbPNSt15iterator_traitsISG_E10value_typeEPNSM_ISH_E10value_typeEPSI_NS1_7vsmem_tEENKUlT_SG_SH_SI_E_clIS7_S7_SB_PlEESF_SV_SG_SH_SI_EUlSV_E_NS1_11comp_targetILNS1_3genE2ELNS1_11target_archE906ELNS1_3gpuE6ELNS1_3repE0EEENS1_48merge_mergepath_partition_config_static_selectorELNS0_4arch9wavefront6targetE1EEEvSH_, .Lfunc_end153-_ZN7rocprim17ROCPRIM_400000_NS6detail17trampoline_kernelINS0_14default_configENS1_38merge_sort_block_merge_config_selectorIhlEEZZNS1_27merge_sort_block_merge_implIS3_PhN6thrust23THRUST_200600_302600_NS10device_ptrIlEEjNS1_19radix_merge_compareILb0ELb0EhNS0_19identity_decomposerEEEEE10hipError_tT0_T1_T2_jT3_P12ihipStream_tbPNSt15iterator_traitsISG_E10value_typeEPNSM_ISH_E10value_typeEPSI_NS1_7vsmem_tEENKUlT_SG_SH_SI_E_clIS7_S7_SB_PlEESF_SV_SG_SH_SI_EUlSV_E_NS1_11comp_targetILNS1_3genE2ELNS1_11target_archE906ELNS1_3gpuE6ELNS1_3repE0EEENS1_48merge_mergepath_partition_config_static_selectorELNS0_4arch9wavefront6targetE1EEEvSH_
                                        ; -- End function
	.section	.AMDGPU.csdata,"",@progbits
; Kernel info:
; codeLenInByte = 0
; NumSgprs: 4
; NumVgprs: 0
; NumAgprs: 0
; TotalNumVgprs: 0
; ScratchSize: 0
; MemoryBound: 0
; FloatMode: 240
; IeeeMode: 1
; LDSByteSize: 0 bytes/workgroup (compile time only)
; SGPRBlocks: 0
; VGPRBlocks: 0
; NumSGPRsForWavesPerEU: 4
; NumVGPRsForWavesPerEU: 1
; AccumOffset: 4
; Occupancy: 8
; WaveLimiterHint : 0
; COMPUTE_PGM_RSRC2:SCRATCH_EN: 0
; COMPUTE_PGM_RSRC2:USER_SGPR: 6
; COMPUTE_PGM_RSRC2:TRAP_HANDLER: 0
; COMPUTE_PGM_RSRC2:TGID_X_EN: 1
; COMPUTE_PGM_RSRC2:TGID_Y_EN: 0
; COMPUTE_PGM_RSRC2:TGID_Z_EN: 0
; COMPUTE_PGM_RSRC2:TIDIG_COMP_CNT: 0
; COMPUTE_PGM_RSRC3_GFX90A:ACCUM_OFFSET: 0
; COMPUTE_PGM_RSRC3_GFX90A:TG_SPLIT: 0
	.section	.text._ZN7rocprim17ROCPRIM_400000_NS6detail17trampoline_kernelINS0_14default_configENS1_38merge_sort_block_merge_config_selectorIhlEEZZNS1_27merge_sort_block_merge_implIS3_PhN6thrust23THRUST_200600_302600_NS10device_ptrIlEEjNS1_19radix_merge_compareILb0ELb0EhNS0_19identity_decomposerEEEEE10hipError_tT0_T1_T2_jT3_P12ihipStream_tbPNSt15iterator_traitsISG_E10value_typeEPNSM_ISH_E10value_typeEPSI_NS1_7vsmem_tEENKUlT_SG_SH_SI_E_clIS7_S7_SB_PlEESF_SV_SG_SH_SI_EUlSV_E_NS1_11comp_targetILNS1_3genE9ELNS1_11target_archE1100ELNS1_3gpuE3ELNS1_3repE0EEENS1_48merge_mergepath_partition_config_static_selectorELNS0_4arch9wavefront6targetE1EEEvSH_,"axG",@progbits,_ZN7rocprim17ROCPRIM_400000_NS6detail17trampoline_kernelINS0_14default_configENS1_38merge_sort_block_merge_config_selectorIhlEEZZNS1_27merge_sort_block_merge_implIS3_PhN6thrust23THRUST_200600_302600_NS10device_ptrIlEEjNS1_19radix_merge_compareILb0ELb0EhNS0_19identity_decomposerEEEEE10hipError_tT0_T1_T2_jT3_P12ihipStream_tbPNSt15iterator_traitsISG_E10value_typeEPNSM_ISH_E10value_typeEPSI_NS1_7vsmem_tEENKUlT_SG_SH_SI_E_clIS7_S7_SB_PlEESF_SV_SG_SH_SI_EUlSV_E_NS1_11comp_targetILNS1_3genE9ELNS1_11target_archE1100ELNS1_3gpuE3ELNS1_3repE0EEENS1_48merge_mergepath_partition_config_static_selectorELNS0_4arch9wavefront6targetE1EEEvSH_,comdat
	.protected	_ZN7rocprim17ROCPRIM_400000_NS6detail17trampoline_kernelINS0_14default_configENS1_38merge_sort_block_merge_config_selectorIhlEEZZNS1_27merge_sort_block_merge_implIS3_PhN6thrust23THRUST_200600_302600_NS10device_ptrIlEEjNS1_19radix_merge_compareILb0ELb0EhNS0_19identity_decomposerEEEEE10hipError_tT0_T1_T2_jT3_P12ihipStream_tbPNSt15iterator_traitsISG_E10value_typeEPNSM_ISH_E10value_typeEPSI_NS1_7vsmem_tEENKUlT_SG_SH_SI_E_clIS7_S7_SB_PlEESF_SV_SG_SH_SI_EUlSV_E_NS1_11comp_targetILNS1_3genE9ELNS1_11target_archE1100ELNS1_3gpuE3ELNS1_3repE0EEENS1_48merge_mergepath_partition_config_static_selectorELNS0_4arch9wavefront6targetE1EEEvSH_ ; -- Begin function _ZN7rocprim17ROCPRIM_400000_NS6detail17trampoline_kernelINS0_14default_configENS1_38merge_sort_block_merge_config_selectorIhlEEZZNS1_27merge_sort_block_merge_implIS3_PhN6thrust23THRUST_200600_302600_NS10device_ptrIlEEjNS1_19radix_merge_compareILb0ELb0EhNS0_19identity_decomposerEEEEE10hipError_tT0_T1_T2_jT3_P12ihipStream_tbPNSt15iterator_traitsISG_E10value_typeEPNSM_ISH_E10value_typeEPSI_NS1_7vsmem_tEENKUlT_SG_SH_SI_E_clIS7_S7_SB_PlEESF_SV_SG_SH_SI_EUlSV_E_NS1_11comp_targetILNS1_3genE9ELNS1_11target_archE1100ELNS1_3gpuE3ELNS1_3repE0EEENS1_48merge_mergepath_partition_config_static_selectorELNS0_4arch9wavefront6targetE1EEEvSH_
	.globl	_ZN7rocprim17ROCPRIM_400000_NS6detail17trampoline_kernelINS0_14default_configENS1_38merge_sort_block_merge_config_selectorIhlEEZZNS1_27merge_sort_block_merge_implIS3_PhN6thrust23THRUST_200600_302600_NS10device_ptrIlEEjNS1_19radix_merge_compareILb0ELb0EhNS0_19identity_decomposerEEEEE10hipError_tT0_T1_T2_jT3_P12ihipStream_tbPNSt15iterator_traitsISG_E10value_typeEPNSM_ISH_E10value_typeEPSI_NS1_7vsmem_tEENKUlT_SG_SH_SI_E_clIS7_S7_SB_PlEESF_SV_SG_SH_SI_EUlSV_E_NS1_11comp_targetILNS1_3genE9ELNS1_11target_archE1100ELNS1_3gpuE3ELNS1_3repE0EEENS1_48merge_mergepath_partition_config_static_selectorELNS0_4arch9wavefront6targetE1EEEvSH_
	.p2align	8
	.type	_ZN7rocprim17ROCPRIM_400000_NS6detail17trampoline_kernelINS0_14default_configENS1_38merge_sort_block_merge_config_selectorIhlEEZZNS1_27merge_sort_block_merge_implIS3_PhN6thrust23THRUST_200600_302600_NS10device_ptrIlEEjNS1_19radix_merge_compareILb0ELb0EhNS0_19identity_decomposerEEEEE10hipError_tT0_T1_T2_jT3_P12ihipStream_tbPNSt15iterator_traitsISG_E10value_typeEPNSM_ISH_E10value_typeEPSI_NS1_7vsmem_tEENKUlT_SG_SH_SI_E_clIS7_S7_SB_PlEESF_SV_SG_SH_SI_EUlSV_E_NS1_11comp_targetILNS1_3genE9ELNS1_11target_archE1100ELNS1_3gpuE3ELNS1_3repE0EEENS1_48merge_mergepath_partition_config_static_selectorELNS0_4arch9wavefront6targetE1EEEvSH_,@function
_ZN7rocprim17ROCPRIM_400000_NS6detail17trampoline_kernelINS0_14default_configENS1_38merge_sort_block_merge_config_selectorIhlEEZZNS1_27merge_sort_block_merge_implIS3_PhN6thrust23THRUST_200600_302600_NS10device_ptrIlEEjNS1_19radix_merge_compareILb0ELb0EhNS0_19identity_decomposerEEEEE10hipError_tT0_T1_T2_jT3_P12ihipStream_tbPNSt15iterator_traitsISG_E10value_typeEPNSM_ISH_E10value_typeEPSI_NS1_7vsmem_tEENKUlT_SG_SH_SI_E_clIS7_S7_SB_PlEESF_SV_SG_SH_SI_EUlSV_E_NS1_11comp_targetILNS1_3genE9ELNS1_11target_archE1100ELNS1_3gpuE3ELNS1_3repE0EEENS1_48merge_mergepath_partition_config_static_selectorELNS0_4arch9wavefront6targetE1EEEvSH_: ; @_ZN7rocprim17ROCPRIM_400000_NS6detail17trampoline_kernelINS0_14default_configENS1_38merge_sort_block_merge_config_selectorIhlEEZZNS1_27merge_sort_block_merge_implIS3_PhN6thrust23THRUST_200600_302600_NS10device_ptrIlEEjNS1_19radix_merge_compareILb0ELb0EhNS0_19identity_decomposerEEEEE10hipError_tT0_T1_T2_jT3_P12ihipStream_tbPNSt15iterator_traitsISG_E10value_typeEPNSM_ISH_E10value_typeEPSI_NS1_7vsmem_tEENKUlT_SG_SH_SI_E_clIS7_S7_SB_PlEESF_SV_SG_SH_SI_EUlSV_E_NS1_11comp_targetILNS1_3genE9ELNS1_11target_archE1100ELNS1_3gpuE3ELNS1_3repE0EEENS1_48merge_mergepath_partition_config_static_selectorELNS0_4arch9wavefront6targetE1EEEvSH_
; %bb.0:
	.section	.rodata,"a",@progbits
	.p2align	6, 0x0
	.amdhsa_kernel _ZN7rocprim17ROCPRIM_400000_NS6detail17trampoline_kernelINS0_14default_configENS1_38merge_sort_block_merge_config_selectorIhlEEZZNS1_27merge_sort_block_merge_implIS3_PhN6thrust23THRUST_200600_302600_NS10device_ptrIlEEjNS1_19radix_merge_compareILb0ELb0EhNS0_19identity_decomposerEEEEE10hipError_tT0_T1_T2_jT3_P12ihipStream_tbPNSt15iterator_traitsISG_E10value_typeEPNSM_ISH_E10value_typeEPSI_NS1_7vsmem_tEENKUlT_SG_SH_SI_E_clIS7_S7_SB_PlEESF_SV_SG_SH_SI_EUlSV_E_NS1_11comp_targetILNS1_3genE9ELNS1_11target_archE1100ELNS1_3gpuE3ELNS1_3repE0EEENS1_48merge_mergepath_partition_config_static_selectorELNS0_4arch9wavefront6targetE1EEEvSH_
		.amdhsa_group_segment_fixed_size 0
		.amdhsa_private_segment_fixed_size 0
		.amdhsa_kernarg_size 40
		.amdhsa_user_sgpr_count 6
		.amdhsa_user_sgpr_private_segment_buffer 1
		.amdhsa_user_sgpr_dispatch_ptr 0
		.amdhsa_user_sgpr_queue_ptr 0
		.amdhsa_user_sgpr_kernarg_segment_ptr 1
		.amdhsa_user_sgpr_dispatch_id 0
		.amdhsa_user_sgpr_flat_scratch_init 0
		.amdhsa_user_sgpr_kernarg_preload_length 0
		.amdhsa_user_sgpr_kernarg_preload_offset 0
		.amdhsa_user_sgpr_private_segment_size 0
		.amdhsa_uses_dynamic_stack 0
		.amdhsa_system_sgpr_private_segment_wavefront_offset 0
		.amdhsa_system_sgpr_workgroup_id_x 1
		.amdhsa_system_sgpr_workgroup_id_y 0
		.amdhsa_system_sgpr_workgroup_id_z 0
		.amdhsa_system_sgpr_workgroup_info 0
		.amdhsa_system_vgpr_workitem_id 0
		.amdhsa_next_free_vgpr 1
		.amdhsa_next_free_sgpr 0
		.amdhsa_accum_offset 4
		.amdhsa_reserve_vcc 0
		.amdhsa_reserve_flat_scratch 0
		.amdhsa_float_round_mode_32 0
		.amdhsa_float_round_mode_16_64 0
		.amdhsa_float_denorm_mode_32 3
		.amdhsa_float_denorm_mode_16_64 3
		.amdhsa_dx10_clamp 1
		.amdhsa_ieee_mode 1
		.amdhsa_fp16_overflow 0
		.amdhsa_tg_split 0
		.amdhsa_exception_fp_ieee_invalid_op 0
		.amdhsa_exception_fp_denorm_src 0
		.amdhsa_exception_fp_ieee_div_zero 0
		.amdhsa_exception_fp_ieee_overflow 0
		.amdhsa_exception_fp_ieee_underflow 0
		.amdhsa_exception_fp_ieee_inexact 0
		.amdhsa_exception_int_div_zero 0
	.end_amdhsa_kernel
	.section	.text._ZN7rocprim17ROCPRIM_400000_NS6detail17trampoline_kernelINS0_14default_configENS1_38merge_sort_block_merge_config_selectorIhlEEZZNS1_27merge_sort_block_merge_implIS3_PhN6thrust23THRUST_200600_302600_NS10device_ptrIlEEjNS1_19radix_merge_compareILb0ELb0EhNS0_19identity_decomposerEEEEE10hipError_tT0_T1_T2_jT3_P12ihipStream_tbPNSt15iterator_traitsISG_E10value_typeEPNSM_ISH_E10value_typeEPSI_NS1_7vsmem_tEENKUlT_SG_SH_SI_E_clIS7_S7_SB_PlEESF_SV_SG_SH_SI_EUlSV_E_NS1_11comp_targetILNS1_3genE9ELNS1_11target_archE1100ELNS1_3gpuE3ELNS1_3repE0EEENS1_48merge_mergepath_partition_config_static_selectorELNS0_4arch9wavefront6targetE1EEEvSH_,"axG",@progbits,_ZN7rocprim17ROCPRIM_400000_NS6detail17trampoline_kernelINS0_14default_configENS1_38merge_sort_block_merge_config_selectorIhlEEZZNS1_27merge_sort_block_merge_implIS3_PhN6thrust23THRUST_200600_302600_NS10device_ptrIlEEjNS1_19radix_merge_compareILb0ELb0EhNS0_19identity_decomposerEEEEE10hipError_tT0_T1_T2_jT3_P12ihipStream_tbPNSt15iterator_traitsISG_E10value_typeEPNSM_ISH_E10value_typeEPSI_NS1_7vsmem_tEENKUlT_SG_SH_SI_E_clIS7_S7_SB_PlEESF_SV_SG_SH_SI_EUlSV_E_NS1_11comp_targetILNS1_3genE9ELNS1_11target_archE1100ELNS1_3gpuE3ELNS1_3repE0EEENS1_48merge_mergepath_partition_config_static_selectorELNS0_4arch9wavefront6targetE1EEEvSH_,comdat
.Lfunc_end154:
	.size	_ZN7rocprim17ROCPRIM_400000_NS6detail17trampoline_kernelINS0_14default_configENS1_38merge_sort_block_merge_config_selectorIhlEEZZNS1_27merge_sort_block_merge_implIS3_PhN6thrust23THRUST_200600_302600_NS10device_ptrIlEEjNS1_19radix_merge_compareILb0ELb0EhNS0_19identity_decomposerEEEEE10hipError_tT0_T1_T2_jT3_P12ihipStream_tbPNSt15iterator_traitsISG_E10value_typeEPNSM_ISH_E10value_typeEPSI_NS1_7vsmem_tEENKUlT_SG_SH_SI_E_clIS7_S7_SB_PlEESF_SV_SG_SH_SI_EUlSV_E_NS1_11comp_targetILNS1_3genE9ELNS1_11target_archE1100ELNS1_3gpuE3ELNS1_3repE0EEENS1_48merge_mergepath_partition_config_static_selectorELNS0_4arch9wavefront6targetE1EEEvSH_, .Lfunc_end154-_ZN7rocprim17ROCPRIM_400000_NS6detail17trampoline_kernelINS0_14default_configENS1_38merge_sort_block_merge_config_selectorIhlEEZZNS1_27merge_sort_block_merge_implIS3_PhN6thrust23THRUST_200600_302600_NS10device_ptrIlEEjNS1_19radix_merge_compareILb0ELb0EhNS0_19identity_decomposerEEEEE10hipError_tT0_T1_T2_jT3_P12ihipStream_tbPNSt15iterator_traitsISG_E10value_typeEPNSM_ISH_E10value_typeEPSI_NS1_7vsmem_tEENKUlT_SG_SH_SI_E_clIS7_S7_SB_PlEESF_SV_SG_SH_SI_EUlSV_E_NS1_11comp_targetILNS1_3genE9ELNS1_11target_archE1100ELNS1_3gpuE3ELNS1_3repE0EEENS1_48merge_mergepath_partition_config_static_selectorELNS0_4arch9wavefront6targetE1EEEvSH_
                                        ; -- End function
	.section	.AMDGPU.csdata,"",@progbits
; Kernel info:
; codeLenInByte = 0
; NumSgprs: 4
; NumVgprs: 0
; NumAgprs: 0
; TotalNumVgprs: 0
; ScratchSize: 0
; MemoryBound: 0
; FloatMode: 240
; IeeeMode: 1
; LDSByteSize: 0 bytes/workgroup (compile time only)
; SGPRBlocks: 0
; VGPRBlocks: 0
; NumSGPRsForWavesPerEU: 4
; NumVGPRsForWavesPerEU: 1
; AccumOffset: 4
; Occupancy: 8
; WaveLimiterHint : 0
; COMPUTE_PGM_RSRC2:SCRATCH_EN: 0
; COMPUTE_PGM_RSRC2:USER_SGPR: 6
; COMPUTE_PGM_RSRC2:TRAP_HANDLER: 0
; COMPUTE_PGM_RSRC2:TGID_X_EN: 1
; COMPUTE_PGM_RSRC2:TGID_Y_EN: 0
; COMPUTE_PGM_RSRC2:TGID_Z_EN: 0
; COMPUTE_PGM_RSRC2:TIDIG_COMP_CNT: 0
; COMPUTE_PGM_RSRC3_GFX90A:ACCUM_OFFSET: 0
; COMPUTE_PGM_RSRC3_GFX90A:TG_SPLIT: 0
	.section	.text._ZN7rocprim17ROCPRIM_400000_NS6detail17trampoline_kernelINS0_14default_configENS1_38merge_sort_block_merge_config_selectorIhlEEZZNS1_27merge_sort_block_merge_implIS3_PhN6thrust23THRUST_200600_302600_NS10device_ptrIlEEjNS1_19radix_merge_compareILb0ELb0EhNS0_19identity_decomposerEEEEE10hipError_tT0_T1_T2_jT3_P12ihipStream_tbPNSt15iterator_traitsISG_E10value_typeEPNSM_ISH_E10value_typeEPSI_NS1_7vsmem_tEENKUlT_SG_SH_SI_E_clIS7_S7_SB_PlEESF_SV_SG_SH_SI_EUlSV_E_NS1_11comp_targetILNS1_3genE8ELNS1_11target_archE1030ELNS1_3gpuE2ELNS1_3repE0EEENS1_48merge_mergepath_partition_config_static_selectorELNS0_4arch9wavefront6targetE1EEEvSH_,"axG",@progbits,_ZN7rocprim17ROCPRIM_400000_NS6detail17trampoline_kernelINS0_14default_configENS1_38merge_sort_block_merge_config_selectorIhlEEZZNS1_27merge_sort_block_merge_implIS3_PhN6thrust23THRUST_200600_302600_NS10device_ptrIlEEjNS1_19radix_merge_compareILb0ELb0EhNS0_19identity_decomposerEEEEE10hipError_tT0_T1_T2_jT3_P12ihipStream_tbPNSt15iterator_traitsISG_E10value_typeEPNSM_ISH_E10value_typeEPSI_NS1_7vsmem_tEENKUlT_SG_SH_SI_E_clIS7_S7_SB_PlEESF_SV_SG_SH_SI_EUlSV_E_NS1_11comp_targetILNS1_3genE8ELNS1_11target_archE1030ELNS1_3gpuE2ELNS1_3repE0EEENS1_48merge_mergepath_partition_config_static_selectorELNS0_4arch9wavefront6targetE1EEEvSH_,comdat
	.protected	_ZN7rocprim17ROCPRIM_400000_NS6detail17trampoline_kernelINS0_14default_configENS1_38merge_sort_block_merge_config_selectorIhlEEZZNS1_27merge_sort_block_merge_implIS3_PhN6thrust23THRUST_200600_302600_NS10device_ptrIlEEjNS1_19radix_merge_compareILb0ELb0EhNS0_19identity_decomposerEEEEE10hipError_tT0_T1_T2_jT3_P12ihipStream_tbPNSt15iterator_traitsISG_E10value_typeEPNSM_ISH_E10value_typeEPSI_NS1_7vsmem_tEENKUlT_SG_SH_SI_E_clIS7_S7_SB_PlEESF_SV_SG_SH_SI_EUlSV_E_NS1_11comp_targetILNS1_3genE8ELNS1_11target_archE1030ELNS1_3gpuE2ELNS1_3repE0EEENS1_48merge_mergepath_partition_config_static_selectorELNS0_4arch9wavefront6targetE1EEEvSH_ ; -- Begin function _ZN7rocprim17ROCPRIM_400000_NS6detail17trampoline_kernelINS0_14default_configENS1_38merge_sort_block_merge_config_selectorIhlEEZZNS1_27merge_sort_block_merge_implIS3_PhN6thrust23THRUST_200600_302600_NS10device_ptrIlEEjNS1_19radix_merge_compareILb0ELb0EhNS0_19identity_decomposerEEEEE10hipError_tT0_T1_T2_jT3_P12ihipStream_tbPNSt15iterator_traitsISG_E10value_typeEPNSM_ISH_E10value_typeEPSI_NS1_7vsmem_tEENKUlT_SG_SH_SI_E_clIS7_S7_SB_PlEESF_SV_SG_SH_SI_EUlSV_E_NS1_11comp_targetILNS1_3genE8ELNS1_11target_archE1030ELNS1_3gpuE2ELNS1_3repE0EEENS1_48merge_mergepath_partition_config_static_selectorELNS0_4arch9wavefront6targetE1EEEvSH_
	.globl	_ZN7rocprim17ROCPRIM_400000_NS6detail17trampoline_kernelINS0_14default_configENS1_38merge_sort_block_merge_config_selectorIhlEEZZNS1_27merge_sort_block_merge_implIS3_PhN6thrust23THRUST_200600_302600_NS10device_ptrIlEEjNS1_19radix_merge_compareILb0ELb0EhNS0_19identity_decomposerEEEEE10hipError_tT0_T1_T2_jT3_P12ihipStream_tbPNSt15iterator_traitsISG_E10value_typeEPNSM_ISH_E10value_typeEPSI_NS1_7vsmem_tEENKUlT_SG_SH_SI_E_clIS7_S7_SB_PlEESF_SV_SG_SH_SI_EUlSV_E_NS1_11comp_targetILNS1_3genE8ELNS1_11target_archE1030ELNS1_3gpuE2ELNS1_3repE0EEENS1_48merge_mergepath_partition_config_static_selectorELNS0_4arch9wavefront6targetE1EEEvSH_
	.p2align	8
	.type	_ZN7rocprim17ROCPRIM_400000_NS6detail17trampoline_kernelINS0_14default_configENS1_38merge_sort_block_merge_config_selectorIhlEEZZNS1_27merge_sort_block_merge_implIS3_PhN6thrust23THRUST_200600_302600_NS10device_ptrIlEEjNS1_19radix_merge_compareILb0ELb0EhNS0_19identity_decomposerEEEEE10hipError_tT0_T1_T2_jT3_P12ihipStream_tbPNSt15iterator_traitsISG_E10value_typeEPNSM_ISH_E10value_typeEPSI_NS1_7vsmem_tEENKUlT_SG_SH_SI_E_clIS7_S7_SB_PlEESF_SV_SG_SH_SI_EUlSV_E_NS1_11comp_targetILNS1_3genE8ELNS1_11target_archE1030ELNS1_3gpuE2ELNS1_3repE0EEENS1_48merge_mergepath_partition_config_static_selectorELNS0_4arch9wavefront6targetE1EEEvSH_,@function
_ZN7rocprim17ROCPRIM_400000_NS6detail17trampoline_kernelINS0_14default_configENS1_38merge_sort_block_merge_config_selectorIhlEEZZNS1_27merge_sort_block_merge_implIS3_PhN6thrust23THRUST_200600_302600_NS10device_ptrIlEEjNS1_19radix_merge_compareILb0ELb0EhNS0_19identity_decomposerEEEEE10hipError_tT0_T1_T2_jT3_P12ihipStream_tbPNSt15iterator_traitsISG_E10value_typeEPNSM_ISH_E10value_typeEPSI_NS1_7vsmem_tEENKUlT_SG_SH_SI_E_clIS7_S7_SB_PlEESF_SV_SG_SH_SI_EUlSV_E_NS1_11comp_targetILNS1_3genE8ELNS1_11target_archE1030ELNS1_3gpuE2ELNS1_3repE0EEENS1_48merge_mergepath_partition_config_static_selectorELNS0_4arch9wavefront6targetE1EEEvSH_: ; @_ZN7rocprim17ROCPRIM_400000_NS6detail17trampoline_kernelINS0_14default_configENS1_38merge_sort_block_merge_config_selectorIhlEEZZNS1_27merge_sort_block_merge_implIS3_PhN6thrust23THRUST_200600_302600_NS10device_ptrIlEEjNS1_19radix_merge_compareILb0ELb0EhNS0_19identity_decomposerEEEEE10hipError_tT0_T1_T2_jT3_P12ihipStream_tbPNSt15iterator_traitsISG_E10value_typeEPNSM_ISH_E10value_typeEPSI_NS1_7vsmem_tEENKUlT_SG_SH_SI_E_clIS7_S7_SB_PlEESF_SV_SG_SH_SI_EUlSV_E_NS1_11comp_targetILNS1_3genE8ELNS1_11target_archE1030ELNS1_3gpuE2ELNS1_3repE0EEENS1_48merge_mergepath_partition_config_static_selectorELNS0_4arch9wavefront6targetE1EEEvSH_
; %bb.0:
	.section	.rodata,"a",@progbits
	.p2align	6, 0x0
	.amdhsa_kernel _ZN7rocprim17ROCPRIM_400000_NS6detail17trampoline_kernelINS0_14default_configENS1_38merge_sort_block_merge_config_selectorIhlEEZZNS1_27merge_sort_block_merge_implIS3_PhN6thrust23THRUST_200600_302600_NS10device_ptrIlEEjNS1_19radix_merge_compareILb0ELb0EhNS0_19identity_decomposerEEEEE10hipError_tT0_T1_T2_jT3_P12ihipStream_tbPNSt15iterator_traitsISG_E10value_typeEPNSM_ISH_E10value_typeEPSI_NS1_7vsmem_tEENKUlT_SG_SH_SI_E_clIS7_S7_SB_PlEESF_SV_SG_SH_SI_EUlSV_E_NS1_11comp_targetILNS1_3genE8ELNS1_11target_archE1030ELNS1_3gpuE2ELNS1_3repE0EEENS1_48merge_mergepath_partition_config_static_selectorELNS0_4arch9wavefront6targetE1EEEvSH_
		.amdhsa_group_segment_fixed_size 0
		.amdhsa_private_segment_fixed_size 0
		.amdhsa_kernarg_size 40
		.amdhsa_user_sgpr_count 6
		.amdhsa_user_sgpr_private_segment_buffer 1
		.amdhsa_user_sgpr_dispatch_ptr 0
		.amdhsa_user_sgpr_queue_ptr 0
		.amdhsa_user_sgpr_kernarg_segment_ptr 1
		.amdhsa_user_sgpr_dispatch_id 0
		.amdhsa_user_sgpr_flat_scratch_init 0
		.amdhsa_user_sgpr_kernarg_preload_length 0
		.amdhsa_user_sgpr_kernarg_preload_offset 0
		.amdhsa_user_sgpr_private_segment_size 0
		.amdhsa_uses_dynamic_stack 0
		.amdhsa_system_sgpr_private_segment_wavefront_offset 0
		.amdhsa_system_sgpr_workgroup_id_x 1
		.amdhsa_system_sgpr_workgroup_id_y 0
		.amdhsa_system_sgpr_workgroup_id_z 0
		.amdhsa_system_sgpr_workgroup_info 0
		.amdhsa_system_vgpr_workitem_id 0
		.amdhsa_next_free_vgpr 1
		.amdhsa_next_free_sgpr 0
		.amdhsa_accum_offset 4
		.amdhsa_reserve_vcc 0
		.amdhsa_reserve_flat_scratch 0
		.amdhsa_float_round_mode_32 0
		.amdhsa_float_round_mode_16_64 0
		.amdhsa_float_denorm_mode_32 3
		.amdhsa_float_denorm_mode_16_64 3
		.amdhsa_dx10_clamp 1
		.amdhsa_ieee_mode 1
		.amdhsa_fp16_overflow 0
		.amdhsa_tg_split 0
		.amdhsa_exception_fp_ieee_invalid_op 0
		.amdhsa_exception_fp_denorm_src 0
		.amdhsa_exception_fp_ieee_div_zero 0
		.amdhsa_exception_fp_ieee_overflow 0
		.amdhsa_exception_fp_ieee_underflow 0
		.amdhsa_exception_fp_ieee_inexact 0
		.amdhsa_exception_int_div_zero 0
	.end_amdhsa_kernel
	.section	.text._ZN7rocprim17ROCPRIM_400000_NS6detail17trampoline_kernelINS0_14default_configENS1_38merge_sort_block_merge_config_selectorIhlEEZZNS1_27merge_sort_block_merge_implIS3_PhN6thrust23THRUST_200600_302600_NS10device_ptrIlEEjNS1_19radix_merge_compareILb0ELb0EhNS0_19identity_decomposerEEEEE10hipError_tT0_T1_T2_jT3_P12ihipStream_tbPNSt15iterator_traitsISG_E10value_typeEPNSM_ISH_E10value_typeEPSI_NS1_7vsmem_tEENKUlT_SG_SH_SI_E_clIS7_S7_SB_PlEESF_SV_SG_SH_SI_EUlSV_E_NS1_11comp_targetILNS1_3genE8ELNS1_11target_archE1030ELNS1_3gpuE2ELNS1_3repE0EEENS1_48merge_mergepath_partition_config_static_selectorELNS0_4arch9wavefront6targetE1EEEvSH_,"axG",@progbits,_ZN7rocprim17ROCPRIM_400000_NS6detail17trampoline_kernelINS0_14default_configENS1_38merge_sort_block_merge_config_selectorIhlEEZZNS1_27merge_sort_block_merge_implIS3_PhN6thrust23THRUST_200600_302600_NS10device_ptrIlEEjNS1_19radix_merge_compareILb0ELb0EhNS0_19identity_decomposerEEEEE10hipError_tT0_T1_T2_jT3_P12ihipStream_tbPNSt15iterator_traitsISG_E10value_typeEPNSM_ISH_E10value_typeEPSI_NS1_7vsmem_tEENKUlT_SG_SH_SI_E_clIS7_S7_SB_PlEESF_SV_SG_SH_SI_EUlSV_E_NS1_11comp_targetILNS1_3genE8ELNS1_11target_archE1030ELNS1_3gpuE2ELNS1_3repE0EEENS1_48merge_mergepath_partition_config_static_selectorELNS0_4arch9wavefront6targetE1EEEvSH_,comdat
.Lfunc_end155:
	.size	_ZN7rocprim17ROCPRIM_400000_NS6detail17trampoline_kernelINS0_14default_configENS1_38merge_sort_block_merge_config_selectorIhlEEZZNS1_27merge_sort_block_merge_implIS3_PhN6thrust23THRUST_200600_302600_NS10device_ptrIlEEjNS1_19radix_merge_compareILb0ELb0EhNS0_19identity_decomposerEEEEE10hipError_tT0_T1_T2_jT3_P12ihipStream_tbPNSt15iterator_traitsISG_E10value_typeEPNSM_ISH_E10value_typeEPSI_NS1_7vsmem_tEENKUlT_SG_SH_SI_E_clIS7_S7_SB_PlEESF_SV_SG_SH_SI_EUlSV_E_NS1_11comp_targetILNS1_3genE8ELNS1_11target_archE1030ELNS1_3gpuE2ELNS1_3repE0EEENS1_48merge_mergepath_partition_config_static_selectorELNS0_4arch9wavefront6targetE1EEEvSH_, .Lfunc_end155-_ZN7rocprim17ROCPRIM_400000_NS6detail17trampoline_kernelINS0_14default_configENS1_38merge_sort_block_merge_config_selectorIhlEEZZNS1_27merge_sort_block_merge_implIS3_PhN6thrust23THRUST_200600_302600_NS10device_ptrIlEEjNS1_19radix_merge_compareILb0ELb0EhNS0_19identity_decomposerEEEEE10hipError_tT0_T1_T2_jT3_P12ihipStream_tbPNSt15iterator_traitsISG_E10value_typeEPNSM_ISH_E10value_typeEPSI_NS1_7vsmem_tEENKUlT_SG_SH_SI_E_clIS7_S7_SB_PlEESF_SV_SG_SH_SI_EUlSV_E_NS1_11comp_targetILNS1_3genE8ELNS1_11target_archE1030ELNS1_3gpuE2ELNS1_3repE0EEENS1_48merge_mergepath_partition_config_static_selectorELNS0_4arch9wavefront6targetE1EEEvSH_
                                        ; -- End function
	.section	.AMDGPU.csdata,"",@progbits
; Kernel info:
; codeLenInByte = 0
; NumSgprs: 4
; NumVgprs: 0
; NumAgprs: 0
; TotalNumVgprs: 0
; ScratchSize: 0
; MemoryBound: 0
; FloatMode: 240
; IeeeMode: 1
; LDSByteSize: 0 bytes/workgroup (compile time only)
; SGPRBlocks: 0
; VGPRBlocks: 0
; NumSGPRsForWavesPerEU: 4
; NumVGPRsForWavesPerEU: 1
; AccumOffset: 4
; Occupancy: 8
; WaveLimiterHint : 0
; COMPUTE_PGM_RSRC2:SCRATCH_EN: 0
; COMPUTE_PGM_RSRC2:USER_SGPR: 6
; COMPUTE_PGM_RSRC2:TRAP_HANDLER: 0
; COMPUTE_PGM_RSRC2:TGID_X_EN: 1
; COMPUTE_PGM_RSRC2:TGID_Y_EN: 0
; COMPUTE_PGM_RSRC2:TGID_Z_EN: 0
; COMPUTE_PGM_RSRC2:TIDIG_COMP_CNT: 0
; COMPUTE_PGM_RSRC3_GFX90A:ACCUM_OFFSET: 0
; COMPUTE_PGM_RSRC3_GFX90A:TG_SPLIT: 0
	.section	.text._ZN7rocprim17ROCPRIM_400000_NS6detail17trampoline_kernelINS0_14default_configENS1_38merge_sort_block_merge_config_selectorIhlEEZZNS1_27merge_sort_block_merge_implIS3_PhN6thrust23THRUST_200600_302600_NS10device_ptrIlEEjNS1_19radix_merge_compareILb0ELb0EhNS0_19identity_decomposerEEEEE10hipError_tT0_T1_T2_jT3_P12ihipStream_tbPNSt15iterator_traitsISG_E10value_typeEPNSM_ISH_E10value_typeEPSI_NS1_7vsmem_tEENKUlT_SG_SH_SI_E_clIS7_S7_SB_PlEESF_SV_SG_SH_SI_EUlSV_E0_NS1_11comp_targetILNS1_3genE0ELNS1_11target_archE4294967295ELNS1_3gpuE0ELNS1_3repE0EEENS1_38merge_mergepath_config_static_selectorELNS0_4arch9wavefront6targetE1EEEvSH_,"axG",@progbits,_ZN7rocprim17ROCPRIM_400000_NS6detail17trampoline_kernelINS0_14default_configENS1_38merge_sort_block_merge_config_selectorIhlEEZZNS1_27merge_sort_block_merge_implIS3_PhN6thrust23THRUST_200600_302600_NS10device_ptrIlEEjNS1_19radix_merge_compareILb0ELb0EhNS0_19identity_decomposerEEEEE10hipError_tT0_T1_T2_jT3_P12ihipStream_tbPNSt15iterator_traitsISG_E10value_typeEPNSM_ISH_E10value_typeEPSI_NS1_7vsmem_tEENKUlT_SG_SH_SI_E_clIS7_S7_SB_PlEESF_SV_SG_SH_SI_EUlSV_E0_NS1_11comp_targetILNS1_3genE0ELNS1_11target_archE4294967295ELNS1_3gpuE0ELNS1_3repE0EEENS1_38merge_mergepath_config_static_selectorELNS0_4arch9wavefront6targetE1EEEvSH_,comdat
	.protected	_ZN7rocprim17ROCPRIM_400000_NS6detail17trampoline_kernelINS0_14default_configENS1_38merge_sort_block_merge_config_selectorIhlEEZZNS1_27merge_sort_block_merge_implIS3_PhN6thrust23THRUST_200600_302600_NS10device_ptrIlEEjNS1_19radix_merge_compareILb0ELb0EhNS0_19identity_decomposerEEEEE10hipError_tT0_T1_T2_jT3_P12ihipStream_tbPNSt15iterator_traitsISG_E10value_typeEPNSM_ISH_E10value_typeEPSI_NS1_7vsmem_tEENKUlT_SG_SH_SI_E_clIS7_S7_SB_PlEESF_SV_SG_SH_SI_EUlSV_E0_NS1_11comp_targetILNS1_3genE0ELNS1_11target_archE4294967295ELNS1_3gpuE0ELNS1_3repE0EEENS1_38merge_mergepath_config_static_selectorELNS0_4arch9wavefront6targetE1EEEvSH_ ; -- Begin function _ZN7rocprim17ROCPRIM_400000_NS6detail17trampoline_kernelINS0_14default_configENS1_38merge_sort_block_merge_config_selectorIhlEEZZNS1_27merge_sort_block_merge_implIS3_PhN6thrust23THRUST_200600_302600_NS10device_ptrIlEEjNS1_19radix_merge_compareILb0ELb0EhNS0_19identity_decomposerEEEEE10hipError_tT0_T1_T2_jT3_P12ihipStream_tbPNSt15iterator_traitsISG_E10value_typeEPNSM_ISH_E10value_typeEPSI_NS1_7vsmem_tEENKUlT_SG_SH_SI_E_clIS7_S7_SB_PlEESF_SV_SG_SH_SI_EUlSV_E0_NS1_11comp_targetILNS1_3genE0ELNS1_11target_archE4294967295ELNS1_3gpuE0ELNS1_3repE0EEENS1_38merge_mergepath_config_static_selectorELNS0_4arch9wavefront6targetE1EEEvSH_
	.globl	_ZN7rocprim17ROCPRIM_400000_NS6detail17trampoline_kernelINS0_14default_configENS1_38merge_sort_block_merge_config_selectorIhlEEZZNS1_27merge_sort_block_merge_implIS3_PhN6thrust23THRUST_200600_302600_NS10device_ptrIlEEjNS1_19radix_merge_compareILb0ELb0EhNS0_19identity_decomposerEEEEE10hipError_tT0_T1_T2_jT3_P12ihipStream_tbPNSt15iterator_traitsISG_E10value_typeEPNSM_ISH_E10value_typeEPSI_NS1_7vsmem_tEENKUlT_SG_SH_SI_E_clIS7_S7_SB_PlEESF_SV_SG_SH_SI_EUlSV_E0_NS1_11comp_targetILNS1_3genE0ELNS1_11target_archE4294967295ELNS1_3gpuE0ELNS1_3repE0EEENS1_38merge_mergepath_config_static_selectorELNS0_4arch9wavefront6targetE1EEEvSH_
	.p2align	8
	.type	_ZN7rocprim17ROCPRIM_400000_NS6detail17trampoline_kernelINS0_14default_configENS1_38merge_sort_block_merge_config_selectorIhlEEZZNS1_27merge_sort_block_merge_implIS3_PhN6thrust23THRUST_200600_302600_NS10device_ptrIlEEjNS1_19radix_merge_compareILb0ELb0EhNS0_19identity_decomposerEEEEE10hipError_tT0_T1_T2_jT3_P12ihipStream_tbPNSt15iterator_traitsISG_E10value_typeEPNSM_ISH_E10value_typeEPSI_NS1_7vsmem_tEENKUlT_SG_SH_SI_E_clIS7_S7_SB_PlEESF_SV_SG_SH_SI_EUlSV_E0_NS1_11comp_targetILNS1_3genE0ELNS1_11target_archE4294967295ELNS1_3gpuE0ELNS1_3repE0EEENS1_38merge_mergepath_config_static_selectorELNS0_4arch9wavefront6targetE1EEEvSH_,@function
_ZN7rocprim17ROCPRIM_400000_NS6detail17trampoline_kernelINS0_14default_configENS1_38merge_sort_block_merge_config_selectorIhlEEZZNS1_27merge_sort_block_merge_implIS3_PhN6thrust23THRUST_200600_302600_NS10device_ptrIlEEjNS1_19radix_merge_compareILb0ELb0EhNS0_19identity_decomposerEEEEE10hipError_tT0_T1_T2_jT3_P12ihipStream_tbPNSt15iterator_traitsISG_E10value_typeEPNSM_ISH_E10value_typeEPSI_NS1_7vsmem_tEENKUlT_SG_SH_SI_E_clIS7_S7_SB_PlEESF_SV_SG_SH_SI_EUlSV_E0_NS1_11comp_targetILNS1_3genE0ELNS1_11target_archE4294967295ELNS1_3gpuE0ELNS1_3repE0EEENS1_38merge_mergepath_config_static_selectorELNS0_4arch9wavefront6targetE1EEEvSH_: ; @_ZN7rocprim17ROCPRIM_400000_NS6detail17trampoline_kernelINS0_14default_configENS1_38merge_sort_block_merge_config_selectorIhlEEZZNS1_27merge_sort_block_merge_implIS3_PhN6thrust23THRUST_200600_302600_NS10device_ptrIlEEjNS1_19radix_merge_compareILb0ELb0EhNS0_19identity_decomposerEEEEE10hipError_tT0_T1_T2_jT3_P12ihipStream_tbPNSt15iterator_traitsISG_E10value_typeEPNSM_ISH_E10value_typeEPSI_NS1_7vsmem_tEENKUlT_SG_SH_SI_E_clIS7_S7_SB_PlEESF_SV_SG_SH_SI_EUlSV_E0_NS1_11comp_targetILNS1_3genE0ELNS1_11target_archE4294967295ELNS1_3gpuE0ELNS1_3repE0EEENS1_38merge_mergepath_config_static_selectorELNS0_4arch9wavefront6targetE1EEEvSH_
; %bb.0:
	.section	.rodata,"a",@progbits
	.p2align	6, 0x0
	.amdhsa_kernel _ZN7rocprim17ROCPRIM_400000_NS6detail17trampoline_kernelINS0_14default_configENS1_38merge_sort_block_merge_config_selectorIhlEEZZNS1_27merge_sort_block_merge_implIS3_PhN6thrust23THRUST_200600_302600_NS10device_ptrIlEEjNS1_19radix_merge_compareILb0ELb0EhNS0_19identity_decomposerEEEEE10hipError_tT0_T1_T2_jT3_P12ihipStream_tbPNSt15iterator_traitsISG_E10value_typeEPNSM_ISH_E10value_typeEPSI_NS1_7vsmem_tEENKUlT_SG_SH_SI_E_clIS7_S7_SB_PlEESF_SV_SG_SH_SI_EUlSV_E0_NS1_11comp_targetILNS1_3genE0ELNS1_11target_archE4294967295ELNS1_3gpuE0ELNS1_3repE0EEENS1_38merge_mergepath_config_static_selectorELNS0_4arch9wavefront6targetE1EEEvSH_
		.amdhsa_group_segment_fixed_size 0
		.amdhsa_private_segment_fixed_size 0
		.amdhsa_kernarg_size 64
		.amdhsa_user_sgpr_count 6
		.amdhsa_user_sgpr_private_segment_buffer 1
		.amdhsa_user_sgpr_dispatch_ptr 0
		.amdhsa_user_sgpr_queue_ptr 0
		.amdhsa_user_sgpr_kernarg_segment_ptr 1
		.amdhsa_user_sgpr_dispatch_id 0
		.amdhsa_user_sgpr_flat_scratch_init 0
		.amdhsa_user_sgpr_kernarg_preload_length 0
		.amdhsa_user_sgpr_kernarg_preload_offset 0
		.amdhsa_user_sgpr_private_segment_size 0
		.amdhsa_uses_dynamic_stack 0
		.amdhsa_system_sgpr_private_segment_wavefront_offset 0
		.amdhsa_system_sgpr_workgroup_id_x 1
		.amdhsa_system_sgpr_workgroup_id_y 0
		.amdhsa_system_sgpr_workgroup_id_z 0
		.amdhsa_system_sgpr_workgroup_info 0
		.amdhsa_system_vgpr_workitem_id 0
		.amdhsa_next_free_vgpr 1
		.amdhsa_next_free_sgpr 0
		.amdhsa_accum_offset 4
		.amdhsa_reserve_vcc 0
		.amdhsa_reserve_flat_scratch 0
		.amdhsa_float_round_mode_32 0
		.amdhsa_float_round_mode_16_64 0
		.amdhsa_float_denorm_mode_32 3
		.amdhsa_float_denorm_mode_16_64 3
		.amdhsa_dx10_clamp 1
		.amdhsa_ieee_mode 1
		.amdhsa_fp16_overflow 0
		.amdhsa_tg_split 0
		.amdhsa_exception_fp_ieee_invalid_op 0
		.amdhsa_exception_fp_denorm_src 0
		.amdhsa_exception_fp_ieee_div_zero 0
		.amdhsa_exception_fp_ieee_overflow 0
		.amdhsa_exception_fp_ieee_underflow 0
		.amdhsa_exception_fp_ieee_inexact 0
		.amdhsa_exception_int_div_zero 0
	.end_amdhsa_kernel
	.section	.text._ZN7rocprim17ROCPRIM_400000_NS6detail17trampoline_kernelINS0_14default_configENS1_38merge_sort_block_merge_config_selectorIhlEEZZNS1_27merge_sort_block_merge_implIS3_PhN6thrust23THRUST_200600_302600_NS10device_ptrIlEEjNS1_19radix_merge_compareILb0ELb0EhNS0_19identity_decomposerEEEEE10hipError_tT0_T1_T2_jT3_P12ihipStream_tbPNSt15iterator_traitsISG_E10value_typeEPNSM_ISH_E10value_typeEPSI_NS1_7vsmem_tEENKUlT_SG_SH_SI_E_clIS7_S7_SB_PlEESF_SV_SG_SH_SI_EUlSV_E0_NS1_11comp_targetILNS1_3genE0ELNS1_11target_archE4294967295ELNS1_3gpuE0ELNS1_3repE0EEENS1_38merge_mergepath_config_static_selectorELNS0_4arch9wavefront6targetE1EEEvSH_,"axG",@progbits,_ZN7rocprim17ROCPRIM_400000_NS6detail17trampoline_kernelINS0_14default_configENS1_38merge_sort_block_merge_config_selectorIhlEEZZNS1_27merge_sort_block_merge_implIS3_PhN6thrust23THRUST_200600_302600_NS10device_ptrIlEEjNS1_19radix_merge_compareILb0ELb0EhNS0_19identity_decomposerEEEEE10hipError_tT0_T1_T2_jT3_P12ihipStream_tbPNSt15iterator_traitsISG_E10value_typeEPNSM_ISH_E10value_typeEPSI_NS1_7vsmem_tEENKUlT_SG_SH_SI_E_clIS7_S7_SB_PlEESF_SV_SG_SH_SI_EUlSV_E0_NS1_11comp_targetILNS1_3genE0ELNS1_11target_archE4294967295ELNS1_3gpuE0ELNS1_3repE0EEENS1_38merge_mergepath_config_static_selectorELNS0_4arch9wavefront6targetE1EEEvSH_,comdat
.Lfunc_end156:
	.size	_ZN7rocprim17ROCPRIM_400000_NS6detail17trampoline_kernelINS0_14default_configENS1_38merge_sort_block_merge_config_selectorIhlEEZZNS1_27merge_sort_block_merge_implIS3_PhN6thrust23THRUST_200600_302600_NS10device_ptrIlEEjNS1_19radix_merge_compareILb0ELb0EhNS0_19identity_decomposerEEEEE10hipError_tT0_T1_T2_jT3_P12ihipStream_tbPNSt15iterator_traitsISG_E10value_typeEPNSM_ISH_E10value_typeEPSI_NS1_7vsmem_tEENKUlT_SG_SH_SI_E_clIS7_S7_SB_PlEESF_SV_SG_SH_SI_EUlSV_E0_NS1_11comp_targetILNS1_3genE0ELNS1_11target_archE4294967295ELNS1_3gpuE0ELNS1_3repE0EEENS1_38merge_mergepath_config_static_selectorELNS0_4arch9wavefront6targetE1EEEvSH_, .Lfunc_end156-_ZN7rocprim17ROCPRIM_400000_NS6detail17trampoline_kernelINS0_14default_configENS1_38merge_sort_block_merge_config_selectorIhlEEZZNS1_27merge_sort_block_merge_implIS3_PhN6thrust23THRUST_200600_302600_NS10device_ptrIlEEjNS1_19radix_merge_compareILb0ELb0EhNS0_19identity_decomposerEEEEE10hipError_tT0_T1_T2_jT3_P12ihipStream_tbPNSt15iterator_traitsISG_E10value_typeEPNSM_ISH_E10value_typeEPSI_NS1_7vsmem_tEENKUlT_SG_SH_SI_E_clIS7_S7_SB_PlEESF_SV_SG_SH_SI_EUlSV_E0_NS1_11comp_targetILNS1_3genE0ELNS1_11target_archE4294967295ELNS1_3gpuE0ELNS1_3repE0EEENS1_38merge_mergepath_config_static_selectorELNS0_4arch9wavefront6targetE1EEEvSH_
                                        ; -- End function
	.section	.AMDGPU.csdata,"",@progbits
; Kernel info:
; codeLenInByte = 0
; NumSgprs: 4
; NumVgprs: 0
; NumAgprs: 0
; TotalNumVgprs: 0
; ScratchSize: 0
; MemoryBound: 0
; FloatMode: 240
; IeeeMode: 1
; LDSByteSize: 0 bytes/workgroup (compile time only)
; SGPRBlocks: 0
; VGPRBlocks: 0
; NumSGPRsForWavesPerEU: 4
; NumVGPRsForWavesPerEU: 1
; AccumOffset: 4
; Occupancy: 8
; WaveLimiterHint : 0
; COMPUTE_PGM_RSRC2:SCRATCH_EN: 0
; COMPUTE_PGM_RSRC2:USER_SGPR: 6
; COMPUTE_PGM_RSRC2:TRAP_HANDLER: 0
; COMPUTE_PGM_RSRC2:TGID_X_EN: 1
; COMPUTE_PGM_RSRC2:TGID_Y_EN: 0
; COMPUTE_PGM_RSRC2:TGID_Z_EN: 0
; COMPUTE_PGM_RSRC2:TIDIG_COMP_CNT: 0
; COMPUTE_PGM_RSRC3_GFX90A:ACCUM_OFFSET: 0
; COMPUTE_PGM_RSRC3_GFX90A:TG_SPLIT: 0
	.section	.text._ZN7rocprim17ROCPRIM_400000_NS6detail17trampoline_kernelINS0_14default_configENS1_38merge_sort_block_merge_config_selectorIhlEEZZNS1_27merge_sort_block_merge_implIS3_PhN6thrust23THRUST_200600_302600_NS10device_ptrIlEEjNS1_19radix_merge_compareILb0ELb0EhNS0_19identity_decomposerEEEEE10hipError_tT0_T1_T2_jT3_P12ihipStream_tbPNSt15iterator_traitsISG_E10value_typeEPNSM_ISH_E10value_typeEPSI_NS1_7vsmem_tEENKUlT_SG_SH_SI_E_clIS7_S7_SB_PlEESF_SV_SG_SH_SI_EUlSV_E0_NS1_11comp_targetILNS1_3genE10ELNS1_11target_archE1201ELNS1_3gpuE5ELNS1_3repE0EEENS1_38merge_mergepath_config_static_selectorELNS0_4arch9wavefront6targetE1EEEvSH_,"axG",@progbits,_ZN7rocprim17ROCPRIM_400000_NS6detail17trampoline_kernelINS0_14default_configENS1_38merge_sort_block_merge_config_selectorIhlEEZZNS1_27merge_sort_block_merge_implIS3_PhN6thrust23THRUST_200600_302600_NS10device_ptrIlEEjNS1_19radix_merge_compareILb0ELb0EhNS0_19identity_decomposerEEEEE10hipError_tT0_T1_T2_jT3_P12ihipStream_tbPNSt15iterator_traitsISG_E10value_typeEPNSM_ISH_E10value_typeEPSI_NS1_7vsmem_tEENKUlT_SG_SH_SI_E_clIS7_S7_SB_PlEESF_SV_SG_SH_SI_EUlSV_E0_NS1_11comp_targetILNS1_3genE10ELNS1_11target_archE1201ELNS1_3gpuE5ELNS1_3repE0EEENS1_38merge_mergepath_config_static_selectorELNS0_4arch9wavefront6targetE1EEEvSH_,comdat
	.protected	_ZN7rocprim17ROCPRIM_400000_NS6detail17trampoline_kernelINS0_14default_configENS1_38merge_sort_block_merge_config_selectorIhlEEZZNS1_27merge_sort_block_merge_implIS3_PhN6thrust23THRUST_200600_302600_NS10device_ptrIlEEjNS1_19radix_merge_compareILb0ELb0EhNS0_19identity_decomposerEEEEE10hipError_tT0_T1_T2_jT3_P12ihipStream_tbPNSt15iterator_traitsISG_E10value_typeEPNSM_ISH_E10value_typeEPSI_NS1_7vsmem_tEENKUlT_SG_SH_SI_E_clIS7_S7_SB_PlEESF_SV_SG_SH_SI_EUlSV_E0_NS1_11comp_targetILNS1_3genE10ELNS1_11target_archE1201ELNS1_3gpuE5ELNS1_3repE0EEENS1_38merge_mergepath_config_static_selectorELNS0_4arch9wavefront6targetE1EEEvSH_ ; -- Begin function _ZN7rocprim17ROCPRIM_400000_NS6detail17trampoline_kernelINS0_14default_configENS1_38merge_sort_block_merge_config_selectorIhlEEZZNS1_27merge_sort_block_merge_implIS3_PhN6thrust23THRUST_200600_302600_NS10device_ptrIlEEjNS1_19radix_merge_compareILb0ELb0EhNS0_19identity_decomposerEEEEE10hipError_tT0_T1_T2_jT3_P12ihipStream_tbPNSt15iterator_traitsISG_E10value_typeEPNSM_ISH_E10value_typeEPSI_NS1_7vsmem_tEENKUlT_SG_SH_SI_E_clIS7_S7_SB_PlEESF_SV_SG_SH_SI_EUlSV_E0_NS1_11comp_targetILNS1_3genE10ELNS1_11target_archE1201ELNS1_3gpuE5ELNS1_3repE0EEENS1_38merge_mergepath_config_static_selectorELNS0_4arch9wavefront6targetE1EEEvSH_
	.globl	_ZN7rocprim17ROCPRIM_400000_NS6detail17trampoline_kernelINS0_14default_configENS1_38merge_sort_block_merge_config_selectorIhlEEZZNS1_27merge_sort_block_merge_implIS3_PhN6thrust23THRUST_200600_302600_NS10device_ptrIlEEjNS1_19radix_merge_compareILb0ELb0EhNS0_19identity_decomposerEEEEE10hipError_tT0_T1_T2_jT3_P12ihipStream_tbPNSt15iterator_traitsISG_E10value_typeEPNSM_ISH_E10value_typeEPSI_NS1_7vsmem_tEENKUlT_SG_SH_SI_E_clIS7_S7_SB_PlEESF_SV_SG_SH_SI_EUlSV_E0_NS1_11comp_targetILNS1_3genE10ELNS1_11target_archE1201ELNS1_3gpuE5ELNS1_3repE0EEENS1_38merge_mergepath_config_static_selectorELNS0_4arch9wavefront6targetE1EEEvSH_
	.p2align	8
	.type	_ZN7rocprim17ROCPRIM_400000_NS6detail17trampoline_kernelINS0_14default_configENS1_38merge_sort_block_merge_config_selectorIhlEEZZNS1_27merge_sort_block_merge_implIS3_PhN6thrust23THRUST_200600_302600_NS10device_ptrIlEEjNS1_19radix_merge_compareILb0ELb0EhNS0_19identity_decomposerEEEEE10hipError_tT0_T1_T2_jT3_P12ihipStream_tbPNSt15iterator_traitsISG_E10value_typeEPNSM_ISH_E10value_typeEPSI_NS1_7vsmem_tEENKUlT_SG_SH_SI_E_clIS7_S7_SB_PlEESF_SV_SG_SH_SI_EUlSV_E0_NS1_11comp_targetILNS1_3genE10ELNS1_11target_archE1201ELNS1_3gpuE5ELNS1_3repE0EEENS1_38merge_mergepath_config_static_selectorELNS0_4arch9wavefront6targetE1EEEvSH_,@function
_ZN7rocprim17ROCPRIM_400000_NS6detail17trampoline_kernelINS0_14default_configENS1_38merge_sort_block_merge_config_selectorIhlEEZZNS1_27merge_sort_block_merge_implIS3_PhN6thrust23THRUST_200600_302600_NS10device_ptrIlEEjNS1_19radix_merge_compareILb0ELb0EhNS0_19identity_decomposerEEEEE10hipError_tT0_T1_T2_jT3_P12ihipStream_tbPNSt15iterator_traitsISG_E10value_typeEPNSM_ISH_E10value_typeEPSI_NS1_7vsmem_tEENKUlT_SG_SH_SI_E_clIS7_S7_SB_PlEESF_SV_SG_SH_SI_EUlSV_E0_NS1_11comp_targetILNS1_3genE10ELNS1_11target_archE1201ELNS1_3gpuE5ELNS1_3repE0EEENS1_38merge_mergepath_config_static_selectorELNS0_4arch9wavefront6targetE1EEEvSH_: ; @_ZN7rocprim17ROCPRIM_400000_NS6detail17trampoline_kernelINS0_14default_configENS1_38merge_sort_block_merge_config_selectorIhlEEZZNS1_27merge_sort_block_merge_implIS3_PhN6thrust23THRUST_200600_302600_NS10device_ptrIlEEjNS1_19radix_merge_compareILb0ELb0EhNS0_19identity_decomposerEEEEE10hipError_tT0_T1_T2_jT3_P12ihipStream_tbPNSt15iterator_traitsISG_E10value_typeEPNSM_ISH_E10value_typeEPSI_NS1_7vsmem_tEENKUlT_SG_SH_SI_E_clIS7_S7_SB_PlEESF_SV_SG_SH_SI_EUlSV_E0_NS1_11comp_targetILNS1_3genE10ELNS1_11target_archE1201ELNS1_3gpuE5ELNS1_3repE0EEENS1_38merge_mergepath_config_static_selectorELNS0_4arch9wavefront6targetE1EEEvSH_
; %bb.0:
	.section	.rodata,"a",@progbits
	.p2align	6, 0x0
	.amdhsa_kernel _ZN7rocprim17ROCPRIM_400000_NS6detail17trampoline_kernelINS0_14default_configENS1_38merge_sort_block_merge_config_selectorIhlEEZZNS1_27merge_sort_block_merge_implIS3_PhN6thrust23THRUST_200600_302600_NS10device_ptrIlEEjNS1_19radix_merge_compareILb0ELb0EhNS0_19identity_decomposerEEEEE10hipError_tT0_T1_T2_jT3_P12ihipStream_tbPNSt15iterator_traitsISG_E10value_typeEPNSM_ISH_E10value_typeEPSI_NS1_7vsmem_tEENKUlT_SG_SH_SI_E_clIS7_S7_SB_PlEESF_SV_SG_SH_SI_EUlSV_E0_NS1_11comp_targetILNS1_3genE10ELNS1_11target_archE1201ELNS1_3gpuE5ELNS1_3repE0EEENS1_38merge_mergepath_config_static_selectorELNS0_4arch9wavefront6targetE1EEEvSH_
		.amdhsa_group_segment_fixed_size 0
		.amdhsa_private_segment_fixed_size 0
		.amdhsa_kernarg_size 64
		.amdhsa_user_sgpr_count 6
		.amdhsa_user_sgpr_private_segment_buffer 1
		.amdhsa_user_sgpr_dispatch_ptr 0
		.amdhsa_user_sgpr_queue_ptr 0
		.amdhsa_user_sgpr_kernarg_segment_ptr 1
		.amdhsa_user_sgpr_dispatch_id 0
		.amdhsa_user_sgpr_flat_scratch_init 0
		.amdhsa_user_sgpr_kernarg_preload_length 0
		.amdhsa_user_sgpr_kernarg_preload_offset 0
		.amdhsa_user_sgpr_private_segment_size 0
		.amdhsa_uses_dynamic_stack 0
		.amdhsa_system_sgpr_private_segment_wavefront_offset 0
		.amdhsa_system_sgpr_workgroup_id_x 1
		.amdhsa_system_sgpr_workgroup_id_y 0
		.amdhsa_system_sgpr_workgroup_id_z 0
		.amdhsa_system_sgpr_workgroup_info 0
		.amdhsa_system_vgpr_workitem_id 0
		.amdhsa_next_free_vgpr 1
		.amdhsa_next_free_sgpr 0
		.amdhsa_accum_offset 4
		.amdhsa_reserve_vcc 0
		.amdhsa_reserve_flat_scratch 0
		.amdhsa_float_round_mode_32 0
		.amdhsa_float_round_mode_16_64 0
		.amdhsa_float_denorm_mode_32 3
		.amdhsa_float_denorm_mode_16_64 3
		.amdhsa_dx10_clamp 1
		.amdhsa_ieee_mode 1
		.amdhsa_fp16_overflow 0
		.amdhsa_tg_split 0
		.amdhsa_exception_fp_ieee_invalid_op 0
		.amdhsa_exception_fp_denorm_src 0
		.amdhsa_exception_fp_ieee_div_zero 0
		.amdhsa_exception_fp_ieee_overflow 0
		.amdhsa_exception_fp_ieee_underflow 0
		.amdhsa_exception_fp_ieee_inexact 0
		.amdhsa_exception_int_div_zero 0
	.end_amdhsa_kernel
	.section	.text._ZN7rocprim17ROCPRIM_400000_NS6detail17trampoline_kernelINS0_14default_configENS1_38merge_sort_block_merge_config_selectorIhlEEZZNS1_27merge_sort_block_merge_implIS3_PhN6thrust23THRUST_200600_302600_NS10device_ptrIlEEjNS1_19radix_merge_compareILb0ELb0EhNS0_19identity_decomposerEEEEE10hipError_tT0_T1_T2_jT3_P12ihipStream_tbPNSt15iterator_traitsISG_E10value_typeEPNSM_ISH_E10value_typeEPSI_NS1_7vsmem_tEENKUlT_SG_SH_SI_E_clIS7_S7_SB_PlEESF_SV_SG_SH_SI_EUlSV_E0_NS1_11comp_targetILNS1_3genE10ELNS1_11target_archE1201ELNS1_3gpuE5ELNS1_3repE0EEENS1_38merge_mergepath_config_static_selectorELNS0_4arch9wavefront6targetE1EEEvSH_,"axG",@progbits,_ZN7rocprim17ROCPRIM_400000_NS6detail17trampoline_kernelINS0_14default_configENS1_38merge_sort_block_merge_config_selectorIhlEEZZNS1_27merge_sort_block_merge_implIS3_PhN6thrust23THRUST_200600_302600_NS10device_ptrIlEEjNS1_19radix_merge_compareILb0ELb0EhNS0_19identity_decomposerEEEEE10hipError_tT0_T1_T2_jT3_P12ihipStream_tbPNSt15iterator_traitsISG_E10value_typeEPNSM_ISH_E10value_typeEPSI_NS1_7vsmem_tEENKUlT_SG_SH_SI_E_clIS7_S7_SB_PlEESF_SV_SG_SH_SI_EUlSV_E0_NS1_11comp_targetILNS1_3genE10ELNS1_11target_archE1201ELNS1_3gpuE5ELNS1_3repE0EEENS1_38merge_mergepath_config_static_selectorELNS0_4arch9wavefront6targetE1EEEvSH_,comdat
.Lfunc_end157:
	.size	_ZN7rocprim17ROCPRIM_400000_NS6detail17trampoline_kernelINS0_14default_configENS1_38merge_sort_block_merge_config_selectorIhlEEZZNS1_27merge_sort_block_merge_implIS3_PhN6thrust23THRUST_200600_302600_NS10device_ptrIlEEjNS1_19radix_merge_compareILb0ELb0EhNS0_19identity_decomposerEEEEE10hipError_tT0_T1_T2_jT3_P12ihipStream_tbPNSt15iterator_traitsISG_E10value_typeEPNSM_ISH_E10value_typeEPSI_NS1_7vsmem_tEENKUlT_SG_SH_SI_E_clIS7_S7_SB_PlEESF_SV_SG_SH_SI_EUlSV_E0_NS1_11comp_targetILNS1_3genE10ELNS1_11target_archE1201ELNS1_3gpuE5ELNS1_3repE0EEENS1_38merge_mergepath_config_static_selectorELNS0_4arch9wavefront6targetE1EEEvSH_, .Lfunc_end157-_ZN7rocprim17ROCPRIM_400000_NS6detail17trampoline_kernelINS0_14default_configENS1_38merge_sort_block_merge_config_selectorIhlEEZZNS1_27merge_sort_block_merge_implIS3_PhN6thrust23THRUST_200600_302600_NS10device_ptrIlEEjNS1_19radix_merge_compareILb0ELb0EhNS0_19identity_decomposerEEEEE10hipError_tT0_T1_T2_jT3_P12ihipStream_tbPNSt15iterator_traitsISG_E10value_typeEPNSM_ISH_E10value_typeEPSI_NS1_7vsmem_tEENKUlT_SG_SH_SI_E_clIS7_S7_SB_PlEESF_SV_SG_SH_SI_EUlSV_E0_NS1_11comp_targetILNS1_3genE10ELNS1_11target_archE1201ELNS1_3gpuE5ELNS1_3repE0EEENS1_38merge_mergepath_config_static_selectorELNS0_4arch9wavefront6targetE1EEEvSH_
                                        ; -- End function
	.section	.AMDGPU.csdata,"",@progbits
; Kernel info:
; codeLenInByte = 0
; NumSgprs: 4
; NumVgprs: 0
; NumAgprs: 0
; TotalNumVgprs: 0
; ScratchSize: 0
; MemoryBound: 0
; FloatMode: 240
; IeeeMode: 1
; LDSByteSize: 0 bytes/workgroup (compile time only)
; SGPRBlocks: 0
; VGPRBlocks: 0
; NumSGPRsForWavesPerEU: 4
; NumVGPRsForWavesPerEU: 1
; AccumOffset: 4
; Occupancy: 8
; WaveLimiterHint : 0
; COMPUTE_PGM_RSRC2:SCRATCH_EN: 0
; COMPUTE_PGM_RSRC2:USER_SGPR: 6
; COMPUTE_PGM_RSRC2:TRAP_HANDLER: 0
; COMPUTE_PGM_RSRC2:TGID_X_EN: 1
; COMPUTE_PGM_RSRC2:TGID_Y_EN: 0
; COMPUTE_PGM_RSRC2:TGID_Z_EN: 0
; COMPUTE_PGM_RSRC2:TIDIG_COMP_CNT: 0
; COMPUTE_PGM_RSRC3_GFX90A:ACCUM_OFFSET: 0
; COMPUTE_PGM_RSRC3_GFX90A:TG_SPLIT: 0
	.section	.text._ZN7rocprim17ROCPRIM_400000_NS6detail17trampoline_kernelINS0_14default_configENS1_38merge_sort_block_merge_config_selectorIhlEEZZNS1_27merge_sort_block_merge_implIS3_PhN6thrust23THRUST_200600_302600_NS10device_ptrIlEEjNS1_19radix_merge_compareILb0ELb0EhNS0_19identity_decomposerEEEEE10hipError_tT0_T1_T2_jT3_P12ihipStream_tbPNSt15iterator_traitsISG_E10value_typeEPNSM_ISH_E10value_typeEPSI_NS1_7vsmem_tEENKUlT_SG_SH_SI_E_clIS7_S7_SB_PlEESF_SV_SG_SH_SI_EUlSV_E0_NS1_11comp_targetILNS1_3genE5ELNS1_11target_archE942ELNS1_3gpuE9ELNS1_3repE0EEENS1_38merge_mergepath_config_static_selectorELNS0_4arch9wavefront6targetE1EEEvSH_,"axG",@progbits,_ZN7rocprim17ROCPRIM_400000_NS6detail17trampoline_kernelINS0_14default_configENS1_38merge_sort_block_merge_config_selectorIhlEEZZNS1_27merge_sort_block_merge_implIS3_PhN6thrust23THRUST_200600_302600_NS10device_ptrIlEEjNS1_19radix_merge_compareILb0ELb0EhNS0_19identity_decomposerEEEEE10hipError_tT0_T1_T2_jT3_P12ihipStream_tbPNSt15iterator_traitsISG_E10value_typeEPNSM_ISH_E10value_typeEPSI_NS1_7vsmem_tEENKUlT_SG_SH_SI_E_clIS7_S7_SB_PlEESF_SV_SG_SH_SI_EUlSV_E0_NS1_11comp_targetILNS1_3genE5ELNS1_11target_archE942ELNS1_3gpuE9ELNS1_3repE0EEENS1_38merge_mergepath_config_static_selectorELNS0_4arch9wavefront6targetE1EEEvSH_,comdat
	.protected	_ZN7rocprim17ROCPRIM_400000_NS6detail17trampoline_kernelINS0_14default_configENS1_38merge_sort_block_merge_config_selectorIhlEEZZNS1_27merge_sort_block_merge_implIS3_PhN6thrust23THRUST_200600_302600_NS10device_ptrIlEEjNS1_19radix_merge_compareILb0ELb0EhNS0_19identity_decomposerEEEEE10hipError_tT0_T1_T2_jT3_P12ihipStream_tbPNSt15iterator_traitsISG_E10value_typeEPNSM_ISH_E10value_typeEPSI_NS1_7vsmem_tEENKUlT_SG_SH_SI_E_clIS7_S7_SB_PlEESF_SV_SG_SH_SI_EUlSV_E0_NS1_11comp_targetILNS1_3genE5ELNS1_11target_archE942ELNS1_3gpuE9ELNS1_3repE0EEENS1_38merge_mergepath_config_static_selectorELNS0_4arch9wavefront6targetE1EEEvSH_ ; -- Begin function _ZN7rocprim17ROCPRIM_400000_NS6detail17trampoline_kernelINS0_14default_configENS1_38merge_sort_block_merge_config_selectorIhlEEZZNS1_27merge_sort_block_merge_implIS3_PhN6thrust23THRUST_200600_302600_NS10device_ptrIlEEjNS1_19radix_merge_compareILb0ELb0EhNS0_19identity_decomposerEEEEE10hipError_tT0_T1_T2_jT3_P12ihipStream_tbPNSt15iterator_traitsISG_E10value_typeEPNSM_ISH_E10value_typeEPSI_NS1_7vsmem_tEENKUlT_SG_SH_SI_E_clIS7_S7_SB_PlEESF_SV_SG_SH_SI_EUlSV_E0_NS1_11comp_targetILNS1_3genE5ELNS1_11target_archE942ELNS1_3gpuE9ELNS1_3repE0EEENS1_38merge_mergepath_config_static_selectorELNS0_4arch9wavefront6targetE1EEEvSH_
	.globl	_ZN7rocprim17ROCPRIM_400000_NS6detail17trampoline_kernelINS0_14default_configENS1_38merge_sort_block_merge_config_selectorIhlEEZZNS1_27merge_sort_block_merge_implIS3_PhN6thrust23THRUST_200600_302600_NS10device_ptrIlEEjNS1_19radix_merge_compareILb0ELb0EhNS0_19identity_decomposerEEEEE10hipError_tT0_T1_T2_jT3_P12ihipStream_tbPNSt15iterator_traitsISG_E10value_typeEPNSM_ISH_E10value_typeEPSI_NS1_7vsmem_tEENKUlT_SG_SH_SI_E_clIS7_S7_SB_PlEESF_SV_SG_SH_SI_EUlSV_E0_NS1_11comp_targetILNS1_3genE5ELNS1_11target_archE942ELNS1_3gpuE9ELNS1_3repE0EEENS1_38merge_mergepath_config_static_selectorELNS0_4arch9wavefront6targetE1EEEvSH_
	.p2align	8
	.type	_ZN7rocprim17ROCPRIM_400000_NS6detail17trampoline_kernelINS0_14default_configENS1_38merge_sort_block_merge_config_selectorIhlEEZZNS1_27merge_sort_block_merge_implIS3_PhN6thrust23THRUST_200600_302600_NS10device_ptrIlEEjNS1_19radix_merge_compareILb0ELb0EhNS0_19identity_decomposerEEEEE10hipError_tT0_T1_T2_jT3_P12ihipStream_tbPNSt15iterator_traitsISG_E10value_typeEPNSM_ISH_E10value_typeEPSI_NS1_7vsmem_tEENKUlT_SG_SH_SI_E_clIS7_S7_SB_PlEESF_SV_SG_SH_SI_EUlSV_E0_NS1_11comp_targetILNS1_3genE5ELNS1_11target_archE942ELNS1_3gpuE9ELNS1_3repE0EEENS1_38merge_mergepath_config_static_selectorELNS0_4arch9wavefront6targetE1EEEvSH_,@function
_ZN7rocprim17ROCPRIM_400000_NS6detail17trampoline_kernelINS0_14default_configENS1_38merge_sort_block_merge_config_selectorIhlEEZZNS1_27merge_sort_block_merge_implIS3_PhN6thrust23THRUST_200600_302600_NS10device_ptrIlEEjNS1_19radix_merge_compareILb0ELb0EhNS0_19identity_decomposerEEEEE10hipError_tT0_T1_T2_jT3_P12ihipStream_tbPNSt15iterator_traitsISG_E10value_typeEPNSM_ISH_E10value_typeEPSI_NS1_7vsmem_tEENKUlT_SG_SH_SI_E_clIS7_S7_SB_PlEESF_SV_SG_SH_SI_EUlSV_E0_NS1_11comp_targetILNS1_3genE5ELNS1_11target_archE942ELNS1_3gpuE9ELNS1_3repE0EEENS1_38merge_mergepath_config_static_selectorELNS0_4arch9wavefront6targetE1EEEvSH_: ; @_ZN7rocprim17ROCPRIM_400000_NS6detail17trampoline_kernelINS0_14default_configENS1_38merge_sort_block_merge_config_selectorIhlEEZZNS1_27merge_sort_block_merge_implIS3_PhN6thrust23THRUST_200600_302600_NS10device_ptrIlEEjNS1_19radix_merge_compareILb0ELb0EhNS0_19identity_decomposerEEEEE10hipError_tT0_T1_T2_jT3_P12ihipStream_tbPNSt15iterator_traitsISG_E10value_typeEPNSM_ISH_E10value_typeEPSI_NS1_7vsmem_tEENKUlT_SG_SH_SI_E_clIS7_S7_SB_PlEESF_SV_SG_SH_SI_EUlSV_E0_NS1_11comp_targetILNS1_3genE5ELNS1_11target_archE942ELNS1_3gpuE9ELNS1_3repE0EEENS1_38merge_mergepath_config_static_selectorELNS0_4arch9wavefront6targetE1EEEvSH_
; %bb.0:
	.section	.rodata,"a",@progbits
	.p2align	6, 0x0
	.amdhsa_kernel _ZN7rocprim17ROCPRIM_400000_NS6detail17trampoline_kernelINS0_14default_configENS1_38merge_sort_block_merge_config_selectorIhlEEZZNS1_27merge_sort_block_merge_implIS3_PhN6thrust23THRUST_200600_302600_NS10device_ptrIlEEjNS1_19radix_merge_compareILb0ELb0EhNS0_19identity_decomposerEEEEE10hipError_tT0_T1_T2_jT3_P12ihipStream_tbPNSt15iterator_traitsISG_E10value_typeEPNSM_ISH_E10value_typeEPSI_NS1_7vsmem_tEENKUlT_SG_SH_SI_E_clIS7_S7_SB_PlEESF_SV_SG_SH_SI_EUlSV_E0_NS1_11comp_targetILNS1_3genE5ELNS1_11target_archE942ELNS1_3gpuE9ELNS1_3repE0EEENS1_38merge_mergepath_config_static_selectorELNS0_4arch9wavefront6targetE1EEEvSH_
		.amdhsa_group_segment_fixed_size 0
		.amdhsa_private_segment_fixed_size 0
		.amdhsa_kernarg_size 64
		.amdhsa_user_sgpr_count 6
		.amdhsa_user_sgpr_private_segment_buffer 1
		.amdhsa_user_sgpr_dispatch_ptr 0
		.amdhsa_user_sgpr_queue_ptr 0
		.amdhsa_user_sgpr_kernarg_segment_ptr 1
		.amdhsa_user_sgpr_dispatch_id 0
		.amdhsa_user_sgpr_flat_scratch_init 0
		.amdhsa_user_sgpr_kernarg_preload_length 0
		.amdhsa_user_sgpr_kernarg_preload_offset 0
		.amdhsa_user_sgpr_private_segment_size 0
		.amdhsa_uses_dynamic_stack 0
		.amdhsa_system_sgpr_private_segment_wavefront_offset 0
		.amdhsa_system_sgpr_workgroup_id_x 1
		.amdhsa_system_sgpr_workgroup_id_y 0
		.amdhsa_system_sgpr_workgroup_id_z 0
		.amdhsa_system_sgpr_workgroup_info 0
		.amdhsa_system_vgpr_workitem_id 0
		.amdhsa_next_free_vgpr 1
		.amdhsa_next_free_sgpr 0
		.amdhsa_accum_offset 4
		.amdhsa_reserve_vcc 0
		.amdhsa_reserve_flat_scratch 0
		.amdhsa_float_round_mode_32 0
		.amdhsa_float_round_mode_16_64 0
		.amdhsa_float_denorm_mode_32 3
		.amdhsa_float_denorm_mode_16_64 3
		.amdhsa_dx10_clamp 1
		.amdhsa_ieee_mode 1
		.amdhsa_fp16_overflow 0
		.amdhsa_tg_split 0
		.amdhsa_exception_fp_ieee_invalid_op 0
		.amdhsa_exception_fp_denorm_src 0
		.amdhsa_exception_fp_ieee_div_zero 0
		.amdhsa_exception_fp_ieee_overflow 0
		.amdhsa_exception_fp_ieee_underflow 0
		.amdhsa_exception_fp_ieee_inexact 0
		.amdhsa_exception_int_div_zero 0
	.end_amdhsa_kernel
	.section	.text._ZN7rocprim17ROCPRIM_400000_NS6detail17trampoline_kernelINS0_14default_configENS1_38merge_sort_block_merge_config_selectorIhlEEZZNS1_27merge_sort_block_merge_implIS3_PhN6thrust23THRUST_200600_302600_NS10device_ptrIlEEjNS1_19radix_merge_compareILb0ELb0EhNS0_19identity_decomposerEEEEE10hipError_tT0_T1_T2_jT3_P12ihipStream_tbPNSt15iterator_traitsISG_E10value_typeEPNSM_ISH_E10value_typeEPSI_NS1_7vsmem_tEENKUlT_SG_SH_SI_E_clIS7_S7_SB_PlEESF_SV_SG_SH_SI_EUlSV_E0_NS1_11comp_targetILNS1_3genE5ELNS1_11target_archE942ELNS1_3gpuE9ELNS1_3repE0EEENS1_38merge_mergepath_config_static_selectorELNS0_4arch9wavefront6targetE1EEEvSH_,"axG",@progbits,_ZN7rocprim17ROCPRIM_400000_NS6detail17trampoline_kernelINS0_14default_configENS1_38merge_sort_block_merge_config_selectorIhlEEZZNS1_27merge_sort_block_merge_implIS3_PhN6thrust23THRUST_200600_302600_NS10device_ptrIlEEjNS1_19radix_merge_compareILb0ELb0EhNS0_19identity_decomposerEEEEE10hipError_tT0_T1_T2_jT3_P12ihipStream_tbPNSt15iterator_traitsISG_E10value_typeEPNSM_ISH_E10value_typeEPSI_NS1_7vsmem_tEENKUlT_SG_SH_SI_E_clIS7_S7_SB_PlEESF_SV_SG_SH_SI_EUlSV_E0_NS1_11comp_targetILNS1_3genE5ELNS1_11target_archE942ELNS1_3gpuE9ELNS1_3repE0EEENS1_38merge_mergepath_config_static_selectorELNS0_4arch9wavefront6targetE1EEEvSH_,comdat
.Lfunc_end158:
	.size	_ZN7rocprim17ROCPRIM_400000_NS6detail17trampoline_kernelINS0_14default_configENS1_38merge_sort_block_merge_config_selectorIhlEEZZNS1_27merge_sort_block_merge_implIS3_PhN6thrust23THRUST_200600_302600_NS10device_ptrIlEEjNS1_19radix_merge_compareILb0ELb0EhNS0_19identity_decomposerEEEEE10hipError_tT0_T1_T2_jT3_P12ihipStream_tbPNSt15iterator_traitsISG_E10value_typeEPNSM_ISH_E10value_typeEPSI_NS1_7vsmem_tEENKUlT_SG_SH_SI_E_clIS7_S7_SB_PlEESF_SV_SG_SH_SI_EUlSV_E0_NS1_11comp_targetILNS1_3genE5ELNS1_11target_archE942ELNS1_3gpuE9ELNS1_3repE0EEENS1_38merge_mergepath_config_static_selectorELNS0_4arch9wavefront6targetE1EEEvSH_, .Lfunc_end158-_ZN7rocprim17ROCPRIM_400000_NS6detail17trampoline_kernelINS0_14default_configENS1_38merge_sort_block_merge_config_selectorIhlEEZZNS1_27merge_sort_block_merge_implIS3_PhN6thrust23THRUST_200600_302600_NS10device_ptrIlEEjNS1_19radix_merge_compareILb0ELb0EhNS0_19identity_decomposerEEEEE10hipError_tT0_T1_T2_jT3_P12ihipStream_tbPNSt15iterator_traitsISG_E10value_typeEPNSM_ISH_E10value_typeEPSI_NS1_7vsmem_tEENKUlT_SG_SH_SI_E_clIS7_S7_SB_PlEESF_SV_SG_SH_SI_EUlSV_E0_NS1_11comp_targetILNS1_3genE5ELNS1_11target_archE942ELNS1_3gpuE9ELNS1_3repE0EEENS1_38merge_mergepath_config_static_selectorELNS0_4arch9wavefront6targetE1EEEvSH_
                                        ; -- End function
	.section	.AMDGPU.csdata,"",@progbits
; Kernel info:
; codeLenInByte = 0
; NumSgprs: 4
; NumVgprs: 0
; NumAgprs: 0
; TotalNumVgprs: 0
; ScratchSize: 0
; MemoryBound: 0
; FloatMode: 240
; IeeeMode: 1
; LDSByteSize: 0 bytes/workgroup (compile time only)
; SGPRBlocks: 0
; VGPRBlocks: 0
; NumSGPRsForWavesPerEU: 4
; NumVGPRsForWavesPerEU: 1
; AccumOffset: 4
; Occupancy: 8
; WaveLimiterHint : 0
; COMPUTE_PGM_RSRC2:SCRATCH_EN: 0
; COMPUTE_PGM_RSRC2:USER_SGPR: 6
; COMPUTE_PGM_RSRC2:TRAP_HANDLER: 0
; COMPUTE_PGM_RSRC2:TGID_X_EN: 1
; COMPUTE_PGM_RSRC2:TGID_Y_EN: 0
; COMPUTE_PGM_RSRC2:TGID_Z_EN: 0
; COMPUTE_PGM_RSRC2:TIDIG_COMP_CNT: 0
; COMPUTE_PGM_RSRC3_GFX90A:ACCUM_OFFSET: 0
; COMPUTE_PGM_RSRC3_GFX90A:TG_SPLIT: 0
	.section	.text._ZN7rocprim17ROCPRIM_400000_NS6detail17trampoline_kernelINS0_14default_configENS1_38merge_sort_block_merge_config_selectorIhlEEZZNS1_27merge_sort_block_merge_implIS3_PhN6thrust23THRUST_200600_302600_NS10device_ptrIlEEjNS1_19radix_merge_compareILb0ELb0EhNS0_19identity_decomposerEEEEE10hipError_tT0_T1_T2_jT3_P12ihipStream_tbPNSt15iterator_traitsISG_E10value_typeEPNSM_ISH_E10value_typeEPSI_NS1_7vsmem_tEENKUlT_SG_SH_SI_E_clIS7_S7_SB_PlEESF_SV_SG_SH_SI_EUlSV_E0_NS1_11comp_targetILNS1_3genE4ELNS1_11target_archE910ELNS1_3gpuE8ELNS1_3repE0EEENS1_38merge_mergepath_config_static_selectorELNS0_4arch9wavefront6targetE1EEEvSH_,"axG",@progbits,_ZN7rocprim17ROCPRIM_400000_NS6detail17trampoline_kernelINS0_14default_configENS1_38merge_sort_block_merge_config_selectorIhlEEZZNS1_27merge_sort_block_merge_implIS3_PhN6thrust23THRUST_200600_302600_NS10device_ptrIlEEjNS1_19radix_merge_compareILb0ELb0EhNS0_19identity_decomposerEEEEE10hipError_tT0_T1_T2_jT3_P12ihipStream_tbPNSt15iterator_traitsISG_E10value_typeEPNSM_ISH_E10value_typeEPSI_NS1_7vsmem_tEENKUlT_SG_SH_SI_E_clIS7_S7_SB_PlEESF_SV_SG_SH_SI_EUlSV_E0_NS1_11comp_targetILNS1_3genE4ELNS1_11target_archE910ELNS1_3gpuE8ELNS1_3repE0EEENS1_38merge_mergepath_config_static_selectorELNS0_4arch9wavefront6targetE1EEEvSH_,comdat
	.protected	_ZN7rocprim17ROCPRIM_400000_NS6detail17trampoline_kernelINS0_14default_configENS1_38merge_sort_block_merge_config_selectorIhlEEZZNS1_27merge_sort_block_merge_implIS3_PhN6thrust23THRUST_200600_302600_NS10device_ptrIlEEjNS1_19radix_merge_compareILb0ELb0EhNS0_19identity_decomposerEEEEE10hipError_tT0_T1_T2_jT3_P12ihipStream_tbPNSt15iterator_traitsISG_E10value_typeEPNSM_ISH_E10value_typeEPSI_NS1_7vsmem_tEENKUlT_SG_SH_SI_E_clIS7_S7_SB_PlEESF_SV_SG_SH_SI_EUlSV_E0_NS1_11comp_targetILNS1_3genE4ELNS1_11target_archE910ELNS1_3gpuE8ELNS1_3repE0EEENS1_38merge_mergepath_config_static_selectorELNS0_4arch9wavefront6targetE1EEEvSH_ ; -- Begin function _ZN7rocprim17ROCPRIM_400000_NS6detail17trampoline_kernelINS0_14default_configENS1_38merge_sort_block_merge_config_selectorIhlEEZZNS1_27merge_sort_block_merge_implIS3_PhN6thrust23THRUST_200600_302600_NS10device_ptrIlEEjNS1_19radix_merge_compareILb0ELb0EhNS0_19identity_decomposerEEEEE10hipError_tT0_T1_T2_jT3_P12ihipStream_tbPNSt15iterator_traitsISG_E10value_typeEPNSM_ISH_E10value_typeEPSI_NS1_7vsmem_tEENKUlT_SG_SH_SI_E_clIS7_S7_SB_PlEESF_SV_SG_SH_SI_EUlSV_E0_NS1_11comp_targetILNS1_3genE4ELNS1_11target_archE910ELNS1_3gpuE8ELNS1_3repE0EEENS1_38merge_mergepath_config_static_selectorELNS0_4arch9wavefront6targetE1EEEvSH_
	.globl	_ZN7rocprim17ROCPRIM_400000_NS6detail17trampoline_kernelINS0_14default_configENS1_38merge_sort_block_merge_config_selectorIhlEEZZNS1_27merge_sort_block_merge_implIS3_PhN6thrust23THRUST_200600_302600_NS10device_ptrIlEEjNS1_19radix_merge_compareILb0ELb0EhNS0_19identity_decomposerEEEEE10hipError_tT0_T1_T2_jT3_P12ihipStream_tbPNSt15iterator_traitsISG_E10value_typeEPNSM_ISH_E10value_typeEPSI_NS1_7vsmem_tEENKUlT_SG_SH_SI_E_clIS7_S7_SB_PlEESF_SV_SG_SH_SI_EUlSV_E0_NS1_11comp_targetILNS1_3genE4ELNS1_11target_archE910ELNS1_3gpuE8ELNS1_3repE0EEENS1_38merge_mergepath_config_static_selectorELNS0_4arch9wavefront6targetE1EEEvSH_
	.p2align	8
	.type	_ZN7rocprim17ROCPRIM_400000_NS6detail17trampoline_kernelINS0_14default_configENS1_38merge_sort_block_merge_config_selectorIhlEEZZNS1_27merge_sort_block_merge_implIS3_PhN6thrust23THRUST_200600_302600_NS10device_ptrIlEEjNS1_19radix_merge_compareILb0ELb0EhNS0_19identity_decomposerEEEEE10hipError_tT0_T1_T2_jT3_P12ihipStream_tbPNSt15iterator_traitsISG_E10value_typeEPNSM_ISH_E10value_typeEPSI_NS1_7vsmem_tEENKUlT_SG_SH_SI_E_clIS7_S7_SB_PlEESF_SV_SG_SH_SI_EUlSV_E0_NS1_11comp_targetILNS1_3genE4ELNS1_11target_archE910ELNS1_3gpuE8ELNS1_3repE0EEENS1_38merge_mergepath_config_static_selectorELNS0_4arch9wavefront6targetE1EEEvSH_,@function
_ZN7rocprim17ROCPRIM_400000_NS6detail17trampoline_kernelINS0_14default_configENS1_38merge_sort_block_merge_config_selectorIhlEEZZNS1_27merge_sort_block_merge_implIS3_PhN6thrust23THRUST_200600_302600_NS10device_ptrIlEEjNS1_19radix_merge_compareILb0ELb0EhNS0_19identity_decomposerEEEEE10hipError_tT0_T1_T2_jT3_P12ihipStream_tbPNSt15iterator_traitsISG_E10value_typeEPNSM_ISH_E10value_typeEPSI_NS1_7vsmem_tEENKUlT_SG_SH_SI_E_clIS7_S7_SB_PlEESF_SV_SG_SH_SI_EUlSV_E0_NS1_11comp_targetILNS1_3genE4ELNS1_11target_archE910ELNS1_3gpuE8ELNS1_3repE0EEENS1_38merge_mergepath_config_static_selectorELNS0_4arch9wavefront6targetE1EEEvSH_: ; @_ZN7rocprim17ROCPRIM_400000_NS6detail17trampoline_kernelINS0_14default_configENS1_38merge_sort_block_merge_config_selectorIhlEEZZNS1_27merge_sort_block_merge_implIS3_PhN6thrust23THRUST_200600_302600_NS10device_ptrIlEEjNS1_19radix_merge_compareILb0ELb0EhNS0_19identity_decomposerEEEEE10hipError_tT0_T1_T2_jT3_P12ihipStream_tbPNSt15iterator_traitsISG_E10value_typeEPNSM_ISH_E10value_typeEPSI_NS1_7vsmem_tEENKUlT_SG_SH_SI_E_clIS7_S7_SB_PlEESF_SV_SG_SH_SI_EUlSV_E0_NS1_11comp_targetILNS1_3genE4ELNS1_11target_archE910ELNS1_3gpuE8ELNS1_3repE0EEENS1_38merge_mergepath_config_static_selectorELNS0_4arch9wavefront6targetE1EEEvSH_
; %bb.0:
	s_load_dwordx2 s[24:25], s[4:5], 0x40
	s_load_dword s0, s[4:5], 0x30
	s_add_u32 s22, s4, 64
	s_addc_u32 s23, s5, 0
	s_waitcnt lgkmcnt(0)
	s_mul_i32 s1, s25, s8
	s_add_i32 s1, s1, s7
	s_mul_i32 s1, s1, s24
	s_add_i32 s20, s1, s6
	s_cmp_ge_u32 s20, s0
	s_cbranch_scc1 .LBB159_53
; %bb.1:
	s_load_dwordx8 s[8:15], s[4:5], 0x10
	s_load_dwordx2 s[30:31], s[4:5], 0x8
	s_load_dwordx2 s[0:1], s[4:5], 0x38
	s_mov_b32 s21, 0
	v_mov_b32_e32 v1, 0
	s_waitcnt lgkmcnt(0)
	s_lshr_b32 s7, s14, 10
	s_cmp_lg_u32 s20, s7
	s_cselect_b64 s[18:19], -1, 0
	s_lshl_b64 s[2:3], s[20:21], 2
	s_add_u32 s0, s0, s2
	s_addc_u32 s1, s1, s3
	s_lshr_b32 s2, s15, 9
	s_and_b32 s2, s2, 0x7ffffe
	s_load_dwordx2 s[0:1], s[0:1], 0x0
	s_sub_i32 s3, 0, s2
	s_and_b32 s2, s20, s3
	s_lshl_b32 s4, s2, 10
	s_lshl_b32 s16, s20, 10
	;; [unrolled: 1-line block ×3, first 2 shown]
	s_sub_i32 s5, s16, s4
	s_add_i32 s17, s2, s15
	s_add_i32 s5, s17, s5
	s_waitcnt lgkmcnt(0)
	s_sub_i32 s2, s5, s0
	s_sub_i32 s5, s5, s1
	;; [unrolled: 1-line block ×3, first 2 shown]
	s_min_u32 s2, s14, s2
	s_addk_i32 s5, 0x400
	s_or_b32 s3, s20, s3
	s_min_u32 s17, s14, s4
	s_add_i32 s4, s4, s15
	s_cmp_eq_u32 s3, -1
	s_cselect_b32 s3, s4, s5
	s_cselect_b32 s1, s17, s1
	s_min_u32 s17, s3, s14
	s_sub_i32 s15, s1, s0
	s_add_u32 s26, s30, s0
	s_addc_u32 s28, s31, 0
	s_add_u32 s25, s30, s2
	s_addc_u32 s27, s31, 0
	s_cmp_lt_u32 s6, s24
	s_cselect_b32 s1, 12, 18
	global_load_dword v2, v1, s[22:23] offset:14
	s_add_u32 s4, s22, s1
	s_addc_u32 s5, s23, 0
	global_load_ushort v1, v1, s[4:5]
	s_mov_b32 s1, s21
	s_mov_b32 s3, s21
	s_cmp_eq_u32 s20, s7
	s_waitcnt vmcnt(1)
	v_lshrrev_b32_e32 v3, 16, v2
	v_and_b32_e32 v2, 0xffff, v2
	v_mul_lo_u32 v2, v2, v3
	s_waitcnt vmcnt(0)
	v_mul_lo_u32 v15, v2, v1
	v_add_u32_e32 v12, v15, v0
	v_add_u32_e32 v10, v12, v15
	s_cbranch_scc1 .LBB159_3
; %bb.2:
	v_mov_b32_e32 v1, s28
	v_add_co_u32_e32 v2, vcc, s26, v0
	v_addc_co_u32_e32 v1, vcc, 0, v1, vcc
	v_subrev_u32_e32 v3, s15, v0
	v_mov_b32_e32 v4, s27
	v_add_co_u32_e32 v5, vcc, s25, v3
	v_addc_co_u32_e32 v3, vcc, 0, v4, vcc
	v_cmp_gt_u32_e32 vcc, s15, v0
	v_cndmask_b32_e32 v3, v3, v1, vcc
	v_cndmask_b32_e32 v2, v5, v2, vcc
	v_mov_b32_e32 v1, s28
	v_add_co_u32_e32 v4, vcc, s26, v12
	v_addc_co_u32_e32 v1, vcc, 0, v1, vcc
	v_subrev_u32_e32 v5, s15, v12
	v_mov_b32_e32 v6, s27
	v_add_co_u32_e32 v7, vcc, s25, v5
	v_addc_co_u32_e32 v5, vcc, 0, v6, vcc
	v_cmp_gt_u32_e32 vcc, s15, v12
	v_cndmask_b32_e32 v5, v5, v1, vcc
	v_cndmask_b32_e32 v4, v7, v4, vcc
	;; [unrolled: 10-line block ×3, first 2 shown]
	global_load_ubyte v1, v[2:3], off
	global_load_ubyte v17, v[4:5], off
	;; [unrolled: 1-line block ×3, first 2 shown]
	v_add_u32_e32 v2, v10, v15
	s_mov_b64 s[4:5], -1
	s_sub_i32 s17, s17, s2
	s_cbranch_execz .LBB159_4
	s_branch .LBB159_11
.LBB159_3:
	s_mov_b64 s[4:5], 0
                                        ; implicit-def: $vgpr1
                                        ; implicit-def: $vgpr17
                                        ; implicit-def: $vgpr18
                                        ; implicit-def: $vgpr2
	s_sub_i32 s17, s17, s2
.LBB159_4:
	s_add_i32 s6, s17, s15
	v_cmp_gt_u32_e32 vcc, s6, v0
                                        ; implicit-def: $vgpr1
	s_and_saveexec_b64 s[4:5], vcc
	s_cbranch_execz .LBB159_6
; %bb.5:
	s_waitcnt vmcnt(2)
	v_mov_b32_e32 v1, s28
	v_add_co_u32_e32 v2, vcc, s26, v0
	v_addc_co_u32_e32 v1, vcc, 0, v1, vcc
	v_subrev_u32_e32 v3, s15, v0
	v_mov_b32_e32 v4, s27
	v_add_co_u32_e32 v5, vcc, s25, v3
	v_addc_co_u32_e32 v3, vcc, 0, v4, vcc
	v_cmp_gt_u32_e32 vcc, s15, v0
	v_cndmask_b32_e32 v3, v3, v1, vcc
	v_cndmask_b32_e32 v2, v5, v2, vcc
	global_load_ubyte v1, v[2:3], off
.LBB159_6:
	s_or_b64 exec, exec, s[4:5]
	v_cmp_gt_u32_e32 vcc, s6, v12
                                        ; implicit-def: $vgpr17
	s_and_saveexec_b64 s[4:5], vcc
	s_cbranch_execz .LBB159_8
; %bb.7:
	v_mov_b32_e32 v2, s28
	v_add_co_u32_e32 v4, vcc, s26, v12
	v_addc_co_u32_e32 v2, vcc, 0, v2, vcc
	v_subrev_u32_e32 v3, s15, v12
	v_mov_b32_e32 v5, s27
	v_add_co_u32_e32 v6, vcc, s25, v3
	v_addc_co_u32_e32 v3, vcc, 0, v5, vcc
	v_cmp_gt_u32_e32 vcc, s15, v12
	v_cndmask_b32_e32 v3, v3, v2, vcc
	v_cndmask_b32_e32 v2, v6, v4, vcc
	global_load_ubyte v17, v[2:3], off
.LBB159_8:
	s_or_b64 exec, exec, s[4:5]
	v_cmp_gt_u32_e32 vcc, s6, v10
                                        ; implicit-def: $vgpr18
	s_and_saveexec_b64 s[4:5], vcc
	s_cbranch_execz .LBB159_10
; %bb.9:
	v_mov_b32_e32 v2, s28
	v_add_co_u32_e32 v4, vcc, s26, v10
	v_addc_co_u32_e32 v2, vcc, 0, v2, vcc
	v_subrev_u32_e32 v3, s15, v10
	v_mov_b32_e32 v5, s27
	v_add_co_u32_e32 v6, vcc, s25, v3
	v_addc_co_u32_e32 v3, vcc, 0, v5, vcc
	v_cmp_gt_u32_e32 vcc, s15, v10
	v_cndmask_b32_e32 v3, v3, v2, vcc
	v_cndmask_b32_e32 v2, v6, v4, vcc
	global_load_ubyte v18, v[2:3], off
.LBB159_10:
	s_or_b64 exec, exec, s[4:5]
	v_add_u32_e32 v2, v10, v15
	v_cmp_gt_u32_e64 s[4:5], s6, v2
.LBB159_11:
                                        ; implicit-def: $vgpr19
	s_and_saveexec_b64 s[6:7], s[4:5]
	s_cbranch_execz .LBB159_13
; %bb.12:
	v_mov_b32_e32 v3, s28
	v_add_co_u32_e32 v4, vcc, s26, v2
	v_addc_co_u32_e32 v3, vcc, 0, v3, vcc
	v_subrev_u32_e32 v5, s15, v2
	v_mov_b32_e32 v6, s27
	v_add_co_u32_e32 v5, vcc, s25, v5
	v_addc_co_u32_e32 v6, vcc, 0, v6, vcc
	v_cmp_gt_u32_e32 vcc, s15, v2
	v_cndmask_b32_e32 v3, v6, v3, vcc
	v_cndmask_b32_e32 v2, v5, v4, vcc
	global_load_ubyte v19, v[2:3], off
.LBB159_13:
	s_or_b64 exec, exec, s[6:7]
	s_lshl_b64 s[0:1], s[0:1], 3
	s_add_u32 s4, s10, s0
	s_addc_u32 s5, s11, s1
	s_lshl_b64 s[0:1], s[2:3], 3
	s_add_u32 s6, s10, s0
	s_addc_u32 s7, s11, s1
	s_andn2_b64 vcc, exec, s[18:19]
	v_lshlrev_b32_e32 v16, 3, v0
	s_waitcnt vmcnt(0)
	ds_write_b8 v0, v1
	ds_write_b8 v0, v17 offset:256
	ds_write_b8 v0, v18 offset:512
	;; [unrolled: 1-line block ×3, first 2 shown]
	s_cbranch_vccnz .LBB159_15
; %bb.14:
	v_subrev_u32_e32 v6, s15, v0
	v_mov_b32_e32 v7, 0
	v_lshlrev_b64 v[2:3], 3, v[6:7]
	v_mov_b32_e32 v4, s7
	v_add_co_u32_e32 v2, vcc, s6, v2
	v_addc_co_u32_e32 v3, vcc, v4, v3, vcc
	v_mov_b32_e32 v4, s5
	v_add_co_u32_e32 v5, vcc, s4, v16
	v_addc_co_u32_e32 v4, vcc, 0, v4, vcc
	v_cmp_gt_u32_e32 vcc, s15, v0
	v_subrev_u32_e32 v6, s15, v12
	v_cndmask_b32_e32 v3, v3, v4, vcc
	v_cndmask_b32_e32 v2, v2, v5, vcc
	v_lshlrev_b64 v[4:5], 3, v[6:7]
	v_mov_b32_e32 v6, s7
	v_add_co_u32_e32 v8, vcc, s6, v4
	v_mov_b32_e32 v13, v7
	v_addc_co_u32_e32 v6, vcc, v6, v5, vcc
	v_lshlrev_b64 v[4:5], 3, v[12:13]
	v_mov_b32_e32 v9, s5
	v_add_co_u32_e32 v4, vcc, s4, v4
	v_addc_co_u32_e32 v5, vcc, v9, v5, vcc
	v_cmp_gt_u32_e32 vcc, s15, v12
	v_cndmask_b32_e32 v5, v6, v5, vcc
	v_subrev_u32_e32 v6, s15, v10
	v_cndmask_b32_e32 v4, v8, v4, vcc
	v_lshlrev_b64 v[8:9], 3, v[6:7]
	v_mov_b32_e32 v6, s7
	v_add_co_u32_e32 v8, vcc, s6, v8
	v_mov_b32_e32 v11, v7
	v_addc_co_u32_e32 v9, vcc, v6, v9, vcc
	v_lshlrev_b64 v[6:7], 3, v[10:11]
	v_mov_b32_e32 v11, s5
	v_add_co_u32_e32 v6, vcc, s4, v6
	v_addc_co_u32_e32 v7, vcc, v11, v7, vcc
	v_cmp_gt_u32_e32 vcc, s15, v10
	v_cndmask_b32_e32 v7, v9, v7, vcc
	v_cndmask_b32_e32 v6, v8, v6, vcc
	global_load_dwordx2 v[2:3], v[2:3], off
	v_add_u32_e32 v14, v10, v15
	global_load_dwordx2 v[4:5], v[4:5], off
	s_add_i32 s10, s17, s15
	global_load_dwordx2 v[6:7], v[6:7], off
	s_mov_b64 s[0:1], -1
	s_cbranch_execz .LBB159_16
	s_branch .LBB159_21
.LBB159_15:
	s_mov_b64 s[0:1], 0
                                        ; implicit-def: $vgpr14
                                        ; implicit-def: $vgpr2_vgpr3_vgpr4_vgpr5_vgpr6_vgpr7_vgpr8_vgpr9
                                        ; implicit-def: $sgpr10
.LBB159_16:
	s_add_i32 s10, s17, s15
	v_cmp_gt_u32_e32 vcc, s10, v0
                                        ; implicit-def: $vgpr2_vgpr3_vgpr4_vgpr5_vgpr6_vgpr7_vgpr8_vgpr9
	s_and_saveexec_b64 s[0:1], vcc
	s_cbranch_execz .LBB159_35
; %bb.17:
	s_waitcnt vmcnt(2)
	v_mov_b32_e32 v2, s5
	s_waitcnt vmcnt(1)
	v_add_co_u32_e32 v4, vcc, s4, v16
	v_mov_b32_e32 v3, 0
	v_addc_co_u32_e32 v5, vcc, 0, v2, vcc
	v_subrev_u32_e32 v2, s15, v0
	v_lshlrev_b64 v[2:3], 3, v[2:3]
	s_waitcnt vmcnt(0)
	v_mov_b32_e32 v6, s7
	v_add_co_u32_e32 v2, vcc, s6, v2
	v_addc_co_u32_e32 v3, vcc, v6, v3, vcc
	v_cmp_gt_u32_e32 vcc, s15, v0
	v_cndmask_b32_e32 v3, v3, v5, vcc
	v_cndmask_b32_e32 v2, v2, v4, vcc
	global_load_dwordx2 v[2:3], v[2:3], off
	s_or_b64 exec, exec, s[0:1]
	v_cmp_gt_u32_e32 vcc, s10, v12
	s_and_saveexec_b64 s[2:3], vcc
	s_cbranch_execnz .LBB159_36
.LBB159_18:
	s_or_b64 exec, exec, s[2:3]
	v_cmp_gt_u32_e32 vcc, s10, v10
	s_and_saveexec_b64 s[0:1], vcc
	s_cbranch_execz .LBB159_20
.LBB159_19:
	v_mov_b32_e32 v11, 0
	s_waitcnt vmcnt(0)
	v_lshlrev_b64 v[6:7], 3, v[10:11]
	v_mov_b32_e32 v12, s5
	v_add_co_u32_e32 v13, vcc, s4, v6
	v_addc_co_u32_e32 v12, vcc, v12, v7, vcc
	v_subrev_u32_e32 v6, s15, v10
	v_mov_b32_e32 v7, v11
	v_lshlrev_b64 v[6:7], 3, v[6:7]
	v_mov_b32_e32 v11, s7
	v_add_co_u32_e32 v6, vcc, s6, v6
	v_addc_co_u32_e32 v7, vcc, v11, v7, vcc
	v_cmp_gt_u32_e32 vcc, s15, v10
	v_cndmask_b32_e32 v7, v7, v12, vcc
	v_cndmask_b32_e32 v6, v6, v13, vcc
	global_load_dwordx2 v[6:7], v[6:7], off
.LBB159_20:
	s_or_b64 exec, exec, s[0:1]
	v_add_u32_e32 v14, v10, v15
	v_cmp_gt_u32_e64 s[0:1], s10, v14
.LBB159_21:
	v_mov_b32_e32 v10, s10
	s_and_saveexec_b64 s[2:3], s[0:1]
	s_cbranch_execz .LBB159_23
; %bb.22:
	v_subrev_u32_e32 v8, s15, v14
	v_mov_b32_e32 v9, 0
	v_lshlrev_b64 v[10:11], 3, v[8:9]
	v_mov_b32_e32 v8, s7
	v_add_co_u32_e32 v10, vcc, s6, v10
	v_mov_b32_e32 v15, v9
	v_addc_co_u32_e32 v11, vcc, v8, v11, vcc
	v_lshlrev_b64 v[8:9], 3, v[14:15]
	v_mov_b32_e32 v12, s5
	v_add_co_u32_e32 v8, vcc, s4, v8
	v_addc_co_u32_e32 v9, vcc, v12, v9, vcc
	v_cmp_gt_u32_e32 vcc, s15, v14
	v_cndmask_b32_e32 v9, v11, v9, vcc
	v_cndmask_b32_e32 v8, v10, v8, vcc
	global_load_dwordx2 v[8:9], v[8:9], off
	v_mov_b32_e32 v10, s10
.LBB159_23:
	s_or_b64 exec, exec, s[2:3]
	v_lshlrev_b32_e32 v12, 2, v0
	v_min_u32_e32 v13, v10, v12
	v_sub_u32_e64 v11, v13, s17 clamp
	v_min_u32_e32 v14, s15, v13
	v_cmp_lt_u32_e32 vcc, v11, v14
	s_waitcnt lgkmcnt(0)
	s_barrier
	s_and_saveexec_b64 s[0:1], vcc
	s_cbranch_execz .LBB159_27
; %bb.24:
	v_add_u32_e32 v15, s15, v13
	s_mov_b64 s[2:3], 0
.LBB159_25:                             ; =>This Inner Loop Header: Depth=1
	v_add_u32_e32 v20, v14, v11
	v_lshrrev_b32_e32 v20, 1, v20
	v_xad_u32 v21, v20, -1, v15
	ds_read_u8 v22, v20
	ds_read_u8 v21, v21
	v_add_u32_e32 v23, 1, v20
	s_waitcnt lgkmcnt(0)
	v_cmp_gt_u16_e32 vcc, v22, v21
	v_cndmask_b32_e32 v14, v14, v20, vcc
	v_cndmask_b32_e32 v11, v23, v11, vcc
	v_cmp_ge_u32_e32 vcc, v11, v14
	s_or_b64 s[2:3], vcc, s[2:3]
	s_andn2_b64 exec, exec, s[2:3]
	s_cbranch_execnz .LBB159_25
; %bb.26:
	s_or_b64 exec, exec, s[2:3]
.LBB159_27:
	s_or_b64 exec, exec, s[0:1]
	v_sub_u32_e32 v13, v13, v11
	v_add_u32_e32 v14, s15, v13
	v_cmp_ge_u32_e32 vcc, s15, v11
	v_cmp_le_u32_e64 s[0:1], v14, v10
	s_or_b64 s[0:1], vcc, s[0:1]
                                        ; implicit-def: $vgpr21
                                        ; implicit-def: $vgpr20
                                        ; implicit-def: $vgpr15
                                        ; implicit-def: $vgpr13
	s_and_saveexec_b64 s[6:7], s[0:1]
	s_cbranch_execz .LBB159_33
; %bb.28:
	v_cmp_gt_u32_e32 vcc, s15, v11
                                        ; implicit-def: $vgpr1
	s_and_saveexec_b64 s[0:1], vcc
	s_cbranch_execz .LBB159_30
; %bb.29:
	ds_read_u8 v1, v11
.LBB159_30:
	s_or_b64 exec, exec, s[0:1]
	v_cmp_ge_u32_e64 s[0:1], v14, v10
	v_cmp_lt_u32_e64 s[2:3], v14, v10
                                        ; implicit-def: $vgpr17
	s_and_saveexec_b64 s[4:5], s[2:3]
	s_cbranch_execz .LBB159_32
; %bb.31:
	ds_read_u8 v17, v14
.LBB159_32:
	s_or_b64 exec, exec, s[4:5]
	s_waitcnt lgkmcnt(0)
	v_cmp_le_u16_sdwa s[2:3], v1, v17 src0_sel:BYTE_0 src1_sel:BYTE_0
	s_and_b64 s[2:3], vcc, s[2:3]
	s_or_b64 vcc, s[0:1], s[2:3]
	v_mov_b32_e32 v18, s15
	v_cndmask_b32_e32 v13, v14, v11, vcc
	v_cndmask_b32_e32 v15, v10, v18, vcc
	v_add_u32_e32 v19, 1, v13
	v_add_u32_e32 v15, -1, v15
	v_min_u32_e32 v15, v19, v15
	ds_read_u8 v15, v15
	v_cndmask_b32_e32 v11, v11, v19, vcc
	v_cndmask_b32_e32 v14, v19, v14, vcc
	v_cmp_gt_u32_e64 s[2:3], s15, v11
	v_cmp_ge_u32_e64 s[0:1], v14, v10
	s_waitcnt lgkmcnt(0)
	v_cndmask_b32_e32 v21, v15, v17, vcc
	v_cndmask_b32_e32 v22, v1, v15, vcc
	v_cmp_le_u16_sdwa s[4:5], v22, v21 src0_sel:BYTE_0 src1_sel:BYTE_0
	s_and_b64 s[2:3], s[2:3], s[4:5]
	s_or_b64 s[0:1], s[0:1], s[2:3]
	v_cndmask_b32_e64 v15, v14, v11, s[0:1]
	v_cndmask_b32_e64 v19, v10, v18, s[0:1]
	v_add_u32_e32 v20, 1, v15
	v_add_u32_e32 v19, -1, v19
	v_min_u32_e32 v19, v20, v19
	ds_read_u8 v19, v19
	v_cndmask_b32_e64 v11, v11, v20, s[0:1]
	v_cndmask_b32_e64 v14, v20, v14, s[0:1]
	v_cmp_gt_u32_e64 s[4:5], s15, v11
	v_cmp_ge_u32_e64 s[2:3], v14, v10
	s_waitcnt lgkmcnt(0)
	v_cndmask_b32_e64 v23, v19, v21, s[0:1]
	v_cndmask_b32_e64 v19, v22, v19, s[0:1]
	v_cmp_le_u16_sdwa s[10:11], v19, v23 src0_sel:BYTE_0 src1_sel:BYTE_0
	s_and_b64 s[4:5], s[4:5], s[10:11]
	s_or_b64 s[2:3], s[2:3], s[4:5]
	v_cndmask_b32_e64 v20, v14, v11, s[2:3]
	v_cndmask_b32_e64 v18, v10, v18, s[2:3]
	v_add_u32_e32 v24, 1, v20
	v_add_u32_e32 v18, -1, v18
	v_min_u32_e32 v18, v24, v18
	ds_read_u8 v25, v18
	v_cndmask_b32_e32 v1, v17, v1, vcc
	v_cndmask_b32_e64 v17, v21, v22, s[0:1]
	v_cndmask_b32_e64 v18, v23, v19, s[2:3]
	;; [unrolled: 1-line block ×3, first 2 shown]
	s_waitcnt lgkmcnt(0)
	v_cndmask_b32_e64 v22, v25, v23, s[2:3]
	v_cndmask_b32_e64 v19, v19, v25, s[2:3]
	;; [unrolled: 1-line block ×3, first 2 shown]
	v_cmp_gt_u32_e64 s[0:1], s15, v11
	v_cmp_le_u16_sdwa s[2:3], v19, v22 src0_sel:BYTE_0 src1_sel:BYTE_0
	v_cmp_ge_u32_e32 vcc, v14, v10
	s_and_b64 s[0:1], s[0:1], s[2:3]
	s_or_b64 vcc, vcc, s[0:1]
	v_cndmask_b32_e32 v21, v14, v11, vcc
	v_cndmask_b32_e32 v19, v22, v19, vcc
.LBB159_33:
	s_or_b64 exec, exec, s[6:7]
	v_mad_u32_u24 v14, v0, 7, v0
	s_barrier
	s_waitcnt vmcnt(0)
	ds_write2st64_b64 v14, v[2:3], v[4:5] offset1:4
	ds_write2st64_b64 v14, v[6:7], v[8:9] offset0:8 offset1:12
	v_lshlrev_b32_e32 v2, 3, v13
	v_lshlrev_b32_e32 v3, 3, v15
	;; [unrolled: 1-line block ×4, first 2 shown]
	s_waitcnt lgkmcnt(0)
	s_barrier
	ds_read_b64 v[6:7], v2
	ds_read_b64 v[8:9], v3
	ds_read_b64 v[2:3], v4
	ds_read_b64 v[4:5], v5
	v_lshlrev_b16_e32 v11, 8, v17
	v_lshrrev_b32_e32 v20, 3, v0
	v_or_b32_sdwa v1, v1, v11 dst_sel:DWORD dst_unused:UNUSED_PAD src0_sel:BYTE_0 src1_sel:DWORD
	v_lshlrev_b16_e32 v11, 8, v19
	s_add_u32 s0, s8, s16
	v_and_b32_e32 v10, 28, v20
	v_or_b32_sdwa v11, v18, v11 dst_sel:WORD_1 dst_unused:UNUSED_PAD src0_sel:BYTE_0 src1_sel:DWORD
	s_addc_u32 s1, s9, 0
	v_add_u32_e32 v10, v10, v12
	v_or_b32_sdwa v1, v1, v11 dst_sel:DWORD dst_unused:UNUSED_PAD src0_sel:WORD_0 src1_sel:DWORD
	v_or_b32_e32 v23, 0x100, v0
	v_or_b32_e32 v22, 0x200, v0
	;; [unrolled: 1-line block ×3, first 2 shown]
	s_waitcnt lgkmcnt(0)
	s_barrier
	s_barrier
	ds_write_b32 v10, v1
	v_lshrrev_b32_e32 v1, 5, v23
	v_lshrrev_b32_e32 v17, 5, v22
	;; [unrolled: 1-line block ×3, first 2 shown]
	v_mov_b32_e32 v11, s1
	v_add_co_u32_e32 v10, vcc, s0, v0
	v_lshrrev_b32_e32 v15, 5, v0
	v_and_b32_e32 v13, 12, v1
	v_and_b32_e32 v18, 20, v17
	;; [unrolled: 1-line block ×3, first 2 shown]
	v_addc_co_u32_e32 v11, vcc, 0, v11, vcc
	s_mov_b32 s17, 0
	v_and_b32_e32 v24, 4, v15
	s_and_b64 vcc, exec, s[18:19]
	v_add_u32_e32 v25, v0, v13
	v_add_u32_e32 v26, v0, v18
	;; [unrolled: 1-line block ×3, first 2 shown]
	v_lshlrev_b32_e32 v19, 3, v12
	v_lshl_add_u32 v1, v1, 3, v14
	v_lshl_add_u32 v17, v17, 3, v14
	;; [unrolled: 1-line block ×3, first 2 shown]
	s_waitcnt lgkmcnt(0)
	s_cbranch_vccz .LBB159_37
; %bb.34:
	v_add_u32_e32 v12, v0, v24
	s_barrier
	ds_read_u8 v12, v12
	ds_read_u8 v13, v25 offset:256
	ds_read_u8 v28, v26 offset:512
	ds_read_u8 v29, v27 offset:768
	s_lshl_b64 s[0:1], s[16:17], 3
	s_add_u32 s0, s12, s0
	s_waitcnt lgkmcnt(3)
	global_store_byte v[10:11], v12, off
	s_waitcnt lgkmcnt(2)
	global_store_byte v[10:11], v13, off offset:256
	s_waitcnt lgkmcnt(1)
	global_store_byte v[10:11], v28, off offset:512
	;; [unrolled: 2-line block ×3, first 2 shown]
	v_lshl_add_u32 v12, v20, 3, v19
	s_barrier
	ds_write2_b64 v12, v[6:7], v[8:9] offset1:1
	ds_write2_b64 v12, v[2:3], v[4:5] offset0:2 offset1:3
	v_lshl_add_u32 v12, v15, 3, v14
	s_addc_u32 s1, s13, s1
	s_waitcnt lgkmcnt(0)
	s_barrier
	ds_read_b64 v[28:29], v12
	ds_read_b64 v[30:31], v1 offset:2048
	ds_read_b64 v[32:33], v17 offset:4096
	;; [unrolled: 1-line block ×3, first 2 shown]
	v_mov_b32_e32 v34, s1
	v_add_co_u32_e32 v35, vcc, s0, v16
	v_addc_co_u32_e32 v34, vcc, 0, v34, vcc
	s_waitcnt lgkmcnt(3)
	global_store_dwordx2 v16, v[28:29], s[0:1]
	s_waitcnt lgkmcnt(2)
	global_store_dwordx2 v16, v[30:31], s[0:1] offset:2048
	v_add_co_u32_e32 v28, vcc, 0x1000, v35
	v_addc_co_u32_e32 v29, vcc, 0, v34, vcc
	s_waitcnt lgkmcnt(1)
	global_store_dwordx2 v[28:29], v[32:33], off
	s_mov_b64 s[6:7], -1
	s_cbranch_execz .LBB159_38
	s_branch .LBB159_51
.LBB159_35:
	s_or_b64 exec, exec, s[0:1]
	v_cmp_gt_u32_e32 vcc, s10, v12
	s_and_saveexec_b64 s[2:3], vcc
	s_cbranch_execz .LBB159_18
.LBB159_36:
	v_mov_b32_e32 v13, 0
	s_waitcnt vmcnt(1)
	v_lshlrev_b64 v[4:5], 3, v[12:13]
	v_mov_b32_e32 v11, s5
	v_add_co_u32_e32 v14, vcc, s4, v4
	v_addc_co_u32_e32 v11, vcc, v11, v5, vcc
	v_cmp_gt_u32_e32 vcc, s15, v12
	v_subrev_u32_e32 v12, s15, v12
	v_lshlrev_b64 v[4:5], 3, v[12:13]
	v_mov_b32_e32 v12, s7
	v_add_co_u32_e64 v4, s[0:1], s6, v4
	v_addc_co_u32_e64 v5, s[0:1], v12, v5, s[0:1]
	v_cndmask_b32_e32 v5, v5, v11, vcc
	v_cndmask_b32_e32 v4, v4, v14, vcc
	global_load_dwordx2 v[4:5], v[4:5], off
	s_or_b64 exec, exec, s[2:3]
	v_cmp_gt_u32_e32 vcc, s10, v10
	s_and_saveexec_b64 s[0:1], vcc
	s_cbranch_execnz .LBB159_19
	s_branch .LBB159_20
.LBB159_37:
	s_mov_b64 s[6:7], 0
                                        ; implicit-def: $vgpr12_vgpr13
.LBB159_38:
	s_barrier
	s_waitcnt lgkmcnt(0)
	ds_read_u8 v25, v25 offset:256
	ds_read_u8 v13, v26 offset:512
	;; [unrolled: 1-line block ×3, first 2 shown]
	s_sub_i32 s6, s14, s16
	v_cmp_gt_u32_e32 vcc, s6, v0
	s_and_saveexec_b64 s[0:1], vcc
	s_cbranch_execz .LBB159_42
; %bb.39:
	v_add_u32_e32 v0, v0, v24
	ds_read_u8 v0, v0
	s_waitcnt lgkmcnt(0)
	global_store_byte v[10:11], v0, off
	s_or_b64 exec, exec, s[0:1]
	v_cmp_gt_u32_e64 s[0:1], s6, v23
	s_and_saveexec_b64 s[2:3], s[0:1]
	s_cbranch_execnz .LBB159_43
.LBB159_40:
	s_or_b64 exec, exec, s[2:3]
	v_cmp_gt_u32_e64 s[2:3], s6, v22
	s_and_saveexec_b64 s[4:5], s[2:3]
	s_cbranch_execz .LBB159_44
.LBB159_41:
	s_waitcnt lgkmcnt(1)
	global_store_byte v[10:11], v13, off offset:512
	s_or_b64 exec, exec, s[4:5]
	v_cmp_gt_u32_e64 s[6:7], s6, v21
	s_and_saveexec_b64 s[4:5], s[6:7]
	s_cbranch_execnz .LBB159_45
	s_branch .LBB159_46
.LBB159_42:
	s_or_b64 exec, exec, s[0:1]
	v_cmp_gt_u32_e64 s[0:1], s6, v23
	s_and_saveexec_b64 s[2:3], s[0:1]
	s_cbranch_execz .LBB159_40
.LBB159_43:
	s_waitcnt lgkmcnt(2)
	global_store_byte v[10:11], v25, off offset:256
	s_or_b64 exec, exec, s[2:3]
	v_cmp_gt_u32_e64 s[2:3], s6, v22
	s_and_saveexec_b64 s[4:5], s[2:3]
	s_cbranch_execnz .LBB159_41
.LBB159_44:
	s_or_b64 exec, exec, s[4:5]
	v_cmp_gt_u32_e64 s[6:7], s6, v21
	s_and_saveexec_b64 s[4:5], s[6:7]
	s_cbranch_execz .LBB159_46
.LBB159_45:
	s_waitcnt lgkmcnt(0)
	global_store_byte v[10:11], v12, off offset:768
.LBB159_46:
	s_or_b64 exec, exec, s[4:5]
	v_lshl_add_u32 v0, v20, 3, v19
	s_waitcnt lgkmcnt(0)
	s_barrier
	ds_write2_b64 v0, v[6:7], v[8:9] offset1:1
	ds_write2_b64 v0, v[2:3], v[4:5] offset0:2 offset1:3
	s_waitcnt lgkmcnt(0)
	s_barrier
	ds_read_b64 v[4:5], v1 offset:2048
	ds_read_b64 v[0:1], v17 offset:4096
	;; [unrolled: 1-line block ×3, first 2 shown]
	s_lshl_b64 s[4:5], s[16:17], 3
	s_add_u32 s4, s12, s4
	s_addc_u32 s5, s13, s5
	v_mov_b32_e32 v3, s5
	v_add_co_u32_e64 v2, s[4:5], s4, v16
	v_addc_co_u32_e64 v3, s[4:5], 0, v3, s[4:5]
	s_and_saveexec_b64 s[4:5], vcc
	s_cbranch_execz .LBB159_54
; %bb.47:
	v_lshl_add_u32 v6, v15, 3, v14
	ds_read_b64 v[6:7], v6
	s_waitcnt lgkmcnt(0)
	global_store_dwordx2 v[2:3], v[6:7], off
	s_or_b64 exec, exec, s[4:5]
	s_and_saveexec_b64 s[4:5], s[0:1]
	s_cbranch_execnz .LBB159_55
.LBB159_48:
	s_or_b64 exec, exec, s[4:5]
	s_and_saveexec_b64 s[0:1], s[2:3]
	s_cbranch_execz .LBB159_50
.LBB159_49:
	v_add_co_u32_e32 v2, vcc, 0x1000, v2
	v_addc_co_u32_e32 v3, vcc, 0, v3, vcc
	s_waitcnt lgkmcnt(1)
	global_store_dwordx2 v[2:3], v[0:1], off
.LBB159_50:
	s_or_b64 exec, exec, s[0:1]
.LBB159_51:
	s_and_saveexec_b64 s[0:1], s[6:7]
	s_cbranch_execz .LBB159_53
; %bb.52:
	s_lshl_b64 s[0:1], s[16:17], 3
	s_add_u32 s0, s12, s0
	s_addc_u32 s1, s13, s1
	s_waitcnt lgkmcnt(1)
	v_mov_b32_e32 v0, s1
	v_add_co_u32_e32 v1, vcc, s0, v16
	v_addc_co_u32_e32 v2, vcc, 0, v0, vcc
	v_add_co_u32_e32 v0, vcc, 0x1000, v1
	v_addc_co_u32_e32 v1, vcc, 0, v2, vcc
	s_waitcnt lgkmcnt(0)
	global_store_dwordx2 v[0:1], v[12:13], off offset:2048
.LBB159_53:
	s_endpgm
.LBB159_54:
	s_or_b64 exec, exec, s[4:5]
	s_and_saveexec_b64 s[4:5], s[0:1]
	s_cbranch_execz .LBB159_48
.LBB159_55:
	s_waitcnt lgkmcnt(2)
	global_store_dwordx2 v[2:3], v[4:5], off offset:2048
	s_or_b64 exec, exec, s[4:5]
	s_and_saveexec_b64 s[0:1], s[2:3]
	s_cbranch_execnz .LBB159_49
	s_branch .LBB159_50
	.section	.rodata,"a",@progbits
	.p2align	6, 0x0
	.amdhsa_kernel _ZN7rocprim17ROCPRIM_400000_NS6detail17trampoline_kernelINS0_14default_configENS1_38merge_sort_block_merge_config_selectorIhlEEZZNS1_27merge_sort_block_merge_implIS3_PhN6thrust23THRUST_200600_302600_NS10device_ptrIlEEjNS1_19radix_merge_compareILb0ELb0EhNS0_19identity_decomposerEEEEE10hipError_tT0_T1_T2_jT3_P12ihipStream_tbPNSt15iterator_traitsISG_E10value_typeEPNSM_ISH_E10value_typeEPSI_NS1_7vsmem_tEENKUlT_SG_SH_SI_E_clIS7_S7_SB_PlEESF_SV_SG_SH_SI_EUlSV_E0_NS1_11comp_targetILNS1_3genE4ELNS1_11target_archE910ELNS1_3gpuE8ELNS1_3repE0EEENS1_38merge_mergepath_config_static_selectorELNS0_4arch9wavefront6targetE1EEEvSH_
		.amdhsa_group_segment_fixed_size 8448
		.amdhsa_private_segment_fixed_size 0
		.amdhsa_kernarg_size 320
		.amdhsa_user_sgpr_count 6
		.amdhsa_user_sgpr_private_segment_buffer 1
		.amdhsa_user_sgpr_dispatch_ptr 0
		.amdhsa_user_sgpr_queue_ptr 0
		.amdhsa_user_sgpr_kernarg_segment_ptr 1
		.amdhsa_user_sgpr_dispatch_id 0
		.amdhsa_user_sgpr_flat_scratch_init 0
		.amdhsa_user_sgpr_kernarg_preload_length 0
		.amdhsa_user_sgpr_kernarg_preload_offset 0
		.amdhsa_user_sgpr_private_segment_size 0
		.amdhsa_uses_dynamic_stack 0
		.amdhsa_system_sgpr_private_segment_wavefront_offset 0
		.amdhsa_system_sgpr_workgroup_id_x 1
		.amdhsa_system_sgpr_workgroup_id_y 1
		.amdhsa_system_sgpr_workgroup_id_z 1
		.amdhsa_system_sgpr_workgroup_info 0
		.amdhsa_system_vgpr_workitem_id 0
		.amdhsa_next_free_vgpr 36
		.amdhsa_next_free_sgpr 32
		.amdhsa_accum_offset 36
		.amdhsa_reserve_vcc 1
		.amdhsa_reserve_flat_scratch 0
		.amdhsa_float_round_mode_32 0
		.amdhsa_float_round_mode_16_64 0
		.amdhsa_float_denorm_mode_32 3
		.amdhsa_float_denorm_mode_16_64 3
		.amdhsa_dx10_clamp 1
		.amdhsa_ieee_mode 1
		.amdhsa_fp16_overflow 0
		.amdhsa_tg_split 0
		.amdhsa_exception_fp_ieee_invalid_op 0
		.amdhsa_exception_fp_denorm_src 0
		.amdhsa_exception_fp_ieee_div_zero 0
		.amdhsa_exception_fp_ieee_overflow 0
		.amdhsa_exception_fp_ieee_underflow 0
		.amdhsa_exception_fp_ieee_inexact 0
		.amdhsa_exception_int_div_zero 0
	.end_amdhsa_kernel
	.section	.text._ZN7rocprim17ROCPRIM_400000_NS6detail17trampoline_kernelINS0_14default_configENS1_38merge_sort_block_merge_config_selectorIhlEEZZNS1_27merge_sort_block_merge_implIS3_PhN6thrust23THRUST_200600_302600_NS10device_ptrIlEEjNS1_19radix_merge_compareILb0ELb0EhNS0_19identity_decomposerEEEEE10hipError_tT0_T1_T2_jT3_P12ihipStream_tbPNSt15iterator_traitsISG_E10value_typeEPNSM_ISH_E10value_typeEPSI_NS1_7vsmem_tEENKUlT_SG_SH_SI_E_clIS7_S7_SB_PlEESF_SV_SG_SH_SI_EUlSV_E0_NS1_11comp_targetILNS1_3genE4ELNS1_11target_archE910ELNS1_3gpuE8ELNS1_3repE0EEENS1_38merge_mergepath_config_static_selectorELNS0_4arch9wavefront6targetE1EEEvSH_,"axG",@progbits,_ZN7rocprim17ROCPRIM_400000_NS6detail17trampoline_kernelINS0_14default_configENS1_38merge_sort_block_merge_config_selectorIhlEEZZNS1_27merge_sort_block_merge_implIS3_PhN6thrust23THRUST_200600_302600_NS10device_ptrIlEEjNS1_19radix_merge_compareILb0ELb0EhNS0_19identity_decomposerEEEEE10hipError_tT0_T1_T2_jT3_P12ihipStream_tbPNSt15iterator_traitsISG_E10value_typeEPNSM_ISH_E10value_typeEPSI_NS1_7vsmem_tEENKUlT_SG_SH_SI_E_clIS7_S7_SB_PlEESF_SV_SG_SH_SI_EUlSV_E0_NS1_11comp_targetILNS1_3genE4ELNS1_11target_archE910ELNS1_3gpuE8ELNS1_3repE0EEENS1_38merge_mergepath_config_static_selectorELNS0_4arch9wavefront6targetE1EEEvSH_,comdat
.Lfunc_end159:
	.size	_ZN7rocprim17ROCPRIM_400000_NS6detail17trampoline_kernelINS0_14default_configENS1_38merge_sort_block_merge_config_selectorIhlEEZZNS1_27merge_sort_block_merge_implIS3_PhN6thrust23THRUST_200600_302600_NS10device_ptrIlEEjNS1_19radix_merge_compareILb0ELb0EhNS0_19identity_decomposerEEEEE10hipError_tT0_T1_T2_jT3_P12ihipStream_tbPNSt15iterator_traitsISG_E10value_typeEPNSM_ISH_E10value_typeEPSI_NS1_7vsmem_tEENKUlT_SG_SH_SI_E_clIS7_S7_SB_PlEESF_SV_SG_SH_SI_EUlSV_E0_NS1_11comp_targetILNS1_3genE4ELNS1_11target_archE910ELNS1_3gpuE8ELNS1_3repE0EEENS1_38merge_mergepath_config_static_selectorELNS0_4arch9wavefront6targetE1EEEvSH_, .Lfunc_end159-_ZN7rocprim17ROCPRIM_400000_NS6detail17trampoline_kernelINS0_14default_configENS1_38merge_sort_block_merge_config_selectorIhlEEZZNS1_27merge_sort_block_merge_implIS3_PhN6thrust23THRUST_200600_302600_NS10device_ptrIlEEjNS1_19radix_merge_compareILb0ELb0EhNS0_19identity_decomposerEEEEE10hipError_tT0_T1_T2_jT3_P12ihipStream_tbPNSt15iterator_traitsISG_E10value_typeEPNSM_ISH_E10value_typeEPSI_NS1_7vsmem_tEENKUlT_SG_SH_SI_E_clIS7_S7_SB_PlEESF_SV_SG_SH_SI_EUlSV_E0_NS1_11comp_targetILNS1_3genE4ELNS1_11target_archE910ELNS1_3gpuE8ELNS1_3repE0EEENS1_38merge_mergepath_config_static_selectorELNS0_4arch9wavefront6targetE1EEEvSH_
                                        ; -- End function
	.section	.AMDGPU.csdata,"",@progbits
; Kernel info:
; codeLenInByte = 3100
; NumSgprs: 36
; NumVgprs: 36
; NumAgprs: 0
; TotalNumVgprs: 36
; ScratchSize: 0
; MemoryBound: 0
; FloatMode: 240
; IeeeMode: 1
; LDSByteSize: 8448 bytes/workgroup (compile time only)
; SGPRBlocks: 4
; VGPRBlocks: 4
; NumSGPRsForWavesPerEU: 36
; NumVGPRsForWavesPerEU: 36
; AccumOffset: 36
; Occupancy: 7
; WaveLimiterHint : 1
; COMPUTE_PGM_RSRC2:SCRATCH_EN: 0
; COMPUTE_PGM_RSRC2:USER_SGPR: 6
; COMPUTE_PGM_RSRC2:TRAP_HANDLER: 0
; COMPUTE_PGM_RSRC2:TGID_X_EN: 1
; COMPUTE_PGM_RSRC2:TGID_Y_EN: 1
; COMPUTE_PGM_RSRC2:TGID_Z_EN: 1
; COMPUTE_PGM_RSRC2:TIDIG_COMP_CNT: 0
; COMPUTE_PGM_RSRC3_GFX90A:ACCUM_OFFSET: 8
; COMPUTE_PGM_RSRC3_GFX90A:TG_SPLIT: 0
	.section	.text._ZN7rocprim17ROCPRIM_400000_NS6detail17trampoline_kernelINS0_14default_configENS1_38merge_sort_block_merge_config_selectorIhlEEZZNS1_27merge_sort_block_merge_implIS3_PhN6thrust23THRUST_200600_302600_NS10device_ptrIlEEjNS1_19radix_merge_compareILb0ELb0EhNS0_19identity_decomposerEEEEE10hipError_tT0_T1_T2_jT3_P12ihipStream_tbPNSt15iterator_traitsISG_E10value_typeEPNSM_ISH_E10value_typeEPSI_NS1_7vsmem_tEENKUlT_SG_SH_SI_E_clIS7_S7_SB_PlEESF_SV_SG_SH_SI_EUlSV_E0_NS1_11comp_targetILNS1_3genE3ELNS1_11target_archE908ELNS1_3gpuE7ELNS1_3repE0EEENS1_38merge_mergepath_config_static_selectorELNS0_4arch9wavefront6targetE1EEEvSH_,"axG",@progbits,_ZN7rocprim17ROCPRIM_400000_NS6detail17trampoline_kernelINS0_14default_configENS1_38merge_sort_block_merge_config_selectorIhlEEZZNS1_27merge_sort_block_merge_implIS3_PhN6thrust23THRUST_200600_302600_NS10device_ptrIlEEjNS1_19radix_merge_compareILb0ELb0EhNS0_19identity_decomposerEEEEE10hipError_tT0_T1_T2_jT3_P12ihipStream_tbPNSt15iterator_traitsISG_E10value_typeEPNSM_ISH_E10value_typeEPSI_NS1_7vsmem_tEENKUlT_SG_SH_SI_E_clIS7_S7_SB_PlEESF_SV_SG_SH_SI_EUlSV_E0_NS1_11comp_targetILNS1_3genE3ELNS1_11target_archE908ELNS1_3gpuE7ELNS1_3repE0EEENS1_38merge_mergepath_config_static_selectorELNS0_4arch9wavefront6targetE1EEEvSH_,comdat
	.protected	_ZN7rocprim17ROCPRIM_400000_NS6detail17trampoline_kernelINS0_14default_configENS1_38merge_sort_block_merge_config_selectorIhlEEZZNS1_27merge_sort_block_merge_implIS3_PhN6thrust23THRUST_200600_302600_NS10device_ptrIlEEjNS1_19radix_merge_compareILb0ELb0EhNS0_19identity_decomposerEEEEE10hipError_tT0_T1_T2_jT3_P12ihipStream_tbPNSt15iterator_traitsISG_E10value_typeEPNSM_ISH_E10value_typeEPSI_NS1_7vsmem_tEENKUlT_SG_SH_SI_E_clIS7_S7_SB_PlEESF_SV_SG_SH_SI_EUlSV_E0_NS1_11comp_targetILNS1_3genE3ELNS1_11target_archE908ELNS1_3gpuE7ELNS1_3repE0EEENS1_38merge_mergepath_config_static_selectorELNS0_4arch9wavefront6targetE1EEEvSH_ ; -- Begin function _ZN7rocprim17ROCPRIM_400000_NS6detail17trampoline_kernelINS0_14default_configENS1_38merge_sort_block_merge_config_selectorIhlEEZZNS1_27merge_sort_block_merge_implIS3_PhN6thrust23THRUST_200600_302600_NS10device_ptrIlEEjNS1_19radix_merge_compareILb0ELb0EhNS0_19identity_decomposerEEEEE10hipError_tT0_T1_T2_jT3_P12ihipStream_tbPNSt15iterator_traitsISG_E10value_typeEPNSM_ISH_E10value_typeEPSI_NS1_7vsmem_tEENKUlT_SG_SH_SI_E_clIS7_S7_SB_PlEESF_SV_SG_SH_SI_EUlSV_E0_NS1_11comp_targetILNS1_3genE3ELNS1_11target_archE908ELNS1_3gpuE7ELNS1_3repE0EEENS1_38merge_mergepath_config_static_selectorELNS0_4arch9wavefront6targetE1EEEvSH_
	.globl	_ZN7rocprim17ROCPRIM_400000_NS6detail17trampoline_kernelINS0_14default_configENS1_38merge_sort_block_merge_config_selectorIhlEEZZNS1_27merge_sort_block_merge_implIS3_PhN6thrust23THRUST_200600_302600_NS10device_ptrIlEEjNS1_19radix_merge_compareILb0ELb0EhNS0_19identity_decomposerEEEEE10hipError_tT0_T1_T2_jT3_P12ihipStream_tbPNSt15iterator_traitsISG_E10value_typeEPNSM_ISH_E10value_typeEPSI_NS1_7vsmem_tEENKUlT_SG_SH_SI_E_clIS7_S7_SB_PlEESF_SV_SG_SH_SI_EUlSV_E0_NS1_11comp_targetILNS1_3genE3ELNS1_11target_archE908ELNS1_3gpuE7ELNS1_3repE0EEENS1_38merge_mergepath_config_static_selectorELNS0_4arch9wavefront6targetE1EEEvSH_
	.p2align	8
	.type	_ZN7rocprim17ROCPRIM_400000_NS6detail17trampoline_kernelINS0_14default_configENS1_38merge_sort_block_merge_config_selectorIhlEEZZNS1_27merge_sort_block_merge_implIS3_PhN6thrust23THRUST_200600_302600_NS10device_ptrIlEEjNS1_19radix_merge_compareILb0ELb0EhNS0_19identity_decomposerEEEEE10hipError_tT0_T1_T2_jT3_P12ihipStream_tbPNSt15iterator_traitsISG_E10value_typeEPNSM_ISH_E10value_typeEPSI_NS1_7vsmem_tEENKUlT_SG_SH_SI_E_clIS7_S7_SB_PlEESF_SV_SG_SH_SI_EUlSV_E0_NS1_11comp_targetILNS1_3genE3ELNS1_11target_archE908ELNS1_3gpuE7ELNS1_3repE0EEENS1_38merge_mergepath_config_static_selectorELNS0_4arch9wavefront6targetE1EEEvSH_,@function
_ZN7rocprim17ROCPRIM_400000_NS6detail17trampoline_kernelINS0_14default_configENS1_38merge_sort_block_merge_config_selectorIhlEEZZNS1_27merge_sort_block_merge_implIS3_PhN6thrust23THRUST_200600_302600_NS10device_ptrIlEEjNS1_19radix_merge_compareILb0ELb0EhNS0_19identity_decomposerEEEEE10hipError_tT0_T1_T2_jT3_P12ihipStream_tbPNSt15iterator_traitsISG_E10value_typeEPNSM_ISH_E10value_typeEPSI_NS1_7vsmem_tEENKUlT_SG_SH_SI_E_clIS7_S7_SB_PlEESF_SV_SG_SH_SI_EUlSV_E0_NS1_11comp_targetILNS1_3genE3ELNS1_11target_archE908ELNS1_3gpuE7ELNS1_3repE0EEENS1_38merge_mergepath_config_static_selectorELNS0_4arch9wavefront6targetE1EEEvSH_: ; @_ZN7rocprim17ROCPRIM_400000_NS6detail17trampoline_kernelINS0_14default_configENS1_38merge_sort_block_merge_config_selectorIhlEEZZNS1_27merge_sort_block_merge_implIS3_PhN6thrust23THRUST_200600_302600_NS10device_ptrIlEEjNS1_19radix_merge_compareILb0ELb0EhNS0_19identity_decomposerEEEEE10hipError_tT0_T1_T2_jT3_P12ihipStream_tbPNSt15iterator_traitsISG_E10value_typeEPNSM_ISH_E10value_typeEPSI_NS1_7vsmem_tEENKUlT_SG_SH_SI_E_clIS7_S7_SB_PlEESF_SV_SG_SH_SI_EUlSV_E0_NS1_11comp_targetILNS1_3genE3ELNS1_11target_archE908ELNS1_3gpuE7ELNS1_3repE0EEENS1_38merge_mergepath_config_static_selectorELNS0_4arch9wavefront6targetE1EEEvSH_
; %bb.0:
	.section	.rodata,"a",@progbits
	.p2align	6, 0x0
	.amdhsa_kernel _ZN7rocprim17ROCPRIM_400000_NS6detail17trampoline_kernelINS0_14default_configENS1_38merge_sort_block_merge_config_selectorIhlEEZZNS1_27merge_sort_block_merge_implIS3_PhN6thrust23THRUST_200600_302600_NS10device_ptrIlEEjNS1_19radix_merge_compareILb0ELb0EhNS0_19identity_decomposerEEEEE10hipError_tT0_T1_T2_jT3_P12ihipStream_tbPNSt15iterator_traitsISG_E10value_typeEPNSM_ISH_E10value_typeEPSI_NS1_7vsmem_tEENKUlT_SG_SH_SI_E_clIS7_S7_SB_PlEESF_SV_SG_SH_SI_EUlSV_E0_NS1_11comp_targetILNS1_3genE3ELNS1_11target_archE908ELNS1_3gpuE7ELNS1_3repE0EEENS1_38merge_mergepath_config_static_selectorELNS0_4arch9wavefront6targetE1EEEvSH_
		.amdhsa_group_segment_fixed_size 0
		.amdhsa_private_segment_fixed_size 0
		.amdhsa_kernarg_size 64
		.amdhsa_user_sgpr_count 6
		.amdhsa_user_sgpr_private_segment_buffer 1
		.amdhsa_user_sgpr_dispatch_ptr 0
		.amdhsa_user_sgpr_queue_ptr 0
		.amdhsa_user_sgpr_kernarg_segment_ptr 1
		.amdhsa_user_sgpr_dispatch_id 0
		.amdhsa_user_sgpr_flat_scratch_init 0
		.amdhsa_user_sgpr_kernarg_preload_length 0
		.amdhsa_user_sgpr_kernarg_preload_offset 0
		.amdhsa_user_sgpr_private_segment_size 0
		.amdhsa_uses_dynamic_stack 0
		.amdhsa_system_sgpr_private_segment_wavefront_offset 0
		.amdhsa_system_sgpr_workgroup_id_x 1
		.amdhsa_system_sgpr_workgroup_id_y 0
		.amdhsa_system_sgpr_workgroup_id_z 0
		.amdhsa_system_sgpr_workgroup_info 0
		.amdhsa_system_vgpr_workitem_id 0
		.amdhsa_next_free_vgpr 1
		.amdhsa_next_free_sgpr 0
		.amdhsa_accum_offset 4
		.amdhsa_reserve_vcc 0
		.amdhsa_reserve_flat_scratch 0
		.amdhsa_float_round_mode_32 0
		.amdhsa_float_round_mode_16_64 0
		.amdhsa_float_denorm_mode_32 3
		.amdhsa_float_denorm_mode_16_64 3
		.amdhsa_dx10_clamp 1
		.amdhsa_ieee_mode 1
		.amdhsa_fp16_overflow 0
		.amdhsa_tg_split 0
		.amdhsa_exception_fp_ieee_invalid_op 0
		.amdhsa_exception_fp_denorm_src 0
		.amdhsa_exception_fp_ieee_div_zero 0
		.amdhsa_exception_fp_ieee_overflow 0
		.amdhsa_exception_fp_ieee_underflow 0
		.amdhsa_exception_fp_ieee_inexact 0
		.amdhsa_exception_int_div_zero 0
	.end_amdhsa_kernel
	.section	.text._ZN7rocprim17ROCPRIM_400000_NS6detail17trampoline_kernelINS0_14default_configENS1_38merge_sort_block_merge_config_selectorIhlEEZZNS1_27merge_sort_block_merge_implIS3_PhN6thrust23THRUST_200600_302600_NS10device_ptrIlEEjNS1_19radix_merge_compareILb0ELb0EhNS0_19identity_decomposerEEEEE10hipError_tT0_T1_T2_jT3_P12ihipStream_tbPNSt15iterator_traitsISG_E10value_typeEPNSM_ISH_E10value_typeEPSI_NS1_7vsmem_tEENKUlT_SG_SH_SI_E_clIS7_S7_SB_PlEESF_SV_SG_SH_SI_EUlSV_E0_NS1_11comp_targetILNS1_3genE3ELNS1_11target_archE908ELNS1_3gpuE7ELNS1_3repE0EEENS1_38merge_mergepath_config_static_selectorELNS0_4arch9wavefront6targetE1EEEvSH_,"axG",@progbits,_ZN7rocprim17ROCPRIM_400000_NS6detail17trampoline_kernelINS0_14default_configENS1_38merge_sort_block_merge_config_selectorIhlEEZZNS1_27merge_sort_block_merge_implIS3_PhN6thrust23THRUST_200600_302600_NS10device_ptrIlEEjNS1_19radix_merge_compareILb0ELb0EhNS0_19identity_decomposerEEEEE10hipError_tT0_T1_T2_jT3_P12ihipStream_tbPNSt15iterator_traitsISG_E10value_typeEPNSM_ISH_E10value_typeEPSI_NS1_7vsmem_tEENKUlT_SG_SH_SI_E_clIS7_S7_SB_PlEESF_SV_SG_SH_SI_EUlSV_E0_NS1_11comp_targetILNS1_3genE3ELNS1_11target_archE908ELNS1_3gpuE7ELNS1_3repE0EEENS1_38merge_mergepath_config_static_selectorELNS0_4arch9wavefront6targetE1EEEvSH_,comdat
.Lfunc_end160:
	.size	_ZN7rocprim17ROCPRIM_400000_NS6detail17trampoline_kernelINS0_14default_configENS1_38merge_sort_block_merge_config_selectorIhlEEZZNS1_27merge_sort_block_merge_implIS3_PhN6thrust23THRUST_200600_302600_NS10device_ptrIlEEjNS1_19radix_merge_compareILb0ELb0EhNS0_19identity_decomposerEEEEE10hipError_tT0_T1_T2_jT3_P12ihipStream_tbPNSt15iterator_traitsISG_E10value_typeEPNSM_ISH_E10value_typeEPSI_NS1_7vsmem_tEENKUlT_SG_SH_SI_E_clIS7_S7_SB_PlEESF_SV_SG_SH_SI_EUlSV_E0_NS1_11comp_targetILNS1_3genE3ELNS1_11target_archE908ELNS1_3gpuE7ELNS1_3repE0EEENS1_38merge_mergepath_config_static_selectorELNS0_4arch9wavefront6targetE1EEEvSH_, .Lfunc_end160-_ZN7rocprim17ROCPRIM_400000_NS6detail17trampoline_kernelINS0_14default_configENS1_38merge_sort_block_merge_config_selectorIhlEEZZNS1_27merge_sort_block_merge_implIS3_PhN6thrust23THRUST_200600_302600_NS10device_ptrIlEEjNS1_19radix_merge_compareILb0ELb0EhNS0_19identity_decomposerEEEEE10hipError_tT0_T1_T2_jT3_P12ihipStream_tbPNSt15iterator_traitsISG_E10value_typeEPNSM_ISH_E10value_typeEPSI_NS1_7vsmem_tEENKUlT_SG_SH_SI_E_clIS7_S7_SB_PlEESF_SV_SG_SH_SI_EUlSV_E0_NS1_11comp_targetILNS1_3genE3ELNS1_11target_archE908ELNS1_3gpuE7ELNS1_3repE0EEENS1_38merge_mergepath_config_static_selectorELNS0_4arch9wavefront6targetE1EEEvSH_
                                        ; -- End function
	.section	.AMDGPU.csdata,"",@progbits
; Kernel info:
; codeLenInByte = 0
; NumSgprs: 4
; NumVgprs: 0
; NumAgprs: 0
; TotalNumVgprs: 0
; ScratchSize: 0
; MemoryBound: 0
; FloatMode: 240
; IeeeMode: 1
; LDSByteSize: 0 bytes/workgroup (compile time only)
; SGPRBlocks: 0
; VGPRBlocks: 0
; NumSGPRsForWavesPerEU: 4
; NumVGPRsForWavesPerEU: 1
; AccumOffset: 4
; Occupancy: 8
; WaveLimiterHint : 0
; COMPUTE_PGM_RSRC2:SCRATCH_EN: 0
; COMPUTE_PGM_RSRC2:USER_SGPR: 6
; COMPUTE_PGM_RSRC2:TRAP_HANDLER: 0
; COMPUTE_PGM_RSRC2:TGID_X_EN: 1
; COMPUTE_PGM_RSRC2:TGID_Y_EN: 0
; COMPUTE_PGM_RSRC2:TGID_Z_EN: 0
; COMPUTE_PGM_RSRC2:TIDIG_COMP_CNT: 0
; COMPUTE_PGM_RSRC3_GFX90A:ACCUM_OFFSET: 0
; COMPUTE_PGM_RSRC3_GFX90A:TG_SPLIT: 0
	.section	.text._ZN7rocprim17ROCPRIM_400000_NS6detail17trampoline_kernelINS0_14default_configENS1_38merge_sort_block_merge_config_selectorIhlEEZZNS1_27merge_sort_block_merge_implIS3_PhN6thrust23THRUST_200600_302600_NS10device_ptrIlEEjNS1_19radix_merge_compareILb0ELb0EhNS0_19identity_decomposerEEEEE10hipError_tT0_T1_T2_jT3_P12ihipStream_tbPNSt15iterator_traitsISG_E10value_typeEPNSM_ISH_E10value_typeEPSI_NS1_7vsmem_tEENKUlT_SG_SH_SI_E_clIS7_S7_SB_PlEESF_SV_SG_SH_SI_EUlSV_E0_NS1_11comp_targetILNS1_3genE2ELNS1_11target_archE906ELNS1_3gpuE6ELNS1_3repE0EEENS1_38merge_mergepath_config_static_selectorELNS0_4arch9wavefront6targetE1EEEvSH_,"axG",@progbits,_ZN7rocprim17ROCPRIM_400000_NS6detail17trampoline_kernelINS0_14default_configENS1_38merge_sort_block_merge_config_selectorIhlEEZZNS1_27merge_sort_block_merge_implIS3_PhN6thrust23THRUST_200600_302600_NS10device_ptrIlEEjNS1_19radix_merge_compareILb0ELb0EhNS0_19identity_decomposerEEEEE10hipError_tT0_T1_T2_jT3_P12ihipStream_tbPNSt15iterator_traitsISG_E10value_typeEPNSM_ISH_E10value_typeEPSI_NS1_7vsmem_tEENKUlT_SG_SH_SI_E_clIS7_S7_SB_PlEESF_SV_SG_SH_SI_EUlSV_E0_NS1_11comp_targetILNS1_3genE2ELNS1_11target_archE906ELNS1_3gpuE6ELNS1_3repE0EEENS1_38merge_mergepath_config_static_selectorELNS0_4arch9wavefront6targetE1EEEvSH_,comdat
	.protected	_ZN7rocprim17ROCPRIM_400000_NS6detail17trampoline_kernelINS0_14default_configENS1_38merge_sort_block_merge_config_selectorIhlEEZZNS1_27merge_sort_block_merge_implIS3_PhN6thrust23THRUST_200600_302600_NS10device_ptrIlEEjNS1_19radix_merge_compareILb0ELb0EhNS0_19identity_decomposerEEEEE10hipError_tT0_T1_T2_jT3_P12ihipStream_tbPNSt15iterator_traitsISG_E10value_typeEPNSM_ISH_E10value_typeEPSI_NS1_7vsmem_tEENKUlT_SG_SH_SI_E_clIS7_S7_SB_PlEESF_SV_SG_SH_SI_EUlSV_E0_NS1_11comp_targetILNS1_3genE2ELNS1_11target_archE906ELNS1_3gpuE6ELNS1_3repE0EEENS1_38merge_mergepath_config_static_selectorELNS0_4arch9wavefront6targetE1EEEvSH_ ; -- Begin function _ZN7rocprim17ROCPRIM_400000_NS6detail17trampoline_kernelINS0_14default_configENS1_38merge_sort_block_merge_config_selectorIhlEEZZNS1_27merge_sort_block_merge_implIS3_PhN6thrust23THRUST_200600_302600_NS10device_ptrIlEEjNS1_19radix_merge_compareILb0ELb0EhNS0_19identity_decomposerEEEEE10hipError_tT0_T1_T2_jT3_P12ihipStream_tbPNSt15iterator_traitsISG_E10value_typeEPNSM_ISH_E10value_typeEPSI_NS1_7vsmem_tEENKUlT_SG_SH_SI_E_clIS7_S7_SB_PlEESF_SV_SG_SH_SI_EUlSV_E0_NS1_11comp_targetILNS1_3genE2ELNS1_11target_archE906ELNS1_3gpuE6ELNS1_3repE0EEENS1_38merge_mergepath_config_static_selectorELNS0_4arch9wavefront6targetE1EEEvSH_
	.globl	_ZN7rocprim17ROCPRIM_400000_NS6detail17trampoline_kernelINS0_14default_configENS1_38merge_sort_block_merge_config_selectorIhlEEZZNS1_27merge_sort_block_merge_implIS3_PhN6thrust23THRUST_200600_302600_NS10device_ptrIlEEjNS1_19radix_merge_compareILb0ELb0EhNS0_19identity_decomposerEEEEE10hipError_tT0_T1_T2_jT3_P12ihipStream_tbPNSt15iterator_traitsISG_E10value_typeEPNSM_ISH_E10value_typeEPSI_NS1_7vsmem_tEENKUlT_SG_SH_SI_E_clIS7_S7_SB_PlEESF_SV_SG_SH_SI_EUlSV_E0_NS1_11comp_targetILNS1_3genE2ELNS1_11target_archE906ELNS1_3gpuE6ELNS1_3repE0EEENS1_38merge_mergepath_config_static_selectorELNS0_4arch9wavefront6targetE1EEEvSH_
	.p2align	8
	.type	_ZN7rocprim17ROCPRIM_400000_NS6detail17trampoline_kernelINS0_14default_configENS1_38merge_sort_block_merge_config_selectorIhlEEZZNS1_27merge_sort_block_merge_implIS3_PhN6thrust23THRUST_200600_302600_NS10device_ptrIlEEjNS1_19radix_merge_compareILb0ELb0EhNS0_19identity_decomposerEEEEE10hipError_tT0_T1_T2_jT3_P12ihipStream_tbPNSt15iterator_traitsISG_E10value_typeEPNSM_ISH_E10value_typeEPSI_NS1_7vsmem_tEENKUlT_SG_SH_SI_E_clIS7_S7_SB_PlEESF_SV_SG_SH_SI_EUlSV_E0_NS1_11comp_targetILNS1_3genE2ELNS1_11target_archE906ELNS1_3gpuE6ELNS1_3repE0EEENS1_38merge_mergepath_config_static_selectorELNS0_4arch9wavefront6targetE1EEEvSH_,@function
_ZN7rocprim17ROCPRIM_400000_NS6detail17trampoline_kernelINS0_14default_configENS1_38merge_sort_block_merge_config_selectorIhlEEZZNS1_27merge_sort_block_merge_implIS3_PhN6thrust23THRUST_200600_302600_NS10device_ptrIlEEjNS1_19radix_merge_compareILb0ELb0EhNS0_19identity_decomposerEEEEE10hipError_tT0_T1_T2_jT3_P12ihipStream_tbPNSt15iterator_traitsISG_E10value_typeEPNSM_ISH_E10value_typeEPSI_NS1_7vsmem_tEENKUlT_SG_SH_SI_E_clIS7_S7_SB_PlEESF_SV_SG_SH_SI_EUlSV_E0_NS1_11comp_targetILNS1_3genE2ELNS1_11target_archE906ELNS1_3gpuE6ELNS1_3repE0EEENS1_38merge_mergepath_config_static_selectorELNS0_4arch9wavefront6targetE1EEEvSH_: ; @_ZN7rocprim17ROCPRIM_400000_NS6detail17trampoline_kernelINS0_14default_configENS1_38merge_sort_block_merge_config_selectorIhlEEZZNS1_27merge_sort_block_merge_implIS3_PhN6thrust23THRUST_200600_302600_NS10device_ptrIlEEjNS1_19radix_merge_compareILb0ELb0EhNS0_19identity_decomposerEEEEE10hipError_tT0_T1_T2_jT3_P12ihipStream_tbPNSt15iterator_traitsISG_E10value_typeEPNSM_ISH_E10value_typeEPSI_NS1_7vsmem_tEENKUlT_SG_SH_SI_E_clIS7_S7_SB_PlEESF_SV_SG_SH_SI_EUlSV_E0_NS1_11comp_targetILNS1_3genE2ELNS1_11target_archE906ELNS1_3gpuE6ELNS1_3repE0EEENS1_38merge_mergepath_config_static_selectorELNS0_4arch9wavefront6targetE1EEEvSH_
; %bb.0:
	.section	.rodata,"a",@progbits
	.p2align	6, 0x0
	.amdhsa_kernel _ZN7rocprim17ROCPRIM_400000_NS6detail17trampoline_kernelINS0_14default_configENS1_38merge_sort_block_merge_config_selectorIhlEEZZNS1_27merge_sort_block_merge_implIS3_PhN6thrust23THRUST_200600_302600_NS10device_ptrIlEEjNS1_19radix_merge_compareILb0ELb0EhNS0_19identity_decomposerEEEEE10hipError_tT0_T1_T2_jT3_P12ihipStream_tbPNSt15iterator_traitsISG_E10value_typeEPNSM_ISH_E10value_typeEPSI_NS1_7vsmem_tEENKUlT_SG_SH_SI_E_clIS7_S7_SB_PlEESF_SV_SG_SH_SI_EUlSV_E0_NS1_11comp_targetILNS1_3genE2ELNS1_11target_archE906ELNS1_3gpuE6ELNS1_3repE0EEENS1_38merge_mergepath_config_static_selectorELNS0_4arch9wavefront6targetE1EEEvSH_
		.amdhsa_group_segment_fixed_size 0
		.amdhsa_private_segment_fixed_size 0
		.amdhsa_kernarg_size 64
		.amdhsa_user_sgpr_count 6
		.amdhsa_user_sgpr_private_segment_buffer 1
		.amdhsa_user_sgpr_dispatch_ptr 0
		.amdhsa_user_sgpr_queue_ptr 0
		.amdhsa_user_sgpr_kernarg_segment_ptr 1
		.amdhsa_user_sgpr_dispatch_id 0
		.amdhsa_user_sgpr_flat_scratch_init 0
		.amdhsa_user_sgpr_kernarg_preload_length 0
		.amdhsa_user_sgpr_kernarg_preload_offset 0
		.amdhsa_user_sgpr_private_segment_size 0
		.amdhsa_uses_dynamic_stack 0
		.amdhsa_system_sgpr_private_segment_wavefront_offset 0
		.amdhsa_system_sgpr_workgroup_id_x 1
		.amdhsa_system_sgpr_workgroup_id_y 0
		.amdhsa_system_sgpr_workgroup_id_z 0
		.amdhsa_system_sgpr_workgroup_info 0
		.amdhsa_system_vgpr_workitem_id 0
		.amdhsa_next_free_vgpr 1
		.amdhsa_next_free_sgpr 0
		.amdhsa_accum_offset 4
		.amdhsa_reserve_vcc 0
		.amdhsa_reserve_flat_scratch 0
		.amdhsa_float_round_mode_32 0
		.amdhsa_float_round_mode_16_64 0
		.amdhsa_float_denorm_mode_32 3
		.amdhsa_float_denorm_mode_16_64 3
		.amdhsa_dx10_clamp 1
		.amdhsa_ieee_mode 1
		.amdhsa_fp16_overflow 0
		.amdhsa_tg_split 0
		.amdhsa_exception_fp_ieee_invalid_op 0
		.amdhsa_exception_fp_denorm_src 0
		.amdhsa_exception_fp_ieee_div_zero 0
		.amdhsa_exception_fp_ieee_overflow 0
		.amdhsa_exception_fp_ieee_underflow 0
		.amdhsa_exception_fp_ieee_inexact 0
		.amdhsa_exception_int_div_zero 0
	.end_amdhsa_kernel
	.section	.text._ZN7rocprim17ROCPRIM_400000_NS6detail17trampoline_kernelINS0_14default_configENS1_38merge_sort_block_merge_config_selectorIhlEEZZNS1_27merge_sort_block_merge_implIS3_PhN6thrust23THRUST_200600_302600_NS10device_ptrIlEEjNS1_19radix_merge_compareILb0ELb0EhNS0_19identity_decomposerEEEEE10hipError_tT0_T1_T2_jT3_P12ihipStream_tbPNSt15iterator_traitsISG_E10value_typeEPNSM_ISH_E10value_typeEPSI_NS1_7vsmem_tEENKUlT_SG_SH_SI_E_clIS7_S7_SB_PlEESF_SV_SG_SH_SI_EUlSV_E0_NS1_11comp_targetILNS1_3genE2ELNS1_11target_archE906ELNS1_3gpuE6ELNS1_3repE0EEENS1_38merge_mergepath_config_static_selectorELNS0_4arch9wavefront6targetE1EEEvSH_,"axG",@progbits,_ZN7rocprim17ROCPRIM_400000_NS6detail17trampoline_kernelINS0_14default_configENS1_38merge_sort_block_merge_config_selectorIhlEEZZNS1_27merge_sort_block_merge_implIS3_PhN6thrust23THRUST_200600_302600_NS10device_ptrIlEEjNS1_19radix_merge_compareILb0ELb0EhNS0_19identity_decomposerEEEEE10hipError_tT0_T1_T2_jT3_P12ihipStream_tbPNSt15iterator_traitsISG_E10value_typeEPNSM_ISH_E10value_typeEPSI_NS1_7vsmem_tEENKUlT_SG_SH_SI_E_clIS7_S7_SB_PlEESF_SV_SG_SH_SI_EUlSV_E0_NS1_11comp_targetILNS1_3genE2ELNS1_11target_archE906ELNS1_3gpuE6ELNS1_3repE0EEENS1_38merge_mergepath_config_static_selectorELNS0_4arch9wavefront6targetE1EEEvSH_,comdat
.Lfunc_end161:
	.size	_ZN7rocprim17ROCPRIM_400000_NS6detail17trampoline_kernelINS0_14default_configENS1_38merge_sort_block_merge_config_selectorIhlEEZZNS1_27merge_sort_block_merge_implIS3_PhN6thrust23THRUST_200600_302600_NS10device_ptrIlEEjNS1_19radix_merge_compareILb0ELb0EhNS0_19identity_decomposerEEEEE10hipError_tT0_T1_T2_jT3_P12ihipStream_tbPNSt15iterator_traitsISG_E10value_typeEPNSM_ISH_E10value_typeEPSI_NS1_7vsmem_tEENKUlT_SG_SH_SI_E_clIS7_S7_SB_PlEESF_SV_SG_SH_SI_EUlSV_E0_NS1_11comp_targetILNS1_3genE2ELNS1_11target_archE906ELNS1_3gpuE6ELNS1_3repE0EEENS1_38merge_mergepath_config_static_selectorELNS0_4arch9wavefront6targetE1EEEvSH_, .Lfunc_end161-_ZN7rocprim17ROCPRIM_400000_NS6detail17trampoline_kernelINS0_14default_configENS1_38merge_sort_block_merge_config_selectorIhlEEZZNS1_27merge_sort_block_merge_implIS3_PhN6thrust23THRUST_200600_302600_NS10device_ptrIlEEjNS1_19radix_merge_compareILb0ELb0EhNS0_19identity_decomposerEEEEE10hipError_tT0_T1_T2_jT3_P12ihipStream_tbPNSt15iterator_traitsISG_E10value_typeEPNSM_ISH_E10value_typeEPSI_NS1_7vsmem_tEENKUlT_SG_SH_SI_E_clIS7_S7_SB_PlEESF_SV_SG_SH_SI_EUlSV_E0_NS1_11comp_targetILNS1_3genE2ELNS1_11target_archE906ELNS1_3gpuE6ELNS1_3repE0EEENS1_38merge_mergepath_config_static_selectorELNS0_4arch9wavefront6targetE1EEEvSH_
                                        ; -- End function
	.section	.AMDGPU.csdata,"",@progbits
; Kernel info:
; codeLenInByte = 0
; NumSgprs: 4
; NumVgprs: 0
; NumAgprs: 0
; TotalNumVgprs: 0
; ScratchSize: 0
; MemoryBound: 0
; FloatMode: 240
; IeeeMode: 1
; LDSByteSize: 0 bytes/workgroup (compile time only)
; SGPRBlocks: 0
; VGPRBlocks: 0
; NumSGPRsForWavesPerEU: 4
; NumVGPRsForWavesPerEU: 1
; AccumOffset: 4
; Occupancy: 8
; WaveLimiterHint : 0
; COMPUTE_PGM_RSRC2:SCRATCH_EN: 0
; COMPUTE_PGM_RSRC2:USER_SGPR: 6
; COMPUTE_PGM_RSRC2:TRAP_HANDLER: 0
; COMPUTE_PGM_RSRC2:TGID_X_EN: 1
; COMPUTE_PGM_RSRC2:TGID_Y_EN: 0
; COMPUTE_PGM_RSRC2:TGID_Z_EN: 0
; COMPUTE_PGM_RSRC2:TIDIG_COMP_CNT: 0
; COMPUTE_PGM_RSRC3_GFX90A:ACCUM_OFFSET: 0
; COMPUTE_PGM_RSRC3_GFX90A:TG_SPLIT: 0
	.section	.text._ZN7rocprim17ROCPRIM_400000_NS6detail17trampoline_kernelINS0_14default_configENS1_38merge_sort_block_merge_config_selectorIhlEEZZNS1_27merge_sort_block_merge_implIS3_PhN6thrust23THRUST_200600_302600_NS10device_ptrIlEEjNS1_19radix_merge_compareILb0ELb0EhNS0_19identity_decomposerEEEEE10hipError_tT0_T1_T2_jT3_P12ihipStream_tbPNSt15iterator_traitsISG_E10value_typeEPNSM_ISH_E10value_typeEPSI_NS1_7vsmem_tEENKUlT_SG_SH_SI_E_clIS7_S7_SB_PlEESF_SV_SG_SH_SI_EUlSV_E0_NS1_11comp_targetILNS1_3genE9ELNS1_11target_archE1100ELNS1_3gpuE3ELNS1_3repE0EEENS1_38merge_mergepath_config_static_selectorELNS0_4arch9wavefront6targetE1EEEvSH_,"axG",@progbits,_ZN7rocprim17ROCPRIM_400000_NS6detail17trampoline_kernelINS0_14default_configENS1_38merge_sort_block_merge_config_selectorIhlEEZZNS1_27merge_sort_block_merge_implIS3_PhN6thrust23THRUST_200600_302600_NS10device_ptrIlEEjNS1_19radix_merge_compareILb0ELb0EhNS0_19identity_decomposerEEEEE10hipError_tT0_T1_T2_jT3_P12ihipStream_tbPNSt15iterator_traitsISG_E10value_typeEPNSM_ISH_E10value_typeEPSI_NS1_7vsmem_tEENKUlT_SG_SH_SI_E_clIS7_S7_SB_PlEESF_SV_SG_SH_SI_EUlSV_E0_NS1_11comp_targetILNS1_3genE9ELNS1_11target_archE1100ELNS1_3gpuE3ELNS1_3repE0EEENS1_38merge_mergepath_config_static_selectorELNS0_4arch9wavefront6targetE1EEEvSH_,comdat
	.protected	_ZN7rocprim17ROCPRIM_400000_NS6detail17trampoline_kernelINS0_14default_configENS1_38merge_sort_block_merge_config_selectorIhlEEZZNS1_27merge_sort_block_merge_implIS3_PhN6thrust23THRUST_200600_302600_NS10device_ptrIlEEjNS1_19radix_merge_compareILb0ELb0EhNS0_19identity_decomposerEEEEE10hipError_tT0_T1_T2_jT3_P12ihipStream_tbPNSt15iterator_traitsISG_E10value_typeEPNSM_ISH_E10value_typeEPSI_NS1_7vsmem_tEENKUlT_SG_SH_SI_E_clIS7_S7_SB_PlEESF_SV_SG_SH_SI_EUlSV_E0_NS1_11comp_targetILNS1_3genE9ELNS1_11target_archE1100ELNS1_3gpuE3ELNS1_3repE0EEENS1_38merge_mergepath_config_static_selectorELNS0_4arch9wavefront6targetE1EEEvSH_ ; -- Begin function _ZN7rocprim17ROCPRIM_400000_NS6detail17trampoline_kernelINS0_14default_configENS1_38merge_sort_block_merge_config_selectorIhlEEZZNS1_27merge_sort_block_merge_implIS3_PhN6thrust23THRUST_200600_302600_NS10device_ptrIlEEjNS1_19radix_merge_compareILb0ELb0EhNS0_19identity_decomposerEEEEE10hipError_tT0_T1_T2_jT3_P12ihipStream_tbPNSt15iterator_traitsISG_E10value_typeEPNSM_ISH_E10value_typeEPSI_NS1_7vsmem_tEENKUlT_SG_SH_SI_E_clIS7_S7_SB_PlEESF_SV_SG_SH_SI_EUlSV_E0_NS1_11comp_targetILNS1_3genE9ELNS1_11target_archE1100ELNS1_3gpuE3ELNS1_3repE0EEENS1_38merge_mergepath_config_static_selectorELNS0_4arch9wavefront6targetE1EEEvSH_
	.globl	_ZN7rocprim17ROCPRIM_400000_NS6detail17trampoline_kernelINS0_14default_configENS1_38merge_sort_block_merge_config_selectorIhlEEZZNS1_27merge_sort_block_merge_implIS3_PhN6thrust23THRUST_200600_302600_NS10device_ptrIlEEjNS1_19radix_merge_compareILb0ELb0EhNS0_19identity_decomposerEEEEE10hipError_tT0_T1_T2_jT3_P12ihipStream_tbPNSt15iterator_traitsISG_E10value_typeEPNSM_ISH_E10value_typeEPSI_NS1_7vsmem_tEENKUlT_SG_SH_SI_E_clIS7_S7_SB_PlEESF_SV_SG_SH_SI_EUlSV_E0_NS1_11comp_targetILNS1_3genE9ELNS1_11target_archE1100ELNS1_3gpuE3ELNS1_3repE0EEENS1_38merge_mergepath_config_static_selectorELNS0_4arch9wavefront6targetE1EEEvSH_
	.p2align	8
	.type	_ZN7rocprim17ROCPRIM_400000_NS6detail17trampoline_kernelINS0_14default_configENS1_38merge_sort_block_merge_config_selectorIhlEEZZNS1_27merge_sort_block_merge_implIS3_PhN6thrust23THRUST_200600_302600_NS10device_ptrIlEEjNS1_19radix_merge_compareILb0ELb0EhNS0_19identity_decomposerEEEEE10hipError_tT0_T1_T2_jT3_P12ihipStream_tbPNSt15iterator_traitsISG_E10value_typeEPNSM_ISH_E10value_typeEPSI_NS1_7vsmem_tEENKUlT_SG_SH_SI_E_clIS7_S7_SB_PlEESF_SV_SG_SH_SI_EUlSV_E0_NS1_11comp_targetILNS1_3genE9ELNS1_11target_archE1100ELNS1_3gpuE3ELNS1_3repE0EEENS1_38merge_mergepath_config_static_selectorELNS0_4arch9wavefront6targetE1EEEvSH_,@function
_ZN7rocprim17ROCPRIM_400000_NS6detail17trampoline_kernelINS0_14default_configENS1_38merge_sort_block_merge_config_selectorIhlEEZZNS1_27merge_sort_block_merge_implIS3_PhN6thrust23THRUST_200600_302600_NS10device_ptrIlEEjNS1_19radix_merge_compareILb0ELb0EhNS0_19identity_decomposerEEEEE10hipError_tT0_T1_T2_jT3_P12ihipStream_tbPNSt15iterator_traitsISG_E10value_typeEPNSM_ISH_E10value_typeEPSI_NS1_7vsmem_tEENKUlT_SG_SH_SI_E_clIS7_S7_SB_PlEESF_SV_SG_SH_SI_EUlSV_E0_NS1_11comp_targetILNS1_3genE9ELNS1_11target_archE1100ELNS1_3gpuE3ELNS1_3repE0EEENS1_38merge_mergepath_config_static_selectorELNS0_4arch9wavefront6targetE1EEEvSH_: ; @_ZN7rocprim17ROCPRIM_400000_NS6detail17trampoline_kernelINS0_14default_configENS1_38merge_sort_block_merge_config_selectorIhlEEZZNS1_27merge_sort_block_merge_implIS3_PhN6thrust23THRUST_200600_302600_NS10device_ptrIlEEjNS1_19radix_merge_compareILb0ELb0EhNS0_19identity_decomposerEEEEE10hipError_tT0_T1_T2_jT3_P12ihipStream_tbPNSt15iterator_traitsISG_E10value_typeEPNSM_ISH_E10value_typeEPSI_NS1_7vsmem_tEENKUlT_SG_SH_SI_E_clIS7_S7_SB_PlEESF_SV_SG_SH_SI_EUlSV_E0_NS1_11comp_targetILNS1_3genE9ELNS1_11target_archE1100ELNS1_3gpuE3ELNS1_3repE0EEENS1_38merge_mergepath_config_static_selectorELNS0_4arch9wavefront6targetE1EEEvSH_
; %bb.0:
	.section	.rodata,"a",@progbits
	.p2align	6, 0x0
	.amdhsa_kernel _ZN7rocprim17ROCPRIM_400000_NS6detail17trampoline_kernelINS0_14default_configENS1_38merge_sort_block_merge_config_selectorIhlEEZZNS1_27merge_sort_block_merge_implIS3_PhN6thrust23THRUST_200600_302600_NS10device_ptrIlEEjNS1_19radix_merge_compareILb0ELb0EhNS0_19identity_decomposerEEEEE10hipError_tT0_T1_T2_jT3_P12ihipStream_tbPNSt15iterator_traitsISG_E10value_typeEPNSM_ISH_E10value_typeEPSI_NS1_7vsmem_tEENKUlT_SG_SH_SI_E_clIS7_S7_SB_PlEESF_SV_SG_SH_SI_EUlSV_E0_NS1_11comp_targetILNS1_3genE9ELNS1_11target_archE1100ELNS1_3gpuE3ELNS1_3repE0EEENS1_38merge_mergepath_config_static_selectorELNS0_4arch9wavefront6targetE1EEEvSH_
		.amdhsa_group_segment_fixed_size 0
		.amdhsa_private_segment_fixed_size 0
		.amdhsa_kernarg_size 64
		.amdhsa_user_sgpr_count 6
		.amdhsa_user_sgpr_private_segment_buffer 1
		.amdhsa_user_sgpr_dispatch_ptr 0
		.amdhsa_user_sgpr_queue_ptr 0
		.amdhsa_user_sgpr_kernarg_segment_ptr 1
		.amdhsa_user_sgpr_dispatch_id 0
		.amdhsa_user_sgpr_flat_scratch_init 0
		.amdhsa_user_sgpr_kernarg_preload_length 0
		.amdhsa_user_sgpr_kernarg_preload_offset 0
		.amdhsa_user_sgpr_private_segment_size 0
		.amdhsa_uses_dynamic_stack 0
		.amdhsa_system_sgpr_private_segment_wavefront_offset 0
		.amdhsa_system_sgpr_workgroup_id_x 1
		.amdhsa_system_sgpr_workgroup_id_y 0
		.amdhsa_system_sgpr_workgroup_id_z 0
		.amdhsa_system_sgpr_workgroup_info 0
		.amdhsa_system_vgpr_workitem_id 0
		.amdhsa_next_free_vgpr 1
		.amdhsa_next_free_sgpr 0
		.amdhsa_accum_offset 4
		.amdhsa_reserve_vcc 0
		.amdhsa_reserve_flat_scratch 0
		.amdhsa_float_round_mode_32 0
		.amdhsa_float_round_mode_16_64 0
		.amdhsa_float_denorm_mode_32 3
		.amdhsa_float_denorm_mode_16_64 3
		.amdhsa_dx10_clamp 1
		.amdhsa_ieee_mode 1
		.amdhsa_fp16_overflow 0
		.amdhsa_tg_split 0
		.amdhsa_exception_fp_ieee_invalid_op 0
		.amdhsa_exception_fp_denorm_src 0
		.amdhsa_exception_fp_ieee_div_zero 0
		.amdhsa_exception_fp_ieee_overflow 0
		.amdhsa_exception_fp_ieee_underflow 0
		.amdhsa_exception_fp_ieee_inexact 0
		.amdhsa_exception_int_div_zero 0
	.end_amdhsa_kernel
	.section	.text._ZN7rocprim17ROCPRIM_400000_NS6detail17trampoline_kernelINS0_14default_configENS1_38merge_sort_block_merge_config_selectorIhlEEZZNS1_27merge_sort_block_merge_implIS3_PhN6thrust23THRUST_200600_302600_NS10device_ptrIlEEjNS1_19radix_merge_compareILb0ELb0EhNS0_19identity_decomposerEEEEE10hipError_tT0_T1_T2_jT3_P12ihipStream_tbPNSt15iterator_traitsISG_E10value_typeEPNSM_ISH_E10value_typeEPSI_NS1_7vsmem_tEENKUlT_SG_SH_SI_E_clIS7_S7_SB_PlEESF_SV_SG_SH_SI_EUlSV_E0_NS1_11comp_targetILNS1_3genE9ELNS1_11target_archE1100ELNS1_3gpuE3ELNS1_3repE0EEENS1_38merge_mergepath_config_static_selectorELNS0_4arch9wavefront6targetE1EEEvSH_,"axG",@progbits,_ZN7rocprim17ROCPRIM_400000_NS6detail17trampoline_kernelINS0_14default_configENS1_38merge_sort_block_merge_config_selectorIhlEEZZNS1_27merge_sort_block_merge_implIS3_PhN6thrust23THRUST_200600_302600_NS10device_ptrIlEEjNS1_19radix_merge_compareILb0ELb0EhNS0_19identity_decomposerEEEEE10hipError_tT0_T1_T2_jT3_P12ihipStream_tbPNSt15iterator_traitsISG_E10value_typeEPNSM_ISH_E10value_typeEPSI_NS1_7vsmem_tEENKUlT_SG_SH_SI_E_clIS7_S7_SB_PlEESF_SV_SG_SH_SI_EUlSV_E0_NS1_11comp_targetILNS1_3genE9ELNS1_11target_archE1100ELNS1_3gpuE3ELNS1_3repE0EEENS1_38merge_mergepath_config_static_selectorELNS0_4arch9wavefront6targetE1EEEvSH_,comdat
.Lfunc_end162:
	.size	_ZN7rocprim17ROCPRIM_400000_NS6detail17trampoline_kernelINS0_14default_configENS1_38merge_sort_block_merge_config_selectorIhlEEZZNS1_27merge_sort_block_merge_implIS3_PhN6thrust23THRUST_200600_302600_NS10device_ptrIlEEjNS1_19radix_merge_compareILb0ELb0EhNS0_19identity_decomposerEEEEE10hipError_tT0_T1_T2_jT3_P12ihipStream_tbPNSt15iterator_traitsISG_E10value_typeEPNSM_ISH_E10value_typeEPSI_NS1_7vsmem_tEENKUlT_SG_SH_SI_E_clIS7_S7_SB_PlEESF_SV_SG_SH_SI_EUlSV_E0_NS1_11comp_targetILNS1_3genE9ELNS1_11target_archE1100ELNS1_3gpuE3ELNS1_3repE0EEENS1_38merge_mergepath_config_static_selectorELNS0_4arch9wavefront6targetE1EEEvSH_, .Lfunc_end162-_ZN7rocprim17ROCPRIM_400000_NS6detail17trampoline_kernelINS0_14default_configENS1_38merge_sort_block_merge_config_selectorIhlEEZZNS1_27merge_sort_block_merge_implIS3_PhN6thrust23THRUST_200600_302600_NS10device_ptrIlEEjNS1_19radix_merge_compareILb0ELb0EhNS0_19identity_decomposerEEEEE10hipError_tT0_T1_T2_jT3_P12ihipStream_tbPNSt15iterator_traitsISG_E10value_typeEPNSM_ISH_E10value_typeEPSI_NS1_7vsmem_tEENKUlT_SG_SH_SI_E_clIS7_S7_SB_PlEESF_SV_SG_SH_SI_EUlSV_E0_NS1_11comp_targetILNS1_3genE9ELNS1_11target_archE1100ELNS1_3gpuE3ELNS1_3repE0EEENS1_38merge_mergepath_config_static_selectorELNS0_4arch9wavefront6targetE1EEEvSH_
                                        ; -- End function
	.section	.AMDGPU.csdata,"",@progbits
; Kernel info:
; codeLenInByte = 0
; NumSgprs: 4
; NumVgprs: 0
; NumAgprs: 0
; TotalNumVgprs: 0
; ScratchSize: 0
; MemoryBound: 0
; FloatMode: 240
; IeeeMode: 1
; LDSByteSize: 0 bytes/workgroup (compile time only)
; SGPRBlocks: 0
; VGPRBlocks: 0
; NumSGPRsForWavesPerEU: 4
; NumVGPRsForWavesPerEU: 1
; AccumOffset: 4
; Occupancy: 8
; WaveLimiterHint : 0
; COMPUTE_PGM_RSRC2:SCRATCH_EN: 0
; COMPUTE_PGM_RSRC2:USER_SGPR: 6
; COMPUTE_PGM_RSRC2:TRAP_HANDLER: 0
; COMPUTE_PGM_RSRC2:TGID_X_EN: 1
; COMPUTE_PGM_RSRC2:TGID_Y_EN: 0
; COMPUTE_PGM_RSRC2:TGID_Z_EN: 0
; COMPUTE_PGM_RSRC2:TIDIG_COMP_CNT: 0
; COMPUTE_PGM_RSRC3_GFX90A:ACCUM_OFFSET: 0
; COMPUTE_PGM_RSRC3_GFX90A:TG_SPLIT: 0
	.section	.text._ZN7rocprim17ROCPRIM_400000_NS6detail17trampoline_kernelINS0_14default_configENS1_38merge_sort_block_merge_config_selectorIhlEEZZNS1_27merge_sort_block_merge_implIS3_PhN6thrust23THRUST_200600_302600_NS10device_ptrIlEEjNS1_19radix_merge_compareILb0ELb0EhNS0_19identity_decomposerEEEEE10hipError_tT0_T1_T2_jT3_P12ihipStream_tbPNSt15iterator_traitsISG_E10value_typeEPNSM_ISH_E10value_typeEPSI_NS1_7vsmem_tEENKUlT_SG_SH_SI_E_clIS7_S7_SB_PlEESF_SV_SG_SH_SI_EUlSV_E0_NS1_11comp_targetILNS1_3genE8ELNS1_11target_archE1030ELNS1_3gpuE2ELNS1_3repE0EEENS1_38merge_mergepath_config_static_selectorELNS0_4arch9wavefront6targetE1EEEvSH_,"axG",@progbits,_ZN7rocprim17ROCPRIM_400000_NS6detail17trampoline_kernelINS0_14default_configENS1_38merge_sort_block_merge_config_selectorIhlEEZZNS1_27merge_sort_block_merge_implIS3_PhN6thrust23THRUST_200600_302600_NS10device_ptrIlEEjNS1_19radix_merge_compareILb0ELb0EhNS0_19identity_decomposerEEEEE10hipError_tT0_T1_T2_jT3_P12ihipStream_tbPNSt15iterator_traitsISG_E10value_typeEPNSM_ISH_E10value_typeEPSI_NS1_7vsmem_tEENKUlT_SG_SH_SI_E_clIS7_S7_SB_PlEESF_SV_SG_SH_SI_EUlSV_E0_NS1_11comp_targetILNS1_3genE8ELNS1_11target_archE1030ELNS1_3gpuE2ELNS1_3repE0EEENS1_38merge_mergepath_config_static_selectorELNS0_4arch9wavefront6targetE1EEEvSH_,comdat
	.protected	_ZN7rocprim17ROCPRIM_400000_NS6detail17trampoline_kernelINS0_14default_configENS1_38merge_sort_block_merge_config_selectorIhlEEZZNS1_27merge_sort_block_merge_implIS3_PhN6thrust23THRUST_200600_302600_NS10device_ptrIlEEjNS1_19radix_merge_compareILb0ELb0EhNS0_19identity_decomposerEEEEE10hipError_tT0_T1_T2_jT3_P12ihipStream_tbPNSt15iterator_traitsISG_E10value_typeEPNSM_ISH_E10value_typeEPSI_NS1_7vsmem_tEENKUlT_SG_SH_SI_E_clIS7_S7_SB_PlEESF_SV_SG_SH_SI_EUlSV_E0_NS1_11comp_targetILNS1_3genE8ELNS1_11target_archE1030ELNS1_3gpuE2ELNS1_3repE0EEENS1_38merge_mergepath_config_static_selectorELNS0_4arch9wavefront6targetE1EEEvSH_ ; -- Begin function _ZN7rocprim17ROCPRIM_400000_NS6detail17trampoline_kernelINS0_14default_configENS1_38merge_sort_block_merge_config_selectorIhlEEZZNS1_27merge_sort_block_merge_implIS3_PhN6thrust23THRUST_200600_302600_NS10device_ptrIlEEjNS1_19radix_merge_compareILb0ELb0EhNS0_19identity_decomposerEEEEE10hipError_tT0_T1_T2_jT3_P12ihipStream_tbPNSt15iterator_traitsISG_E10value_typeEPNSM_ISH_E10value_typeEPSI_NS1_7vsmem_tEENKUlT_SG_SH_SI_E_clIS7_S7_SB_PlEESF_SV_SG_SH_SI_EUlSV_E0_NS1_11comp_targetILNS1_3genE8ELNS1_11target_archE1030ELNS1_3gpuE2ELNS1_3repE0EEENS1_38merge_mergepath_config_static_selectorELNS0_4arch9wavefront6targetE1EEEvSH_
	.globl	_ZN7rocprim17ROCPRIM_400000_NS6detail17trampoline_kernelINS0_14default_configENS1_38merge_sort_block_merge_config_selectorIhlEEZZNS1_27merge_sort_block_merge_implIS3_PhN6thrust23THRUST_200600_302600_NS10device_ptrIlEEjNS1_19radix_merge_compareILb0ELb0EhNS0_19identity_decomposerEEEEE10hipError_tT0_T1_T2_jT3_P12ihipStream_tbPNSt15iterator_traitsISG_E10value_typeEPNSM_ISH_E10value_typeEPSI_NS1_7vsmem_tEENKUlT_SG_SH_SI_E_clIS7_S7_SB_PlEESF_SV_SG_SH_SI_EUlSV_E0_NS1_11comp_targetILNS1_3genE8ELNS1_11target_archE1030ELNS1_3gpuE2ELNS1_3repE0EEENS1_38merge_mergepath_config_static_selectorELNS0_4arch9wavefront6targetE1EEEvSH_
	.p2align	8
	.type	_ZN7rocprim17ROCPRIM_400000_NS6detail17trampoline_kernelINS0_14default_configENS1_38merge_sort_block_merge_config_selectorIhlEEZZNS1_27merge_sort_block_merge_implIS3_PhN6thrust23THRUST_200600_302600_NS10device_ptrIlEEjNS1_19radix_merge_compareILb0ELb0EhNS0_19identity_decomposerEEEEE10hipError_tT0_T1_T2_jT3_P12ihipStream_tbPNSt15iterator_traitsISG_E10value_typeEPNSM_ISH_E10value_typeEPSI_NS1_7vsmem_tEENKUlT_SG_SH_SI_E_clIS7_S7_SB_PlEESF_SV_SG_SH_SI_EUlSV_E0_NS1_11comp_targetILNS1_3genE8ELNS1_11target_archE1030ELNS1_3gpuE2ELNS1_3repE0EEENS1_38merge_mergepath_config_static_selectorELNS0_4arch9wavefront6targetE1EEEvSH_,@function
_ZN7rocprim17ROCPRIM_400000_NS6detail17trampoline_kernelINS0_14default_configENS1_38merge_sort_block_merge_config_selectorIhlEEZZNS1_27merge_sort_block_merge_implIS3_PhN6thrust23THRUST_200600_302600_NS10device_ptrIlEEjNS1_19radix_merge_compareILb0ELb0EhNS0_19identity_decomposerEEEEE10hipError_tT0_T1_T2_jT3_P12ihipStream_tbPNSt15iterator_traitsISG_E10value_typeEPNSM_ISH_E10value_typeEPSI_NS1_7vsmem_tEENKUlT_SG_SH_SI_E_clIS7_S7_SB_PlEESF_SV_SG_SH_SI_EUlSV_E0_NS1_11comp_targetILNS1_3genE8ELNS1_11target_archE1030ELNS1_3gpuE2ELNS1_3repE0EEENS1_38merge_mergepath_config_static_selectorELNS0_4arch9wavefront6targetE1EEEvSH_: ; @_ZN7rocprim17ROCPRIM_400000_NS6detail17trampoline_kernelINS0_14default_configENS1_38merge_sort_block_merge_config_selectorIhlEEZZNS1_27merge_sort_block_merge_implIS3_PhN6thrust23THRUST_200600_302600_NS10device_ptrIlEEjNS1_19radix_merge_compareILb0ELb0EhNS0_19identity_decomposerEEEEE10hipError_tT0_T1_T2_jT3_P12ihipStream_tbPNSt15iterator_traitsISG_E10value_typeEPNSM_ISH_E10value_typeEPSI_NS1_7vsmem_tEENKUlT_SG_SH_SI_E_clIS7_S7_SB_PlEESF_SV_SG_SH_SI_EUlSV_E0_NS1_11comp_targetILNS1_3genE8ELNS1_11target_archE1030ELNS1_3gpuE2ELNS1_3repE0EEENS1_38merge_mergepath_config_static_selectorELNS0_4arch9wavefront6targetE1EEEvSH_
; %bb.0:
	.section	.rodata,"a",@progbits
	.p2align	6, 0x0
	.amdhsa_kernel _ZN7rocprim17ROCPRIM_400000_NS6detail17trampoline_kernelINS0_14default_configENS1_38merge_sort_block_merge_config_selectorIhlEEZZNS1_27merge_sort_block_merge_implIS3_PhN6thrust23THRUST_200600_302600_NS10device_ptrIlEEjNS1_19radix_merge_compareILb0ELb0EhNS0_19identity_decomposerEEEEE10hipError_tT0_T1_T2_jT3_P12ihipStream_tbPNSt15iterator_traitsISG_E10value_typeEPNSM_ISH_E10value_typeEPSI_NS1_7vsmem_tEENKUlT_SG_SH_SI_E_clIS7_S7_SB_PlEESF_SV_SG_SH_SI_EUlSV_E0_NS1_11comp_targetILNS1_3genE8ELNS1_11target_archE1030ELNS1_3gpuE2ELNS1_3repE0EEENS1_38merge_mergepath_config_static_selectorELNS0_4arch9wavefront6targetE1EEEvSH_
		.amdhsa_group_segment_fixed_size 0
		.amdhsa_private_segment_fixed_size 0
		.amdhsa_kernarg_size 64
		.amdhsa_user_sgpr_count 6
		.amdhsa_user_sgpr_private_segment_buffer 1
		.amdhsa_user_sgpr_dispatch_ptr 0
		.amdhsa_user_sgpr_queue_ptr 0
		.amdhsa_user_sgpr_kernarg_segment_ptr 1
		.amdhsa_user_sgpr_dispatch_id 0
		.amdhsa_user_sgpr_flat_scratch_init 0
		.amdhsa_user_sgpr_kernarg_preload_length 0
		.amdhsa_user_sgpr_kernarg_preload_offset 0
		.amdhsa_user_sgpr_private_segment_size 0
		.amdhsa_uses_dynamic_stack 0
		.amdhsa_system_sgpr_private_segment_wavefront_offset 0
		.amdhsa_system_sgpr_workgroup_id_x 1
		.amdhsa_system_sgpr_workgroup_id_y 0
		.amdhsa_system_sgpr_workgroup_id_z 0
		.amdhsa_system_sgpr_workgroup_info 0
		.amdhsa_system_vgpr_workitem_id 0
		.amdhsa_next_free_vgpr 1
		.amdhsa_next_free_sgpr 0
		.amdhsa_accum_offset 4
		.amdhsa_reserve_vcc 0
		.amdhsa_reserve_flat_scratch 0
		.amdhsa_float_round_mode_32 0
		.amdhsa_float_round_mode_16_64 0
		.amdhsa_float_denorm_mode_32 3
		.amdhsa_float_denorm_mode_16_64 3
		.amdhsa_dx10_clamp 1
		.amdhsa_ieee_mode 1
		.amdhsa_fp16_overflow 0
		.amdhsa_tg_split 0
		.amdhsa_exception_fp_ieee_invalid_op 0
		.amdhsa_exception_fp_denorm_src 0
		.amdhsa_exception_fp_ieee_div_zero 0
		.amdhsa_exception_fp_ieee_overflow 0
		.amdhsa_exception_fp_ieee_underflow 0
		.amdhsa_exception_fp_ieee_inexact 0
		.amdhsa_exception_int_div_zero 0
	.end_amdhsa_kernel
	.section	.text._ZN7rocprim17ROCPRIM_400000_NS6detail17trampoline_kernelINS0_14default_configENS1_38merge_sort_block_merge_config_selectorIhlEEZZNS1_27merge_sort_block_merge_implIS3_PhN6thrust23THRUST_200600_302600_NS10device_ptrIlEEjNS1_19radix_merge_compareILb0ELb0EhNS0_19identity_decomposerEEEEE10hipError_tT0_T1_T2_jT3_P12ihipStream_tbPNSt15iterator_traitsISG_E10value_typeEPNSM_ISH_E10value_typeEPSI_NS1_7vsmem_tEENKUlT_SG_SH_SI_E_clIS7_S7_SB_PlEESF_SV_SG_SH_SI_EUlSV_E0_NS1_11comp_targetILNS1_3genE8ELNS1_11target_archE1030ELNS1_3gpuE2ELNS1_3repE0EEENS1_38merge_mergepath_config_static_selectorELNS0_4arch9wavefront6targetE1EEEvSH_,"axG",@progbits,_ZN7rocprim17ROCPRIM_400000_NS6detail17trampoline_kernelINS0_14default_configENS1_38merge_sort_block_merge_config_selectorIhlEEZZNS1_27merge_sort_block_merge_implIS3_PhN6thrust23THRUST_200600_302600_NS10device_ptrIlEEjNS1_19radix_merge_compareILb0ELb0EhNS0_19identity_decomposerEEEEE10hipError_tT0_T1_T2_jT3_P12ihipStream_tbPNSt15iterator_traitsISG_E10value_typeEPNSM_ISH_E10value_typeEPSI_NS1_7vsmem_tEENKUlT_SG_SH_SI_E_clIS7_S7_SB_PlEESF_SV_SG_SH_SI_EUlSV_E0_NS1_11comp_targetILNS1_3genE8ELNS1_11target_archE1030ELNS1_3gpuE2ELNS1_3repE0EEENS1_38merge_mergepath_config_static_selectorELNS0_4arch9wavefront6targetE1EEEvSH_,comdat
.Lfunc_end163:
	.size	_ZN7rocprim17ROCPRIM_400000_NS6detail17trampoline_kernelINS0_14default_configENS1_38merge_sort_block_merge_config_selectorIhlEEZZNS1_27merge_sort_block_merge_implIS3_PhN6thrust23THRUST_200600_302600_NS10device_ptrIlEEjNS1_19radix_merge_compareILb0ELb0EhNS0_19identity_decomposerEEEEE10hipError_tT0_T1_T2_jT3_P12ihipStream_tbPNSt15iterator_traitsISG_E10value_typeEPNSM_ISH_E10value_typeEPSI_NS1_7vsmem_tEENKUlT_SG_SH_SI_E_clIS7_S7_SB_PlEESF_SV_SG_SH_SI_EUlSV_E0_NS1_11comp_targetILNS1_3genE8ELNS1_11target_archE1030ELNS1_3gpuE2ELNS1_3repE0EEENS1_38merge_mergepath_config_static_selectorELNS0_4arch9wavefront6targetE1EEEvSH_, .Lfunc_end163-_ZN7rocprim17ROCPRIM_400000_NS6detail17trampoline_kernelINS0_14default_configENS1_38merge_sort_block_merge_config_selectorIhlEEZZNS1_27merge_sort_block_merge_implIS3_PhN6thrust23THRUST_200600_302600_NS10device_ptrIlEEjNS1_19radix_merge_compareILb0ELb0EhNS0_19identity_decomposerEEEEE10hipError_tT0_T1_T2_jT3_P12ihipStream_tbPNSt15iterator_traitsISG_E10value_typeEPNSM_ISH_E10value_typeEPSI_NS1_7vsmem_tEENKUlT_SG_SH_SI_E_clIS7_S7_SB_PlEESF_SV_SG_SH_SI_EUlSV_E0_NS1_11comp_targetILNS1_3genE8ELNS1_11target_archE1030ELNS1_3gpuE2ELNS1_3repE0EEENS1_38merge_mergepath_config_static_selectorELNS0_4arch9wavefront6targetE1EEEvSH_
                                        ; -- End function
	.section	.AMDGPU.csdata,"",@progbits
; Kernel info:
; codeLenInByte = 0
; NumSgprs: 4
; NumVgprs: 0
; NumAgprs: 0
; TotalNumVgprs: 0
; ScratchSize: 0
; MemoryBound: 0
; FloatMode: 240
; IeeeMode: 1
; LDSByteSize: 0 bytes/workgroup (compile time only)
; SGPRBlocks: 0
; VGPRBlocks: 0
; NumSGPRsForWavesPerEU: 4
; NumVGPRsForWavesPerEU: 1
; AccumOffset: 4
; Occupancy: 8
; WaveLimiterHint : 0
; COMPUTE_PGM_RSRC2:SCRATCH_EN: 0
; COMPUTE_PGM_RSRC2:USER_SGPR: 6
; COMPUTE_PGM_RSRC2:TRAP_HANDLER: 0
; COMPUTE_PGM_RSRC2:TGID_X_EN: 1
; COMPUTE_PGM_RSRC2:TGID_Y_EN: 0
; COMPUTE_PGM_RSRC2:TGID_Z_EN: 0
; COMPUTE_PGM_RSRC2:TIDIG_COMP_CNT: 0
; COMPUTE_PGM_RSRC3_GFX90A:ACCUM_OFFSET: 0
; COMPUTE_PGM_RSRC3_GFX90A:TG_SPLIT: 0
	.section	.text._ZN7rocprim17ROCPRIM_400000_NS6detail17trampoline_kernelINS0_14default_configENS1_38merge_sort_block_merge_config_selectorIhlEEZZNS1_27merge_sort_block_merge_implIS3_PhN6thrust23THRUST_200600_302600_NS10device_ptrIlEEjNS1_19radix_merge_compareILb0ELb0EhNS0_19identity_decomposerEEEEE10hipError_tT0_T1_T2_jT3_P12ihipStream_tbPNSt15iterator_traitsISG_E10value_typeEPNSM_ISH_E10value_typeEPSI_NS1_7vsmem_tEENKUlT_SG_SH_SI_E_clIS7_S7_SB_PlEESF_SV_SG_SH_SI_EUlSV_E1_NS1_11comp_targetILNS1_3genE0ELNS1_11target_archE4294967295ELNS1_3gpuE0ELNS1_3repE0EEENS1_36merge_oddeven_config_static_selectorELNS0_4arch9wavefront6targetE1EEEvSH_,"axG",@progbits,_ZN7rocprim17ROCPRIM_400000_NS6detail17trampoline_kernelINS0_14default_configENS1_38merge_sort_block_merge_config_selectorIhlEEZZNS1_27merge_sort_block_merge_implIS3_PhN6thrust23THRUST_200600_302600_NS10device_ptrIlEEjNS1_19radix_merge_compareILb0ELb0EhNS0_19identity_decomposerEEEEE10hipError_tT0_T1_T2_jT3_P12ihipStream_tbPNSt15iterator_traitsISG_E10value_typeEPNSM_ISH_E10value_typeEPSI_NS1_7vsmem_tEENKUlT_SG_SH_SI_E_clIS7_S7_SB_PlEESF_SV_SG_SH_SI_EUlSV_E1_NS1_11comp_targetILNS1_3genE0ELNS1_11target_archE4294967295ELNS1_3gpuE0ELNS1_3repE0EEENS1_36merge_oddeven_config_static_selectorELNS0_4arch9wavefront6targetE1EEEvSH_,comdat
	.protected	_ZN7rocprim17ROCPRIM_400000_NS6detail17trampoline_kernelINS0_14default_configENS1_38merge_sort_block_merge_config_selectorIhlEEZZNS1_27merge_sort_block_merge_implIS3_PhN6thrust23THRUST_200600_302600_NS10device_ptrIlEEjNS1_19radix_merge_compareILb0ELb0EhNS0_19identity_decomposerEEEEE10hipError_tT0_T1_T2_jT3_P12ihipStream_tbPNSt15iterator_traitsISG_E10value_typeEPNSM_ISH_E10value_typeEPSI_NS1_7vsmem_tEENKUlT_SG_SH_SI_E_clIS7_S7_SB_PlEESF_SV_SG_SH_SI_EUlSV_E1_NS1_11comp_targetILNS1_3genE0ELNS1_11target_archE4294967295ELNS1_3gpuE0ELNS1_3repE0EEENS1_36merge_oddeven_config_static_selectorELNS0_4arch9wavefront6targetE1EEEvSH_ ; -- Begin function _ZN7rocprim17ROCPRIM_400000_NS6detail17trampoline_kernelINS0_14default_configENS1_38merge_sort_block_merge_config_selectorIhlEEZZNS1_27merge_sort_block_merge_implIS3_PhN6thrust23THRUST_200600_302600_NS10device_ptrIlEEjNS1_19radix_merge_compareILb0ELb0EhNS0_19identity_decomposerEEEEE10hipError_tT0_T1_T2_jT3_P12ihipStream_tbPNSt15iterator_traitsISG_E10value_typeEPNSM_ISH_E10value_typeEPSI_NS1_7vsmem_tEENKUlT_SG_SH_SI_E_clIS7_S7_SB_PlEESF_SV_SG_SH_SI_EUlSV_E1_NS1_11comp_targetILNS1_3genE0ELNS1_11target_archE4294967295ELNS1_3gpuE0ELNS1_3repE0EEENS1_36merge_oddeven_config_static_selectorELNS0_4arch9wavefront6targetE1EEEvSH_
	.globl	_ZN7rocprim17ROCPRIM_400000_NS6detail17trampoline_kernelINS0_14default_configENS1_38merge_sort_block_merge_config_selectorIhlEEZZNS1_27merge_sort_block_merge_implIS3_PhN6thrust23THRUST_200600_302600_NS10device_ptrIlEEjNS1_19radix_merge_compareILb0ELb0EhNS0_19identity_decomposerEEEEE10hipError_tT0_T1_T2_jT3_P12ihipStream_tbPNSt15iterator_traitsISG_E10value_typeEPNSM_ISH_E10value_typeEPSI_NS1_7vsmem_tEENKUlT_SG_SH_SI_E_clIS7_S7_SB_PlEESF_SV_SG_SH_SI_EUlSV_E1_NS1_11comp_targetILNS1_3genE0ELNS1_11target_archE4294967295ELNS1_3gpuE0ELNS1_3repE0EEENS1_36merge_oddeven_config_static_selectorELNS0_4arch9wavefront6targetE1EEEvSH_
	.p2align	8
	.type	_ZN7rocprim17ROCPRIM_400000_NS6detail17trampoline_kernelINS0_14default_configENS1_38merge_sort_block_merge_config_selectorIhlEEZZNS1_27merge_sort_block_merge_implIS3_PhN6thrust23THRUST_200600_302600_NS10device_ptrIlEEjNS1_19radix_merge_compareILb0ELb0EhNS0_19identity_decomposerEEEEE10hipError_tT0_T1_T2_jT3_P12ihipStream_tbPNSt15iterator_traitsISG_E10value_typeEPNSM_ISH_E10value_typeEPSI_NS1_7vsmem_tEENKUlT_SG_SH_SI_E_clIS7_S7_SB_PlEESF_SV_SG_SH_SI_EUlSV_E1_NS1_11comp_targetILNS1_3genE0ELNS1_11target_archE4294967295ELNS1_3gpuE0ELNS1_3repE0EEENS1_36merge_oddeven_config_static_selectorELNS0_4arch9wavefront6targetE1EEEvSH_,@function
_ZN7rocprim17ROCPRIM_400000_NS6detail17trampoline_kernelINS0_14default_configENS1_38merge_sort_block_merge_config_selectorIhlEEZZNS1_27merge_sort_block_merge_implIS3_PhN6thrust23THRUST_200600_302600_NS10device_ptrIlEEjNS1_19radix_merge_compareILb0ELb0EhNS0_19identity_decomposerEEEEE10hipError_tT0_T1_T2_jT3_P12ihipStream_tbPNSt15iterator_traitsISG_E10value_typeEPNSM_ISH_E10value_typeEPSI_NS1_7vsmem_tEENKUlT_SG_SH_SI_E_clIS7_S7_SB_PlEESF_SV_SG_SH_SI_EUlSV_E1_NS1_11comp_targetILNS1_3genE0ELNS1_11target_archE4294967295ELNS1_3gpuE0ELNS1_3repE0EEENS1_36merge_oddeven_config_static_selectorELNS0_4arch9wavefront6targetE1EEEvSH_: ; @_ZN7rocprim17ROCPRIM_400000_NS6detail17trampoline_kernelINS0_14default_configENS1_38merge_sort_block_merge_config_selectorIhlEEZZNS1_27merge_sort_block_merge_implIS3_PhN6thrust23THRUST_200600_302600_NS10device_ptrIlEEjNS1_19radix_merge_compareILb0ELb0EhNS0_19identity_decomposerEEEEE10hipError_tT0_T1_T2_jT3_P12ihipStream_tbPNSt15iterator_traitsISG_E10value_typeEPNSM_ISH_E10value_typeEPSI_NS1_7vsmem_tEENKUlT_SG_SH_SI_E_clIS7_S7_SB_PlEESF_SV_SG_SH_SI_EUlSV_E1_NS1_11comp_targetILNS1_3genE0ELNS1_11target_archE4294967295ELNS1_3gpuE0ELNS1_3repE0EEENS1_36merge_oddeven_config_static_selectorELNS0_4arch9wavefront6targetE1EEEvSH_
; %bb.0:
	.section	.rodata,"a",@progbits
	.p2align	6, 0x0
	.amdhsa_kernel _ZN7rocprim17ROCPRIM_400000_NS6detail17trampoline_kernelINS0_14default_configENS1_38merge_sort_block_merge_config_selectorIhlEEZZNS1_27merge_sort_block_merge_implIS3_PhN6thrust23THRUST_200600_302600_NS10device_ptrIlEEjNS1_19radix_merge_compareILb0ELb0EhNS0_19identity_decomposerEEEEE10hipError_tT0_T1_T2_jT3_P12ihipStream_tbPNSt15iterator_traitsISG_E10value_typeEPNSM_ISH_E10value_typeEPSI_NS1_7vsmem_tEENKUlT_SG_SH_SI_E_clIS7_S7_SB_PlEESF_SV_SG_SH_SI_EUlSV_E1_NS1_11comp_targetILNS1_3genE0ELNS1_11target_archE4294967295ELNS1_3gpuE0ELNS1_3repE0EEENS1_36merge_oddeven_config_static_selectorELNS0_4arch9wavefront6targetE1EEEvSH_
		.amdhsa_group_segment_fixed_size 0
		.amdhsa_private_segment_fixed_size 0
		.amdhsa_kernarg_size 48
		.amdhsa_user_sgpr_count 6
		.amdhsa_user_sgpr_private_segment_buffer 1
		.amdhsa_user_sgpr_dispatch_ptr 0
		.amdhsa_user_sgpr_queue_ptr 0
		.amdhsa_user_sgpr_kernarg_segment_ptr 1
		.amdhsa_user_sgpr_dispatch_id 0
		.amdhsa_user_sgpr_flat_scratch_init 0
		.amdhsa_user_sgpr_kernarg_preload_length 0
		.amdhsa_user_sgpr_kernarg_preload_offset 0
		.amdhsa_user_sgpr_private_segment_size 0
		.amdhsa_uses_dynamic_stack 0
		.amdhsa_system_sgpr_private_segment_wavefront_offset 0
		.amdhsa_system_sgpr_workgroup_id_x 1
		.amdhsa_system_sgpr_workgroup_id_y 0
		.amdhsa_system_sgpr_workgroup_id_z 0
		.amdhsa_system_sgpr_workgroup_info 0
		.amdhsa_system_vgpr_workitem_id 0
		.amdhsa_next_free_vgpr 1
		.amdhsa_next_free_sgpr 0
		.amdhsa_accum_offset 4
		.amdhsa_reserve_vcc 0
		.amdhsa_reserve_flat_scratch 0
		.amdhsa_float_round_mode_32 0
		.amdhsa_float_round_mode_16_64 0
		.amdhsa_float_denorm_mode_32 3
		.amdhsa_float_denorm_mode_16_64 3
		.amdhsa_dx10_clamp 1
		.amdhsa_ieee_mode 1
		.amdhsa_fp16_overflow 0
		.amdhsa_tg_split 0
		.amdhsa_exception_fp_ieee_invalid_op 0
		.amdhsa_exception_fp_denorm_src 0
		.amdhsa_exception_fp_ieee_div_zero 0
		.amdhsa_exception_fp_ieee_overflow 0
		.amdhsa_exception_fp_ieee_underflow 0
		.amdhsa_exception_fp_ieee_inexact 0
		.amdhsa_exception_int_div_zero 0
	.end_amdhsa_kernel
	.section	.text._ZN7rocprim17ROCPRIM_400000_NS6detail17trampoline_kernelINS0_14default_configENS1_38merge_sort_block_merge_config_selectorIhlEEZZNS1_27merge_sort_block_merge_implIS3_PhN6thrust23THRUST_200600_302600_NS10device_ptrIlEEjNS1_19radix_merge_compareILb0ELb0EhNS0_19identity_decomposerEEEEE10hipError_tT0_T1_T2_jT3_P12ihipStream_tbPNSt15iterator_traitsISG_E10value_typeEPNSM_ISH_E10value_typeEPSI_NS1_7vsmem_tEENKUlT_SG_SH_SI_E_clIS7_S7_SB_PlEESF_SV_SG_SH_SI_EUlSV_E1_NS1_11comp_targetILNS1_3genE0ELNS1_11target_archE4294967295ELNS1_3gpuE0ELNS1_3repE0EEENS1_36merge_oddeven_config_static_selectorELNS0_4arch9wavefront6targetE1EEEvSH_,"axG",@progbits,_ZN7rocprim17ROCPRIM_400000_NS6detail17trampoline_kernelINS0_14default_configENS1_38merge_sort_block_merge_config_selectorIhlEEZZNS1_27merge_sort_block_merge_implIS3_PhN6thrust23THRUST_200600_302600_NS10device_ptrIlEEjNS1_19radix_merge_compareILb0ELb0EhNS0_19identity_decomposerEEEEE10hipError_tT0_T1_T2_jT3_P12ihipStream_tbPNSt15iterator_traitsISG_E10value_typeEPNSM_ISH_E10value_typeEPSI_NS1_7vsmem_tEENKUlT_SG_SH_SI_E_clIS7_S7_SB_PlEESF_SV_SG_SH_SI_EUlSV_E1_NS1_11comp_targetILNS1_3genE0ELNS1_11target_archE4294967295ELNS1_3gpuE0ELNS1_3repE0EEENS1_36merge_oddeven_config_static_selectorELNS0_4arch9wavefront6targetE1EEEvSH_,comdat
.Lfunc_end164:
	.size	_ZN7rocprim17ROCPRIM_400000_NS6detail17trampoline_kernelINS0_14default_configENS1_38merge_sort_block_merge_config_selectorIhlEEZZNS1_27merge_sort_block_merge_implIS3_PhN6thrust23THRUST_200600_302600_NS10device_ptrIlEEjNS1_19radix_merge_compareILb0ELb0EhNS0_19identity_decomposerEEEEE10hipError_tT0_T1_T2_jT3_P12ihipStream_tbPNSt15iterator_traitsISG_E10value_typeEPNSM_ISH_E10value_typeEPSI_NS1_7vsmem_tEENKUlT_SG_SH_SI_E_clIS7_S7_SB_PlEESF_SV_SG_SH_SI_EUlSV_E1_NS1_11comp_targetILNS1_3genE0ELNS1_11target_archE4294967295ELNS1_3gpuE0ELNS1_3repE0EEENS1_36merge_oddeven_config_static_selectorELNS0_4arch9wavefront6targetE1EEEvSH_, .Lfunc_end164-_ZN7rocprim17ROCPRIM_400000_NS6detail17trampoline_kernelINS0_14default_configENS1_38merge_sort_block_merge_config_selectorIhlEEZZNS1_27merge_sort_block_merge_implIS3_PhN6thrust23THRUST_200600_302600_NS10device_ptrIlEEjNS1_19radix_merge_compareILb0ELb0EhNS0_19identity_decomposerEEEEE10hipError_tT0_T1_T2_jT3_P12ihipStream_tbPNSt15iterator_traitsISG_E10value_typeEPNSM_ISH_E10value_typeEPSI_NS1_7vsmem_tEENKUlT_SG_SH_SI_E_clIS7_S7_SB_PlEESF_SV_SG_SH_SI_EUlSV_E1_NS1_11comp_targetILNS1_3genE0ELNS1_11target_archE4294967295ELNS1_3gpuE0ELNS1_3repE0EEENS1_36merge_oddeven_config_static_selectorELNS0_4arch9wavefront6targetE1EEEvSH_
                                        ; -- End function
	.section	.AMDGPU.csdata,"",@progbits
; Kernel info:
; codeLenInByte = 0
; NumSgprs: 4
; NumVgprs: 0
; NumAgprs: 0
; TotalNumVgprs: 0
; ScratchSize: 0
; MemoryBound: 0
; FloatMode: 240
; IeeeMode: 1
; LDSByteSize: 0 bytes/workgroup (compile time only)
; SGPRBlocks: 0
; VGPRBlocks: 0
; NumSGPRsForWavesPerEU: 4
; NumVGPRsForWavesPerEU: 1
; AccumOffset: 4
; Occupancy: 8
; WaveLimiterHint : 0
; COMPUTE_PGM_RSRC2:SCRATCH_EN: 0
; COMPUTE_PGM_RSRC2:USER_SGPR: 6
; COMPUTE_PGM_RSRC2:TRAP_HANDLER: 0
; COMPUTE_PGM_RSRC2:TGID_X_EN: 1
; COMPUTE_PGM_RSRC2:TGID_Y_EN: 0
; COMPUTE_PGM_RSRC2:TGID_Z_EN: 0
; COMPUTE_PGM_RSRC2:TIDIG_COMP_CNT: 0
; COMPUTE_PGM_RSRC3_GFX90A:ACCUM_OFFSET: 0
; COMPUTE_PGM_RSRC3_GFX90A:TG_SPLIT: 0
	.section	.text._ZN7rocprim17ROCPRIM_400000_NS6detail17trampoline_kernelINS0_14default_configENS1_38merge_sort_block_merge_config_selectorIhlEEZZNS1_27merge_sort_block_merge_implIS3_PhN6thrust23THRUST_200600_302600_NS10device_ptrIlEEjNS1_19radix_merge_compareILb0ELb0EhNS0_19identity_decomposerEEEEE10hipError_tT0_T1_T2_jT3_P12ihipStream_tbPNSt15iterator_traitsISG_E10value_typeEPNSM_ISH_E10value_typeEPSI_NS1_7vsmem_tEENKUlT_SG_SH_SI_E_clIS7_S7_SB_PlEESF_SV_SG_SH_SI_EUlSV_E1_NS1_11comp_targetILNS1_3genE10ELNS1_11target_archE1201ELNS1_3gpuE5ELNS1_3repE0EEENS1_36merge_oddeven_config_static_selectorELNS0_4arch9wavefront6targetE1EEEvSH_,"axG",@progbits,_ZN7rocprim17ROCPRIM_400000_NS6detail17trampoline_kernelINS0_14default_configENS1_38merge_sort_block_merge_config_selectorIhlEEZZNS1_27merge_sort_block_merge_implIS3_PhN6thrust23THRUST_200600_302600_NS10device_ptrIlEEjNS1_19radix_merge_compareILb0ELb0EhNS0_19identity_decomposerEEEEE10hipError_tT0_T1_T2_jT3_P12ihipStream_tbPNSt15iterator_traitsISG_E10value_typeEPNSM_ISH_E10value_typeEPSI_NS1_7vsmem_tEENKUlT_SG_SH_SI_E_clIS7_S7_SB_PlEESF_SV_SG_SH_SI_EUlSV_E1_NS1_11comp_targetILNS1_3genE10ELNS1_11target_archE1201ELNS1_3gpuE5ELNS1_3repE0EEENS1_36merge_oddeven_config_static_selectorELNS0_4arch9wavefront6targetE1EEEvSH_,comdat
	.protected	_ZN7rocprim17ROCPRIM_400000_NS6detail17trampoline_kernelINS0_14default_configENS1_38merge_sort_block_merge_config_selectorIhlEEZZNS1_27merge_sort_block_merge_implIS3_PhN6thrust23THRUST_200600_302600_NS10device_ptrIlEEjNS1_19radix_merge_compareILb0ELb0EhNS0_19identity_decomposerEEEEE10hipError_tT0_T1_T2_jT3_P12ihipStream_tbPNSt15iterator_traitsISG_E10value_typeEPNSM_ISH_E10value_typeEPSI_NS1_7vsmem_tEENKUlT_SG_SH_SI_E_clIS7_S7_SB_PlEESF_SV_SG_SH_SI_EUlSV_E1_NS1_11comp_targetILNS1_3genE10ELNS1_11target_archE1201ELNS1_3gpuE5ELNS1_3repE0EEENS1_36merge_oddeven_config_static_selectorELNS0_4arch9wavefront6targetE1EEEvSH_ ; -- Begin function _ZN7rocprim17ROCPRIM_400000_NS6detail17trampoline_kernelINS0_14default_configENS1_38merge_sort_block_merge_config_selectorIhlEEZZNS1_27merge_sort_block_merge_implIS3_PhN6thrust23THRUST_200600_302600_NS10device_ptrIlEEjNS1_19radix_merge_compareILb0ELb0EhNS0_19identity_decomposerEEEEE10hipError_tT0_T1_T2_jT3_P12ihipStream_tbPNSt15iterator_traitsISG_E10value_typeEPNSM_ISH_E10value_typeEPSI_NS1_7vsmem_tEENKUlT_SG_SH_SI_E_clIS7_S7_SB_PlEESF_SV_SG_SH_SI_EUlSV_E1_NS1_11comp_targetILNS1_3genE10ELNS1_11target_archE1201ELNS1_3gpuE5ELNS1_3repE0EEENS1_36merge_oddeven_config_static_selectorELNS0_4arch9wavefront6targetE1EEEvSH_
	.globl	_ZN7rocprim17ROCPRIM_400000_NS6detail17trampoline_kernelINS0_14default_configENS1_38merge_sort_block_merge_config_selectorIhlEEZZNS1_27merge_sort_block_merge_implIS3_PhN6thrust23THRUST_200600_302600_NS10device_ptrIlEEjNS1_19radix_merge_compareILb0ELb0EhNS0_19identity_decomposerEEEEE10hipError_tT0_T1_T2_jT3_P12ihipStream_tbPNSt15iterator_traitsISG_E10value_typeEPNSM_ISH_E10value_typeEPSI_NS1_7vsmem_tEENKUlT_SG_SH_SI_E_clIS7_S7_SB_PlEESF_SV_SG_SH_SI_EUlSV_E1_NS1_11comp_targetILNS1_3genE10ELNS1_11target_archE1201ELNS1_3gpuE5ELNS1_3repE0EEENS1_36merge_oddeven_config_static_selectorELNS0_4arch9wavefront6targetE1EEEvSH_
	.p2align	8
	.type	_ZN7rocprim17ROCPRIM_400000_NS6detail17trampoline_kernelINS0_14default_configENS1_38merge_sort_block_merge_config_selectorIhlEEZZNS1_27merge_sort_block_merge_implIS3_PhN6thrust23THRUST_200600_302600_NS10device_ptrIlEEjNS1_19radix_merge_compareILb0ELb0EhNS0_19identity_decomposerEEEEE10hipError_tT0_T1_T2_jT3_P12ihipStream_tbPNSt15iterator_traitsISG_E10value_typeEPNSM_ISH_E10value_typeEPSI_NS1_7vsmem_tEENKUlT_SG_SH_SI_E_clIS7_S7_SB_PlEESF_SV_SG_SH_SI_EUlSV_E1_NS1_11comp_targetILNS1_3genE10ELNS1_11target_archE1201ELNS1_3gpuE5ELNS1_3repE0EEENS1_36merge_oddeven_config_static_selectorELNS0_4arch9wavefront6targetE1EEEvSH_,@function
_ZN7rocprim17ROCPRIM_400000_NS6detail17trampoline_kernelINS0_14default_configENS1_38merge_sort_block_merge_config_selectorIhlEEZZNS1_27merge_sort_block_merge_implIS3_PhN6thrust23THRUST_200600_302600_NS10device_ptrIlEEjNS1_19radix_merge_compareILb0ELb0EhNS0_19identity_decomposerEEEEE10hipError_tT0_T1_T2_jT3_P12ihipStream_tbPNSt15iterator_traitsISG_E10value_typeEPNSM_ISH_E10value_typeEPSI_NS1_7vsmem_tEENKUlT_SG_SH_SI_E_clIS7_S7_SB_PlEESF_SV_SG_SH_SI_EUlSV_E1_NS1_11comp_targetILNS1_3genE10ELNS1_11target_archE1201ELNS1_3gpuE5ELNS1_3repE0EEENS1_36merge_oddeven_config_static_selectorELNS0_4arch9wavefront6targetE1EEEvSH_: ; @_ZN7rocprim17ROCPRIM_400000_NS6detail17trampoline_kernelINS0_14default_configENS1_38merge_sort_block_merge_config_selectorIhlEEZZNS1_27merge_sort_block_merge_implIS3_PhN6thrust23THRUST_200600_302600_NS10device_ptrIlEEjNS1_19radix_merge_compareILb0ELb0EhNS0_19identity_decomposerEEEEE10hipError_tT0_T1_T2_jT3_P12ihipStream_tbPNSt15iterator_traitsISG_E10value_typeEPNSM_ISH_E10value_typeEPSI_NS1_7vsmem_tEENKUlT_SG_SH_SI_E_clIS7_S7_SB_PlEESF_SV_SG_SH_SI_EUlSV_E1_NS1_11comp_targetILNS1_3genE10ELNS1_11target_archE1201ELNS1_3gpuE5ELNS1_3repE0EEENS1_36merge_oddeven_config_static_selectorELNS0_4arch9wavefront6targetE1EEEvSH_
; %bb.0:
	.section	.rodata,"a",@progbits
	.p2align	6, 0x0
	.amdhsa_kernel _ZN7rocprim17ROCPRIM_400000_NS6detail17trampoline_kernelINS0_14default_configENS1_38merge_sort_block_merge_config_selectorIhlEEZZNS1_27merge_sort_block_merge_implIS3_PhN6thrust23THRUST_200600_302600_NS10device_ptrIlEEjNS1_19radix_merge_compareILb0ELb0EhNS0_19identity_decomposerEEEEE10hipError_tT0_T1_T2_jT3_P12ihipStream_tbPNSt15iterator_traitsISG_E10value_typeEPNSM_ISH_E10value_typeEPSI_NS1_7vsmem_tEENKUlT_SG_SH_SI_E_clIS7_S7_SB_PlEESF_SV_SG_SH_SI_EUlSV_E1_NS1_11comp_targetILNS1_3genE10ELNS1_11target_archE1201ELNS1_3gpuE5ELNS1_3repE0EEENS1_36merge_oddeven_config_static_selectorELNS0_4arch9wavefront6targetE1EEEvSH_
		.amdhsa_group_segment_fixed_size 0
		.amdhsa_private_segment_fixed_size 0
		.amdhsa_kernarg_size 48
		.amdhsa_user_sgpr_count 6
		.amdhsa_user_sgpr_private_segment_buffer 1
		.amdhsa_user_sgpr_dispatch_ptr 0
		.amdhsa_user_sgpr_queue_ptr 0
		.amdhsa_user_sgpr_kernarg_segment_ptr 1
		.amdhsa_user_sgpr_dispatch_id 0
		.amdhsa_user_sgpr_flat_scratch_init 0
		.amdhsa_user_sgpr_kernarg_preload_length 0
		.amdhsa_user_sgpr_kernarg_preload_offset 0
		.amdhsa_user_sgpr_private_segment_size 0
		.amdhsa_uses_dynamic_stack 0
		.amdhsa_system_sgpr_private_segment_wavefront_offset 0
		.amdhsa_system_sgpr_workgroup_id_x 1
		.amdhsa_system_sgpr_workgroup_id_y 0
		.amdhsa_system_sgpr_workgroup_id_z 0
		.amdhsa_system_sgpr_workgroup_info 0
		.amdhsa_system_vgpr_workitem_id 0
		.amdhsa_next_free_vgpr 1
		.amdhsa_next_free_sgpr 0
		.amdhsa_accum_offset 4
		.amdhsa_reserve_vcc 0
		.amdhsa_reserve_flat_scratch 0
		.amdhsa_float_round_mode_32 0
		.amdhsa_float_round_mode_16_64 0
		.amdhsa_float_denorm_mode_32 3
		.amdhsa_float_denorm_mode_16_64 3
		.amdhsa_dx10_clamp 1
		.amdhsa_ieee_mode 1
		.amdhsa_fp16_overflow 0
		.amdhsa_tg_split 0
		.amdhsa_exception_fp_ieee_invalid_op 0
		.amdhsa_exception_fp_denorm_src 0
		.amdhsa_exception_fp_ieee_div_zero 0
		.amdhsa_exception_fp_ieee_overflow 0
		.amdhsa_exception_fp_ieee_underflow 0
		.amdhsa_exception_fp_ieee_inexact 0
		.amdhsa_exception_int_div_zero 0
	.end_amdhsa_kernel
	.section	.text._ZN7rocprim17ROCPRIM_400000_NS6detail17trampoline_kernelINS0_14default_configENS1_38merge_sort_block_merge_config_selectorIhlEEZZNS1_27merge_sort_block_merge_implIS3_PhN6thrust23THRUST_200600_302600_NS10device_ptrIlEEjNS1_19radix_merge_compareILb0ELb0EhNS0_19identity_decomposerEEEEE10hipError_tT0_T1_T2_jT3_P12ihipStream_tbPNSt15iterator_traitsISG_E10value_typeEPNSM_ISH_E10value_typeEPSI_NS1_7vsmem_tEENKUlT_SG_SH_SI_E_clIS7_S7_SB_PlEESF_SV_SG_SH_SI_EUlSV_E1_NS1_11comp_targetILNS1_3genE10ELNS1_11target_archE1201ELNS1_3gpuE5ELNS1_3repE0EEENS1_36merge_oddeven_config_static_selectorELNS0_4arch9wavefront6targetE1EEEvSH_,"axG",@progbits,_ZN7rocprim17ROCPRIM_400000_NS6detail17trampoline_kernelINS0_14default_configENS1_38merge_sort_block_merge_config_selectorIhlEEZZNS1_27merge_sort_block_merge_implIS3_PhN6thrust23THRUST_200600_302600_NS10device_ptrIlEEjNS1_19radix_merge_compareILb0ELb0EhNS0_19identity_decomposerEEEEE10hipError_tT0_T1_T2_jT3_P12ihipStream_tbPNSt15iterator_traitsISG_E10value_typeEPNSM_ISH_E10value_typeEPSI_NS1_7vsmem_tEENKUlT_SG_SH_SI_E_clIS7_S7_SB_PlEESF_SV_SG_SH_SI_EUlSV_E1_NS1_11comp_targetILNS1_3genE10ELNS1_11target_archE1201ELNS1_3gpuE5ELNS1_3repE0EEENS1_36merge_oddeven_config_static_selectorELNS0_4arch9wavefront6targetE1EEEvSH_,comdat
.Lfunc_end165:
	.size	_ZN7rocprim17ROCPRIM_400000_NS6detail17trampoline_kernelINS0_14default_configENS1_38merge_sort_block_merge_config_selectorIhlEEZZNS1_27merge_sort_block_merge_implIS3_PhN6thrust23THRUST_200600_302600_NS10device_ptrIlEEjNS1_19radix_merge_compareILb0ELb0EhNS0_19identity_decomposerEEEEE10hipError_tT0_T1_T2_jT3_P12ihipStream_tbPNSt15iterator_traitsISG_E10value_typeEPNSM_ISH_E10value_typeEPSI_NS1_7vsmem_tEENKUlT_SG_SH_SI_E_clIS7_S7_SB_PlEESF_SV_SG_SH_SI_EUlSV_E1_NS1_11comp_targetILNS1_3genE10ELNS1_11target_archE1201ELNS1_3gpuE5ELNS1_3repE0EEENS1_36merge_oddeven_config_static_selectorELNS0_4arch9wavefront6targetE1EEEvSH_, .Lfunc_end165-_ZN7rocprim17ROCPRIM_400000_NS6detail17trampoline_kernelINS0_14default_configENS1_38merge_sort_block_merge_config_selectorIhlEEZZNS1_27merge_sort_block_merge_implIS3_PhN6thrust23THRUST_200600_302600_NS10device_ptrIlEEjNS1_19radix_merge_compareILb0ELb0EhNS0_19identity_decomposerEEEEE10hipError_tT0_T1_T2_jT3_P12ihipStream_tbPNSt15iterator_traitsISG_E10value_typeEPNSM_ISH_E10value_typeEPSI_NS1_7vsmem_tEENKUlT_SG_SH_SI_E_clIS7_S7_SB_PlEESF_SV_SG_SH_SI_EUlSV_E1_NS1_11comp_targetILNS1_3genE10ELNS1_11target_archE1201ELNS1_3gpuE5ELNS1_3repE0EEENS1_36merge_oddeven_config_static_selectorELNS0_4arch9wavefront6targetE1EEEvSH_
                                        ; -- End function
	.section	.AMDGPU.csdata,"",@progbits
; Kernel info:
; codeLenInByte = 0
; NumSgprs: 4
; NumVgprs: 0
; NumAgprs: 0
; TotalNumVgprs: 0
; ScratchSize: 0
; MemoryBound: 0
; FloatMode: 240
; IeeeMode: 1
; LDSByteSize: 0 bytes/workgroup (compile time only)
; SGPRBlocks: 0
; VGPRBlocks: 0
; NumSGPRsForWavesPerEU: 4
; NumVGPRsForWavesPerEU: 1
; AccumOffset: 4
; Occupancy: 8
; WaveLimiterHint : 0
; COMPUTE_PGM_RSRC2:SCRATCH_EN: 0
; COMPUTE_PGM_RSRC2:USER_SGPR: 6
; COMPUTE_PGM_RSRC2:TRAP_HANDLER: 0
; COMPUTE_PGM_RSRC2:TGID_X_EN: 1
; COMPUTE_PGM_RSRC2:TGID_Y_EN: 0
; COMPUTE_PGM_RSRC2:TGID_Z_EN: 0
; COMPUTE_PGM_RSRC2:TIDIG_COMP_CNT: 0
; COMPUTE_PGM_RSRC3_GFX90A:ACCUM_OFFSET: 0
; COMPUTE_PGM_RSRC3_GFX90A:TG_SPLIT: 0
	.section	.text._ZN7rocprim17ROCPRIM_400000_NS6detail17trampoline_kernelINS0_14default_configENS1_38merge_sort_block_merge_config_selectorIhlEEZZNS1_27merge_sort_block_merge_implIS3_PhN6thrust23THRUST_200600_302600_NS10device_ptrIlEEjNS1_19radix_merge_compareILb0ELb0EhNS0_19identity_decomposerEEEEE10hipError_tT0_T1_T2_jT3_P12ihipStream_tbPNSt15iterator_traitsISG_E10value_typeEPNSM_ISH_E10value_typeEPSI_NS1_7vsmem_tEENKUlT_SG_SH_SI_E_clIS7_S7_SB_PlEESF_SV_SG_SH_SI_EUlSV_E1_NS1_11comp_targetILNS1_3genE5ELNS1_11target_archE942ELNS1_3gpuE9ELNS1_3repE0EEENS1_36merge_oddeven_config_static_selectorELNS0_4arch9wavefront6targetE1EEEvSH_,"axG",@progbits,_ZN7rocprim17ROCPRIM_400000_NS6detail17trampoline_kernelINS0_14default_configENS1_38merge_sort_block_merge_config_selectorIhlEEZZNS1_27merge_sort_block_merge_implIS3_PhN6thrust23THRUST_200600_302600_NS10device_ptrIlEEjNS1_19radix_merge_compareILb0ELb0EhNS0_19identity_decomposerEEEEE10hipError_tT0_T1_T2_jT3_P12ihipStream_tbPNSt15iterator_traitsISG_E10value_typeEPNSM_ISH_E10value_typeEPSI_NS1_7vsmem_tEENKUlT_SG_SH_SI_E_clIS7_S7_SB_PlEESF_SV_SG_SH_SI_EUlSV_E1_NS1_11comp_targetILNS1_3genE5ELNS1_11target_archE942ELNS1_3gpuE9ELNS1_3repE0EEENS1_36merge_oddeven_config_static_selectorELNS0_4arch9wavefront6targetE1EEEvSH_,comdat
	.protected	_ZN7rocprim17ROCPRIM_400000_NS6detail17trampoline_kernelINS0_14default_configENS1_38merge_sort_block_merge_config_selectorIhlEEZZNS1_27merge_sort_block_merge_implIS3_PhN6thrust23THRUST_200600_302600_NS10device_ptrIlEEjNS1_19radix_merge_compareILb0ELb0EhNS0_19identity_decomposerEEEEE10hipError_tT0_T1_T2_jT3_P12ihipStream_tbPNSt15iterator_traitsISG_E10value_typeEPNSM_ISH_E10value_typeEPSI_NS1_7vsmem_tEENKUlT_SG_SH_SI_E_clIS7_S7_SB_PlEESF_SV_SG_SH_SI_EUlSV_E1_NS1_11comp_targetILNS1_3genE5ELNS1_11target_archE942ELNS1_3gpuE9ELNS1_3repE0EEENS1_36merge_oddeven_config_static_selectorELNS0_4arch9wavefront6targetE1EEEvSH_ ; -- Begin function _ZN7rocprim17ROCPRIM_400000_NS6detail17trampoline_kernelINS0_14default_configENS1_38merge_sort_block_merge_config_selectorIhlEEZZNS1_27merge_sort_block_merge_implIS3_PhN6thrust23THRUST_200600_302600_NS10device_ptrIlEEjNS1_19radix_merge_compareILb0ELb0EhNS0_19identity_decomposerEEEEE10hipError_tT0_T1_T2_jT3_P12ihipStream_tbPNSt15iterator_traitsISG_E10value_typeEPNSM_ISH_E10value_typeEPSI_NS1_7vsmem_tEENKUlT_SG_SH_SI_E_clIS7_S7_SB_PlEESF_SV_SG_SH_SI_EUlSV_E1_NS1_11comp_targetILNS1_3genE5ELNS1_11target_archE942ELNS1_3gpuE9ELNS1_3repE0EEENS1_36merge_oddeven_config_static_selectorELNS0_4arch9wavefront6targetE1EEEvSH_
	.globl	_ZN7rocprim17ROCPRIM_400000_NS6detail17trampoline_kernelINS0_14default_configENS1_38merge_sort_block_merge_config_selectorIhlEEZZNS1_27merge_sort_block_merge_implIS3_PhN6thrust23THRUST_200600_302600_NS10device_ptrIlEEjNS1_19radix_merge_compareILb0ELb0EhNS0_19identity_decomposerEEEEE10hipError_tT0_T1_T2_jT3_P12ihipStream_tbPNSt15iterator_traitsISG_E10value_typeEPNSM_ISH_E10value_typeEPSI_NS1_7vsmem_tEENKUlT_SG_SH_SI_E_clIS7_S7_SB_PlEESF_SV_SG_SH_SI_EUlSV_E1_NS1_11comp_targetILNS1_3genE5ELNS1_11target_archE942ELNS1_3gpuE9ELNS1_3repE0EEENS1_36merge_oddeven_config_static_selectorELNS0_4arch9wavefront6targetE1EEEvSH_
	.p2align	8
	.type	_ZN7rocprim17ROCPRIM_400000_NS6detail17trampoline_kernelINS0_14default_configENS1_38merge_sort_block_merge_config_selectorIhlEEZZNS1_27merge_sort_block_merge_implIS3_PhN6thrust23THRUST_200600_302600_NS10device_ptrIlEEjNS1_19radix_merge_compareILb0ELb0EhNS0_19identity_decomposerEEEEE10hipError_tT0_T1_T2_jT3_P12ihipStream_tbPNSt15iterator_traitsISG_E10value_typeEPNSM_ISH_E10value_typeEPSI_NS1_7vsmem_tEENKUlT_SG_SH_SI_E_clIS7_S7_SB_PlEESF_SV_SG_SH_SI_EUlSV_E1_NS1_11comp_targetILNS1_3genE5ELNS1_11target_archE942ELNS1_3gpuE9ELNS1_3repE0EEENS1_36merge_oddeven_config_static_selectorELNS0_4arch9wavefront6targetE1EEEvSH_,@function
_ZN7rocprim17ROCPRIM_400000_NS6detail17trampoline_kernelINS0_14default_configENS1_38merge_sort_block_merge_config_selectorIhlEEZZNS1_27merge_sort_block_merge_implIS3_PhN6thrust23THRUST_200600_302600_NS10device_ptrIlEEjNS1_19radix_merge_compareILb0ELb0EhNS0_19identity_decomposerEEEEE10hipError_tT0_T1_T2_jT3_P12ihipStream_tbPNSt15iterator_traitsISG_E10value_typeEPNSM_ISH_E10value_typeEPSI_NS1_7vsmem_tEENKUlT_SG_SH_SI_E_clIS7_S7_SB_PlEESF_SV_SG_SH_SI_EUlSV_E1_NS1_11comp_targetILNS1_3genE5ELNS1_11target_archE942ELNS1_3gpuE9ELNS1_3repE0EEENS1_36merge_oddeven_config_static_selectorELNS0_4arch9wavefront6targetE1EEEvSH_: ; @_ZN7rocprim17ROCPRIM_400000_NS6detail17trampoline_kernelINS0_14default_configENS1_38merge_sort_block_merge_config_selectorIhlEEZZNS1_27merge_sort_block_merge_implIS3_PhN6thrust23THRUST_200600_302600_NS10device_ptrIlEEjNS1_19radix_merge_compareILb0ELb0EhNS0_19identity_decomposerEEEEE10hipError_tT0_T1_T2_jT3_P12ihipStream_tbPNSt15iterator_traitsISG_E10value_typeEPNSM_ISH_E10value_typeEPSI_NS1_7vsmem_tEENKUlT_SG_SH_SI_E_clIS7_S7_SB_PlEESF_SV_SG_SH_SI_EUlSV_E1_NS1_11comp_targetILNS1_3genE5ELNS1_11target_archE942ELNS1_3gpuE9ELNS1_3repE0EEENS1_36merge_oddeven_config_static_selectorELNS0_4arch9wavefront6targetE1EEEvSH_
; %bb.0:
	.section	.rodata,"a",@progbits
	.p2align	6, 0x0
	.amdhsa_kernel _ZN7rocprim17ROCPRIM_400000_NS6detail17trampoline_kernelINS0_14default_configENS1_38merge_sort_block_merge_config_selectorIhlEEZZNS1_27merge_sort_block_merge_implIS3_PhN6thrust23THRUST_200600_302600_NS10device_ptrIlEEjNS1_19radix_merge_compareILb0ELb0EhNS0_19identity_decomposerEEEEE10hipError_tT0_T1_T2_jT3_P12ihipStream_tbPNSt15iterator_traitsISG_E10value_typeEPNSM_ISH_E10value_typeEPSI_NS1_7vsmem_tEENKUlT_SG_SH_SI_E_clIS7_S7_SB_PlEESF_SV_SG_SH_SI_EUlSV_E1_NS1_11comp_targetILNS1_3genE5ELNS1_11target_archE942ELNS1_3gpuE9ELNS1_3repE0EEENS1_36merge_oddeven_config_static_selectorELNS0_4arch9wavefront6targetE1EEEvSH_
		.amdhsa_group_segment_fixed_size 0
		.amdhsa_private_segment_fixed_size 0
		.amdhsa_kernarg_size 48
		.amdhsa_user_sgpr_count 6
		.amdhsa_user_sgpr_private_segment_buffer 1
		.amdhsa_user_sgpr_dispatch_ptr 0
		.amdhsa_user_sgpr_queue_ptr 0
		.amdhsa_user_sgpr_kernarg_segment_ptr 1
		.amdhsa_user_sgpr_dispatch_id 0
		.amdhsa_user_sgpr_flat_scratch_init 0
		.amdhsa_user_sgpr_kernarg_preload_length 0
		.amdhsa_user_sgpr_kernarg_preload_offset 0
		.amdhsa_user_sgpr_private_segment_size 0
		.amdhsa_uses_dynamic_stack 0
		.amdhsa_system_sgpr_private_segment_wavefront_offset 0
		.amdhsa_system_sgpr_workgroup_id_x 1
		.amdhsa_system_sgpr_workgroup_id_y 0
		.amdhsa_system_sgpr_workgroup_id_z 0
		.amdhsa_system_sgpr_workgroup_info 0
		.amdhsa_system_vgpr_workitem_id 0
		.amdhsa_next_free_vgpr 1
		.amdhsa_next_free_sgpr 0
		.amdhsa_accum_offset 4
		.amdhsa_reserve_vcc 0
		.amdhsa_reserve_flat_scratch 0
		.amdhsa_float_round_mode_32 0
		.amdhsa_float_round_mode_16_64 0
		.amdhsa_float_denorm_mode_32 3
		.amdhsa_float_denorm_mode_16_64 3
		.amdhsa_dx10_clamp 1
		.amdhsa_ieee_mode 1
		.amdhsa_fp16_overflow 0
		.amdhsa_tg_split 0
		.amdhsa_exception_fp_ieee_invalid_op 0
		.amdhsa_exception_fp_denorm_src 0
		.amdhsa_exception_fp_ieee_div_zero 0
		.amdhsa_exception_fp_ieee_overflow 0
		.amdhsa_exception_fp_ieee_underflow 0
		.amdhsa_exception_fp_ieee_inexact 0
		.amdhsa_exception_int_div_zero 0
	.end_amdhsa_kernel
	.section	.text._ZN7rocprim17ROCPRIM_400000_NS6detail17trampoline_kernelINS0_14default_configENS1_38merge_sort_block_merge_config_selectorIhlEEZZNS1_27merge_sort_block_merge_implIS3_PhN6thrust23THRUST_200600_302600_NS10device_ptrIlEEjNS1_19radix_merge_compareILb0ELb0EhNS0_19identity_decomposerEEEEE10hipError_tT0_T1_T2_jT3_P12ihipStream_tbPNSt15iterator_traitsISG_E10value_typeEPNSM_ISH_E10value_typeEPSI_NS1_7vsmem_tEENKUlT_SG_SH_SI_E_clIS7_S7_SB_PlEESF_SV_SG_SH_SI_EUlSV_E1_NS1_11comp_targetILNS1_3genE5ELNS1_11target_archE942ELNS1_3gpuE9ELNS1_3repE0EEENS1_36merge_oddeven_config_static_selectorELNS0_4arch9wavefront6targetE1EEEvSH_,"axG",@progbits,_ZN7rocprim17ROCPRIM_400000_NS6detail17trampoline_kernelINS0_14default_configENS1_38merge_sort_block_merge_config_selectorIhlEEZZNS1_27merge_sort_block_merge_implIS3_PhN6thrust23THRUST_200600_302600_NS10device_ptrIlEEjNS1_19radix_merge_compareILb0ELb0EhNS0_19identity_decomposerEEEEE10hipError_tT0_T1_T2_jT3_P12ihipStream_tbPNSt15iterator_traitsISG_E10value_typeEPNSM_ISH_E10value_typeEPSI_NS1_7vsmem_tEENKUlT_SG_SH_SI_E_clIS7_S7_SB_PlEESF_SV_SG_SH_SI_EUlSV_E1_NS1_11comp_targetILNS1_3genE5ELNS1_11target_archE942ELNS1_3gpuE9ELNS1_3repE0EEENS1_36merge_oddeven_config_static_selectorELNS0_4arch9wavefront6targetE1EEEvSH_,comdat
.Lfunc_end166:
	.size	_ZN7rocprim17ROCPRIM_400000_NS6detail17trampoline_kernelINS0_14default_configENS1_38merge_sort_block_merge_config_selectorIhlEEZZNS1_27merge_sort_block_merge_implIS3_PhN6thrust23THRUST_200600_302600_NS10device_ptrIlEEjNS1_19radix_merge_compareILb0ELb0EhNS0_19identity_decomposerEEEEE10hipError_tT0_T1_T2_jT3_P12ihipStream_tbPNSt15iterator_traitsISG_E10value_typeEPNSM_ISH_E10value_typeEPSI_NS1_7vsmem_tEENKUlT_SG_SH_SI_E_clIS7_S7_SB_PlEESF_SV_SG_SH_SI_EUlSV_E1_NS1_11comp_targetILNS1_3genE5ELNS1_11target_archE942ELNS1_3gpuE9ELNS1_3repE0EEENS1_36merge_oddeven_config_static_selectorELNS0_4arch9wavefront6targetE1EEEvSH_, .Lfunc_end166-_ZN7rocprim17ROCPRIM_400000_NS6detail17trampoline_kernelINS0_14default_configENS1_38merge_sort_block_merge_config_selectorIhlEEZZNS1_27merge_sort_block_merge_implIS3_PhN6thrust23THRUST_200600_302600_NS10device_ptrIlEEjNS1_19radix_merge_compareILb0ELb0EhNS0_19identity_decomposerEEEEE10hipError_tT0_T1_T2_jT3_P12ihipStream_tbPNSt15iterator_traitsISG_E10value_typeEPNSM_ISH_E10value_typeEPSI_NS1_7vsmem_tEENKUlT_SG_SH_SI_E_clIS7_S7_SB_PlEESF_SV_SG_SH_SI_EUlSV_E1_NS1_11comp_targetILNS1_3genE5ELNS1_11target_archE942ELNS1_3gpuE9ELNS1_3repE0EEENS1_36merge_oddeven_config_static_selectorELNS0_4arch9wavefront6targetE1EEEvSH_
                                        ; -- End function
	.section	.AMDGPU.csdata,"",@progbits
; Kernel info:
; codeLenInByte = 0
; NumSgprs: 4
; NumVgprs: 0
; NumAgprs: 0
; TotalNumVgprs: 0
; ScratchSize: 0
; MemoryBound: 0
; FloatMode: 240
; IeeeMode: 1
; LDSByteSize: 0 bytes/workgroup (compile time only)
; SGPRBlocks: 0
; VGPRBlocks: 0
; NumSGPRsForWavesPerEU: 4
; NumVGPRsForWavesPerEU: 1
; AccumOffset: 4
; Occupancy: 8
; WaveLimiterHint : 0
; COMPUTE_PGM_RSRC2:SCRATCH_EN: 0
; COMPUTE_PGM_RSRC2:USER_SGPR: 6
; COMPUTE_PGM_RSRC2:TRAP_HANDLER: 0
; COMPUTE_PGM_RSRC2:TGID_X_EN: 1
; COMPUTE_PGM_RSRC2:TGID_Y_EN: 0
; COMPUTE_PGM_RSRC2:TGID_Z_EN: 0
; COMPUTE_PGM_RSRC2:TIDIG_COMP_CNT: 0
; COMPUTE_PGM_RSRC3_GFX90A:ACCUM_OFFSET: 0
; COMPUTE_PGM_RSRC3_GFX90A:TG_SPLIT: 0
	.section	.text._ZN7rocprim17ROCPRIM_400000_NS6detail17trampoline_kernelINS0_14default_configENS1_38merge_sort_block_merge_config_selectorIhlEEZZNS1_27merge_sort_block_merge_implIS3_PhN6thrust23THRUST_200600_302600_NS10device_ptrIlEEjNS1_19radix_merge_compareILb0ELb0EhNS0_19identity_decomposerEEEEE10hipError_tT0_T1_T2_jT3_P12ihipStream_tbPNSt15iterator_traitsISG_E10value_typeEPNSM_ISH_E10value_typeEPSI_NS1_7vsmem_tEENKUlT_SG_SH_SI_E_clIS7_S7_SB_PlEESF_SV_SG_SH_SI_EUlSV_E1_NS1_11comp_targetILNS1_3genE4ELNS1_11target_archE910ELNS1_3gpuE8ELNS1_3repE0EEENS1_36merge_oddeven_config_static_selectorELNS0_4arch9wavefront6targetE1EEEvSH_,"axG",@progbits,_ZN7rocprim17ROCPRIM_400000_NS6detail17trampoline_kernelINS0_14default_configENS1_38merge_sort_block_merge_config_selectorIhlEEZZNS1_27merge_sort_block_merge_implIS3_PhN6thrust23THRUST_200600_302600_NS10device_ptrIlEEjNS1_19radix_merge_compareILb0ELb0EhNS0_19identity_decomposerEEEEE10hipError_tT0_T1_T2_jT3_P12ihipStream_tbPNSt15iterator_traitsISG_E10value_typeEPNSM_ISH_E10value_typeEPSI_NS1_7vsmem_tEENKUlT_SG_SH_SI_E_clIS7_S7_SB_PlEESF_SV_SG_SH_SI_EUlSV_E1_NS1_11comp_targetILNS1_3genE4ELNS1_11target_archE910ELNS1_3gpuE8ELNS1_3repE0EEENS1_36merge_oddeven_config_static_selectorELNS0_4arch9wavefront6targetE1EEEvSH_,comdat
	.protected	_ZN7rocprim17ROCPRIM_400000_NS6detail17trampoline_kernelINS0_14default_configENS1_38merge_sort_block_merge_config_selectorIhlEEZZNS1_27merge_sort_block_merge_implIS3_PhN6thrust23THRUST_200600_302600_NS10device_ptrIlEEjNS1_19radix_merge_compareILb0ELb0EhNS0_19identity_decomposerEEEEE10hipError_tT0_T1_T2_jT3_P12ihipStream_tbPNSt15iterator_traitsISG_E10value_typeEPNSM_ISH_E10value_typeEPSI_NS1_7vsmem_tEENKUlT_SG_SH_SI_E_clIS7_S7_SB_PlEESF_SV_SG_SH_SI_EUlSV_E1_NS1_11comp_targetILNS1_3genE4ELNS1_11target_archE910ELNS1_3gpuE8ELNS1_3repE0EEENS1_36merge_oddeven_config_static_selectorELNS0_4arch9wavefront6targetE1EEEvSH_ ; -- Begin function _ZN7rocprim17ROCPRIM_400000_NS6detail17trampoline_kernelINS0_14default_configENS1_38merge_sort_block_merge_config_selectorIhlEEZZNS1_27merge_sort_block_merge_implIS3_PhN6thrust23THRUST_200600_302600_NS10device_ptrIlEEjNS1_19radix_merge_compareILb0ELb0EhNS0_19identity_decomposerEEEEE10hipError_tT0_T1_T2_jT3_P12ihipStream_tbPNSt15iterator_traitsISG_E10value_typeEPNSM_ISH_E10value_typeEPSI_NS1_7vsmem_tEENKUlT_SG_SH_SI_E_clIS7_S7_SB_PlEESF_SV_SG_SH_SI_EUlSV_E1_NS1_11comp_targetILNS1_3genE4ELNS1_11target_archE910ELNS1_3gpuE8ELNS1_3repE0EEENS1_36merge_oddeven_config_static_selectorELNS0_4arch9wavefront6targetE1EEEvSH_
	.globl	_ZN7rocprim17ROCPRIM_400000_NS6detail17trampoline_kernelINS0_14default_configENS1_38merge_sort_block_merge_config_selectorIhlEEZZNS1_27merge_sort_block_merge_implIS3_PhN6thrust23THRUST_200600_302600_NS10device_ptrIlEEjNS1_19radix_merge_compareILb0ELb0EhNS0_19identity_decomposerEEEEE10hipError_tT0_T1_T2_jT3_P12ihipStream_tbPNSt15iterator_traitsISG_E10value_typeEPNSM_ISH_E10value_typeEPSI_NS1_7vsmem_tEENKUlT_SG_SH_SI_E_clIS7_S7_SB_PlEESF_SV_SG_SH_SI_EUlSV_E1_NS1_11comp_targetILNS1_3genE4ELNS1_11target_archE910ELNS1_3gpuE8ELNS1_3repE0EEENS1_36merge_oddeven_config_static_selectorELNS0_4arch9wavefront6targetE1EEEvSH_
	.p2align	8
	.type	_ZN7rocprim17ROCPRIM_400000_NS6detail17trampoline_kernelINS0_14default_configENS1_38merge_sort_block_merge_config_selectorIhlEEZZNS1_27merge_sort_block_merge_implIS3_PhN6thrust23THRUST_200600_302600_NS10device_ptrIlEEjNS1_19radix_merge_compareILb0ELb0EhNS0_19identity_decomposerEEEEE10hipError_tT0_T1_T2_jT3_P12ihipStream_tbPNSt15iterator_traitsISG_E10value_typeEPNSM_ISH_E10value_typeEPSI_NS1_7vsmem_tEENKUlT_SG_SH_SI_E_clIS7_S7_SB_PlEESF_SV_SG_SH_SI_EUlSV_E1_NS1_11comp_targetILNS1_3genE4ELNS1_11target_archE910ELNS1_3gpuE8ELNS1_3repE0EEENS1_36merge_oddeven_config_static_selectorELNS0_4arch9wavefront6targetE1EEEvSH_,@function
_ZN7rocprim17ROCPRIM_400000_NS6detail17trampoline_kernelINS0_14default_configENS1_38merge_sort_block_merge_config_selectorIhlEEZZNS1_27merge_sort_block_merge_implIS3_PhN6thrust23THRUST_200600_302600_NS10device_ptrIlEEjNS1_19radix_merge_compareILb0ELb0EhNS0_19identity_decomposerEEEEE10hipError_tT0_T1_T2_jT3_P12ihipStream_tbPNSt15iterator_traitsISG_E10value_typeEPNSM_ISH_E10value_typeEPSI_NS1_7vsmem_tEENKUlT_SG_SH_SI_E_clIS7_S7_SB_PlEESF_SV_SG_SH_SI_EUlSV_E1_NS1_11comp_targetILNS1_3genE4ELNS1_11target_archE910ELNS1_3gpuE8ELNS1_3repE0EEENS1_36merge_oddeven_config_static_selectorELNS0_4arch9wavefront6targetE1EEEvSH_: ; @_ZN7rocprim17ROCPRIM_400000_NS6detail17trampoline_kernelINS0_14default_configENS1_38merge_sort_block_merge_config_selectorIhlEEZZNS1_27merge_sort_block_merge_implIS3_PhN6thrust23THRUST_200600_302600_NS10device_ptrIlEEjNS1_19radix_merge_compareILb0ELb0EhNS0_19identity_decomposerEEEEE10hipError_tT0_T1_T2_jT3_P12ihipStream_tbPNSt15iterator_traitsISG_E10value_typeEPNSM_ISH_E10value_typeEPSI_NS1_7vsmem_tEENKUlT_SG_SH_SI_E_clIS7_S7_SB_PlEESF_SV_SG_SH_SI_EUlSV_E1_NS1_11comp_targetILNS1_3genE4ELNS1_11target_archE910ELNS1_3gpuE8ELNS1_3repE0EEENS1_36merge_oddeven_config_static_selectorELNS0_4arch9wavefront6targetE1EEEvSH_
; %bb.0:
	s_load_dword s20, s[4:5], 0x20
	s_waitcnt lgkmcnt(0)
	s_lshr_b32 s2, s20, 8
	s_cmp_lg_u32 s6, s2
	s_cselect_b64 s[0:1], -1, 0
	s_cmp_eq_u32 s6, s2
	s_cselect_b64 s[16:17], -1, 0
	s_lshl_b32 s18, s6, 8
	s_sub_i32 s2, s20, s18
	v_cmp_gt_u32_e64 s[2:3], s2, v0
	s_or_b64 s[0:1], s[0:1], s[2:3]
	s_and_saveexec_b64 s[8:9], s[0:1]
	s_cbranch_execz .LBB167_26
; %bb.1:
	s_load_dwordx8 s[8:15], s[4:5], 0x0
	s_mov_b32 s19, 0
	v_lshlrev_b32_e32 v1, 3, v0
	s_load_dword s21, s[4:5], 0x24
	v_add_u32_e32 v4, s18, v0
	s_waitcnt lgkmcnt(0)
	s_add_u32 s0, s8, s18
	s_addc_u32 s1, s9, 0
	s_lshl_b64 s[22:23], s[18:19], 3
	s_add_u32 s12, s12, s22
	s_addc_u32 s13, s13, s23
	global_load_dwordx2 v[2:3], v1, s[12:13]
	global_load_ubyte v6, v0, s[0:1]
	s_lshr_b32 s0, s21, 8
	s_sub_i32 s1, 0, s0
	s_and_b32 s1, s6, s1
	s_and_b32 s0, s1, s0
	s_lshl_b32 s22, s1, 8
	s_sub_i32 s6, 0, s21
	s_cmp_eq_u32 s0, 0
	s_cselect_b64 s[0:1], -1, 0
	s_and_b64 s[4:5], s[0:1], exec
	s_cselect_b32 s19, s21, s6
	s_add_i32 s19, s19, s22
	s_cmp_lt_u32 s19, s20
	s_cbranch_scc1 .LBB167_6
; %bb.2:
	s_and_b64 vcc, exec, s[16:17]
	s_cbranch_vccz .LBB167_7
; %bb.3:
	v_cmp_gt_u32_e32 vcc, s20, v4
	s_mov_b64 s[6:7], 0
	s_mov_b64 s[4:5], 0
                                        ; implicit-def: $vgpr0_vgpr1
	s_and_saveexec_b64 s[12:13], vcc
	s_cbranch_execz .LBB167_5
; %bb.4:
	v_mov_b32_e32 v5, 0
	v_lshlrev_b64 v[0:1], 3, v[4:5]
	v_mov_b32_e32 v5, s15
	v_add_co_u32_e32 v0, vcc, s14, v0
	s_mov_b64 s[4:5], exec
	v_addc_co_u32_e32 v1, vcc, v5, v1, vcc
	s_waitcnt vmcnt(0)
	global_store_byte v4, v6, s[10:11]
.LBB167_5:
	s_or_b64 exec, exec, s[12:13]
	s_and_b64 vcc, exec, s[6:7]
	s_cbranch_vccnz .LBB167_8
	s_branch .LBB167_9
.LBB167_6:
	s_mov_b64 s[4:5], 0
                                        ; implicit-def: $vgpr0_vgpr1
	s_cbranch_execnz .LBB167_10
	s_branch .LBB167_24
.LBB167_7:
	s_mov_b64 s[4:5], 0
                                        ; implicit-def: $vgpr0_vgpr1
	s_cbranch_execz .LBB167_9
.LBB167_8:
	v_mov_b32_e32 v5, 0
	v_lshlrev_b64 v[0:1], 3, v[4:5]
	v_mov_b32_e32 v5, s15
	v_add_co_u32_e32 v0, vcc, s14, v0
	v_addc_co_u32_e32 v1, vcc, v5, v1, vcc
	s_or_b64 s[4:5], s[4:5], exec
	s_waitcnt vmcnt(0)
	global_store_byte v4, v6, s[10:11]
.LBB167_9:
	s_branch .LBB167_24
.LBB167_10:
	s_min_u32 s12, s19, s20
	s_add_i32 s6, s12, s21
	s_min_u32 s13, s6, s20
	s_min_u32 s6, s22, s12
	s_add_i32 s22, s22, s12
	v_subrev_u32_e32 v0, s22, v4
	v_add_u32_e32 v4, s6, v0
	s_and_b64 vcc, exec, s[16:17]
	s_cbranch_vccz .LBB167_18
; %bb.11:
                                        ; implicit-def: $vgpr0_vgpr1
	s_and_saveexec_b64 s[6:7], s[2:3]
	s_cbranch_execz .LBB167_17
; %bb.12:
	s_cmp_ge_u32 s19, s13
	v_mov_b32_e32 v0, s12
	s_cbranch_scc1 .LBB167_16
; %bb.13:
	s_mov_b64 s[2:3], 0
	v_mov_b32_e32 v1, s13
	v_mov_b32_e32 v0, s12
.LBB167_14:                             ; =>This Inner Loop Header: Depth=1
	v_add_u32_e32 v5, v0, v1
	v_lshrrev_b32_e32 v5, 1, v5
	global_load_ubyte v7, v5, s[8:9]
	v_add_u32_e32 v8, 1, v5
	s_waitcnt vmcnt(0)
	v_cmp_gt_u16_sdwa s[16:17], v6, v7 src0_sel:BYTE_0 src1_sel:DWORD
	v_cndmask_b32_e64 v9, 0, 1, s[16:17]
	v_cmp_le_u16_sdwa s[16:17], v7, v6 src0_sel:DWORD src1_sel:BYTE_0
	v_cndmask_b32_e64 v7, 0, 1, s[16:17]
	v_cndmask_b32_e64 v7, v7, v9, s[0:1]
	v_and_b32_e32 v7, 1, v7
	v_cmp_eq_u32_e32 vcc, 1, v7
	v_cndmask_b32_e32 v1, v5, v1, vcc
	v_cndmask_b32_e32 v0, v0, v8, vcc
	v_cmp_ge_u32_e32 vcc, v0, v1
	s_or_b64 s[2:3], vcc, s[2:3]
	s_andn2_b64 exec, exec, s[2:3]
	s_cbranch_execnz .LBB167_14
; %bb.15:
	s_or_b64 exec, exec, s[2:3]
.LBB167_16:
	v_add_u32_e32 v0, v0, v4
	v_mov_b32_e32 v1, 0
	s_waitcnt vmcnt(0)
	global_store_byte v0, v6, s[10:11]
	v_lshlrev_b64 v[0:1], 3, v[0:1]
	v_mov_b32_e32 v5, s15
	v_add_co_u32_e32 v0, vcc, s14, v0
	v_addc_co_u32_e32 v1, vcc, v5, v1, vcc
	s_or_b64 s[4:5], s[4:5], exec
.LBB167_17:
	s_or_b64 exec, exec, s[6:7]
	s_branch .LBB167_24
.LBB167_18:
                                        ; implicit-def: $vgpr0_vgpr1
	s_cbranch_execz .LBB167_24
; %bb.19:
	s_cmp_ge_u32 s19, s13
	v_mov_b32_e32 v0, s12
	s_cbranch_scc1 .LBB167_23
; %bb.20:
	s_mov_b64 s[2:3], 0
	v_mov_b32_e32 v1, s13
	v_mov_b32_e32 v0, s12
.LBB167_21:                             ; =>This Inner Loop Header: Depth=1
	v_add_u32_e32 v5, v0, v1
	v_lshrrev_b32_e32 v5, 1, v5
	global_load_ubyte v7, v5, s[8:9]
	v_add_u32_e32 v8, 1, v5
	s_waitcnt vmcnt(0)
	v_cmp_gt_u16_sdwa s[4:5], v6, v7 src0_sel:BYTE_0 src1_sel:DWORD
	v_cndmask_b32_e64 v9, 0, 1, s[4:5]
	v_cmp_le_u16_sdwa s[4:5], v7, v6 src0_sel:DWORD src1_sel:BYTE_0
	v_cndmask_b32_e64 v7, 0, 1, s[4:5]
	v_cndmask_b32_e64 v7, v7, v9, s[0:1]
	v_and_b32_e32 v7, 1, v7
	v_cmp_eq_u32_e32 vcc, 1, v7
	v_cndmask_b32_e32 v1, v5, v1, vcc
	v_cndmask_b32_e32 v0, v0, v8, vcc
	v_cmp_ge_u32_e32 vcc, v0, v1
	s_or_b64 s[2:3], vcc, s[2:3]
	s_andn2_b64 exec, exec, s[2:3]
	s_cbranch_execnz .LBB167_21
; %bb.22:
	s_or_b64 exec, exec, s[2:3]
.LBB167_23:
	v_add_u32_e32 v0, v0, v4
	v_mov_b32_e32 v1, 0
	s_waitcnt vmcnt(0)
	global_store_byte v0, v6, s[10:11]
	v_lshlrev_b64 v[0:1], 3, v[0:1]
	v_mov_b32_e32 v4, s15
	v_add_co_u32_e32 v0, vcc, s14, v0
	v_addc_co_u32_e32 v1, vcc, v4, v1, vcc
	s_mov_b64 s[4:5], -1
.LBB167_24:
	s_and_b64 exec, exec, s[4:5]
	s_cbranch_execz .LBB167_26
; %bb.25:
	s_waitcnt vmcnt(1)
	global_store_dwordx2 v[0:1], v[2:3], off
.LBB167_26:
	s_endpgm
	.section	.rodata,"a",@progbits
	.p2align	6, 0x0
	.amdhsa_kernel _ZN7rocprim17ROCPRIM_400000_NS6detail17trampoline_kernelINS0_14default_configENS1_38merge_sort_block_merge_config_selectorIhlEEZZNS1_27merge_sort_block_merge_implIS3_PhN6thrust23THRUST_200600_302600_NS10device_ptrIlEEjNS1_19radix_merge_compareILb0ELb0EhNS0_19identity_decomposerEEEEE10hipError_tT0_T1_T2_jT3_P12ihipStream_tbPNSt15iterator_traitsISG_E10value_typeEPNSM_ISH_E10value_typeEPSI_NS1_7vsmem_tEENKUlT_SG_SH_SI_E_clIS7_S7_SB_PlEESF_SV_SG_SH_SI_EUlSV_E1_NS1_11comp_targetILNS1_3genE4ELNS1_11target_archE910ELNS1_3gpuE8ELNS1_3repE0EEENS1_36merge_oddeven_config_static_selectorELNS0_4arch9wavefront6targetE1EEEvSH_
		.amdhsa_group_segment_fixed_size 0
		.amdhsa_private_segment_fixed_size 0
		.amdhsa_kernarg_size 48
		.amdhsa_user_sgpr_count 6
		.amdhsa_user_sgpr_private_segment_buffer 1
		.amdhsa_user_sgpr_dispatch_ptr 0
		.amdhsa_user_sgpr_queue_ptr 0
		.amdhsa_user_sgpr_kernarg_segment_ptr 1
		.amdhsa_user_sgpr_dispatch_id 0
		.amdhsa_user_sgpr_flat_scratch_init 0
		.amdhsa_user_sgpr_kernarg_preload_length 0
		.amdhsa_user_sgpr_kernarg_preload_offset 0
		.amdhsa_user_sgpr_private_segment_size 0
		.amdhsa_uses_dynamic_stack 0
		.amdhsa_system_sgpr_private_segment_wavefront_offset 0
		.amdhsa_system_sgpr_workgroup_id_x 1
		.amdhsa_system_sgpr_workgroup_id_y 0
		.amdhsa_system_sgpr_workgroup_id_z 0
		.amdhsa_system_sgpr_workgroup_info 0
		.amdhsa_system_vgpr_workitem_id 0
		.amdhsa_next_free_vgpr 10
		.amdhsa_next_free_sgpr 24
		.amdhsa_accum_offset 12
		.amdhsa_reserve_vcc 1
		.amdhsa_reserve_flat_scratch 0
		.amdhsa_float_round_mode_32 0
		.amdhsa_float_round_mode_16_64 0
		.amdhsa_float_denorm_mode_32 3
		.amdhsa_float_denorm_mode_16_64 3
		.amdhsa_dx10_clamp 1
		.amdhsa_ieee_mode 1
		.amdhsa_fp16_overflow 0
		.amdhsa_tg_split 0
		.amdhsa_exception_fp_ieee_invalid_op 0
		.amdhsa_exception_fp_denorm_src 0
		.amdhsa_exception_fp_ieee_div_zero 0
		.amdhsa_exception_fp_ieee_overflow 0
		.amdhsa_exception_fp_ieee_underflow 0
		.amdhsa_exception_fp_ieee_inexact 0
		.amdhsa_exception_int_div_zero 0
	.end_amdhsa_kernel
	.section	.text._ZN7rocprim17ROCPRIM_400000_NS6detail17trampoline_kernelINS0_14default_configENS1_38merge_sort_block_merge_config_selectorIhlEEZZNS1_27merge_sort_block_merge_implIS3_PhN6thrust23THRUST_200600_302600_NS10device_ptrIlEEjNS1_19radix_merge_compareILb0ELb0EhNS0_19identity_decomposerEEEEE10hipError_tT0_T1_T2_jT3_P12ihipStream_tbPNSt15iterator_traitsISG_E10value_typeEPNSM_ISH_E10value_typeEPSI_NS1_7vsmem_tEENKUlT_SG_SH_SI_E_clIS7_S7_SB_PlEESF_SV_SG_SH_SI_EUlSV_E1_NS1_11comp_targetILNS1_3genE4ELNS1_11target_archE910ELNS1_3gpuE8ELNS1_3repE0EEENS1_36merge_oddeven_config_static_selectorELNS0_4arch9wavefront6targetE1EEEvSH_,"axG",@progbits,_ZN7rocprim17ROCPRIM_400000_NS6detail17trampoline_kernelINS0_14default_configENS1_38merge_sort_block_merge_config_selectorIhlEEZZNS1_27merge_sort_block_merge_implIS3_PhN6thrust23THRUST_200600_302600_NS10device_ptrIlEEjNS1_19radix_merge_compareILb0ELb0EhNS0_19identity_decomposerEEEEE10hipError_tT0_T1_T2_jT3_P12ihipStream_tbPNSt15iterator_traitsISG_E10value_typeEPNSM_ISH_E10value_typeEPSI_NS1_7vsmem_tEENKUlT_SG_SH_SI_E_clIS7_S7_SB_PlEESF_SV_SG_SH_SI_EUlSV_E1_NS1_11comp_targetILNS1_3genE4ELNS1_11target_archE910ELNS1_3gpuE8ELNS1_3repE0EEENS1_36merge_oddeven_config_static_selectorELNS0_4arch9wavefront6targetE1EEEvSH_,comdat
.Lfunc_end167:
	.size	_ZN7rocprim17ROCPRIM_400000_NS6detail17trampoline_kernelINS0_14default_configENS1_38merge_sort_block_merge_config_selectorIhlEEZZNS1_27merge_sort_block_merge_implIS3_PhN6thrust23THRUST_200600_302600_NS10device_ptrIlEEjNS1_19radix_merge_compareILb0ELb0EhNS0_19identity_decomposerEEEEE10hipError_tT0_T1_T2_jT3_P12ihipStream_tbPNSt15iterator_traitsISG_E10value_typeEPNSM_ISH_E10value_typeEPSI_NS1_7vsmem_tEENKUlT_SG_SH_SI_E_clIS7_S7_SB_PlEESF_SV_SG_SH_SI_EUlSV_E1_NS1_11comp_targetILNS1_3genE4ELNS1_11target_archE910ELNS1_3gpuE8ELNS1_3repE0EEENS1_36merge_oddeven_config_static_selectorELNS0_4arch9wavefront6targetE1EEEvSH_, .Lfunc_end167-_ZN7rocprim17ROCPRIM_400000_NS6detail17trampoline_kernelINS0_14default_configENS1_38merge_sort_block_merge_config_selectorIhlEEZZNS1_27merge_sort_block_merge_implIS3_PhN6thrust23THRUST_200600_302600_NS10device_ptrIlEEjNS1_19radix_merge_compareILb0ELb0EhNS0_19identity_decomposerEEEEE10hipError_tT0_T1_T2_jT3_P12ihipStream_tbPNSt15iterator_traitsISG_E10value_typeEPNSM_ISH_E10value_typeEPSI_NS1_7vsmem_tEENKUlT_SG_SH_SI_E_clIS7_S7_SB_PlEESF_SV_SG_SH_SI_EUlSV_E1_NS1_11comp_targetILNS1_3genE4ELNS1_11target_archE910ELNS1_3gpuE8ELNS1_3repE0EEENS1_36merge_oddeven_config_static_selectorELNS0_4arch9wavefront6targetE1EEEvSH_
                                        ; -- End function
	.section	.AMDGPU.csdata,"",@progbits
; Kernel info:
; codeLenInByte = 744
; NumSgprs: 28
; NumVgprs: 10
; NumAgprs: 0
; TotalNumVgprs: 10
; ScratchSize: 0
; MemoryBound: 0
; FloatMode: 240
; IeeeMode: 1
; LDSByteSize: 0 bytes/workgroup (compile time only)
; SGPRBlocks: 3
; VGPRBlocks: 1
; NumSGPRsForWavesPerEU: 28
; NumVGPRsForWavesPerEU: 10
; AccumOffset: 12
; Occupancy: 8
; WaveLimiterHint : 0
; COMPUTE_PGM_RSRC2:SCRATCH_EN: 0
; COMPUTE_PGM_RSRC2:USER_SGPR: 6
; COMPUTE_PGM_RSRC2:TRAP_HANDLER: 0
; COMPUTE_PGM_RSRC2:TGID_X_EN: 1
; COMPUTE_PGM_RSRC2:TGID_Y_EN: 0
; COMPUTE_PGM_RSRC2:TGID_Z_EN: 0
; COMPUTE_PGM_RSRC2:TIDIG_COMP_CNT: 0
; COMPUTE_PGM_RSRC3_GFX90A:ACCUM_OFFSET: 2
; COMPUTE_PGM_RSRC3_GFX90A:TG_SPLIT: 0
	.section	.text._ZN7rocprim17ROCPRIM_400000_NS6detail17trampoline_kernelINS0_14default_configENS1_38merge_sort_block_merge_config_selectorIhlEEZZNS1_27merge_sort_block_merge_implIS3_PhN6thrust23THRUST_200600_302600_NS10device_ptrIlEEjNS1_19radix_merge_compareILb0ELb0EhNS0_19identity_decomposerEEEEE10hipError_tT0_T1_T2_jT3_P12ihipStream_tbPNSt15iterator_traitsISG_E10value_typeEPNSM_ISH_E10value_typeEPSI_NS1_7vsmem_tEENKUlT_SG_SH_SI_E_clIS7_S7_SB_PlEESF_SV_SG_SH_SI_EUlSV_E1_NS1_11comp_targetILNS1_3genE3ELNS1_11target_archE908ELNS1_3gpuE7ELNS1_3repE0EEENS1_36merge_oddeven_config_static_selectorELNS0_4arch9wavefront6targetE1EEEvSH_,"axG",@progbits,_ZN7rocprim17ROCPRIM_400000_NS6detail17trampoline_kernelINS0_14default_configENS1_38merge_sort_block_merge_config_selectorIhlEEZZNS1_27merge_sort_block_merge_implIS3_PhN6thrust23THRUST_200600_302600_NS10device_ptrIlEEjNS1_19radix_merge_compareILb0ELb0EhNS0_19identity_decomposerEEEEE10hipError_tT0_T1_T2_jT3_P12ihipStream_tbPNSt15iterator_traitsISG_E10value_typeEPNSM_ISH_E10value_typeEPSI_NS1_7vsmem_tEENKUlT_SG_SH_SI_E_clIS7_S7_SB_PlEESF_SV_SG_SH_SI_EUlSV_E1_NS1_11comp_targetILNS1_3genE3ELNS1_11target_archE908ELNS1_3gpuE7ELNS1_3repE0EEENS1_36merge_oddeven_config_static_selectorELNS0_4arch9wavefront6targetE1EEEvSH_,comdat
	.protected	_ZN7rocprim17ROCPRIM_400000_NS6detail17trampoline_kernelINS0_14default_configENS1_38merge_sort_block_merge_config_selectorIhlEEZZNS1_27merge_sort_block_merge_implIS3_PhN6thrust23THRUST_200600_302600_NS10device_ptrIlEEjNS1_19radix_merge_compareILb0ELb0EhNS0_19identity_decomposerEEEEE10hipError_tT0_T1_T2_jT3_P12ihipStream_tbPNSt15iterator_traitsISG_E10value_typeEPNSM_ISH_E10value_typeEPSI_NS1_7vsmem_tEENKUlT_SG_SH_SI_E_clIS7_S7_SB_PlEESF_SV_SG_SH_SI_EUlSV_E1_NS1_11comp_targetILNS1_3genE3ELNS1_11target_archE908ELNS1_3gpuE7ELNS1_3repE0EEENS1_36merge_oddeven_config_static_selectorELNS0_4arch9wavefront6targetE1EEEvSH_ ; -- Begin function _ZN7rocprim17ROCPRIM_400000_NS6detail17trampoline_kernelINS0_14default_configENS1_38merge_sort_block_merge_config_selectorIhlEEZZNS1_27merge_sort_block_merge_implIS3_PhN6thrust23THRUST_200600_302600_NS10device_ptrIlEEjNS1_19radix_merge_compareILb0ELb0EhNS0_19identity_decomposerEEEEE10hipError_tT0_T1_T2_jT3_P12ihipStream_tbPNSt15iterator_traitsISG_E10value_typeEPNSM_ISH_E10value_typeEPSI_NS1_7vsmem_tEENKUlT_SG_SH_SI_E_clIS7_S7_SB_PlEESF_SV_SG_SH_SI_EUlSV_E1_NS1_11comp_targetILNS1_3genE3ELNS1_11target_archE908ELNS1_3gpuE7ELNS1_3repE0EEENS1_36merge_oddeven_config_static_selectorELNS0_4arch9wavefront6targetE1EEEvSH_
	.globl	_ZN7rocprim17ROCPRIM_400000_NS6detail17trampoline_kernelINS0_14default_configENS1_38merge_sort_block_merge_config_selectorIhlEEZZNS1_27merge_sort_block_merge_implIS3_PhN6thrust23THRUST_200600_302600_NS10device_ptrIlEEjNS1_19radix_merge_compareILb0ELb0EhNS0_19identity_decomposerEEEEE10hipError_tT0_T1_T2_jT3_P12ihipStream_tbPNSt15iterator_traitsISG_E10value_typeEPNSM_ISH_E10value_typeEPSI_NS1_7vsmem_tEENKUlT_SG_SH_SI_E_clIS7_S7_SB_PlEESF_SV_SG_SH_SI_EUlSV_E1_NS1_11comp_targetILNS1_3genE3ELNS1_11target_archE908ELNS1_3gpuE7ELNS1_3repE0EEENS1_36merge_oddeven_config_static_selectorELNS0_4arch9wavefront6targetE1EEEvSH_
	.p2align	8
	.type	_ZN7rocprim17ROCPRIM_400000_NS6detail17trampoline_kernelINS0_14default_configENS1_38merge_sort_block_merge_config_selectorIhlEEZZNS1_27merge_sort_block_merge_implIS3_PhN6thrust23THRUST_200600_302600_NS10device_ptrIlEEjNS1_19radix_merge_compareILb0ELb0EhNS0_19identity_decomposerEEEEE10hipError_tT0_T1_T2_jT3_P12ihipStream_tbPNSt15iterator_traitsISG_E10value_typeEPNSM_ISH_E10value_typeEPSI_NS1_7vsmem_tEENKUlT_SG_SH_SI_E_clIS7_S7_SB_PlEESF_SV_SG_SH_SI_EUlSV_E1_NS1_11comp_targetILNS1_3genE3ELNS1_11target_archE908ELNS1_3gpuE7ELNS1_3repE0EEENS1_36merge_oddeven_config_static_selectorELNS0_4arch9wavefront6targetE1EEEvSH_,@function
_ZN7rocprim17ROCPRIM_400000_NS6detail17trampoline_kernelINS0_14default_configENS1_38merge_sort_block_merge_config_selectorIhlEEZZNS1_27merge_sort_block_merge_implIS3_PhN6thrust23THRUST_200600_302600_NS10device_ptrIlEEjNS1_19radix_merge_compareILb0ELb0EhNS0_19identity_decomposerEEEEE10hipError_tT0_T1_T2_jT3_P12ihipStream_tbPNSt15iterator_traitsISG_E10value_typeEPNSM_ISH_E10value_typeEPSI_NS1_7vsmem_tEENKUlT_SG_SH_SI_E_clIS7_S7_SB_PlEESF_SV_SG_SH_SI_EUlSV_E1_NS1_11comp_targetILNS1_3genE3ELNS1_11target_archE908ELNS1_3gpuE7ELNS1_3repE0EEENS1_36merge_oddeven_config_static_selectorELNS0_4arch9wavefront6targetE1EEEvSH_: ; @_ZN7rocprim17ROCPRIM_400000_NS6detail17trampoline_kernelINS0_14default_configENS1_38merge_sort_block_merge_config_selectorIhlEEZZNS1_27merge_sort_block_merge_implIS3_PhN6thrust23THRUST_200600_302600_NS10device_ptrIlEEjNS1_19radix_merge_compareILb0ELb0EhNS0_19identity_decomposerEEEEE10hipError_tT0_T1_T2_jT3_P12ihipStream_tbPNSt15iterator_traitsISG_E10value_typeEPNSM_ISH_E10value_typeEPSI_NS1_7vsmem_tEENKUlT_SG_SH_SI_E_clIS7_S7_SB_PlEESF_SV_SG_SH_SI_EUlSV_E1_NS1_11comp_targetILNS1_3genE3ELNS1_11target_archE908ELNS1_3gpuE7ELNS1_3repE0EEENS1_36merge_oddeven_config_static_selectorELNS0_4arch9wavefront6targetE1EEEvSH_
; %bb.0:
	.section	.rodata,"a",@progbits
	.p2align	6, 0x0
	.amdhsa_kernel _ZN7rocprim17ROCPRIM_400000_NS6detail17trampoline_kernelINS0_14default_configENS1_38merge_sort_block_merge_config_selectorIhlEEZZNS1_27merge_sort_block_merge_implIS3_PhN6thrust23THRUST_200600_302600_NS10device_ptrIlEEjNS1_19radix_merge_compareILb0ELb0EhNS0_19identity_decomposerEEEEE10hipError_tT0_T1_T2_jT3_P12ihipStream_tbPNSt15iterator_traitsISG_E10value_typeEPNSM_ISH_E10value_typeEPSI_NS1_7vsmem_tEENKUlT_SG_SH_SI_E_clIS7_S7_SB_PlEESF_SV_SG_SH_SI_EUlSV_E1_NS1_11comp_targetILNS1_3genE3ELNS1_11target_archE908ELNS1_3gpuE7ELNS1_3repE0EEENS1_36merge_oddeven_config_static_selectorELNS0_4arch9wavefront6targetE1EEEvSH_
		.amdhsa_group_segment_fixed_size 0
		.amdhsa_private_segment_fixed_size 0
		.amdhsa_kernarg_size 48
		.amdhsa_user_sgpr_count 6
		.amdhsa_user_sgpr_private_segment_buffer 1
		.amdhsa_user_sgpr_dispatch_ptr 0
		.amdhsa_user_sgpr_queue_ptr 0
		.amdhsa_user_sgpr_kernarg_segment_ptr 1
		.amdhsa_user_sgpr_dispatch_id 0
		.amdhsa_user_sgpr_flat_scratch_init 0
		.amdhsa_user_sgpr_kernarg_preload_length 0
		.amdhsa_user_sgpr_kernarg_preload_offset 0
		.amdhsa_user_sgpr_private_segment_size 0
		.amdhsa_uses_dynamic_stack 0
		.amdhsa_system_sgpr_private_segment_wavefront_offset 0
		.amdhsa_system_sgpr_workgroup_id_x 1
		.amdhsa_system_sgpr_workgroup_id_y 0
		.amdhsa_system_sgpr_workgroup_id_z 0
		.amdhsa_system_sgpr_workgroup_info 0
		.amdhsa_system_vgpr_workitem_id 0
		.amdhsa_next_free_vgpr 1
		.amdhsa_next_free_sgpr 0
		.amdhsa_accum_offset 4
		.amdhsa_reserve_vcc 0
		.amdhsa_reserve_flat_scratch 0
		.amdhsa_float_round_mode_32 0
		.amdhsa_float_round_mode_16_64 0
		.amdhsa_float_denorm_mode_32 3
		.amdhsa_float_denorm_mode_16_64 3
		.amdhsa_dx10_clamp 1
		.amdhsa_ieee_mode 1
		.amdhsa_fp16_overflow 0
		.amdhsa_tg_split 0
		.amdhsa_exception_fp_ieee_invalid_op 0
		.amdhsa_exception_fp_denorm_src 0
		.amdhsa_exception_fp_ieee_div_zero 0
		.amdhsa_exception_fp_ieee_overflow 0
		.amdhsa_exception_fp_ieee_underflow 0
		.amdhsa_exception_fp_ieee_inexact 0
		.amdhsa_exception_int_div_zero 0
	.end_amdhsa_kernel
	.section	.text._ZN7rocprim17ROCPRIM_400000_NS6detail17trampoline_kernelINS0_14default_configENS1_38merge_sort_block_merge_config_selectorIhlEEZZNS1_27merge_sort_block_merge_implIS3_PhN6thrust23THRUST_200600_302600_NS10device_ptrIlEEjNS1_19radix_merge_compareILb0ELb0EhNS0_19identity_decomposerEEEEE10hipError_tT0_T1_T2_jT3_P12ihipStream_tbPNSt15iterator_traitsISG_E10value_typeEPNSM_ISH_E10value_typeEPSI_NS1_7vsmem_tEENKUlT_SG_SH_SI_E_clIS7_S7_SB_PlEESF_SV_SG_SH_SI_EUlSV_E1_NS1_11comp_targetILNS1_3genE3ELNS1_11target_archE908ELNS1_3gpuE7ELNS1_3repE0EEENS1_36merge_oddeven_config_static_selectorELNS0_4arch9wavefront6targetE1EEEvSH_,"axG",@progbits,_ZN7rocprim17ROCPRIM_400000_NS6detail17trampoline_kernelINS0_14default_configENS1_38merge_sort_block_merge_config_selectorIhlEEZZNS1_27merge_sort_block_merge_implIS3_PhN6thrust23THRUST_200600_302600_NS10device_ptrIlEEjNS1_19radix_merge_compareILb0ELb0EhNS0_19identity_decomposerEEEEE10hipError_tT0_T1_T2_jT3_P12ihipStream_tbPNSt15iterator_traitsISG_E10value_typeEPNSM_ISH_E10value_typeEPSI_NS1_7vsmem_tEENKUlT_SG_SH_SI_E_clIS7_S7_SB_PlEESF_SV_SG_SH_SI_EUlSV_E1_NS1_11comp_targetILNS1_3genE3ELNS1_11target_archE908ELNS1_3gpuE7ELNS1_3repE0EEENS1_36merge_oddeven_config_static_selectorELNS0_4arch9wavefront6targetE1EEEvSH_,comdat
.Lfunc_end168:
	.size	_ZN7rocprim17ROCPRIM_400000_NS6detail17trampoline_kernelINS0_14default_configENS1_38merge_sort_block_merge_config_selectorIhlEEZZNS1_27merge_sort_block_merge_implIS3_PhN6thrust23THRUST_200600_302600_NS10device_ptrIlEEjNS1_19radix_merge_compareILb0ELb0EhNS0_19identity_decomposerEEEEE10hipError_tT0_T1_T2_jT3_P12ihipStream_tbPNSt15iterator_traitsISG_E10value_typeEPNSM_ISH_E10value_typeEPSI_NS1_7vsmem_tEENKUlT_SG_SH_SI_E_clIS7_S7_SB_PlEESF_SV_SG_SH_SI_EUlSV_E1_NS1_11comp_targetILNS1_3genE3ELNS1_11target_archE908ELNS1_3gpuE7ELNS1_3repE0EEENS1_36merge_oddeven_config_static_selectorELNS0_4arch9wavefront6targetE1EEEvSH_, .Lfunc_end168-_ZN7rocprim17ROCPRIM_400000_NS6detail17trampoline_kernelINS0_14default_configENS1_38merge_sort_block_merge_config_selectorIhlEEZZNS1_27merge_sort_block_merge_implIS3_PhN6thrust23THRUST_200600_302600_NS10device_ptrIlEEjNS1_19radix_merge_compareILb0ELb0EhNS0_19identity_decomposerEEEEE10hipError_tT0_T1_T2_jT3_P12ihipStream_tbPNSt15iterator_traitsISG_E10value_typeEPNSM_ISH_E10value_typeEPSI_NS1_7vsmem_tEENKUlT_SG_SH_SI_E_clIS7_S7_SB_PlEESF_SV_SG_SH_SI_EUlSV_E1_NS1_11comp_targetILNS1_3genE3ELNS1_11target_archE908ELNS1_3gpuE7ELNS1_3repE0EEENS1_36merge_oddeven_config_static_selectorELNS0_4arch9wavefront6targetE1EEEvSH_
                                        ; -- End function
	.section	.AMDGPU.csdata,"",@progbits
; Kernel info:
; codeLenInByte = 0
; NumSgprs: 4
; NumVgprs: 0
; NumAgprs: 0
; TotalNumVgprs: 0
; ScratchSize: 0
; MemoryBound: 0
; FloatMode: 240
; IeeeMode: 1
; LDSByteSize: 0 bytes/workgroup (compile time only)
; SGPRBlocks: 0
; VGPRBlocks: 0
; NumSGPRsForWavesPerEU: 4
; NumVGPRsForWavesPerEU: 1
; AccumOffset: 4
; Occupancy: 8
; WaveLimiterHint : 0
; COMPUTE_PGM_RSRC2:SCRATCH_EN: 0
; COMPUTE_PGM_RSRC2:USER_SGPR: 6
; COMPUTE_PGM_RSRC2:TRAP_HANDLER: 0
; COMPUTE_PGM_RSRC2:TGID_X_EN: 1
; COMPUTE_PGM_RSRC2:TGID_Y_EN: 0
; COMPUTE_PGM_RSRC2:TGID_Z_EN: 0
; COMPUTE_PGM_RSRC2:TIDIG_COMP_CNT: 0
; COMPUTE_PGM_RSRC3_GFX90A:ACCUM_OFFSET: 0
; COMPUTE_PGM_RSRC3_GFX90A:TG_SPLIT: 0
	.section	.text._ZN7rocprim17ROCPRIM_400000_NS6detail17trampoline_kernelINS0_14default_configENS1_38merge_sort_block_merge_config_selectorIhlEEZZNS1_27merge_sort_block_merge_implIS3_PhN6thrust23THRUST_200600_302600_NS10device_ptrIlEEjNS1_19radix_merge_compareILb0ELb0EhNS0_19identity_decomposerEEEEE10hipError_tT0_T1_T2_jT3_P12ihipStream_tbPNSt15iterator_traitsISG_E10value_typeEPNSM_ISH_E10value_typeEPSI_NS1_7vsmem_tEENKUlT_SG_SH_SI_E_clIS7_S7_SB_PlEESF_SV_SG_SH_SI_EUlSV_E1_NS1_11comp_targetILNS1_3genE2ELNS1_11target_archE906ELNS1_3gpuE6ELNS1_3repE0EEENS1_36merge_oddeven_config_static_selectorELNS0_4arch9wavefront6targetE1EEEvSH_,"axG",@progbits,_ZN7rocprim17ROCPRIM_400000_NS6detail17trampoline_kernelINS0_14default_configENS1_38merge_sort_block_merge_config_selectorIhlEEZZNS1_27merge_sort_block_merge_implIS3_PhN6thrust23THRUST_200600_302600_NS10device_ptrIlEEjNS1_19radix_merge_compareILb0ELb0EhNS0_19identity_decomposerEEEEE10hipError_tT0_T1_T2_jT3_P12ihipStream_tbPNSt15iterator_traitsISG_E10value_typeEPNSM_ISH_E10value_typeEPSI_NS1_7vsmem_tEENKUlT_SG_SH_SI_E_clIS7_S7_SB_PlEESF_SV_SG_SH_SI_EUlSV_E1_NS1_11comp_targetILNS1_3genE2ELNS1_11target_archE906ELNS1_3gpuE6ELNS1_3repE0EEENS1_36merge_oddeven_config_static_selectorELNS0_4arch9wavefront6targetE1EEEvSH_,comdat
	.protected	_ZN7rocprim17ROCPRIM_400000_NS6detail17trampoline_kernelINS0_14default_configENS1_38merge_sort_block_merge_config_selectorIhlEEZZNS1_27merge_sort_block_merge_implIS3_PhN6thrust23THRUST_200600_302600_NS10device_ptrIlEEjNS1_19radix_merge_compareILb0ELb0EhNS0_19identity_decomposerEEEEE10hipError_tT0_T1_T2_jT3_P12ihipStream_tbPNSt15iterator_traitsISG_E10value_typeEPNSM_ISH_E10value_typeEPSI_NS1_7vsmem_tEENKUlT_SG_SH_SI_E_clIS7_S7_SB_PlEESF_SV_SG_SH_SI_EUlSV_E1_NS1_11comp_targetILNS1_3genE2ELNS1_11target_archE906ELNS1_3gpuE6ELNS1_3repE0EEENS1_36merge_oddeven_config_static_selectorELNS0_4arch9wavefront6targetE1EEEvSH_ ; -- Begin function _ZN7rocprim17ROCPRIM_400000_NS6detail17trampoline_kernelINS0_14default_configENS1_38merge_sort_block_merge_config_selectorIhlEEZZNS1_27merge_sort_block_merge_implIS3_PhN6thrust23THRUST_200600_302600_NS10device_ptrIlEEjNS1_19radix_merge_compareILb0ELb0EhNS0_19identity_decomposerEEEEE10hipError_tT0_T1_T2_jT3_P12ihipStream_tbPNSt15iterator_traitsISG_E10value_typeEPNSM_ISH_E10value_typeEPSI_NS1_7vsmem_tEENKUlT_SG_SH_SI_E_clIS7_S7_SB_PlEESF_SV_SG_SH_SI_EUlSV_E1_NS1_11comp_targetILNS1_3genE2ELNS1_11target_archE906ELNS1_3gpuE6ELNS1_3repE0EEENS1_36merge_oddeven_config_static_selectorELNS0_4arch9wavefront6targetE1EEEvSH_
	.globl	_ZN7rocprim17ROCPRIM_400000_NS6detail17trampoline_kernelINS0_14default_configENS1_38merge_sort_block_merge_config_selectorIhlEEZZNS1_27merge_sort_block_merge_implIS3_PhN6thrust23THRUST_200600_302600_NS10device_ptrIlEEjNS1_19radix_merge_compareILb0ELb0EhNS0_19identity_decomposerEEEEE10hipError_tT0_T1_T2_jT3_P12ihipStream_tbPNSt15iterator_traitsISG_E10value_typeEPNSM_ISH_E10value_typeEPSI_NS1_7vsmem_tEENKUlT_SG_SH_SI_E_clIS7_S7_SB_PlEESF_SV_SG_SH_SI_EUlSV_E1_NS1_11comp_targetILNS1_3genE2ELNS1_11target_archE906ELNS1_3gpuE6ELNS1_3repE0EEENS1_36merge_oddeven_config_static_selectorELNS0_4arch9wavefront6targetE1EEEvSH_
	.p2align	8
	.type	_ZN7rocprim17ROCPRIM_400000_NS6detail17trampoline_kernelINS0_14default_configENS1_38merge_sort_block_merge_config_selectorIhlEEZZNS1_27merge_sort_block_merge_implIS3_PhN6thrust23THRUST_200600_302600_NS10device_ptrIlEEjNS1_19radix_merge_compareILb0ELb0EhNS0_19identity_decomposerEEEEE10hipError_tT0_T1_T2_jT3_P12ihipStream_tbPNSt15iterator_traitsISG_E10value_typeEPNSM_ISH_E10value_typeEPSI_NS1_7vsmem_tEENKUlT_SG_SH_SI_E_clIS7_S7_SB_PlEESF_SV_SG_SH_SI_EUlSV_E1_NS1_11comp_targetILNS1_3genE2ELNS1_11target_archE906ELNS1_3gpuE6ELNS1_3repE0EEENS1_36merge_oddeven_config_static_selectorELNS0_4arch9wavefront6targetE1EEEvSH_,@function
_ZN7rocprim17ROCPRIM_400000_NS6detail17trampoline_kernelINS0_14default_configENS1_38merge_sort_block_merge_config_selectorIhlEEZZNS1_27merge_sort_block_merge_implIS3_PhN6thrust23THRUST_200600_302600_NS10device_ptrIlEEjNS1_19radix_merge_compareILb0ELb0EhNS0_19identity_decomposerEEEEE10hipError_tT0_T1_T2_jT3_P12ihipStream_tbPNSt15iterator_traitsISG_E10value_typeEPNSM_ISH_E10value_typeEPSI_NS1_7vsmem_tEENKUlT_SG_SH_SI_E_clIS7_S7_SB_PlEESF_SV_SG_SH_SI_EUlSV_E1_NS1_11comp_targetILNS1_3genE2ELNS1_11target_archE906ELNS1_3gpuE6ELNS1_3repE0EEENS1_36merge_oddeven_config_static_selectorELNS0_4arch9wavefront6targetE1EEEvSH_: ; @_ZN7rocprim17ROCPRIM_400000_NS6detail17trampoline_kernelINS0_14default_configENS1_38merge_sort_block_merge_config_selectorIhlEEZZNS1_27merge_sort_block_merge_implIS3_PhN6thrust23THRUST_200600_302600_NS10device_ptrIlEEjNS1_19radix_merge_compareILb0ELb0EhNS0_19identity_decomposerEEEEE10hipError_tT0_T1_T2_jT3_P12ihipStream_tbPNSt15iterator_traitsISG_E10value_typeEPNSM_ISH_E10value_typeEPSI_NS1_7vsmem_tEENKUlT_SG_SH_SI_E_clIS7_S7_SB_PlEESF_SV_SG_SH_SI_EUlSV_E1_NS1_11comp_targetILNS1_3genE2ELNS1_11target_archE906ELNS1_3gpuE6ELNS1_3repE0EEENS1_36merge_oddeven_config_static_selectorELNS0_4arch9wavefront6targetE1EEEvSH_
; %bb.0:
	.section	.rodata,"a",@progbits
	.p2align	6, 0x0
	.amdhsa_kernel _ZN7rocprim17ROCPRIM_400000_NS6detail17trampoline_kernelINS0_14default_configENS1_38merge_sort_block_merge_config_selectorIhlEEZZNS1_27merge_sort_block_merge_implIS3_PhN6thrust23THRUST_200600_302600_NS10device_ptrIlEEjNS1_19radix_merge_compareILb0ELb0EhNS0_19identity_decomposerEEEEE10hipError_tT0_T1_T2_jT3_P12ihipStream_tbPNSt15iterator_traitsISG_E10value_typeEPNSM_ISH_E10value_typeEPSI_NS1_7vsmem_tEENKUlT_SG_SH_SI_E_clIS7_S7_SB_PlEESF_SV_SG_SH_SI_EUlSV_E1_NS1_11comp_targetILNS1_3genE2ELNS1_11target_archE906ELNS1_3gpuE6ELNS1_3repE0EEENS1_36merge_oddeven_config_static_selectorELNS0_4arch9wavefront6targetE1EEEvSH_
		.amdhsa_group_segment_fixed_size 0
		.amdhsa_private_segment_fixed_size 0
		.amdhsa_kernarg_size 48
		.amdhsa_user_sgpr_count 6
		.amdhsa_user_sgpr_private_segment_buffer 1
		.amdhsa_user_sgpr_dispatch_ptr 0
		.amdhsa_user_sgpr_queue_ptr 0
		.amdhsa_user_sgpr_kernarg_segment_ptr 1
		.amdhsa_user_sgpr_dispatch_id 0
		.amdhsa_user_sgpr_flat_scratch_init 0
		.amdhsa_user_sgpr_kernarg_preload_length 0
		.amdhsa_user_sgpr_kernarg_preload_offset 0
		.amdhsa_user_sgpr_private_segment_size 0
		.amdhsa_uses_dynamic_stack 0
		.amdhsa_system_sgpr_private_segment_wavefront_offset 0
		.amdhsa_system_sgpr_workgroup_id_x 1
		.amdhsa_system_sgpr_workgroup_id_y 0
		.amdhsa_system_sgpr_workgroup_id_z 0
		.amdhsa_system_sgpr_workgroup_info 0
		.amdhsa_system_vgpr_workitem_id 0
		.amdhsa_next_free_vgpr 1
		.amdhsa_next_free_sgpr 0
		.amdhsa_accum_offset 4
		.amdhsa_reserve_vcc 0
		.amdhsa_reserve_flat_scratch 0
		.amdhsa_float_round_mode_32 0
		.amdhsa_float_round_mode_16_64 0
		.amdhsa_float_denorm_mode_32 3
		.amdhsa_float_denorm_mode_16_64 3
		.amdhsa_dx10_clamp 1
		.amdhsa_ieee_mode 1
		.amdhsa_fp16_overflow 0
		.amdhsa_tg_split 0
		.amdhsa_exception_fp_ieee_invalid_op 0
		.amdhsa_exception_fp_denorm_src 0
		.amdhsa_exception_fp_ieee_div_zero 0
		.amdhsa_exception_fp_ieee_overflow 0
		.amdhsa_exception_fp_ieee_underflow 0
		.amdhsa_exception_fp_ieee_inexact 0
		.amdhsa_exception_int_div_zero 0
	.end_amdhsa_kernel
	.section	.text._ZN7rocprim17ROCPRIM_400000_NS6detail17trampoline_kernelINS0_14default_configENS1_38merge_sort_block_merge_config_selectorIhlEEZZNS1_27merge_sort_block_merge_implIS3_PhN6thrust23THRUST_200600_302600_NS10device_ptrIlEEjNS1_19radix_merge_compareILb0ELb0EhNS0_19identity_decomposerEEEEE10hipError_tT0_T1_T2_jT3_P12ihipStream_tbPNSt15iterator_traitsISG_E10value_typeEPNSM_ISH_E10value_typeEPSI_NS1_7vsmem_tEENKUlT_SG_SH_SI_E_clIS7_S7_SB_PlEESF_SV_SG_SH_SI_EUlSV_E1_NS1_11comp_targetILNS1_3genE2ELNS1_11target_archE906ELNS1_3gpuE6ELNS1_3repE0EEENS1_36merge_oddeven_config_static_selectorELNS0_4arch9wavefront6targetE1EEEvSH_,"axG",@progbits,_ZN7rocprim17ROCPRIM_400000_NS6detail17trampoline_kernelINS0_14default_configENS1_38merge_sort_block_merge_config_selectorIhlEEZZNS1_27merge_sort_block_merge_implIS3_PhN6thrust23THRUST_200600_302600_NS10device_ptrIlEEjNS1_19radix_merge_compareILb0ELb0EhNS0_19identity_decomposerEEEEE10hipError_tT0_T1_T2_jT3_P12ihipStream_tbPNSt15iterator_traitsISG_E10value_typeEPNSM_ISH_E10value_typeEPSI_NS1_7vsmem_tEENKUlT_SG_SH_SI_E_clIS7_S7_SB_PlEESF_SV_SG_SH_SI_EUlSV_E1_NS1_11comp_targetILNS1_3genE2ELNS1_11target_archE906ELNS1_3gpuE6ELNS1_3repE0EEENS1_36merge_oddeven_config_static_selectorELNS0_4arch9wavefront6targetE1EEEvSH_,comdat
.Lfunc_end169:
	.size	_ZN7rocprim17ROCPRIM_400000_NS6detail17trampoline_kernelINS0_14default_configENS1_38merge_sort_block_merge_config_selectorIhlEEZZNS1_27merge_sort_block_merge_implIS3_PhN6thrust23THRUST_200600_302600_NS10device_ptrIlEEjNS1_19radix_merge_compareILb0ELb0EhNS0_19identity_decomposerEEEEE10hipError_tT0_T1_T2_jT3_P12ihipStream_tbPNSt15iterator_traitsISG_E10value_typeEPNSM_ISH_E10value_typeEPSI_NS1_7vsmem_tEENKUlT_SG_SH_SI_E_clIS7_S7_SB_PlEESF_SV_SG_SH_SI_EUlSV_E1_NS1_11comp_targetILNS1_3genE2ELNS1_11target_archE906ELNS1_3gpuE6ELNS1_3repE0EEENS1_36merge_oddeven_config_static_selectorELNS0_4arch9wavefront6targetE1EEEvSH_, .Lfunc_end169-_ZN7rocprim17ROCPRIM_400000_NS6detail17trampoline_kernelINS0_14default_configENS1_38merge_sort_block_merge_config_selectorIhlEEZZNS1_27merge_sort_block_merge_implIS3_PhN6thrust23THRUST_200600_302600_NS10device_ptrIlEEjNS1_19radix_merge_compareILb0ELb0EhNS0_19identity_decomposerEEEEE10hipError_tT0_T1_T2_jT3_P12ihipStream_tbPNSt15iterator_traitsISG_E10value_typeEPNSM_ISH_E10value_typeEPSI_NS1_7vsmem_tEENKUlT_SG_SH_SI_E_clIS7_S7_SB_PlEESF_SV_SG_SH_SI_EUlSV_E1_NS1_11comp_targetILNS1_3genE2ELNS1_11target_archE906ELNS1_3gpuE6ELNS1_3repE0EEENS1_36merge_oddeven_config_static_selectorELNS0_4arch9wavefront6targetE1EEEvSH_
                                        ; -- End function
	.section	.AMDGPU.csdata,"",@progbits
; Kernel info:
; codeLenInByte = 0
; NumSgprs: 4
; NumVgprs: 0
; NumAgprs: 0
; TotalNumVgprs: 0
; ScratchSize: 0
; MemoryBound: 0
; FloatMode: 240
; IeeeMode: 1
; LDSByteSize: 0 bytes/workgroup (compile time only)
; SGPRBlocks: 0
; VGPRBlocks: 0
; NumSGPRsForWavesPerEU: 4
; NumVGPRsForWavesPerEU: 1
; AccumOffset: 4
; Occupancy: 8
; WaveLimiterHint : 0
; COMPUTE_PGM_RSRC2:SCRATCH_EN: 0
; COMPUTE_PGM_RSRC2:USER_SGPR: 6
; COMPUTE_PGM_RSRC2:TRAP_HANDLER: 0
; COMPUTE_PGM_RSRC2:TGID_X_EN: 1
; COMPUTE_PGM_RSRC2:TGID_Y_EN: 0
; COMPUTE_PGM_RSRC2:TGID_Z_EN: 0
; COMPUTE_PGM_RSRC2:TIDIG_COMP_CNT: 0
; COMPUTE_PGM_RSRC3_GFX90A:ACCUM_OFFSET: 0
; COMPUTE_PGM_RSRC3_GFX90A:TG_SPLIT: 0
	.section	.text._ZN7rocprim17ROCPRIM_400000_NS6detail17trampoline_kernelINS0_14default_configENS1_38merge_sort_block_merge_config_selectorIhlEEZZNS1_27merge_sort_block_merge_implIS3_PhN6thrust23THRUST_200600_302600_NS10device_ptrIlEEjNS1_19radix_merge_compareILb0ELb0EhNS0_19identity_decomposerEEEEE10hipError_tT0_T1_T2_jT3_P12ihipStream_tbPNSt15iterator_traitsISG_E10value_typeEPNSM_ISH_E10value_typeEPSI_NS1_7vsmem_tEENKUlT_SG_SH_SI_E_clIS7_S7_SB_PlEESF_SV_SG_SH_SI_EUlSV_E1_NS1_11comp_targetILNS1_3genE9ELNS1_11target_archE1100ELNS1_3gpuE3ELNS1_3repE0EEENS1_36merge_oddeven_config_static_selectorELNS0_4arch9wavefront6targetE1EEEvSH_,"axG",@progbits,_ZN7rocprim17ROCPRIM_400000_NS6detail17trampoline_kernelINS0_14default_configENS1_38merge_sort_block_merge_config_selectorIhlEEZZNS1_27merge_sort_block_merge_implIS3_PhN6thrust23THRUST_200600_302600_NS10device_ptrIlEEjNS1_19radix_merge_compareILb0ELb0EhNS0_19identity_decomposerEEEEE10hipError_tT0_T1_T2_jT3_P12ihipStream_tbPNSt15iterator_traitsISG_E10value_typeEPNSM_ISH_E10value_typeEPSI_NS1_7vsmem_tEENKUlT_SG_SH_SI_E_clIS7_S7_SB_PlEESF_SV_SG_SH_SI_EUlSV_E1_NS1_11comp_targetILNS1_3genE9ELNS1_11target_archE1100ELNS1_3gpuE3ELNS1_3repE0EEENS1_36merge_oddeven_config_static_selectorELNS0_4arch9wavefront6targetE1EEEvSH_,comdat
	.protected	_ZN7rocprim17ROCPRIM_400000_NS6detail17trampoline_kernelINS0_14default_configENS1_38merge_sort_block_merge_config_selectorIhlEEZZNS1_27merge_sort_block_merge_implIS3_PhN6thrust23THRUST_200600_302600_NS10device_ptrIlEEjNS1_19radix_merge_compareILb0ELb0EhNS0_19identity_decomposerEEEEE10hipError_tT0_T1_T2_jT3_P12ihipStream_tbPNSt15iterator_traitsISG_E10value_typeEPNSM_ISH_E10value_typeEPSI_NS1_7vsmem_tEENKUlT_SG_SH_SI_E_clIS7_S7_SB_PlEESF_SV_SG_SH_SI_EUlSV_E1_NS1_11comp_targetILNS1_3genE9ELNS1_11target_archE1100ELNS1_3gpuE3ELNS1_3repE0EEENS1_36merge_oddeven_config_static_selectorELNS0_4arch9wavefront6targetE1EEEvSH_ ; -- Begin function _ZN7rocprim17ROCPRIM_400000_NS6detail17trampoline_kernelINS0_14default_configENS1_38merge_sort_block_merge_config_selectorIhlEEZZNS1_27merge_sort_block_merge_implIS3_PhN6thrust23THRUST_200600_302600_NS10device_ptrIlEEjNS1_19radix_merge_compareILb0ELb0EhNS0_19identity_decomposerEEEEE10hipError_tT0_T1_T2_jT3_P12ihipStream_tbPNSt15iterator_traitsISG_E10value_typeEPNSM_ISH_E10value_typeEPSI_NS1_7vsmem_tEENKUlT_SG_SH_SI_E_clIS7_S7_SB_PlEESF_SV_SG_SH_SI_EUlSV_E1_NS1_11comp_targetILNS1_3genE9ELNS1_11target_archE1100ELNS1_3gpuE3ELNS1_3repE0EEENS1_36merge_oddeven_config_static_selectorELNS0_4arch9wavefront6targetE1EEEvSH_
	.globl	_ZN7rocprim17ROCPRIM_400000_NS6detail17trampoline_kernelINS0_14default_configENS1_38merge_sort_block_merge_config_selectorIhlEEZZNS1_27merge_sort_block_merge_implIS3_PhN6thrust23THRUST_200600_302600_NS10device_ptrIlEEjNS1_19radix_merge_compareILb0ELb0EhNS0_19identity_decomposerEEEEE10hipError_tT0_T1_T2_jT3_P12ihipStream_tbPNSt15iterator_traitsISG_E10value_typeEPNSM_ISH_E10value_typeEPSI_NS1_7vsmem_tEENKUlT_SG_SH_SI_E_clIS7_S7_SB_PlEESF_SV_SG_SH_SI_EUlSV_E1_NS1_11comp_targetILNS1_3genE9ELNS1_11target_archE1100ELNS1_3gpuE3ELNS1_3repE0EEENS1_36merge_oddeven_config_static_selectorELNS0_4arch9wavefront6targetE1EEEvSH_
	.p2align	8
	.type	_ZN7rocprim17ROCPRIM_400000_NS6detail17trampoline_kernelINS0_14default_configENS1_38merge_sort_block_merge_config_selectorIhlEEZZNS1_27merge_sort_block_merge_implIS3_PhN6thrust23THRUST_200600_302600_NS10device_ptrIlEEjNS1_19radix_merge_compareILb0ELb0EhNS0_19identity_decomposerEEEEE10hipError_tT0_T1_T2_jT3_P12ihipStream_tbPNSt15iterator_traitsISG_E10value_typeEPNSM_ISH_E10value_typeEPSI_NS1_7vsmem_tEENKUlT_SG_SH_SI_E_clIS7_S7_SB_PlEESF_SV_SG_SH_SI_EUlSV_E1_NS1_11comp_targetILNS1_3genE9ELNS1_11target_archE1100ELNS1_3gpuE3ELNS1_3repE0EEENS1_36merge_oddeven_config_static_selectorELNS0_4arch9wavefront6targetE1EEEvSH_,@function
_ZN7rocprim17ROCPRIM_400000_NS6detail17trampoline_kernelINS0_14default_configENS1_38merge_sort_block_merge_config_selectorIhlEEZZNS1_27merge_sort_block_merge_implIS3_PhN6thrust23THRUST_200600_302600_NS10device_ptrIlEEjNS1_19radix_merge_compareILb0ELb0EhNS0_19identity_decomposerEEEEE10hipError_tT0_T1_T2_jT3_P12ihipStream_tbPNSt15iterator_traitsISG_E10value_typeEPNSM_ISH_E10value_typeEPSI_NS1_7vsmem_tEENKUlT_SG_SH_SI_E_clIS7_S7_SB_PlEESF_SV_SG_SH_SI_EUlSV_E1_NS1_11comp_targetILNS1_3genE9ELNS1_11target_archE1100ELNS1_3gpuE3ELNS1_3repE0EEENS1_36merge_oddeven_config_static_selectorELNS0_4arch9wavefront6targetE1EEEvSH_: ; @_ZN7rocprim17ROCPRIM_400000_NS6detail17trampoline_kernelINS0_14default_configENS1_38merge_sort_block_merge_config_selectorIhlEEZZNS1_27merge_sort_block_merge_implIS3_PhN6thrust23THRUST_200600_302600_NS10device_ptrIlEEjNS1_19radix_merge_compareILb0ELb0EhNS0_19identity_decomposerEEEEE10hipError_tT0_T1_T2_jT3_P12ihipStream_tbPNSt15iterator_traitsISG_E10value_typeEPNSM_ISH_E10value_typeEPSI_NS1_7vsmem_tEENKUlT_SG_SH_SI_E_clIS7_S7_SB_PlEESF_SV_SG_SH_SI_EUlSV_E1_NS1_11comp_targetILNS1_3genE9ELNS1_11target_archE1100ELNS1_3gpuE3ELNS1_3repE0EEENS1_36merge_oddeven_config_static_selectorELNS0_4arch9wavefront6targetE1EEEvSH_
; %bb.0:
	.section	.rodata,"a",@progbits
	.p2align	6, 0x0
	.amdhsa_kernel _ZN7rocprim17ROCPRIM_400000_NS6detail17trampoline_kernelINS0_14default_configENS1_38merge_sort_block_merge_config_selectorIhlEEZZNS1_27merge_sort_block_merge_implIS3_PhN6thrust23THRUST_200600_302600_NS10device_ptrIlEEjNS1_19radix_merge_compareILb0ELb0EhNS0_19identity_decomposerEEEEE10hipError_tT0_T1_T2_jT3_P12ihipStream_tbPNSt15iterator_traitsISG_E10value_typeEPNSM_ISH_E10value_typeEPSI_NS1_7vsmem_tEENKUlT_SG_SH_SI_E_clIS7_S7_SB_PlEESF_SV_SG_SH_SI_EUlSV_E1_NS1_11comp_targetILNS1_3genE9ELNS1_11target_archE1100ELNS1_3gpuE3ELNS1_3repE0EEENS1_36merge_oddeven_config_static_selectorELNS0_4arch9wavefront6targetE1EEEvSH_
		.amdhsa_group_segment_fixed_size 0
		.amdhsa_private_segment_fixed_size 0
		.amdhsa_kernarg_size 48
		.amdhsa_user_sgpr_count 6
		.amdhsa_user_sgpr_private_segment_buffer 1
		.amdhsa_user_sgpr_dispatch_ptr 0
		.amdhsa_user_sgpr_queue_ptr 0
		.amdhsa_user_sgpr_kernarg_segment_ptr 1
		.amdhsa_user_sgpr_dispatch_id 0
		.amdhsa_user_sgpr_flat_scratch_init 0
		.amdhsa_user_sgpr_kernarg_preload_length 0
		.amdhsa_user_sgpr_kernarg_preload_offset 0
		.amdhsa_user_sgpr_private_segment_size 0
		.amdhsa_uses_dynamic_stack 0
		.amdhsa_system_sgpr_private_segment_wavefront_offset 0
		.amdhsa_system_sgpr_workgroup_id_x 1
		.amdhsa_system_sgpr_workgroup_id_y 0
		.amdhsa_system_sgpr_workgroup_id_z 0
		.amdhsa_system_sgpr_workgroup_info 0
		.amdhsa_system_vgpr_workitem_id 0
		.amdhsa_next_free_vgpr 1
		.amdhsa_next_free_sgpr 0
		.amdhsa_accum_offset 4
		.amdhsa_reserve_vcc 0
		.amdhsa_reserve_flat_scratch 0
		.amdhsa_float_round_mode_32 0
		.amdhsa_float_round_mode_16_64 0
		.amdhsa_float_denorm_mode_32 3
		.amdhsa_float_denorm_mode_16_64 3
		.amdhsa_dx10_clamp 1
		.amdhsa_ieee_mode 1
		.amdhsa_fp16_overflow 0
		.amdhsa_tg_split 0
		.amdhsa_exception_fp_ieee_invalid_op 0
		.amdhsa_exception_fp_denorm_src 0
		.amdhsa_exception_fp_ieee_div_zero 0
		.amdhsa_exception_fp_ieee_overflow 0
		.amdhsa_exception_fp_ieee_underflow 0
		.amdhsa_exception_fp_ieee_inexact 0
		.amdhsa_exception_int_div_zero 0
	.end_amdhsa_kernel
	.section	.text._ZN7rocprim17ROCPRIM_400000_NS6detail17trampoline_kernelINS0_14default_configENS1_38merge_sort_block_merge_config_selectorIhlEEZZNS1_27merge_sort_block_merge_implIS3_PhN6thrust23THRUST_200600_302600_NS10device_ptrIlEEjNS1_19radix_merge_compareILb0ELb0EhNS0_19identity_decomposerEEEEE10hipError_tT0_T1_T2_jT3_P12ihipStream_tbPNSt15iterator_traitsISG_E10value_typeEPNSM_ISH_E10value_typeEPSI_NS1_7vsmem_tEENKUlT_SG_SH_SI_E_clIS7_S7_SB_PlEESF_SV_SG_SH_SI_EUlSV_E1_NS1_11comp_targetILNS1_3genE9ELNS1_11target_archE1100ELNS1_3gpuE3ELNS1_3repE0EEENS1_36merge_oddeven_config_static_selectorELNS0_4arch9wavefront6targetE1EEEvSH_,"axG",@progbits,_ZN7rocprim17ROCPRIM_400000_NS6detail17trampoline_kernelINS0_14default_configENS1_38merge_sort_block_merge_config_selectorIhlEEZZNS1_27merge_sort_block_merge_implIS3_PhN6thrust23THRUST_200600_302600_NS10device_ptrIlEEjNS1_19radix_merge_compareILb0ELb0EhNS0_19identity_decomposerEEEEE10hipError_tT0_T1_T2_jT3_P12ihipStream_tbPNSt15iterator_traitsISG_E10value_typeEPNSM_ISH_E10value_typeEPSI_NS1_7vsmem_tEENKUlT_SG_SH_SI_E_clIS7_S7_SB_PlEESF_SV_SG_SH_SI_EUlSV_E1_NS1_11comp_targetILNS1_3genE9ELNS1_11target_archE1100ELNS1_3gpuE3ELNS1_3repE0EEENS1_36merge_oddeven_config_static_selectorELNS0_4arch9wavefront6targetE1EEEvSH_,comdat
.Lfunc_end170:
	.size	_ZN7rocprim17ROCPRIM_400000_NS6detail17trampoline_kernelINS0_14default_configENS1_38merge_sort_block_merge_config_selectorIhlEEZZNS1_27merge_sort_block_merge_implIS3_PhN6thrust23THRUST_200600_302600_NS10device_ptrIlEEjNS1_19radix_merge_compareILb0ELb0EhNS0_19identity_decomposerEEEEE10hipError_tT0_T1_T2_jT3_P12ihipStream_tbPNSt15iterator_traitsISG_E10value_typeEPNSM_ISH_E10value_typeEPSI_NS1_7vsmem_tEENKUlT_SG_SH_SI_E_clIS7_S7_SB_PlEESF_SV_SG_SH_SI_EUlSV_E1_NS1_11comp_targetILNS1_3genE9ELNS1_11target_archE1100ELNS1_3gpuE3ELNS1_3repE0EEENS1_36merge_oddeven_config_static_selectorELNS0_4arch9wavefront6targetE1EEEvSH_, .Lfunc_end170-_ZN7rocprim17ROCPRIM_400000_NS6detail17trampoline_kernelINS0_14default_configENS1_38merge_sort_block_merge_config_selectorIhlEEZZNS1_27merge_sort_block_merge_implIS3_PhN6thrust23THRUST_200600_302600_NS10device_ptrIlEEjNS1_19radix_merge_compareILb0ELb0EhNS0_19identity_decomposerEEEEE10hipError_tT0_T1_T2_jT3_P12ihipStream_tbPNSt15iterator_traitsISG_E10value_typeEPNSM_ISH_E10value_typeEPSI_NS1_7vsmem_tEENKUlT_SG_SH_SI_E_clIS7_S7_SB_PlEESF_SV_SG_SH_SI_EUlSV_E1_NS1_11comp_targetILNS1_3genE9ELNS1_11target_archE1100ELNS1_3gpuE3ELNS1_3repE0EEENS1_36merge_oddeven_config_static_selectorELNS0_4arch9wavefront6targetE1EEEvSH_
                                        ; -- End function
	.section	.AMDGPU.csdata,"",@progbits
; Kernel info:
; codeLenInByte = 0
; NumSgprs: 4
; NumVgprs: 0
; NumAgprs: 0
; TotalNumVgprs: 0
; ScratchSize: 0
; MemoryBound: 0
; FloatMode: 240
; IeeeMode: 1
; LDSByteSize: 0 bytes/workgroup (compile time only)
; SGPRBlocks: 0
; VGPRBlocks: 0
; NumSGPRsForWavesPerEU: 4
; NumVGPRsForWavesPerEU: 1
; AccumOffset: 4
; Occupancy: 8
; WaveLimiterHint : 0
; COMPUTE_PGM_RSRC2:SCRATCH_EN: 0
; COMPUTE_PGM_RSRC2:USER_SGPR: 6
; COMPUTE_PGM_RSRC2:TRAP_HANDLER: 0
; COMPUTE_PGM_RSRC2:TGID_X_EN: 1
; COMPUTE_PGM_RSRC2:TGID_Y_EN: 0
; COMPUTE_PGM_RSRC2:TGID_Z_EN: 0
; COMPUTE_PGM_RSRC2:TIDIG_COMP_CNT: 0
; COMPUTE_PGM_RSRC3_GFX90A:ACCUM_OFFSET: 0
; COMPUTE_PGM_RSRC3_GFX90A:TG_SPLIT: 0
	.section	.text._ZN7rocprim17ROCPRIM_400000_NS6detail17trampoline_kernelINS0_14default_configENS1_38merge_sort_block_merge_config_selectorIhlEEZZNS1_27merge_sort_block_merge_implIS3_PhN6thrust23THRUST_200600_302600_NS10device_ptrIlEEjNS1_19radix_merge_compareILb0ELb0EhNS0_19identity_decomposerEEEEE10hipError_tT0_T1_T2_jT3_P12ihipStream_tbPNSt15iterator_traitsISG_E10value_typeEPNSM_ISH_E10value_typeEPSI_NS1_7vsmem_tEENKUlT_SG_SH_SI_E_clIS7_S7_SB_PlEESF_SV_SG_SH_SI_EUlSV_E1_NS1_11comp_targetILNS1_3genE8ELNS1_11target_archE1030ELNS1_3gpuE2ELNS1_3repE0EEENS1_36merge_oddeven_config_static_selectorELNS0_4arch9wavefront6targetE1EEEvSH_,"axG",@progbits,_ZN7rocprim17ROCPRIM_400000_NS6detail17trampoline_kernelINS0_14default_configENS1_38merge_sort_block_merge_config_selectorIhlEEZZNS1_27merge_sort_block_merge_implIS3_PhN6thrust23THRUST_200600_302600_NS10device_ptrIlEEjNS1_19radix_merge_compareILb0ELb0EhNS0_19identity_decomposerEEEEE10hipError_tT0_T1_T2_jT3_P12ihipStream_tbPNSt15iterator_traitsISG_E10value_typeEPNSM_ISH_E10value_typeEPSI_NS1_7vsmem_tEENKUlT_SG_SH_SI_E_clIS7_S7_SB_PlEESF_SV_SG_SH_SI_EUlSV_E1_NS1_11comp_targetILNS1_3genE8ELNS1_11target_archE1030ELNS1_3gpuE2ELNS1_3repE0EEENS1_36merge_oddeven_config_static_selectorELNS0_4arch9wavefront6targetE1EEEvSH_,comdat
	.protected	_ZN7rocprim17ROCPRIM_400000_NS6detail17trampoline_kernelINS0_14default_configENS1_38merge_sort_block_merge_config_selectorIhlEEZZNS1_27merge_sort_block_merge_implIS3_PhN6thrust23THRUST_200600_302600_NS10device_ptrIlEEjNS1_19radix_merge_compareILb0ELb0EhNS0_19identity_decomposerEEEEE10hipError_tT0_T1_T2_jT3_P12ihipStream_tbPNSt15iterator_traitsISG_E10value_typeEPNSM_ISH_E10value_typeEPSI_NS1_7vsmem_tEENKUlT_SG_SH_SI_E_clIS7_S7_SB_PlEESF_SV_SG_SH_SI_EUlSV_E1_NS1_11comp_targetILNS1_3genE8ELNS1_11target_archE1030ELNS1_3gpuE2ELNS1_3repE0EEENS1_36merge_oddeven_config_static_selectorELNS0_4arch9wavefront6targetE1EEEvSH_ ; -- Begin function _ZN7rocprim17ROCPRIM_400000_NS6detail17trampoline_kernelINS0_14default_configENS1_38merge_sort_block_merge_config_selectorIhlEEZZNS1_27merge_sort_block_merge_implIS3_PhN6thrust23THRUST_200600_302600_NS10device_ptrIlEEjNS1_19radix_merge_compareILb0ELb0EhNS0_19identity_decomposerEEEEE10hipError_tT0_T1_T2_jT3_P12ihipStream_tbPNSt15iterator_traitsISG_E10value_typeEPNSM_ISH_E10value_typeEPSI_NS1_7vsmem_tEENKUlT_SG_SH_SI_E_clIS7_S7_SB_PlEESF_SV_SG_SH_SI_EUlSV_E1_NS1_11comp_targetILNS1_3genE8ELNS1_11target_archE1030ELNS1_3gpuE2ELNS1_3repE0EEENS1_36merge_oddeven_config_static_selectorELNS0_4arch9wavefront6targetE1EEEvSH_
	.globl	_ZN7rocprim17ROCPRIM_400000_NS6detail17trampoline_kernelINS0_14default_configENS1_38merge_sort_block_merge_config_selectorIhlEEZZNS1_27merge_sort_block_merge_implIS3_PhN6thrust23THRUST_200600_302600_NS10device_ptrIlEEjNS1_19radix_merge_compareILb0ELb0EhNS0_19identity_decomposerEEEEE10hipError_tT0_T1_T2_jT3_P12ihipStream_tbPNSt15iterator_traitsISG_E10value_typeEPNSM_ISH_E10value_typeEPSI_NS1_7vsmem_tEENKUlT_SG_SH_SI_E_clIS7_S7_SB_PlEESF_SV_SG_SH_SI_EUlSV_E1_NS1_11comp_targetILNS1_3genE8ELNS1_11target_archE1030ELNS1_3gpuE2ELNS1_3repE0EEENS1_36merge_oddeven_config_static_selectorELNS0_4arch9wavefront6targetE1EEEvSH_
	.p2align	8
	.type	_ZN7rocprim17ROCPRIM_400000_NS6detail17trampoline_kernelINS0_14default_configENS1_38merge_sort_block_merge_config_selectorIhlEEZZNS1_27merge_sort_block_merge_implIS3_PhN6thrust23THRUST_200600_302600_NS10device_ptrIlEEjNS1_19radix_merge_compareILb0ELb0EhNS0_19identity_decomposerEEEEE10hipError_tT0_T1_T2_jT3_P12ihipStream_tbPNSt15iterator_traitsISG_E10value_typeEPNSM_ISH_E10value_typeEPSI_NS1_7vsmem_tEENKUlT_SG_SH_SI_E_clIS7_S7_SB_PlEESF_SV_SG_SH_SI_EUlSV_E1_NS1_11comp_targetILNS1_3genE8ELNS1_11target_archE1030ELNS1_3gpuE2ELNS1_3repE0EEENS1_36merge_oddeven_config_static_selectorELNS0_4arch9wavefront6targetE1EEEvSH_,@function
_ZN7rocprim17ROCPRIM_400000_NS6detail17trampoline_kernelINS0_14default_configENS1_38merge_sort_block_merge_config_selectorIhlEEZZNS1_27merge_sort_block_merge_implIS3_PhN6thrust23THRUST_200600_302600_NS10device_ptrIlEEjNS1_19radix_merge_compareILb0ELb0EhNS0_19identity_decomposerEEEEE10hipError_tT0_T1_T2_jT3_P12ihipStream_tbPNSt15iterator_traitsISG_E10value_typeEPNSM_ISH_E10value_typeEPSI_NS1_7vsmem_tEENKUlT_SG_SH_SI_E_clIS7_S7_SB_PlEESF_SV_SG_SH_SI_EUlSV_E1_NS1_11comp_targetILNS1_3genE8ELNS1_11target_archE1030ELNS1_3gpuE2ELNS1_3repE0EEENS1_36merge_oddeven_config_static_selectorELNS0_4arch9wavefront6targetE1EEEvSH_: ; @_ZN7rocprim17ROCPRIM_400000_NS6detail17trampoline_kernelINS0_14default_configENS1_38merge_sort_block_merge_config_selectorIhlEEZZNS1_27merge_sort_block_merge_implIS3_PhN6thrust23THRUST_200600_302600_NS10device_ptrIlEEjNS1_19radix_merge_compareILb0ELb0EhNS0_19identity_decomposerEEEEE10hipError_tT0_T1_T2_jT3_P12ihipStream_tbPNSt15iterator_traitsISG_E10value_typeEPNSM_ISH_E10value_typeEPSI_NS1_7vsmem_tEENKUlT_SG_SH_SI_E_clIS7_S7_SB_PlEESF_SV_SG_SH_SI_EUlSV_E1_NS1_11comp_targetILNS1_3genE8ELNS1_11target_archE1030ELNS1_3gpuE2ELNS1_3repE0EEENS1_36merge_oddeven_config_static_selectorELNS0_4arch9wavefront6targetE1EEEvSH_
; %bb.0:
	.section	.rodata,"a",@progbits
	.p2align	6, 0x0
	.amdhsa_kernel _ZN7rocprim17ROCPRIM_400000_NS6detail17trampoline_kernelINS0_14default_configENS1_38merge_sort_block_merge_config_selectorIhlEEZZNS1_27merge_sort_block_merge_implIS3_PhN6thrust23THRUST_200600_302600_NS10device_ptrIlEEjNS1_19radix_merge_compareILb0ELb0EhNS0_19identity_decomposerEEEEE10hipError_tT0_T1_T2_jT3_P12ihipStream_tbPNSt15iterator_traitsISG_E10value_typeEPNSM_ISH_E10value_typeEPSI_NS1_7vsmem_tEENKUlT_SG_SH_SI_E_clIS7_S7_SB_PlEESF_SV_SG_SH_SI_EUlSV_E1_NS1_11comp_targetILNS1_3genE8ELNS1_11target_archE1030ELNS1_3gpuE2ELNS1_3repE0EEENS1_36merge_oddeven_config_static_selectorELNS0_4arch9wavefront6targetE1EEEvSH_
		.amdhsa_group_segment_fixed_size 0
		.amdhsa_private_segment_fixed_size 0
		.amdhsa_kernarg_size 48
		.amdhsa_user_sgpr_count 6
		.amdhsa_user_sgpr_private_segment_buffer 1
		.amdhsa_user_sgpr_dispatch_ptr 0
		.amdhsa_user_sgpr_queue_ptr 0
		.amdhsa_user_sgpr_kernarg_segment_ptr 1
		.amdhsa_user_sgpr_dispatch_id 0
		.amdhsa_user_sgpr_flat_scratch_init 0
		.amdhsa_user_sgpr_kernarg_preload_length 0
		.amdhsa_user_sgpr_kernarg_preload_offset 0
		.amdhsa_user_sgpr_private_segment_size 0
		.amdhsa_uses_dynamic_stack 0
		.amdhsa_system_sgpr_private_segment_wavefront_offset 0
		.amdhsa_system_sgpr_workgroup_id_x 1
		.amdhsa_system_sgpr_workgroup_id_y 0
		.amdhsa_system_sgpr_workgroup_id_z 0
		.amdhsa_system_sgpr_workgroup_info 0
		.amdhsa_system_vgpr_workitem_id 0
		.amdhsa_next_free_vgpr 1
		.amdhsa_next_free_sgpr 0
		.amdhsa_accum_offset 4
		.amdhsa_reserve_vcc 0
		.amdhsa_reserve_flat_scratch 0
		.amdhsa_float_round_mode_32 0
		.amdhsa_float_round_mode_16_64 0
		.amdhsa_float_denorm_mode_32 3
		.amdhsa_float_denorm_mode_16_64 3
		.amdhsa_dx10_clamp 1
		.amdhsa_ieee_mode 1
		.amdhsa_fp16_overflow 0
		.amdhsa_tg_split 0
		.amdhsa_exception_fp_ieee_invalid_op 0
		.amdhsa_exception_fp_denorm_src 0
		.amdhsa_exception_fp_ieee_div_zero 0
		.amdhsa_exception_fp_ieee_overflow 0
		.amdhsa_exception_fp_ieee_underflow 0
		.amdhsa_exception_fp_ieee_inexact 0
		.amdhsa_exception_int_div_zero 0
	.end_amdhsa_kernel
	.section	.text._ZN7rocprim17ROCPRIM_400000_NS6detail17trampoline_kernelINS0_14default_configENS1_38merge_sort_block_merge_config_selectorIhlEEZZNS1_27merge_sort_block_merge_implIS3_PhN6thrust23THRUST_200600_302600_NS10device_ptrIlEEjNS1_19radix_merge_compareILb0ELb0EhNS0_19identity_decomposerEEEEE10hipError_tT0_T1_T2_jT3_P12ihipStream_tbPNSt15iterator_traitsISG_E10value_typeEPNSM_ISH_E10value_typeEPSI_NS1_7vsmem_tEENKUlT_SG_SH_SI_E_clIS7_S7_SB_PlEESF_SV_SG_SH_SI_EUlSV_E1_NS1_11comp_targetILNS1_3genE8ELNS1_11target_archE1030ELNS1_3gpuE2ELNS1_3repE0EEENS1_36merge_oddeven_config_static_selectorELNS0_4arch9wavefront6targetE1EEEvSH_,"axG",@progbits,_ZN7rocprim17ROCPRIM_400000_NS6detail17trampoline_kernelINS0_14default_configENS1_38merge_sort_block_merge_config_selectorIhlEEZZNS1_27merge_sort_block_merge_implIS3_PhN6thrust23THRUST_200600_302600_NS10device_ptrIlEEjNS1_19radix_merge_compareILb0ELb0EhNS0_19identity_decomposerEEEEE10hipError_tT0_T1_T2_jT3_P12ihipStream_tbPNSt15iterator_traitsISG_E10value_typeEPNSM_ISH_E10value_typeEPSI_NS1_7vsmem_tEENKUlT_SG_SH_SI_E_clIS7_S7_SB_PlEESF_SV_SG_SH_SI_EUlSV_E1_NS1_11comp_targetILNS1_3genE8ELNS1_11target_archE1030ELNS1_3gpuE2ELNS1_3repE0EEENS1_36merge_oddeven_config_static_selectorELNS0_4arch9wavefront6targetE1EEEvSH_,comdat
.Lfunc_end171:
	.size	_ZN7rocprim17ROCPRIM_400000_NS6detail17trampoline_kernelINS0_14default_configENS1_38merge_sort_block_merge_config_selectorIhlEEZZNS1_27merge_sort_block_merge_implIS3_PhN6thrust23THRUST_200600_302600_NS10device_ptrIlEEjNS1_19radix_merge_compareILb0ELb0EhNS0_19identity_decomposerEEEEE10hipError_tT0_T1_T2_jT3_P12ihipStream_tbPNSt15iterator_traitsISG_E10value_typeEPNSM_ISH_E10value_typeEPSI_NS1_7vsmem_tEENKUlT_SG_SH_SI_E_clIS7_S7_SB_PlEESF_SV_SG_SH_SI_EUlSV_E1_NS1_11comp_targetILNS1_3genE8ELNS1_11target_archE1030ELNS1_3gpuE2ELNS1_3repE0EEENS1_36merge_oddeven_config_static_selectorELNS0_4arch9wavefront6targetE1EEEvSH_, .Lfunc_end171-_ZN7rocprim17ROCPRIM_400000_NS6detail17trampoline_kernelINS0_14default_configENS1_38merge_sort_block_merge_config_selectorIhlEEZZNS1_27merge_sort_block_merge_implIS3_PhN6thrust23THRUST_200600_302600_NS10device_ptrIlEEjNS1_19radix_merge_compareILb0ELb0EhNS0_19identity_decomposerEEEEE10hipError_tT0_T1_T2_jT3_P12ihipStream_tbPNSt15iterator_traitsISG_E10value_typeEPNSM_ISH_E10value_typeEPSI_NS1_7vsmem_tEENKUlT_SG_SH_SI_E_clIS7_S7_SB_PlEESF_SV_SG_SH_SI_EUlSV_E1_NS1_11comp_targetILNS1_3genE8ELNS1_11target_archE1030ELNS1_3gpuE2ELNS1_3repE0EEENS1_36merge_oddeven_config_static_selectorELNS0_4arch9wavefront6targetE1EEEvSH_
                                        ; -- End function
	.section	.AMDGPU.csdata,"",@progbits
; Kernel info:
; codeLenInByte = 0
; NumSgprs: 4
; NumVgprs: 0
; NumAgprs: 0
; TotalNumVgprs: 0
; ScratchSize: 0
; MemoryBound: 0
; FloatMode: 240
; IeeeMode: 1
; LDSByteSize: 0 bytes/workgroup (compile time only)
; SGPRBlocks: 0
; VGPRBlocks: 0
; NumSGPRsForWavesPerEU: 4
; NumVGPRsForWavesPerEU: 1
; AccumOffset: 4
; Occupancy: 8
; WaveLimiterHint : 0
; COMPUTE_PGM_RSRC2:SCRATCH_EN: 0
; COMPUTE_PGM_RSRC2:USER_SGPR: 6
; COMPUTE_PGM_RSRC2:TRAP_HANDLER: 0
; COMPUTE_PGM_RSRC2:TGID_X_EN: 1
; COMPUTE_PGM_RSRC2:TGID_Y_EN: 0
; COMPUTE_PGM_RSRC2:TGID_Z_EN: 0
; COMPUTE_PGM_RSRC2:TIDIG_COMP_CNT: 0
; COMPUTE_PGM_RSRC3_GFX90A:ACCUM_OFFSET: 0
; COMPUTE_PGM_RSRC3_GFX90A:TG_SPLIT: 0
	.section	.text._ZN7rocprim17ROCPRIM_400000_NS6detail17trampoline_kernelINS0_14default_configENS1_25transform_config_selectorIhLb1EEEZNS1_14transform_implILb1ES3_S5_PhS7_NS0_8identityIhEEEE10hipError_tT2_T3_mT4_P12ihipStream_tbEUlT_E_NS1_11comp_targetILNS1_3genE0ELNS1_11target_archE4294967295ELNS1_3gpuE0ELNS1_3repE0EEENS1_30default_config_static_selectorELNS0_4arch9wavefront6targetE1EEEvT1_,"axG",@progbits,_ZN7rocprim17ROCPRIM_400000_NS6detail17trampoline_kernelINS0_14default_configENS1_25transform_config_selectorIhLb1EEEZNS1_14transform_implILb1ES3_S5_PhS7_NS0_8identityIhEEEE10hipError_tT2_T3_mT4_P12ihipStream_tbEUlT_E_NS1_11comp_targetILNS1_3genE0ELNS1_11target_archE4294967295ELNS1_3gpuE0ELNS1_3repE0EEENS1_30default_config_static_selectorELNS0_4arch9wavefront6targetE1EEEvT1_,comdat
	.protected	_ZN7rocprim17ROCPRIM_400000_NS6detail17trampoline_kernelINS0_14default_configENS1_25transform_config_selectorIhLb1EEEZNS1_14transform_implILb1ES3_S5_PhS7_NS0_8identityIhEEEE10hipError_tT2_T3_mT4_P12ihipStream_tbEUlT_E_NS1_11comp_targetILNS1_3genE0ELNS1_11target_archE4294967295ELNS1_3gpuE0ELNS1_3repE0EEENS1_30default_config_static_selectorELNS0_4arch9wavefront6targetE1EEEvT1_ ; -- Begin function _ZN7rocprim17ROCPRIM_400000_NS6detail17trampoline_kernelINS0_14default_configENS1_25transform_config_selectorIhLb1EEEZNS1_14transform_implILb1ES3_S5_PhS7_NS0_8identityIhEEEE10hipError_tT2_T3_mT4_P12ihipStream_tbEUlT_E_NS1_11comp_targetILNS1_3genE0ELNS1_11target_archE4294967295ELNS1_3gpuE0ELNS1_3repE0EEENS1_30default_config_static_selectorELNS0_4arch9wavefront6targetE1EEEvT1_
	.globl	_ZN7rocprim17ROCPRIM_400000_NS6detail17trampoline_kernelINS0_14default_configENS1_25transform_config_selectorIhLb1EEEZNS1_14transform_implILb1ES3_S5_PhS7_NS0_8identityIhEEEE10hipError_tT2_T3_mT4_P12ihipStream_tbEUlT_E_NS1_11comp_targetILNS1_3genE0ELNS1_11target_archE4294967295ELNS1_3gpuE0ELNS1_3repE0EEENS1_30default_config_static_selectorELNS0_4arch9wavefront6targetE1EEEvT1_
	.p2align	8
	.type	_ZN7rocprim17ROCPRIM_400000_NS6detail17trampoline_kernelINS0_14default_configENS1_25transform_config_selectorIhLb1EEEZNS1_14transform_implILb1ES3_S5_PhS7_NS0_8identityIhEEEE10hipError_tT2_T3_mT4_P12ihipStream_tbEUlT_E_NS1_11comp_targetILNS1_3genE0ELNS1_11target_archE4294967295ELNS1_3gpuE0ELNS1_3repE0EEENS1_30default_config_static_selectorELNS0_4arch9wavefront6targetE1EEEvT1_,@function
_ZN7rocprim17ROCPRIM_400000_NS6detail17trampoline_kernelINS0_14default_configENS1_25transform_config_selectorIhLb1EEEZNS1_14transform_implILb1ES3_S5_PhS7_NS0_8identityIhEEEE10hipError_tT2_T3_mT4_P12ihipStream_tbEUlT_E_NS1_11comp_targetILNS1_3genE0ELNS1_11target_archE4294967295ELNS1_3gpuE0ELNS1_3repE0EEENS1_30default_config_static_selectorELNS0_4arch9wavefront6targetE1EEEvT1_: ; @_ZN7rocprim17ROCPRIM_400000_NS6detail17trampoline_kernelINS0_14default_configENS1_25transform_config_selectorIhLb1EEEZNS1_14transform_implILb1ES3_S5_PhS7_NS0_8identityIhEEEE10hipError_tT2_T3_mT4_P12ihipStream_tbEUlT_E_NS1_11comp_targetILNS1_3genE0ELNS1_11target_archE4294967295ELNS1_3gpuE0ELNS1_3repE0EEENS1_30default_config_static_selectorELNS0_4arch9wavefront6targetE1EEEvT1_
; %bb.0:
	.section	.rodata,"a",@progbits
	.p2align	6, 0x0
	.amdhsa_kernel _ZN7rocprim17ROCPRIM_400000_NS6detail17trampoline_kernelINS0_14default_configENS1_25transform_config_selectorIhLb1EEEZNS1_14transform_implILb1ES3_S5_PhS7_NS0_8identityIhEEEE10hipError_tT2_T3_mT4_P12ihipStream_tbEUlT_E_NS1_11comp_targetILNS1_3genE0ELNS1_11target_archE4294967295ELNS1_3gpuE0ELNS1_3repE0EEENS1_30default_config_static_selectorELNS0_4arch9wavefront6targetE1EEEvT1_
		.amdhsa_group_segment_fixed_size 0
		.amdhsa_private_segment_fixed_size 0
		.amdhsa_kernarg_size 40
		.amdhsa_user_sgpr_count 6
		.amdhsa_user_sgpr_private_segment_buffer 1
		.amdhsa_user_sgpr_dispatch_ptr 0
		.amdhsa_user_sgpr_queue_ptr 0
		.amdhsa_user_sgpr_kernarg_segment_ptr 1
		.amdhsa_user_sgpr_dispatch_id 0
		.amdhsa_user_sgpr_flat_scratch_init 0
		.amdhsa_user_sgpr_kernarg_preload_length 0
		.amdhsa_user_sgpr_kernarg_preload_offset 0
		.amdhsa_user_sgpr_private_segment_size 0
		.amdhsa_uses_dynamic_stack 0
		.amdhsa_system_sgpr_private_segment_wavefront_offset 0
		.amdhsa_system_sgpr_workgroup_id_x 1
		.amdhsa_system_sgpr_workgroup_id_y 0
		.amdhsa_system_sgpr_workgroup_id_z 0
		.amdhsa_system_sgpr_workgroup_info 0
		.amdhsa_system_vgpr_workitem_id 0
		.amdhsa_next_free_vgpr 1
		.amdhsa_next_free_sgpr 0
		.amdhsa_accum_offset 4
		.amdhsa_reserve_vcc 0
		.amdhsa_reserve_flat_scratch 0
		.amdhsa_float_round_mode_32 0
		.amdhsa_float_round_mode_16_64 0
		.amdhsa_float_denorm_mode_32 3
		.amdhsa_float_denorm_mode_16_64 3
		.amdhsa_dx10_clamp 1
		.amdhsa_ieee_mode 1
		.amdhsa_fp16_overflow 0
		.amdhsa_tg_split 0
		.amdhsa_exception_fp_ieee_invalid_op 0
		.amdhsa_exception_fp_denorm_src 0
		.amdhsa_exception_fp_ieee_div_zero 0
		.amdhsa_exception_fp_ieee_overflow 0
		.amdhsa_exception_fp_ieee_underflow 0
		.amdhsa_exception_fp_ieee_inexact 0
		.amdhsa_exception_int_div_zero 0
	.end_amdhsa_kernel
	.section	.text._ZN7rocprim17ROCPRIM_400000_NS6detail17trampoline_kernelINS0_14default_configENS1_25transform_config_selectorIhLb1EEEZNS1_14transform_implILb1ES3_S5_PhS7_NS0_8identityIhEEEE10hipError_tT2_T3_mT4_P12ihipStream_tbEUlT_E_NS1_11comp_targetILNS1_3genE0ELNS1_11target_archE4294967295ELNS1_3gpuE0ELNS1_3repE0EEENS1_30default_config_static_selectorELNS0_4arch9wavefront6targetE1EEEvT1_,"axG",@progbits,_ZN7rocprim17ROCPRIM_400000_NS6detail17trampoline_kernelINS0_14default_configENS1_25transform_config_selectorIhLb1EEEZNS1_14transform_implILb1ES3_S5_PhS7_NS0_8identityIhEEEE10hipError_tT2_T3_mT4_P12ihipStream_tbEUlT_E_NS1_11comp_targetILNS1_3genE0ELNS1_11target_archE4294967295ELNS1_3gpuE0ELNS1_3repE0EEENS1_30default_config_static_selectorELNS0_4arch9wavefront6targetE1EEEvT1_,comdat
.Lfunc_end172:
	.size	_ZN7rocprim17ROCPRIM_400000_NS6detail17trampoline_kernelINS0_14default_configENS1_25transform_config_selectorIhLb1EEEZNS1_14transform_implILb1ES3_S5_PhS7_NS0_8identityIhEEEE10hipError_tT2_T3_mT4_P12ihipStream_tbEUlT_E_NS1_11comp_targetILNS1_3genE0ELNS1_11target_archE4294967295ELNS1_3gpuE0ELNS1_3repE0EEENS1_30default_config_static_selectorELNS0_4arch9wavefront6targetE1EEEvT1_, .Lfunc_end172-_ZN7rocprim17ROCPRIM_400000_NS6detail17trampoline_kernelINS0_14default_configENS1_25transform_config_selectorIhLb1EEEZNS1_14transform_implILb1ES3_S5_PhS7_NS0_8identityIhEEEE10hipError_tT2_T3_mT4_P12ihipStream_tbEUlT_E_NS1_11comp_targetILNS1_3genE0ELNS1_11target_archE4294967295ELNS1_3gpuE0ELNS1_3repE0EEENS1_30default_config_static_selectorELNS0_4arch9wavefront6targetE1EEEvT1_
                                        ; -- End function
	.section	.AMDGPU.csdata,"",@progbits
; Kernel info:
; codeLenInByte = 0
; NumSgprs: 4
; NumVgprs: 0
; NumAgprs: 0
; TotalNumVgprs: 0
; ScratchSize: 0
; MemoryBound: 0
; FloatMode: 240
; IeeeMode: 1
; LDSByteSize: 0 bytes/workgroup (compile time only)
; SGPRBlocks: 0
; VGPRBlocks: 0
; NumSGPRsForWavesPerEU: 4
; NumVGPRsForWavesPerEU: 1
; AccumOffset: 4
; Occupancy: 8
; WaveLimiterHint : 0
; COMPUTE_PGM_RSRC2:SCRATCH_EN: 0
; COMPUTE_PGM_RSRC2:USER_SGPR: 6
; COMPUTE_PGM_RSRC2:TRAP_HANDLER: 0
; COMPUTE_PGM_RSRC2:TGID_X_EN: 1
; COMPUTE_PGM_RSRC2:TGID_Y_EN: 0
; COMPUTE_PGM_RSRC2:TGID_Z_EN: 0
; COMPUTE_PGM_RSRC2:TIDIG_COMP_CNT: 0
; COMPUTE_PGM_RSRC3_GFX90A:ACCUM_OFFSET: 0
; COMPUTE_PGM_RSRC3_GFX90A:TG_SPLIT: 0
	.section	.text._ZN7rocprim17ROCPRIM_400000_NS6detail17trampoline_kernelINS0_14default_configENS1_25transform_config_selectorIhLb1EEEZNS1_14transform_implILb1ES3_S5_PhS7_NS0_8identityIhEEEE10hipError_tT2_T3_mT4_P12ihipStream_tbEUlT_E_NS1_11comp_targetILNS1_3genE10ELNS1_11target_archE1201ELNS1_3gpuE5ELNS1_3repE0EEENS1_30default_config_static_selectorELNS0_4arch9wavefront6targetE1EEEvT1_,"axG",@progbits,_ZN7rocprim17ROCPRIM_400000_NS6detail17trampoline_kernelINS0_14default_configENS1_25transform_config_selectorIhLb1EEEZNS1_14transform_implILb1ES3_S5_PhS7_NS0_8identityIhEEEE10hipError_tT2_T3_mT4_P12ihipStream_tbEUlT_E_NS1_11comp_targetILNS1_3genE10ELNS1_11target_archE1201ELNS1_3gpuE5ELNS1_3repE0EEENS1_30default_config_static_selectorELNS0_4arch9wavefront6targetE1EEEvT1_,comdat
	.protected	_ZN7rocprim17ROCPRIM_400000_NS6detail17trampoline_kernelINS0_14default_configENS1_25transform_config_selectorIhLb1EEEZNS1_14transform_implILb1ES3_S5_PhS7_NS0_8identityIhEEEE10hipError_tT2_T3_mT4_P12ihipStream_tbEUlT_E_NS1_11comp_targetILNS1_3genE10ELNS1_11target_archE1201ELNS1_3gpuE5ELNS1_3repE0EEENS1_30default_config_static_selectorELNS0_4arch9wavefront6targetE1EEEvT1_ ; -- Begin function _ZN7rocprim17ROCPRIM_400000_NS6detail17trampoline_kernelINS0_14default_configENS1_25transform_config_selectorIhLb1EEEZNS1_14transform_implILb1ES3_S5_PhS7_NS0_8identityIhEEEE10hipError_tT2_T3_mT4_P12ihipStream_tbEUlT_E_NS1_11comp_targetILNS1_3genE10ELNS1_11target_archE1201ELNS1_3gpuE5ELNS1_3repE0EEENS1_30default_config_static_selectorELNS0_4arch9wavefront6targetE1EEEvT1_
	.globl	_ZN7rocprim17ROCPRIM_400000_NS6detail17trampoline_kernelINS0_14default_configENS1_25transform_config_selectorIhLb1EEEZNS1_14transform_implILb1ES3_S5_PhS7_NS0_8identityIhEEEE10hipError_tT2_T3_mT4_P12ihipStream_tbEUlT_E_NS1_11comp_targetILNS1_3genE10ELNS1_11target_archE1201ELNS1_3gpuE5ELNS1_3repE0EEENS1_30default_config_static_selectorELNS0_4arch9wavefront6targetE1EEEvT1_
	.p2align	8
	.type	_ZN7rocprim17ROCPRIM_400000_NS6detail17trampoline_kernelINS0_14default_configENS1_25transform_config_selectorIhLb1EEEZNS1_14transform_implILb1ES3_S5_PhS7_NS0_8identityIhEEEE10hipError_tT2_T3_mT4_P12ihipStream_tbEUlT_E_NS1_11comp_targetILNS1_3genE10ELNS1_11target_archE1201ELNS1_3gpuE5ELNS1_3repE0EEENS1_30default_config_static_selectorELNS0_4arch9wavefront6targetE1EEEvT1_,@function
_ZN7rocprim17ROCPRIM_400000_NS6detail17trampoline_kernelINS0_14default_configENS1_25transform_config_selectorIhLb1EEEZNS1_14transform_implILb1ES3_S5_PhS7_NS0_8identityIhEEEE10hipError_tT2_T3_mT4_P12ihipStream_tbEUlT_E_NS1_11comp_targetILNS1_3genE10ELNS1_11target_archE1201ELNS1_3gpuE5ELNS1_3repE0EEENS1_30default_config_static_selectorELNS0_4arch9wavefront6targetE1EEEvT1_: ; @_ZN7rocprim17ROCPRIM_400000_NS6detail17trampoline_kernelINS0_14default_configENS1_25transform_config_selectorIhLb1EEEZNS1_14transform_implILb1ES3_S5_PhS7_NS0_8identityIhEEEE10hipError_tT2_T3_mT4_P12ihipStream_tbEUlT_E_NS1_11comp_targetILNS1_3genE10ELNS1_11target_archE1201ELNS1_3gpuE5ELNS1_3repE0EEENS1_30default_config_static_selectorELNS0_4arch9wavefront6targetE1EEEvT1_
; %bb.0:
	.section	.rodata,"a",@progbits
	.p2align	6, 0x0
	.amdhsa_kernel _ZN7rocprim17ROCPRIM_400000_NS6detail17trampoline_kernelINS0_14default_configENS1_25transform_config_selectorIhLb1EEEZNS1_14transform_implILb1ES3_S5_PhS7_NS0_8identityIhEEEE10hipError_tT2_T3_mT4_P12ihipStream_tbEUlT_E_NS1_11comp_targetILNS1_3genE10ELNS1_11target_archE1201ELNS1_3gpuE5ELNS1_3repE0EEENS1_30default_config_static_selectorELNS0_4arch9wavefront6targetE1EEEvT1_
		.amdhsa_group_segment_fixed_size 0
		.amdhsa_private_segment_fixed_size 0
		.amdhsa_kernarg_size 40
		.amdhsa_user_sgpr_count 6
		.amdhsa_user_sgpr_private_segment_buffer 1
		.amdhsa_user_sgpr_dispatch_ptr 0
		.amdhsa_user_sgpr_queue_ptr 0
		.amdhsa_user_sgpr_kernarg_segment_ptr 1
		.amdhsa_user_sgpr_dispatch_id 0
		.amdhsa_user_sgpr_flat_scratch_init 0
		.amdhsa_user_sgpr_kernarg_preload_length 0
		.amdhsa_user_sgpr_kernarg_preload_offset 0
		.amdhsa_user_sgpr_private_segment_size 0
		.amdhsa_uses_dynamic_stack 0
		.amdhsa_system_sgpr_private_segment_wavefront_offset 0
		.amdhsa_system_sgpr_workgroup_id_x 1
		.amdhsa_system_sgpr_workgroup_id_y 0
		.amdhsa_system_sgpr_workgroup_id_z 0
		.amdhsa_system_sgpr_workgroup_info 0
		.amdhsa_system_vgpr_workitem_id 0
		.amdhsa_next_free_vgpr 1
		.amdhsa_next_free_sgpr 0
		.amdhsa_accum_offset 4
		.amdhsa_reserve_vcc 0
		.amdhsa_reserve_flat_scratch 0
		.amdhsa_float_round_mode_32 0
		.amdhsa_float_round_mode_16_64 0
		.amdhsa_float_denorm_mode_32 3
		.amdhsa_float_denorm_mode_16_64 3
		.amdhsa_dx10_clamp 1
		.amdhsa_ieee_mode 1
		.amdhsa_fp16_overflow 0
		.amdhsa_tg_split 0
		.amdhsa_exception_fp_ieee_invalid_op 0
		.amdhsa_exception_fp_denorm_src 0
		.amdhsa_exception_fp_ieee_div_zero 0
		.amdhsa_exception_fp_ieee_overflow 0
		.amdhsa_exception_fp_ieee_underflow 0
		.amdhsa_exception_fp_ieee_inexact 0
		.amdhsa_exception_int_div_zero 0
	.end_amdhsa_kernel
	.section	.text._ZN7rocprim17ROCPRIM_400000_NS6detail17trampoline_kernelINS0_14default_configENS1_25transform_config_selectorIhLb1EEEZNS1_14transform_implILb1ES3_S5_PhS7_NS0_8identityIhEEEE10hipError_tT2_T3_mT4_P12ihipStream_tbEUlT_E_NS1_11comp_targetILNS1_3genE10ELNS1_11target_archE1201ELNS1_3gpuE5ELNS1_3repE0EEENS1_30default_config_static_selectorELNS0_4arch9wavefront6targetE1EEEvT1_,"axG",@progbits,_ZN7rocprim17ROCPRIM_400000_NS6detail17trampoline_kernelINS0_14default_configENS1_25transform_config_selectorIhLb1EEEZNS1_14transform_implILb1ES3_S5_PhS7_NS0_8identityIhEEEE10hipError_tT2_T3_mT4_P12ihipStream_tbEUlT_E_NS1_11comp_targetILNS1_3genE10ELNS1_11target_archE1201ELNS1_3gpuE5ELNS1_3repE0EEENS1_30default_config_static_selectorELNS0_4arch9wavefront6targetE1EEEvT1_,comdat
.Lfunc_end173:
	.size	_ZN7rocprim17ROCPRIM_400000_NS6detail17trampoline_kernelINS0_14default_configENS1_25transform_config_selectorIhLb1EEEZNS1_14transform_implILb1ES3_S5_PhS7_NS0_8identityIhEEEE10hipError_tT2_T3_mT4_P12ihipStream_tbEUlT_E_NS1_11comp_targetILNS1_3genE10ELNS1_11target_archE1201ELNS1_3gpuE5ELNS1_3repE0EEENS1_30default_config_static_selectorELNS0_4arch9wavefront6targetE1EEEvT1_, .Lfunc_end173-_ZN7rocprim17ROCPRIM_400000_NS6detail17trampoline_kernelINS0_14default_configENS1_25transform_config_selectorIhLb1EEEZNS1_14transform_implILb1ES3_S5_PhS7_NS0_8identityIhEEEE10hipError_tT2_T3_mT4_P12ihipStream_tbEUlT_E_NS1_11comp_targetILNS1_3genE10ELNS1_11target_archE1201ELNS1_3gpuE5ELNS1_3repE0EEENS1_30default_config_static_selectorELNS0_4arch9wavefront6targetE1EEEvT1_
                                        ; -- End function
	.section	.AMDGPU.csdata,"",@progbits
; Kernel info:
; codeLenInByte = 0
; NumSgprs: 4
; NumVgprs: 0
; NumAgprs: 0
; TotalNumVgprs: 0
; ScratchSize: 0
; MemoryBound: 0
; FloatMode: 240
; IeeeMode: 1
; LDSByteSize: 0 bytes/workgroup (compile time only)
; SGPRBlocks: 0
; VGPRBlocks: 0
; NumSGPRsForWavesPerEU: 4
; NumVGPRsForWavesPerEU: 1
; AccumOffset: 4
; Occupancy: 8
; WaveLimiterHint : 0
; COMPUTE_PGM_RSRC2:SCRATCH_EN: 0
; COMPUTE_PGM_RSRC2:USER_SGPR: 6
; COMPUTE_PGM_RSRC2:TRAP_HANDLER: 0
; COMPUTE_PGM_RSRC2:TGID_X_EN: 1
; COMPUTE_PGM_RSRC2:TGID_Y_EN: 0
; COMPUTE_PGM_RSRC2:TGID_Z_EN: 0
; COMPUTE_PGM_RSRC2:TIDIG_COMP_CNT: 0
; COMPUTE_PGM_RSRC3_GFX90A:ACCUM_OFFSET: 0
; COMPUTE_PGM_RSRC3_GFX90A:TG_SPLIT: 0
	.section	.text._ZN7rocprim17ROCPRIM_400000_NS6detail17trampoline_kernelINS0_14default_configENS1_25transform_config_selectorIhLb1EEEZNS1_14transform_implILb1ES3_S5_PhS7_NS0_8identityIhEEEE10hipError_tT2_T3_mT4_P12ihipStream_tbEUlT_E_NS1_11comp_targetILNS1_3genE5ELNS1_11target_archE942ELNS1_3gpuE9ELNS1_3repE0EEENS1_30default_config_static_selectorELNS0_4arch9wavefront6targetE1EEEvT1_,"axG",@progbits,_ZN7rocprim17ROCPRIM_400000_NS6detail17trampoline_kernelINS0_14default_configENS1_25transform_config_selectorIhLb1EEEZNS1_14transform_implILb1ES3_S5_PhS7_NS0_8identityIhEEEE10hipError_tT2_T3_mT4_P12ihipStream_tbEUlT_E_NS1_11comp_targetILNS1_3genE5ELNS1_11target_archE942ELNS1_3gpuE9ELNS1_3repE0EEENS1_30default_config_static_selectorELNS0_4arch9wavefront6targetE1EEEvT1_,comdat
	.protected	_ZN7rocprim17ROCPRIM_400000_NS6detail17trampoline_kernelINS0_14default_configENS1_25transform_config_selectorIhLb1EEEZNS1_14transform_implILb1ES3_S5_PhS7_NS0_8identityIhEEEE10hipError_tT2_T3_mT4_P12ihipStream_tbEUlT_E_NS1_11comp_targetILNS1_3genE5ELNS1_11target_archE942ELNS1_3gpuE9ELNS1_3repE0EEENS1_30default_config_static_selectorELNS0_4arch9wavefront6targetE1EEEvT1_ ; -- Begin function _ZN7rocprim17ROCPRIM_400000_NS6detail17trampoline_kernelINS0_14default_configENS1_25transform_config_selectorIhLb1EEEZNS1_14transform_implILb1ES3_S5_PhS7_NS0_8identityIhEEEE10hipError_tT2_T3_mT4_P12ihipStream_tbEUlT_E_NS1_11comp_targetILNS1_3genE5ELNS1_11target_archE942ELNS1_3gpuE9ELNS1_3repE0EEENS1_30default_config_static_selectorELNS0_4arch9wavefront6targetE1EEEvT1_
	.globl	_ZN7rocprim17ROCPRIM_400000_NS6detail17trampoline_kernelINS0_14default_configENS1_25transform_config_selectorIhLb1EEEZNS1_14transform_implILb1ES3_S5_PhS7_NS0_8identityIhEEEE10hipError_tT2_T3_mT4_P12ihipStream_tbEUlT_E_NS1_11comp_targetILNS1_3genE5ELNS1_11target_archE942ELNS1_3gpuE9ELNS1_3repE0EEENS1_30default_config_static_selectorELNS0_4arch9wavefront6targetE1EEEvT1_
	.p2align	8
	.type	_ZN7rocprim17ROCPRIM_400000_NS6detail17trampoline_kernelINS0_14default_configENS1_25transform_config_selectorIhLb1EEEZNS1_14transform_implILb1ES3_S5_PhS7_NS0_8identityIhEEEE10hipError_tT2_T3_mT4_P12ihipStream_tbEUlT_E_NS1_11comp_targetILNS1_3genE5ELNS1_11target_archE942ELNS1_3gpuE9ELNS1_3repE0EEENS1_30default_config_static_selectorELNS0_4arch9wavefront6targetE1EEEvT1_,@function
_ZN7rocprim17ROCPRIM_400000_NS6detail17trampoline_kernelINS0_14default_configENS1_25transform_config_selectorIhLb1EEEZNS1_14transform_implILb1ES3_S5_PhS7_NS0_8identityIhEEEE10hipError_tT2_T3_mT4_P12ihipStream_tbEUlT_E_NS1_11comp_targetILNS1_3genE5ELNS1_11target_archE942ELNS1_3gpuE9ELNS1_3repE0EEENS1_30default_config_static_selectorELNS0_4arch9wavefront6targetE1EEEvT1_: ; @_ZN7rocprim17ROCPRIM_400000_NS6detail17trampoline_kernelINS0_14default_configENS1_25transform_config_selectorIhLb1EEEZNS1_14transform_implILb1ES3_S5_PhS7_NS0_8identityIhEEEE10hipError_tT2_T3_mT4_P12ihipStream_tbEUlT_E_NS1_11comp_targetILNS1_3genE5ELNS1_11target_archE942ELNS1_3gpuE9ELNS1_3repE0EEENS1_30default_config_static_selectorELNS0_4arch9wavefront6targetE1EEEvT1_
; %bb.0:
	.section	.rodata,"a",@progbits
	.p2align	6, 0x0
	.amdhsa_kernel _ZN7rocprim17ROCPRIM_400000_NS6detail17trampoline_kernelINS0_14default_configENS1_25transform_config_selectorIhLb1EEEZNS1_14transform_implILb1ES3_S5_PhS7_NS0_8identityIhEEEE10hipError_tT2_T3_mT4_P12ihipStream_tbEUlT_E_NS1_11comp_targetILNS1_3genE5ELNS1_11target_archE942ELNS1_3gpuE9ELNS1_3repE0EEENS1_30default_config_static_selectorELNS0_4arch9wavefront6targetE1EEEvT1_
		.amdhsa_group_segment_fixed_size 0
		.amdhsa_private_segment_fixed_size 0
		.amdhsa_kernarg_size 40
		.amdhsa_user_sgpr_count 6
		.amdhsa_user_sgpr_private_segment_buffer 1
		.amdhsa_user_sgpr_dispatch_ptr 0
		.amdhsa_user_sgpr_queue_ptr 0
		.amdhsa_user_sgpr_kernarg_segment_ptr 1
		.amdhsa_user_sgpr_dispatch_id 0
		.amdhsa_user_sgpr_flat_scratch_init 0
		.amdhsa_user_sgpr_kernarg_preload_length 0
		.amdhsa_user_sgpr_kernarg_preload_offset 0
		.amdhsa_user_sgpr_private_segment_size 0
		.amdhsa_uses_dynamic_stack 0
		.amdhsa_system_sgpr_private_segment_wavefront_offset 0
		.amdhsa_system_sgpr_workgroup_id_x 1
		.amdhsa_system_sgpr_workgroup_id_y 0
		.amdhsa_system_sgpr_workgroup_id_z 0
		.amdhsa_system_sgpr_workgroup_info 0
		.amdhsa_system_vgpr_workitem_id 0
		.amdhsa_next_free_vgpr 1
		.amdhsa_next_free_sgpr 0
		.amdhsa_accum_offset 4
		.amdhsa_reserve_vcc 0
		.amdhsa_reserve_flat_scratch 0
		.amdhsa_float_round_mode_32 0
		.amdhsa_float_round_mode_16_64 0
		.amdhsa_float_denorm_mode_32 3
		.amdhsa_float_denorm_mode_16_64 3
		.amdhsa_dx10_clamp 1
		.amdhsa_ieee_mode 1
		.amdhsa_fp16_overflow 0
		.amdhsa_tg_split 0
		.amdhsa_exception_fp_ieee_invalid_op 0
		.amdhsa_exception_fp_denorm_src 0
		.amdhsa_exception_fp_ieee_div_zero 0
		.amdhsa_exception_fp_ieee_overflow 0
		.amdhsa_exception_fp_ieee_underflow 0
		.amdhsa_exception_fp_ieee_inexact 0
		.amdhsa_exception_int_div_zero 0
	.end_amdhsa_kernel
	.section	.text._ZN7rocprim17ROCPRIM_400000_NS6detail17trampoline_kernelINS0_14default_configENS1_25transform_config_selectorIhLb1EEEZNS1_14transform_implILb1ES3_S5_PhS7_NS0_8identityIhEEEE10hipError_tT2_T3_mT4_P12ihipStream_tbEUlT_E_NS1_11comp_targetILNS1_3genE5ELNS1_11target_archE942ELNS1_3gpuE9ELNS1_3repE0EEENS1_30default_config_static_selectorELNS0_4arch9wavefront6targetE1EEEvT1_,"axG",@progbits,_ZN7rocprim17ROCPRIM_400000_NS6detail17trampoline_kernelINS0_14default_configENS1_25transform_config_selectorIhLb1EEEZNS1_14transform_implILb1ES3_S5_PhS7_NS0_8identityIhEEEE10hipError_tT2_T3_mT4_P12ihipStream_tbEUlT_E_NS1_11comp_targetILNS1_3genE5ELNS1_11target_archE942ELNS1_3gpuE9ELNS1_3repE0EEENS1_30default_config_static_selectorELNS0_4arch9wavefront6targetE1EEEvT1_,comdat
.Lfunc_end174:
	.size	_ZN7rocprim17ROCPRIM_400000_NS6detail17trampoline_kernelINS0_14default_configENS1_25transform_config_selectorIhLb1EEEZNS1_14transform_implILb1ES3_S5_PhS7_NS0_8identityIhEEEE10hipError_tT2_T3_mT4_P12ihipStream_tbEUlT_E_NS1_11comp_targetILNS1_3genE5ELNS1_11target_archE942ELNS1_3gpuE9ELNS1_3repE0EEENS1_30default_config_static_selectorELNS0_4arch9wavefront6targetE1EEEvT1_, .Lfunc_end174-_ZN7rocprim17ROCPRIM_400000_NS6detail17trampoline_kernelINS0_14default_configENS1_25transform_config_selectorIhLb1EEEZNS1_14transform_implILb1ES3_S5_PhS7_NS0_8identityIhEEEE10hipError_tT2_T3_mT4_P12ihipStream_tbEUlT_E_NS1_11comp_targetILNS1_3genE5ELNS1_11target_archE942ELNS1_3gpuE9ELNS1_3repE0EEENS1_30default_config_static_selectorELNS0_4arch9wavefront6targetE1EEEvT1_
                                        ; -- End function
	.section	.AMDGPU.csdata,"",@progbits
; Kernel info:
; codeLenInByte = 0
; NumSgprs: 4
; NumVgprs: 0
; NumAgprs: 0
; TotalNumVgprs: 0
; ScratchSize: 0
; MemoryBound: 0
; FloatMode: 240
; IeeeMode: 1
; LDSByteSize: 0 bytes/workgroup (compile time only)
; SGPRBlocks: 0
; VGPRBlocks: 0
; NumSGPRsForWavesPerEU: 4
; NumVGPRsForWavesPerEU: 1
; AccumOffset: 4
; Occupancy: 8
; WaveLimiterHint : 0
; COMPUTE_PGM_RSRC2:SCRATCH_EN: 0
; COMPUTE_PGM_RSRC2:USER_SGPR: 6
; COMPUTE_PGM_RSRC2:TRAP_HANDLER: 0
; COMPUTE_PGM_RSRC2:TGID_X_EN: 1
; COMPUTE_PGM_RSRC2:TGID_Y_EN: 0
; COMPUTE_PGM_RSRC2:TGID_Z_EN: 0
; COMPUTE_PGM_RSRC2:TIDIG_COMP_CNT: 0
; COMPUTE_PGM_RSRC3_GFX90A:ACCUM_OFFSET: 0
; COMPUTE_PGM_RSRC3_GFX90A:TG_SPLIT: 0
	.section	.text._ZN7rocprim17ROCPRIM_400000_NS6detail17trampoline_kernelINS0_14default_configENS1_25transform_config_selectorIhLb1EEEZNS1_14transform_implILb1ES3_S5_PhS7_NS0_8identityIhEEEE10hipError_tT2_T3_mT4_P12ihipStream_tbEUlT_E_NS1_11comp_targetILNS1_3genE4ELNS1_11target_archE910ELNS1_3gpuE8ELNS1_3repE0EEENS1_30default_config_static_selectorELNS0_4arch9wavefront6targetE1EEEvT1_,"axG",@progbits,_ZN7rocprim17ROCPRIM_400000_NS6detail17trampoline_kernelINS0_14default_configENS1_25transform_config_selectorIhLb1EEEZNS1_14transform_implILb1ES3_S5_PhS7_NS0_8identityIhEEEE10hipError_tT2_T3_mT4_P12ihipStream_tbEUlT_E_NS1_11comp_targetILNS1_3genE4ELNS1_11target_archE910ELNS1_3gpuE8ELNS1_3repE0EEENS1_30default_config_static_selectorELNS0_4arch9wavefront6targetE1EEEvT1_,comdat
	.protected	_ZN7rocprim17ROCPRIM_400000_NS6detail17trampoline_kernelINS0_14default_configENS1_25transform_config_selectorIhLb1EEEZNS1_14transform_implILb1ES3_S5_PhS7_NS0_8identityIhEEEE10hipError_tT2_T3_mT4_P12ihipStream_tbEUlT_E_NS1_11comp_targetILNS1_3genE4ELNS1_11target_archE910ELNS1_3gpuE8ELNS1_3repE0EEENS1_30default_config_static_selectorELNS0_4arch9wavefront6targetE1EEEvT1_ ; -- Begin function _ZN7rocprim17ROCPRIM_400000_NS6detail17trampoline_kernelINS0_14default_configENS1_25transform_config_selectorIhLb1EEEZNS1_14transform_implILb1ES3_S5_PhS7_NS0_8identityIhEEEE10hipError_tT2_T3_mT4_P12ihipStream_tbEUlT_E_NS1_11comp_targetILNS1_3genE4ELNS1_11target_archE910ELNS1_3gpuE8ELNS1_3repE0EEENS1_30default_config_static_selectorELNS0_4arch9wavefront6targetE1EEEvT1_
	.globl	_ZN7rocprim17ROCPRIM_400000_NS6detail17trampoline_kernelINS0_14default_configENS1_25transform_config_selectorIhLb1EEEZNS1_14transform_implILb1ES3_S5_PhS7_NS0_8identityIhEEEE10hipError_tT2_T3_mT4_P12ihipStream_tbEUlT_E_NS1_11comp_targetILNS1_3genE4ELNS1_11target_archE910ELNS1_3gpuE8ELNS1_3repE0EEENS1_30default_config_static_selectorELNS0_4arch9wavefront6targetE1EEEvT1_
	.p2align	8
	.type	_ZN7rocprim17ROCPRIM_400000_NS6detail17trampoline_kernelINS0_14default_configENS1_25transform_config_selectorIhLb1EEEZNS1_14transform_implILb1ES3_S5_PhS7_NS0_8identityIhEEEE10hipError_tT2_T3_mT4_P12ihipStream_tbEUlT_E_NS1_11comp_targetILNS1_3genE4ELNS1_11target_archE910ELNS1_3gpuE8ELNS1_3repE0EEENS1_30default_config_static_selectorELNS0_4arch9wavefront6targetE1EEEvT1_,@function
_ZN7rocprim17ROCPRIM_400000_NS6detail17trampoline_kernelINS0_14default_configENS1_25transform_config_selectorIhLb1EEEZNS1_14transform_implILb1ES3_S5_PhS7_NS0_8identityIhEEEE10hipError_tT2_T3_mT4_P12ihipStream_tbEUlT_E_NS1_11comp_targetILNS1_3genE4ELNS1_11target_archE910ELNS1_3gpuE8ELNS1_3repE0EEENS1_30default_config_static_selectorELNS0_4arch9wavefront6targetE1EEEvT1_: ; @_ZN7rocprim17ROCPRIM_400000_NS6detail17trampoline_kernelINS0_14default_configENS1_25transform_config_selectorIhLb1EEEZNS1_14transform_implILb1ES3_S5_PhS7_NS0_8identityIhEEEE10hipError_tT2_T3_mT4_P12ihipStream_tbEUlT_E_NS1_11comp_targetILNS1_3genE4ELNS1_11target_archE910ELNS1_3gpuE8ELNS1_3repE0EEENS1_30default_config_static_selectorELNS0_4arch9wavefront6targetE1EEEvT1_
; %bb.0:
	s_load_dwordx8 s[8:15], s[4:5], 0x0
	s_load_dword s0, s[4:5], 0x28
	s_waitcnt lgkmcnt(0)
	s_add_u32 s1, s8, s10
	s_addc_u32 s2, s9, s11
	s_add_u32 s33, s14, s10
	s_addc_u32 s36, s15, s11
	s_lshl_b32 s37, s6, 14
	s_add_i32 s0, s0, -1
	s_add_u32 s30, s1, s37
	s_addc_u32 s31, s2, 0
	s_cmp_lg_u32 s6, s0
	s_mov_b64 s[0:1], -1
	s_cbranch_scc0 .LBB175_2
; %bb.1:
	v_lshlrev_b32_e32 v1, 4, v0
	global_load_dwordx4 v[2:5], v1, s[30:31]
	s_add_u32 s0, s33, s37
	s_addc_u32 s1, s36, 0
	s_waitcnt vmcnt(0)
	global_store_dwordx4 v1, v[2:5], s[0:1]
	s_mov_b64 s[0:1], 0
.LBB175_2:
	s_andn2_b64 vcc, exec, s[0:1]
	s_cbranch_vccnz .LBB175_67
; %bb.3:
	s_sub_i32 s34, s12, s37
	v_cmp_gt_u32_e32 vcc, s34, v0
                                        ; implicit-def: $vgpr1
	s_and_saveexec_b64 s[0:1], vcc
	s_cbranch_execz .LBB175_5
; %bb.4:
	global_load_ubyte v1, v0, s[30:31]
.LBB175_5:
	s_or_b64 exec, exec, s[0:1]
	v_or_b32_e32 v2, 0x400, v0
	v_cmp_gt_u32_e64 s[0:1], s34, v2
                                        ; implicit-def: $vgpr2
	s_and_saveexec_b64 s[2:3], s[0:1]
	s_cbranch_execz .LBB175_7
; %bb.6:
	global_load_ubyte v2, v0, s[30:31] offset:1024
.LBB175_7:
	s_or_b64 exec, exec, s[2:3]
	v_or_b32_e32 v3, 0x800, v0
	v_cmp_gt_u32_e64 s[2:3], s34, v3
                                        ; implicit-def: $vgpr3
	s_and_saveexec_b64 s[4:5], s[2:3]
	s_cbranch_execz .LBB175_9
; %bb.8:
	global_load_ubyte v3, v0, s[30:31] offset:2048
.LBB175_9:
	s_or_b64 exec, exec, s[4:5]
	v_or_b32_e32 v4, 0xc00, v0
	v_cmp_gt_u32_e64 s[4:5], s34, v4
                                        ; implicit-def: $vgpr4
	s_and_saveexec_b64 s[6:7], s[4:5]
	s_cbranch_execz .LBB175_11
; %bb.10:
	global_load_ubyte v4, v0, s[30:31] offset:3072
.LBB175_11:
	s_or_b64 exec, exec, s[6:7]
	v_or_b32_e32 v6, 0x1000, v0
	v_cmp_gt_u32_e64 s[6:7], s34, v6
                                        ; implicit-def: $vgpr5
	s_and_saveexec_b64 s[8:9], s[6:7]
	s_cbranch_execz .LBB175_13
; %bb.12:
	global_load_ubyte v5, v6, s[30:31]
.LBB175_13:
	s_or_b64 exec, exec, s[8:9]
	v_or_b32_e32 v7, 0x1400, v0
	v_cmp_gt_u32_e64 s[8:9], s34, v7
                                        ; implicit-def: $vgpr6
	s_and_saveexec_b64 s[10:11], s[8:9]
	s_cbranch_execz .LBB175_15
; %bb.14:
	global_load_ubyte v6, v7, s[30:31]
.LBB175_15:
	s_or_b64 exec, exec, s[10:11]
	v_or_b32_e32 v8, 0x1800, v0
	v_cmp_gt_u32_e64 s[10:11], s34, v8
                                        ; implicit-def: $vgpr7
	s_and_saveexec_b64 s[12:13], s[10:11]
	s_cbranch_execz .LBB175_17
; %bb.16:
	global_load_ubyte v7, v8, s[30:31]
.LBB175_17:
	s_or_b64 exec, exec, s[12:13]
	v_or_b32_e32 v9, 0x1c00, v0
	v_cmp_gt_u32_e64 s[12:13], s34, v9
                                        ; implicit-def: $vgpr8
	s_and_saveexec_b64 s[14:15], s[12:13]
	s_cbranch_execz .LBB175_19
; %bb.18:
	global_load_ubyte v8, v9, s[30:31]
.LBB175_19:
	s_or_b64 exec, exec, s[14:15]
	v_or_b32_e32 v10, 0x2000, v0
	v_cmp_gt_u32_e64 s[14:15], s34, v10
                                        ; implicit-def: $vgpr9
	s_and_saveexec_b64 s[16:17], s[14:15]
	s_cbranch_execz .LBB175_21
; %bb.20:
	global_load_ubyte v9, v10, s[30:31]
.LBB175_21:
	s_or_b64 exec, exec, s[16:17]
	v_or_b32_e32 v11, 0x2400, v0
	v_cmp_gt_u32_e64 s[16:17], s34, v11
                                        ; implicit-def: $vgpr10
	s_and_saveexec_b64 s[18:19], s[16:17]
	s_cbranch_execz .LBB175_23
; %bb.22:
	global_load_ubyte v10, v11, s[30:31]
.LBB175_23:
	s_or_b64 exec, exec, s[18:19]
	v_or_b32_e32 v12, 0x2800, v0
	v_cmp_gt_u32_e64 s[18:19], s34, v12
                                        ; implicit-def: $vgpr11
	s_and_saveexec_b64 s[20:21], s[18:19]
	s_cbranch_execz .LBB175_25
; %bb.24:
	global_load_ubyte v11, v12, s[30:31]
.LBB175_25:
	s_or_b64 exec, exec, s[20:21]
	v_or_b32_e32 v13, 0x2c00, v0
	v_cmp_gt_u32_e64 s[20:21], s34, v13
                                        ; implicit-def: $vgpr12
	s_and_saveexec_b64 s[22:23], s[20:21]
	s_cbranch_execz .LBB175_27
; %bb.26:
	global_load_ubyte v12, v13, s[30:31]
.LBB175_27:
	s_or_b64 exec, exec, s[22:23]
	v_or_b32_e32 v14, 0x3000, v0
	v_cmp_gt_u32_e64 s[22:23], s34, v14
                                        ; implicit-def: $vgpr13
	s_and_saveexec_b64 s[24:25], s[22:23]
	s_cbranch_execz .LBB175_29
; %bb.28:
	global_load_ubyte v13, v14, s[30:31]
.LBB175_29:
	s_or_b64 exec, exec, s[24:25]
	v_or_b32_e32 v15, 0x3400, v0
	v_cmp_gt_u32_e64 s[24:25], s34, v15
                                        ; implicit-def: $vgpr14
	s_and_saveexec_b64 s[26:27], s[24:25]
	s_cbranch_execz .LBB175_31
; %bb.30:
	global_load_ubyte v14, v15, s[30:31]
.LBB175_31:
	s_or_b64 exec, exec, s[26:27]
	v_or_b32_e32 v16, 0x3800, v0
	v_cmp_gt_u32_e64 s[26:27], s34, v16
                                        ; implicit-def: $vgpr15
	s_and_saveexec_b64 s[28:29], s[26:27]
	s_cbranch_execz .LBB175_33
; %bb.32:
	global_load_ubyte v15, v16, s[30:31]
.LBB175_33:
	s_or_b64 exec, exec, s[28:29]
	v_or_b32_e32 v17, 0x3c00, v0
	v_cmp_gt_u32_e64 s[28:29], s34, v17
                                        ; implicit-def: $vgpr16
	s_and_saveexec_b64 s[34:35], s[28:29]
	s_cbranch_execz .LBB175_35
; %bb.34:
	global_load_ubyte v16, v17, s[30:31]
.LBB175_35:
	s_or_b64 exec, exec, s[34:35]
	s_waitcnt vmcnt(0)
	v_lshlrev_b16_e32 v2, 8, v2
	v_or_b32_sdwa v1, v1, v2 dst_sel:DWORD dst_unused:UNUSED_PAD src0_sel:BYTE_0 src1_sel:DWORD
	v_lshlrev_b16_e32 v2, 8, v4
	v_or_b32_sdwa v2, v3, v2 dst_sel:WORD_1 dst_unused:UNUSED_PAD src0_sel:BYTE_0 src1_sel:DWORD
	v_or_b32_sdwa v17, v1, v2 dst_sel:DWORD dst_unused:UNUSED_PAD src0_sel:WORD_0 src1_sel:DWORD
	v_lshlrev_b16_e32 v1, 8, v6
	v_lshlrev_b16_e32 v2, 8, v8
	v_or_b32_sdwa v1, v5, v1 dst_sel:DWORD dst_unused:UNUSED_PAD src0_sel:BYTE_0 src1_sel:DWORD
	v_or_b32_sdwa v2, v7, v2 dst_sel:WORD_1 dst_unused:UNUSED_PAD src0_sel:BYTE_0 src1_sel:DWORD
	v_or_b32_sdwa v4, v1, v2 dst_sel:DWORD dst_unused:UNUSED_PAD src0_sel:WORD_0 src1_sel:DWORD
	v_lshlrev_b16_e32 v1, 8, v10
	v_lshlrev_b16_e32 v2, 8, v12
	v_or_b32_sdwa v1, v9, v1 dst_sel:DWORD dst_unused:UNUSED_PAD src0_sel:BYTE_0 src1_sel:DWORD
	v_or_b32_sdwa v2, v11, v2 dst_sel:WORD_1 dst_unused:UNUSED_PAD src0_sel:BYTE_0 src1_sel:DWORD
	v_or_b32_sdwa v3, v1, v2 dst_sel:DWORD dst_unused:UNUSED_PAD src0_sel:WORD_0 src1_sel:DWORD
	v_lshlrev_b16_e32 v1, 8, v14
	v_lshlrev_b16_e32 v2, 8, v16
	s_add_u32 s30, s33, s37
	v_or_b32_sdwa v1, v13, v1 dst_sel:DWORD dst_unused:UNUSED_PAD src0_sel:BYTE_0 src1_sel:DWORD
	v_or_b32_sdwa v2, v15, v2 dst_sel:WORD_1 dst_unused:UNUSED_PAD src0_sel:BYTE_0 src1_sel:DWORD
	s_addc_u32 s31, s36, 0
	v_or_b32_sdwa v2, v1, v2 dst_sel:DWORD dst_unused:UNUSED_PAD src0_sel:WORD_0 src1_sel:DWORD
	v_mov_b32_e32 v1, s31
	v_add_co_u32_e64 v0, s[30:31], s30, v0
	v_addc_co_u32_e64 v1, s[30:31], 0, v1, s[30:31]
	s_and_saveexec_b64 s[30:31], vcc
	s_cbranch_execz .LBB175_37
; %bb.36:
	global_store_byte v[0:1], v17, off
.LBB175_37:
	s_or_b64 exec, exec, s[30:31]
	s_and_saveexec_b64 s[30:31], s[0:1]
	s_cbranch_execz .LBB175_39
; %bb.38:
	v_lshrrev_b32_e32 v5, 8, v17
	global_store_byte v[0:1], v5, off offset:1024
.LBB175_39:
	s_or_b64 exec, exec, s[30:31]
	s_mov_b32 s0, 0x7060104
	v_perm_b32 v5, v17, v17, s0
	v_cndmask_b32_e64 v6, v5, v17, s[2:3]
	s_and_saveexec_b64 s[0:1], s[2:3]
	s_cbranch_execz .LBB175_41
; %bb.40:
	global_store_byte_d16_hi v[0:1], v6, off offset:2048
.LBB175_41:
	s_or_b64 exec, exec, s[0:1]
	s_mov_b32 s0, 0x7020504
	v_perm_b32 v5, v5, v6, s0
	v_cndmask_b32_e64 v5, v5, v17, s[4:5]
	s_and_saveexec_b64 s[0:1], s[4:5]
	s_cbranch_execz .LBB175_43
; %bb.42:
	v_lshrrev_b32_e32 v5, 24, v5
	global_store_byte v[0:1], v5, off offset:3072
.LBB175_43:
	s_or_b64 exec, exec, s[0:1]
	s_and_saveexec_b64 s[0:1], s[6:7]
	s_cbranch_execz .LBB175_45
; %bb.44:
	v_add_co_u32_e32 v6, vcc, 0x1000, v0
	v_addc_co_u32_e32 v7, vcc, 0, v1, vcc
	global_store_byte v[6:7], v4, off
.LBB175_45:
	s_or_b64 exec, exec, s[0:1]
	s_mov_b32 s0, 0x3020104
	v_perm_b32 v5, v4, v4, s0
	v_cndmask_b32_e64 v6, v5, v4, s[8:9]
	s_and_saveexec_b64 s[0:1], s[8:9]
	s_cbranch_execz .LBB175_47
; %bb.46:
	v_add_co_u32_e32 v8, vcc, 0x1000, v0
	v_lshrrev_b32_e32 v7, 8, v6
	v_addc_co_u32_e32 v9, vcc, 0, v1, vcc
	global_store_byte v[8:9], v7, off offset:1024
.LBB175_47:
	s_or_b64 exec, exec, s[0:1]
	s_mov_b32 s0, 0x7060104
	v_perm_b32 v5, v5, v6, s0
	v_cndmask_b32_e64 v6, v5, v4, s[10:11]
	s_and_saveexec_b64 s[0:1], s[10:11]
	s_cbranch_execz .LBB175_49
; %bb.48:
	v_add_co_u32_e32 v8, vcc, 0x1000, v0
	v_addc_co_u32_e32 v9, vcc, 0, v1, vcc
	global_store_byte_d16_hi v[8:9], v6, off offset:2048
.LBB175_49:
	s_or_b64 exec, exec, s[0:1]
	s_mov_b32 s0, 0x7020504
	v_perm_b32 v5, v5, v6, s0
	v_cndmask_b32_e64 v4, v5, v4, s[12:13]
	s_and_saveexec_b64 s[0:1], s[12:13]
	s_cbranch_execz .LBB175_51
; %bb.50:
	v_lshrrev_b32_e32 v6, 24, v4
	v_add_co_u32_e32 v4, vcc, 0x1000, v0
	v_addc_co_u32_e32 v5, vcc, 0, v1, vcc
	global_store_byte v[4:5], v6, off offset:3072
.LBB175_51:
	s_or_b64 exec, exec, s[0:1]
	s_and_saveexec_b64 s[0:1], s[14:15]
	s_cbranch_execz .LBB175_53
; %bb.52:
	v_add_co_u32_e32 v4, vcc, 0x2000, v0
	v_addc_co_u32_e32 v5, vcc, 0, v1, vcc
	global_store_byte v[4:5], v3, off
.LBB175_53:
	s_or_b64 exec, exec, s[0:1]
	s_mov_b32 s0, 0x3020104
	v_perm_b32 v4, v3, v3, s0
	v_cndmask_b32_e64 v5, v4, v3, s[16:17]
	s_and_saveexec_b64 s[0:1], s[16:17]
	s_cbranch_execz .LBB175_55
; %bb.54:
	v_add_co_u32_e32 v6, vcc, 0x2000, v0
	v_lshrrev_b32_e32 v8, 8, v5
	v_addc_co_u32_e32 v7, vcc, 0, v1, vcc
	global_store_byte v[6:7], v8, off offset:1024
.LBB175_55:
	s_or_b64 exec, exec, s[0:1]
	s_mov_b32 s0, 0x7060104
	v_perm_b32 v4, v4, v5, s0
	v_cndmask_b32_e64 v5, v4, v3, s[18:19]
	s_and_saveexec_b64 s[0:1], s[18:19]
	s_cbranch_execz .LBB175_57
; %bb.56:
	v_add_co_u32_e32 v6, vcc, 0x2000, v0
	v_addc_co_u32_e32 v7, vcc, 0, v1, vcc
	global_store_byte_d16_hi v[6:7], v5, off offset:2048
.LBB175_57:
	s_or_b64 exec, exec, s[0:1]
	s_mov_b32 s0, 0x7020504
	v_perm_b32 v4, v4, v5, s0
	v_cndmask_b32_e64 v3, v4, v3, s[20:21]
	s_and_saveexec_b64 s[0:1], s[20:21]
	s_cbranch_execz .LBB175_59
; %bb.58:
	v_add_co_u32_e32 v4, vcc, 0x2000, v0
	v_lshrrev_b32_e32 v3, 24, v3
	v_addc_co_u32_e32 v5, vcc, 0, v1, vcc
	global_store_byte v[4:5], v3, off offset:3072
.LBB175_59:
	s_or_b64 exec, exec, s[0:1]
	s_and_saveexec_b64 s[0:1], s[22:23]
	s_cbranch_execz .LBB175_61
; %bb.60:
	v_add_co_u32_e32 v4, vcc, 0x3000, v0
	v_addc_co_u32_e32 v5, vcc, 0, v1, vcc
	global_store_byte v[4:5], v2, off
.LBB175_61:
	s_or_b64 exec, exec, s[0:1]
	s_mov_b32 s0, 0x3020104
	v_perm_b32 v3, v2, v2, s0
	v_cndmask_b32_e64 v4, v3, v2, s[24:25]
	s_and_saveexec_b64 s[0:1], s[24:25]
	s_cbranch_execz .LBB175_63
; %bb.62:
	v_add_co_u32_e32 v6, vcc, 0x3000, v0
	v_lshrrev_b32_e32 v5, 8, v4
	v_addc_co_u32_e32 v7, vcc, 0, v1, vcc
	global_store_byte v[6:7], v5, off offset:1024
.LBB175_63:
	s_or_b64 exec, exec, s[0:1]
	s_mov_b32 s0, 0x7060104
	v_perm_b32 v3, v3, v4, s0
	s_and_saveexec_b64 s[0:1], s[26:27]
	s_cbranch_execz .LBB175_65
; %bb.64:
	v_add_co_u32_e32 v4, vcc, 0x3000, v0
	v_cndmask_b32_e64 v6, v3, v2, s[26:27]
	v_addc_co_u32_e32 v5, vcc, 0, v1, vcc
	global_store_byte_d16_hi v[4:5], v6, off offset:2048
.LBB175_65:
	s_or_b64 exec, exec, s[0:1]
	s_and_saveexec_b64 s[0:1], s[28:29]
	s_cbranch_execz .LBB175_67
; %bb.66:
	v_cndmask_b32_e64 v2, v3, v2, s[28:29]
	v_add_co_u32_e32 v0, vcc, 0x3000, v0
	v_lshrrev_b32_e32 v2, 24, v2
	v_addc_co_u32_e32 v1, vcc, 0, v1, vcc
	global_store_byte v[0:1], v2, off offset:3072
.LBB175_67:
	s_endpgm
	.section	.rodata,"a",@progbits
	.p2align	6, 0x0
	.amdhsa_kernel _ZN7rocprim17ROCPRIM_400000_NS6detail17trampoline_kernelINS0_14default_configENS1_25transform_config_selectorIhLb1EEEZNS1_14transform_implILb1ES3_S5_PhS7_NS0_8identityIhEEEE10hipError_tT2_T3_mT4_P12ihipStream_tbEUlT_E_NS1_11comp_targetILNS1_3genE4ELNS1_11target_archE910ELNS1_3gpuE8ELNS1_3repE0EEENS1_30default_config_static_selectorELNS0_4arch9wavefront6targetE1EEEvT1_
		.amdhsa_group_segment_fixed_size 0
		.amdhsa_private_segment_fixed_size 0
		.amdhsa_kernarg_size 296
		.amdhsa_user_sgpr_count 6
		.amdhsa_user_sgpr_private_segment_buffer 1
		.amdhsa_user_sgpr_dispatch_ptr 0
		.amdhsa_user_sgpr_queue_ptr 0
		.amdhsa_user_sgpr_kernarg_segment_ptr 1
		.amdhsa_user_sgpr_dispatch_id 0
		.amdhsa_user_sgpr_flat_scratch_init 0
		.amdhsa_user_sgpr_kernarg_preload_length 0
		.amdhsa_user_sgpr_kernarg_preload_offset 0
		.amdhsa_user_sgpr_private_segment_size 0
		.amdhsa_uses_dynamic_stack 0
		.amdhsa_system_sgpr_private_segment_wavefront_offset 0
		.amdhsa_system_sgpr_workgroup_id_x 1
		.amdhsa_system_sgpr_workgroup_id_y 0
		.amdhsa_system_sgpr_workgroup_id_z 0
		.amdhsa_system_sgpr_workgroup_info 0
		.amdhsa_system_vgpr_workitem_id 0
		.amdhsa_next_free_vgpr 18
		.amdhsa_next_free_sgpr 38
		.amdhsa_accum_offset 20
		.amdhsa_reserve_vcc 1
		.amdhsa_reserve_flat_scratch 0
		.amdhsa_float_round_mode_32 0
		.amdhsa_float_round_mode_16_64 0
		.amdhsa_float_denorm_mode_32 3
		.amdhsa_float_denorm_mode_16_64 3
		.amdhsa_dx10_clamp 1
		.amdhsa_ieee_mode 1
		.amdhsa_fp16_overflow 0
		.amdhsa_tg_split 0
		.amdhsa_exception_fp_ieee_invalid_op 0
		.amdhsa_exception_fp_denorm_src 0
		.amdhsa_exception_fp_ieee_div_zero 0
		.amdhsa_exception_fp_ieee_overflow 0
		.amdhsa_exception_fp_ieee_underflow 0
		.amdhsa_exception_fp_ieee_inexact 0
		.amdhsa_exception_int_div_zero 0
	.end_amdhsa_kernel
	.section	.text._ZN7rocprim17ROCPRIM_400000_NS6detail17trampoline_kernelINS0_14default_configENS1_25transform_config_selectorIhLb1EEEZNS1_14transform_implILb1ES3_S5_PhS7_NS0_8identityIhEEEE10hipError_tT2_T3_mT4_P12ihipStream_tbEUlT_E_NS1_11comp_targetILNS1_3genE4ELNS1_11target_archE910ELNS1_3gpuE8ELNS1_3repE0EEENS1_30default_config_static_selectorELNS0_4arch9wavefront6targetE1EEEvT1_,"axG",@progbits,_ZN7rocprim17ROCPRIM_400000_NS6detail17trampoline_kernelINS0_14default_configENS1_25transform_config_selectorIhLb1EEEZNS1_14transform_implILb1ES3_S5_PhS7_NS0_8identityIhEEEE10hipError_tT2_T3_mT4_P12ihipStream_tbEUlT_E_NS1_11comp_targetILNS1_3genE4ELNS1_11target_archE910ELNS1_3gpuE8ELNS1_3repE0EEENS1_30default_config_static_selectorELNS0_4arch9wavefront6targetE1EEEvT1_,comdat
.Lfunc_end175:
	.size	_ZN7rocprim17ROCPRIM_400000_NS6detail17trampoline_kernelINS0_14default_configENS1_25transform_config_selectorIhLb1EEEZNS1_14transform_implILb1ES3_S5_PhS7_NS0_8identityIhEEEE10hipError_tT2_T3_mT4_P12ihipStream_tbEUlT_E_NS1_11comp_targetILNS1_3genE4ELNS1_11target_archE910ELNS1_3gpuE8ELNS1_3repE0EEENS1_30default_config_static_selectorELNS0_4arch9wavefront6targetE1EEEvT1_, .Lfunc_end175-_ZN7rocprim17ROCPRIM_400000_NS6detail17trampoline_kernelINS0_14default_configENS1_25transform_config_selectorIhLb1EEEZNS1_14transform_implILb1ES3_S5_PhS7_NS0_8identityIhEEEE10hipError_tT2_T3_mT4_P12ihipStream_tbEUlT_E_NS1_11comp_targetILNS1_3genE4ELNS1_11target_archE910ELNS1_3gpuE8ELNS1_3repE0EEENS1_30default_config_static_selectorELNS0_4arch9wavefront6targetE1EEEvT1_
                                        ; -- End function
	.section	.AMDGPU.csdata,"",@progbits
; Kernel info:
; codeLenInByte = 1580
; NumSgprs: 42
; NumVgprs: 18
; NumAgprs: 0
; TotalNumVgprs: 18
; ScratchSize: 0
; MemoryBound: 1
; FloatMode: 240
; IeeeMode: 1
; LDSByteSize: 0 bytes/workgroup (compile time only)
; SGPRBlocks: 5
; VGPRBlocks: 2
; NumSGPRsForWavesPerEU: 42
; NumVGPRsForWavesPerEU: 18
; AccumOffset: 20
; Occupancy: 8
; WaveLimiterHint : 0
; COMPUTE_PGM_RSRC2:SCRATCH_EN: 0
; COMPUTE_PGM_RSRC2:USER_SGPR: 6
; COMPUTE_PGM_RSRC2:TRAP_HANDLER: 0
; COMPUTE_PGM_RSRC2:TGID_X_EN: 1
; COMPUTE_PGM_RSRC2:TGID_Y_EN: 0
; COMPUTE_PGM_RSRC2:TGID_Z_EN: 0
; COMPUTE_PGM_RSRC2:TIDIG_COMP_CNT: 0
; COMPUTE_PGM_RSRC3_GFX90A:ACCUM_OFFSET: 4
; COMPUTE_PGM_RSRC3_GFX90A:TG_SPLIT: 0
	.section	.text._ZN7rocprim17ROCPRIM_400000_NS6detail17trampoline_kernelINS0_14default_configENS1_25transform_config_selectorIhLb1EEEZNS1_14transform_implILb1ES3_S5_PhS7_NS0_8identityIhEEEE10hipError_tT2_T3_mT4_P12ihipStream_tbEUlT_E_NS1_11comp_targetILNS1_3genE3ELNS1_11target_archE908ELNS1_3gpuE7ELNS1_3repE0EEENS1_30default_config_static_selectorELNS0_4arch9wavefront6targetE1EEEvT1_,"axG",@progbits,_ZN7rocprim17ROCPRIM_400000_NS6detail17trampoline_kernelINS0_14default_configENS1_25transform_config_selectorIhLb1EEEZNS1_14transform_implILb1ES3_S5_PhS7_NS0_8identityIhEEEE10hipError_tT2_T3_mT4_P12ihipStream_tbEUlT_E_NS1_11comp_targetILNS1_3genE3ELNS1_11target_archE908ELNS1_3gpuE7ELNS1_3repE0EEENS1_30default_config_static_selectorELNS0_4arch9wavefront6targetE1EEEvT1_,comdat
	.protected	_ZN7rocprim17ROCPRIM_400000_NS6detail17trampoline_kernelINS0_14default_configENS1_25transform_config_selectorIhLb1EEEZNS1_14transform_implILb1ES3_S5_PhS7_NS0_8identityIhEEEE10hipError_tT2_T3_mT4_P12ihipStream_tbEUlT_E_NS1_11comp_targetILNS1_3genE3ELNS1_11target_archE908ELNS1_3gpuE7ELNS1_3repE0EEENS1_30default_config_static_selectorELNS0_4arch9wavefront6targetE1EEEvT1_ ; -- Begin function _ZN7rocprim17ROCPRIM_400000_NS6detail17trampoline_kernelINS0_14default_configENS1_25transform_config_selectorIhLb1EEEZNS1_14transform_implILb1ES3_S5_PhS7_NS0_8identityIhEEEE10hipError_tT2_T3_mT4_P12ihipStream_tbEUlT_E_NS1_11comp_targetILNS1_3genE3ELNS1_11target_archE908ELNS1_3gpuE7ELNS1_3repE0EEENS1_30default_config_static_selectorELNS0_4arch9wavefront6targetE1EEEvT1_
	.globl	_ZN7rocprim17ROCPRIM_400000_NS6detail17trampoline_kernelINS0_14default_configENS1_25transform_config_selectorIhLb1EEEZNS1_14transform_implILb1ES3_S5_PhS7_NS0_8identityIhEEEE10hipError_tT2_T3_mT4_P12ihipStream_tbEUlT_E_NS1_11comp_targetILNS1_3genE3ELNS1_11target_archE908ELNS1_3gpuE7ELNS1_3repE0EEENS1_30default_config_static_selectorELNS0_4arch9wavefront6targetE1EEEvT1_
	.p2align	8
	.type	_ZN7rocprim17ROCPRIM_400000_NS6detail17trampoline_kernelINS0_14default_configENS1_25transform_config_selectorIhLb1EEEZNS1_14transform_implILb1ES3_S5_PhS7_NS0_8identityIhEEEE10hipError_tT2_T3_mT4_P12ihipStream_tbEUlT_E_NS1_11comp_targetILNS1_3genE3ELNS1_11target_archE908ELNS1_3gpuE7ELNS1_3repE0EEENS1_30default_config_static_selectorELNS0_4arch9wavefront6targetE1EEEvT1_,@function
_ZN7rocprim17ROCPRIM_400000_NS6detail17trampoline_kernelINS0_14default_configENS1_25transform_config_selectorIhLb1EEEZNS1_14transform_implILb1ES3_S5_PhS7_NS0_8identityIhEEEE10hipError_tT2_T3_mT4_P12ihipStream_tbEUlT_E_NS1_11comp_targetILNS1_3genE3ELNS1_11target_archE908ELNS1_3gpuE7ELNS1_3repE0EEENS1_30default_config_static_selectorELNS0_4arch9wavefront6targetE1EEEvT1_: ; @_ZN7rocprim17ROCPRIM_400000_NS6detail17trampoline_kernelINS0_14default_configENS1_25transform_config_selectorIhLb1EEEZNS1_14transform_implILb1ES3_S5_PhS7_NS0_8identityIhEEEE10hipError_tT2_T3_mT4_P12ihipStream_tbEUlT_E_NS1_11comp_targetILNS1_3genE3ELNS1_11target_archE908ELNS1_3gpuE7ELNS1_3repE0EEENS1_30default_config_static_selectorELNS0_4arch9wavefront6targetE1EEEvT1_
; %bb.0:
	.section	.rodata,"a",@progbits
	.p2align	6, 0x0
	.amdhsa_kernel _ZN7rocprim17ROCPRIM_400000_NS6detail17trampoline_kernelINS0_14default_configENS1_25transform_config_selectorIhLb1EEEZNS1_14transform_implILb1ES3_S5_PhS7_NS0_8identityIhEEEE10hipError_tT2_T3_mT4_P12ihipStream_tbEUlT_E_NS1_11comp_targetILNS1_3genE3ELNS1_11target_archE908ELNS1_3gpuE7ELNS1_3repE0EEENS1_30default_config_static_selectorELNS0_4arch9wavefront6targetE1EEEvT1_
		.amdhsa_group_segment_fixed_size 0
		.amdhsa_private_segment_fixed_size 0
		.amdhsa_kernarg_size 40
		.amdhsa_user_sgpr_count 6
		.amdhsa_user_sgpr_private_segment_buffer 1
		.amdhsa_user_sgpr_dispatch_ptr 0
		.amdhsa_user_sgpr_queue_ptr 0
		.amdhsa_user_sgpr_kernarg_segment_ptr 1
		.amdhsa_user_sgpr_dispatch_id 0
		.amdhsa_user_sgpr_flat_scratch_init 0
		.amdhsa_user_sgpr_kernarg_preload_length 0
		.amdhsa_user_sgpr_kernarg_preload_offset 0
		.amdhsa_user_sgpr_private_segment_size 0
		.amdhsa_uses_dynamic_stack 0
		.amdhsa_system_sgpr_private_segment_wavefront_offset 0
		.amdhsa_system_sgpr_workgroup_id_x 1
		.amdhsa_system_sgpr_workgroup_id_y 0
		.amdhsa_system_sgpr_workgroup_id_z 0
		.amdhsa_system_sgpr_workgroup_info 0
		.amdhsa_system_vgpr_workitem_id 0
		.amdhsa_next_free_vgpr 1
		.amdhsa_next_free_sgpr 0
		.amdhsa_accum_offset 4
		.amdhsa_reserve_vcc 0
		.amdhsa_reserve_flat_scratch 0
		.amdhsa_float_round_mode_32 0
		.amdhsa_float_round_mode_16_64 0
		.amdhsa_float_denorm_mode_32 3
		.amdhsa_float_denorm_mode_16_64 3
		.amdhsa_dx10_clamp 1
		.amdhsa_ieee_mode 1
		.amdhsa_fp16_overflow 0
		.amdhsa_tg_split 0
		.amdhsa_exception_fp_ieee_invalid_op 0
		.amdhsa_exception_fp_denorm_src 0
		.amdhsa_exception_fp_ieee_div_zero 0
		.amdhsa_exception_fp_ieee_overflow 0
		.amdhsa_exception_fp_ieee_underflow 0
		.amdhsa_exception_fp_ieee_inexact 0
		.amdhsa_exception_int_div_zero 0
	.end_amdhsa_kernel
	.section	.text._ZN7rocprim17ROCPRIM_400000_NS6detail17trampoline_kernelINS0_14default_configENS1_25transform_config_selectorIhLb1EEEZNS1_14transform_implILb1ES3_S5_PhS7_NS0_8identityIhEEEE10hipError_tT2_T3_mT4_P12ihipStream_tbEUlT_E_NS1_11comp_targetILNS1_3genE3ELNS1_11target_archE908ELNS1_3gpuE7ELNS1_3repE0EEENS1_30default_config_static_selectorELNS0_4arch9wavefront6targetE1EEEvT1_,"axG",@progbits,_ZN7rocprim17ROCPRIM_400000_NS6detail17trampoline_kernelINS0_14default_configENS1_25transform_config_selectorIhLb1EEEZNS1_14transform_implILb1ES3_S5_PhS7_NS0_8identityIhEEEE10hipError_tT2_T3_mT4_P12ihipStream_tbEUlT_E_NS1_11comp_targetILNS1_3genE3ELNS1_11target_archE908ELNS1_3gpuE7ELNS1_3repE0EEENS1_30default_config_static_selectorELNS0_4arch9wavefront6targetE1EEEvT1_,comdat
.Lfunc_end176:
	.size	_ZN7rocprim17ROCPRIM_400000_NS6detail17trampoline_kernelINS0_14default_configENS1_25transform_config_selectorIhLb1EEEZNS1_14transform_implILb1ES3_S5_PhS7_NS0_8identityIhEEEE10hipError_tT2_T3_mT4_P12ihipStream_tbEUlT_E_NS1_11comp_targetILNS1_3genE3ELNS1_11target_archE908ELNS1_3gpuE7ELNS1_3repE0EEENS1_30default_config_static_selectorELNS0_4arch9wavefront6targetE1EEEvT1_, .Lfunc_end176-_ZN7rocprim17ROCPRIM_400000_NS6detail17trampoline_kernelINS0_14default_configENS1_25transform_config_selectorIhLb1EEEZNS1_14transform_implILb1ES3_S5_PhS7_NS0_8identityIhEEEE10hipError_tT2_T3_mT4_P12ihipStream_tbEUlT_E_NS1_11comp_targetILNS1_3genE3ELNS1_11target_archE908ELNS1_3gpuE7ELNS1_3repE0EEENS1_30default_config_static_selectorELNS0_4arch9wavefront6targetE1EEEvT1_
                                        ; -- End function
	.section	.AMDGPU.csdata,"",@progbits
; Kernel info:
; codeLenInByte = 0
; NumSgprs: 4
; NumVgprs: 0
; NumAgprs: 0
; TotalNumVgprs: 0
; ScratchSize: 0
; MemoryBound: 0
; FloatMode: 240
; IeeeMode: 1
; LDSByteSize: 0 bytes/workgroup (compile time only)
; SGPRBlocks: 0
; VGPRBlocks: 0
; NumSGPRsForWavesPerEU: 4
; NumVGPRsForWavesPerEU: 1
; AccumOffset: 4
; Occupancy: 8
; WaveLimiterHint : 0
; COMPUTE_PGM_RSRC2:SCRATCH_EN: 0
; COMPUTE_PGM_RSRC2:USER_SGPR: 6
; COMPUTE_PGM_RSRC2:TRAP_HANDLER: 0
; COMPUTE_PGM_RSRC2:TGID_X_EN: 1
; COMPUTE_PGM_RSRC2:TGID_Y_EN: 0
; COMPUTE_PGM_RSRC2:TGID_Z_EN: 0
; COMPUTE_PGM_RSRC2:TIDIG_COMP_CNT: 0
; COMPUTE_PGM_RSRC3_GFX90A:ACCUM_OFFSET: 0
; COMPUTE_PGM_RSRC3_GFX90A:TG_SPLIT: 0
	.section	.text._ZN7rocprim17ROCPRIM_400000_NS6detail17trampoline_kernelINS0_14default_configENS1_25transform_config_selectorIhLb1EEEZNS1_14transform_implILb1ES3_S5_PhS7_NS0_8identityIhEEEE10hipError_tT2_T3_mT4_P12ihipStream_tbEUlT_E_NS1_11comp_targetILNS1_3genE2ELNS1_11target_archE906ELNS1_3gpuE6ELNS1_3repE0EEENS1_30default_config_static_selectorELNS0_4arch9wavefront6targetE1EEEvT1_,"axG",@progbits,_ZN7rocprim17ROCPRIM_400000_NS6detail17trampoline_kernelINS0_14default_configENS1_25transform_config_selectorIhLb1EEEZNS1_14transform_implILb1ES3_S5_PhS7_NS0_8identityIhEEEE10hipError_tT2_T3_mT4_P12ihipStream_tbEUlT_E_NS1_11comp_targetILNS1_3genE2ELNS1_11target_archE906ELNS1_3gpuE6ELNS1_3repE0EEENS1_30default_config_static_selectorELNS0_4arch9wavefront6targetE1EEEvT1_,comdat
	.protected	_ZN7rocprim17ROCPRIM_400000_NS6detail17trampoline_kernelINS0_14default_configENS1_25transform_config_selectorIhLb1EEEZNS1_14transform_implILb1ES3_S5_PhS7_NS0_8identityIhEEEE10hipError_tT2_T3_mT4_P12ihipStream_tbEUlT_E_NS1_11comp_targetILNS1_3genE2ELNS1_11target_archE906ELNS1_3gpuE6ELNS1_3repE0EEENS1_30default_config_static_selectorELNS0_4arch9wavefront6targetE1EEEvT1_ ; -- Begin function _ZN7rocprim17ROCPRIM_400000_NS6detail17trampoline_kernelINS0_14default_configENS1_25transform_config_selectorIhLb1EEEZNS1_14transform_implILb1ES3_S5_PhS7_NS0_8identityIhEEEE10hipError_tT2_T3_mT4_P12ihipStream_tbEUlT_E_NS1_11comp_targetILNS1_3genE2ELNS1_11target_archE906ELNS1_3gpuE6ELNS1_3repE0EEENS1_30default_config_static_selectorELNS0_4arch9wavefront6targetE1EEEvT1_
	.globl	_ZN7rocprim17ROCPRIM_400000_NS6detail17trampoline_kernelINS0_14default_configENS1_25transform_config_selectorIhLb1EEEZNS1_14transform_implILb1ES3_S5_PhS7_NS0_8identityIhEEEE10hipError_tT2_T3_mT4_P12ihipStream_tbEUlT_E_NS1_11comp_targetILNS1_3genE2ELNS1_11target_archE906ELNS1_3gpuE6ELNS1_3repE0EEENS1_30default_config_static_selectorELNS0_4arch9wavefront6targetE1EEEvT1_
	.p2align	8
	.type	_ZN7rocprim17ROCPRIM_400000_NS6detail17trampoline_kernelINS0_14default_configENS1_25transform_config_selectorIhLb1EEEZNS1_14transform_implILb1ES3_S5_PhS7_NS0_8identityIhEEEE10hipError_tT2_T3_mT4_P12ihipStream_tbEUlT_E_NS1_11comp_targetILNS1_3genE2ELNS1_11target_archE906ELNS1_3gpuE6ELNS1_3repE0EEENS1_30default_config_static_selectorELNS0_4arch9wavefront6targetE1EEEvT1_,@function
_ZN7rocprim17ROCPRIM_400000_NS6detail17trampoline_kernelINS0_14default_configENS1_25transform_config_selectorIhLb1EEEZNS1_14transform_implILb1ES3_S5_PhS7_NS0_8identityIhEEEE10hipError_tT2_T3_mT4_P12ihipStream_tbEUlT_E_NS1_11comp_targetILNS1_3genE2ELNS1_11target_archE906ELNS1_3gpuE6ELNS1_3repE0EEENS1_30default_config_static_selectorELNS0_4arch9wavefront6targetE1EEEvT1_: ; @_ZN7rocprim17ROCPRIM_400000_NS6detail17trampoline_kernelINS0_14default_configENS1_25transform_config_selectorIhLb1EEEZNS1_14transform_implILb1ES3_S5_PhS7_NS0_8identityIhEEEE10hipError_tT2_T3_mT4_P12ihipStream_tbEUlT_E_NS1_11comp_targetILNS1_3genE2ELNS1_11target_archE906ELNS1_3gpuE6ELNS1_3repE0EEENS1_30default_config_static_selectorELNS0_4arch9wavefront6targetE1EEEvT1_
; %bb.0:
	.section	.rodata,"a",@progbits
	.p2align	6, 0x0
	.amdhsa_kernel _ZN7rocprim17ROCPRIM_400000_NS6detail17trampoline_kernelINS0_14default_configENS1_25transform_config_selectorIhLb1EEEZNS1_14transform_implILb1ES3_S5_PhS7_NS0_8identityIhEEEE10hipError_tT2_T3_mT4_P12ihipStream_tbEUlT_E_NS1_11comp_targetILNS1_3genE2ELNS1_11target_archE906ELNS1_3gpuE6ELNS1_3repE0EEENS1_30default_config_static_selectorELNS0_4arch9wavefront6targetE1EEEvT1_
		.amdhsa_group_segment_fixed_size 0
		.amdhsa_private_segment_fixed_size 0
		.amdhsa_kernarg_size 40
		.amdhsa_user_sgpr_count 6
		.amdhsa_user_sgpr_private_segment_buffer 1
		.amdhsa_user_sgpr_dispatch_ptr 0
		.amdhsa_user_sgpr_queue_ptr 0
		.amdhsa_user_sgpr_kernarg_segment_ptr 1
		.amdhsa_user_sgpr_dispatch_id 0
		.amdhsa_user_sgpr_flat_scratch_init 0
		.amdhsa_user_sgpr_kernarg_preload_length 0
		.amdhsa_user_sgpr_kernarg_preload_offset 0
		.amdhsa_user_sgpr_private_segment_size 0
		.amdhsa_uses_dynamic_stack 0
		.amdhsa_system_sgpr_private_segment_wavefront_offset 0
		.amdhsa_system_sgpr_workgroup_id_x 1
		.amdhsa_system_sgpr_workgroup_id_y 0
		.amdhsa_system_sgpr_workgroup_id_z 0
		.amdhsa_system_sgpr_workgroup_info 0
		.amdhsa_system_vgpr_workitem_id 0
		.amdhsa_next_free_vgpr 1
		.amdhsa_next_free_sgpr 0
		.amdhsa_accum_offset 4
		.amdhsa_reserve_vcc 0
		.amdhsa_reserve_flat_scratch 0
		.amdhsa_float_round_mode_32 0
		.amdhsa_float_round_mode_16_64 0
		.amdhsa_float_denorm_mode_32 3
		.amdhsa_float_denorm_mode_16_64 3
		.amdhsa_dx10_clamp 1
		.amdhsa_ieee_mode 1
		.amdhsa_fp16_overflow 0
		.amdhsa_tg_split 0
		.amdhsa_exception_fp_ieee_invalid_op 0
		.amdhsa_exception_fp_denorm_src 0
		.amdhsa_exception_fp_ieee_div_zero 0
		.amdhsa_exception_fp_ieee_overflow 0
		.amdhsa_exception_fp_ieee_underflow 0
		.amdhsa_exception_fp_ieee_inexact 0
		.amdhsa_exception_int_div_zero 0
	.end_amdhsa_kernel
	.section	.text._ZN7rocprim17ROCPRIM_400000_NS6detail17trampoline_kernelINS0_14default_configENS1_25transform_config_selectorIhLb1EEEZNS1_14transform_implILb1ES3_S5_PhS7_NS0_8identityIhEEEE10hipError_tT2_T3_mT4_P12ihipStream_tbEUlT_E_NS1_11comp_targetILNS1_3genE2ELNS1_11target_archE906ELNS1_3gpuE6ELNS1_3repE0EEENS1_30default_config_static_selectorELNS0_4arch9wavefront6targetE1EEEvT1_,"axG",@progbits,_ZN7rocprim17ROCPRIM_400000_NS6detail17trampoline_kernelINS0_14default_configENS1_25transform_config_selectorIhLb1EEEZNS1_14transform_implILb1ES3_S5_PhS7_NS0_8identityIhEEEE10hipError_tT2_T3_mT4_P12ihipStream_tbEUlT_E_NS1_11comp_targetILNS1_3genE2ELNS1_11target_archE906ELNS1_3gpuE6ELNS1_3repE0EEENS1_30default_config_static_selectorELNS0_4arch9wavefront6targetE1EEEvT1_,comdat
.Lfunc_end177:
	.size	_ZN7rocprim17ROCPRIM_400000_NS6detail17trampoline_kernelINS0_14default_configENS1_25transform_config_selectorIhLb1EEEZNS1_14transform_implILb1ES3_S5_PhS7_NS0_8identityIhEEEE10hipError_tT2_T3_mT4_P12ihipStream_tbEUlT_E_NS1_11comp_targetILNS1_3genE2ELNS1_11target_archE906ELNS1_3gpuE6ELNS1_3repE0EEENS1_30default_config_static_selectorELNS0_4arch9wavefront6targetE1EEEvT1_, .Lfunc_end177-_ZN7rocprim17ROCPRIM_400000_NS6detail17trampoline_kernelINS0_14default_configENS1_25transform_config_selectorIhLb1EEEZNS1_14transform_implILb1ES3_S5_PhS7_NS0_8identityIhEEEE10hipError_tT2_T3_mT4_P12ihipStream_tbEUlT_E_NS1_11comp_targetILNS1_3genE2ELNS1_11target_archE906ELNS1_3gpuE6ELNS1_3repE0EEENS1_30default_config_static_selectorELNS0_4arch9wavefront6targetE1EEEvT1_
                                        ; -- End function
	.section	.AMDGPU.csdata,"",@progbits
; Kernel info:
; codeLenInByte = 0
; NumSgprs: 4
; NumVgprs: 0
; NumAgprs: 0
; TotalNumVgprs: 0
; ScratchSize: 0
; MemoryBound: 0
; FloatMode: 240
; IeeeMode: 1
; LDSByteSize: 0 bytes/workgroup (compile time only)
; SGPRBlocks: 0
; VGPRBlocks: 0
; NumSGPRsForWavesPerEU: 4
; NumVGPRsForWavesPerEU: 1
; AccumOffset: 4
; Occupancy: 8
; WaveLimiterHint : 0
; COMPUTE_PGM_RSRC2:SCRATCH_EN: 0
; COMPUTE_PGM_RSRC2:USER_SGPR: 6
; COMPUTE_PGM_RSRC2:TRAP_HANDLER: 0
; COMPUTE_PGM_RSRC2:TGID_X_EN: 1
; COMPUTE_PGM_RSRC2:TGID_Y_EN: 0
; COMPUTE_PGM_RSRC2:TGID_Z_EN: 0
; COMPUTE_PGM_RSRC2:TIDIG_COMP_CNT: 0
; COMPUTE_PGM_RSRC3_GFX90A:ACCUM_OFFSET: 0
; COMPUTE_PGM_RSRC3_GFX90A:TG_SPLIT: 0
	.section	.text._ZN7rocprim17ROCPRIM_400000_NS6detail17trampoline_kernelINS0_14default_configENS1_25transform_config_selectorIhLb1EEEZNS1_14transform_implILb1ES3_S5_PhS7_NS0_8identityIhEEEE10hipError_tT2_T3_mT4_P12ihipStream_tbEUlT_E_NS1_11comp_targetILNS1_3genE9ELNS1_11target_archE1100ELNS1_3gpuE3ELNS1_3repE0EEENS1_30default_config_static_selectorELNS0_4arch9wavefront6targetE1EEEvT1_,"axG",@progbits,_ZN7rocprim17ROCPRIM_400000_NS6detail17trampoline_kernelINS0_14default_configENS1_25transform_config_selectorIhLb1EEEZNS1_14transform_implILb1ES3_S5_PhS7_NS0_8identityIhEEEE10hipError_tT2_T3_mT4_P12ihipStream_tbEUlT_E_NS1_11comp_targetILNS1_3genE9ELNS1_11target_archE1100ELNS1_3gpuE3ELNS1_3repE0EEENS1_30default_config_static_selectorELNS0_4arch9wavefront6targetE1EEEvT1_,comdat
	.protected	_ZN7rocprim17ROCPRIM_400000_NS6detail17trampoline_kernelINS0_14default_configENS1_25transform_config_selectorIhLb1EEEZNS1_14transform_implILb1ES3_S5_PhS7_NS0_8identityIhEEEE10hipError_tT2_T3_mT4_P12ihipStream_tbEUlT_E_NS1_11comp_targetILNS1_3genE9ELNS1_11target_archE1100ELNS1_3gpuE3ELNS1_3repE0EEENS1_30default_config_static_selectorELNS0_4arch9wavefront6targetE1EEEvT1_ ; -- Begin function _ZN7rocprim17ROCPRIM_400000_NS6detail17trampoline_kernelINS0_14default_configENS1_25transform_config_selectorIhLb1EEEZNS1_14transform_implILb1ES3_S5_PhS7_NS0_8identityIhEEEE10hipError_tT2_T3_mT4_P12ihipStream_tbEUlT_E_NS1_11comp_targetILNS1_3genE9ELNS1_11target_archE1100ELNS1_3gpuE3ELNS1_3repE0EEENS1_30default_config_static_selectorELNS0_4arch9wavefront6targetE1EEEvT1_
	.globl	_ZN7rocprim17ROCPRIM_400000_NS6detail17trampoline_kernelINS0_14default_configENS1_25transform_config_selectorIhLb1EEEZNS1_14transform_implILb1ES3_S5_PhS7_NS0_8identityIhEEEE10hipError_tT2_T3_mT4_P12ihipStream_tbEUlT_E_NS1_11comp_targetILNS1_3genE9ELNS1_11target_archE1100ELNS1_3gpuE3ELNS1_3repE0EEENS1_30default_config_static_selectorELNS0_4arch9wavefront6targetE1EEEvT1_
	.p2align	8
	.type	_ZN7rocprim17ROCPRIM_400000_NS6detail17trampoline_kernelINS0_14default_configENS1_25transform_config_selectorIhLb1EEEZNS1_14transform_implILb1ES3_S5_PhS7_NS0_8identityIhEEEE10hipError_tT2_T3_mT4_P12ihipStream_tbEUlT_E_NS1_11comp_targetILNS1_3genE9ELNS1_11target_archE1100ELNS1_3gpuE3ELNS1_3repE0EEENS1_30default_config_static_selectorELNS0_4arch9wavefront6targetE1EEEvT1_,@function
_ZN7rocprim17ROCPRIM_400000_NS6detail17trampoline_kernelINS0_14default_configENS1_25transform_config_selectorIhLb1EEEZNS1_14transform_implILb1ES3_S5_PhS7_NS0_8identityIhEEEE10hipError_tT2_T3_mT4_P12ihipStream_tbEUlT_E_NS1_11comp_targetILNS1_3genE9ELNS1_11target_archE1100ELNS1_3gpuE3ELNS1_3repE0EEENS1_30default_config_static_selectorELNS0_4arch9wavefront6targetE1EEEvT1_: ; @_ZN7rocprim17ROCPRIM_400000_NS6detail17trampoline_kernelINS0_14default_configENS1_25transform_config_selectorIhLb1EEEZNS1_14transform_implILb1ES3_S5_PhS7_NS0_8identityIhEEEE10hipError_tT2_T3_mT4_P12ihipStream_tbEUlT_E_NS1_11comp_targetILNS1_3genE9ELNS1_11target_archE1100ELNS1_3gpuE3ELNS1_3repE0EEENS1_30default_config_static_selectorELNS0_4arch9wavefront6targetE1EEEvT1_
; %bb.0:
	.section	.rodata,"a",@progbits
	.p2align	6, 0x0
	.amdhsa_kernel _ZN7rocprim17ROCPRIM_400000_NS6detail17trampoline_kernelINS0_14default_configENS1_25transform_config_selectorIhLb1EEEZNS1_14transform_implILb1ES3_S5_PhS7_NS0_8identityIhEEEE10hipError_tT2_T3_mT4_P12ihipStream_tbEUlT_E_NS1_11comp_targetILNS1_3genE9ELNS1_11target_archE1100ELNS1_3gpuE3ELNS1_3repE0EEENS1_30default_config_static_selectorELNS0_4arch9wavefront6targetE1EEEvT1_
		.amdhsa_group_segment_fixed_size 0
		.amdhsa_private_segment_fixed_size 0
		.amdhsa_kernarg_size 40
		.amdhsa_user_sgpr_count 6
		.amdhsa_user_sgpr_private_segment_buffer 1
		.amdhsa_user_sgpr_dispatch_ptr 0
		.amdhsa_user_sgpr_queue_ptr 0
		.amdhsa_user_sgpr_kernarg_segment_ptr 1
		.amdhsa_user_sgpr_dispatch_id 0
		.amdhsa_user_sgpr_flat_scratch_init 0
		.amdhsa_user_sgpr_kernarg_preload_length 0
		.amdhsa_user_sgpr_kernarg_preload_offset 0
		.amdhsa_user_sgpr_private_segment_size 0
		.amdhsa_uses_dynamic_stack 0
		.amdhsa_system_sgpr_private_segment_wavefront_offset 0
		.amdhsa_system_sgpr_workgroup_id_x 1
		.amdhsa_system_sgpr_workgroup_id_y 0
		.amdhsa_system_sgpr_workgroup_id_z 0
		.amdhsa_system_sgpr_workgroup_info 0
		.amdhsa_system_vgpr_workitem_id 0
		.amdhsa_next_free_vgpr 1
		.amdhsa_next_free_sgpr 0
		.amdhsa_accum_offset 4
		.amdhsa_reserve_vcc 0
		.amdhsa_reserve_flat_scratch 0
		.amdhsa_float_round_mode_32 0
		.amdhsa_float_round_mode_16_64 0
		.amdhsa_float_denorm_mode_32 3
		.amdhsa_float_denorm_mode_16_64 3
		.amdhsa_dx10_clamp 1
		.amdhsa_ieee_mode 1
		.amdhsa_fp16_overflow 0
		.amdhsa_tg_split 0
		.amdhsa_exception_fp_ieee_invalid_op 0
		.amdhsa_exception_fp_denorm_src 0
		.amdhsa_exception_fp_ieee_div_zero 0
		.amdhsa_exception_fp_ieee_overflow 0
		.amdhsa_exception_fp_ieee_underflow 0
		.amdhsa_exception_fp_ieee_inexact 0
		.amdhsa_exception_int_div_zero 0
	.end_amdhsa_kernel
	.section	.text._ZN7rocprim17ROCPRIM_400000_NS6detail17trampoline_kernelINS0_14default_configENS1_25transform_config_selectorIhLb1EEEZNS1_14transform_implILb1ES3_S5_PhS7_NS0_8identityIhEEEE10hipError_tT2_T3_mT4_P12ihipStream_tbEUlT_E_NS1_11comp_targetILNS1_3genE9ELNS1_11target_archE1100ELNS1_3gpuE3ELNS1_3repE0EEENS1_30default_config_static_selectorELNS0_4arch9wavefront6targetE1EEEvT1_,"axG",@progbits,_ZN7rocprim17ROCPRIM_400000_NS6detail17trampoline_kernelINS0_14default_configENS1_25transform_config_selectorIhLb1EEEZNS1_14transform_implILb1ES3_S5_PhS7_NS0_8identityIhEEEE10hipError_tT2_T3_mT4_P12ihipStream_tbEUlT_E_NS1_11comp_targetILNS1_3genE9ELNS1_11target_archE1100ELNS1_3gpuE3ELNS1_3repE0EEENS1_30default_config_static_selectorELNS0_4arch9wavefront6targetE1EEEvT1_,comdat
.Lfunc_end178:
	.size	_ZN7rocprim17ROCPRIM_400000_NS6detail17trampoline_kernelINS0_14default_configENS1_25transform_config_selectorIhLb1EEEZNS1_14transform_implILb1ES3_S5_PhS7_NS0_8identityIhEEEE10hipError_tT2_T3_mT4_P12ihipStream_tbEUlT_E_NS1_11comp_targetILNS1_3genE9ELNS1_11target_archE1100ELNS1_3gpuE3ELNS1_3repE0EEENS1_30default_config_static_selectorELNS0_4arch9wavefront6targetE1EEEvT1_, .Lfunc_end178-_ZN7rocprim17ROCPRIM_400000_NS6detail17trampoline_kernelINS0_14default_configENS1_25transform_config_selectorIhLb1EEEZNS1_14transform_implILb1ES3_S5_PhS7_NS0_8identityIhEEEE10hipError_tT2_T3_mT4_P12ihipStream_tbEUlT_E_NS1_11comp_targetILNS1_3genE9ELNS1_11target_archE1100ELNS1_3gpuE3ELNS1_3repE0EEENS1_30default_config_static_selectorELNS0_4arch9wavefront6targetE1EEEvT1_
                                        ; -- End function
	.section	.AMDGPU.csdata,"",@progbits
; Kernel info:
; codeLenInByte = 0
; NumSgprs: 4
; NumVgprs: 0
; NumAgprs: 0
; TotalNumVgprs: 0
; ScratchSize: 0
; MemoryBound: 0
; FloatMode: 240
; IeeeMode: 1
; LDSByteSize: 0 bytes/workgroup (compile time only)
; SGPRBlocks: 0
; VGPRBlocks: 0
; NumSGPRsForWavesPerEU: 4
; NumVGPRsForWavesPerEU: 1
; AccumOffset: 4
; Occupancy: 8
; WaveLimiterHint : 0
; COMPUTE_PGM_RSRC2:SCRATCH_EN: 0
; COMPUTE_PGM_RSRC2:USER_SGPR: 6
; COMPUTE_PGM_RSRC2:TRAP_HANDLER: 0
; COMPUTE_PGM_RSRC2:TGID_X_EN: 1
; COMPUTE_PGM_RSRC2:TGID_Y_EN: 0
; COMPUTE_PGM_RSRC2:TGID_Z_EN: 0
; COMPUTE_PGM_RSRC2:TIDIG_COMP_CNT: 0
; COMPUTE_PGM_RSRC3_GFX90A:ACCUM_OFFSET: 0
; COMPUTE_PGM_RSRC3_GFX90A:TG_SPLIT: 0
	.section	.text._ZN7rocprim17ROCPRIM_400000_NS6detail17trampoline_kernelINS0_14default_configENS1_25transform_config_selectorIhLb1EEEZNS1_14transform_implILb1ES3_S5_PhS7_NS0_8identityIhEEEE10hipError_tT2_T3_mT4_P12ihipStream_tbEUlT_E_NS1_11comp_targetILNS1_3genE8ELNS1_11target_archE1030ELNS1_3gpuE2ELNS1_3repE0EEENS1_30default_config_static_selectorELNS0_4arch9wavefront6targetE1EEEvT1_,"axG",@progbits,_ZN7rocprim17ROCPRIM_400000_NS6detail17trampoline_kernelINS0_14default_configENS1_25transform_config_selectorIhLb1EEEZNS1_14transform_implILb1ES3_S5_PhS7_NS0_8identityIhEEEE10hipError_tT2_T3_mT4_P12ihipStream_tbEUlT_E_NS1_11comp_targetILNS1_3genE8ELNS1_11target_archE1030ELNS1_3gpuE2ELNS1_3repE0EEENS1_30default_config_static_selectorELNS0_4arch9wavefront6targetE1EEEvT1_,comdat
	.protected	_ZN7rocprim17ROCPRIM_400000_NS6detail17trampoline_kernelINS0_14default_configENS1_25transform_config_selectorIhLb1EEEZNS1_14transform_implILb1ES3_S5_PhS7_NS0_8identityIhEEEE10hipError_tT2_T3_mT4_P12ihipStream_tbEUlT_E_NS1_11comp_targetILNS1_3genE8ELNS1_11target_archE1030ELNS1_3gpuE2ELNS1_3repE0EEENS1_30default_config_static_selectorELNS0_4arch9wavefront6targetE1EEEvT1_ ; -- Begin function _ZN7rocprim17ROCPRIM_400000_NS6detail17trampoline_kernelINS0_14default_configENS1_25transform_config_selectorIhLb1EEEZNS1_14transform_implILb1ES3_S5_PhS7_NS0_8identityIhEEEE10hipError_tT2_T3_mT4_P12ihipStream_tbEUlT_E_NS1_11comp_targetILNS1_3genE8ELNS1_11target_archE1030ELNS1_3gpuE2ELNS1_3repE0EEENS1_30default_config_static_selectorELNS0_4arch9wavefront6targetE1EEEvT1_
	.globl	_ZN7rocprim17ROCPRIM_400000_NS6detail17trampoline_kernelINS0_14default_configENS1_25transform_config_selectorIhLb1EEEZNS1_14transform_implILb1ES3_S5_PhS7_NS0_8identityIhEEEE10hipError_tT2_T3_mT4_P12ihipStream_tbEUlT_E_NS1_11comp_targetILNS1_3genE8ELNS1_11target_archE1030ELNS1_3gpuE2ELNS1_3repE0EEENS1_30default_config_static_selectorELNS0_4arch9wavefront6targetE1EEEvT1_
	.p2align	8
	.type	_ZN7rocprim17ROCPRIM_400000_NS6detail17trampoline_kernelINS0_14default_configENS1_25transform_config_selectorIhLb1EEEZNS1_14transform_implILb1ES3_S5_PhS7_NS0_8identityIhEEEE10hipError_tT2_T3_mT4_P12ihipStream_tbEUlT_E_NS1_11comp_targetILNS1_3genE8ELNS1_11target_archE1030ELNS1_3gpuE2ELNS1_3repE0EEENS1_30default_config_static_selectorELNS0_4arch9wavefront6targetE1EEEvT1_,@function
_ZN7rocprim17ROCPRIM_400000_NS6detail17trampoline_kernelINS0_14default_configENS1_25transform_config_selectorIhLb1EEEZNS1_14transform_implILb1ES3_S5_PhS7_NS0_8identityIhEEEE10hipError_tT2_T3_mT4_P12ihipStream_tbEUlT_E_NS1_11comp_targetILNS1_3genE8ELNS1_11target_archE1030ELNS1_3gpuE2ELNS1_3repE0EEENS1_30default_config_static_selectorELNS0_4arch9wavefront6targetE1EEEvT1_: ; @_ZN7rocprim17ROCPRIM_400000_NS6detail17trampoline_kernelINS0_14default_configENS1_25transform_config_selectorIhLb1EEEZNS1_14transform_implILb1ES3_S5_PhS7_NS0_8identityIhEEEE10hipError_tT2_T3_mT4_P12ihipStream_tbEUlT_E_NS1_11comp_targetILNS1_3genE8ELNS1_11target_archE1030ELNS1_3gpuE2ELNS1_3repE0EEENS1_30default_config_static_selectorELNS0_4arch9wavefront6targetE1EEEvT1_
; %bb.0:
	.section	.rodata,"a",@progbits
	.p2align	6, 0x0
	.amdhsa_kernel _ZN7rocprim17ROCPRIM_400000_NS6detail17trampoline_kernelINS0_14default_configENS1_25transform_config_selectorIhLb1EEEZNS1_14transform_implILb1ES3_S5_PhS7_NS0_8identityIhEEEE10hipError_tT2_T3_mT4_P12ihipStream_tbEUlT_E_NS1_11comp_targetILNS1_3genE8ELNS1_11target_archE1030ELNS1_3gpuE2ELNS1_3repE0EEENS1_30default_config_static_selectorELNS0_4arch9wavefront6targetE1EEEvT1_
		.amdhsa_group_segment_fixed_size 0
		.amdhsa_private_segment_fixed_size 0
		.amdhsa_kernarg_size 40
		.amdhsa_user_sgpr_count 6
		.amdhsa_user_sgpr_private_segment_buffer 1
		.amdhsa_user_sgpr_dispatch_ptr 0
		.amdhsa_user_sgpr_queue_ptr 0
		.amdhsa_user_sgpr_kernarg_segment_ptr 1
		.amdhsa_user_sgpr_dispatch_id 0
		.amdhsa_user_sgpr_flat_scratch_init 0
		.amdhsa_user_sgpr_kernarg_preload_length 0
		.amdhsa_user_sgpr_kernarg_preload_offset 0
		.amdhsa_user_sgpr_private_segment_size 0
		.amdhsa_uses_dynamic_stack 0
		.amdhsa_system_sgpr_private_segment_wavefront_offset 0
		.amdhsa_system_sgpr_workgroup_id_x 1
		.amdhsa_system_sgpr_workgroup_id_y 0
		.amdhsa_system_sgpr_workgroup_id_z 0
		.amdhsa_system_sgpr_workgroup_info 0
		.amdhsa_system_vgpr_workitem_id 0
		.amdhsa_next_free_vgpr 1
		.amdhsa_next_free_sgpr 0
		.amdhsa_accum_offset 4
		.amdhsa_reserve_vcc 0
		.amdhsa_reserve_flat_scratch 0
		.amdhsa_float_round_mode_32 0
		.amdhsa_float_round_mode_16_64 0
		.amdhsa_float_denorm_mode_32 3
		.amdhsa_float_denorm_mode_16_64 3
		.amdhsa_dx10_clamp 1
		.amdhsa_ieee_mode 1
		.amdhsa_fp16_overflow 0
		.amdhsa_tg_split 0
		.amdhsa_exception_fp_ieee_invalid_op 0
		.amdhsa_exception_fp_denorm_src 0
		.amdhsa_exception_fp_ieee_div_zero 0
		.amdhsa_exception_fp_ieee_overflow 0
		.amdhsa_exception_fp_ieee_underflow 0
		.amdhsa_exception_fp_ieee_inexact 0
		.amdhsa_exception_int_div_zero 0
	.end_amdhsa_kernel
	.section	.text._ZN7rocprim17ROCPRIM_400000_NS6detail17trampoline_kernelINS0_14default_configENS1_25transform_config_selectorIhLb1EEEZNS1_14transform_implILb1ES3_S5_PhS7_NS0_8identityIhEEEE10hipError_tT2_T3_mT4_P12ihipStream_tbEUlT_E_NS1_11comp_targetILNS1_3genE8ELNS1_11target_archE1030ELNS1_3gpuE2ELNS1_3repE0EEENS1_30default_config_static_selectorELNS0_4arch9wavefront6targetE1EEEvT1_,"axG",@progbits,_ZN7rocprim17ROCPRIM_400000_NS6detail17trampoline_kernelINS0_14default_configENS1_25transform_config_selectorIhLb1EEEZNS1_14transform_implILb1ES3_S5_PhS7_NS0_8identityIhEEEE10hipError_tT2_T3_mT4_P12ihipStream_tbEUlT_E_NS1_11comp_targetILNS1_3genE8ELNS1_11target_archE1030ELNS1_3gpuE2ELNS1_3repE0EEENS1_30default_config_static_selectorELNS0_4arch9wavefront6targetE1EEEvT1_,comdat
.Lfunc_end179:
	.size	_ZN7rocprim17ROCPRIM_400000_NS6detail17trampoline_kernelINS0_14default_configENS1_25transform_config_selectorIhLb1EEEZNS1_14transform_implILb1ES3_S5_PhS7_NS0_8identityIhEEEE10hipError_tT2_T3_mT4_P12ihipStream_tbEUlT_E_NS1_11comp_targetILNS1_3genE8ELNS1_11target_archE1030ELNS1_3gpuE2ELNS1_3repE0EEENS1_30default_config_static_selectorELNS0_4arch9wavefront6targetE1EEEvT1_, .Lfunc_end179-_ZN7rocprim17ROCPRIM_400000_NS6detail17trampoline_kernelINS0_14default_configENS1_25transform_config_selectorIhLb1EEEZNS1_14transform_implILb1ES3_S5_PhS7_NS0_8identityIhEEEE10hipError_tT2_T3_mT4_P12ihipStream_tbEUlT_E_NS1_11comp_targetILNS1_3genE8ELNS1_11target_archE1030ELNS1_3gpuE2ELNS1_3repE0EEENS1_30default_config_static_selectorELNS0_4arch9wavefront6targetE1EEEvT1_
                                        ; -- End function
	.section	.AMDGPU.csdata,"",@progbits
; Kernel info:
; codeLenInByte = 0
; NumSgprs: 4
; NumVgprs: 0
; NumAgprs: 0
; TotalNumVgprs: 0
; ScratchSize: 0
; MemoryBound: 0
; FloatMode: 240
; IeeeMode: 1
; LDSByteSize: 0 bytes/workgroup (compile time only)
; SGPRBlocks: 0
; VGPRBlocks: 0
; NumSGPRsForWavesPerEU: 4
; NumVGPRsForWavesPerEU: 1
; AccumOffset: 4
; Occupancy: 8
; WaveLimiterHint : 0
; COMPUTE_PGM_RSRC2:SCRATCH_EN: 0
; COMPUTE_PGM_RSRC2:USER_SGPR: 6
; COMPUTE_PGM_RSRC2:TRAP_HANDLER: 0
; COMPUTE_PGM_RSRC2:TGID_X_EN: 1
; COMPUTE_PGM_RSRC2:TGID_Y_EN: 0
; COMPUTE_PGM_RSRC2:TGID_Z_EN: 0
; COMPUTE_PGM_RSRC2:TIDIG_COMP_CNT: 0
; COMPUTE_PGM_RSRC3_GFX90A:ACCUM_OFFSET: 0
; COMPUTE_PGM_RSRC3_GFX90A:TG_SPLIT: 0
	.section	.text._ZN7rocprim17ROCPRIM_400000_NS6detail17trampoline_kernelINS0_14default_configENS1_25transform_config_selectorIlLb0EEEZNS1_14transform_implILb0ES3_S5_PlN6thrust23THRUST_200600_302600_NS10device_ptrIlEENS0_8identityIlEEEE10hipError_tT2_T3_mT4_P12ihipStream_tbEUlT_E_NS1_11comp_targetILNS1_3genE0ELNS1_11target_archE4294967295ELNS1_3gpuE0ELNS1_3repE0EEENS1_30default_config_static_selectorELNS0_4arch9wavefront6targetE1EEEvT1_,"axG",@progbits,_ZN7rocprim17ROCPRIM_400000_NS6detail17trampoline_kernelINS0_14default_configENS1_25transform_config_selectorIlLb0EEEZNS1_14transform_implILb0ES3_S5_PlN6thrust23THRUST_200600_302600_NS10device_ptrIlEENS0_8identityIlEEEE10hipError_tT2_T3_mT4_P12ihipStream_tbEUlT_E_NS1_11comp_targetILNS1_3genE0ELNS1_11target_archE4294967295ELNS1_3gpuE0ELNS1_3repE0EEENS1_30default_config_static_selectorELNS0_4arch9wavefront6targetE1EEEvT1_,comdat
	.protected	_ZN7rocprim17ROCPRIM_400000_NS6detail17trampoline_kernelINS0_14default_configENS1_25transform_config_selectorIlLb0EEEZNS1_14transform_implILb0ES3_S5_PlN6thrust23THRUST_200600_302600_NS10device_ptrIlEENS0_8identityIlEEEE10hipError_tT2_T3_mT4_P12ihipStream_tbEUlT_E_NS1_11comp_targetILNS1_3genE0ELNS1_11target_archE4294967295ELNS1_3gpuE0ELNS1_3repE0EEENS1_30default_config_static_selectorELNS0_4arch9wavefront6targetE1EEEvT1_ ; -- Begin function _ZN7rocprim17ROCPRIM_400000_NS6detail17trampoline_kernelINS0_14default_configENS1_25transform_config_selectorIlLb0EEEZNS1_14transform_implILb0ES3_S5_PlN6thrust23THRUST_200600_302600_NS10device_ptrIlEENS0_8identityIlEEEE10hipError_tT2_T3_mT4_P12ihipStream_tbEUlT_E_NS1_11comp_targetILNS1_3genE0ELNS1_11target_archE4294967295ELNS1_3gpuE0ELNS1_3repE0EEENS1_30default_config_static_selectorELNS0_4arch9wavefront6targetE1EEEvT1_
	.globl	_ZN7rocprim17ROCPRIM_400000_NS6detail17trampoline_kernelINS0_14default_configENS1_25transform_config_selectorIlLb0EEEZNS1_14transform_implILb0ES3_S5_PlN6thrust23THRUST_200600_302600_NS10device_ptrIlEENS0_8identityIlEEEE10hipError_tT2_T3_mT4_P12ihipStream_tbEUlT_E_NS1_11comp_targetILNS1_3genE0ELNS1_11target_archE4294967295ELNS1_3gpuE0ELNS1_3repE0EEENS1_30default_config_static_selectorELNS0_4arch9wavefront6targetE1EEEvT1_
	.p2align	8
	.type	_ZN7rocprim17ROCPRIM_400000_NS6detail17trampoline_kernelINS0_14default_configENS1_25transform_config_selectorIlLb0EEEZNS1_14transform_implILb0ES3_S5_PlN6thrust23THRUST_200600_302600_NS10device_ptrIlEENS0_8identityIlEEEE10hipError_tT2_T3_mT4_P12ihipStream_tbEUlT_E_NS1_11comp_targetILNS1_3genE0ELNS1_11target_archE4294967295ELNS1_3gpuE0ELNS1_3repE0EEENS1_30default_config_static_selectorELNS0_4arch9wavefront6targetE1EEEvT1_,@function
_ZN7rocprim17ROCPRIM_400000_NS6detail17trampoline_kernelINS0_14default_configENS1_25transform_config_selectorIlLb0EEEZNS1_14transform_implILb0ES3_S5_PlN6thrust23THRUST_200600_302600_NS10device_ptrIlEENS0_8identityIlEEEE10hipError_tT2_T3_mT4_P12ihipStream_tbEUlT_E_NS1_11comp_targetILNS1_3genE0ELNS1_11target_archE4294967295ELNS1_3gpuE0ELNS1_3repE0EEENS1_30default_config_static_selectorELNS0_4arch9wavefront6targetE1EEEvT1_: ; @_ZN7rocprim17ROCPRIM_400000_NS6detail17trampoline_kernelINS0_14default_configENS1_25transform_config_selectorIlLb0EEEZNS1_14transform_implILb0ES3_S5_PlN6thrust23THRUST_200600_302600_NS10device_ptrIlEENS0_8identityIlEEEE10hipError_tT2_T3_mT4_P12ihipStream_tbEUlT_E_NS1_11comp_targetILNS1_3genE0ELNS1_11target_archE4294967295ELNS1_3gpuE0ELNS1_3repE0EEENS1_30default_config_static_selectorELNS0_4arch9wavefront6targetE1EEEvT1_
; %bb.0:
	.section	.rodata,"a",@progbits
	.p2align	6, 0x0
	.amdhsa_kernel _ZN7rocprim17ROCPRIM_400000_NS6detail17trampoline_kernelINS0_14default_configENS1_25transform_config_selectorIlLb0EEEZNS1_14transform_implILb0ES3_S5_PlN6thrust23THRUST_200600_302600_NS10device_ptrIlEENS0_8identityIlEEEE10hipError_tT2_T3_mT4_P12ihipStream_tbEUlT_E_NS1_11comp_targetILNS1_3genE0ELNS1_11target_archE4294967295ELNS1_3gpuE0ELNS1_3repE0EEENS1_30default_config_static_selectorELNS0_4arch9wavefront6targetE1EEEvT1_
		.amdhsa_group_segment_fixed_size 0
		.amdhsa_private_segment_fixed_size 0
		.amdhsa_kernarg_size 40
		.amdhsa_user_sgpr_count 6
		.amdhsa_user_sgpr_private_segment_buffer 1
		.amdhsa_user_sgpr_dispatch_ptr 0
		.amdhsa_user_sgpr_queue_ptr 0
		.amdhsa_user_sgpr_kernarg_segment_ptr 1
		.amdhsa_user_sgpr_dispatch_id 0
		.amdhsa_user_sgpr_flat_scratch_init 0
		.amdhsa_user_sgpr_kernarg_preload_length 0
		.amdhsa_user_sgpr_kernarg_preload_offset 0
		.amdhsa_user_sgpr_private_segment_size 0
		.amdhsa_uses_dynamic_stack 0
		.amdhsa_system_sgpr_private_segment_wavefront_offset 0
		.amdhsa_system_sgpr_workgroup_id_x 1
		.amdhsa_system_sgpr_workgroup_id_y 0
		.amdhsa_system_sgpr_workgroup_id_z 0
		.amdhsa_system_sgpr_workgroup_info 0
		.amdhsa_system_vgpr_workitem_id 0
		.amdhsa_next_free_vgpr 1
		.amdhsa_next_free_sgpr 0
		.amdhsa_accum_offset 4
		.amdhsa_reserve_vcc 0
		.amdhsa_reserve_flat_scratch 0
		.amdhsa_float_round_mode_32 0
		.amdhsa_float_round_mode_16_64 0
		.amdhsa_float_denorm_mode_32 3
		.amdhsa_float_denorm_mode_16_64 3
		.amdhsa_dx10_clamp 1
		.amdhsa_ieee_mode 1
		.amdhsa_fp16_overflow 0
		.amdhsa_tg_split 0
		.amdhsa_exception_fp_ieee_invalid_op 0
		.amdhsa_exception_fp_denorm_src 0
		.amdhsa_exception_fp_ieee_div_zero 0
		.amdhsa_exception_fp_ieee_overflow 0
		.amdhsa_exception_fp_ieee_underflow 0
		.amdhsa_exception_fp_ieee_inexact 0
		.amdhsa_exception_int_div_zero 0
	.end_amdhsa_kernel
	.section	.text._ZN7rocprim17ROCPRIM_400000_NS6detail17trampoline_kernelINS0_14default_configENS1_25transform_config_selectorIlLb0EEEZNS1_14transform_implILb0ES3_S5_PlN6thrust23THRUST_200600_302600_NS10device_ptrIlEENS0_8identityIlEEEE10hipError_tT2_T3_mT4_P12ihipStream_tbEUlT_E_NS1_11comp_targetILNS1_3genE0ELNS1_11target_archE4294967295ELNS1_3gpuE0ELNS1_3repE0EEENS1_30default_config_static_selectorELNS0_4arch9wavefront6targetE1EEEvT1_,"axG",@progbits,_ZN7rocprim17ROCPRIM_400000_NS6detail17trampoline_kernelINS0_14default_configENS1_25transform_config_selectorIlLb0EEEZNS1_14transform_implILb0ES3_S5_PlN6thrust23THRUST_200600_302600_NS10device_ptrIlEENS0_8identityIlEEEE10hipError_tT2_T3_mT4_P12ihipStream_tbEUlT_E_NS1_11comp_targetILNS1_3genE0ELNS1_11target_archE4294967295ELNS1_3gpuE0ELNS1_3repE0EEENS1_30default_config_static_selectorELNS0_4arch9wavefront6targetE1EEEvT1_,comdat
.Lfunc_end180:
	.size	_ZN7rocprim17ROCPRIM_400000_NS6detail17trampoline_kernelINS0_14default_configENS1_25transform_config_selectorIlLb0EEEZNS1_14transform_implILb0ES3_S5_PlN6thrust23THRUST_200600_302600_NS10device_ptrIlEENS0_8identityIlEEEE10hipError_tT2_T3_mT4_P12ihipStream_tbEUlT_E_NS1_11comp_targetILNS1_3genE0ELNS1_11target_archE4294967295ELNS1_3gpuE0ELNS1_3repE0EEENS1_30default_config_static_selectorELNS0_4arch9wavefront6targetE1EEEvT1_, .Lfunc_end180-_ZN7rocprim17ROCPRIM_400000_NS6detail17trampoline_kernelINS0_14default_configENS1_25transform_config_selectorIlLb0EEEZNS1_14transform_implILb0ES3_S5_PlN6thrust23THRUST_200600_302600_NS10device_ptrIlEENS0_8identityIlEEEE10hipError_tT2_T3_mT4_P12ihipStream_tbEUlT_E_NS1_11comp_targetILNS1_3genE0ELNS1_11target_archE4294967295ELNS1_3gpuE0ELNS1_3repE0EEENS1_30default_config_static_selectorELNS0_4arch9wavefront6targetE1EEEvT1_
                                        ; -- End function
	.section	.AMDGPU.csdata,"",@progbits
; Kernel info:
; codeLenInByte = 0
; NumSgprs: 4
; NumVgprs: 0
; NumAgprs: 0
; TotalNumVgprs: 0
; ScratchSize: 0
; MemoryBound: 0
; FloatMode: 240
; IeeeMode: 1
; LDSByteSize: 0 bytes/workgroup (compile time only)
; SGPRBlocks: 0
; VGPRBlocks: 0
; NumSGPRsForWavesPerEU: 4
; NumVGPRsForWavesPerEU: 1
; AccumOffset: 4
; Occupancy: 8
; WaveLimiterHint : 0
; COMPUTE_PGM_RSRC2:SCRATCH_EN: 0
; COMPUTE_PGM_RSRC2:USER_SGPR: 6
; COMPUTE_PGM_RSRC2:TRAP_HANDLER: 0
; COMPUTE_PGM_RSRC2:TGID_X_EN: 1
; COMPUTE_PGM_RSRC2:TGID_Y_EN: 0
; COMPUTE_PGM_RSRC2:TGID_Z_EN: 0
; COMPUTE_PGM_RSRC2:TIDIG_COMP_CNT: 0
; COMPUTE_PGM_RSRC3_GFX90A:ACCUM_OFFSET: 0
; COMPUTE_PGM_RSRC3_GFX90A:TG_SPLIT: 0
	.section	.text._ZN7rocprim17ROCPRIM_400000_NS6detail17trampoline_kernelINS0_14default_configENS1_25transform_config_selectorIlLb0EEEZNS1_14transform_implILb0ES3_S5_PlN6thrust23THRUST_200600_302600_NS10device_ptrIlEENS0_8identityIlEEEE10hipError_tT2_T3_mT4_P12ihipStream_tbEUlT_E_NS1_11comp_targetILNS1_3genE5ELNS1_11target_archE942ELNS1_3gpuE9ELNS1_3repE0EEENS1_30default_config_static_selectorELNS0_4arch9wavefront6targetE1EEEvT1_,"axG",@progbits,_ZN7rocprim17ROCPRIM_400000_NS6detail17trampoline_kernelINS0_14default_configENS1_25transform_config_selectorIlLb0EEEZNS1_14transform_implILb0ES3_S5_PlN6thrust23THRUST_200600_302600_NS10device_ptrIlEENS0_8identityIlEEEE10hipError_tT2_T3_mT4_P12ihipStream_tbEUlT_E_NS1_11comp_targetILNS1_3genE5ELNS1_11target_archE942ELNS1_3gpuE9ELNS1_3repE0EEENS1_30default_config_static_selectorELNS0_4arch9wavefront6targetE1EEEvT1_,comdat
	.protected	_ZN7rocprim17ROCPRIM_400000_NS6detail17trampoline_kernelINS0_14default_configENS1_25transform_config_selectorIlLb0EEEZNS1_14transform_implILb0ES3_S5_PlN6thrust23THRUST_200600_302600_NS10device_ptrIlEENS0_8identityIlEEEE10hipError_tT2_T3_mT4_P12ihipStream_tbEUlT_E_NS1_11comp_targetILNS1_3genE5ELNS1_11target_archE942ELNS1_3gpuE9ELNS1_3repE0EEENS1_30default_config_static_selectorELNS0_4arch9wavefront6targetE1EEEvT1_ ; -- Begin function _ZN7rocprim17ROCPRIM_400000_NS6detail17trampoline_kernelINS0_14default_configENS1_25transform_config_selectorIlLb0EEEZNS1_14transform_implILb0ES3_S5_PlN6thrust23THRUST_200600_302600_NS10device_ptrIlEENS0_8identityIlEEEE10hipError_tT2_T3_mT4_P12ihipStream_tbEUlT_E_NS1_11comp_targetILNS1_3genE5ELNS1_11target_archE942ELNS1_3gpuE9ELNS1_3repE0EEENS1_30default_config_static_selectorELNS0_4arch9wavefront6targetE1EEEvT1_
	.globl	_ZN7rocprim17ROCPRIM_400000_NS6detail17trampoline_kernelINS0_14default_configENS1_25transform_config_selectorIlLb0EEEZNS1_14transform_implILb0ES3_S5_PlN6thrust23THRUST_200600_302600_NS10device_ptrIlEENS0_8identityIlEEEE10hipError_tT2_T3_mT4_P12ihipStream_tbEUlT_E_NS1_11comp_targetILNS1_3genE5ELNS1_11target_archE942ELNS1_3gpuE9ELNS1_3repE0EEENS1_30default_config_static_selectorELNS0_4arch9wavefront6targetE1EEEvT1_
	.p2align	8
	.type	_ZN7rocprim17ROCPRIM_400000_NS6detail17trampoline_kernelINS0_14default_configENS1_25transform_config_selectorIlLb0EEEZNS1_14transform_implILb0ES3_S5_PlN6thrust23THRUST_200600_302600_NS10device_ptrIlEENS0_8identityIlEEEE10hipError_tT2_T3_mT4_P12ihipStream_tbEUlT_E_NS1_11comp_targetILNS1_3genE5ELNS1_11target_archE942ELNS1_3gpuE9ELNS1_3repE0EEENS1_30default_config_static_selectorELNS0_4arch9wavefront6targetE1EEEvT1_,@function
_ZN7rocprim17ROCPRIM_400000_NS6detail17trampoline_kernelINS0_14default_configENS1_25transform_config_selectorIlLb0EEEZNS1_14transform_implILb0ES3_S5_PlN6thrust23THRUST_200600_302600_NS10device_ptrIlEENS0_8identityIlEEEE10hipError_tT2_T3_mT4_P12ihipStream_tbEUlT_E_NS1_11comp_targetILNS1_3genE5ELNS1_11target_archE942ELNS1_3gpuE9ELNS1_3repE0EEENS1_30default_config_static_selectorELNS0_4arch9wavefront6targetE1EEEvT1_: ; @_ZN7rocprim17ROCPRIM_400000_NS6detail17trampoline_kernelINS0_14default_configENS1_25transform_config_selectorIlLb0EEEZNS1_14transform_implILb0ES3_S5_PlN6thrust23THRUST_200600_302600_NS10device_ptrIlEENS0_8identityIlEEEE10hipError_tT2_T3_mT4_P12ihipStream_tbEUlT_E_NS1_11comp_targetILNS1_3genE5ELNS1_11target_archE942ELNS1_3gpuE9ELNS1_3repE0EEENS1_30default_config_static_selectorELNS0_4arch9wavefront6targetE1EEEvT1_
; %bb.0:
	.section	.rodata,"a",@progbits
	.p2align	6, 0x0
	.amdhsa_kernel _ZN7rocprim17ROCPRIM_400000_NS6detail17trampoline_kernelINS0_14default_configENS1_25transform_config_selectorIlLb0EEEZNS1_14transform_implILb0ES3_S5_PlN6thrust23THRUST_200600_302600_NS10device_ptrIlEENS0_8identityIlEEEE10hipError_tT2_T3_mT4_P12ihipStream_tbEUlT_E_NS1_11comp_targetILNS1_3genE5ELNS1_11target_archE942ELNS1_3gpuE9ELNS1_3repE0EEENS1_30default_config_static_selectorELNS0_4arch9wavefront6targetE1EEEvT1_
		.amdhsa_group_segment_fixed_size 0
		.amdhsa_private_segment_fixed_size 0
		.amdhsa_kernarg_size 40
		.amdhsa_user_sgpr_count 6
		.amdhsa_user_sgpr_private_segment_buffer 1
		.amdhsa_user_sgpr_dispatch_ptr 0
		.amdhsa_user_sgpr_queue_ptr 0
		.amdhsa_user_sgpr_kernarg_segment_ptr 1
		.amdhsa_user_sgpr_dispatch_id 0
		.amdhsa_user_sgpr_flat_scratch_init 0
		.amdhsa_user_sgpr_kernarg_preload_length 0
		.amdhsa_user_sgpr_kernarg_preload_offset 0
		.amdhsa_user_sgpr_private_segment_size 0
		.amdhsa_uses_dynamic_stack 0
		.amdhsa_system_sgpr_private_segment_wavefront_offset 0
		.amdhsa_system_sgpr_workgroup_id_x 1
		.amdhsa_system_sgpr_workgroup_id_y 0
		.amdhsa_system_sgpr_workgroup_id_z 0
		.amdhsa_system_sgpr_workgroup_info 0
		.amdhsa_system_vgpr_workitem_id 0
		.amdhsa_next_free_vgpr 1
		.amdhsa_next_free_sgpr 0
		.amdhsa_accum_offset 4
		.amdhsa_reserve_vcc 0
		.amdhsa_reserve_flat_scratch 0
		.amdhsa_float_round_mode_32 0
		.amdhsa_float_round_mode_16_64 0
		.amdhsa_float_denorm_mode_32 3
		.amdhsa_float_denorm_mode_16_64 3
		.amdhsa_dx10_clamp 1
		.amdhsa_ieee_mode 1
		.amdhsa_fp16_overflow 0
		.amdhsa_tg_split 0
		.amdhsa_exception_fp_ieee_invalid_op 0
		.amdhsa_exception_fp_denorm_src 0
		.amdhsa_exception_fp_ieee_div_zero 0
		.amdhsa_exception_fp_ieee_overflow 0
		.amdhsa_exception_fp_ieee_underflow 0
		.amdhsa_exception_fp_ieee_inexact 0
		.amdhsa_exception_int_div_zero 0
	.end_amdhsa_kernel
	.section	.text._ZN7rocprim17ROCPRIM_400000_NS6detail17trampoline_kernelINS0_14default_configENS1_25transform_config_selectorIlLb0EEEZNS1_14transform_implILb0ES3_S5_PlN6thrust23THRUST_200600_302600_NS10device_ptrIlEENS0_8identityIlEEEE10hipError_tT2_T3_mT4_P12ihipStream_tbEUlT_E_NS1_11comp_targetILNS1_3genE5ELNS1_11target_archE942ELNS1_3gpuE9ELNS1_3repE0EEENS1_30default_config_static_selectorELNS0_4arch9wavefront6targetE1EEEvT1_,"axG",@progbits,_ZN7rocprim17ROCPRIM_400000_NS6detail17trampoline_kernelINS0_14default_configENS1_25transform_config_selectorIlLb0EEEZNS1_14transform_implILb0ES3_S5_PlN6thrust23THRUST_200600_302600_NS10device_ptrIlEENS0_8identityIlEEEE10hipError_tT2_T3_mT4_P12ihipStream_tbEUlT_E_NS1_11comp_targetILNS1_3genE5ELNS1_11target_archE942ELNS1_3gpuE9ELNS1_3repE0EEENS1_30default_config_static_selectorELNS0_4arch9wavefront6targetE1EEEvT1_,comdat
.Lfunc_end181:
	.size	_ZN7rocprim17ROCPRIM_400000_NS6detail17trampoline_kernelINS0_14default_configENS1_25transform_config_selectorIlLb0EEEZNS1_14transform_implILb0ES3_S5_PlN6thrust23THRUST_200600_302600_NS10device_ptrIlEENS0_8identityIlEEEE10hipError_tT2_T3_mT4_P12ihipStream_tbEUlT_E_NS1_11comp_targetILNS1_3genE5ELNS1_11target_archE942ELNS1_3gpuE9ELNS1_3repE0EEENS1_30default_config_static_selectorELNS0_4arch9wavefront6targetE1EEEvT1_, .Lfunc_end181-_ZN7rocprim17ROCPRIM_400000_NS6detail17trampoline_kernelINS0_14default_configENS1_25transform_config_selectorIlLb0EEEZNS1_14transform_implILb0ES3_S5_PlN6thrust23THRUST_200600_302600_NS10device_ptrIlEENS0_8identityIlEEEE10hipError_tT2_T3_mT4_P12ihipStream_tbEUlT_E_NS1_11comp_targetILNS1_3genE5ELNS1_11target_archE942ELNS1_3gpuE9ELNS1_3repE0EEENS1_30default_config_static_selectorELNS0_4arch9wavefront6targetE1EEEvT1_
                                        ; -- End function
	.section	.AMDGPU.csdata,"",@progbits
; Kernel info:
; codeLenInByte = 0
; NumSgprs: 4
; NumVgprs: 0
; NumAgprs: 0
; TotalNumVgprs: 0
; ScratchSize: 0
; MemoryBound: 0
; FloatMode: 240
; IeeeMode: 1
; LDSByteSize: 0 bytes/workgroup (compile time only)
; SGPRBlocks: 0
; VGPRBlocks: 0
; NumSGPRsForWavesPerEU: 4
; NumVGPRsForWavesPerEU: 1
; AccumOffset: 4
; Occupancy: 8
; WaveLimiterHint : 0
; COMPUTE_PGM_RSRC2:SCRATCH_EN: 0
; COMPUTE_PGM_RSRC2:USER_SGPR: 6
; COMPUTE_PGM_RSRC2:TRAP_HANDLER: 0
; COMPUTE_PGM_RSRC2:TGID_X_EN: 1
; COMPUTE_PGM_RSRC2:TGID_Y_EN: 0
; COMPUTE_PGM_RSRC2:TGID_Z_EN: 0
; COMPUTE_PGM_RSRC2:TIDIG_COMP_CNT: 0
; COMPUTE_PGM_RSRC3_GFX90A:ACCUM_OFFSET: 0
; COMPUTE_PGM_RSRC3_GFX90A:TG_SPLIT: 0
	.section	.text._ZN7rocprim17ROCPRIM_400000_NS6detail17trampoline_kernelINS0_14default_configENS1_25transform_config_selectorIlLb0EEEZNS1_14transform_implILb0ES3_S5_PlN6thrust23THRUST_200600_302600_NS10device_ptrIlEENS0_8identityIlEEEE10hipError_tT2_T3_mT4_P12ihipStream_tbEUlT_E_NS1_11comp_targetILNS1_3genE4ELNS1_11target_archE910ELNS1_3gpuE8ELNS1_3repE0EEENS1_30default_config_static_selectorELNS0_4arch9wavefront6targetE1EEEvT1_,"axG",@progbits,_ZN7rocprim17ROCPRIM_400000_NS6detail17trampoline_kernelINS0_14default_configENS1_25transform_config_selectorIlLb0EEEZNS1_14transform_implILb0ES3_S5_PlN6thrust23THRUST_200600_302600_NS10device_ptrIlEENS0_8identityIlEEEE10hipError_tT2_T3_mT4_P12ihipStream_tbEUlT_E_NS1_11comp_targetILNS1_3genE4ELNS1_11target_archE910ELNS1_3gpuE8ELNS1_3repE0EEENS1_30default_config_static_selectorELNS0_4arch9wavefront6targetE1EEEvT1_,comdat
	.protected	_ZN7rocprim17ROCPRIM_400000_NS6detail17trampoline_kernelINS0_14default_configENS1_25transform_config_selectorIlLb0EEEZNS1_14transform_implILb0ES3_S5_PlN6thrust23THRUST_200600_302600_NS10device_ptrIlEENS0_8identityIlEEEE10hipError_tT2_T3_mT4_P12ihipStream_tbEUlT_E_NS1_11comp_targetILNS1_3genE4ELNS1_11target_archE910ELNS1_3gpuE8ELNS1_3repE0EEENS1_30default_config_static_selectorELNS0_4arch9wavefront6targetE1EEEvT1_ ; -- Begin function _ZN7rocprim17ROCPRIM_400000_NS6detail17trampoline_kernelINS0_14default_configENS1_25transform_config_selectorIlLb0EEEZNS1_14transform_implILb0ES3_S5_PlN6thrust23THRUST_200600_302600_NS10device_ptrIlEENS0_8identityIlEEEE10hipError_tT2_T3_mT4_P12ihipStream_tbEUlT_E_NS1_11comp_targetILNS1_3genE4ELNS1_11target_archE910ELNS1_3gpuE8ELNS1_3repE0EEENS1_30default_config_static_selectorELNS0_4arch9wavefront6targetE1EEEvT1_
	.globl	_ZN7rocprim17ROCPRIM_400000_NS6detail17trampoline_kernelINS0_14default_configENS1_25transform_config_selectorIlLb0EEEZNS1_14transform_implILb0ES3_S5_PlN6thrust23THRUST_200600_302600_NS10device_ptrIlEENS0_8identityIlEEEE10hipError_tT2_T3_mT4_P12ihipStream_tbEUlT_E_NS1_11comp_targetILNS1_3genE4ELNS1_11target_archE910ELNS1_3gpuE8ELNS1_3repE0EEENS1_30default_config_static_selectorELNS0_4arch9wavefront6targetE1EEEvT1_
	.p2align	8
	.type	_ZN7rocprim17ROCPRIM_400000_NS6detail17trampoline_kernelINS0_14default_configENS1_25transform_config_selectorIlLb0EEEZNS1_14transform_implILb0ES3_S5_PlN6thrust23THRUST_200600_302600_NS10device_ptrIlEENS0_8identityIlEEEE10hipError_tT2_T3_mT4_P12ihipStream_tbEUlT_E_NS1_11comp_targetILNS1_3genE4ELNS1_11target_archE910ELNS1_3gpuE8ELNS1_3repE0EEENS1_30default_config_static_selectorELNS0_4arch9wavefront6targetE1EEEvT1_,@function
_ZN7rocprim17ROCPRIM_400000_NS6detail17trampoline_kernelINS0_14default_configENS1_25transform_config_selectorIlLb0EEEZNS1_14transform_implILb0ES3_S5_PlN6thrust23THRUST_200600_302600_NS10device_ptrIlEENS0_8identityIlEEEE10hipError_tT2_T3_mT4_P12ihipStream_tbEUlT_E_NS1_11comp_targetILNS1_3genE4ELNS1_11target_archE910ELNS1_3gpuE8ELNS1_3repE0EEENS1_30default_config_static_selectorELNS0_4arch9wavefront6targetE1EEEvT1_: ; @_ZN7rocprim17ROCPRIM_400000_NS6detail17trampoline_kernelINS0_14default_configENS1_25transform_config_selectorIlLb0EEEZNS1_14transform_implILb0ES3_S5_PlN6thrust23THRUST_200600_302600_NS10device_ptrIlEENS0_8identityIlEEEE10hipError_tT2_T3_mT4_P12ihipStream_tbEUlT_E_NS1_11comp_targetILNS1_3genE4ELNS1_11target_archE910ELNS1_3gpuE8ELNS1_3repE0EEENS1_30default_config_static_selectorELNS0_4arch9wavefront6targetE1EEEvT1_
; %bb.0:
	s_load_dwordx8 s[8:15], s[4:5], 0x0
	s_load_dword s2, s[4:5], 0x28
	v_lshlrev_b32_e32 v8, 3, v0
	s_waitcnt lgkmcnt(0)
	s_lshl_b64 s[0:1], s[10:11], 3
	s_add_u32 s3, s8, s0
	s_addc_u32 s4, s9, s1
	s_add_u32 s7, s14, s0
	s_addc_u32 s13, s15, s1
	s_lshl_b32 s0, s6, 9
	s_mov_b32 s1, 0
	s_add_i32 s2, s2, -1
	s_lshl_b64 s[8:9], s[0:1], 3
	s_add_u32 s10, s3, s8
	s_addc_u32 s11, s4, s9
	s_cmp_lg_u32 s6, s2
	s_cbranch_scc0 .LBB182_2
; %bb.1:
	global_load_dwordx2 v[2:3], v8, s[10:11]
	global_load_dwordx2 v[4:5], v8, s[10:11] offset:2048
	s_add_u32 s1, s7, s8
	s_addc_u32 s4, s13, s9
	v_mov_b32_e32 v1, s4
	v_add_co_u32_e32 v6, vcc, s1, v8
	v_addc_co_u32_e32 v7, vcc, 0, v1, vcc
	s_mov_b64 s[4:5], -1
	s_waitcnt vmcnt(1)
	flat_store_dwordx2 v[6:7], v[2:3]
	s_cbranch_execz .LBB182_3
	s_branch .LBB182_14
.LBB182_2:
	s_mov_b64 s[4:5], 0
                                        ; implicit-def: $vgpr4_vgpr5
                                        ; implicit-def: $vgpr6_vgpr7
.LBB182_3:
	s_sub_i32 s2, s12, s0
	v_cmp_gt_u32_e32 vcc, s2, v0
                                        ; implicit-def: $vgpr2_vgpr3_vgpr4_vgpr5
	s_and_saveexec_b64 s[0:1], vcc
	s_cbranch_execz .LBB182_5
; %bb.4:
	global_load_dwordx2 v[2:3], v8, s[10:11]
.LBB182_5:
	s_or_b64 exec, exec, s[0:1]
	v_or_b32_e32 v1, 0x100, v0
	v_cmp_gt_u32_e64 s[0:1], s2, v1
	v_cmp_le_u32_e64 s[2:3], s2, v1
	s_and_saveexec_b64 s[14:15], s[2:3]
	s_xor_b64 s[2:3], exec, s[14:15]
; %bb.6:
	v_mov_b32_e32 v1, 0
                                        ; implicit-def: $vgpr8
; %bb.7:
	s_andn2_saveexec_b64 s[2:3], s[2:3]
	s_cbranch_execz .LBB182_9
; %bb.8:
	global_load_dwordx2 v[4:5], v8, s[10:11] offset:2048
	v_mov_b32_e32 v1, 0
.LBB182_9:
	s_or_b64 exec, exec, s[2:3]
	s_add_u32 s2, s7, s8
	s_addc_u32 s3, s13, s9
	v_lshlrev_b64 v[0:1], 3, v[0:1]
	v_mov_b32_e32 v7, s3
	v_add_co_u32_e64 v6, s[2:3], s2, v0
	v_addc_co_u32_e64 v7, s[2:3], v7, v1, s[2:3]
	s_and_saveexec_b64 s[2:3], vcc
	s_cbranch_execz .LBB182_11
; %bb.10:
	s_waitcnt vmcnt(0)
	flat_store_dwordx2 v[6:7], v[2:3]
.LBB182_11:
	s_or_b64 exec, exec, s[2:3]
	s_and_saveexec_b64 s[2:3], s[0:1]
; %bb.12:
	s_or_b64 s[4:5], s[4:5], exec
; %bb.13:
	s_or_b64 exec, exec, s[2:3]
.LBB182_14:
	s_and_saveexec_b64 s[0:1], s[4:5]
	s_cbranch_execnz .LBB182_16
; %bb.15:
	s_endpgm
.LBB182_16:
	s_waitcnt vmcnt(0)
	flat_store_dwordx2 v[6:7], v[4:5] offset:2048
	s_endpgm
	.section	.rodata,"a",@progbits
	.p2align	6, 0x0
	.amdhsa_kernel _ZN7rocprim17ROCPRIM_400000_NS6detail17trampoline_kernelINS0_14default_configENS1_25transform_config_selectorIlLb0EEEZNS1_14transform_implILb0ES3_S5_PlN6thrust23THRUST_200600_302600_NS10device_ptrIlEENS0_8identityIlEEEE10hipError_tT2_T3_mT4_P12ihipStream_tbEUlT_E_NS1_11comp_targetILNS1_3genE4ELNS1_11target_archE910ELNS1_3gpuE8ELNS1_3repE0EEENS1_30default_config_static_selectorELNS0_4arch9wavefront6targetE1EEEvT1_
		.amdhsa_group_segment_fixed_size 0
		.amdhsa_private_segment_fixed_size 0
		.amdhsa_kernarg_size 296
		.amdhsa_user_sgpr_count 6
		.amdhsa_user_sgpr_private_segment_buffer 1
		.amdhsa_user_sgpr_dispatch_ptr 0
		.amdhsa_user_sgpr_queue_ptr 0
		.amdhsa_user_sgpr_kernarg_segment_ptr 1
		.amdhsa_user_sgpr_dispatch_id 0
		.amdhsa_user_sgpr_flat_scratch_init 0
		.amdhsa_user_sgpr_kernarg_preload_length 0
		.amdhsa_user_sgpr_kernarg_preload_offset 0
		.amdhsa_user_sgpr_private_segment_size 0
		.amdhsa_uses_dynamic_stack 0
		.amdhsa_system_sgpr_private_segment_wavefront_offset 0
		.amdhsa_system_sgpr_workgroup_id_x 1
		.amdhsa_system_sgpr_workgroup_id_y 0
		.amdhsa_system_sgpr_workgroup_id_z 0
		.amdhsa_system_sgpr_workgroup_info 0
		.amdhsa_system_vgpr_workitem_id 0
		.amdhsa_next_free_vgpr 9
		.amdhsa_next_free_sgpr 16
		.amdhsa_accum_offset 12
		.amdhsa_reserve_vcc 1
		.amdhsa_reserve_flat_scratch 0
		.amdhsa_float_round_mode_32 0
		.amdhsa_float_round_mode_16_64 0
		.amdhsa_float_denorm_mode_32 3
		.amdhsa_float_denorm_mode_16_64 3
		.amdhsa_dx10_clamp 1
		.amdhsa_ieee_mode 1
		.amdhsa_fp16_overflow 0
		.amdhsa_tg_split 0
		.amdhsa_exception_fp_ieee_invalid_op 0
		.amdhsa_exception_fp_denorm_src 0
		.amdhsa_exception_fp_ieee_div_zero 0
		.amdhsa_exception_fp_ieee_overflow 0
		.amdhsa_exception_fp_ieee_underflow 0
		.amdhsa_exception_fp_ieee_inexact 0
		.amdhsa_exception_int_div_zero 0
	.end_amdhsa_kernel
	.section	.text._ZN7rocprim17ROCPRIM_400000_NS6detail17trampoline_kernelINS0_14default_configENS1_25transform_config_selectorIlLb0EEEZNS1_14transform_implILb0ES3_S5_PlN6thrust23THRUST_200600_302600_NS10device_ptrIlEENS0_8identityIlEEEE10hipError_tT2_T3_mT4_P12ihipStream_tbEUlT_E_NS1_11comp_targetILNS1_3genE4ELNS1_11target_archE910ELNS1_3gpuE8ELNS1_3repE0EEENS1_30default_config_static_selectorELNS0_4arch9wavefront6targetE1EEEvT1_,"axG",@progbits,_ZN7rocprim17ROCPRIM_400000_NS6detail17trampoline_kernelINS0_14default_configENS1_25transform_config_selectorIlLb0EEEZNS1_14transform_implILb0ES3_S5_PlN6thrust23THRUST_200600_302600_NS10device_ptrIlEENS0_8identityIlEEEE10hipError_tT2_T3_mT4_P12ihipStream_tbEUlT_E_NS1_11comp_targetILNS1_3genE4ELNS1_11target_archE910ELNS1_3gpuE8ELNS1_3repE0EEENS1_30default_config_static_selectorELNS0_4arch9wavefront6targetE1EEEvT1_,comdat
.Lfunc_end182:
	.size	_ZN7rocprim17ROCPRIM_400000_NS6detail17trampoline_kernelINS0_14default_configENS1_25transform_config_selectorIlLb0EEEZNS1_14transform_implILb0ES3_S5_PlN6thrust23THRUST_200600_302600_NS10device_ptrIlEENS0_8identityIlEEEE10hipError_tT2_T3_mT4_P12ihipStream_tbEUlT_E_NS1_11comp_targetILNS1_3genE4ELNS1_11target_archE910ELNS1_3gpuE8ELNS1_3repE0EEENS1_30default_config_static_selectorELNS0_4arch9wavefront6targetE1EEEvT1_, .Lfunc_end182-_ZN7rocprim17ROCPRIM_400000_NS6detail17trampoline_kernelINS0_14default_configENS1_25transform_config_selectorIlLb0EEEZNS1_14transform_implILb0ES3_S5_PlN6thrust23THRUST_200600_302600_NS10device_ptrIlEENS0_8identityIlEEEE10hipError_tT2_T3_mT4_P12ihipStream_tbEUlT_E_NS1_11comp_targetILNS1_3genE4ELNS1_11target_archE910ELNS1_3gpuE8ELNS1_3repE0EEENS1_30default_config_static_selectorELNS0_4arch9wavefront6targetE1EEEvT1_
                                        ; -- End function
	.section	.AMDGPU.csdata,"",@progbits
; Kernel info:
; codeLenInByte = 328
; NumSgprs: 20
; NumVgprs: 9
; NumAgprs: 0
; TotalNumVgprs: 9
; ScratchSize: 0
; MemoryBound: 0
; FloatMode: 240
; IeeeMode: 1
; LDSByteSize: 0 bytes/workgroup (compile time only)
; SGPRBlocks: 2
; VGPRBlocks: 1
; NumSGPRsForWavesPerEU: 20
; NumVGPRsForWavesPerEU: 9
; AccumOffset: 12
; Occupancy: 8
; WaveLimiterHint : 1
; COMPUTE_PGM_RSRC2:SCRATCH_EN: 0
; COMPUTE_PGM_RSRC2:USER_SGPR: 6
; COMPUTE_PGM_RSRC2:TRAP_HANDLER: 0
; COMPUTE_PGM_RSRC2:TGID_X_EN: 1
; COMPUTE_PGM_RSRC2:TGID_Y_EN: 0
; COMPUTE_PGM_RSRC2:TGID_Z_EN: 0
; COMPUTE_PGM_RSRC2:TIDIG_COMP_CNT: 0
; COMPUTE_PGM_RSRC3_GFX90A:ACCUM_OFFSET: 2
; COMPUTE_PGM_RSRC3_GFX90A:TG_SPLIT: 0
	.section	.text._ZN7rocprim17ROCPRIM_400000_NS6detail17trampoline_kernelINS0_14default_configENS1_25transform_config_selectorIlLb0EEEZNS1_14transform_implILb0ES3_S5_PlN6thrust23THRUST_200600_302600_NS10device_ptrIlEENS0_8identityIlEEEE10hipError_tT2_T3_mT4_P12ihipStream_tbEUlT_E_NS1_11comp_targetILNS1_3genE3ELNS1_11target_archE908ELNS1_3gpuE7ELNS1_3repE0EEENS1_30default_config_static_selectorELNS0_4arch9wavefront6targetE1EEEvT1_,"axG",@progbits,_ZN7rocprim17ROCPRIM_400000_NS6detail17trampoline_kernelINS0_14default_configENS1_25transform_config_selectorIlLb0EEEZNS1_14transform_implILb0ES3_S5_PlN6thrust23THRUST_200600_302600_NS10device_ptrIlEENS0_8identityIlEEEE10hipError_tT2_T3_mT4_P12ihipStream_tbEUlT_E_NS1_11comp_targetILNS1_3genE3ELNS1_11target_archE908ELNS1_3gpuE7ELNS1_3repE0EEENS1_30default_config_static_selectorELNS0_4arch9wavefront6targetE1EEEvT1_,comdat
	.protected	_ZN7rocprim17ROCPRIM_400000_NS6detail17trampoline_kernelINS0_14default_configENS1_25transform_config_selectorIlLb0EEEZNS1_14transform_implILb0ES3_S5_PlN6thrust23THRUST_200600_302600_NS10device_ptrIlEENS0_8identityIlEEEE10hipError_tT2_T3_mT4_P12ihipStream_tbEUlT_E_NS1_11comp_targetILNS1_3genE3ELNS1_11target_archE908ELNS1_3gpuE7ELNS1_3repE0EEENS1_30default_config_static_selectorELNS0_4arch9wavefront6targetE1EEEvT1_ ; -- Begin function _ZN7rocprim17ROCPRIM_400000_NS6detail17trampoline_kernelINS0_14default_configENS1_25transform_config_selectorIlLb0EEEZNS1_14transform_implILb0ES3_S5_PlN6thrust23THRUST_200600_302600_NS10device_ptrIlEENS0_8identityIlEEEE10hipError_tT2_T3_mT4_P12ihipStream_tbEUlT_E_NS1_11comp_targetILNS1_3genE3ELNS1_11target_archE908ELNS1_3gpuE7ELNS1_3repE0EEENS1_30default_config_static_selectorELNS0_4arch9wavefront6targetE1EEEvT1_
	.globl	_ZN7rocprim17ROCPRIM_400000_NS6detail17trampoline_kernelINS0_14default_configENS1_25transform_config_selectorIlLb0EEEZNS1_14transform_implILb0ES3_S5_PlN6thrust23THRUST_200600_302600_NS10device_ptrIlEENS0_8identityIlEEEE10hipError_tT2_T3_mT4_P12ihipStream_tbEUlT_E_NS1_11comp_targetILNS1_3genE3ELNS1_11target_archE908ELNS1_3gpuE7ELNS1_3repE0EEENS1_30default_config_static_selectorELNS0_4arch9wavefront6targetE1EEEvT1_
	.p2align	8
	.type	_ZN7rocprim17ROCPRIM_400000_NS6detail17trampoline_kernelINS0_14default_configENS1_25transform_config_selectorIlLb0EEEZNS1_14transform_implILb0ES3_S5_PlN6thrust23THRUST_200600_302600_NS10device_ptrIlEENS0_8identityIlEEEE10hipError_tT2_T3_mT4_P12ihipStream_tbEUlT_E_NS1_11comp_targetILNS1_3genE3ELNS1_11target_archE908ELNS1_3gpuE7ELNS1_3repE0EEENS1_30default_config_static_selectorELNS0_4arch9wavefront6targetE1EEEvT1_,@function
_ZN7rocprim17ROCPRIM_400000_NS6detail17trampoline_kernelINS0_14default_configENS1_25transform_config_selectorIlLb0EEEZNS1_14transform_implILb0ES3_S5_PlN6thrust23THRUST_200600_302600_NS10device_ptrIlEENS0_8identityIlEEEE10hipError_tT2_T3_mT4_P12ihipStream_tbEUlT_E_NS1_11comp_targetILNS1_3genE3ELNS1_11target_archE908ELNS1_3gpuE7ELNS1_3repE0EEENS1_30default_config_static_selectorELNS0_4arch9wavefront6targetE1EEEvT1_: ; @_ZN7rocprim17ROCPRIM_400000_NS6detail17trampoline_kernelINS0_14default_configENS1_25transform_config_selectorIlLb0EEEZNS1_14transform_implILb0ES3_S5_PlN6thrust23THRUST_200600_302600_NS10device_ptrIlEENS0_8identityIlEEEE10hipError_tT2_T3_mT4_P12ihipStream_tbEUlT_E_NS1_11comp_targetILNS1_3genE3ELNS1_11target_archE908ELNS1_3gpuE7ELNS1_3repE0EEENS1_30default_config_static_selectorELNS0_4arch9wavefront6targetE1EEEvT1_
; %bb.0:
	.section	.rodata,"a",@progbits
	.p2align	6, 0x0
	.amdhsa_kernel _ZN7rocprim17ROCPRIM_400000_NS6detail17trampoline_kernelINS0_14default_configENS1_25transform_config_selectorIlLb0EEEZNS1_14transform_implILb0ES3_S5_PlN6thrust23THRUST_200600_302600_NS10device_ptrIlEENS0_8identityIlEEEE10hipError_tT2_T3_mT4_P12ihipStream_tbEUlT_E_NS1_11comp_targetILNS1_3genE3ELNS1_11target_archE908ELNS1_3gpuE7ELNS1_3repE0EEENS1_30default_config_static_selectorELNS0_4arch9wavefront6targetE1EEEvT1_
		.amdhsa_group_segment_fixed_size 0
		.amdhsa_private_segment_fixed_size 0
		.amdhsa_kernarg_size 40
		.amdhsa_user_sgpr_count 6
		.amdhsa_user_sgpr_private_segment_buffer 1
		.amdhsa_user_sgpr_dispatch_ptr 0
		.amdhsa_user_sgpr_queue_ptr 0
		.amdhsa_user_sgpr_kernarg_segment_ptr 1
		.amdhsa_user_sgpr_dispatch_id 0
		.amdhsa_user_sgpr_flat_scratch_init 0
		.amdhsa_user_sgpr_kernarg_preload_length 0
		.amdhsa_user_sgpr_kernarg_preload_offset 0
		.amdhsa_user_sgpr_private_segment_size 0
		.amdhsa_uses_dynamic_stack 0
		.amdhsa_system_sgpr_private_segment_wavefront_offset 0
		.amdhsa_system_sgpr_workgroup_id_x 1
		.amdhsa_system_sgpr_workgroup_id_y 0
		.amdhsa_system_sgpr_workgroup_id_z 0
		.amdhsa_system_sgpr_workgroup_info 0
		.amdhsa_system_vgpr_workitem_id 0
		.amdhsa_next_free_vgpr 1
		.amdhsa_next_free_sgpr 0
		.amdhsa_accum_offset 4
		.amdhsa_reserve_vcc 0
		.amdhsa_reserve_flat_scratch 0
		.amdhsa_float_round_mode_32 0
		.amdhsa_float_round_mode_16_64 0
		.amdhsa_float_denorm_mode_32 3
		.amdhsa_float_denorm_mode_16_64 3
		.amdhsa_dx10_clamp 1
		.amdhsa_ieee_mode 1
		.amdhsa_fp16_overflow 0
		.amdhsa_tg_split 0
		.amdhsa_exception_fp_ieee_invalid_op 0
		.amdhsa_exception_fp_denorm_src 0
		.amdhsa_exception_fp_ieee_div_zero 0
		.amdhsa_exception_fp_ieee_overflow 0
		.amdhsa_exception_fp_ieee_underflow 0
		.amdhsa_exception_fp_ieee_inexact 0
		.amdhsa_exception_int_div_zero 0
	.end_amdhsa_kernel
	.section	.text._ZN7rocprim17ROCPRIM_400000_NS6detail17trampoline_kernelINS0_14default_configENS1_25transform_config_selectorIlLb0EEEZNS1_14transform_implILb0ES3_S5_PlN6thrust23THRUST_200600_302600_NS10device_ptrIlEENS0_8identityIlEEEE10hipError_tT2_T3_mT4_P12ihipStream_tbEUlT_E_NS1_11comp_targetILNS1_3genE3ELNS1_11target_archE908ELNS1_3gpuE7ELNS1_3repE0EEENS1_30default_config_static_selectorELNS0_4arch9wavefront6targetE1EEEvT1_,"axG",@progbits,_ZN7rocprim17ROCPRIM_400000_NS6detail17trampoline_kernelINS0_14default_configENS1_25transform_config_selectorIlLb0EEEZNS1_14transform_implILb0ES3_S5_PlN6thrust23THRUST_200600_302600_NS10device_ptrIlEENS0_8identityIlEEEE10hipError_tT2_T3_mT4_P12ihipStream_tbEUlT_E_NS1_11comp_targetILNS1_3genE3ELNS1_11target_archE908ELNS1_3gpuE7ELNS1_3repE0EEENS1_30default_config_static_selectorELNS0_4arch9wavefront6targetE1EEEvT1_,comdat
.Lfunc_end183:
	.size	_ZN7rocprim17ROCPRIM_400000_NS6detail17trampoline_kernelINS0_14default_configENS1_25transform_config_selectorIlLb0EEEZNS1_14transform_implILb0ES3_S5_PlN6thrust23THRUST_200600_302600_NS10device_ptrIlEENS0_8identityIlEEEE10hipError_tT2_T3_mT4_P12ihipStream_tbEUlT_E_NS1_11comp_targetILNS1_3genE3ELNS1_11target_archE908ELNS1_3gpuE7ELNS1_3repE0EEENS1_30default_config_static_selectorELNS0_4arch9wavefront6targetE1EEEvT1_, .Lfunc_end183-_ZN7rocprim17ROCPRIM_400000_NS6detail17trampoline_kernelINS0_14default_configENS1_25transform_config_selectorIlLb0EEEZNS1_14transform_implILb0ES3_S5_PlN6thrust23THRUST_200600_302600_NS10device_ptrIlEENS0_8identityIlEEEE10hipError_tT2_T3_mT4_P12ihipStream_tbEUlT_E_NS1_11comp_targetILNS1_3genE3ELNS1_11target_archE908ELNS1_3gpuE7ELNS1_3repE0EEENS1_30default_config_static_selectorELNS0_4arch9wavefront6targetE1EEEvT1_
                                        ; -- End function
	.section	.AMDGPU.csdata,"",@progbits
; Kernel info:
; codeLenInByte = 0
; NumSgprs: 4
; NumVgprs: 0
; NumAgprs: 0
; TotalNumVgprs: 0
; ScratchSize: 0
; MemoryBound: 0
; FloatMode: 240
; IeeeMode: 1
; LDSByteSize: 0 bytes/workgroup (compile time only)
; SGPRBlocks: 0
; VGPRBlocks: 0
; NumSGPRsForWavesPerEU: 4
; NumVGPRsForWavesPerEU: 1
; AccumOffset: 4
; Occupancy: 8
; WaveLimiterHint : 0
; COMPUTE_PGM_RSRC2:SCRATCH_EN: 0
; COMPUTE_PGM_RSRC2:USER_SGPR: 6
; COMPUTE_PGM_RSRC2:TRAP_HANDLER: 0
; COMPUTE_PGM_RSRC2:TGID_X_EN: 1
; COMPUTE_PGM_RSRC2:TGID_Y_EN: 0
; COMPUTE_PGM_RSRC2:TGID_Z_EN: 0
; COMPUTE_PGM_RSRC2:TIDIG_COMP_CNT: 0
; COMPUTE_PGM_RSRC3_GFX90A:ACCUM_OFFSET: 0
; COMPUTE_PGM_RSRC3_GFX90A:TG_SPLIT: 0
	.section	.text._ZN7rocprim17ROCPRIM_400000_NS6detail17trampoline_kernelINS0_14default_configENS1_25transform_config_selectorIlLb0EEEZNS1_14transform_implILb0ES3_S5_PlN6thrust23THRUST_200600_302600_NS10device_ptrIlEENS0_8identityIlEEEE10hipError_tT2_T3_mT4_P12ihipStream_tbEUlT_E_NS1_11comp_targetILNS1_3genE2ELNS1_11target_archE906ELNS1_3gpuE6ELNS1_3repE0EEENS1_30default_config_static_selectorELNS0_4arch9wavefront6targetE1EEEvT1_,"axG",@progbits,_ZN7rocprim17ROCPRIM_400000_NS6detail17trampoline_kernelINS0_14default_configENS1_25transform_config_selectorIlLb0EEEZNS1_14transform_implILb0ES3_S5_PlN6thrust23THRUST_200600_302600_NS10device_ptrIlEENS0_8identityIlEEEE10hipError_tT2_T3_mT4_P12ihipStream_tbEUlT_E_NS1_11comp_targetILNS1_3genE2ELNS1_11target_archE906ELNS1_3gpuE6ELNS1_3repE0EEENS1_30default_config_static_selectorELNS0_4arch9wavefront6targetE1EEEvT1_,comdat
	.protected	_ZN7rocprim17ROCPRIM_400000_NS6detail17trampoline_kernelINS0_14default_configENS1_25transform_config_selectorIlLb0EEEZNS1_14transform_implILb0ES3_S5_PlN6thrust23THRUST_200600_302600_NS10device_ptrIlEENS0_8identityIlEEEE10hipError_tT2_T3_mT4_P12ihipStream_tbEUlT_E_NS1_11comp_targetILNS1_3genE2ELNS1_11target_archE906ELNS1_3gpuE6ELNS1_3repE0EEENS1_30default_config_static_selectorELNS0_4arch9wavefront6targetE1EEEvT1_ ; -- Begin function _ZN7rocprim17ROCPRIM_400000_NS6detail17trampoline_kernelINS0_14default_configENS1_25transform_config_selectorIlLb0EEEZNS1_14transform_implILb0ES3_S5_PlN6thrust23THRUST_200600_302600_NS10device_ptrIlEENS0_8identityIlEEEE10hipError_tT2_T3_mT4_P12ihipStream_tbEUlT_E_NS1_11comp_targetILNS1_3genE2ELNS1_11target_archE906ELNS1_3gpuE6ELNS1_3repE0EEENS1_30default_config_static_selectorELNS0_4arch9wavefront6targetE1EEEvT1_
	.globl	_ZN7rocprim17ROCPRIM_400000_NS6detail17trampoline_kernelINS0_14default_configENS1_25transform_config_selectorIlLb0EEEZNS1_14transform_implILb0ES3_S5_PlN6thrust23THRUST_200600_302600_NS10device_ptrIlEENS0_8identityIlEEEE10hipError_tT2_T3_mT4_P12ihipStream_tbEUlT_E_NS1_11comp_targetILNS1_3genE2ELNS1_11target_archE906ELNS1_3gpuE6ELNS1_3repE0EEENS1_30default_config_static_selectorELNS0_4arch9wavefront6targetE1EEEvT1_
	.p2align	8
	.type	_ZN7rocprim17ROCPRIM_400000_NS6detail17trampoline_kernelINS0_14default_configENS1_25transform_config_selectorIlLb0EEEZNS1_14transform_implILb0ES3_S5_PlN6thrust23THRUST_200600_302600_NS10device_ptrIlEENS0_8identityIlEEEE10hipError_tT2_T3_mT4_P12ihipStream_tbEUlT_E_NS1_11comp_targetILNS1_3genE2ELNS1_11target_archE906ELNS1_3gpuE6ELNS1_3repE0EEENS1_30default_config_static_selectorELNS0_4arch9wavefront6targetE1EEEvT1_,@function
_ZN7rocprim17ROCPRIM_400000_NS6detail17trampoline_kernelINS0_14default_configENS1_25transform_config_selectorIlLb0EEEZNS1_14transform_implILb0ES3_S5_PlN6thrust23THRUST_200600_302600_NS10device_ptrIlEENS0_8identityIlEEEE10hipError_tT2_T3_mT4_P12ihipStream_tbEUlT_E_NS1_11comp_targetILNS1_3genE2ELNS1_11target_archE906ELNS1_3gpuE6ELNS1_3repE0EEENS1_30default_config_static_selectorELNS0_4arch9wavefront6targetE1EEEvT1_: ; @_ZN7rocprim17ROCPRIM_400000_NS6detail17trampoline_kernelINS0_14default_configENS1_25transform_config_selectorIlLb0EEEZNS1_14transform_implILb0ES3_S5_PlN6thrust23THRUST_200600_302600_NS10device_ptrIlEENS0_8identityIlEEEE10hipError_tT2_T3_mT4_P12ihipStream_tbEUlT_E_NS1_11comp_targetILNS1_3genE2ELNS1_11target_archE906ELNS1_3gpuE6ELNS1_3repE0EEENS1_30default_config_static_selectorELNS0_4arch9wavefront6targetE1EEEvT1_
; %bb.0:
	.section	.rodata,"a",@progbits
	.p2align	6, 0x0
	.amdhsa_kernel _ZN7rocprim17ROCPRIM_400000_NS6detail17trampoline_kernelINS0_14default_configENS1_25transform_config_selectorIlLb0EEEZNS1_14transform_implILb0ES3_S5_PlN6thrust23THRUST_200600_302600_NS10device_ptrIlEENS0_8identityIlEEEE10hipError_tT2_T3_mT4_P12ihipStream_tbEUlT_E_NS1_11comp_targetILNS1_3genE2ELNS1_11target_archE906ELNS1_3gpuE6ELNS1_3repE0EEENS1_30default_config_static_selectorELNS0_4arch9wavefront6targetE1EEEvT1_
		.amdhsa_group_segment_fixed_size 0
		.amdhsa_private_segment_fixed_size 0
		.amdhsa_kernarg_size 40
		.amdhsa_user_sgpr_count 6
		.amdhsa_user_sgpr_private_segment_buffer 1
		.amdhsa_user_sgpr_dispatch_ptr 0
		.amdhsa_user_sgpr_queue_ptr 0
		.amdhsa_user_sgpr_kernarg_segment_ptr 1
		.amdhsa_user_sgpr_dispatch_id 0
		.amdhsa_user_sgpr_flat_scratch_init 0
		.amdhsa_user_sgpr_kernarg_preload_length 0
		.amdhsa_user_sgpr_kernarg_preload_offset 0
		.amdhsa_user_sgpr_private_segment_size 0
		.amdhsa_uses_dynamic_stack 0
		.amdhsa_system_sgpr_private_segment_wavefront_offset 0
		.amdhsa_system_sgpr_workgroup_id_x 1
		.amdhsa_system_sgpr_workgroup_id_y 0
		.amdhsa_system_sgpr_workgroup_id_z 0
		.amdhsa_system_sgpr_workgroup_info 0
		.amdhsa_system_vgpr_workitem_id 0
		.amdhsa_next_free_vgpr 1
		.amdhsa_next_free_sgpr 0
		.amdhsa_accum_offset 4
		.amdhsa_reserve_vcc 0
		.amdhsa_reserve_flat_scratch 0
		.amdhsa_float_round_mode_32 0
		.amdhsa_float_round_mode_16_64 0
		.amdhsa_float_denorm_mode_32 3
		.amdhsa_float_denorm_mode_16_64 3
		.amdhsa_dx10_clamp 1
		.amdhsa_ieee_mode 1
		.amdhsa_fp16_overflow 0
		.amdhsa_tg_split 0
		.amdhsa_exception_fp_ieee_invalid_op 0
		.amdhsa_exception_fp_denorm_src 0
		.amdhsa_exception_fp_ieee_div_zero 0
		.amdhsa_exception_fp_ieee_overflow 0
		.amdhsa_exception_fp_ieee_underflow 0
		.amdhsa_exception_fp_ieee_inexact 0
		.amdhsa_exception_int_div_zero 0
	.end_amdhsa_kernel
	.section	.text._ZN7rocprim17ROCPRIM_400000_NS6detail17trampoline_kernelINS0_14default_configENS1_25transform_config_selectorIlLb0EEEZNS1_14transform_implILb0ES3_S5_PlN6thrust23THRUST_200600_302600_NS10device_ptrIlEENS0_8identityIlEEEE10hipError_tT2_T3_mT4_P12ihipStream_tbEUlT_E_NS1_11comp_targetILNS1_3genE2ELNS1_11target_archE906ELNS1_3gpuE6ELNS1_3repE0EEENS1_30default_config_static_selectorELNS0_4arch9wavefront6targetE1EEEvT1_,"axG",@progbits,_ZN7rocprim17ROCPRIM_400000_NS6detail17trampoline_kernelINS0_14default_configENS1_25transform_config_selectorIlLb0EEEZNS1_14transform_implILb0ES3_S5_PlN6thrust23THRUST_200600_302600_NS10device_ptrIlEENS0_8identityIlEEEE10hipError_tT2_T3_mT4_P12ihipStream_tbEUlT_E_NS1_11comp_targetILNS1_3genE2ELNS1_11target_archE906ELNS1_3gpuE6ELNS1_3repE0EEENS1_30default_config_static_selectorELNS0_4arch9wavefront6targetE1EEEvT1_,comdat
.Lfunc_end184:
	.size	_ZN7rocprim17ROCPRIM_400000_NS6detail17trampoline_kernelINS0_14default_configENS1_25transform_config_selectorIlLb0EEEZNS1_14transform_implILb0ES3_S5_PlN6thrust23THRUST_200600_302600_NS10device_ptrIlEENS0_8identityIlEEEE10hipError_tT2_T3_mT4_P12ihipStream_tbEUlT_E_NS1_11comp_targetILNS1_3genE2ELNS1_11target_archE906ELNS1_3gpuE6ELNS1_3repE0EEENS1_30default_config_static_selectorELNS0_4arch9wavefront6targetE1EEEvT1_, .Lfunc_end184-_ZN7rocprim17ROCPRIM_400000_NS6detail17trampoline_kernelINS0_14default_configENS1_25transform_config_selectorIlLb0EEEZNS1_14transform_implILb0ES3_S5_PlN6thrust23THRUST_200600_302600_NS10device_ptrIlEENS0_8identityIlEEEE10hipError_tT2_T3_mT4_P12ihipStream_tbEUlT_E_NS1_11comp_targetILNS1_3genE2ELNS1_11target_archE906ELNS1_3gpuE6ELNS1_3repE0EEENS1_30default_config_static_selectorELNS0_4arch9wavefront6targetE1EEEvT1_
                                        ; -- End function
	.section	.AMDGPU.csdata,"",@progbits
; Kernel info:
; codeLenInByte = 0
; NumSgprs: 4
; NumVgprs: 0
; NumAgprs: 0
; TotalNumVgprs: 0
; ScratchSize: 0
; MemoryBound: 0
; FloatMode: 240
; IeeeMode: 1
; LDSByteSize: 0 bytes/workgroup (compile time only)
; SGPRBlocks: 0
; VGPRBlocks: 0
; NumSGPRsForWavesPerEU: 4
; NumVGPRsForWavesPerEU: 1
; AccumOffset: 4
; Occupancy: 8
; WaveLimiterHint : 0
; COMPUTE_PGM_RSRC2:SCRATCH_EN: 0
; COMPUTE_PGM_RSRC2:USER_SGPR: 6
; COMPUTE_PGM_RSRC2:TRAP_HANDLER: 0
; COMPUTE_PGM_RSRC2:TGID_X_EN: 1
; COMPUTE_PGM_RSRC2:TGID_Y_EN: 0
; COMPUTE_PGM_RSRC2:TGID_Z_EN: 0
; COMPUTE_PGM_RSRC2:TIDIG_COMP_CNT: 0
; COMPUTE_PGM_RSRC3_GFX90A:ACCUM_OFFSET: 0
; COMPUTE_PGM_RSRC3_GFX90A:TG_SPLIT: 0
	.section	.text._ZN7rocprim17ROCPRIM_400000_NS6detail17trampoline_kernelINS0_14default_configENS1_25transform_config_selectorIlLb0EEEZNS1_14transform_implILb0ES3_S5_PlN6thrust23THRUST_200600_302600_NS10device_ptrIlEENS0_8identityIlEEEE10hipError_tT2_T3_mT4_P12ihipStream_tbEUlT_E_NS1_11comp_targetILNS1_3genE10ELNS1_11target_archE1201ELNS1_3gpuE5ELNS1_3repE0EEENS1_30default_config_static_selectorELNS0_4arch9wavefront6targetE1EEEvT1_,"axG",@progbits,_ZN7rocprim17ROCPRIM_400000_NS6detail17trampoline_kernelINS0_14default_configENS1_25transform_config_selectorIlLb0EEEZNS1_14transform_implILb0ES3_S5_PlN6thrust23THRUST_200600_302600_NS10device_ptrIlEENS0_8identityIlEEEE10hipError_tT2_T3_mT4_P12ihipStream_tbEUlT_E_NS1_11comp_targetILNS1_3genE10ELNS1_11target_archE1201ELNS1_3gpuE5ELNS1_3repE0EEENS1_30default_config_static_selectorELNS0_4arch9wavefront6targetE1EEEvT1_,comdat
	.protected	_ZN7rocprim17ROCPRIM_400000_NS6detail17trampoline_kernelINS0_14default_configENS1_25transform_config_selectorIlLb0EEEZNS1_14transform_implILb0ES3_S5_PlN6thrust23THRUST_200600_302600_NS10device_ptrIlEENS0_8identityIlEEEE10hipError_tT2_T3_mT4_P12ihipStream_tbEUlT_E_NS1_11comp_targetILNS1_3genE10ELNS1_11target_archE1201ELNS1_3gpuE5ELNS1_3repE0EEENS1_30default_config_static_selectorELNS0_4arch9wavefront6targetE1EEEvT1_ ; -- Begin function _ZN7rocprim17ROCPRIM_400000_NS6detail17trampoline_kernelINS0_14default_configENS1_25transform_config_selectorIlLb0EEEZNS1_14transform_implILb0ES3_S5_PlN6thrust23THRUST_200600_302600_NS10device_ptrIlEENS0_8identityIlEEEE10hipError_tT2_T3_mT4_P12ihipStream_tbEUlT_E_NS1_11comp_targetILNS1_3genE10ELNS1_11target_archE1201ELNS1_3gpuE5ELNS1_3repE0EEENS1_30default_config_static_selectorELNS0_4arch9wavefront6targetE1EEEvT1_
	.globl	_ZN7rocprim17ROCPRIM_400000_NS6detail17trampoline_kernelINS0_14default_configENS1_25transform_config_selectorIlLb0EEEZNS1_14transform_implILb0ES3_S5_PlN6thrust23THRUST_200600_302600_NS10device_ptrIlEENS0_8identityIlEEEE10hipError_tT2_T3_mT4_P12ihipStream_tbEUlT_E_NS1_11comp_targetILNS1_3genE10ELNS1_11target_archE1201ELNS1_3gpuE5ELNS1_3repE0EEENS1_30default_config_static_selectorELNS0_4arch9wavefront6targetE1EEEvT1_
	.p2align	8
	.type	_ZN7rocprim17ROCPRIM_400000_NS6detail17trampoline_kernelINS0_14default_configENS1_25transform_config_selectorIlLb0EEEZNS1_14transform_implILb0ES3_S5_PlN6thrust23THRUST_200600_302600_NS10device_ptrIlEENS0_8identityIlEEEE10hipError_tT2_T3_mT4_P12ihipStream_tbEUlT_E_NS1_11comp_targetILNS1_3genE10ELNS1_11target_archE1201ELNS1_3gpuE5ELNS1_3repE0EEENS1_30default_config_static_selectorELNS0_4arch9wavefront6targetE1EEEvT1_,@function
_ZN7rocprim17ROCPRIM_400000_NS6detail17trampoline_kernelINS0_14default_configENS1_25transform_config_selectorIlLb0EEEZNS1_14transform_implILb0ES3_S5_PlN6thrust23THRUST_200600_302600_NS10device_ptrIlEENS0_8identityIlEEEE10hipError_tT2_T3_mT4_P12ihipStream_tbEUlT_E_NS1_11comp_targetILNS1_3genE10ELNS1_11target_archE1201ELNS1_3gpuE5ELNS1_3repE0EEENS1_30default_config_static_selectorELNS0_4arch9wavefront6targetE1EEEvT1_: ; @_ZN7rocprim17ROCPRIM_400000_NS6detail17trampoline_kernelINS0_14default_configENS1_25transform_config_selectorIlLb0EEEZNS1_14transform_implILb0ES3_S5_PlN6thrust23THRUST_200600_302600_NS10device_ptrIlEENS0_8identityIlEEEE10hipError_tT2_T3_mT4_P12ihipStream_tbEUlT_E_NS1_11comp_targetILNS1_3genE10ELNS1_11target_archE1201ELNS1_3gpuE5ELNS1_3repE0EEENS1_30default_config_static_selectorELNS0_4arch9wavefront6targetE1EEEvT1_
; %bb.0:
	.section	.rodata,"a",@progbits
	.p2align	6, 0x0
	.amdhsa_kernel _ZN7rocprim17ROCPRIM_400000_NS6detail17trampoline_kernelINS0_14default_configENS1_25transform_config_selectorIlLb0EEEZNS1_14transform_implILb0ES3_S5_PlN6thrust23THRUST_200600_302600_NS10device_ptrIlEENS0_8identityIlEEEE10hipError_tT2_T3_mT4_P12ihipStream_tbEUlT_E_NS1_11comp_targetILNS1_3genE10ELNS1_11target_archE1201ELNS1_3gpuE5ELNS1_3repE0EEENS1_30default_config_static_selectorELNS0_4arch9wavefront6targetE1EEEvT1_
		.amdhsa_group_segment_fixed_size 0
		.amdhsa_private_segment_fixed_size 0
		.amdhsa_kernarg_size 40
		.amdhsa_user_sgpr_count 6
		.amdhsa_user_sgpr_private_segment_buffer 1
		.amdhsa_user_sgpr_dispatch_ptr 0
		.amdhsa_user_sgpr_queue_ptr 0
		.amdhsa_user_sgpr_kernarg_segment_ptr 1
		.amdhsa_user_sgpr_dispatch_id 0
		.amdhsa_user_sgpr_flat_scratch_init 0
		.amdhsa_user_sgpr_kernarg_preload_length 0
		.amdhsa_user_sgpr_kernarg_preload_offset 0
		.amdhsa_user_sgpr_private_segment_size 0
		.amdhsa_uses_dynamic_stack 0
		.amdhsa_system_sgpr_private_segment_wavefront_offset 0
		.amdhsa_system_sgpr_workgroup_id_x 1
		.amdhsa_system_sgpr_workgroup_id_y 0
		.amdhsa_system_sgpr_workgroup_id_z 0
		.amdhsa_system_sgpr_workgroup_info 0
		.amdhsa_system_vgpr_workitem_id 0
		.amdhsa_next_free_vgpr 1
		.amdhsa_next_free_sgpr 0
		.amdhsa_accum_offset 4
		.amdhsa_reserve_vcc 0
		.amdhsa_reserve_flat_scratch 0
		.amdhsa_float_round_mode_32 0
		.amdhsa_float_round_mode_16_64 0
		.amdhsa_float_denorm_mode_32 3
		.amdhsa_float_denorm_mode_16_64 3
		.amdhsa_dx10_clamp 1
		.amdhsa_ieee_mode 1
		.amdhsa_fp16_overflow 0
		.amdhsa_tg_split 0
		.amdhsa_exception_fp_ieee_invalid_op 0
		.amdhsa_exception_fp_denorm_src 0
		.amdhsa_exception_fp_ieee_div_zero 0
		.amdhsa_exception_fp_ieee_overflow 0
		.amdhsa_exception_fp_ieee_underflow 0
		.amdhsa_exception_fp_ieee_inexact 0
		.amdhsa_exception_int_div_zero 0
	.end_amdhsa_kernel
	.section	.text._ZN7rocprim17ROCPRIM_400000_NS6detail17trampoline_kernelINS0_14default_configENS1_25transform_config_selectorIlLb0EEEZNS1_14transform_implILb0ES3_S5_PlN6thrust23THRUST_200600_302600_NS10device_ptrIlEENS0_8identityIlEEEE10hipError_tT2_T3_mT4_P12ihipStream_tbEUlT_E_NS1_11comp_targetILNS1_3genE10ELNS1_11target_archE1201ELNS1_3gpuE5ELNS1_3repE0EEENS1_30default_config_static_selectorELNS0_4arch9wavefront6targetE1EEEvT1_,"axG",@progbits,_ZN7rocprim17ROCPRIM_400000_NS6detail17trampoline_kernelINS0_14default_configENS1_25transform_config_selectorIlLb0EEEZNS1_14transform_implILb0ES3_S5_PlN6thrust23THRUST_200600_302600_NS10device_ptrIlEENS0_8identityIlEEEE10hipError_tT2_T3_mT4_P12ihipStream_tbEUlT_E_NS1_11comp_targetILNS1_3genE10ELNS1_11target_archE1201ELNS1_3gpuE5ELNS1_3repE0EEENS1_30default_config_static_selectorELNS0_4arch9wavefront6targetE1EEEvT1_,comdat
.Lfunc_end185:
	.size	_ZN7rocprim17ROCPRIM_400000_NS6detail17trampoline_kernelINS0_14default_configENS1_25transform_config_selectorIlLb0EEEZNS1_14transform_implILb0ES3_S5_PlN6thrust23THRUST_200600_302600_NS10device_ptrIlEENS0_8identityIlEEEE10hipError_tT2_T3_mT4_P12ihipStream_tbEUlT_E_NS1_11comp_targetILNS1_3genE10ELNS1_11target_archE1201ELNS1_3gpuE5ELNS1_3repE0EEENS1_30default_config_static_selectorELNS0_4arch9wavefront6targetE1EEEvT1_, .Lfunc_end185-_ZN7rocprim17ROCPRIM_400000_NS6detail17trampoline_kernelINS0_14default_configENS1_25transform_config_selectorIlLb0EEEZNS1_14transform_implILb0ES3_S5_PlN6thrust23THRUST_200600_302600_NS10device_ptrIlEENS0_8identityIlEEEE10hipError_tT2_T3_mT4_P12ihipStream_tbEUlT_E_NS1_11comp_targetILNS1_3genE10ELNS1_11target_archE1201ELNS1_3gpuE5ELNS1_3repE0EEENS1_30default_config_static_selectorELNS0_4arch9wavefront6targetE1EEEvT1_
                                        ; -- End function
	.section	.AMDGPU.csdata,"",@progbits
; Kernel info:
; codeLenInByte = 0
; NumSgprs: 4
; NumVgprs: 0
; NumAgprs: 0
; TotalNumVgprs: 0
; ScratchSize: 0
; MemoryBound: 0
; FloatMode: 240
; IeeeMode: 1
; LDSByteSize: 0 bytes/workgroup (compile time only)
; SGPRBlocks: 0
; VGPRBlocks: 0
; NumSGPRsForWavesPerEU: 4
; NumVGPRsForWavesPerEU: 1
; AccumOffset: 4
; Occupancy: 8
; WaveLimiterHint : 0
; COMPUTE_PGM_RSRC2:SCRATCH_EN: 0
; COMPUTE_PGM_RSRC2:USER_SGPR: 6
; COMPUTE_PGM_RSRC2:TRAP_HANDLER: 0
; COMPUTE_PGM_RSRC2:TGID_X_EN: 1
; COMPUTE_PGM_RSRC2:TGID_Y_EN: 0
; COMPUTE_PGM_RSRC2:TGID_Z_EN: 0
; COMPUTE_PGM_RSRC2:TIDIG_COMP_CNT: 0
; COMPUTE_PGM_RSRC3_GFX90A:ACCUM_OFFSET: 0
; COMPUTE_PGM_RSRC3_GFX90A:TG_SPLIT: 0
	.section	.text._ZN7rocprim17ROCPRIM_400000_NS6detail17trampoline_kernelINS0_14default_configENS1_25transform_config_selectorIlLb0EEEZNS1_14transform_implILb0ES3_S5_PlN6thrust23THRUST_200600_302600_NS10device_ptrIlEENS0_8identityIlEEEE10hipError_tT2_T3_mT4_P12ihipStream_tbEUlT_E_NS1_11comp_targetILNS1_3genE10ELNS1_11target_archE1200ELNS1_3gpuE4ELNS1_3repE0EEENS1_30default_config_static_selectorELNS0_4arch9wavefront6targetE1EEEvT1_,"axG",@progbits,_ZN7rocprim17ROCPRIM_400000_NS6detail17trampoline_kernelINS0_14default_configENS1_25transform_config_selectorIlLb0EEEZNS1_14transform_implILb0ES3_S5_PlN6thrust23THRUST_200600_302600_NS10device_ptrIlEENS0_8identityIlEEEE10hipError_tT2_T3_mT4_P12ihipStream_tbEUlT_E_NS1_11comp_targetILNS1_3genE10ELNS1_11target_archE1200ELNS1_3gpuE4ELNS1_3repE0EEENS1_30default_config_static_selectorELNS0_4arch9wavefront6targetE1EEEvT1_,comdat
	.protected	_ZN7rocprim17ROCPRIM_400000_NS6detail17trampoline_kernelINS0_14default_configENS1_25transform_config_selectorIlLb0EEEZNS1_14transform_implILb0ES3_S5_PlN6thrust23THRUST_200600_302600_NS10device_ptrIlEENS0_8identityIlEEEE10hipError_tT2_T3_mT4_P12ihipStream_tbEUlT_E_NS1_11comp_targetILNS1_3genE10ELNS1_11target_archE1200ELNS1_3gpuE4ELNS1_3repE0EEENS1_30default_config_static_selectorELNS0_4arch9wavefront6targetE1EEEvT1_ ; -- Begin function _ZN7rocprim17ROCPRIM_400000_NS6detail17trampoline_kernelINS0_14default_configENS1_25transform_config_selectorIlLb0EEEZNS1_14transform_implILb0ES3_S5_PlN6thrust23THRUST_200600_302600_NS10device_ptrIlEENS0_8identityIlEEEE10hipError_tT2_T3_mT4_P12ihipStream_tbEUlT_E_NS1_11comp_targetILNS1_3genE10ELNS1_11target_archE1200ELNS1_3gpuE4ELNS1_3repE0EEENS1_30default_config_static_selectorELNS0_4arch9wavefront6targetE1EEEvT1_
	.globl	_ZN7rocprim17ROCPRIM_400000_NS6detail17trampoline_kernelINS0_14default_configENS1_25transform_config_selectorIlLb0EEEZNS1_14transform_implILb0ES3_S5_PlN6thrust23THRUST_200600_302600_NS10device_ptrIlEENS0_8identityIlEEEE10hipError_tT2_T3_mT4_P12ihipStream_tbEUlT_E_NS1_11comp_targetILNS1_3genE10ELNS1_11target_archE1200ELNS1_3gpuE4ELNS1_3repE0EEENS1_30default_config_static_selectorELNS0_4arch9wavefront6targetE1EEEvT1_
	.p2align	8
	.type	_ZN7rocprim17ROCPRIM_400000_NS6detail17trampoline_kernelINS0_14default_configENS1_25transform_config_selectorIlLb0EEEZNS1_14transform_implILb0ES3_S5_PlN6thrust23THRUST_200600_302600_NS10device_ptrIlEENS0_8identityIlEEEE10hipError_tT2_T3_mT4_P12ihipStream_tbEUlT_E_NS1_11comp_targetILNS1_3genE10ELNS1_11target_archE1200ELNS1_3gpuE4ELNS1_3repE0EEENS1_30default_config_static_selectorELNS0_4arch9wavefront6targetE1EEEvT1_,@function
_ZN7rocprim17ROCPRIM_400000_NS6detail17trampoline_kernelINS0_14default_configENS1_25transform_config_selectorIlLb0EEEZNS1_14transform_implILb0ES3_S5_PlN6thrust23THRUST_200600_302600_NS10device_ptrIlEENS0_8identityIlEEEE10hipError_tT2_T3_mT4_P12ihipStream_tbEUlT_E_NS1_11comp_targetILNS1_3genE10ELNS1_11target_archE1200ELNS1_3gpuE4ELNS1_3repE0EEENS1_30default_config_static_selectorELNS0_4arch9wavefront6targetE1EEEvT1_: ; @_ZN7rocprim17ROCPRIM_400000_NS6detail17trampoline_kernelINS0_14default_configENS1_25transform_config_selectorIlLb0EEEZNS1_14transform_implILb0ES3_S5_PlN6thrust23THRUST_200600_302600_NS10device_ptrIlEENS0_8identityIlEEEE10hipError_tT2_T3_mT4_P12ihipStream_tbEUlT_E_NS1_11comp_targetILNS1_3genE10ELNS1_11target_archE1200ELNS1_3gpuE4ELNS1_3repE0EEENS1_30default_config_static_selectorELNS0_4arch9wavefront6targetE1EEEvT1_
; %bb.0:
	.section	.rodata,"a",@progbits
	.p2align	6, 0x0
	.amdhsa_kernel _ZN7rocprim17ROCPRIM_400000_NS6detail17trampoline_kernelINS0_14default_configENS1_25transform_config_selectorIlLb0EEEZNS1_14transform_implILb0ES3_S5_PlN6thrust23THRUST_200600_302600_NS10device_ptrIlEENS0_8identityIlEEEE10hipError_tT2_T3_mT4_P12ihipStream_tbEUlT_E_NS1_11comp_targetILNS1_3genE10ELNS1_11target_archE1200ELNS1_3gpuE4ELNS1_3repE0EEENS1_30default_config_static_selectorELNS0_4arch9wavefront6targetE1EEEvT1_
		.amdhsa_group_segment_fixed_size 0
		.amdhsa_private_segment_fixed_size 0
		.amdhsa_kernarg_size 40
		.amdhsa_user_sgpr_count 6
		.amdhsa_user_sgpr_private_segment_buffer 1
		.amdhsa_user_sgpr_dispatch_ptr 0
		.amdhsa_user_sgpr_queue_ptr 0
		.amdhsa_user_sgpr_kernarg_segment_ptr 1
		.amdhsa_user_sgpr_dispatch_id 0
		.amdhsa_user_sgpr_flat_scratch_init 0
		.amdhsa_user_sgpr_kernarg_preload_length 0
		.amdhsa_user_sgpr_kernarg_preload_offset 0
		.amdhsa_user_sgpr_private_segment_size 0
		.amdhsa_uses_dynamic_stack 0
		.amdhsa_system_sgpr_private_segment_wavefront_offset 0
		.amdhsa_system_sgpr_workgroup_id_x 1
		.amdhsa_system_sgpr_workgroup_id_y 0
		.amdhsa_system_sgpr_workgroup_id_z 0
		.amdhsa_system_sgpr_workgroup_info 0
		.amdhsa_system_vgpr_workitem_id 0
		.amdhsa_next_free_vgpr 1
		.amdhsa_next_free_sgpr 0
		.amdhsa_accum_offset 4
		.amdhsa_reserve_vcc 0
		.amdhsa_reserve_flat_scratch 0
		.amdhsa_float_round_mode_32 0
		.amdhsa_float_round_mode_16_64 0
		.amdhsa_float_denorm_mode_32 3
		.amdhsa_float_denorm_mode_16_64 3
		.amdhsa_dx10_clamp 1
		.amdhsa_ieee_mode 1
		.amdhsa_fp16_overflow 0
		.amdhsa_tg_split 0
		.amdhsa_exception_fp_ieee_invalid_op 0
		.amdhsa_exception_fp_denorm_src 0
		.amdhsa_exception_fp_ieee_div_zero 0
		.amdhsa_exception_fp_ieee_overflow 0
		.amdhsa_exception_fp_ieee_underflow 0
		.amdhsa_exception_fp_ieee_inexact 0
		.amdhsa_exception_int_div_zero 0
	.end_amdhsa_kernel
	.section	.text._ZN7rocprim17ROCPRIM_400000_NS6detail17trampoline_kernelINS0_14default_configENS1_25transform_config_selectorIlLb0EEEZNS1_14transform_implILb0ES3_S5_PlN6thrust23THRUST_200600_302600_NS10device_ptrIlEENS0_8identityIlEEEE10hipError_tT2_T3_mT4_P12ihipStream_tbEUlT_E_NS1_11comp_targetILNS1_3genE10ELNS1_11target_archE1200ELNS1_3gpuE4ELNS1_3repE0EEENS1_30default_config_static_selectorELNS0_4arch9wavefront6targetE1EEEvT1_,"axG",@progbits,_ZN7rocprim17ROCPRIM_400000_NS6detail17trampoline_kernelINS0_14default_configENS1_25transform_config_selectorIlLb0EEEZNS1_14transform_implILb0ES3_S5_PlN6thrust23THRUST_200600_302600_NS10device_ptrIlEENS0_8identityIlEEEE10hipError_tT2_T3_mT4_P12ihipStream_tbEUlT_E_NS1_11comp_targetILNS1_3genE10ELNS1_11target_archE1200ELNS1_3gpuE4ELNS1_3repE0EEENS1_30default_config_static_selectorELNS0_4arch9wavefront6targetE1EEEvT1_,comdat
.Lfunc_end186:
	.size	_ZN7rocprim17ROCPRIM_400000_NS6detail17trampoline_kernelINS0_14default_configENS1_25transform_config_selectorIlLb0EEEZNS1_14transform_implILb0ES3_S5_PlN6thrust23THRUST_200600_302600_NS10device_ptrIlEENS0_8identityIlEEEE10hipError_tT2_T3_mT4_P12ihipStream_tbEUlT_E_NS1_11comp_targetILNS1_3genE10ELNS1_11target_archE1200ELNS1_3gpuE4ELNS1_3repE0EEENS1_30default_config_static_selectorELNS0_4arch9wavefront6targetE1EEEvT1_, .Lfunc_end186-_ZN7rocprim17ROCPRIM_400000_NS6detail17trampoline_kernelINS0_14default_configENS1_25transform_config_selectorIlLb0EEEZNS1_14transform_implILb0ES3_S5_PlN6thrust23THRUST_200600_302600_NS10device_ptrIlEENS0_8identityIlEEEE10hipError_tT2_T3_mT4_P12ihipStream_tbEUlT_E_NS1_11comp_targetILNS1_3genE10ELNS1_11target_archE1200ELNS1_3gpuE4ELNS1_3repE0EEENS1_30default_config_static_selectorELNS0_4arch9wavefront6targetE1EEEvT1_
                                        ; -- End function
	.section	.AMDGPU.csdata,"",@progbits
; Kernel info:
; codeLenInByte = 0
; NumSgprs: 4
; NumVgprs: 0
; NumAgprs: 0
; TotalNumVgprs: 0
; ScratchSize: 0
; MemoryBound: 0
; FloatMode: 240
; IeeeMode: 1
; LDSByteSize: 0 bytes/workgroup (compile time only)
; SGPRBlocks: 0
; VGPRBlocks: 0
; NumSGPRsForWavesPerEU: 4
; NumVGPRsForWavesPerEU: 1
; AccumOffset: 4
; Occupancy: 8
; WaveLimiterHint : 0
; COMPUTE_PGM_RSRC2:SCRATCH_EN: 0
; COMPUTE_PGM_RSRC2:USER_SGPR: 6
; COMPUTE_PGM_RSRC2:TRAP_HANDLER: 0
; COMPUTE_PGM_RSRC2:TGID_X_EN: 1
; COMPUTE_PGM_RSRC2:TGID_Y_EN: 0
; COMPUTE_PGM_RSRC2:TGID_Z_EN: 0
; COMPUTE_PGM_RSRC2:TIDIG_COMP_CNT: 0
; COMPUTE_PGM_RSRC3_GFX90A:ACCUM_OFFSET: 0
; COMPUTE_PGM_RSRC3_GFX90A:TG_SPLIT: 0
	.section	.text._ZN7rocprim17ROCPRIM_400000_NS6detail17trampoline_kernelINS0_14default_configENS1_25transform_config_selectorIlLb0EEEZNS1_14transform_implILb0ES3_S5_PlN6thrust23THRUST_200600_302600_NS10device_ptrIlEENS0_8identityIlEEEE10hipError_tT2_T3_mT4_P12ihipStream_tbEUlT_E_NS1_11comp_targetILNS1_3genE9ELNS1_11target_archE1100ELNS1_3gpuE3ELNS1_3repE0EEENS1_30default_config_static_selectorELNS0_4arch9wavefront6targetE1EEEvT1_,"axG",@progbits,_ZN7rocprim17ROCPRIM_400000_NS6detail17trampoline_kernelINS0_14default_configENS1_25transform_config_selectorIlLb0EEEZNS1_14transform_implILb0ES3_S5_PlN6thrust23THRUST_200600_302600_NS10device_ptrIlEENS0_8identityIlEEEE10hipError_tT2_T3_mT4_P12ihipStream_tbEUlT_E_NS1_11comp_targetILNS1_3genE9ELNS1_11target_archE1100ELNS1_3gpuE3ELNS1_3repE0EEENS1_30default_config_static_selectorELNS0_4arch9wavefront6targetE1EEEvT1_,comdat
	.protected	_ZN7rocprim17ROCPRIM_400000_NS6detail17trampoline_kernelINS0_14default_configENS1_25transform_config_selectorIlLb0EEEZNS1_14transform_implILb0ES3_S5_PlN6thrust23THRUST_200600_302600_NS10device_ptrIlEENS0_8identityIlEEEE10hipError_tT2_T3_mT4_P12ihipStream_tbEUlT_E_NS1_11comp_targetILNS1_3genE9ELNS1_11target_archE1100ELNS1_3gpuE3ELNS1_3repE0EEENS1_30default_config_static_selectorELNS0_4arch9wavefront6targetE1EEEvT1_ ; -- Begin function _ZN7rocprim17ROCPRIM_400000_NS6detail17trampoline_kernelINS0_14default_configENS1_25transform_config_selectorIlLb0EEEZNS1_14transform_implILb0ES3_S5_PlN6thrust23THRUST_200600_302600_NS10device_ptrIlEENS0_8identityIlEEEE10hipError_tT2_T3_mT4_P12ihipStream_tbEUlT_E_NS1_11comp_targetILNS1_3genE9ELNS1_11target_archE1100ELNS1_3gpuE3ELNS1_3repE0EEENS1_30default_config_static_selectorELNS0_4arch9wavefront6targetE1EEEvT1_
	.globl	_ZN7rocprim17ROCPRIM_400000_NS6detail17trampoline_kernelINS0_14default_configENS1_25transform_config_selectorIlLb0EEEZNS1_14transform_implILb0ES3_S5_PlN6thrust23THRUST_200600_302600_NS10device_ptrIlEENS0_8identityIlEEEE10hipError_tT2_T3_mT4_P12ihipStream_tbEUlT_E_NS1_11comp_targetILNS1_3genE9ELNS1_11target_archE1100ELNS1_3gpuE3ELNS1_3repE0EEENS1_30default_config_static_selectorELNS0_4arch9wavefront6targetE1EEEvT1_
	.p2align	8
	.type	_ZN7rocprim17ROCPRIM_400000_NS6detail17trampoline_kernelINS0_14default_configENS1_25transform_config_selectorIlLb0EEEZNS1_14transform_implILb0ES3_S5_PlN6thrust23THRUST_200600_302600_NS10device_ptrIlEENS0_8identityIlEEEE10hipError_tT2_T3_mT4_P12ihipStream_tbEUlT_E_NS1_11comp_targetILNS1_3genE9ELNS1_11target_archE1100ELNS1_3gpuE3ELNS1_3repE0EEENS1_30default_config_static_selectorELNS0_4arch9wavefront6targetE1EEEvT1_,@function
_ZN7rocprim17ROCPRIM_400000_NS6detail17trampoline_kernelINS0_14default_configENS1_25transform_config_selectorIlLb0EEEZNS1_14transform_implILb0ES3_S5_PlN6thrust23THRUST_200600_302600_NS10device_ptrIlEENS0_8identityIlEEEE10hipError_tT2_T3_mT4_P12ihipStream_tbEUlT_E_NS1_11comp_targetILNS1_3genE9ELNS1_11target_archE1100ELNS1_3gpuE3ELNS1_3repE0EEENS1_30default_config_static_selectorELNS0_4arch9wavefront6targetE1EEEvT1_: ; @_ZN7rocprim17ROCPRIM_400000_NS6detail17trampoline_kernelINS0_14default_configENS1_25transform_config_selectorIlLb0EEEZNS1_14transform_implILb0ES3_S5_PlN6thrust23THRUST_200600_302600_NS10device_ptrIlEENS0_8identityIlEEEE10hipError_tT2_T3_mT4_P12ihipStream_tbEUlT_E_NS1_11comp_targetILNS1_3genE9ELNS1_11target_archE1100ELNS1_3gpuE3ELNS1_3repE0EEENS1_30default_config_static_selectorELNS0_4arch9wavefront6targetE1EEEvT1_
; %bb.0:
	.section	.rodata,"a",@progbits
	.p2align	6, 0x0
	.amdhsa_kernel _ZN7rocprim17ROCPRIM_400000_NS6detail17trampoline_kernelINS0_14default_configENS1_25transform_config_selectorIlLb0EEEZNS1_14transform_implILb0ES3_S5_PlN6thrust23THRUST_200600_302600_NS10device_ptrIlEENS0_8identityIlEEEE10hipError_tT2_T3_mT4_P12ihipStream_tbEUlT_E_NS1_11comp_targetILNS1_3genE9ELNS1_11target_archE1100ELNS1_3gpuE3ELNS1_3repE0EEENS1_30default_config_static_selectorELNS0_4arch9wavefront6targetE1EEEvT1_
		.amdhsa_group_segment_fixed_size 0
		.amdhsa_private_segment_fixed_size 0
		.amdhsa_kernarg_size 40
		.amdhsa_user_sgpr_count 6
		.amdhsa_user_sgpr_private_segment_buffer 1
		.amdhsa_user_sgpr_dispatch_ptr 0
		.amdhsa_user_sgpr_queue_ptr 0
		.amdhsa_user_sgpr_kernarg_segment_ptr 1
		.amdhsa_user_sgpr_dispatch_id 0
		.amdhsa_user_sgpr_flat_scratch_init 0
		.amdhsa_user_sgpr_kernarg_preload_length 0
		.amdhsa_user_sgpr_kernarg_preload_offset 0
		.amdhsa_user_sgpr_private_segment_size 0
		.amdhsa_uses_dynamic_stack 0
		.amdhsa_system_sgpr_private_segment_wavefront_offset 0
		.amdhsa_system_sgpr_workgroup_id_x 1
		.amdhsa_system_sgpr_workgroup_id_y 0
		.amdhsa_system_sgpr_workgroup_id_z 0
		.amdhsa_system_sgpr_workgroup_info 0
		.amdhsa_system_vgpr_workitem_id 0
		.amdhsa_next_free_vgpr 1
		.amdhsa_next_free_sgpr 0
		.amdhsa_accum_offset 4
		.amdhsa_reserve_vcc 0
		.amdhsa_reserve_flat_scratch 0
		.amdhsa_float_round_mode_32 0
		.amdhsa_float_round_mode_16_64 0
		.amdhsa_float_denorm_mode_32 3
		.amdhsa_float_denorm_mode_16_64 3
		.amdhsa_dx10_clamp 1
		.amdhsa_ieee_mode 1
		.amdhsa_fp16_overflow 0
		.amdhsa_tg_split 0
		.amdhsa_exception_fp_ieee_invalid_op 0
		.amdhsa_exception_fp_denorm_src 0
		.amdhsa_exception_fp_ieee_div_zero 0
		.amdhsa_exception_fp_ieee_overflow 0
		.amdhsa_exception_fp_ieee_underflow 0
		.amdhsa_exception_fp_ieee_inexact 0
		.amdhsa_exception_int_div_zero 0
	.end_amdhsa_kernel
	.section	.text._ZN7rocprim17ROCPRIM_400000_NS6detail17trampoline_kernelINS0_14default_configENS1_25transform_config_selectorIlLb0EEEZNS1_14transform_implILb0ES3_S5_PlN6thrust23THRUST_200600_302600_NS10device_ptrIlEENS0_8identityIlEEEE10hipError_tT2_T3_mT4_P12ihipStream_tbEUlT_E_NS1_11comp_targetILNS1_3genE9ELNS1_11target_archE1100ELNS1_3gpuE3ELNS1_3repE0EEENS1_30default_config_static_selectorELNS0_4arch9wavefront6targetE1EEEvT1_,"axG",@progbits,_ZN7rocprim17ROCPRIM_400000_NS6detail17trampoline_kernelINS0_14default_configENS1_25transform_config_selectorIlLb0EEEZNS1_14transform_implILb0ES3_S5_PlN6thrust23THRUST_200600_302600_NS10device_ptrIlEENS0_8identityIlEEEE10hipError_tT2_T3_mT4_P12ihipStream_tbEUlT_E_NS1_11comp_targetILNS1_3genE9ELNS1_11target_archE1100ELNS1_3gpuE3ELNS1_3repE0EEENS1_30default_config_static_selectorELNS0_4arch9wavefront6targetE1EEEvT1_,comdat
.Lfunc_end187:
	.size	_ZN7rocprim17ROCPRIM_400000_NS6detail17trampoline_kernelINS0_14default_configENS1_25transform_config_selectorIlLb0EEEZNS1_14transform_implILb0ES3_S5_PlN6thrust23THRUST_200600_302600_NS10device_ptrIlEENS0_8identityIlEEEE10hipError_tT2_T3_mT4_P12ihipStream_tbEUlT_E_NS1_11comp_targetILNS1_3genE9ELNS1_11target_archE1100ELNS1_3gpuE3ELNS1_3repE0EEENS1_30default_config_static_selectorELNS0_4arch9wavefront6targetE1EEEvT1_, .Lfunc_end187-_ZN7rocprim17ROCPRIM_400000_NS6detail17trampoline_kernelINS0_14default_configENS1_25transform_config_selectorIlLb0EEEZNS1_14transform_implILb0ES3_S5_PlN6thrust23THRUST_200600_302600_NS10device_ptrIlEENS0_8identityIlEEEE10hipError_tT2_T3_mT4_P12ihipStream_tbEUlT_E_NS1_11comp_targetILNS1_3genE9ELNS1_11target_archE1100ELNS1_3gpuE3ELNS1_3repE0EEENS1_30default_config_static_selectorELNS0_4arch9wavefront6targetE1EEEvT1_
                                        ; -- End function
	.section	.AMDGPU.csdata,"",@progbits
; Kernel info:
; codeLenInByte = 0
; NumSgprs: 4
; NumVgprs: 0
; NumAgprs: 0
; TotalNumVgprs: 0
; ScratchSize: 0
; MemoryBound: 0
; FloatMode: 240
; IeeeMode: 1
; LDSByteSize: 0 bytes/workgroup (compile time only)
; SGPRBlocks: 0
; VGPRBlocks: 0
; NumSGPRsForWavesPerEU: 4
; NumVGPRsForWavesPerEU: 1
; AccumOffset: 4
; Occupancy: 8
; WaveLimiterHint : 0
; COMPUTE_PGM_RSRC2:SCRATCH_EN: 0
; COMPUTE_PGM_RSRC2:USER_SGPR: 6
; COMPUTE_PGM_RSRC2:TRAP_HANDLER: 0
; COMPUTE_PGM_RSRC2:TGID_X_EN: 1
; COMPUTE_PGM_RSRC2:TGID_Y_EN: 0
; COMPUTE_PGM_RSRC2:TGID_Z_EN: 0
; COMPUTE_PGM_RSRC2:TIDIG_COMP_CNT: 0
; COMPUTE_PGM_RSRC3_GFX90A:ACCUM_OFFSET: 0
; COMPUTE_PGM_RSRC3_GFX90A:TG_SPLIT: 0
	.section	.text._ZN7rocprim17ROCPRIM_400000_NS6detail17trampoline_kernelINS0_14default_configENS1_25transform_config_selectorIlLb0EEEZNS1_14transform_implILb0ES3_S5_PlN6thrust23THRUST_200600_302600_NS10device_ptrIlEENS0_8identityIlEEEE10hipError_tT2_T3_mT4_P12ihipStream_tbEUlT_E_NS1_11comp_targetILNS1_3genE8ELNS1_11target_archE1030ELNS1_3gpuE2ELNS1_3repE0EEENS1_30default_config_static_selectorELNS0_4arch9wavefront6targetE1EEEvT1_,"axG",@progbits,_ZN7rocprim17ROCPRIM_400000_NS6detail17trampoline_kernelINS0_14default_configENS1_25transform_config_selectorIlLb0EEEZNS1_14transform_implILb0ES3_S5_PlN6thrust23THRUST_200600_302600_NS10device_ptrIlEENS0_8identityIlEEEE10hipError_tT2_T3_mT4_P12ihipStream_tbEUlT_E_NS1_11comp_targetILNS1_3genE8ELNS1_11target_archE1030ELNS1_3gpuE2ELNS1_3repE0EEENS1_30default_config_static_selectorELNS0_4arch9wavefront6targetE1EEEvT1_,comdat
	.protected	_ZN7rocprim17ROCPRIM_400000_NS6detail17trampoline_kernelINS0_14default_configENS1_25transform_config_selectorIlLb0EEEZNS1_14transform_implILb0ES3_S5_PlN6thrust23THRUST_200600_302600_NS10device_ptrIlEENS0_8identityIlEEEE10hipError_tT2_T3_mT4_P12ihipStream_tbEUlT_E_NS1_11comp_targetILNS1_3genE8ELNS1_11target_archE1030ELNS1_3gpuE2ELNS1_3repE0EEENS1_30default_config_static_selectorELNS0_4arch9wavefront6targetE1EEEvT1_ ; -- Begin function _ZN7rocprim17ROCPRIM_400000_NS6detail17trampoline_kernelINS0_14default_configENS1_25transform_config_selectorIlLb0EEEZNS1_14transform_implILb0ES3_S5_PlN6thrust23THRUST_200600_302600_NS10device_ptrIlEENS0_8identityIlEEEE10hipError_tT2_T3_mT4_P12ihipStream_tbEUlT_E_NS1_11comp_targetILNS1_3genE8ELNS1_11target_archE1030ELNS1_3gpuE2ELNS1_3repE0EEENS1_30default_config_static_selectorELNS0_4arch9wavefront6targetE1EEEvT1_
	.globl	_ZN7rocprim17ROCPRIM_400000_NS6detail17trampoline_kernelINS0_14default_configENS1_25transform_config_selectorIlLb0EEEZNS1_14transform_implILb0ES3_S5_PlN6thrust23THRUST_200600_302600_NS10device_ptrIlEENS0_8identityIlEEEE10hipError_tT2_T3_mT4_P12ihipStream_tbEUlT_E_NS1_11comp_targetILNS1_3genE8ELNS1_11target_archE1030ELNS1_3gpuE2ELNS1_3repE0EEENS1_30default_config_static_selectorELNS0_4arch9wavefront6targetE1EEEvT1_
	.p2align	8
	.type	_ZN7rocprim17ROCPRIM_400000_NS6detail17trampoline_kernelINS0_14default_configENS1_25transform_config_selectorIlLb0EEEZNS1_14transform_implILb0ES3_S5_PlN6thrust23THRUST_200600_302600_NS10device_ptrIlEENS0_8identityIlEEEE10hipError_tT2_T3_mT4_P12ihipStream_tbEUlT_E_NS1_11comp_targetILNS1_3genE8ELNS1_11target_archE1030ELNS1_3gpuE2ELNS1_3repE0EEENS1_30default_config_static_selectorELNS0_4arch9wavefront6targetE1EEEvT1_,@function
_ZN7rocprim17ROCPRIM_400000_NS6detail17trampoline_kernelINS0_14default_configENS1_25transform_config_selectorIlLb0EEEZNS1_14transform_implILb0ES3_S5_PlN6thrust23THRUST_200600_302600_NS10device_ptrIlEENS0_8identityIlEEEE10hipError_tT2_T3_mT4_P12ihipStream_tbEUlT_E_NS1_11comp_targetILNS1_3genE8ELNS1_11target_archE1030ELNS1_3gpuE2ELNS1_3repE0EEENS1_30default_config_static_selectorELNS0_4arch9wavefront6targetE1EEEvT1_: ; @_ZN7rocprim17ROCPRIM_400000_NS6detail17trampoline_kernelINS0_14default_configENS1_25transform_config_selectorIlLb0EEEZNS1_14transform_implILb0ES3_S5_PlN6thrust23THRUST_200600_302600_NS10device_ptrIlEENS0_8identityIlEEEE10hipError_tT2_T3_mT4_P12ihipStream_tbEUlT_E_NS1_11comp_targetILNS1_3genE8ELNS1_11target_archE1030ELNS1_3gpuE2ELNS1_3repE0EEENS1_30default_config_static_selectorELNS0_4arch9wavefront6targetE1EEEvT1_
; %bb.0:
	.section	.rodata,"a",@progbits
	.p2align	6, 0x0
	.amdhsa_kernel _ZN7rocprim17ROCPRIM_400000_NS6detail17trampoline_kernelINS0_14default_configENS1_25transform_config_selectorIlLb0EEEZNS1_14transform_implILb0ES3_S5_PlN6thrust23THRUST_200600_302600_NS10device_ptrIlEENS0_8identityIlEEEE10hipError_tT2_T3_mT4_P12ihipStream_tbEUlT_E_NS1_11comp_targetILNS1_3genE8ELNS1_11target_archE1030ELNS1_3gpuE2ELNS1_3repE0EEENS1_30default_config_static_selectorELNS0_4arch9wavefront6targetE1EEEvT1_
		.amdhsa_group_segment_fixed_size 0
		.amdhsa_private_segment_fixed_size 0
		.amdhsa_kernarg_size 40
		.amdhsa_user_sgpr_count 6
		.amdhsa_user_sgpr_private_segment_buffer 1
		.amdhsa_user_sgpr_dispatch_ptr 0
		.amdhsa_user_sgpr_queue_ptr 0
		.amdhsa_user_sgpr_kernarg_segment_ptr 1
		.amdhsa_user_sgpr_dispatch_id 0
		.amdhsa_user_sgpr_flat_scratch_init 0
		.amdhsa_user_sgpr_kernarg_preload_length 0
		.amdhsa_user_sgpr_kernarg_preload_offset 0
		.amdhsa_user_sgpr_private_segment_size 0
		.amdhsa_uses_dynamic_stack 0
		.amdhsa_system_sgpr_private_segment_wavefront_offset 0
		.amdhsa_system_sgpr_workgroup_id_x 1
		.amdhsa_system_sgpr_workgroup_id_y 0
		.amdhsa_system_sgpr_workgroup_id_z 0
		.amdhsa_system_sgpr_workgroup_info 0
		.amdhsa_system_vgpr_workitem_id 0
		.amdhsa_next_free_vgpr 1
		.amdhsa_next_free_sgpr 0
		.amdhsa_accum_offset 4
		.amdhsa_reserve_vcc 0
		.amdhsa_reserve_flat_scratch 0
		.amdhsa_float_round_mode_32 0
		.amdhsa_float_round_mode_16_64 0
		.amdhsa_float_denorm_mode_32 3
		.amdhsa_float_denorm_mode_16_64 3
		.amdhsa_dx10_clamp 1
		.amdhsa_ieee_mode 1
		.amdhsa_fp16_overflow 0
		.amdhsa_tg_split 0
		.amdhsa_exception_fp_ieee_invalid_op 0
		.amdhsa_exception_fp_denorm_src 0
		.amdhsa_exception_fp_ieee_div_zero 0
		.amdhsa_exception_fp_ieee_overflow 0
		.amdhsa_exception_fp_ieee_underflow 0
		.amdhsa_exception_fp_ieee_inexact 0
		.amdhsa_exception_int_div_zero 0
	.end_amdhsa_kernel
	.section	.text._ZN7rocprim17ROCPRIM_400000_NS6detail17trampoline_kernelINS0_14default_configENS1_25transform_config_selectorIlLb0EEEZNS1_14transform_implILb0ES3_S5_PlN6thrust23THRUST_200600_302600_NS10device_ptrIlEENS0_8identityIlEEEE10hipError_tT2_T3_mT4_P12ihipStream_tbEUlT_E_NS1_11comp_targetILNS1_3genE8ELNS1_11target_archE1030ELNS1_3gpuE2ELNS1_3repE0EEENS1_30default_config_static_selectorELNS0_4arch9wavefront6targetE1EEEvT1_,"axG",@progbits,_ZN7rocprim17ROCPRIM_400000_NS6detail17trampoline_kernelINS0_14default_configENS1_25transform_config_selectorIlLb0EEEZNS1_14transform_implILb0ES3_S5_PlN6thrust23THRUST_200600_302600_NS10device_ptrIlEENS0_8identityIlEEEE10hipError_tT2_T3_mT4_P12ihipStream_tbEUlT_E_NS1_11comp_targetILNS1_3genE8ELNS1_11target_archE1030ELNS1_3gpuE2ELNS1_3repE0EEENS1_30default_config_static_selectorELNS0_4arch9wavefront6targetE1EEEvT1_,comdat
.Lfunc_end188:
	.size	_ZN7rocprim17ROCPRIM_400000_NS6detail17trampoline_kernelINS0_14default_configENS1_25transform_config_selectorIlLb0EEEZNS1_14transform_implILb0ES3_S5_PlN6thrust23THRUST_200600_302600_NS10device_ptrIlEENS0_8identityIlEEEE10hipError_tT2_T3_mT4_P12ihipStream_tbEUlT_E_NS1_11comp_targetILNS1_3genE8ELNS1_11target_archE1030ELNS1_3gpuE2ELNS1_3repE0EEENS1_30default_config_static_selectorELNS0_4arch9wavefront6targetE1EEEvT1_, .Lfunc_end188-_ZN7rocprim17ROCPRIM_400000_NS6detail17trampoline_kernelINS0_14default_configENS1_25transform_config_selectorIlLb0EEEZNS1_14transform_implILb0ES3_S5_PlN6thrust23THRUST_200600_302600_NS10device_ptrIlEENS0_8identityIlEEEE10hipError_tT2_T3_mT4_P12ihipStream_tbEUlT_E_NS1_11comp_targetILNS1_3genE8ELNS1_11target_archE1030ELNS1_3gpuE2ELNS1_3repE0EEENS1_30default_config_static_selectorELNS0_4arch9wavefront6targetE1EEEvT1_
                                        ; -- End function
	.section	.AMDGPU.csdata,"",@progbits
; Kernel info:
; codeLenInByte = 0
; NumSgprs: 4
; NumVgprs: 0
; NumAgprs: 0
; TotalNumVgprs: 0
; ScratchSize: 0
; MemoryBound: 0
; FloatMode: 240
; IeeeMode: 1
; LDSByteSize: 0 bytes/workgroup (compile time only)
; SGPRBlocks: 0
; VGPRBlocks: 0
; NumSGPRsForWavesPerEU: 4
; NumVGPRsForWavesPerEU: 1
; AccumOffset: 4
; Occupancy: 8
; WaveLimiterHint : 0
; COMPUTE_PGM_RSRC2:SCRATCH_EN: 0
; COMPUTE_PGM_RSRC2:USER_SGPR: 6
; COMPUTE_PGM_RSRC2:TRAP_HANDLER: 0
; COMPUTE_PGM_RSRC2:TGID_X_EN: 1
; COMPUTE_PGM_RSRC2:TGID_Y_EN: 0
; COMPUTE_PGM_RSRC2:TGID_Z_EN: 0
; COMPUTE_PGM_RSRC2:TIDIG_COMP_CNT: 0
; COMPUTE_PGM_RSRC3_GFX90A:ACCUM_OFFSET: 0
; COMPUTE_PGM_RSRC3_GFX90A:TG_SPLIT: 0
	.section	.text._ZN7rocprim17ROCPRIM_400000_NS6detail17trampoline_kernelINS0_14default_configENS1_38merge_sort_block_merge_config_selectorIhlEEZZNS1_27merge_sort_block_merge_implIS3_PhN6thrust23THRUST_200600_302600_NS10device_ptrIlEEjNS1_19radix_merge_compareILb0ELb1EhNS0_19identity_decomposerEEEEE10hipError_tT0_T1_T2_jT3_P12ihipStream_tbPNSt15iterator_traitsISG_E10value_typeEPNSM_ISH_E10value_typeEPSI_NS1_7vsmem_tEENKUlT_SG_SH_SI_E_clIS7_S7_PlSB_EESF_SV_SG_SH_SI_EUlSV_E_NS1_11comp_targetILNS1_3genE0ELNS1_11target_archE4294967295ELNS1_3gpuE0ELNS1_3repE0EEENS1_48merge_mergepath_partition_config_static_selectorELNS0_4arch9wavefront6targetE1EEEvSH_,"axG",@progbits,_ZN7rocprim17ROCPRIM_400000_NS6detail17trampoline_kernelINS0_14default_configENS1_38merge_sort_block_merge_config_selectorIhlEEZZNS1_27merge_sort_block_merge_implIS3_PhN6thrust23THRUST_200600_302600_NS10device_ptrIlEEjNS1_19radix_merge_compareILb0ELb1EhNS0_19identity_decomposerEEEEE10hipError_tT0_T1_T2_jT3_P12ihipStream_tbPNSt15iterator_traitsISG_E10value_typeEPNSM_ISH_E10value_typeEPSI_NS1_7vsmem_tEENKUlT_SG_SH_SI_E_clIS7_S7_PlSB_EESF_SV_SG_SH_SI_EUlSV_E_NS1_11comp_targetILNS1_3genE0ELNS1_11target_archE4294967295ELNS1_3gpuE0ELNS1_3repE0EEENS1_48merge_mergepath_partition_config_static_selectorELNS0_4arch9wavefront6targetE1EEEvSH_,comdat
	.protected	_ZN7rocprim17ROCPRIM_400000_NS6detail17trampoline_kernelINS0_14default_configENS1_38merge_sort_block_merge_config_selectorIhlEEZZNS1_27merge_sort_block_merge_implIS3_PhN6thrust23THRUST_200600_302600_NS10device_ptrIlEEjNS1_19radix_merge_compareILb0ELb1EhNS0_19identity_decomposerEEEEE10hipError_tT0_T1_T2_jT3_P12ihipStream_tbPNSt15iterator_traitsISG_E10value_typeEPNSM_ISH_E10value_typeEPSI_NS1_7vsmem_tEENKUlT_SG_SH_SI_E_clIS7_S7_PlSB_EESF_SV_SG_SH_SI_EUlSV_E_NS1_11comp_targetILNS1_3genE0ELNS1_11target_archE4294967295ELNS1_3gpuE0ELNS1_3repE0EEENS1_48merge_mergepath_partition_config_static_selectorELNS0_4arch9wavefront6targetE1EEEvSH_ ; -- Begin function _ZN7rocprim17ROCPRIM_400000_NS6detail17trampoline_kernelINS0_14default_configENS1_38merge_sort_block_merge_config_selectorIhlEEZZNS1_27merge_sort_block_merge_implIS3_PhN6thrust23THRUST_200600_302600_NS10device_ptrIlEEjNS1_19radix_merge_compareILb0ELb1EhNS0_19identity_decomposerEEEEE10hipError_tT0_T1_T2_jT3_P12ihipStream_tbPNSt15iterator_traitsISG_E10value_typeEPNSM_ISH_E10value_typeEPSI_NS1_7vsmem_tEENKUlT_SG_SH_SI_E_clIS7_S7_PlSB_EESF_SV_SG_SH_SI_EUlSV_E_NS1_11comp_targetILNS1_3genE0ELNS1_11target_archE4294967295ELNS1_3gpuE0ELNS1_3repE0EEENS1_48merge_mergepath_partition_config_static_selectorELNS0_4arch9wavefront6targetE1EEEvSH_
	.globl	_ZN7rocprim17ROCPRIM_400000_NS6detail17trampoline_kernelINS0_14default_configENS1_38merge_sort_block_merge_config_selectorIhlEEZZNS1_27merge_sort_block_merge_implIS3_PhN6thrust23THRUST_200600_302600_NS10device_ptrIlEEjNS1_19radix_merge_compareILb0ELb1EhNS0_19identity_decomposerEEEEE10hipError_tT0_T1_T2_jT3_P12ihipStream_tbPNSt15iterator_traitsISG_E10value_typeEPNSM_ISH_E10value_typeEPSI_NS1_7vsmem_tEENKUlT_SG_SH_SI_E_clIS7_S7_PlSB_EESF_SV_SG_SH_SI_EUlSV_E_NS1_11comp_targetILNS1_3genE0ELNS1_11target_archE4294967295ELNS1_3gpuE0ELNS1_3repE0EEENS1_48merge_mergepath_partition_config_static_selectorELNS0_4arch9wavefront6targetE1EEEvSH_
	.p2align	8
	.type	_ZN7rocprim17ROCPRIM_400000_NS6detail17trampoline_kernelINS0_14default_configENS1_38merge_sort_block_merge_config_selectorIhlEEZZNS1_27merge_sort_block_merge_implIS3_PhN6thrust23THRUST_200600_302600_NS10device_ptrIlEEjNS1_19radix_merge_compareILb0ELb1EhNS0_19identity_decomposerEEEEE10hipError_tT0_T1_T2_jT3_P12ihipStream_tbPNSt15iterator_traitsISG_E10value_typeEPNSM_ISH_E10value_typeEPSI_NS1_7vsmem_tEENKUlT_SG_SH_SI_E_clIS7_S7_PlSB_EESF_SV_SG_SH_SI_EUlSV_E_NS1_11comp_targetILNS1_3genE0ELNS1_11target_archE4294967295ELNS1_3gpuE0ELNS1_3repE0EEENS1_48merge_mergepath_partition_config_static_selectorELNS0_4arch9wavefront6targetE1EEEvSH_,@function
_ZN7rocprim17ROCPRIM_400000_NS6detail17trampoline_kernelINS0_14default_configENS1_38merge_sort_block_merge_config_selectorIhlEEZZNS1_27merge_sort_block_merge_implIS3_PhN6thrust23THRUST_200600_302600_NS10device_ptrIlEEjNS1_19radix_merge_compareILb0ELb1EhNS0_19identity_decomposerEEEEE10hipError_tT0_T1_T2_jT3_P12ihipStream_tbPNSt15iterator_traitsISG_E10value_typeEPNSM_ISH_E10value_typeEPSI_NS1_7vsmem_tEENKUlT_SG_SH_SI_E_clIS7_S7_PlSB_EESF_SV_SG_SH_SI_EUlSV_E_NS1_11comp_targetILNS1_3genE0ELNS1_11target_archE4294967295ELNS1_3gpuE0ELNS1_3repE0EEENS1_48merge_mergepath_partition_config_static_selectorELNS0_4arch9wavefront6targetE1EEEvSH_: ; @_ZN7rocprim17ROCPRIM_400000_NS6detail17trampoline_kernelINS0_14default_configENS1_38merge_sort_block_merge_config_selectorIhlEEZZNS1_27merge_sort_block_merge_implIS3_PhN6thrust23THRUST_200600_302600_NS10device_ptrIlEEjNS1_19radix_merge_compareILb0ELb1EhNS0_19identity_decomposerEEEEE10hipError_tT0_T1_T2_jT3_P12ihipStream_tbPNSt15iterator_traitsISG_E10value_typeEPNSM_ISH_E10value_typeEPSI_NS1_7vsmem_tEENKUlT_SG_SH_SI_E_clIS7_S7_PlSB_EESF_SV_SG_SH_SI_EUlSV_E_NS1_11comp_targetILNS1_3genE0ELNS1_11target_archE4294967295ELNS1_3gpuE0ELNS1_3repE0EEENS1_48merge_mergepath_partition_config_static_selectorELNS0_4arch9wavefront6targetE1EEEvSH_
; %bb.0:
	.section	.rodata,"a",@progbits
	.p2align	6, 0x0
	.amdhsa_kernel _ZN7rocprim17ROCPRIM_400000_NS6detail17trampoline_kernelINS0_14default_configENS1_38merge_sort_block_merge_config_selectorIhlEEZZNS1_27merge_sort_block_merge_implIS3_PhN6thrust23THRUST_200600_302600_NS10device_ptrIlEEjNS1_19radix_merge_compareILb0ELb1EhNS0_19identity_decomposerEEEEE10hipError_tT0_T1_T2_jT3_P12ihipStream_tbPNSt15iterator_traitsISG_E10value_typeEPNSM_ISH_E10value_typeEPSI_NS1_7vsmem_tEENKUlT_SG_SH_SI_E_clIS7_S7_PlSB_EESF_SV_SG_SH_SI_EUlSV_E_NS1_11comp_targetILNS1_3genE0ELNS1_11target_archE4294967295ELNS1_3gpuE0ELNS1_3repE0EEENS1_48merge_mergepath_partition_config_static_selectorELNS0_4arch9wavefront6targetE1EEEvSH_
		.amdhsa_group_segment_fixed_size 0
		.amdhsa_private_segment_fixed_size 0
		.amdhsa_kernarg_size 40
		.amdhsa_user_sgpr_count 6
		.amdhsa_user_sgpr_private_segment_buffer 1
		.amdhsa_user_sgpr_dispatch_ptr 0
		.amdhsa_user_sgpr_queue_ptr 0
		.amdhsa_user_sgpr_kernarg_segment_ptr 1
		.amdhsa_user_sgpr_dispatch_id 0
		.amdhsa_user_sgpr_flat_scratch_init 0
		.amdhsa_user_sgpr_kernarg_preload_length 0
		.amdhsa_user_sgpr_kernarg_preload_offset 0
		.amdhsa_user_sgpr_private_segment_size 0
		.amdhsa_uses_dynamic_stack 0
		.amdhsa_system_sgpr_private_segment_wavefront_offset 0
		.amdhsa_system_sgpr_workgroup_id_x 1
		.amdhsa_system_sgpr_workgroup_id_y 0
		.amdhsa_system_sgpr_workgroup_id_z 0
		.amdhsa_system_sgpr_workgroup_info 0
		.amdhsa_system_vgpr_workitem_id 0
		.amdhsa_next_free_vgpr 1
		.amdhsa_next_free_sgpr 0
		.amdhsa_accum_offset 4
		.amdhsa_reserve_vcc 0
		.amdhsa_reserve_flat_scratch 0
		.amdhsa_float_round_mode_32 0
		.amdhsa_float_round_mode_16_64 0
		.amdhsa_float_denorm_mode_32 3
		.amdhsa_float_denorm_mode_16_64 3
		.amdhsa_dx10_clamp 1
		.amdhsa_ieee_mode 1
		.amdhsa_fp16_overflow 0
		.amdhsa_tg_split 0
		.amdhsa_exception_fp_ieee_invalid_op 0
		.amdhsa_exception_fp_denorm_src 0
		.amdhsa_exception_fp_ieee_div_zero 0
		.amdhsa_exception_fp_ieee_overflow 0
		.amdhsa_exception_fp_ieee_underflow 0
		.amdhsa_exception_fp_ieee_inexact 0
		.amdhsa_exception_int_div_zero 0
	.end_amdhsa_kernel
	.section	.text._ZN7rocprim17ROCPRIM_400000_NS6detail17trampoline_kernelINS0_14default_configENS1_38merge_sort_block_merge_config_selectorIhlEEZZNS1_27merge_sort_block_merge_implIS3_PhN6thrust23THRUST_200600_302600_NS10device_ptrIlEEjNS1_19radix_merge_compareILb0ELb1EhNS0_19identity_decomposerEEEEE10hipError_tT0_T1_T2_jT3_P12ihipStream_tbPNSt15iterator_traitsISG_E10value_typeEPNSM_ISH_E10value_typeEPSI_NS1_7vsmem_tEENKUlT_SG_SH_SI_E_clIS7_S7_PlSB_EESF_SV_SG_SH_SI_EUlSV_E_NS1_11comp_targetILNS1_3genE0ELNS1_11target_archE4294967295ELNS1_3gpuE0ELNS1_3repE0EEENS1_48merge_mergepath_partition_config_static_selectorELNS0_4arch9wavefront6targetE1EEEvSH_,"axG",@progbits,_ZN7rocprim17ROCPRIM_400000_NS6detail17trampoline_kernelINS0_14default_configENS1_38merge_sort_block_merge_config_selectorIhlEEZZNS1_27merge_sort_block_merge_implIS3_PhN6thrust23THRUST_200600_302600_NS10device_ptrIlEEjNS1_19radix_merge_compareILb0ELb1EhNS0_19identity_decomposerEEEEE10hipError_tT0_T1_T2_jT3_P12ihipStream_tbPNSt15iterator_traitsISG_E10value_typeEPNSM_ISH_E10value_typeEPSI_NS1_7vsmem_tEENKUlT_SG_SH_SI_E_clIS7_S7_PlSB_EESF_SV_SG_SH_SI_EUlSV_E_NS1_11comp_targetILNS1_3genE0ELNS1_11target_archE4294967295ELNS1_3gpuE0ELNS1_3repE0EEENS1_48merge_mergepath_partition_config_static_selectorELNS0_4arch9wavefront6targetE1EEEvSH_,comdat
.Lfunc_end189:
	.size	_ZN7rocprim17ROCPRIM_400000_NS6detail17trampoline_kernelINS0_14default_configENS1_38merge_sort_block_merge_config_selectorIhlEEZZNS1_27merge_sort_block_merge_implIS3_PhN6thrust23THRUST_200600_302600_NS10device_ptrIlEEjNS1_19radix_merge_compareILb0ELb1EhNS0_19identity_decomposerEEEEE10hipError_tT0_T1_T2_jT3_P12ihipStream_tbPNSt15iterator_traitsISG_E10value_typeEPNSM_ISH_E10value_typeEPSI_NS1_7vsmem_tEENKUlT_SG_SH_SI_E_clIS7_S7_PlSB_EESF_SV_SG_SH_SI_EUlSV_E_NS1_11comp_targetILNS1_3genE0ELNS1_11target_archE4294967295ELNS1_3gpuE0ELNS1_3repE0EEENS1_48merge_mergepath_partition_config_static_selectorELNS0_4arch9wavefront6targetE1EEEvSH_, .Lfunc_end189-_ZN7rocprim17ROCPRIM_400000_NS6detail17trampoline_kernelINS0_14default_configENS1_38merge_sort_block_merge_config_selectorIhlEEZZNS1_27merge_sort_block_merge_implIS3_PhN6thrust23THRUST_200600_302600_NS10device_ptrIlEEjNS1_19radix_merge_compareILb0ELb1EhNS0_19identity_decomposerEEEEE10hipError_tT0_T1_T2_jT3_P12ihipStream_tbPNSt15iterator_traitsISG_E10value_typeEPNSM_ISH_E10value_typeEPSI_NS1_7vsmem_tEENKUlT_SG_SH_SI_E_clIS7_S7_PlSB_EESF_SV_SG_SH_SI_EUlSV_E_NS1_11comp_targetILNS1_3genE0ELNS1_11target_archE4294967295ELNS1_3gpuE0ELNS1_3repE0EEENS1_48merge_mergepath_partition_config_static_selectorELNS0_4arch9wavefront6targetE1EEEvSH_
                                        ; -- End function
	.section	.AMDGPU.csdata,"",@progbits
; Kernel info:
; codeLenInByte = 0
; NumSgprs: 4
; NumVgprs: 0
; NumAgprs: 0
; TotalNumVgprs: 0
; ScratchSize: 0
; MemoryBound: 0
; FloatMode: 240
; IeeeMode: 1
; LDSByteSize: 0 bytes/workgroup (compile time only)
; SGPRBlocks: 0
; VGPRBlocks: 0
; NumSGPRsForWavesPerEU: 4
; NumVGPRsForWavesPerEU: 1
; AccumOffset: 4
; Occupancy: 8
; WaveLimiterHint : 0
; COMPUTE_PGM_RSRC2:SCRATCH_EN: 0
; COMPUTE_PGM_RSRC2:USER_SGPR: 6
; COMPUTE_PGM_RSRC2:TRAP_HANDLER: 0
; COMPUTE_PGM_RSRC2:TGID_X_EN: 1
; COMPUTE_PGM_RSRC2:TGID_Y_EN: 0
; COMPUTE_PGM_RSRC2:TGID_Z_EN: 0
; COMPUTE_PGM_RSRC2:TIDIG_COMP_CNT: 0
; COMPUTE_PGM_RSRC3_GFX90A:ACCUM_OFFSET: 0
; COMPUTE_PGM_RSRC3_GFX90A:TG_SPLIT: 0
	.section	.text._ZN7rocprim17ROCPRIM_400000_NS6detail17trampoline_kernelINS0_14default_configENS1_38merge_sort_block_merge_config_selectorIhlEEZZNS1_27merge_sort_block_merge_implIS3_PhN6thrust23THRUST_200600_302600_NS10device_ptrIlEEjNS1_19radix_merge_compareILb0ELb1EhNS0_19identity_decomposerEEEEE10hipError_tT0_T1_T2_jT3_P12ihipStream_tbPNSt15iterator_traitsISG_E10value_typeEPNSM_ISH_E10value_typeEPSI_NS1_7vsmem_tEENKUlT_SG_SH_SI_E_clIS7_S7_PlSB_EESF_SV_SG_SH_SI_EUlSV_E_NS1_11comp_targetILNS1_3genE10ELNS1_11target_archE1201ELNS1_3gpuE5ELNS1_3repE0EEENS1_48merge_mergepath_partition_config_static_selectorELNS0_4arch9wavefront6targetE1EEEvSH_,"axG",@progbits,_ZN7rocprim17ROCPRIM_400000_NS6detail17trampoline_kernelINS0_14default_configENS1_38merge_sort_block_merge_config_selectorIhlEEZZNS1_27merge_sort_block_merge_implIS3_PhN6thrust23THRUST_200600_302600_NS10device_ptrIlEEjNS1_19radix_merge_compareILb0ELb1EhNS0_19identity_decomposerEEEEE10hipError_tT0_T1_T2_jT3_P12ihipStream_tbPNSt15iterator_traitsISG_E10value_typeEPNSM_ISH_E10value_typeEPSI_NS1_7vsmem_tEENKUlT_SG_SH_SI_E_clIS7_S7_PlSB_EESF_SV_SG_SH_SI_EUlSV_E_NS1_11comp_targetILNS1_3genE10ELNS1_11target_archE1201ELNS1_3gpuE5ELNS1_3repE0EEENS1_48merge_mergepath_partition_config_static_selectorELNS0_4arch9wavefront6targetE1EEEvSH_,comdat
	.protected	_ZN7rocprim17ROCPRIM_400000_NS6detail17trampoline_kernelINS0_14default_configENS1_38merge_sort_block_merge_config_selectorIhlEEZZNS1_27merge_sort_block_merge_implIS3_PhN6thrust23THRUST_200600_302600_NS10device_ptrIlEEjNS1_19radix_merge_compareILb0ELb1EhNS0_19identity_decomposerEEEEE10hipError_tT0_T1_T2_jT3_P12ihipStream_tbPNSt15iterator_traitsISG_E10value_typeEPNSM_ISH_E10value_typeEPSI_NS1_7vsmem_tEENKUlT_SG_SH_SI_E_clIS7_S7_PlSB_EESF_SV_SG_SH_SI_EUlSV_E_NS1_11comp_targetILNS1_3genE10ELNS1_11target_archE1201ELNS1_3gpuE5ELNS1_3repE0EEENS1_48merge_mergepath_partition_config_static_selectorELNS0_4arch9wavefront6targetE1EEEvSH_ ; -- Begin function _ZN7rocprim17ROCPRIM_400000_NS6detail17trampoline_kernelINS0_14default_configENS1_38merge_sort_block_merge_config_selectorIhlEEZZNS1_27merge_sort_block_merge_implIS3_PhN6thrust23THRUST_200600_302600_NS10device_ptrIlEEjNS1_19radix_merge_compareILb0ELb1EhNS0_19identity_decomposerEEEEE10hipError_tT0_T1_T2_jT3_P12ihipStream_tbPNSt15iterator_traitsISG_E10value_typeEPNSM_ISH_E10value_typeEPSI_NS1_7vsmem_tEENKUlT_SG_SH_SI_E_clIS7_S7_PlSB_EESF_SV_SG_SH_SI_EUlSV_E_NS1_11comp_targetILNS1_3genE10ELNS1_11target_archE1201ELNS1_3gpuE5ELNS1_3repE0EEENS1_48merge_mergepath_partition_config_static_selectorELNS0_4arch9wavefront6targetE1EEEvSH_
	.globl	_ZN7rocprim17ROCPRIM_400000_NS6detail17trampoline_kernelINS0_14default_configENS1_38merge_sort_block_merge_config_selectorIhlEEZZNS1_27merge_sort_block_merge_implIS3_PhN6thrust23THRUST_200600_302600_NS10device_ptrIlEEjNS1_19radix_merge_compareILb0ELb1EhNS0_19identity_decomposerEEEEE10hipError_tT0_T1_T2_jT3_P12ihipStream_tbPNSt15iterator_traitsISG_E10value_typeEPNSM_ISH_E10value_typeEPSI_NS1_7vsmem_tEENKUlT_SG_SH_SI_E_clIS7_S7_PlSB_EESF_SV_SG_SH_SI_EUlSV_E_NS1_11comp_targetILNS1_3genE10ELNS1_11target_archE1201ELNS1_3gpuE5ELNS1_3repE0EEENS1_48merge_mergepath_partition_config_static_selectorELNS0_4arch9wavefront6targetE1EEEvSH_
	.p2align	8
	.type	_ZN7rocprim17ROCPRIM_400000_NS6detail17trampoline_kernelINS0_14default_configENS1_38merge_sort_block_merge_config_selectorIhlEEZZNS1_27merge_sort_block_merge_implIS3_PhN6thrust23THRUST_200600_302600_NS10device_ptrIlEEjNS1_19radix_merge_compareILb0ELb1EhNS0_19identity_decomposerEEEEE10hipError_tT0_T1_T2_jT3_P12ihipStream_tbPNSt15iterator_traitsISG_E10value_typeEPNSM_ISH_E10value_typeEPSI_NS1_7vsmem_tEENKUlT_SG_SH_SI_E_clIS7_S7_PlSB_EESF_SV_SG_SH_SI_EUlSV_E_NS1_11comp_targetILNS1_3genE10ELNS1_11target_archE1201ELNS1_3gpuE5ELNS1_3repE0EEENS1_48merge_mergepath_partition_config_static_selectorELNS0_4arch9wavefront6targetE1EEEvSH_,@function
_ZN7rocprim17ROCPRIM_400000_NS6detail17trampoline_kernelINS0_14default_configENS1_38merge_sort_block_merge_config_selectorIhlEEZZNS1_27merge_sort_block_merge_implIS3_PhN6thrust23THRUST_200600_302600_NS10device_ptrIlEEjNS1_19radix_merge_compareILb0ELb1EhNS0_19identity_decomposerEEEEE10hipError_tT0_T1_T2_jT3_P12ihipStream_tbPNSt15iterator_traitsISG_E10value_typeEPNSM_ISH_E10value_typeEPSI_NS1_7vsmem_tEENKUlT_SG_SH_SI_E_clIS7_S7_PlSB_EESF_SV_SG_SH_SI_EUlSV_E_NS1_11comp_targetILNS1_3genE10ELNS1_11target_archE1201ELNS1_3gpuE5ELNS1_3repE0EEENS1_48merge_mergepath_partition_config_static_selectorELNS0_4arch9wavefront6targetE1EEEvSH_: ; @_ZN7rocprim17ROCPRIM_400000_NS6detail17trampoline_kernelINS0_14default_configENS1_38merge_sort_block_merge_config_selectorIhlEEZZNS1_27merge_sort_block_merge_implIS3_PhN6thrust23THRUST_200600_302600_NS10device_ptrIlEEjNS1_19radix_merge_compareILb0ELb1EhNS0_19identity_decomposerEEEEE10hipError_tT0_T1_T2_jT3_P12ihipStream_tbPNSt15iterator_traitsISG_E10value_typeEPNSM_ISH_E10value_typeEPSI_NS1_7vsmem_tEENKUlT_SG_SH_SI_E_clIS7_S7_PlSB_EESF_SV_SG_SH_SI_EUlSV_E_NS1_11comp_targetILNS1_3genE10ELNS1_11target_archE1201ELNS1_3gpuE5ELNS1_3repE0EEENS1_48merge_mergepath_partition_config_static_selectorELNS0_4arch9wavefront6targetE1EEEvSH_
; %bb.0:
	.section	.rodata,"a",@progbits
	.p2align	6, 0x0
	.amdhsa_kernel _ZN7rocprim17ROCPRIM_400000_NS6detail17trampoline_kernelINS0_14default_configENS1_38merge_sort_block_merge_config_selectorIhlEEZZNS1_27merge_sort_block_merge_implIS3_PhN6thrust23THRUST_200600_302600_NS10device_ptrIlEEjNS1_19radix_merge_compareILb0ELb1EhNS0_19identity_decomposerEEEEE10hipError_tT0_T1_T2_jT3_P12ihipStream_tbPNSt15iterator_traitsISG_E10value_typeEPNSM_ISH_E10value_typeEPSI_NS1_7vsmem_tEENKUlT_SG_SH_SI_E_clIS7_S7_PlSB_EESF_SV_SG_SH_SI_EUlSV_E_NS1_11comp_targetILNS1_3genE10ELNS1_11target_archE1201ELNS1_3gpuE5ELNS1_3repE0EEENS1_48merge_mergepath_partition_config_static_selectorELNS0_4arch9wavefront6targetE1EEEvSH_
		.amdhsa_group_segment_fixed_size 0
		.amdhsa_private_segment_fixed_size 0
		.amdhsa_kernarg_size 40
		.amdhsa_user_sgpr_count 6
		.amdhsa_user_sgpr_private_segment_buffer 1
		.amdhsa_user_sgpr_dispatch_ptr 0
		.amdhsa_user_sgpr_queue_ptr 0
		.amdhsa_user_sgpr_kernarg_segment_ptr 1
		.amdhsa_user_sgpr_dispatch_id 0
		.amdhsa_user_sgpr_flat_scratch_init 0
		.amdhsa_user_sgpr_kernarg_preload_length 0
		.amdhsa_user_sgpr_kernarg_preload_offset 0
		.amdhsa_user_sgpr_private_segment_size 0
		.amdhsa_uses_dynamic_stack 0
		.amdhsa_system_sgpr_private_segment_wavefront_offset 0
		.amdhsa_system_sgpr_workgroup_id_x 1
		.amdhsa_system_sgpr_workgroup_id_y 0
		.amdhsa_system_sgpr_workgroup_id_z 0
		.amdhsa_system_sgpr_workgroup_info 0
		.amdhsa_system_vgpr_workitem_id 0
		.amdhsa_next_free_vgpr 1
		.amdhsa_next_free_sgpr 0
		.amdhsa_accum_offset 4
		.amdhsa_reserve_vcc 0
		.amdhsa_reserve_flat_scratch 0
		.amdhsa_float_round_mode_32 0
		.amdhsa_float_round_mode_16_64 0
		.amdhsa_float_denorm_mode_32 3
		.amdhsa_float_denorm_mode_16_64 3
		.amdhsa_dx10_clamp 1
		.amdhsa_ieee_mode 1
		.amdhsa_fp16_overflow 0
		.amdhsa_tg_split 0
		.amdhsa_exception_fp_ieee_invalid_op 0
		.amdhsa_exception_fp_denorm_src 0
		.amdhsa_exception_fp_ieee_div_zero 0
		.amdhsa_exception_fp_ieee_overflow 0
		.amdhsa_exception_fp_ieee_underflow 0
		.amdhsa_exception_fp_ieee_inexact 0
		.amdhsa_exception_int_div_zero 0
	.end_amdhsa_kernel
	.section	.text._ZN7rocprim17ROCPRIM_400000_NS6detail17trampoline_kernelINS0_14default_configENS1_38merge_sort_block_merge_config_selectorIhlEEZZNS1_27merge_sort_block_merge_implIS3_PhN6thrust23THRUST_200600_302600_NS10device_ptrIlEEjNS1_19radix_merge_compareILb0ELb1EhNS0_19identity_decomposerEEEEE10hipError_tT0_T1_T2_jT3_P12ihipStream_tbPNSt15iterator_traitsISG_E10value_typeEPNSM_ISH_E10value_typeEPSI_NS1_7vsmem_tEENKUlT_SG_SH_SI_E_clIS7_S7_PlSB_EESF_SV_SG_SH_SI_EUlSV_E_NS1_11comp_targetILNS1_3genE10ELNS1_11target_archE1201ELNS1_3gpuE5ELNS1_3repE0EEENS1_48merge_mergepath_partition_config_static_selectorELNS0_4arch9wavefront6targetE1EEEvSH_,"axG",@progbits,_ZN7rocprim17ROCPRIM_400000_NS6detail17trampoline_kernelINS0_14default_configENS1_38merge_sort_block_merge_config_selectorIhlEEZZNS1_27merge_sort_block_merge_implIS3_PhN6thrust23THRUST_200600_302600_NS10device_ptrIlEEjNS1_19radix_merge_compareILb0ELb1EhNS0_19identity_decomposerEEEEE10hipError_tT0_T1_T2_jT3_P12ihipStream_tbPNSt15iterator_traitsISG_E10value_typeEPNSM_ISH_E10value_typeEPSI_NS1_7vsmem_tEENKUlT_SG_SH_SI_E_clIS7_S7_PlSB_EESF_SV_SG_SH_SI_EUlSV_E_NS1_11comp_targetILNS1_3genE10ELNS1_11target_archE1201ELNS1_3gpuE5ELNS1_3repE0EEENS1_48merge_mergepath_partition_config_static_selectorELNS0_4arch9wavefront6targetE1EEEvSH_,comdat
.Lfunc_end190:
	.size	_ZN7rocprim17ROCPRIM_400000_NS6detail17trampoline_kernelINS0_14default_configENS1_38merge_sort_block_merge_config_selectorIhlEEZZNS1_27merge_sort_block_merge_implIS3_PhN6thrust23THRUST_200600_302600_NS10device_ptrIlEEjNS1_19radix_merge_compareILb0ELb1EhNS0_19identity_decomposerEEEEE10hipError_tT0_T1_T2_jT3_P12ihipStream_tbPNSt15iterator_traitsISG_E10value_typeEPNSM_ISH_E10value_typeEPSI_NS1_7vsmem_tEENKUlT_SG_SH_SI_E_clIS7_S7_PlSB_EESF_SV_SG_SH_SI_EUlSV_E_NS1_11comp_targetILNS1_3genE10ELNS1_11target_archE1201ELNS1_3gpuE5ELNS1_3repE0EEENS1_48merge_mergepath_partition_config_static_selectorELNS0_4arch9wavefront6targetE1EEEvSH_, .Lfunc_end190-_ZN7rocprim17ROCPRIM_400000_NS6detail17trampoline_kernelINS0_14default_configENS1_38merge_sort_block_merge_config_selectorIhlEEZZNS1_27merge_sort_block_merge_implIS3_PhN6thrust23THRUST_200600_302600_NS10device_ptrIlEEjNS1_19radix_merge_compareILb0ELb1EhNS0_19identity_decomposerEEEEE10hipError_tT0_T1_T2_jT3_P12ihipStream_tbPNSt15iterator_traitsISG_E10value_typeEPNSM_ISH_E10value_typeEPSI_NS1_7vsmem_tEENKUlT_SG_SH_SI_E_clIS7_S7_PlSB_EESF_SV_SG_SH_SI_EUlSV_E_NS1_11comp_targetILNS1_3genE10ELNS1_11target_archE1201ELNS1_3gpuE5ELNS1_3repE0EEENS1_48merge_mergepath_partition_config_static_selectorELNS0_4arch9wavefront6targetE1EEEvSH_
                                        ; -- End function
	.section	.AMDGPU.csdata,"",@progbits
; Kernel info:
; codeLenInByte = 0
; NumSgprs: 4
; NumVgprs: 0
; NumAgprs: 0
; TotalNumVgprs: 0
; ScratchSize: 0
; MemoryBound: 0
; FloatMode: 240
; IeeeMode: 1
; LDSByteSize: 0 bytes/workgroup (compile time only)
; SGPRBlocks: 0
; VGPRBlocks: 0
; NumSGPRsForWavesPerEU: 4
; NumVGPRsForWavesPerEU: 1
; AccumOffset: 4
; Occupancy: 8
; WaveLimiterHint : 0
; COMPUTE_PGM_RSRC2:SCRATCH_EN: 0
; COMPUTE_PGM_RSRC2:USER_SGPR: 6
; COMPUTE_PGM_RSRC2:TRAP_HANDLER: 0
; COMPUTE_PGM_RSRC2:TGID_X_EN: 1
; COMPUTE_PGM_RSRC2:TGID_Y_EN: 0
; COMPUTE_PGM_RSRC2:TGID_Z_EN: 0
; COMPUTE_PGM_RSRC2:TIDIG_COMP_CNT: 0
; COMPUTE_PGM_RSRC3_GFX90A:ACCUM_OFFSET: 0
; COMPUTE_PGM_RSRC3_GFX90A:TG_SPLIT: 0
	.section	.text._ZN7rocprim17ROCPRIM_400000_NS6detail17trampoline_kernelINS0_14default_configENS1_38merge_sort_block_merge_config_selectorIhlEEZZNS1_27merge_sort_block_merge_implIS3_PhN6thrust23THRUST_200600_302600_NS10device_ptrIlEEjNS1_19radix_merge_compareILb0ELb1EhNS0_19identity_decomposerEEEEE10hipError_tT0_T1_T2_jT3_P12ihipStream_tbPNSt15iterator_traitsISG_E10value_typeEPNSM_ISH_E10value_typeEPSI_NS1_7vsmem_tEENKUlT_SG_SH_SI_E_clIS7_S7_PlSB_EESF_SV_SG_SH_SI_EUlSV_E_NS1_11comp_targetILNS1_3genE5ELNS1_11target_archE942ELNS1_3gpuE9ELNS1_3repE0EEENS1_48merge_mergepath_partition_config_static_selectorELNS0_4arch9wavefront6targetE1EEEvSH_,"axG",@progbits,_ZN7rocprim17ROCPRIM_400000_NS6detail17trampoline_kernelINS0_14default_configENS1_38merge_sort_block_merge_config_selectorIhlEEZZNS1_27merge_sort_block_merge_implIS3_PhN6thrust23THRUST_200600_302600_NS10device_ptrIlEEjNS1_19radix_merge_compareILb0ELb1EhNS0_19identity_decomposerEEEEE10hipError_tT0_T1_T2_jT3_P12ihipStream_tbPNSt15iterator_traitsISG_E10value_typeEPNSM_ISH_E10value_typeEPSI_NS1_7vsmem_tEENKUlT_SG_SH_SI_E_clIS7_S7_PlSB_EESF_SV_SG_SH_SI_EUlSV_E_NS1_11comp_targetILNS1_3genE5ELNS1_11target_archE942ELNS1_3gpuE9ELNS1_3repE0EEENS1_48merge_mergepath_partition_config_static_selectorELNS0_4arch9wavefront6targetE1EEEvSH_,comdat
	.protected	_ZN7rocprim17ROCPRIM_400000_NS6detail17trampoline_kernelINS0_14default_configENS1_38merge_sort_block_merge_config_selectorIhlEEZZNS1_27merge_sort_block_merge_implIS3_PhN6thrust23THRUST_200600_302600_NS10device_ptrIlEEjNS1_19radix_merge_compareILb0ELb1EhNS0_19identity_decomposerEEEEE10hipError_tT0_T1_T2_jT3_P12ihipStream_tbPNSt15iterator_traitsISG_E10value_typeEPNSM_ISH_E10value_typeEPSI_NS1_7vsmem_tEENKUlT_SG_SH_SI_E_clIS7_S7_PlSB_EESF_SV_SG_SH_SI_EUlSV_E_NS1_11comp_targetILNS1_3genE5ELNS1_11target_archE942ELNS1_3gpuE9ELNS1_3repE0EEENS1_48merge_mergepath_partition_config_static_selectorELNS0_4arch9wavefront6targetE1EEEvSH_ ; -- Begin function _ZN7rocprim17ROCPRIM_400000_NS6detail17trampoline_kernelINS0_14default_configENS1_38merge_sort_block_merge_config_selectorIhlEEZZNS1_27merge_sort_block_merge_implIS3_PhN6thrust23THRUST_200600_302600_NS10device_ptrIlEEjNS1_19radix_merge_compareILb0ELb1EhNS0_19identity_decomposerEEEEE10hipError_tT0_T1_T2_jT3_P12ihipStream_tbPNSt15iterator_traitsISG_E10value_typeEPNSM_ISH_E10value_typeEPSI_NS1_7vsmem_tEENKUlT_SG_SH_SI_E_clIS7_S7_PlSB_EESF_SV_SG_SH_SI_EUlSV_E_NS1_11comp_targetILNS1_3genE5ELNS1_11target_archE942ELNS1_3gpuE9ELNS1_3repE0EEENS1_48merge_mergepath_partition_config_static_selectorELNS0_4arch9wavefront6targetE1EEEvSH_
	.globl	_ZN7rocprim17ROCPRIM_400000_NS6detail17trampoline_kernelINS0_14default_configENS1_38merge_sort_block_merge_config_selectorIhlEEZZNS1_27merge_sort_block_merge_implIS3_PhN6thrust23THRUST_200600_302600_NS10device_ptrIlEEjNS1_19radix_merge_compareILb0ELb1EhNS0_19identity_decomposerEEEEE10hipError_tT0_T1_T2_jT3_P12ihipStream_tbPNSt15iterator_traitsISG_E10value_typeEPNSM_ISH_E10value_typeEPSI_NS1_7vsmem_tEENKUlT_SG_SH_SI_E_clIS7_S7_PlSB_EESF_SV_SG_SH_SI_EUlSV_E_NS1_11comp_targetILNS1_3genE5ELNS1_11target_archE942ELNS1_3gpuE9ELNS1_3repE0EEENS1_48merge_mergepath_partition_config_static_selectorELNS0_4arch9wavefront6targetE1EEEvSH_
	.p2align	8
	.type	_ZN7rocprim17ROCPRIM_400000_NS6detail17trampoline_kernelINS0_14default_configENS1_38merge_sort_block_merge_config_selectorIhlEEZZNS1_27merge_sort_block_merge_implIS3_PhN6thrust23THRUST_200600_302600_NS10device_ptrIlEEjNS1_19radix_merge_compareILb0ELb1EhNS0_19identity_decomposerEEEEE10hipError_tT0_T1_T2_jT3_P12ihipStream_tbPNSt15iterator_traitsISG_E10value_typeEPNSM_ISH_E10value_typeEPSI_NS1_7vsmem_tEENKUlT_SG_SH_SI_E_clIS7_S7_PlSB_EESF_SV_SG_SH_SI_EUlSV_E_NS1_11comp_targetILNS1_3genE5ELNS1_11target_archE942ELNS1_3gpuE9ELNS1_3repE0EEENS1_48merge_mergepath_partition_config_static_selectorELNS0_4arch9wavefront6targetE1EEEvSH_,@function
_ZN7rocprim17ROCPRIM_400000_NS6detail17trampoline_kernelINS0_14default_configENS1_38merge_sort_block_merge_config_selectorIhlEEZZNS1_27merge_sort_block_merge_implIS3_PhN6thrust23THRUST_200600_302600_NS10device_ptrIlEEjNS1_19radix_merge_compareILb0ELb1EhNS0_19identity_decomposerEEEEE10hipError_tT0_T1_T2_jT3_P12ihipStream_tbPNSt15iterator_traitsISG_E10value_typeEPNSM_ISH_E10value_typeEPSI_NS1_7vsmem_tEENKUlT_SG_SH_SI_E_clIS7_S7_PlSB_EESF_SV_SG_SH_SI_EUlSV_E_NS1_11comp_targetILNS1_3genE5ELNS1_11target_archE942ELNS1_3gpuE9ELNS1_3repE0EEENS1_48merge_mergepath_partition_config_static_selectorELNS0_4arch9wavefront6targetE1EEEvSH_: ; @_ZN7rocprim17ROCPRIM_400000_NS6detail17trampoline_kernelINS0_14default_configENS1_38merge_sort_block_merge_config_selectorIhlEEZZNS1_27merge_sort_block_merge_implIS3_PhN6thrust23THRUST_200600_302600_NS10device_ptrIlEEjNS1_19radix_merge_compareILb0ELb1EhNS0_19identity_decomposerEEEEE10hipError_tT0_T1_T2_jT3_P12ihipStream_tbPNSt15iterator_traitsISG_E10value_typeEPNSM_ISH_E10value_typeEPSI_NS1_7vsmem_tEENKUlT_SG_SH_SI_E_clIS7_S7_PlSB_EESF_SV_SG_SH_SI_EUlSV_E_NS1_11comp_targetILNS1_3genE5ELNS1_11target_archE942ELNS1_3gpuE9ELNS1_3repE0EEENS1_48merge_mergepath_partition_config_static_selectorELNS0_4arch9wavefront6targetE1EEEvSH_
; %bb.0:
	.section	.rodata,"a",@progbits
	.p2align	6, 0x0
	.amdhsa_kernel _ZN7rocprim17ROCPRIM_400000_NS6detail17trampoline_kernelINS0_14default_configENS1_38merge_sort_block_merge_config_selectorIhlEEZZNS1_27merge_sort_block_merge_implIS3_PhN6thrust23THRUST_200600_302600_NS10device_ptrIlEEjNS1_19radix_merge_compareILb0ELb1EhNS0_19identity_decomposerEEEEE10hipError_tT0_T1_T2_jT3_P12ihipStream_tbPNSt15iterator_traitsISG_E10value_typeEPNSM_ISH_E10value_typeEPSI_NS1_7vsmem_tEENKUlT_SG_SH_SI_E_clIS7_S7_PlSB_EESF_SV_SG_SH_SI_EUlSV_E_NS1_11comp_targetILNS1_3genE5ELNS1_11target_archE942ELNS1_3gpuE9ELNS1_3repE0EEENS1_48merge_mergepath_partition_config_static_selectorELNS0_4arch9wavefront6targetE1EEEvSH_
		.amdhsa_group_segment_fixed_size 0
		.amdhsa_private_segment_fixed_size 0
		.amdhsa_kernarg_size 40
		.amdhsa_user_sgpr_count 6
		.amdhsa_user_sgpr_private_segment_buffer 1
		.amdhsa_user_sgpr_dispatch_ptr 0
		.amdhsa_user_sgpr_queue_ptr 0
		.amdhsa_user_sgpr_kernarg_segment_ptr 1
		.amdhsa_user_sgpr_dispatch_id 0
		.amdhsa_user_sgpr_flat_scratch_init 0
		.amdhsa_user_sgpr_kernarg_preload_length 0
		.amdhsa_user_sgpr_kernarg_preload_offset 0
		.amdhsa_user_sgpr_private_segment_size 0
		.amdhsa_uses_dynamic_stack 0
		.amdhsa_system_sgpr_private_segment_wavefront_offset 0
		.amdhsa_system_sgpr_workgroup_id_x 1
		.amdhsa_system_sgpr_workgroup_id_y 0
		.amdhsa_system_sgpr_workgroup_id_z 0
		.amdhsa_system_sgpr_workgroup_info 0
		.amdhsa_system_vgpr_workitem_id 0
		.amdhsa_next_free_vgpr 1
		.amdhsa_next_free_sgpr 0
		.amdhsa_accum_offset 4
		.amdhsa_reserve_vcc 0
		.amdhsa_reserve_flat_scratch 0
		.amdhsa_float_round_mode_32 0
		.amdhsa_float_round_mode_16_64 0
		.amdhsa_float_denorm_mode_32 3
		.amdhsa_float_denorm_mode_16_64 3
		.amdhsa_dx10_clamp 1
		.amdhsa_ieee_mode 1
		.amdhsa_fp16_overflow 0
		.amdhsa_tg_split 0
		.amdhsa_exception_fp_ieee_invalid_op 0
		.amdhsa_exception_fp_denorm_src 0
		.amdhsa_exception_fp_ieee_div_zero 0
		.amdhsa_exception_fp_ieee_overflow 0
		.amdhsa_exception_fp_ieee_underflow 0
		.amdhsa_exception_fp_ieee_inexact 0
		.amdhsa_exception_int_div_zero 0
	.end_amdhsa_kernel
	.section	.text._ZN7rocprim17ROCPRIM_400000_NS6detail17trampoline_kernelINS0_14default_configENS1_38merge_sort_block_merge_config_selectorIhlEEZZNS1_27merge_sort_block_merge_implIS3_PhN6thrust23THRUST_200600_302600_NS10device_ptrIlEEjNS1_19radix_merge_compareILb0ELb1EhNS0_19identity_decomposerEEEEE10hipError_tT0_T1_T2_jT3_P12ihipStream_tbPNSt15iterator_traitsISG_E10value_typeEPNSM_ISH_E10value_typeEPSI_NS1_7vsmem_tEENKUlT_SG_SH_SI_E_clIS7_S7_PlSB_EESF_SV_SG_SH_SI_EUlSV_E_NS1_11comp_targetILNS1_3genE5ELNS1_11target_archE942ELNS1_3gpuE9ELNS1_3repE0EEENS1_48merge_mergepath_partition_config_static_selectorELNS0_4arch9wavefront6targetE1EEEvSH_,"axG",@progbits,_ZN7rocprim17ROCPRIM_400000_NS6detail17trampoline_kernelINS0_14default_configENS1_38merge_sort_block_merge_config_selectorIhlEEZZNS1_27merge_sort_block_merge_implIS3_PhN6thrust23THRUST_200600_302600_NS10device_ptrIlEEjNS1_19radix_merge_compareILb0ELb1EhNS0_19identity_decomposerEEEEE10hipError_tT0_T1_T2_jT3_P12ihipStream_tbPNSt15iterator_traitsISG_E10value_typeEPNSM_ISH_E10value_typeEPSI_NS1_7vsmem_tEENKUlT_SG_SH_SI_E_clIS7_S7_PlSB_EESF_SV_SG_SH_SI_EUlSV_E_NS1_11comp_targetILNS1_3genE5ELNS1_11target_archE942ELNS1_3gpuE9ELNS1_3repE0EEENS1_48merge_mergepath_partition_config_static_selectorELNS0_4arch9wavefront6targetE1EEEvSH_,comdat
.Lfunc_end191:
	.size	_ZN7rocprim17ROCPRIM_400000_NS6detail17trampoline_kernelINS0_14default_configENS1_38merge_sort_block_merge_config_selectorIhlEEZZNS1_27merge_sort_block_merge_implIS3_PhN6thrust23THRUST_200600_302600_NS10device_ptrIlEEjNS1_19radix_merge_compareILb0ELb1EhNS0_19identity_decomposerEEEEE10hipError_tT0_T1_T2_jT3_P12ihipStream_tbPNSt15iterator_traitsISG_E10value_typeEPNSM_ISH_E10value_typeEPSI_NS1_7vsmem_tEENKUlT_SG_SH_SI_E_clIS7_S7_PlSB_EESF_SV_SG_SH_SI_EUlSV_E_NS1_11comp_targetILNS1_3genE5ELNS1_11target_archE942ELNS1_3gpuE9ELNS1_3repE0EEENS1_48merge_mergepath_partition_config_static_selectorELNS0_4arch9wavefront6targetE1EEEvSH_, .Lfunc_end191-_ZN7rocprim17ROCPRIM_400000_NS6detail17trampoline_kernelINS0_14default_configENS1_38merge_sort_block_merge_config_selectorIhlEEZZNS1_27merge_sort_block_merge_implIS3_PhN6thrust23THRUST_200600_302600_NS10device_ptrIlEEjNS1_19radix_merge_compareILb0ELb1EhNS0_19identity_decomposerEEEEE10hipError_tT0_T1_T2_jT3_P12ihipStream_tbPNSt15iterator_traitsISG_E10value_typeEPNSM_ISH_E10value_typeEPSI_NS1_7vsmem_tEENKUlT_SG_SH_SI_E_clIS7_S7_PlSB_EESF_SV_SG_SH_SI_EUlSV_E_NS1_11comp_targetILNS1_3genE5ELNS1_11target_archE942ELNS1_3gpuE9ELNS1_3repE0EEENS1_48merge_mergepath_partition_config_static_selectorELNS0_4arch9wavefront6targetE1EEEvSH_
                                        ; -- End function
	.section	.AMDGPU.csdata,"",@progbits
; Kernel info:
; codeLenInByte = 0
; NumSgprs: 4
; NumVgprs: 0
; NumAgprs: 0
; TotalNumVgprs: 0
; ScratchSize: 0
; MemoryBound: 0
; FloatMode: 240
; IeeeMode: 1
; LDSByteSize: 0 bytes/workgroup (compile time only)
; SGPRBlocks: 0
; VGPRBlocks: 0
; NumSGPRsForWavesPerEU: 4
; NumVGPRsForWavesPerEU: 1
; AccumOffset: 4
; Occupancy: 8
; WaveLimiterHint : 0
; COMPUTE_PGM_RSRC2:SCRATCH_EN: 0
; COMPUTE_PGM_RSRC2:USER_SGPR: 6
; COMPUTE_PGM_RSRC2:TRAP_HANDLER: 0
; COMPUTE_PGM_RSRC2:TGID_X_EN: 1
; COMPUTE_PGM_RSRC2:TGID_Y_EN: 0
; COMPUTE_PGM_RSRC2:TGID_Z_EN: 0
; COMPUTE_PGM_RSRC2:TIDIG_COMP_CNT: 0
; COMPUTE_PGM_RSRC3_GFX90A:ACCUM_OFFSET: 0
; COMPUTE_PGM_RSRC3_GFX90A:TG_SPLIT: 0
	.section	.text._ZN7rocprim17ROCPRIM_400000_NS6detail17trampoline_kernelINS0_14default_configENS1_38merge_sort_block_merge_config_selectorIhlEEZZNS1_27merge_sort_block_merge_implIS3_PhN6thrust23THRUST_200600_302600_NS10device_ptrIlEEjNS1_19radix_merge_compareILb0ELb1EhNS0_19identity_decomposerEEEEE10hipError_tT0_T1_T2_jT3_P12ihipStream_tbPNSt15iterator_traitsISG_E10value_typeEPNSM_ISH_E10value_typeEPSI_NS1_7vsmem_tEENKUlT_SG_SH_SI_E_clIS7_S7_PlSB_EESF_SV_SG_SH_SI_EUlSV_E_NS1_11comp_targetILNS1_3genE4ELNS1_11target_archE910ELNS1_3gpuE8ELNS1_3repE0EEENS1_48merge_mergepath_partition_config_static_selectorELNS0_4arch9wavefront6targetE1EEEvSH_,"axG",@progbits,_ZN7rocprim17ROCPRIM_400000_NS6detail17trampoline_kernelINS0_14default_configENS1_38merge_sort_block_merge_config_selectorIhlEEZZNS1_27merge_sort_block_merge_implIS3_PhN6thrust23THRUST_200600_302600_NS10device_ptrIlEEjNS1_19radix_merge_compareILb0ELb1EhNS0_19identity_decomposerEEEEE10hipError_tT0_T1_T2_jT3_P12ihipStream_tbPNSt15iterator_traitsISG_E10value_typeEPNSM_ISH_E10value_typeEPSI_NS1_7vsmem_tEENKUlT_SG_SH_SI_E_clIS7_S7_PlSB_EESF_SV_SG_SH_SI_EUlSV_E_NS1_11comp_targetILNS1_3genE4ELNS1_11target_archE910ELNS1_3gpuE8ELNS1_3repE0EEENS1_48merge_mergepath_partition_config_static_selectorELNS0_4arch9wavefront6targetE1EEEvSH_,comdat
	.protected	_ZN7rocprim17ROCPRIM_400000_NS6detail17trampoline_kernelINS0_14default_configENS1_38merge_sort_block_merge_config_selectorIhlEEZZNS1_27merge_sort_block_merge_implIS3_PhN6thrust23THRUST_200600_302600_NS10device_ptrIlEEjNS1_19radix_merge_compareILb0ELb1EhNS0_19identity_decomposerEEEEE10hipError_tT0_T1_T2_jT3_P12ihipStream_tbPNSt15iterator_traitsISG_E10value_typeEPNSM_ISH_E10value_typeEPSI_NS1_7vsmem_tEENKUlT_SG_SH_SI_E_clIS7_S7_PlSB_EESF_SV_SG_SH_SI_EUlSV_E_NS1_11comp_targetILNS1_3genE4ELNS1_11target_archE910ELNS1_3gpuE8ELNS1_3repE0EEENS1_48merge_mergepath_partition_config_static_selectorELNS0_4arch9wavefront6targetE1EEEvSH_ ; -- Begin function _ZN7rocprim17ROCPRIM_400000_NS6detail17trampoline_kernelINS0_14default_configENS1_38merge_sort_block_merge_config_selectorIhlEEZZNS1_27merge_sort_block_merge_implIS3_PhN6thrust23THRUST_200600_302600_NS10device_ptrIlEEjNS1_19radix_merge_compareILb0ELb1EhNS0_19identity_decomposerEEEEE10hipError_tT0_T1_T2_jT3_P12ihipStream_tbPNSt15iterator_traitsISG_E10value_typeEPNSM_ISH_E10value_typeEPSI_NS1_7vsmem_tEENKUlT_SG_SH_SI_E_clIS7_S7_PlSB_EESF_SV_SG_SH_SI_EUlSV_E_NS1_11comp_targetILNS1_3genE4ELNS1_11target_archE910ELNS1_3gpuE8ELNS1_3repE0EEENS1_48merge_mergepath_partition_config_static_selectorELNS0_4arch9wavefront6targetE1EEEvSH_
	.globl	_ZN7rocprim17ROCPRIM_400000_NS6detail17trampoline_kernelINS0_14default_configENS1_38merge_sort_block_merge_config_selectorIhlEEZZNS1_27merge_sort_block_merge_implIS3_PhN6thrust23THRUST_200600_302600_NS10device_ptrIlEEjNS1_19radix_merge_compareILb0ELb1EhNS0_19identity_decomposerEEEEE10hipError_tT0_T1_T2_jT3_P12ihipStream_tbPNSt15iterator_traitsISG_E10value_typeEPNSM_ISH_E10value_typeEPSI_NS1_7vsmem_tEENKUlT_SG_SH_SI_E_clIS7_S7_PlSB_EESF_SV_SG_SH_SI_EUlSV_E_NS1_11comp_targetILNS1_3genE4ELNS1_11target_archE910ELNS1_3gpuE8ELNS1_3repE0EEENS1_48merge_mergepath_partition_config_static_selectorELNS0_4arch9wavefront6targetE1EEEvSH_
	.p2align	8
	.type	_ZN7rocprim17ROCPRIM_400000_NS6detail17trampoline_kernelINS0_14default_configENS1_38merge_sort_block_merge_config_selectorIhlEEZZNS1_27merge_sort_block_merge_implIS3_PhN6thrust23THRUST_200600_302600_NS10device_ptrIlEEjNS1_19radix_merge_compareILb0ELb1EhNS0_19identity_decomposerEEEEE10hipError_tT0_T1_T2_jT3_P12ihipStream_tbPNSt15iterator_traitsISG_E10value_typeEPNSM_ISH_E10value_typeEPSI_NS1_7vsmem_tEENKUlT_SG_SH_SI_E_clIS7_S7_PlSB_EESF_SV_SG_SH_SI_EUlSV_E_NS1_11comp_targetILNS1_3genE4ELNS1_11target_archE910ELNS1_3gpuE8ELNS1_3repE0EEENS1_48merge_mergepath_partition_config_static_selectorELNS0_4arch9wavefront6targetE1EEEvSH_,@function
_ZN7rocprim17ROCPRIM_400000_NS6detail17trampoline_kernelINS0_14default_configENS1_38merge_sort_block_merge_config_selectorIhlEEZZNS1_27merge_sort_block_merge_implIS3_PhN6thrust23THRUST_200600_302600_NS10device_ptrIlEEjNS1_19radix_merge_compareILb0ELb1EhNS0_19identity_decomposerEEEEE10hipError_tT0_T1_T2_jT3_P12ihipStream_tbPNSt15iterator_traitsISG_E10value_typeEPNSM_ISH_E10value_typeEPSI_NS1_7vsmem_tEENKUlT_SG_SH_SI_E_clIS7_S7_PlSB_EESF_SV_SG_SH_SI_EUlSV_E_NS1_11comp_targetILNS1_3genE4ELNS1_11target_archE910ELNS1_3gpuE8ELNS1_3repE0EEENS1_48merge_mergepath_partition_config_static_selectorELNS0_4arch9wavefront6targetE1EEEvSH_: ; @_ZN7rocprim17ROCPRIM_400000_NS6detail17trampoline_kernelINS0_14default_configENS1_38merge_sort_block_merge_config_selectorIhlEEZZNS1_27merge_sort_block_merge_implIS3_PhN6thrust23THRUST_200600_302600_NS10device_ptrIlEEjNS1_19radix_merge_compareILb0ELb1EhNS0_19identity_decomposerEEEEE10hipError_tT0_T1_T2_jT3_P12ihipStream_tbPNSt15iterator_traitsISG_E10value_typeEPNSM_ISH_E10value_typeEPSI_NS1_7vsmem_tEENKUlT_SG_SH_SI_E_clIS7_S7_PlSB_EESF_SV_SG_SH_SI_EUlSV_E_NS1_11comp_targetILNS1_3genE4ELNS1_11target_archE910ELNS1_3gpuE8ELNS1_3repE0EEENS1_48merge_mergepath_partition_config_static_selectorELNS0_4arch9wavefront6targetE1EEEvSH_
; %bb.0:
	s_load_dword s0, s[4:5], 0x0
	v_lshl_or_b32 v0, s6, 7, v0
	s_waitcnt lgkmcnt(0)
	v_cmp_gt_u32_e32 vcc, s0, v0
	s_and_saveexec_b64 s[0:1], vcc
	s_cbranch_execz .LBB192_6
; %bb.1:
	s_load_dwordx2 s[2:3], s[4:5], 0x4
	s_load_dwordx2 s[0:1], s[4:5], 0x20
	s_waitcnt lgkmcnt(0)
	s_lshr_b32 s6, s2, 9
	s_and_b32 s6, s6, 0x7ffffe
	s_add_i32 s7, s6, -1
	s_sub_i32 s6, 0, s6
	v_and_b32_e32 v1, s6, v0
	v_lshlrev_b32_e32 v3, 10, v1
	v_min_u32_e32 v1, s3, v3
	v_add_u32_e32 v3, s2, v3
	v_min_u32_e32 v7, s3, v3
	v_add_u32_e32 v3, s2, v7
	v_and_b32_e32 v2, s7, v0
	v_min_u32_e32 v4, s3, v3
	v_sub_u32_e32 v3, v4, v1
	v_lshlrev_b32_e32 v2, 10, v2
	v_min_u32_e32 v3, v3, v2
	v_sub_u32_e32 v5, v7, v1
	v_sub_u32_e32 v2, v4, v7
	v_sub_u32_e64 v2, v3, v2 clamp
	v_min_u32_e32 v4, v3, v5
	v_cmp_lt_u32_e32 vcc, v2, v4
	s_and_saveexec_b64 s[2:3], vcc
	s_cbranch_execz .LBB192_5
; %bb.2:
	s_load_dwordx2 s[8:9], s[4:5], 0x10
	s_load_dword s6, s[4:5], 0x18
	s_mov_b64 s[4:5], 0
	s_waitcnt lgkmcnt(0)
	v_mov_b32_e32 v8, s9
	v_add_co_u32_e32 v5, vcc, s8, v1
	v_addc_co_u32_e32 v6, vcc, 0, v8, vcc
	v_add_co_u32_e32 v7, vcc, s8, v7
	v_addc_co_u32_e32 v8, vcc, 0, v8, vcc
.LBB192_3:                              ; =>This Inner Loop Header: Depth=1
	v_add_u32_e32 v9, v4, v2
	v_lshrrev_b32_e32 v9, 1, v9
	v_add_co_u32_e32 v10, vcc, v5, v9
	v_xad_u32 v12, v9, -1, v3
	v_addc_co_u32_e32 v11, vcc, 0, v6, vcc
	v_add_co_u32_e32 v12, vcc, v7, v12
	v_addc_co_u32_e32 v13, vcc, 0, v8, vcc
	global_load_ubyte v14, v[10:11], off
	global_load_ubyte v15, v[12:13], off
	v_add_u32_e32 v10, 1, v9
	s_waitcnt vmcnt(1)
	v_and_b32_e32 v11, s6, v14
	s_waitcnt vmcnt(0)
	v_and_b32_e32 v12, s6, v15
	v_cmp_gt_u16_sdwa vcc, v11, v12 src0_sel:BYTE_0 src1_sel:BYTE_0
	v_cndmask_b32_e32 v4, v4, v9, vcc
	v_cndmask_b32_e32 v2, v10, v2, vcc
	v_cmp_ge_u32_e32 vcc, v2, v4
	s_or_b64 s[4:5], vcc, s[4:5]
	s_andn2_b64 exec, exec, s[4:5]
	s_cbranch_execnz .LBB192_3
; %bb.4:
	s_or_b64 exec, exec, s[4:5]
.LBB192_5:
	s_or_b64 exec, exec, s[2:3]
	v_add_u32_e32 v2, v2, v1
	v_mov_b32_e32 v1, 0
	v_lshlrev_b64 v[0:1], 2, v[0:1]
	v_mov_b32_e32 v3, s1
	v_add_co_u32_e32 v0, vcc, s0, v0
	v_addc_co_u32_e32 v1, vcc, v3, v1, vcc
	global_store_dword v[0:1], v2, off
.LBB192_6:
	s_endpgm
	.section	.rodata,"a",@progbits
	.p2align	6, 0x0
	.amdhsa_kernel _ZN7rocprim17ROCPRIM_400000_NS6detail17trampoline_kernelINS0_14default_configENS1_38merge_sort_block_merge_config_selectorIhlEEZZNS1_27merge_sort_block_merge_implIS3_PhN6thrust23THRUST_200600_302600_NS10device_ptrIlEEjNS1_19radix_merge_compareILb0ELb1EhNS0_19identity_decomposerEEEEE10hipError_tT0_T1_T2_jT3_P12ihipStream_tbPNSt15iterator_traitsISG_E10value_typeEPNSM_ISH_E10value_typeEPSI_NS1_7vsmem_tEENKUlT_SG_SH_SI_E_clIS7_S7_PlSB_EESF_SV_SG_SH_SI_EUlSV_E_NS1_11comp_targetILNS1_3genE4ELNS1_11target_archE910ELNS1_3gpuE8ELNS1_3repE0EEENS1_48merge_mergepath_partition_config_static_selectorELNS0_4arch9wavefront6targetE1EEEvSH_
		.amdhsa_group_segment_fixed_size 0
		.amdhsa_private_segment_fixed_size 0
		.amdhsa_kernarg_size 40
		.amdhsa_user_sgpr_count 6
		.amdhsa_user_sgpr_private_segment_buffer 1
		.amdhsa_user_sgpr_dispatch_ptr 0
		.amdhsa_user_sgpr_queue_ptr 0
		.amdhsa_user_sgpr_kernarg_segment_ptr 1
		.amdhsa_user_sgpr_dispatch_id 0
		.amdhsa_user_sgpr_flat_scratch_init 0
		.amdhsa_user_sgpr_kernarg_preload_length 0
		.amdhsa_user_sgpr_kernarg_preload_offset 0
		.amdhsa_user_sgpr_private_segment_size 0
		.amdhsa_uses_dynamic_stack 0
		.amdhsa_system_sgpr_private_segment_wavefront_offset 0
		.amdhsa_system_sgpr_workgroup_id_x 1
		.amdhsa_system_sgpr_workgroup_id_y 0
		.amdhsa_system_sgpr_workgroup_id_z 0
		.amdhsa_system_sgpr_workgroup_info 0
		.amdhsa_system_vgpr_workitem_id 0
		.amdhsa_next_free_vgpr 16
		.amdhsa_next_free_sgpr 10
		.amdhsa_accum_offset 16
		.amdhsa_reserve_vcc 1
		.amdhsa_reserve_flat_scratch 0
		.amdhsa_float_round_mode_32 0
		.amdhsa_float_round_mode_16_64 0
		.amdhsa_float_denorm_mode_32 3
		.amdhsa_float_denorm_mode_16_64 3
		.amdhsa_dx10_clamp 1
		.amdhsa_ieee_mode 1
		.amdhsa_fp16_overflow 0
		.amdhsa_tg_split 0
		.amdhsa_exception_fp_ieee_invalid_op 0
		.amdhsa_exception_fp_denorm_src 0
		.amdhsa_exception_fp_ieee_div_zero 0
		.amdhsa_exception_fp_ieee_overflow 0
		.amdhsa_exception_fp_ieee_underflow 0
		.amdhsa_exception_fp_ieee_inexact 0
		.amdhsa_exception_int_div_zero 0
	.end_amdhsa_kernel
	.section	.text._ZN7rocprim17ROCPRIM_400000_NS6detail17trampoline_kernelINS0_14default_configENS1_38merge_sort_block_merge_config_selectorIhlEEZZNS1_27merge_sort_block_merge_implIS3_PhN6thrust23THRUST_200600_302600_NS10device_ptrIlEEjNS1_19radix_merge_compareILb0ELb1EhNS0_19identity_decomposerEEEEE10hipError_tT0_T1_T2_jT3_P12ihipStream_tbPNSt15iterator_traitsISG_E10value_typeEPNSM_ISH_E10value_typeEPSI_NS1_7vsmem_tEENKUlT_SG_SH_SI_E_clIS7_S7_PlSB_EESF_SV_SG_SH_SI_EUlSV_E_NS1_11comp_targetILNS1_3genE4ELNS1_11target_archE910ELNS1_3gpuE8ELNS1_3repE0EEENS1_48merge_mergepath_partition_config_static_selectorELNS0_4arch9wavefront6targetE1EEEvSH_,"axG",@progbits,_ZN7rocprim17ROCPRIM_400000_NS6detail17trampoline_kernelINS0_14default_configENS1_38merge_sort_block_merge_config_selectorIhlEEZZNS1_27merge_sort_block_merge_implIS3_PhN6thrust23THRUST_200600_302600_NS10device_ptrIlEEjNS1_19radix_merge_compareILb0ELb1EhNS0_19identity_decomposerEEEEE10hipError_tT0_T1_T2_jT3_P12ihipStream_tbPNSt15iterator_traitsISG_E10value_typeEPNSM_ISH_E10value_typeEPSI_NS1_7vsmem_tEENKUlT_SG_SH_SI_E_clIS7_S7_PlSB_EESF_SV_SG_SH_SI_EUlSV_E_NS1_11comp_targetILNS1_3genE4ELNS1_11target_archE910ELNS1_3gpuE8ELNS1_3repE0EEENS1_48merge_mergepath_partition_config_static_selectorELNS0_4arch9wavefront6targetE1EEEvSH_,comdat
.Lfunc_end192:
	.size	_ZN7rocprim17ROCPRIM_400000_NS6detail17trampoline_kernelINS0_14default_configENS1_38merge_sort_block_merge_config_selectorIhlEEZZNS1_27merge_sort_block_merge_implIS3_PhN6thrust23THRUST_200600_302600_NS10device_ptrIlEEjNS1_19radix_merge_compareILb0ELb1EhNS0_19identity_decomposerEEEEE10hipError_tT0_T1_T2_jT3_P12ihipStream_tbPNSt15iterator_traitsISG_E10value_typeEPNSM_ISH_E10value_typeEPSI_NS1_7vsmem_tEENKUlT_SG_SH_SI_E_clIS7_S7_PlSB_EESF_SV_SG_SH_SI_EUlSV_E_NS1_11comp_targetILNS1_3genE4ELNS1_11target_archE910ELNS1_3gpuE8ELNS1_3repE0EEENS1_48merge_mergepath_partition_config_static_selectorELNS0_4arch9wavefront6targetE1EEEvSH_, .Lfunc_end192-_ZN7rocprim17ROCPRIM_400000_NS6detail17trampoline_kernelINS0_14default_configENS1_38merge_sort_block_merge_config_selectorIhlEEZZNS1_27merge_sort_block_merge_implIS3_PhN6thrust23THRUST_200600_302600_NS10device_ptrIlEEjNS1_19radix_merge_compareILb0ELb1EhNS0_19identity_decomposerEEEEE10hipError_tT0_T1_T2_jT3_P12ihipStream_tbPNSt15iterator_traitsISG_E10value_typeEPNSM_ISH_E10value_typeEPSI_NS1_7vsmem_tEENKUlT_SG_SH_SI_E_clIS7_S7_PlSB_EESF_SV_SG_SH_SI_EUlSV_E_NS1_11comp_targetILNS1_3genE4ELNS1_11target_archE910ELNS1_3gpuE8ELNS1_3repE0EEENS1_48merge_mergepath_partition_config_static_selectorELNS0_4arch9wavefront6targetE1EEEvSH_
                                        ; -- End function
	.section	.AMDGPU.csdata,"",@progbits
; Kernel info:
; codeLenInByte = 340
; NumSgprs: 14
; NumVgprs: 16
; NumAgprs: 0
; TotalNumVgprs: 16
; ScratchSize: 0
; MemoryBound: 0
; FloatMode: 240
; IeeeMode: 1
; LDSByteSize: 0 bytes/workgroup (compile time only)
; SGPRBlocks: 1
; VGPRBlocks: 1
; NumSGPRsForWavesPerEU: 14
; NumVGPRsForWavesPerEU: 16
; AccumOffset: 16
; Occupancy: 8
; WaveLimiterHint : 0
; COMPUTE_PGM_RSRC2:SCRATCH_EN: 0
; COMPUTE_PGM_RSRC2:USER_SGPR: 6
; COMPUTE_PGM_RSRC2:TRAP_HANDLER: 0
; COMPUTE_PGM_RSRC2:TGID_X_EN: 1
; COMPUTE_PGM_RSRC2:TGID_Y_EN: 0
; COMPUTE_PGM_RSRC2:TGID_Z_EN: 0
; COMPUTE_PGM_RSRC2:TIDIG_COMP_CNT: 0
; COMPUTE_PGM_RSRC3_GFX90A:ACCUM_OFFSET: 3
; COMPUTE_PGM_RSRC3_GFX90A:TG_SPLIT: 0
	.section	.text._ZN7rocprim17ROCPRIM_400000_NS6detail17trampoline_kernelINS0_14default_configENS1_38merge_sort_block_merge_config_selectorIhlEEZZNS1_27merge_sort_block_merge_implIS3_PhN6thrust23THRUST_200600_302600_NS10device_ptrIlEEjNS1_19radix_merge_compareILb0ELb1EhNS0_19identity_decomposerEEEEE10hipError_tT0_T1_T2_jT3_P12ihipStream_tbPNSt15iterator_traitsISG_E10value_typeEPNSM_ISH_E10value_typeEPSI_NS1_7vsmem_tEENKUlT_SG_SH_SI_E_clIS7_S7_PlSB_EESF_SV_SG_SH_SI_EUlSV_E_NS1_11comp_targetILNS1_3genE3ELNS1_11target_archE908ELNS1_3gpuE7ELNS1_3repE0EEENS1_48merge_mergepath_partition_config_static_selectorELNS0_4arch9wavefront6targetE1EEEvSH_,"axG",@progbits,_ZN7rocprim17ROCPRIM_400000_NS6detail17trampoline_kernelINS0_14default_configENS1_38merge_sort_block_merge_config_selectorIhlEEZZNS1_27merge_sort_block_merge_implIS3_PhN6thrust23THRUST_200600_302600_NS10device_ptrIlEEjNS1_19radix_merge_compareILb0ELb1EhNS0_19identity_decomposerEEEEE10hipError_tT0_T1_T2_jT3_P12ihipStream_tbPNSt15iterator_traitsISG_E10value_typeEPNSM_ISH_E10value_typeEPSI_NS1_7vsmem_tEENKUlT_SG_SH_SI_E_clIS7_S7_PlSB_EESF_SV_SG_SH_SI_EUlSV_E_NS1_11comp_targetILNS1_3genE3ELNS1_11target_archE908ELNS1_3gpuE7ELNS1_3repE0EEENS1_48merge_mergepath_partition_config_static_selectorELNS0_4arch9wavefront6targetE1EEEvSH_,comdat
	.protected	_ZN7rocprim17ROCPRIM_400000_NS6detail17trampoline_kernelINS0_14default_configENS1_38merge_sort_block_merge_config_selectorIhlEEZZNS1_27merge_sort_block_merge_implIS3_PhN6thrust23THRUST_200600_302600_NS10device_ptrIlEEjNS1_19radix_merge_compareILb0ELb1EhNS0_19identity_decomposerEEEEE10hipError_tT0_T1_T2_jT3_P12ihipStream_tbPNSt15iterator_traitsISG_E10value_typeEPNSM_ISH_E10value_typeEPSI_NS1_7vsmem_tEENKUlT_SG_SH_SI_E_clIS7_S7_PlSB_EESF_SV_SG_SH_SI_EUlSV_E_NS1_11comp_targetILNS1_3genE3ELNS1_11target_archE908ELNS1_3gpuE7ELNS1_3repE0EEENS1_48merge_mergepath_partition_config_static_selectorELNS0_4arch9wavefront6targetE1EEEvSH_ ; -- Begin function _ZN7rocprim17ROCPRIM_400000_NS6detail17trampoline_kernelINS0_14default_configENS1_38merge_sort_block_merge_config_selectorIhlEEZZNS1_27merge_sort_block_merge_implIS3_PhN6thrust23THRUST_200600_302600_NS10device_ptrIlEEjNS1_19radix_merge_compareILb0ELb1EhNS0_19identity_decomposerEEEEE10hipError_tT0_T1_T2_jT3_P12ihipStream_tbPNSt15iterator_traitsISG_E10value_typeEPNSM_ISH_E10value_typeEPSI_NS1_7vsmem_tEENKUlT_SG_SH_SI_E_clIS7_S7_PlSB_EESF_SV_SG_SH_SI_EUlSV_E_NS1_11comp_targetILNS1_3genE3ELNS1_11target_archE908ELNS1_3gpuE7ELNS1_3repE0EEENS1_48merge_mergepath_partition_config_static_selectorELNS0_4arch9wavefront6targetE1EEEvSH_
	.globl	_ZN7rocprim17ROCPRIM_400000_NS6detail17trampoline_kernelINS0_14default_configENS1_38merge_sort_block_merge_config_selectorIhlEEZZNS1_27merge_sort_block_merge_implIS3_PhN6thrust23THRUST_200600_302600_NS10device_ptrIlEEjNS1_19radix_merge_compareILb0ELb1EhNS0_19identity_decomposerEEEEE10hipError_tT0_T1_T2_jT3_P12ihipStream_tbPNSt15iterator_traitsISG_E10value_typeEPNSM_ISH_E10value_typeEPSI_NS1_7vsmem_tEENKUlT_SG_SH_SI_E_clIS7_S7_PlSB_EESF_SV_SG_SH_SI_EUlSV_E_NS1_11comp_targetILNS1_3genE3ELNS1_11target_archE908ELNS1_3gpuE7ELNS1_3repE0EEENS1_48merge_mergepath_partition_config_static_selectorELNS0_4arch9wavefront6targetE1EEEvSH_
	.p2align	8
	.type	_ZN7rocprim17ROCPRIM_400000_NS6detail17trampoline_kernelINS0_14default_configENS1_38merge_sort_block_merge_config_selectorIhlEEZZNS1_27merge_sort_block_merge_implIS3_PhN6thrust23THRUST_200600_302600_NS10device_ptrIlEEjNS1_19radix_merge_compareILb0ELb1EhNS0_19identity_decomposerEEEEE10hipError_tT0_T1_T2_jT3_P12ihipStream_tbPNSt15iterator_traitsISG_E10value_typeEPNSM_ISH_E10value_typeEPSI_NS1_7vsmem_tEENKUlT_SG_SH_SI_E_clIS7_S7_PlSB_EESF_SV_SG_SH_SI_EUlSV_E_NS1_11comp_targetILNS1_3genE3ELNS1_11target_archE908ELNS1_3gpuE7ELNS1_3repE0EEENS1_48merge_mergepath_partition_config_static_selectorELNS0_4arch9wavefront6targetE1EEEvSH_,@function
_ZN7rocprim17ROCPRIM_400000_NS6detail17trampoline_kernelINS0_14default_configENS1_38merge_sort_block_merge_config_selectorIhlEEZZNS1_27merge_sort_block_merge_implIS3_PhN6thrust23THRUST_200600_302600_NS10device_ptrIlEEjNS1_19radix_merge_compareILb0ELb1EhNS0_19identity_decomposerEEEEE10hipError_tT0_T1_T2_jT3_P12ihipStream_tbPNSt15iterator_traitsISG_E10value_typeEPNSM_ISH_E10value_typeEPSI_NS1_7vsmem_tEENKUlT_SG_SH_SI_E_clIS7_S7_PlSB_EESF_SV_SG_SH_SI_EUlSV_E_NS1_11comp_targetILNS1_3genE3ELNS1_11target_archE908ELNS1_3gpuE7ELNS1_3repE0EEENS1_48merge_mergepath_partition_config_static_selectorELNS0_4arch9wavefront6targetE1EEEvSH_: ; @_ZN7rocprim17ROCPRIM_400000_NS6detail17trampoline_kernelINS0_14default_configENS1_38merge_sort_block_merge_config_selectorIhlEEZZNS1_27merge_sort_block_merge_implIS3_PhN6thrust23THRUST_200600_302600_NS10device_ptrIlEEjNS1_19radix_merge_compareILb0ELb1EhNS0_19identity_decomposerEEEEE10hipError_tT0_T1_T2_jT3_P12ihipStream_tbPNSt15iterator_traitsISG_E10value_typeEPNSM_ISH_E10value_typeEPSI_NS1_7vsmem_tEENKUlT_SG_SH_SI_E_clIS7_S7_PlSB_EESF_SV_SG_SH_SI_EUlSV_E_NS1_11comp_targetILNS1_3genE3ELNS1_11target_archE908ELNS1_3gpuE7ELNS1_3repE0EEENS1_48merge_mergepath_partition_config_static_selectorELNS0_4arch9wavefront6targetE1EEEvSH_
; %bb.0:
	.section	.rodata,"a",@progbits
	.p2align	6, 0x0
	.amdhsa_kernel _ZN7rocprim17ROCPRIM_400000_NS6detail17trampoline_kernelINS0_14default_configENS1_38merge_sort_block_merge_config_selectorIhlEEZZNS1_27merge_sort_block_merge_implIS3_PhN6thrust23THRUST_200600_302600_NS10device_ptrIlEEjNS1_19radix_merge_compareILb0ELb1EhNS0_19identity_decomposerEEEEE10hipError_tT0_T1_T2_jT3_P12ihipStream_tbPNSt15iterator_traitsISG_E10value_typeEPNSM_ISH_E10value_typeEPSI_NS1_7vsmem_tEENKUlT_SG_SH_SI_E_clIS7_S7_PlSB_EESF_SV_SG_SH_SI_EUlSV_E_NS1_11comp_targetILNS1_3genE3ELNS1_11target_archE908ELNS1_3gpuE7ELNS1_3repE0EEENS1_48merge_mergepath_partition_config_static_selectorELNS0_4arch9wavefront6targetE1EEEvSH_
		.amdhsa_group_segment_fixed_size 0
		.amdhsa_private_segment_fixed_size 0
		.amdhsa_kernarg_size 40
		.amdhsa_user_sgpr_count 6
		.amdhsa_user_sgpr_private_segment_buffer 1
		.amdhsa_user_sgpr_dispatch_ptr 0
		.amdhsa_user_sgpr_queue_ptr 0
		.amdhsa_user_sgpr_kernarg_segment_ptr 1
		.amdhsa_user_sgpr_dispatch_id 0
		.amdhsa_user_sgpr_flat_scratch_init 0
		.amdhsa_user_sgpr_kernarg_preload_length 0
		.amdhsa_user_sgpr_kernarg_preload_offset 0
		.amdhsa_user_sgpr_private_segment_size 0
		.amdhsa_uses_dynamic_stack 0
		.amdhsa_system_sgpr_private_segment_wavefront_offset 0
		.amdhsa_system_sgpr_workgroup_id_x 1
		.amdhsa_system_sgpr_workgroup_id_y 0
		.amdhsa_system_sgpr_workgroup_id_z 0
		.amdhsa_system_sgpr_workgroup_info 0
		.amdhsa_system_vgpr_workitem_id 0
		.amdhsa_next_free_vgpr 1
		.amdhsa_next_free_sgpr 0
		.amdhsa_accum_offset 4
		.amdhsa_reserve_vcc 0
		.amdhsa_reserve_flat_scratch 0
		.amdhsa_float_round_mode_32 0
		.amdhsa_float_round_mode_16_64 0
		.amdhsa_float_denorm_mode_32 3
		.amdhsa_float_denorm_mode_16_64 3
		.amdhsa_dx10_clamp 1
		.amdhsa_ieee_mode 1
		.amdhsa_fp16_overflow 0
		.amdhsa_tg_split 0
		.amdhsa_exception_fp_ieee_invalid_op 0
		.amdhsa_exception_fp_denorm_src 0
		.amdhsa_exception_fp_ieee_div_zero 0
		.amdhsa_exception_fp_ieee_overflow 0
		.amdhsa_exception_fp_ieee_underflow 0
		.amdhsa_exception_fp_ieee_inexact 0
		.amdhsa_exception_int_div_zero 0
	.end_amdhsa_kernel
	.section	.text._ZN7rocprim17ROCPRIM_400000_NS6detail17trampoline_kernelINS0_14default_configENS1_38merge_sort_block_merge_config_selectorIhlEEZZNS1_27merge_sort_block_merge_implIS3_PhN6thrust23THRUST_200600_302600_NS10device_ptrIlEEjNS1_19radix_merge_compareILb0ELb1EhNS0_19identity_decomposerEEEEE10hipError_tT0_T1_T2_jT3_P12ihipStream_tbPNSt15iterator_traitsISG_E10value_typeEPNSM_ISH_E10value_typeEPSI_NS1_7vsmem_tEENKUlT_SG_SH_SI_E_clIS7_S7_PlSB_EESF_SV_SG_SH_SI_EUlSV_E_NS1_11comp_targetILNS1_3genE3ELNS1_11target_archE908ELNS1_3gpuE7ELNS1_3repE0EEENS1_48merge_mergepath_partition_config_static_selectorELNS0_4arch9wavefront6targetE1EEEvSH_,"axG",@progbits,_ZN7rocprim17ROCPRIM_400000_NS6detail17trampoline_kernelINS0_14default_configENS1_38merge_sort_block_merge_config_selectorIhlEEZZNS1_27merge_sort_block_merge_implIS3_PhN6thrust23THRUST_200600_302600_NS10device_ptrIlEEjNS1_19radix_merge_compareILb0ELb1EhNS0_19identity_decomposerEEEEE10hipError_tT0_T1_T2_jT3_P12ihipStream_tbPNSt15iterator_traitsISG_E10value_typeEPNSM_ISH_E10value_typeEPSI_NS1_7vsmem_tEENKUlT_SG_SH_SI_E_clIS7_S7_PlSB_EESF_SV_SG_SH_SI_EUlSV_E_NS1_11comp_targetILNS1_3genE3ELNS1_11target_archE908ELNS1_3gpuE7ELNS1_3repE0EEENS1_48merge_mergepath_partition_config_static_selectorELNS0_4arch9wavefront6targetE1EEEvSH_,comdat
.Lfunc_end193:
	.size	_ZN7rocprim17ROCPRIM_400000_NS6detail17trampoline_kernelINS0_14default_configENS1_38merge_sort_block_merge_config_selectorIhlEEZZNS1_27merge_sort_block_merge_implIS3_PhN6thrust23THRUST_200600_302600_NS10device_ptrIlEEjNS1_19radix_merge_compareILb0ELb1EhNS0_19identity_decomposerEEEEE10hipError_tT0_T1_T2_jT3_P12ihipStream_tbPNSt15iterator_traitsISG_E10value_typeEPNSM_ISH_E10value_typeEPSI_NS1_7vsmem_tEENKUlT_SG_SH_SI_E_clIS7_S7_PlSB_EESF_SV_SG_SH_SI_EUlSV_E_NS1_11comp_targetILNS1_3genE3ELNS1_11target_archE908ELNS1_3gpuE7ELNS1_3repE0EEENS1_48merge_mergepath_partition_config_static_selectorELNS0_4arch9wavefront6targetE1EEEvSH_, .Lfunc_end193-_ZN7rocprim17ROCPRIM_400000_NS6detail17trampoline_kernelINS0_14default_configENS1_38merge_sort_block_merge_config_selectorIhlEEZZNS1_27merge_sort_block_merge_implIS3_PhN6thrust23THRUST_200600_302600_NS10device_ptrIlEEjNS1_19radix_merge_compareILb0ELb1EhNS0_19identity_decomposerEEEEE10hipError_tT0_T1_T2_jT3_P12ihipStream_tbPNSt15iterator_traitsISG_E10value_typeEPNSM_ISH_E10value_typeEPSI_NS1_7vsmem_tEENKUlT_SG_SH_SI_E_clIS7_S7_PlSB_EESF_SV_SG_SH_SI_EUlSV_E_NS1_11comp_targetILNS1_3genE3ELNS1_11target_archE908ELNS1_3gpuE7ELNS1_3repE0EEENS1_48merge_mergepath_partition_config_static_selectorELNS0_4arch9wavefront6targetE1EEEvSH_
                                        ; -- End function
	.section	.AMDGPU.csdata,"",@progbits
; Kernel info:
; codeLenInByte = 0
; NumSgprs: 4
; NumVgprs: 0
; NumAgprs: 0
; TotalNumVgprs: 0
; ScratchSize: 0
; MemoryBound: 0
; FloatMode: 240
; IeeeMode: 1
; LDSByteSize: 0 bytes/workgroup (compile time only)
; SGPRBlocks: 0
; VGPRBlocks: 0
; NumSGPRsForWavesPerEU: 4
; NumVGPRsForWavesPerEU: 1
; AccumOffset: 4
; Occupancy: 8
; WaveLimiterHint : 0
; COMPUTE_PGM_RSRC2:SCRATCH_EN: 0
; COMPUTE_PGM_RSRC2:USER_SGPR: 6
; COMPUTE_PGM_RSRC2:TRAP_HANDLER: 0
; COMPUTE_PGM_RSRC2:TGID_X_EN: 1
; COMPUTE_PGM_RSRC2:TGID_Y_EN: 0
; COMPUTE_PGM_RSRC2:TGID_Z_EN: 0
; COMPUTE_PGM_RSRC2:TIDIG_COMP_CNT: 0
; COMPUTE_PGM_RSRC3_GFX90A:ACCUM_OFFSET: 0
; COMPUTE_PGM_RSRC3_GFX90A:TG_SPLIT: 0
	.section	.text._ZN7rocprim17ROCPRIM_400000_NS6detail17trampoline_kernelINS0_14default_configENS1_38merge_sort_block_merge_config_selectorIhlEEZZNS1_27merge_sort_block_merge_implIS3_PhN6thrust23THRUST_200600_302600_NS10device_ptrIlEEjNS1_19radix_merge_compareILb0ELb1EhNS0_19identity_decomposerEEEEE10hipError_tT0_T1_T2_jT3_P12ihipStream_tbPNSt15iterator_traitsISG_E10value_typeEPNSM_ISH_E10value_typeEPSI_NS1_7vsmem_tEENKUlT_SG_SH_SI_E_clIS7_S7_PlSB_EESF_SV_SG_SH_SI_EUlSV_E_NS1_11comp_targetILNS1_3genE2ELNS1_11target_archE906ELNS1_3gpuE6ELNS1_3repE0EEENS1_48merge_mergepath_partition_config_static_selectorELNS0_4arch9wavefront6targetE1EEEvSH_,"axG",@progbits,_ZN7rocprim17ROCPRIM_400000_NS6detail17trampoline_kernelINS0_14default_configENS1_38merge_sort_block_merge_config_selectorIhlEEZZNS1_27merge_sort_block_merge_implIS3_PhN6thrust23THRUST_200600_302600_NS10device_ptrIlEEjNS1_19radix_merge_compareILb0ELb1EhNS0_19identity_decomposerEEEEE10hipError_tT0_T1_T2_jT3_P12ihipStream_tbPNSt15iterator_traitsISG_E10value_typeEPNSM_ISH_E10value_typeEPSI_NS1_7vsmem_tEENKUlT_SG_SH_SI_E_clIS7_S7_PlSB_EESF_SV_SG_SH_SI_EUlSV_E_NS1_11comp_targetILNS1_3genE2ELNS1_11target_archE906ELNS1_3gpuE6ELNS1_3repE0EEENS1_48merge_mergepath_partition_config_static_selectorELNS0_4arch9wavefront6targetE1EEEvSH_,comdat
	.protected	_ZN7rocprim17ROCPRIM_400000_NS6detail17trampoline_kernelINS0_14default_configENS1_38merge_sort_block_merge_config_selectorIhlEEZZNS1_27merge_sort_block_merge_implIS3_PhN6thrust23THRUST_200600_302600_NS10device_ptrIlEEjNS1_19radix_merge_compareILb0ELb1EhNS0_19identity_decomposerEEEEE10hipError_tT0_T1_T2_jT3_P12ihipStream_tbPNSt15iterator_traitsISG_E10value_typeEPNSM_ISH_E10value_typeEPSI_NS1_7vsmem_tEENKUlT_SG_SH_SI_E_clIS7_S7_PlSB_EESF_SV_SG_SH_SI_EUlSV_E_NS1_11comp_targetILNS1_3genE2ELNS1_11target_archE906ELNS1_3gpuE6ELNS1_3repE0EEENS1_48merge_mergepath_partition_config_static_selectorELNS0_4arch9wavefront6targetE1EEEvSH_ ; -- Begin function _ZN7rocprim17ROCPRIM_400000_NS6detail17trampoline_kernelINS0_14default_configENS1_38merge_sort_block_merge_config_selectorIhlEEZZNS1_27merge_sort_block_merge_implIS3_PhN6thrust23THRUST_200600_302600_NS10device_ptrIlEEjNS1_19radix_merge_compareILb0ELb1EhNS0_19identity_decomposerEEEEE10hipError_tT0_T1_T2_jT3_P12ihipStream_tbPNSt15iterator_traitsISG_E10value_typeEPNSM_ISH_E10value_typeEPSI_NS1_7vsmem_tEENKUlT_SG_SH_SI_E_clIS7_S7_PlSB_EESF_SV_SG_SH_SI_EUlSV_E_NS1_11comp_targetILNS1_3genE2ELNS1_11target_archE906ELNS1_3gpuE6ELNS1_3repE0EEENS1_48merge_mergepath_partition_config_static_selectorELNS0_4arch9wavefront6targetE1EEEvSH_
	.globl	_ZN7rocprim17ROCPRIM_400000_NS6detail17trampoline_kernelINS0_14default_configENS1_38merge_sort_block_merge_config_selectorIhlEEZZNS1_27merge_sort_block_merge_implIS3_PhN6thrust23THRUST_200600_302600_NS10device_ptrIlEEjNS1_19radix_merge_compareILb0ELb1EhNS0_19identity_decomposerEEEEE10hipError_tT0_T1_T2_jT3_P12ihipStream_tbPNSt15iterator_traitsISG_E10value_typeEPNSM_ISH_E10value_typeEPSI_NS1_7vsmem_tEENKUlT_SG_SH_SI_E_clIS7_S7_PlSB_EESF_SV_SG_SH_SI_EUlSV_E_NS1_11comp_targetILNS1_3genE2ELNS1_11target_archE906ELNS1_3gpuE6ELNS1_3repE0EEENS1_48merge_mergepath_partition_config_static_selectorELNS0_4arch9wavefront6targetE1EEEvSH_
	.p2align	8
	.type	_ZN7rocprim17ROCPRIM_400000_NS6detail17trampoline_kernelINS0_14default_configENS1_38merge_sort_block_merge_config_selectorIhlEEZZNS1_27merge_sort_block_merge_implIS3_PhN6thrust23THRUST_200600_302600_NS10device_ptrIlEEjNS1_19radix_merge_compareILb0ELb1EhNS0_19identity_decomposerEEEEE10hipError_tT0_T1_T2_jT3_P12ihipStream_tbPNSt15iterator_traitsISG_E10value_typeEPNSM_ISH_E10value_typeEPSI_NS1_7vsmem_tEENKUlT_SG_SH_SI_E_clIS7_S7_PlSB_EESF_SV_SG_SH_SI_EUlSV_E_NS1_11comp_targetILNS1_3genE2ELNS1_11target_archE906ELNS1_3gpuE6ELNS1_3repE0EEENS1_48merge_mergepath_partition_config_static_selectorELNS0_4arch9wavefront6targetE1EEEvSH_,@function
_ZN7rocprim17ROCPRIM_400000_NS6detail17trampoline_kernelINS0_14default_configENS1_38merge_sort_block_merge_config_selectorIhlEEZZNS1_27merge_sort_block_merge_implIS3_PhN6thrust23THRUST_200600_302600_NS10device_ptrIlEEjNS1_19radix_merge_compareILb0ELb1EhNS0_19identity_decomposerEEEEE10hipError_tT0_T1_T2_jT3_P12ihipStream_tbPNSt15iterator_traitsISG_E10value_typeEPNSM_ISH_E10value_typeEPSI_NS1_7vsmem_tEENKUlT_SG_SH_SI_E_clIS7_S7_PlSB_EESF_SV_SG_SH_SI_EUlSV_E_NS1_11comp_targetILNS1_3genE2ELNS1_11target_archE906ELNS1_3gpuE6ELNS1_3repE0EEENS1_48merge_mergepath_partition_config_static_selectorELNS0_4arch9wavefront6targetE1EEEvSH_: ; @_ZN7rocprim17ROCPRIM_400000_NS6detail17trampoline_kernelINS0_14default_configENS1_38merge_sort_block_merge_config_selectorIhlEEZZNS1_27merge_sort_block_merge_implIS3_PhN6thrust23THRUST_200600_302600_NS10device_ptrIlEEjNS1_19radix_merge_compareILb0ELb1EhNS0_19identity_decomposerEEEEE10hipError_tT0_T1_T2_jT3_P12ihipStream_tbPNSt15iterator_traitsISG_E10value_typeEPNSM_ISH_E10value_typeEPSI_NS1_7vsmem_tEENKUlT_SG_SH_SI_E_clIS7_S7_PlSB_EESF_SV_SG_SH_SI_EUlSV_E_NS1_11comp_targetILNS1_3genE2ELNS1_11target_archE906ELNS1_3gpuE6ELNS1_3repE0EEENS1_48merge_mergepath_partition_config_static_selectorELNS0_4arch9wavefront6targetE1EEEvSH_
; %bb.0:
	.section	.rodata,"a",@progbits
	.p2align	6, 0x0
	.amdhsa_kernel _ZN7rocprim17ROCPRIM_400000_NS6detail17trampoline_kernelINS0_14default_configENS1_38merge_sort_block_merge_config_selectorIhlEEZZNS1_27merge_sort_block_merge_implIS3_PhN6thrust23THRUST_200600_302600_NS10device_ptrIlEEjNS1_19radix_merge_compareILb0ELb1EhNS0_19identity_decomposerEEEEE10hipError_tT0_T1_T2_jT3_P12ihipStream_tbPNSt15iterator_traitsISG_E10value_typeEPNSM_ISH_E10value_typeEPSI_NS1_7vsmem_tEENKUlT_SG_SH_SI_E_clIS7_S7_PlSB_EESF_SV_SG_SH_SI_EUlSV_E_NS1_11comp_targetILNS1_3genE2ELNS1_11target_archE906ELNS1_3gpuE6ELNS1_3repE0EEENS1_48merge_mergepath_partition_config_static_selectorELNS0_4arch9wavefront6targetE1EEEvSH_
		.amdhsa_group_segment_fixed_size 0
		.amdhsa_private_segment_fixed_size 0
		.amdhsa_kernarg_size 40
		.amdhsa_user_sgpr_count 6
		.amdhsa_user_sgpr_private_segment_buffer 1
		.amdhsa_user_sgpr_dispatch_ptr 0
		.amdhsa_user_sgpr_queue_ptr 0
		.amdhsa_user_sgpr_kernarg_segment_ptr 1
		.amdhsa_user_sgpr_dispatch_id 0
		.amdhsa_user_sgpr_flat_scratch_init 0
		.amdhsa_user_sgpr_kernarg_preload_length 0
		.amdhsa_user_sgpr_kernarg_preload_offset 0
		.amdhsa_user_sgpr_private_segment_size 0
		.amdhsa_uses_dynamic_stack 0
		.amdhsa_system_sgpr_private_segment_wavefront_offset 0
		.amdhsa_system_sgpr_workgroup_id_x 1
		.amdhsa_system_sgpr_workgroup_id_y 0
		.amdhsa_system_sgpr_workgroup_id_z 0
		.amdhsa_system_sgpr_workgroup_info 0
		.amdhsa_system_vgpr_workitem_id 0
		.amdhsa_next_free_vgpr 1
		.amdhsa_next_free_sgpr 0
		.amdhsa_accum_offset 4
		.amdhsa_reserve_vcc 0
		.amdhsa_reserve_flat_scratch 0
		.amdhsa_float_round_mode_32 0
		.amdhsa_float_round_mode_16_64 0
		.amdhsa_float_denorm_mode_32 3
		.amdhsa_float_denorm_mode_16_64 3
		.amdhsa_dx10_clamp 1
		.amdhsa_ieee_mode 1
		.amdhsa_fp16_overflow 0
		.amdhsa_tg_split 0
		.amdhsa_exception_fp_ieee_invalid_op 0
		.amdhsa_exception_fp_denorm_src 0
		.amdhsa_exception_fp_ieee_div_zero 0
		.amdhsa_exception_fp_ieee_overflow 0
		.amdhsa_exception_fp_ieee_underflow 0
		.amdhsa_exception_fp_ieee_inexact 0
		.amdhsa_exception_int_div_zero 0
	.end_amdhsa_kernel
	.section	.text._ZN7rocprim17ROCPRIM_400000_NS6detail17trampoline_kernelINS0_14default_configENS1_38merge_sort_block_merge_config_selectorIhlEEZZNS1_27merge_sort_block_merge_implIS3_PhN6thrust23THRUST_200600_302600_NS10device_ptrIlEEjNS1_19radix_merge_compareILb0ELb1EhNS0_19identity_decomposerEEEEE10hipError_tT0_T1_T2_jT3_P12ihipStream_tbPNSt15iterator_traitsISG_E10value_typeEPNSM_ISH_E10value_typeEPSI_NS1_7vsmem_tEENKUlT_SG_SH_SI_E_clIS7_S7_PlSB_EESF_SV_SG_SH_SI_EUlSV_E_NS1_11comp_targetILNS1_3genE2ELNS1_11target_archE906ELNS1_3gpuE6ELNS1_3repE0EEENS1_48merge_mergepath_partition_config_static_selectorELNS0_4arch9wavefront6targetE1EEEvSH_,"axG",@progbits,_ZN7rocprim17ROCPRIM_400000_NS6detail17trampoline_kernelINS0_14default_configENS1_38merge_sort_block_merge_config_selectorIhlEEZZNS1_27merge_sort_block_merge_implIS3_PhN6thrust23THRUST_200600_302600_NS10device_ptrIlEEjNS1_19radix_merge_compareILb0ELb1EhNS0_19identity_decomposerEEEEE10hipError_tT0_T1_T2_jT3_P12ihipStream_tbPNSt15iterator_traitsISG_E10value_typeEPNSM_ISH_E10value_typeEPSI_NS1_7vsmem_tEENKUlT_SG_SH_SI_E_clIS7_S7_PlSB_EESF_SV_SG_SH_SI_EUlSV_E_NS1_11comp_targetILNS1_3genE2ELNS1_11target_archE906ELNS1_3gpuE6ELNS1_3repE0EEENS1_48merge_mergepath_partition_config_static_selectorELNS0_4arch9wavefront6targetE1EEEvSH_,comdat
.Lfunc_end194:
	.size	_ZN7rocprim17ROCPRIM_400000_NS6detail17trampoline_kernelINS0_14default_configENS1_38merge_sort_block_merge_config_selectorIhlEEZZNS1_27merge_sort_block_merge_implIS3_PhN6thrust23THRUST_200600_302600_NS10device_ptrIlEEjNS1_19radix_merge_compareILb0ELb1EhNS0_19identity_decomposerEEEEE10hipError_tT0_T1_T2_jT3_P12ihipStream_tbPNSt15iterator_traitsISG_E10value_typeEPNSM_ISH_E10value_typeEPSI_NS1_7vsmem_tEENKUlT_SG_SH_SI_E_clIS7_S7_PlSB_EESF_SV_SG_SH_SI_EUlSV_E_NS1_11comp_targetILNS1_3genE2ELNS1_11target_archE906ELNS1_3gpuE6ELNS1_3repE0EEENS1_48merge_mergepath_partition_config_static_selectorELNS0_4arch9wavefront6targetE1EEEvSH_, .Lfunc_end194-_ZN7rocprim17ROCPRIM_400000_NS6detail17trampoline_kernelINS0_14default_configENS1_38merge_sort_block_merge_config_selectorIhlEEZZNS1_27merge_sort_block_merge_implIS3_PhN6thrust23THRUST_200600_302600_NS10device_ptrIlEEjNS1_19radix_merge_compareILb0ELb1EhNS0_19identity_decomposerEEEEE10hipError_tT0_T1_T2_jT3_P12ihipStream_tbPNSt15iterator_traitsISG_E10value_typeEPNSM_ISH_E10value_typeEPSI_NS1_7vsmem_tEENKUlT_SG_SH_SI_E_clIS7_S7_PlSB_EESF_SV_SG_SH_SI_EUlSV_E_NS1_11comp_targetILNS1_3genE2ELNS1_11target_archE906ELNS1_3gpuE6ELNS1_3repE0EEENS1_48merge_mergepath_partition_config_static_selectorELNS0_4arch9wavefront6targetE1EEEvSH_
                                        ; -- End function
	.section	.AMDGPU.csdata,"",@progbits
; Kernel info:
; codeLenInByte = 0
; NumSgprs: 4
; NumVgprs: 0
; NumAgprs: 0
; TotalNumVgprs: 0
; ScratchSize: 0
; MemoryBound: 0
; FloatMode: 240
; IeeeMode: 1
; LDSByteSize: 0 bytes/workgroup (compile time only)
; SGPRBlocks: 0
; VGPRBlocks: 0
; NumSGPRsForWavesPerEU: 4
; NumVGPRsForWavesPerEU: 1
; AccumOffset: 4
; Occupancy: 8
; WaveLimiterHint : 0
; COMPUTE_PGM_RSRC2:SCRATCH_EN: 0
; COMPUTE_PGM_RSRC2:USER_SGPR: 6
; COMPUTE_PGM_RSRC2:TRAP_HANDLER: 0
; COMPUTE_PGM_RSRC2:TGID_X_EN: 1
; COMPUTE_PGM_RSRC2:TGID_Y_EN: 0
; COMPUTE_PGM_RSRC2:TGID_Z_EN: 0
; COMPUTE_PGM_RSRC2:TIDIG_COMP_CNT: 0
; COMPUTE_PGM_RSRC3_GFX90A:ACCUM_OFFSET: 0
; COMPUTE_PGM_RSRC3_GFX90A:TG_SPLIT: 0
	.section	.text._ZN7rocprim17ROCPRIM_400000_NS6detail17trampoline_kernelINS0_14default_configENS1_38merge_sort_block_merge_config_selectorIhlEEZZNS1_27merge_sort_block_merge_implIS3_PhN6thrust23THRUST_200600_302600_NS10device_ptrIlEEjNS1_19radix_merge_compareILb0ELb1EhNS0_19identity_decomposerEEEEE10hipError_tT0_T1_T2_jT3_P12ihipStream_tbPNSt15iterator_traitsISG_E10value_typeEPNSM_ISH_E10value_typeEPSI_NS1_7vsmem_tEENKUlT_SG_SH_SI_E_clIS7_S7_PlSB_EESF_SV_SG_SH_SI_EUlSV_E_NS1_11comp_targetILNS1_3genE9ELNS1_11target_archE1100ELNS1_3gpuE3ELNS1_3repE0EEENS1_48merge_mergepath_partition_config_static_selectorELNS0_4arch9wavefront6targetE1EEEvSH_,"axG",@progbits,_ZN7rocprim17ROCPRIM_400000_NS6detail17trampoline_kernelINS0_14default_configENS1_38merge_sort_block_merge_config_selectorIhlEEZZNS1_27merge_sort_block_merge_implIS3_PhN6thrust23THRUST_200600_302600_NS10device_ptrIlEEjNS1_19radix_merge_compareILb0ELb1EhNS0_19identity_decomposerEEEEE10hipError_tT0_T1_T2_jT3_P12ihipStream_tbPNSt15iterator_traitsISG_E10value_typeEPNSM_ISH_E10value_typeEPSI_NS1_7vsmem_tEENKUlT_SG_SH_SI_E_clIS7_S7_PlSB_EESF_SV_SG_SH_SI_EUlSV_E_NS1_11comp_targetILNS1_3genE9ELNS1_11target_archE1100ELNS1_3gpuE3ELNS1_3repE0EEENS1_48merge_mergepath_partition_config_static_selectorELNS0_4arch9wavefront6targetE1EEEvSH_,comdat
	.protected	_ZN7rocprim17ROCPRIM_400000_NS6detail17trampoline_kernelINS0_14default_configENS1_38merge_sort_block_merge_config_selectorIhlEEZZNS1_27merge_sort_block_merge_implIS3_PhN6thrust23THRUST_200600_302600_NS10device_ptrIlEEjNS1_19radix_merge_compareILb0ELb1EhNS0_19identity_decomposerEEEEE10hipError_tT0_T1_T2_jT3_P12ihipStream_tbPNSt15iterator_traitsISG_E10value_typeEPNSM_ISH_E10value_typeEPSI_NS1_7vsmem_tEENKUlT_SG_SH_SI_E_clIS7_S7_PlSB_EESF_SV_SG_SH_SI_EUlSV_E_NS1_11comp_targetILNS1_3genE9ELNS1_11target_archE1100ELNS1_3gpuE3ELNS1_3repE0EEENS1_48merge_mergepath_partition_config_static_selectorELNS0_4arch9wavefront6targetE1EEEvSH_ ; -- Begin function _ZN7rocprim17ROCPRIM_400000_NS6detail17trampoline_kernelINS0_14default_configENS1_38merge_sort_block_merge_config_selectorIhlEEZZNS1_27merge_sort_block_merge_implIS3_PhN6thrust23THRUST_200600_302600_NS10device_ptrIlEEjNS1_19radix_merge_compareILb0ELb1EhNS0_19identity_decomposerEEEEE10hipError_tT0_T1_T2_jT3_P12ihipStream_tbPNSt15iterator_traitsISG_E10value_typeEPNSM_ISH_E10value_typeEPSI_NS1_7vsmem_tEENKUlT_SG_SH_SI_E_clIS7_S7_PlSB_EESF_SV_SG_SH_SI_EUlSV_E_NS1_11comp_targetILNS1_3genE9ELNS1_11target_archE1100ELNS1_3gpuE3ELNS1_3repE0EEENS1_48merge_mergepath_partition_config_static_selectorELNS0_4arch9wavefront6targetE1EEEvSH_
	.globl	_ZN7rocprim17ROCPRIM_400000_NS6detail17trampoline_kernelINS0_14default_configENS1_38merge_sort_block_merge_config_selectorIhlEEZZNS1_27merge_sort_block_merge_implIS3_PhN6thrust23THRUST_200600_302600_NS10device_ptrIlEEjNS1_19radix_merge_compareILb0ELb1EhNS0_19identity_decomposerEEEEE10hipError_tT0_T1_T2_jT3_P12ihipStream_tbPNSt15iterator_traitsISG_E10value_typeEPNSM_ISH_E10value_typeEPSI_NS1_7vsmem_tEENKUlT_SG_SH_SI_E_clIS7_S7_PlSB_EESF_SV_SG_SH_SI_EUlSV_E_NS1_11comp_targetILNS1_3genE9ELNS1_11target_archE1100ELNS1_3gpuE3ELNS1_3repE0EEENS1_48merge_mergepath_partition_config_static_selectorELNS0_4arch9wavefront6targetE1EEEvSH_
	.p2align	8
	.type	_ZN7rocprim17ROCPRIM_400000_NS6detail17trampoline_kernelINS0_14default_configENS1_38merge_sort_block_merge_config_selectorIhlEEZZNS1_27merge_sort_block_merge_implIS3_PhN6thrust23THRUST_200600_302600_NS10device_ptrIlEEjNS1_19radix_merge_compareILb0ELb1EhNS0_19identity_decomposerEEEEE10hipError_tT0_T1_T2_jT3_P12ihipStream_tbPNSt15iterator_traitsISG_E10value_typeEPNSM_ISH_E10value_typeEPSI_NS1_7vsmem_tEENKUlT_SG_SH_SI_E_clIS7_S7_PlSB_EESF_SV_SG_SH_SI_EUlSV_E_NS1_11comp_targetILNS1_3genE9ELNS1_11target_archE1100ELNS1_3gpuE3ELNS1_3repE0EEENS1_48merge_mergepath_partition_config_static_selectorELNS0_4arch9wavefront6targetE1EEEvSH_,@function
_ZN7rocprim17ROCPRIM_400000_NS6detail17trampoline_kernelINS0_14default_configENS1_38merge_sort_block_merge_config_selectorIhlEEZZNS1_27merge_sort_block_merge_implIS3_PhN6thrust23THRUST_200600_302600_NS10device_ptrIlEEjNS1_19radix_merge_compareILb0ELb1EhNS0_19identity_decomposerEEEEE10hipError_tT0_T1_T2_jT3_P12ihipStream_tbPNSt15iterator_traitsISG_E10value_typeEPNSM_ISH_E10value_typeEPSI_NS1_7vsmem_tEENKUlT_SG_SH_SI_E_clIS7_S7_PlSB_EESF_SV_SG_SH_SI_EUlSV_E_NS1_11comp_targetILNS1_3genE9ELNS1_11target_archE1100ELNS1_3gpuE3ELNS1_3repE0EEENS1_48merge_mergepath_partition_config_static_selectorELNS0_4arch9wavefront6targetE1EEEvSH_: ; @_ZN7rocprim17ROCPRIM_400000_NS6detail17trampoline_kernelINS0_14default_configENS1_38merge_sort_block_merge_config_selectorIhlEEZZNS1_27merge_sort_block_merge_implIS3_PhN6thrust23THRUST_200600_302600_NS10device_ptrIlEEjNS1_19radix_merge_compareILb0ELb1EhNS0_19identity_decomposerEEEEE10hipError_tT0_T1_T2_jT3_P12ihipStream_tbPNSt15iterator_traitsISG_E10value_typeEPNSM_ISH_E10value_typeEPSI_NS1_7vsmem_tEENKUlT_SG_SH_SI_E_clIS7_S7_PlSB_EESF_SV_SG_SH_SI_EUlSV_E_NS1_11comp_targetILNS1_3genE9ELNS1_11target_archE1100ELNS1_3gpuE3ELNS1_3repE0EEENS1_48merge_mergepath_partition_config_static_selectorELNS0_4arch9wavefront6targetE1EEEvSH_
; %bb.0:
	.section	.rodata,"a",@progbits
	.p2align	6, 0x0
	.amdhsa_kernel _ZN7rocprim17ROCPRIM_400000_NS6detail17trampoline_kernelINS0_14default_configENS1_38merge_sort_block_merge_config_selectorIhlEEZZNS1_27merge_sort_block_merge_implIS3_PhN6thrust23THRUST_200600_302600_NS10device_ptrIlEEjNS1_19radix_merge_compareILb0ELb1EhNS0_19identity_decomposerEEEEE10hipError_tT0_T1_T2_jT3_P12ihipStream_tbPNSt15iterator_traitsISG_E10value_typeEPNSM_ISH_E10value_typeEPSI_NS1_7vsmem_tEENKUlT_SG_SH_SI_E_clIS7_S7_PlSB_EESF_SV_SG_SH_SI_EUlSV_E_NS1_11comp_targetILNS1_3genE9ELNS1_11target_archE1100ELNS1_3gpuE3ELNS1_3repE0EEENS1_48merge_mergepath_partition_config_static_selectorELNS0_4arch9wavefront6targetE1EEEvSH_
		.amdhsa_group_segment_fixed_size 0
		.amdhsa_private_segment_fixed_size 0
		.amdhsa_kernarg_size 40
		.amdhsa_user_sgpr_count 6
		.amdhsa_user_sgpr_private_segment_buffer 1
		.amdhsa_user_sgpr_dispatch_ptr 0
		.amdhsa_user_sgpr_queue_ptr 0
		.amdhsa_user_sgpr_kernarg_segment_ptr 1
		.amdhsa_user_sgpr_dispatch_id 0
		.amdhsa_user_sgpr_flat_scratch_init 0
		.amdhsa_user_sgpr_kernarg_preload_length 0
		.amdhsa_user_sgpr_kernarg_preload_offset 0
		.amdhsa_user_sgpr_private_segment_size 0
		.amdhsa_uses_dynamic_stack 0
		.amdhsa_system_sgpr_private_segment_wavefront_offset 0
		.amdhsa_system_sgpr_workgroup_id_x 1
		.amdhsa_system_sgpr_workgroup_id_y 0
		.amdhsa_system_sgpr_workgroup_id_z 0
		.amdhsa_system_sgpr_workgroup_info 0
		.amdhsa_system_vgpr_workitem_id 0
		.amdhsa_next_free_vgpr 1
		.amdhsa_next_free_sgpr 0
		.amdhsa_accum_offset 4
		.amdhsa_reserve_vcc 0
		.amdhsa_reserve_flat_scratch 0
		.amdhsa_float_round_mode_32 0
		.amdhsa_float_round_mode_16_64 0
		.amdhsa_float_denorm_mode_32 3
		.amdhsa_float_denorm_mode_16_64 3
		.amdhsa_dx10_clamp 1
		.amdhsa_ieee_mode 1
		.amdhsa_fp16_overflow 0
		.amdhsa_tg_split 0
		.amdhsa_exception_fp_ieee_invalid_op 0
		.amdhsa_exception_fp_denorm_src 0
		.amdhsa_exception_fp_ieee_div_zero 0
		.amdhsa_exception_fp_ieee_overflow 0
		.amdhsa_exception_fp_ieee_underflow 0
		.amdhsa_exception_fp_ieee_inexact 0
		.amdhsa_exception_int_div_zero 0
	.end_amdhsa_kernel
	.section	.text._ZN7rocprim17ROCPRIM_400000_NS6detail17trampoline_kernelINS0_14default_configENS1_38merge_sort_block_merge_config_selectorIhlEEZZNS1_27merge_sort_block_merge_implIS3_PhN6thrust23THRUST_200600_302600_NS10device_ptrIlEEjNS1_19radix_merge_compareILb0ELb1EhNS0_19identity_decomposerEEEEE10hipError_tT0_T1_T2_jT3_P12ihipStream_tbPNSt15iterator_traitsISG_E10value_typeEPNSM_ISH_E10value_typeEPSI_NS1_7vsmem_tEENKUlT_SG_SH_SI_E_clIS7_S7_PlSB_EESF_SV_SG_SH_SI_EUlSV_E_NS1_11comp_targetILNS1_3genE9ELNS1_11target_archE1100ELNS1_3gpuE3ELNS1_3repE0EEENS1_48merge_mergepath_partition_config_static_selectorELNS0_4arch9wavefront6targetE1EEEvSH_,"axG",@progbits,_ZN7rocprim17ROCPRIM_400000_NS6detail17trampoline_kernelINS0_14default_configENS1_38merge_sort_block_merge_config_selectorIhlEEZZNS1_27merge_sort_block_merge_implIS3_PhN6thrust23THRUST_200600_302600_NS10device_ptrIlEEjNS1_19radix_merge_compareILb0ELb1EhNS0_19identity_decomposerEEEEE10hipError_tT0_T1_T2_jT3_P12ihipStream_tbPNSt15iterator_traitsISG_E10value_typeEPNSM_ISH_E10value_typeEPSI_NS1_7vsmem_tEENKUlT_SG_SH_SI_E_clIS7_S7_PlSB_EESF_SV_SG_SH_SI_EUlSV_E_NS1_11comp_targetILNS1_3genE9ELNS1_11target_archE1100ELNS1_3gpuE3ELNS1_3repE0EEENS1_48merge_mergepath_partition_config_static_selectorELNS0_4arch9wavefront6targetE1EEEvSH_,comdat
.Lfunc_end195:
	.size	_ZN7rocprim17ROCPRIM_400000_NS6detail17trampoline_kernelINS0_14default_configENS1_38merge_sort_block_merge_config_selectorIhlEEZZNS1_27merge_sort_block_merge_implIS3_PhN6thrust23THRUST_200600_302600_NS10device_ptrIlEEjNS1_19radix_merge_compareILb0ELb1EhNS0_19identity_decomposerEEEEE10hipError_tT0_T1_T2_jT3_P12ihipStream_tbPNSt15iterator_traitsISG_E10value_typeEPNSM_ISH_E10value_typeEPSI_NS1_7vsmem_tEENKUlT_SG_SH_SI_E_clIS7_S7_PlSB_EESF_SV_SG_SH_SI_EUlSV_E_NS1_11comp_targetILNS1_3genE9ELNS1_11target_archE1100ELNS1_3gpuE3ELNS1_3repE0EEENS1_48merge_mergepath_partition_config_static_selectorELNS0_4arch9wavefront6targetE1EEEvSH_, .Lfunc_end195-_ZN7rocprim17ROCPRIM_400000_NS6detail17trampoline_kernelINS0_14default_configENS1_38merge_sort_block_merge_config_selectorIhlEEZZNS1_27merge_sort_block_merge_implIS3_PhN6thrust23THRUST_200600_302600_NS10device_ptrIlEEjNS1_19radix_merge_compareILb0ELb1EhNS0_19identity_decomposerEEEEE10hipError_tT0_T1_T2_jT3_P12ihipStream_tbPNSt15iterator_traitsISG_E10value_typeEPNSM_ISH_E10value_typeEPSI_NS1_7vsmem_tEENKUlT_SG_SH_SI_E_clIS7_S7_PlSB_EESF_SV_SG_SH_SI_EUlSV_E_NS1_11comp_targetILNS1_3genE9ELNS1_11target_archE1100ELNS1_3gpuE3ELNS1_3repE0EEENS1_48merge_mergepath_partition_config_static_selectorELNS0_4arch9wavefront6targetE1EEEvSH_
                                        ; -- End function
	.section	.AMDGPU.csdata,"",@progbits
; Kernel info:
; codeLenInByte = 0
; NumSgprs: 4
; NumVgprs: 0
; NumAgprs: 0
; TotalNumVgprs: 0
; ScratchSize: 0
; MemoryBound: 0
; FloatMode: 240
; IeeeMode: 1
; LDSByteSize: 0 bytes/workgroup (compile time only)
; SGPRBlocks: 0
; VGPRBlocks: 0
; NumSGPRsForWavesPerEU: 4
; NumVGPRsForWavesPerEU: 1
; AccumOffset: 4
; Occupancy: 8
; WaveLimiterHint : 0
; COMPUTE_PGM_RSRC2:SCRATCH_EN: 0
; COMPUTE_PGM_RSRC2:USER_SGPR: 6
; COMPUTE_PGM_RSRC2:TRAP_HANDLER: 0
; COMPUTE_PGM_RSRC2:TGID_X_EN: 1
; COMPUTE_PGM_RSRC2:TGID_Y_EN: 0
; COMPUTE_PGM_RSRC2:TGID_Z_EN: 0
; COMPUTE_PGM_RSRC2:TIDIG_COMP_CNT: 0
; COMPUTE_PGM_RSRC3_GFX90A:ACCUM_OFFSET: 0
; COMPUTE_PGM_RSRC3_GFX90A:TG_SPLIT: 0
	.section	.text._ZN7rocprim17ROCPRIM_400000_NS6detail17trampoline_kernelINS0_14default_configENS1_38merge_sort_block_merge_config_selectorIhlEEZZNS1_27merge_sort_block_merge_implIS3_PhN6thrust23THRUST_200600_302600_NS10device_ptrIlEEjNS1_19radix_merge_compareILb0ELb1EhNS0_19identity_decomposerEEEEE10hipError_tT0_T1_T2_jT3_P12ihipStream_tbPNSt15iterator_traitsISG_E10value_typeEPNSM_ISH_E10value_typeEPSI_NS1_7vsmem_tEENKUlT_SG_SH_SI_E_clIS7_S7_PlSB_EESF_SV_SG_SH_SI_EUlSV_E_NS1_11comp_targetILNS1_3genE8ELNS1_11target_archE1030ELNS1_3gpuE2ELNS1_3repE0EEENS1_48merge_mergepath_partition_config_static_selectorELNS0_4arch9wavefront6targetE1EEEvSH_,"axG",@progbits,_ZN7rocprim17ROCPRIM_400000_NS6detail17trampoline_kernelINS0_14default_configENS1_38merge_sort_block_merge_config_selectorIhlEEZZNS1_27merge_sort_block_merge_implIS3_PhN6thrust23THRUST_200600_302600_NS10device_ptrIlEEjNS1_19radix_merge_compareILb0ELb1EhNS0_19identity_decomposerEEEEE10hipError_tT0_T1_T2_jT3_P12ihipStream_tbPNSt15iterator_traitsISG_E10value_typeEPNSM_ISH_E10value_typeEPSI_NS1_7vsmem_tEENKUlT_SG_SH_SI_E_clIS7_S7_PlSB_EESF_SV_SG_SH_SI_EUlSV_E_NS1_11comp_targetILNS1_3genE8ELNS1_11target_archE1030ELNS1_3gpuE2ELNS1_3repE0EEENS1_48merge_mergepath_partition_config_static_selectorELNS0_4arch9wavefront6targetE1EEEvSH_,comdat
	.protected	_ZN7rocprim17ROCPRIM_400000_NS6detail17trampoline_kernelINS0_14default_configENS1_38merge_sort_block_merge_config_selectorIhlEEZZNS1_27merge_sort_block_merge_implIS3_PhN6thrust23THRUST_200600_302600_NS10device_ptrIlEEjNS1_19radix_merge_compareILb0ELb1EhNS0_19identity_decomposerEEEEE10hipError_tT0_T1_T2_jT3_P12ihipStream_tbPNSt15iterator_traitsISG_E10value_typeEPNSM_ISH_E10value_typeEPSI_NS1_7vsmem_tEENKUlT_SG_SH_SI_E_clIS7_S7_PlSB_EESF_SV_SG_SH_SI_EUlSV_E_NS1_11comp_targetILNS1_3genE8ELNS1_11target_archE1030ELNS1_3gpuE2ELNS1_3repE0EEENS1_48merge_mergepath_partition_config_static_selectorELNS0_4arch9wavefront6targetE1EEEvSH_ ; -- Begin function _ZN7rocprim17ROCPRIM_400000_NS6detail17trampoline_kernelINS0_14default_configENS1_38merge_sort_block_merge_config_selectorIhlEEZZNS1_27merge_sort_block_merge_implIS3_PhN6thrust23THRUST_200600_302600_NS10device_ptrIlEEjNS1_19radix_merge_compareILb0ELb1EhNS0_19identity_decomposerEEEEE10hipError_tT0_T1_T2_jT3_P12ihipStream_tbPNSt15iterator_traitsISG_E10value_typeEPNSM_ISH_E10value_typeEPSI_NS1_7vsmem_tEENKUlT_SG_SH_SI_E_clIS7_S7_PlSB_EESF_SV_SG_SH_SI_EUlSV_E_NS1_11comp_targetILNS1_3genE8ELNS1_11target_archE1030ELNS1_3gpuE2ELNS1_3repE0EEENS1_48merge_mergepath_partition_config_static_selectorELNS0_4arch9wavefront6targetE1EEEvSH_
	.globl	_ZN7rocprim17ROCPRIM_400000_NS6detail17trampoline_kernelINS0_14default_configENS1_38merge_sort_block_merge_config_selectorIhlEEZZNS1_27merge_sort_block_merge_implIS3_PhN6thrust23THRUST_200600_302600_NS10device_ptrIlEEjNS1_19radix_merge_compareILb0ELb1EhNS0_19identity_decomposerEEEEE10hipError_tT0_T1_T2_jT3_P12ihipStream_tbPNSt15iterator_traitsISG_E10value_typeEPNSM_ISH_E10value_typeEPSI_NS1_7vsmem_tEENKUlT_SG_SH_SI_E_clIS7_S7_PlSB_EESF_SV_SG_SH_SI_EUlSV_E_NS1_11comp_targetILNS1_3genE8ELNS1_11target_archE1030ELNS1_3gpuE2ELNS1_3repE0EEENS1_48merge_mergepath_partition_config_static_selectorELNS0_4arch9wavefront6targetE1EEEvSH_
	.p2align	8
	.type	_ZN7rocprim17ROCPRIM_400000_NS6detail17trampoline_kernelINS0_14default_configENS1_38merge_sort_block_merge_config_selectorIhlEEZZNS1_27merge_sort_block_merge_implIS3_PhN6thrust23THRUST_200600_302600_NS10device_ptrIlEEjNS1_19radix_merge_compareILb0ELb1EhNS0_19identity_decomposerEEEEE10hipError_tT0_T1_T2_jT3_P12ihipStream_tbPNSt15iterator_traitsISG_E10value_typeEPNSM_ISH_E10value_typeEPSI_NS1_7vsmem_tEENKUlT_SG_SH_SI_E_clIS7_S7_PlSB_EESF_SV_SG_SH_SI_EUlSV_E_NS1_11comp_targetILNS1_3genE8ELNS1_11target_archE1030ELNS1_3gpuE2ELNS1_3repE0EEENS1_48merge_mergepath_partition_config_static_selectorELNS0_4arch9wavefront6targetE1EEEvSH_,@function
_ZN7rocprim17ROCPRIM_400000_NS6detail17trampoline_kernelINS0_14default_configENS1_38merge_sort_block_merge_config_selectorIhlEEZZNS1_27merge_sort_block_merge_implIS3_PhN6thrust23THRUST_200600_302600_NS10device_ptrIlEEjNS1_19radix_merge_compareILb0ELb1EhNS0_19identity_decomposerEEEEE10hipError_tT0_T1_T2_jT3_P12ihipStream_tbPNSt15iterator_traitsISG_E10value_typeEPNSM_ISH_E10value_typeEPSI_NS1_7vsmem_tEENKUlT_SG_SH_SI_E_clIS7_S7_PlSB_EESF_SV_SG_SH_SI_EUlSV_E_NS1_11comp_targetILNS1_3genE8ELNS1_11target_archE1030ELNS1_3gpuE2ELNS1_3repE0EEENS1_48merge_mergepath_partition_config_static_selectorELNS0_4arch9wavefront6targetE1EEEvSH_: ; @_ZN7rocprim17ROCPRIM_400000_NS6detail17trampoline_kernelINS0_14default_configENS1_38merge_sort_block_merge_config_selectorIhlEEZZNS1_27merge_sort_block_merge_implIS3_PhN6thrust23THRUST_200600_302600_NS10device_ptrIlEEjNS1_19radix_merge_compareILb0ELb1EhNS0_19identity_decomposerEEEEE10hipError_tT0_T1_T2_jT3_P12ihipStream_tbPNSt15iterator_traitsISG_E10value_typeEPNSM_ISH_E10value_typeEPSI_NS1_7vsmem_tEENKUlT_SG_SH_SI_E_clIS7_S7_PlSB_EESF_SV_SG_SH_SI_EUlSV_E_NS1_11comp_targetILNS1_3genE8ELNS1_11target_archE1030ELNS1_3gpuE2ELNS1_3repE0EEENS1_48merge_mergepath_partition_config_static_selectorELNS0_4arch9wavefront6targetE1EEEvSH_
; %bb.0:
	.section	.rodata,"a",@progbits
	.p2align	6, 0x0
	.amdhsa_kernel _ZN7rocprim17ROCPRIM_400000_NS6detail17trampoline_kernelINS0_14default_configENS1_38merge_sort_block_merge_config_selectorIhlEEZZNS1_27merge_sort_block_merge_implIS3_PhN6thrust23THRUST_200600_302600_NS10device_ptrIlEEjNS1_19radix_merge_compareILb0ELb1EhNS0_19identity_decomposerEEEEE10hipError_tT0_T1_T2_jT3_P12ihipStream_tbPNSt15iterator_traitsISG_E10value_typeEPNSM_ISH_E10value_typeEPSI_NS1_7vsmem_tEENKUlT_SG_SH_SI_E_clIS7_S7_PlSB_EESF_SV_SG_SH_SI_EUlSV_E_NS1_11comp_targetILNS1_3genE8ELNS1_11target_archE1030ELNS1_3gpuE2ELNS1_3repE0EEENS1_48merge_mergepath_partition_config_static_selectorELNS0_4arch9wavefront6targetE1EEEvSH_
		.amdhsa_group_segment_fixed_size 0
		.amdhsa_private_segment_fixed_size 0
		.amdhsa_kernarg_size 40
		.amdhsa_user_sgpr_count 6
		.amdhsa_user_sgpr_private_segment_buffer 1
		.amdhsa_user_sgpr_dispatch_ptr 0
		.amdhsa_user_sgpr_queue_ptr 0
		.amdhsa_user_sgpr_kernarg_segment_ptr 1
		.amdhsa_user_sgpr_dispatch_id 0
		.amdhsa_user_sgpr_flat_scratch_init 0
		.amdhsa_user_sgpr_kernarg_preload_length 0
		.amdhsa_user_sgpr_kernarg_preload_offset 0
		.amdhsa_user_sgpr_private_segment_size 0
		.amdhsa_uses_dynamic_stack 0
		.amdhsa_system_sgpr_private_segment_wavefront_offset 0
		.amdhsa_system_sgpr_workgroup_id_x 1
		.amdhsa_system_sgpr_workgroup_id_y 0
		.amdhsa_system_sgpr_workgroup_id_z 0
		.amdhsa_system_sgpr_workgroup_info 0
		.amdhsa_system_vgpr_workitem_id 0
		.amdhsa_next_free_vgpr 1
		.amdhsa_next_free_sgpr 0
		.amdhsa_accum_offset 4
		.amdhsa_reserve_vcc 0
		.amdhsa_reserve_flat_scratch 0
		.amdhsa_float_round_mode_32 0
		.amdhsa_float_round_mode_16_64 0
		.amdhsa_float_denorm_mode_32 3
		.amdhsa_float_denorm_mode_16_64 3
		.amdhsa_dx10_clamp 1
		.amdhsa_ieee_mode 1
		.amdhsa_fp16_overflow 0
		.amdhsa_tg_split 0
		.amdhsa_exception_fp_ieee_invalid_op 0
		.amdhsa_exception_fp_denorm_src 0
		.amdhsa_exception_fp_ieee_div_zero 0
		.amdhsa_exception_fp_ieee_overflow 0
		.amdhsa_exception_fp_ieee_underflow 0
		.amdhsa_exception_fp_ieee_inexact 0
		.amdhsa_exception_int_div_zero 0
	.end_amdhsa_kernel
	.section	.text._ZN7rocprim17ROCPRIM_400000_NS6detail17trampoline_kernelINS0_14default_configENS1_38merge_sort_block_merge_config_selectorIhlEEZZNS1_27merge_sort_block_merge_implIS3_PhN6thrust23THRUST_200600_302600_NS10device_ptrIlEEjNS1_19radix_merge_compareILb0ELb1EhNS0_19identity_decomposerEEEEE10hipError_tT0_T1_T2_jT3_P12ihipStream_tbPNSt15iterator_traitsISG_E10value_typeEPNSM_ISH_E10value_typeEPSI_NS1_7vsmem_tEENKUlT_SG_SH_SI_E_clIS7_S7_PlSB_EESF_SV_SG_SH_SI_EUlSV_E_NS1_11comp_targetILNS1_3genE8ELNS1_11target_archE1030ELNS1_3gpuE2ELNS1_3repE0EEENS1_48merge_mergepath_partition_config_static_selectorELNS0_4arch9wavefront6targetE1EEEvSH_,"axG",@progbits,_ZN7rocprim17ROCPRIM_400000_NS6detail17trampoline_kernelINS0_14default_configENS1_38merge_sort_block_merge_config_selectorIhlEEZZNS1_27merge_sort_block_merge_implIS3_PhN6thrust23THRUST_200600_302600_NS10device_ptrIlEEjNS1_19radix_merge_compareILb0ELb1EhNS0_19identity_decomposerEEEEE10hipError_tT0_T1_T2_jT3_P12ihipStream_tbPNSt15iterator_traitsISG_E10value_typeEPNSM_ISH_E10value_typeEPSI_NS1_7vsmem_tEENKUlT_SG_SH_SI_E_clIS7_S7_PlSB_EESF_SV_SG_SH_SI_EUlSV_E_NS1_11comp_targetILNS1_3genE8ELNS1_11target_archE1030ELNS1_3gpuE2ELNS1_3repE0EEENS1_48merge_mergepath_partition_config_static_selectorELNS0_4arch9wavefront6targetE1EEEvSH_,comdat
.Lfunc_end196:
	.size	_ZN7rocprim17ROCPRIM_400000_NS6detail17trampoline_kernelINS0_14default_configENS1_38merge_sort_block_merge_config_selectorIhlEEZZNS1_27merge_sort_block_merge_implIS3_PhN6thrust23THRUST_200600_302600_NS10device_ptrIlEEjNS1_19radix_merge_compareILb0ELb1EhNS0_19identity_decomposerEEEEE10hipError_tT0_T1_T2_jT3_P12ihipStream_tbPNSt15iterator_traitsISG_E10value_typeEPNSM_ISH_E10value_typeEPSI_NS1_7vsmem_tEENKUlT_SG_SH_SI_E_clIS7_S7_PlSB_EESF_SV_SG_SH_SI_EUlSV_E_NS1_11comp_targetILNS1_3genE8ELNS1_11target_archE1030ELNS1_3gpuE2ELNS1_3repE0EEENS1_48merge_mergepath_partition_config_static_selectorELNS0_4arch9wavefront6targetE1EEEvSH_, .Lfunc_end196-_ZN7rocprim17ROCPRIM_400000_NS6detail17trampoline_kernelINS0_14default_configENS1_38merge_sort_block_merge_config_selectorIhlEEZZNS1_27merge_sort_block_merge_implIS3_PhN6thrust23THRUST_200600_302600_NS10device_ptrIlEEjNS1_19radix_merge_compareILb0ELb1EhNS0_19identity_decomposerEEEEE10hipError_tT0_T1_T2_jT3_P12ihipStream_tbPNSt15iterator_traitsISG_E10value_typeEPNSM_ISH_E10value_typeEPSI_NS1_7vsmem_tEENKUlT_SG_SH_SI_E_clIS7_S7_PlSB_EESF_SV_SG_SH_SI_EUlSV_E_NS1_11comp_targetILNS1_3genE8ELNS1_11target_archE1030ELNS1_3gpuE2ELNS1_3repE0EEENS1_48merge_mergepath_partition_config_static_selectorELNS0_4arch9wavefront6targetE1EEEvSH_
                                        ; -- End function
	.section	.AMDGPU.csdata,"",@progbits
; Kernel info:
; codeLenInByte = 0
; NumSgprs: 4
; NumVgprs: 0
; NumAgprs: 0
; TotalNumVgprs: 0
; ScratchSize: 0
; MemoryBound: 0
; FloatMode: 240
; IeeeMode: 1
; LDSByteSize: 0 bytes/workgroup (compile time only)
; SGPRBlocks: 0
; VGPRBlocks: 0
; NumSGPRsForWavesPerEU: 4
; NumVGPRsForWavesPerEU: 1
; AccumOffset: 4
; Occupancy: 8
; WaveLimiterHint : 0
; COMPUTE_PGM_RSRC2:SCRATCH_EN: 0
; COMPUTE_PGM_RSRC2:USER_SGPR: 6
; COMPUTE_PGM_RSRC2:TRAP_HANDLER: 0
; COMPUTE_PGM_RSRC2:TGID_X_EN: 1
; COMPUTE_PGM_RSRC2:TGID_Y_EN: 0
; COMPUTE_PGM_RSRC2:TGID_Z_EN: 0
; COMPUTE_PGM_RSRC2:TIDIG_COMP_CNT: 0
; COMPUTE_PGM_RSRC3_GFX90A:ACCUM_OFFSET: 0
; COMPUTE_PGM_RSRC3_GFX90A:TG_SPLIT: 0
	.section	.text._ZN7rocprim17ROCPRIM_400000_NS6detail17trampoline_kernelINS0_14default_configENS1_38merge_sort_block_merge_config_selectorIhlEEZZNS1_27merge_sort_block_merge_implIS3_PhN6thrust23THRUST_200600_302600_NS10device_ptrIlEEjNS1_19radix_merge_compareILb0ELb1EhNS0_19identity_decomposerEEEEE10hipError_tT0_T1_T2_jT3_P12ihipStream_tbPNSt15iterator_traitsISG_E10value_typeEPNSM_ISH_E10value_typeEPSI_NS1_7vsmem_tEENKUlT_SG_SH_SI_E_clIS7_S7_PlSB_EESF_SV_SG_SH_SI_EUlSV_E0_NS1_11comp_targetILNS1_3genE0ELNS1_11target_archE4294967295ELNS1_3gpuE0ELNS1_3repE0EEENS1_38merge_mergepath_config_static_selectorELNS0_4arch9wavefront6targetE1EEEvSH_,"axG",@progbits,_ZN7rocprim17ROCPRIM_400000_NS6detail17trampoline_kernelINS0_14default_configENS1_38merge_sort_block_merge_config_selectorIhlEEZZNS1_27merge_sort_block_merge_implIS3_PhN6thrust23THRUST_200600_302600_NS10device_ptrIlEEjNS1_19radix_merge_compareILb0ELb1EhNS0_19identity_decomposerEEEEE10hipError_tT0_T1_T2_jT3_P12ihipStream_tbPNSt15iterator_traitsISG_E10value_typeEPNSM_ISH_E10value_typeEPSI_NS1_7vsmem_tEENKUlT_SG_SH_SI_E_clIS7_S7_PlSB_EESF_SV_SG_SH_SI_EUlSV_E0_NS1_11comp_targetILNS1_3genE0ELNS1_11target_archE4294967295ELNS1_3gpuE0ELNS1_3repE0EEENS1_38merge_mergepath_config_static_selectorELNS0_4arch9wavefront6targetE1EEEvSH_,comdat
	.protected	_ZN7rocprim17ROCPRIM_400000_NS6detail17trampoline_kernelINS0_14default_configENS1_38merge_sort_block_merge_config_selectorIhlEEZZNS1_27merge_sort_block_merge_implIS3_PhN6thrust23THRUST_200600_302600_NS10device_ptrIlEEjNS1_19radix_merge_compareILb0ELb1EhNS0_19identity_decomposerEEEEE10hipError_tT0_T1_T2_jT3_P12ihipStream_tbPNSt15iterator_traitsISG_E10value_typeEPNSM_ISH_E10value_typeEPSI_NS1_7vsmem_tEENKUlT_SG_SH_SI_E_clIS7_S7_PlSB_EESF_SV_SG_SH_SI_EUlSV_E0_NS1_11comp_targetILNS1_3genE0ELNS1_11target_archE4294967295ELNS1_3gpuE0ELNS1_3repE0EEENS1_38merge_mergepath_config_static_selectorELNS0_4arch9wavefront6targetE1EEEvSH_ ; -- Begin function _ZN7rocprim17ROCPRIM_400000_NS6detail17trampoline_kernelINS0_14default_configENS1_38merge_sort_block_merge_config_selectorIhlEEZZNS1_27merge_sort_block_merge_implIS3_PhN6thrust23THRUST_200600_302600_NS10device_ptrIlEEjNS1_19radix_merge_compareILb0ELb1EhNS0_19identity_decomposerEEEEE10hipError_tT0_T1_T2_jT3_P12ihipStream_tbPNSt15iterator_traitsISG_E10value_typeEPNSM_ISH_E10value_typeEPSI_NS1_7vsmem_tEENKUlT_SG_SH_SI_E_clIS7_S7_PlSB_EESF_SV_SG_SH_SI_EUlSV_E0_NS1_11comp_targetILNS1_3genE0ELNS1_11target_archE4294967295ELNS1_3gpuE0ELNS1_3repE0EEENS1_38merge_mergepath_config_static_selectorELNS0_4arch9wavefront6targetE1EEEvSH_
	.globl	_ZN7rocprim17ROCPRIM_400000_NS6detail17trampoline_kernelINS0_14default_configENS1_38merge_sort_block_merge_config_selectorIhlEEZZNS1_27merge_sort_block_merge_implIS3_PhN6thrust23THRUST_200600_302600_NS10device_ptrIlEEjNS1_19radix_merge_compareILb0ELb1EhNS0_19identity_decomposerEEEEE10hipError_tT0_T1_T2_jT3_P12ihipStream_tbPNSt15iterator_traitsISG_E10value_typeEPNSM_ISH_E10value_typeEPSI_NS1_7vsmem_tEENKUlT_SG_SH_SI_E_clIS7_S7_PlSB_EESF_SV_SG_SH_SI_EUlSV_E0_NS1_11comp_targetILNS1_3genE0ELNS1_11target_archE4294967295ELNS1_3gpuE0ELNS1_3repE0EEENS1_38merge_mergepath_config_static_selectorELNS0_4arch9wavefront6targetE1EEEvSH_
	.p2align	8
	.type	_ZN7rocprim17ROCPRIM_400000_NS6detail17trampoline_kernelINS0_14default_configENS1_38merge_sort_block_merge_config_selectorIhlEEZZNS1_27merge_sort_block_merge_implIS3_PhN6thrust23THRUST_200600_302600_NS10device_ptrIlEEjNS1_19radix_merge_compareILb0ELb1EhNS0_19identity_decomposerEEEEE10hipError_tT0_T1_T2_jT3_P12ihipStream_tbPNSt15iterator_traitsISG_E10value_typeEPNSM_ISH_E10value_typeEPSI_NS1_7vsmem_tEENKUlT_SG_SH_SI_E_clIS7_S7_PlSB_EESF_SV_SG_SH_SI_EUlSV_E0_NS1_11comp_targetILNS1_3genE0ELNS1_11target_archE4294967295ELNS1_3gpuE0ELNS1_3repE0EEENS1_38merge_mergepath_config_static_selectorELNS0_4arch9wavefront6targetE1EEEvSH_,@function
_ZN7rocprim17ROCPRIM_400000_NS6detail17trampoline_kernelINS0_14default_configENS1_38merge_sort_block_merge_config_selectorIhlEEZZNS1_27merge_sort_block_merge_implIS3_PhN6thrust23THRUST_200600_302600_NS10device_ptrIlEEjNS1_19radix_merge_compareILb0ELb1EhNS0_19identity_decomposerEEEEE10hipError_tT0_T1_T2_jT3_P12ihipStream_tbPNSt15iterator_traitsISG_E10value_typeEPNSM_ISH_E10value_typeEPSI_NS1_7vsmem_tEENKUlT_SG_SH_SI_E_clIS7_S7_PlSB_EESF_SV_SG_SH_SI_EUlSV_E0_NS1_11comp_targetILNS1_3genE0ELNS1_11target_archE4294967295ELNS1_3gpuE0ELNS1_3repE0EEENS1_38merge_mergepath_config_static_selectorELNS0_4arch9wavefront6targetE1EEEvSH_: ; @_ZN7rocprim17ROCPRIM_400000_NS6detail17trampoline_kernelINS0_14default_configENS1_38merge_sort_block_merge_config_selectorIhlEEZZNS1_27merge_sort_block_merge_implIS3_PhN6thrust23THRUST_200600_302600_NS10device_ptrIlEEjNS1_19radix_merge_compareILb0ELb1EhNS0_19identity_decomposerEEEEE10hipError_tT0_T1_T2_jT3_P12ihipStream_tbPNSt15iterator_traitsISG_E10value_typeEPNSM_ISH_E10value_typeEPSI_NS1_7vsmem_tEENKUlT_SG_SH_SI_E_clIS7_S7_PlSB_EESF_SV_SG_SH_SI_EUlSV_E0_NS1_11comp_targetILNS1_3genE0ELNS1_11target_archE4294967295ELNS1_3gpuE0ELNS1_3repE0EEENS1_38merge_mergepath_config_static_selectorELNS0_4arch9wavefront6targetE1EEEvSH_
; %bb.0:
	.section	.rodata,"a",@progbits
	.p2align	6, 0x0
	.amdhsa_kernel _ZN7rocprim17ROCPRIM_400000_NS6detail17trampoline_kernelINS0_14default_configENS1_38merge_sort_block_merge_config_selectorIhlEEZZNS1_27merge_sort_block_merge_implIS3_PhN6thrust23THRUST_200600_302600_NS10device_ptrIlEEjNS1_19radix_merge_compareILb0ELb1EhNS0_19identity_decomposerEEEEE10hipError_tT0_T1_T2_jT3_P12ihipStream_tbPNSt15iterator_traitsISG_E10value_typeEPNSM_ISH_E10value_typeEPSI_NS1_7vsmem_tEENKUlT_SG_SH_SI_E_clIS7_S7_PlSB_EESF_SV_SG_SH_SI_EUlSV_E0_NS1_11comp_targetILNS1_3genE0ELNS1_11target_archE4294967295ELNS1_3gpuE0ELNS1_3repE0EEENS1_38merge_mergepath_config_static_selectorELNS0_4arch9wavefront6targetE1EEEvSH_
		.amdhsa_group_segment_fixed_size 0
		.amdhsa_private_segment_fixed_size 0
		.amdhsa_kernarg_size 64
		.amdhsa_user_sgpr_count 6
		.amdhsa_user_sgpr_private_segment_buffer 1
		.amdhsa_user_sgpr_dispatch_ptr 0
		.amdhsa_user_sgpr_queue_ptr 0
		.amdhsa_user_sgpr_kernarg_segment_ptr 1
		.amdhsa_user_sgpr_dispatch_id 0
		.amdhsa_user_sgpr_flat_scratch_init 0
		.amdhsa_user_sgpr_kernarg_preload_length 0
		.amdhsa_user_sgpr_kernarg_preload_offset 0
		.amdhsa_user_sgpr_private_segment_size 0
		.amdhsa_uses_dynamic_stack 0
		.amdhsa_system_sgpr_private_segment_wavefront_offset 0
		.amdhsa_system_sgpr_workgroup_id_x 1
		.amdhsa_system_sgpr_workgroup_id_y 0
		.amdhsa_system_sgpr_workgroup_id_z 0
		.amdhsa_system_sgpr_workgroup_info 0
		.amdhsa_system_vgpr_workitem_id 0
		.amdhsa_next_free_vgpr 1
		.amdhsa_next_free_sgpr 0
		.amdhsa_accum_offset 4
		.amdhsa_reserve_vcc 0
		.amdhsa_reserve_flat_scratch 0
		.amdhsa_float_round_mode_32 0
		.amdhsa_float_round_mode_16_64 0
		.amdhsa_float_denorm_mode_32 3
		.amdhsa_float_denorm_mode_16_64 3
		.amdhsa_dx10_clamp 1
		.amdhsa_ieee_mode 1
		.amdhsa_fp16_overflow 0
		.amdhsa_tg_split 0
		.amdhsa_exception_fp_ieee_invalid_op 0
		.amdhsa_exception_fp_denorm_src 0
		.amdhsa_exception_fp_ieee_div_zero 0
		.amdhsa_exception_fp_ieee_overflow 0
		.amdhsa_exception_fp_ieee_underflow 0
		.amdhsa_exception_fp_ieee_inexact 0
		.amdhsa_exception_int_div_zero 0
	.end_amdhsa_kernel
	.section	.text._ZN7rocprim17ROCPRIM_400000_NS6detail17trampoline_kernelINS0_14default_configENS1_38merge_sort_block_merge_config_selectorIhlEEZZNS1_27merge_sort_block_merge_implIS3_PhN6thrust23THRUST_200600_302600_NS10device_ptrIlEEjNS1_19radix_merge_compareILb0ELb1EhNS0_19identity_decomposerEEEEE10hipError_tT0_T1_T2_jT3_P12ihipStream_tbPNSt15iterator_traitsISG_E10value_typeEPNSM_ISH_E10value_typeEPSI_NS1_7vsmem_tEENKUlT_SG_SH_SI_E_clIS7_S7_PlSB_EESF_SV_SG_SH_SI_EUlSV_E0_NS1_11comp_targetILNS1_3genE0ELNS1_11target_archE4294967295ELNS1_3gpuE0ELNS1_3repE0EEENS1_38merge_mergepath_config_static_selectorELNS0_4arch9wavefront6targetE1EEEvSH_,"axG",@progbits,_ZN7rocprim17ROCPRIM_400000_NS6detail17trampoline_kernelINS0_14default_configENS1_38merge_sort_block_merge_config_selectorIhlEEZZNS1_27merge_sort_block_merge_implIS3_PhN6thrust23THRUST_200600_302600_NS10device_ptrIlEEjNS1_19radix_merge_compareILb0ELb1EhNS0_19identity_decomposerEEEEE10hipError_tT0_T1_T2_jT3_P12ihipStream_tbPNSt15iterator_traitsISG_E10value_typeEPNSM_ISH_E10value_typeEPSI_NS1_7vsmem_tEENKUlT_SG_SH_SI_E_clIS7_S7_PlSB_EESF_SV_SG_SH_SI_EUlSV_E0_NS1_11comp_targetILNS1_3genE0ELNS1_11target_archE4294967295ELNS1_3gpuE0ELNS1_3repE0EEENS1_38merge_mergepath_config_static_selectorELNS0_4arch9wavefront6targetE1EEEvSH_,comdat
.Lfunc_end197:
	.size	_ZN7rocprim17ROCPRIM_400000_NS6detail17trampoline_kernelINS0_14default_configENS1_38merge_sort_block_merge_config_selectorIhlEEZZNS1_27merge_sort_block_merge_implIS3_PhN6thrust23THRUST_200600_302600_NS10device_ptrIlEEjNS1_19radix_merge_compareILb0ELb1EhNS0_19identity_decomposerEEEEE10hipError_tT0_T1_T2_jT3_P12ihipStream_tbPNSt15iterator_traitsISG_E10value_typeEPNSM_ISH_E10value_typeEPSI_NS1_7vsmem_tEENKUlT_SG_SH_SI_E_clIS7_S7_PlSB_EESF_SV_SG_SH_SI_EUlSV_E0_NS1_11comp_targetILNS1_3genE0ELNS1_11target_archE4294967295ELNS1_3gpuE0ELNS1_3repE0EEENS1_38merge_mergepath_config_static_selectorELNS0_4arch9wavefront6targetE1EEEvSH_, .Lfunc_end197-_ZN7rocprim17ROCPRIM_400000_NS6detail17trampoline_kernelINS0_14default_configENS1_38merge_sort_block_merge_config_selectorIhlEEZZNS1_27merge_sort_block_merge_implIS3_PhN6thrust23THRUST_200600_302600_NS10device_ptrIlEEjNS1_19radix_merge_compareILb0ELb1EhNS0_19identity_decomposerEEEEE10hipError_tT0_T1_T2_jT3_P12ihipStream_tbPNSt15iterator_traitsISG_E10value_typeEPNSM_ISH_E10value_typeEPSI_NS1_7vsmem_tEENKUlT_SG_SH_SI_E_clIS7_S7_PlSB_EESF_SV_SG_SH_SI_EUlSV_E0_NS1_11comp_targetILNS1_3genE0ELNS1_11target_archE4294967295ELNS1_3gpuE0ELNS1_3repE0EEENS1_38merge_mergepath_config_static_selectorELNS0_4arch9wavefront6targetE1EEEvSH_
                                        ; -- End function
	.section	.AMDGPU.csdata,"",@progbits
; Kernel info:
; codeLenInByte = 0
; NumSgprs: 4
; NumVgprs: 0
; NumAgprs: 0
; TotalNumVgprs: 0
; ScratchSize: 0
; MemoryBound: 0
; FloatMode: 240
; IeeeMode: 1
; LDSByteSize: 0 bytes/workgroup (compile time only)
; SGPRBlocks: 0
; VGPRBlocks: 0
; NumSGPRsForWavesPerEU: 4
; NumVGPRsForWavesPerEU: 1
; AccumOffset: 4
; Occupancy: 8
; WaveLimiterHint : 0
; COMPUTE_PGM_RSRC2:SCRATCH_EN: 0
; COMPUTE_PGM_RSRC2:USER_SGPR: 6
; COMPUTE_PGM_RSRC2:TRAP_HANDLER: 0
; COMPUTE_PGM_RSRC2:TGID_X_EN: 1
; COMPUTE_PGM_RSRC2:TGID_Y_EN: 0
; COMPUTE_PGM_RSRC2:TGID_Z_EN: 0
; COMPUTE_PGM_RSRC2:TIDIG_COMP_CNT: 0
; COMPUTE_PGM_RSRC3_GFX90A:ACCUM_OFFSET: 0
; COMPUTE_PGM_RSRC3_GFX90A:TG_SPLIT: 0
	.section	.text._ZN7rocprim17ROCPRIM_400000_NS6detail17trampoline_kernelINS0_14default_configENS1_38merge_sort_block_merge_config_selectorIhlEEZZNS1_27merge_sort_block_merge_implIS3_PhN6thrust23THRUST_200600_302600_NS10device_ptrIlEEjNS1_19radix_merge_compareILb0ELb1EhNS0_19identity_decomposerEEEEE10hipError_tT0_T1_T2_jT3_P12ihipStream_tbPNSt15iterator_traitsISG_E10value_typeEPNSM_ISH_E10value_typeEPSI_NS1_7vsmem_tEENKUlT_SG_SH_SI_E_clIS7_S7_PlSB_EESF_SV_SG_SH_SI_EUlSV_E0_NS1_11comp_targetILNS1_3genE10ELNS1_11target_archE1201ELNS1_3gpuE5ELNS1_3repE0EEENS1_38merge_mergepath_config_static_selectorELNS0_4arch9wavefront6targetE1EEEvSH_,"axG",@progbits,_ZN7rocprim17ROCPRIM_400000_NS6detail17trampoline_kernelINS0_14default_configENS1_38merge_sort_block_merge_config_selectorIhlEEZZNS1_27merge_sort_block_merge_implIS3_PhN6thrust23THRUST_200600_302600_NS10device_ptrIlEEjNS1_19radix_merge_compareILb0ELb1EhNS0_19identity_decomposerEEEEE10hipError_tT0_T1_T2_jT3_P12ihipStream_tbPNSt15iterator_traitsISG_E10value_typeEPNSM_ISH_E10value_typeEPSI_NS1_7vsmem_tEENKUlT_SG_SH_SI_E_clIS7_S7_PlSB_EESF_SV_SG_SH_SI_EUlSV_E0_NS1_11comp_targetILNS1_3genE10ELNS1_11target_archE1201ELNS1_3gpuE5ELNS1_3repE0EEENS1_38merge_mergepath_config_static_selectorELNS0_4arch9wavefront6targetE1EEEvSH_,comdat
	.protected	_ZN7rocprim17ROCPRIM_400000_NS6detail17trampoline_kernelINS0_14default_configENS1_38merge_sort_block_merge_config_selectorIhlEEZZNS1_27merge_sort_block_merge_implIS3_PhN6thrust23THRUST_200600_302600_NS10device_ptrIlEEjNS1_19radix_merge_compareILb0ELb1EhNS0_19identity_decomposerEEEEE10hipError_tT0_T1_T2_jT3_P12ihipStream_tbPNSt15iterator_traitsISG_E10value_typeEPNSM_ISH_E10value_typeEPSI_NS1_7vsmem_tEENKUlT_SG_SH_SI_E_clIS7_S7_PlSB_EESF_SV_SG_SH_SI_EUlSV_E0_NS1_11comp_targetILNS1_3genE10ELNS1_11target_archE1201ELNS1_3gpuE5ELNS1_3repE0EEENS1_38merge_mergepath_config_static_selectorELNS0_4arch9wavefront6targetE1EEEvSH_ ; -- Begin function _ZN7rocprim17ROCPRIM_400000_NS6detail17trampoline_kernelINS0_14default_configENS1_38merge_sort_block_merge_config_selectorIhlEEZZNS1_27merge_sort_block_merge_implIS3_PhN6thrust23THRUST_200600_302600_NS10device_ptrIlEEjNS1_19radix_merge_compareILb0ELb1EhNS0_19identity_decomposerEEEEE10hipError_tT0_T1_T2_jT3_P12ihipStream_tbPNSt15iterator_traitsISG_E10value_typeEPNSM_ISH_E10value_typeEPSI_NS1_7vsmem_tEENKUlT_SG_SH_SI_E_clIS7_S7_PlSB_EESF_SV_SG_SH_SI_EUlSV_E0_NS1_11comp_targetILNS1_3genE10ELNS1_11target_archE1201ELNS1_3gpuE5ELNS1_3repE0EEENS1_38merge_mergepath_config_static_selectorELNS0_4arch9wavefront6targetE1EEEvSH_
	.globl	_ZN7rocprim17ROCPRIM_400000_NS6detail17trampoline_kernelINS0_14default_configENS1_38merge_sort_block_merge_config_selectorIhlEEZZNS1_27merge_sort_block_merge_implIS3_PhN6thrust23THRUST_200600_302600_NS10device_ptrIlEEjNS1_19radix_merge_compareILb0ELb1EhNS0_19identity_decomposerEEEEE10hipError_tT0_T1_T2_jT3_P12ihipStream_tbPNSt15iterator_traitsISG_E10value_typeEPNSM_ISH_E10value_typeEPSI_NS1_7vsmem_tEENKUlT_SG_SH_SI_E_clIS7_S7_PlSB_EESF_SV_SG_SH_SI_EUlSV_E0_NS1_11comp_targetILNS1_3genE10ELNS1_11target_archE1201ELNS1_3gpuE5ELNS1_3repE0EEENS1_38merge_mergepath_config_static_selectorELNS0_4arch9wavefront6targetE1EEEvSH_
	.p2align	8
	.type	_ZN7rocprim17ROCPRIM_400000_NS6detail17trampoline_kernelINS0_14default_configENS1_38merge_sort_block_merge_config_selectorIhlEEZZNS1_27merge_sort_block_merge_implIS3_PhN6thrust23THRUST_200600_302600_NS10device_ptrIlEEjNS1_19radix_merge_compareILb0ELb1EhNS0_19identity_decomposerEEEEE10hipError_tT0_T1_T2_jT3_P12ihipStream_tbPNSt15iterator_traitsISG_E10value_typeEPNSM_ISH_E10value_typeEPSI_NS1_7vsmem_tEENKUlT_SG_SH_SI_E_clIS7_S7_PlSB_EESF_SV_SG_SH_SI_EUlSV_E0_NS1_11comp_targetILNS1_3genE10ELNS1_11target_archE1201ELNS1_3gpuE5ELNS1_3repE0EEENS1_38merge_mergepath_config_static_selectorELNS0_4arch9wavefront6targetE1EEEvSH_,@function
_ZN7rocprim17ROCPRIM_400000_NS6detail17trampoline_kernelINS0_14default_configENS1_38merge_sort_block_merge_config_selectorIhlEEZZNS1_27merge_sort_block_merge_implIS3_PhN6thrust23THRUST_200600_302600_NS10device_ptrIlEEjNS1_19radix_merge_compareILb0ELb1EhNS0_19identity_decomposerEEEEE10hipError_tT0_T1_T2_jT3_P12ihipStream_tbPNSt15iterator_traitsISG_E10value_typeEPNSM_ISH_E10value_typeEPSI_NS1_7vsmem_tEENKUlT_SG_SH_SI_E_clIS7_S7_PlSB_EESF_SV_SG_SH_SI_EUlSV_E0_NS1_11comp_targetILNS1_3genE10ELNS1_11target_archE1201ELNS1_3gpuE5ELNS1_3repE0EEENS1_38merge_mergepath_config_static_selectorELNS0_4arch9wavefront6targetE1EEEvSH_: ; @_ZN7rocprim17ROCPRIM_400000_NS6detail17trampoline_kernelINS0_14default_configENS1_38merge_sort_block_merge_config_selectorIhlEEZZNS1_27merge_sort_block_merge_implIS3_PhN6thrust23THRUST_200600_302600_NS10device_ptrIlEEjNS1_19radix_merge_compareILb0ELb1EhNS0_19identity_decomposerEEEEE10hipError_tT0_T1_T2_jT3_P12ihipStream_tbPNSt15iterator_traitsISG_E10value_typeEPNSM_ISH_E10value_typeEPSI_NS1_7vsmem_tEENKUlT_SG_SH_SI_E_clIS7_S7_PlSB_EESF_SV_SG_SH_SI_EUlSV_E0_NS1_11comp_targetILNS1_3genE10ELNS1_11target_archE1201ELNS1_3gpuE5ELNS1_3repE0EEENS1_38merge_mergepath_config_static_selectorELNS0_4arch9wavefront6targetE1EEEvSH_
; %bb.0:
	.section	.rodata,"a",@progbits
	.p2align	6, 0x0
	.amdhsa_kernel _ZN7rocprim17ROCPRIM_400000_NS6detail17trampoline_kernelINS0_14default_configENS1_38merge_sort_block_merge_config_selectorIhlEEZZNS1_27merge_sort_block_merge_implIS3_PhN6thrust23THRUST_200600_302600_NS10device_ptrIlEEjNS1_19radix_merge_compareILb0ELb1EhNS0_19identity_decomposerEEEEE10hipError_tT0_T1_T2_jT3_P12ihipStream_tbPNSt15iterator_traitsISG_E10value_typeEPNSM_ISH_E10value_typeEPSI_NS1_7vsmem_tEENKUlT_SG_SH_SI_E_clIS7_S7_PlSB_EESF_SV_SG_SH_SI_EUlSV_E0_NS1_11comp_targetILNS1_3genE10ELNS1_11target_archE1201ELNS1_3gpuE5ELNS1_3repE0EEENS1_38merge_mergepath_config_static_selectorELNS0_4arch9wavefront6targetE1EEEvSH_
		.amdhsa_group_segment_fixed_size 0
		.amdhsa_private_segment_fixed_size 0
		.amdhsa_kernarg_size 64
		.amdhsa_user_sgpr_count 6
		.amdhsa_user_sgpr_private_segment_buffer 1
		.amdhsa_user_sgpr_dispatch_ptr 0
		.amdhsa_user_sgpr_queue_ptr 0
		.amdhsa_user_sgpr_kernarg_segment_ptr 1
		.amdhsa_user_sgpr_dispatch_id 0
		.amdhsa_user_sgpr_flat_scratch_init 0
		.amdhsa_user_sgpr_kernarg_preload_length 0
		.amdhsa_user_sgpr_kernarg_preload_offset 0
		.amdhsa_user_sgpr_private_segment_size 0
		.amdhsa_uses_dynamic_stack 0
		.amdhsa_system_sgpr_private_segment_wavefront_offset 0
		.amdhsa_system_sgpr_workgroup_id_x 1
		.amdhsa_system_sgpr_workgroup_id_y 0
		.amdhsa_system_sgpr_workgroup_id_z 0
		.amdhsa_system_sgpr_workgroup_info 0
		.amdhsa_system_vgpr_workitem_id 0
		.amdhsa_next_free_vgpr 1
		.amdhsa_next_free_sgpr 0
		.amdhsa_accum_offset 4
		.amdhsa_reserve_vcc 0
		.amdhsa_reserve_flat_scratch 0
		.amdhsa_float_round_mode_32 0
		.amdhsa_float_round_mode_16_64 0
		.amdhsa_float_denorm_mode_32 3
		.amdhsa_float_denorm_mode_16_64 3
		.amdhsa_dx10_clamp 1
		.amdhsa_ieee_mode 1
		.amdhsa_fp16_overflow 0
		.amdhsa_tg_split 0
		.amdhsa_exception_fp_ieee_invalid_op 0
		.amdhsa_exception_fp_denorm_src 0
		.amdhsa_exception_fp_ieee_div_zero 0
		.amdhsa_exception_fp_ieee_overflow 0
		.amdhsa_exception_fp_ieee_underflow 0
		.amdhsa_exception_fp_ieee_inexact 0
		.amdhsa_exception_int_div_zero 0
	.end_amdhsa_kernel
	.section	.text._ZN7rocprim17ROCPRIM_400000_NS6detail17trampoline_kernelINS0_14default_configENS1_38merge_sort_block_merge_config_selectorIhlEEZZNS1_27merge_sort_block_merge_implIS3_PhN6thrust23THRUST_200600_302600_NS10device_ptrIlEEjNS1_19radix_merge_compareILb0ELb1EhNS0_19identity_decomposerEEEEE10hipError_tT0_T1_T2_jT3_P12ihipStream_tbPNSt15iterator_traitsISG_E10value_typeEPNSM_ISH_E10value_typeEPSI_NS1_7vsmem_tEENKUlT_SG_SH_SI_E_clIS7_S7_PlSB_EESF_SV_SG_SH_SI_EUlSV_E0_NS1_11comp_targetILNS1_3genE10ELNS1_11target_archE1201ELNS1_3gpuE5ELNS1_3repE0EEENS1_38merge_mergepath_config_static_selectorELNS0_4arch9wavefront6targetE1EEEvSH_,"axG",@progbits,_ZN7rocprim17ROCPRIM_400000_NS6detail17trampoline_kernelINS0_14default_configENS1_38merge_sort_block_merge_config_selectorIhlEEZZNS1_27merge_sort_block_merge_implIS3_PhN6thrust23THRUST_200600_302600_NS10device_ptrIlEEjNS1_19radix_merge_compareILb0ELb1EhNS0_19identity_decomposerEEEEE10hipError_tT0_T1_T2_jT3_P12ihipStream_tbPNSt15iterator_traitsISG_E10value_typeEPNSM_ISH_E10value_typeEPSI_NS1_7vsmem_tEENKUlT_SG_SH_SI_E_clIS7_S7_PlSB_EESF_SV_SG_SH_SI_EUlSV_E0_NS1_11comp_targetILNS1_3genE10ELNS1_11target_archE1201ELNS1_3gpuE5ELNS1_3repE0EEENS1_38merge_mergepath_config_static_selectorELNS0_4arch9wavefront6targetE1EEEvSH_,comdat
.Lfunc_end198:
	.size	_ZN7rocprim17ROCPRIM_400000_NS6detail17trampoline_kernelINS0_14default_configENS1_38merge_sort_block_merge_config_selectorIhlEEZZNS1_27merge_sort_block_merge_implIS3_PhN6thrust23THRUST_200600_302600_NS10device_ptrIlEEjNS1_19radix_merge_compareILb0ELb1EhNS0_19identity_decomposerEEEEE10hipError_tT0_T1_T2_jT3_P12ihipStream_tbPNSt15iterator_traitsISG_E10value_typeEPNSM_ISH_E10value_typeEPSI_NS1_7vsmem_tEENKUlT_SG_SH_SI_E_clIS7_S7_PlSB_EESF_SV_SG_SH_SI_EUlSV_E0_NS1_11comp_targetILNS1_3genE10ELNS1_11target_archE1201ELNS1_3gpuE5ELNS1_3repE0EEENS1_38merge_mergepath_config_static_selectorELNS0_4arch9wavefront6targetE1EEEvSH_, .Lfunc_end198-_ZN7rocprim17ROCPRIM_400000_NS6detail17trampoline_kernelINS0_14default_configENS1_38merge_sort_block_merge_config_selectorIhlEEZZNS1_27merge_sort_block_merge_implIS3_PhN6thrust23THRUST_200600_302600_NS10device_ptrIlEEjNS1_19radix_merge_compareILb0ELb1EhNS0_19identity_decomposerEEEEE10hipError_tT0_T1_T2_jT3_P12ihipStream_tbPNSt15iterator_traitsISG_E10value_typeEPNSM_ISH_E10value_typeEPSI_NS1_7vsmem_tEENKUlT_SG_SH_SI_E_clIS7_S7_PlSB_EESF_SV_SG_SH_SI_EUlSV_E0_NS1_11comp_targetILNS1_3genE10ELNS1_11target_archE1201ELNS1_3gpuE5ELNS1_3repE0EEENS1_38merge_mergepath_config_static_selectorELNS0_4arch9wavefront6targetE1EEEvSH_
                                        ; -- End function
	.section	.AMDGPU.csdata,"",@progbits
; Kernel info:
; codeLenInByte = 0
; NumSgprs: 4
; NumVgprs: 0
; NumAgprs: 0
; TotalNumVgprs: 0
; ScratchSize: 0
; MemoryBound: 0
; FloatMode: 240
; IeeeMode: 1
; LDSByteSize: 0 bytes/workgroup (compile time only)
; SGPRBlocks: 0
; VGPRBlocks: 0
; NumSGPRsForWavesPerEU: 4
; NumVGPRsForWavesPerEU: 1
; AccumOffset: 4
; Occupancy: 8
; WaveLimiterHint : 0
; COMPUTE_PGM_RSRC2:SCRATCH_EN: 0
; COMPUTE_PGM_RSRC2:USER_SGPR: 6
; COMPUTE_PGM_RSRC2:TRAP_HANDLER: 0
; COMPUTE_PGM_RSRC2:TGID_X_EN: 1
; COMPUTE_PGM_RSRC2:TGID_Y_EN: 0
; COMPUTE_PGM_RSRC2:TGID_Z_EN: 0
; COMPUTE_PGM_RSRC2:TIDIG_COMP_CNT: 0
; COMPUTE_PGM_RSRC3_GFX90A:ACCUM_OFFSET: 0
; COMPUTE_PGM_RSRC3_GFX90A:TG_SPLIT: 0
	.section	.text._ZN7rocprim17ROCPRIM_400000_NS6detail17trampoline_kernelINS0_14default_configENS1_38merge_sort_block_merge_config_selectorIhlEEZZNS1_27merge_sort_block_merge_implIS3_PhN6thrust23THRUST_200600_302600_NS10device_ptrIlEEjNS1_19radix_merge_compareILb0ELb1EhNS0_19identity_decomposerEEEEE10hipError_tT0_T1_T2_jT3_P12ihipStream_tbPNSt15iterator_traitsISG_E10value_typeEPNSM_ISH_E10value_typeEPSI_NS1_7vsmem_tEENKUlT_SG_SH_SI_E_clIS7_S7_PlSB_EESF_SV_SG_SH_SI_EUlSV_E0_NS1_11comp_targetILNS1_3genE5ELNS1_11target_archE942ELNS1_3gpuE9ELNS1_3repE0EEENS1_38merge_mergepath_config_static_selectorELNS0_4arch9wavefront6targetE1EEEvSH_,"axG",@progbits,_ZN7rocprim17ROCPRIM_400000_NS6detail17trampoline_kernelINS0_14default_configENS1_38merge_sort_block_merge_config_selectorIhlEEZZNS1_27merge_sort_block_merge_implIS3_PhN6thrust23THRUST_200600_302600_NS10device_ptrIlEEjNS1_19radix_merge_compareILb0ELb1EhNS0_19identity_decomposerEEEEE10hipError_tT0_T1_T2_jT3_P12ihipStream_tbPNSt15iterator_traitsISG_E10value_typeEPNSM_ISH_E10value_typeEPSI_NS1_7vsmem_tEENKUlT_SG_SH_SI_E_clIS7_S7_PlSB_EESF_SV_SG_SH_SI_EUlSV_E0_NS1_11comp_targetILNS1_3genE5ELNS1_11target_archE942ELNS1_3gpuE9ELNS1_3repE0EEENS1_38merge_mergepath_config_static_selectorELNS0_4arch9wavefront6targetE1EEEvSH_,comdat
	.protected	_ZN7rocprim17ROCPRIM_400000_NS6detail17trampoline_kernelINS0_14default_configENS1_38merge_sort_block_merge_config_selectorIhlEEZZNS1_27merge_sort_block_merge_implIS3_PhN6thrust23THRUST_200600_302600_NS10device_ptrIlEEjNS1_19radix_merge_compareILb0ELb1EhNS0_19identity_decomposerEEEEE10hipError_tT0_T1_T2_jT3_P12ihipStream_tbPNSt15iterator_traitsISG_E10value_typeEPNSM_ISH_E10value_typeEPSI_NS1_7vsmem_tEENKUlT_SG_SH_SI_E_clIS7_S7_PlSB_EESF_SV_SG_SH_SI_EUlSV_E0_NS1_11comp_targetILNS1_3genE5ELNS1_11target_archE942ELNS1_3gpuE9ELNS1_3repE0EEENS1_38merge_mergepath_config_static_selectorELNS0_4arch9wavefront6targetE1EEEvSH_ ; -- Begin function _ZN7rocprim17ROCPRIM_400000_NS6detail17trampoline_kernelINS0_14default_configENS1_38merge_sort_block_merge_config_selectorIhlEEZZNS1_27merge_sort_block_merge_implIS3_PhN6thrust23THRUST_200600_302600_NS10device_ptrIlEEjNS1_19radix_merge_compareILb0ELb1EhNS0_19identity_decomposerEEEEE10hipError_tT0_T1_T2_jT3_P12ihipStream_tbPNSt15iterator_traitsISG_E10value_typeEPNSM_ISH_E10value_typeEPSI_NS1_7vsmem_tEENKUlT_SG_SH_SI_E_clIS7_S7_PlSB_EESF_SV_SG_SH_SI_EUlSV_E0_NS1_11comp_targetILNS1_3genE5ELNS1_11target_archE942ELNS1_3gpuE9ELNS1_3repE0EEENS1_38merge_mergepath_config_static_selectorELNS0_4arch9wavefront6targetE1EEEvSH_
	.globl	_ZN7rocprim17ROCPRIM_400000_NS6detail17trampoline_kernelINS0_14default_configENS1_38merge_sort_block_merge_config_selectorIhlEEZZNS1_27merge_sort_block_merge_implIS3_PhN6thrust23THRUST_200600_302600_NS10device_ptrIlEEjNS1_19radix_merge_compareILb0ELb1EhNS0_19identity_decomposerEEEEE10hipError_tT0_T1_T2_jT3_P12ihipStream_tbPNSt15iterator_traitsISG_E10value_typeEPNSM_ISH_E10value_typeEPSI_NS1_7vsmem_tEENKUlT_SG_SH_SI_E_clIS7_S7_PlSB_EESF_SV_SG_SH_SI_EUlSV_E0_NS1_11comp_targetILNS1_3genE5ELNS1_11target_archE942ELNS1_3gpuE9ELNS1_3repE0EEENS1_38merge_mergepath_config_static_selectorELNS0_4arch9wavefront6targetE1EEEvSH_
	.p2align	8
	.type	_ZN7rocprim17ROCPRIM_400000_NS6detail17trampoline_kernelINS0_14default_configENS1_38merge_sort_block_merge_config_selectorIhlEEZZNS1_27merge_sort_block_merge_implIS3_PhN6thrust23THRUST_200600_302600_NS10device_ptrIlEEjNS1_19radix_merge_compareILb0ELb1EhNS0_19identity_decomposerEEEEE10hipError_tT0_T1_T2_jT3_P12ihipStream_tbPNSt15iterator_traitsISG_E10value_typeEPNSM_ISH_E10value_typeEPSI_NS1_7vsmem_tEENKUlT_SG_SH_SI_E_clIS7_S7_PlSB_EESF_SV_SG_SH_SI_EUlSV_E0_NS1_11comp_targetILNS1_3genE5ELNS1_11target_archE942ELNS1_3gpuE9ELNS1_3repE0EEENS1_38merge_mergepath_config_static_selectorELNS0_4arch9wavefront6targetE1EEEvSH_,@function
_ZN7rocprim17ROCPRIM_400000_NS6detail17trampoline_kernelINS0_14default_configENS1_38merge_sort_block_merge_config_selectorIhlEEZZNS1_27merge_sort_block_merge_implIS3_PhN6thrust23THRUST_200600_302600_NS10device_ptrIlEEjNS1_19radix_merge_compareILb0ELb1EhNS0_19identity_decomposerEEEEE10hipError_tT0_T1_T2_jT3_P12ihipStream_tbPNSt15iterator_traitsISG_E10value_typeEPNSM_ISH_E10value_typeEPSI_NS1_7vsmem_tEENKUlT_SG_SH_SI_E_clIS7_S7_PlSB_EESF_SV_SG_SH_SI_EUlSV_E0_NS1_11comp_targetILNS1_3genE5ELNS1_11target_archE942ELNS1_3gpuE9ELNS1_3repE0EEENS1_38merge_mergepath_config_static_selectorELNS0_4arch9wavefront6targetE1EEEvSH_: ; @_ZN7rocprim17ROCPRIM_400000_NS6detail17trampoline_kernelINS0_14default_configENS1_38merge_sort_block_merge_config_selectorIhlEEZZNS1_27merge_sort_block_merge_implIS3_PhN6thrust23THRUST_200600_302600_NS10device_ptrIlEEjNS1_19radix_merge_compareILb0ELb1EhNS0_19identity_decomposerEEEEE10hipError_tT0_T1_T2_jT3_P12ihipStream_tbPNSt15iterator_traitsISG_E10value_typeEPNSM_ISH_E10value_typeEPSI_NS1_7vsmem_tEENKUlT_SG_SH_SI_E_clIS7_S7_PlSB_EESF_SV_SG_SH_SI_EUlSV_E0_NS1_11comp_targetILNS1_3genE5ELNS1_11target_archE942ELNS1_3gpuE9ELNS1_3repE0EEENS1_38merge_mergepath_config_static_selectorELNS0_4arch9wavefront6targetE1EEEvSH_
; %bb.0:
	.section	.rodata,"a",@progbits
	.p2align	6, 0x0
	.amdhsa_kernel _ZN7rocprim17ROCPRIM_400000_NS6detail17trampoline_kernelINS0_14default_configENS1_38merge_sort_block_merge_config_selectorIhlEEZZNS1_27merge_sort_block_merge_implIS3_PhN6thrust23THRUST_200600_302600_NS10device_ptrIlEEjNS1_19radix_merge_compareILb0ELb1EhNS0_19identity_decomposerEEEEE10hipError_tT0_T1_T2_jT3_P12ihipStream_tbPNSt15iterator_traitsISG_E10value_typeEPNSM_ISH_E10value_typeEPSI_NS1_7vsmem_tEENKUlT_SG_SH_SI_E_clIS7_S7_PlSB_EESF_SV_SG_SH_SI_EUlSV_E0_NS1_11comp_targetILNS1_3genE5ELNS1_11target_archE942ELNS1_3gpuE9ELNS1_3repE0EEENS1_38merge_mergepath_config_static_selectorELNS0_4arch9wavefront6targetE1EEEvSH_
		.amdhsa_group_segment_fixed_size 0
		.amdhsa_private_segment_fixed_size 0
		.amdhsa_kernarg_size 64
		.amdhsa_user_sgpr_count 6
		.amdhsa_user_sgpr_private_segment_buffer 1
		.amdhsa_user_sgpr_dispatch_ptr 0
		.amdhsa_user_sgpr_queue_ptr 0
		.amdhsa_user_sgpr_kernarg_segment_ptr 1
		.amdhsa_user_sgpr_dispatch_id 0
		.amdhsa_user_sgpr_flat_scratch_init 0
		.amdhsa_user_sgpr_kernarg_preload_length 0
		.amdhsa_user_sgpr_kernarg_preload_offset 0
		.amdhsa_user_sgpr_private_segment_size 0
		.amdhsa_uses_dynamic_stack 0
		.amdhsa_system_sgpr_private_segment_wavefront_offset 0
		.amdhsa_system_sgpr_workgroup_id_x 1
		.amdhsa_system_sgpr_workgroup_id_y 0
		.amdhsa_system_sgpr_workgroup_id_z 0
		.amdhsa_system_sgpr_workgroup_info 0
		.amdhsa_system_vgpr_workitem_id 0
		.amdhsa_next_free_vgpr 1
		.amdhsa_next_free_sgpr 0
		.amdhsa_accum_offset 4
		.amdhsa_reserve_vcc 0
		.amdhsa_reserve_flat_scratch 0
		.amdhsa_float_round_mode_32 0
		.amdhsa_float_round_mode_16_64 0
		.amdhsa_float_denorm_mode_32 3
		.amdhsa_float_denorm_mode_16_64 3
		.amdhsa_dx10_clamp 1
		.amdhsa_ieee_mode 1
		.amdhsa_fp16_overflow 0
		.amdhsa_tg_split 0
		.amdhsa_exception_fp_ieee_invalid_op 0
		.amdhsa_exception_fp_denorm_src 0
		.amdhsa_exception_fp_ieee_div_zero 0
		.amdhsa_exception_fp_ieee_overflow 0
		.amdhsa_exception_fp_ieee_underflow 0
		.amdhsa_exception_fp_ieee_inexact 0
		.amdhsa_exception_int_div_zero 0
	.end_amdhsa_kernel
	.section	.text._ZN7rocprim17ROCPRIM_400000_NS6detail17trampoline_kernelINS0_14default_configENS1_38merge_sort_block_merge_config_selectorIhlEEZZNS1_27merge_sort_block_merge_implIS3_PhN6thrust23THRUST_200600_302600_NS10device_ptrIlEEjNS1_19radix_merge_compareILb0ELb1EhNS0_19identity_decomposerEEEEE10hipError_tT0_T1_T2_jT3_P12ihipStream_tbPNSt15iterator_traitsISG_E10value_typeEPNSM_ISH_E10value_typeEPSI_NS1_7vsmem_tEENKUlT_SG_SH_SI_E_clIS7_S7_PlSB_EESF_SV_SG_SH_SI_EUlSV_E0_NS1_11comp_targetILNS1_3genE5ELNS1_11target_archE942ELNS1_3gpuE9ELNS1_3repE0EEENS1_38merge_mergepath_config_static_selectorELNS0_4arch9wavefront6targetE1EEEvSH_,"axG",@progbits,_ZN7rocprim17ROCPRIM_400000_NS6detail17trampoline_kernelINS0_14default_configENS1_38merge_sort_block_merge_config_selectorIhlEEZZNS1_27merge_sort_block_merge_implIS3_PhN6thrust23THRUST_200600_302600_NS10device_ptrIlEEjNS1_19radix_merge_compareILb0ELb1EhNS0_19identity_decomposerEEEEE10hipError_tT0_T1_T2_jT3_P12ihipStream_tbPNSt15iterator_traitsISG_E10value_typeEPNSM_ISH_E10value_typeEPSI_NS1_7vsmem_tEENKUlT_SG_SH_SI_E_clIS7_S7_PlSB_EESF_SV_SG_SH_SI_EUlSV_E0_NS1_11comp_targetILNS1_3genE5ELNS1_11target_archE942ELNS1_3gpuE9ELNS1_3repE0EEENS1_38merge_mergepath_config_static_selectorELNS0_4arch9wavefront6targetE1EEEvSH_,comdat
.Lfunc_end199:
	.size	_ZN7rocprim17ROCPRIM_400000_NS6detail17trampoline_kernelINS0_14default_configENS1_38merge_sort_block_merge_config_selectorIhlEEZZNS1_27merge_sort_block_merge_implIS3_PhN6thrust23THRUST_200600_302600_NS10device_ptrIlEEjNS1_19radix_merge_compareILb0ELb1EhNS0_19identity_decomposerEEEEE10hipError_tT0_T1_T2_jT3_P12ihipStream_tbPNSt15iterator_traitsISG_E10value_typeEPNSM_ISH_E10value_typeEPSI_NS1_7vsmem_tEENKUlT_SG_SH_SI_E_clIS7_S7_PlSB_EESF_SV_SG_SH_SI_EUlSV_E0_NS1_11comp_targetILNS1_3genE5ELNS1_11target_archE942ELNS1_3gpuE9ELNS1_3repE0EEENS1_38merge_mergepath_config_static_selectorELNS0_4arch9wavefront6targetE1EEEvSH_, .Lfunc_end199-_ZN7rocprim17ROCPRIM_400000_NS6detail17trampoline_kernelINS0_14default_configENS1_38merge_sort_block_merge_config_selectorIhlEEZZNS1_27merge_sort_block_merge_implIS3_PhN6thrust23THRUST_200600_302600_NS10device_ptrIlEEjNS1_19radix_merge_compareILb0ELb1EhNS0_19identity_decomposerEEEEE10hipError_tT0_T1_T2_jT3_P12ihipStream_tbPNSt15iterator_traitsISG_E10value_typeEPNSM_ISH_E10value_typeEPSI_NS1_7vsmem_tEENKUlT_SG_SH_SI_E_clIS7_S7_PlSB_EESF_SV_SG_SH_SI_EUlSV_E0_NS1_11comp_targetILNS1_3genE5ELNS1_11target_archE942ELNS1_3gpuE9ELNS1_3repE0EEENS1_38merge_mergepath_config_static_selectorELNS0_4arch9wavefront6targetE1EEEvSH_
                                        ; -- End function
	.section	.AMDGPU.csdata,"",@progbits
; Kernel info:
; codeLenInByte = 0
; NumSgprs: 4
; NumVgprs: 0
; NumAgprs: 0
; TotalNumVgprs: 0
; ScratchSize: 0
; MemoryBound: 0
; FloatMode: 240
; IeeeMode: 1
; LDSByteSize: 0 bytes/workgroup (compile time only)
; SGPRBlocks: 0
; VGPRBlocks: 0
; NumSGPRsForWavesPerEU: 4
; NumVGPRsForWavesPerEU: 1
; AccumOffset: 4
; Occupancy: 8
; WaveLimiterHint : 0
; COMPUTE_PGM_RSRC2:SCRATCH_EN: 0
; COMPUTE_PGM_RSRC2:USER_SGPR: 6
; COMPUTE_PGM_RSRC2:TRAP_HANDLER: 0
; COMPUTE_PGM_RSRC2:TGID_X_EN: 1
; COMPUTE_PGM_RSRC2:TGID_Y_EN: 0
; COMPUTE_PGM_RSRC2:TGID_Z_EN: 0
; COMPUTE_PGM_RSRC2:TIDIG_COMP_CNT: 0
; COMPUTE_PGM_RSRC3_GFX90A:ACCUM_OFFSET: 0
; COMPUTE_PGM_RSRC3_GFX90A:TG_SPLIT: 0
	.section	.text._ZN7rocprim17ROCPRIM_400000_NS6detail17trampoline_kernelINS0_14default_configENS1_38merge_sort_block_merge_config_selectorIhlEEZZNS1_27merge_sort_block_merge_implIS3_PhN6thrust23THRUST_200600_302600_NS10device_ptrIlEEjNS1_19radix_merge_compareILb0ELb1EhNS0_19identity_decomposerEEEEE10hipError_tT0_T1_T2_jT3_P12ihipStream_tbPNSt15iterator_traitsISG_E10value_typeEPNSM_ISH_E10value_typeEPSI_NS1_7vsmem_tEENKUlT_SG_SH_SI_E_clIS7_S7_PlSB_EESF_SV_SG_SH_SI_EUlSV_E0_NS1_11comp_targetILNS1_3genE4ELNS1_11target_archE910ELNS1_3gpuE8ELNS1_3repE0EEENS1_38merge_mergepath_config_static_selectorELNS0_4arch9wavefront6targetE1EEEvSH_,"axG",@progbits,_ZN7rocprim17ROCPRIM_400000_NS6detail17trampoline_kernelINS0_14default_configENS1_38merge_sort_block_merge_config_selectorIhlEEZZNS1_27merge_sort_block_merge_implIS3_PhN6thrust23THRUST_200600_302600_NS10device_ptrIlEEjNS1_19radix_merge_compareILb0ELb1EhNS0_19identity_decomposerEEEEE10hipError_tT0_T1_T2_jT3_P12ihipStream_tbPNSt15iterator_traitsISG_E10value_typeEPNSM_ISH_E10value_typeEPSI_NS1_7vsmem_tEENKUlT_SG_SH_SI_E_clIS7_S7_PlSB_EESF_SV_SG_SH_SI_EUlSV_E0_NS1_11comp_targetILNS1_3genE4ELNS1_11target_archE910ELNS1_3gpuE8ELNS1_3repE0EEENS1_38merge_mergepath_config_static_selectorELNS0_4arch9wavefront6targetE1EEEvSH_,comdat
	.protected	_ZN7rocprim17ROCPRIM_400000_NS6detail17trampoline_kernelINS0_14default_configENS1_38merge_sort_block_merge_config_selectorIhlEEZZNS1_27merge_sort_block_merge_implIS3_PhN6thrust23THRUST_200600_302600_NS10device_ptrIlEEjNS1_19radix_merge_compareILb0ELb1EhNS0_19identity_decomposerEEEEE10hipError_tT0_T1_T2_jT3_P12ihipStream_tbPNSt15iterator_traitsISG_E10value_typeEPNSM_ISH_E10value_typeEPSI_NS1_7vsmem_tEENKUlT_SG_SH_SI_E_clIS7_S7_PlSB_EESF_SV_SG_SH_SI_EUlSV_E0_NS1_11comp_targetILNS1_3genE4ELNS1_11target_archE910ELNS1_3gpuE8ELNS1_3repE0EEENS1_38merge_mergepath_config_static_selectorELNS0_4arch9wavefront6targetE1EEEvSH_ ; -- Begin function _ZN7rocprim17ROCPRIM_400000_NS6detail17trampoline_kernelINS0_14default_configENS1_38merge_sort_block_merge_config_selectorIhlEEZZNS1_27merge_sort_block_merge_implIS3_PhN6thrust23THRUST_200600_302600_NS10device_ptrIlEEjNS1_19radix_merge_compareILb0ELb1EhNS0_19identity_decomposerEEEEE10hipError_tT0_T1_T2_jT3_P12ihipStream_tbPNSt15iterator_traitsISG_E10value_typeEPNSM_ISH_E10value_typeEPSI_NS1_7vsmem_tEENKUlT_SG_SH_SI_E_clIS7_S7_PlSB_EESF_SV_SG_SH_SI_EUlSV_E0_NS1_11comp_targetILNS1_3genE4ELNS1_11target_archE910ELNS1_3gpuE8ELNS1_3repE0EEENS1_38merge_mergepath_config_static_selectorELNS0_4arch9wavefront6targetE1EEEvSH_
	.globl	_ZN7rocprim17ROCPRIM_400000_NS6detail17trampoline_kernelINS0_14default_configENS1_38merge_sort_block_merge_config_selectorIhlEEZZNS1_27merge_sort_block_merge_implIS3_PhN6thrust23THRUST_200600_302600_NS10device_ptrIlEEjNS1_19radix_merge_compareILb0ELb1EhNS0_19identity_decomposerEEEEE10hipError_tT0_T1_T2_jT3_P12ihipStream_tbPNSt15iterator_traitsISG_E10value_typeEPNSM_ISH_E10value_typeEPSI_NS1_7vsmem_tEENKUlT_SG_SH_SI_E_clIS7_S7_PlSB_EESF_SV_SG_SH_SI_EUlSV_E0_NS1_11comp_targetILNS1_3genE4ELNS1_11target_archE910ELNS1_3gpuE8ELNS1_3repE0EEENS1_38merge_mergepath_config_static_selectorELNS0_4arch9wavefront6targetE1EEEvSH_
	.p2align	8
	.type	_ZN7rocprim17ROCPRIM_400000_NS6detail17trampoline_kernelINS0_14default_configENS1_38merge_sort_block_merge_config_selectorIhlEEZZNS1_27merge_sort_block_merge_implIS3_PhN6thrust23THRUST_200600_302600_NS10device_ptrIlEEjNS1_19radix_merge_compareILb0ELb1EhNS0_19identity_decomposerEEEEE10hipError_tT0_T1_T2_jT3_P12ihipStream_tbPNSt15iterator_traitsISG_E10value_typeEPNSM_ISH_E10value_typeEPSI_NS1_7vsmem_tEENKUlT_SG_SH_SI_E_clIS7_S7_PlSB_EESF_SV_SG_SH_SI_EUlSV_E0_NS1_11comp_targetILNS1_3genE4ELNS1_11target_archE910ELNS1_3gpuE8ELNS1_3repE0EEENS1_38merge_mergepath_config_static_selectorELNS0_4arch9wavefront6targetE1EEEvSH_,@function
_ZN7rocprim17ROCPRIM_400000_NS6detail17trampoline_kernelINS0_14default_configENS1_38merge_sort_block_merge_config_selectorIhlEEZZNS1_27merge_sort_block_merge_implIS3_PhN6thrust23THRUST_200600_302600_NS10device_ptrIlEEjNS1_19radix_merge_compareILb0ELb1EhNS0_19identity_decomposerEEEEE10hipError_tT0_T1_T2_jT3_P12ihipStream_tbPNSt15iterator_traitsISG_E10value_typeEPNSM_ISH_E10value_typeEPSI_NS1_7vsmem_tEENKUlT_SG_SH_SI_E_clIS7_S7_PlSB_EESF_SV_SG_SH_SI_EUlSV_E0_NS1_11comp_targetILNS1_3genE4ELNS1_11target_archE910ELNS1_3gpuE8ELNS1_3repE0EEENS1_38merge_mergepath_config_static_selectorELNS0_4arch9wavefront6targetE1EEEvSH_: ; @_ZN7rocprim17ROCPRIM_400000_NS6detail17trampoline_kernelINS0_14default_configENS1_38merge_sort_block_merge_config_selectorIhlEEZZNS1_27merge_sort_block_merge_implIS3_PhN6thrust23THRUST_200600_302600_NS10device_ptrIlEEjNS1_19radix_merge_compareILb0ELb1EhNS0_19identity_decomposerEEEEE10hipError_tT0_T1_T2_jT3_P12ihipStream_tbPNSt15iterator_traitsISG_E10value_typeEPNSM_ISH_E10value_typeEPSI_NS1_7vsmem_tEENKUlT_SG_SH_SI_E_clIS7_S7_PlSB_EESF_SV_SG_SH_SI_EUlSV_E0_NS1_11comp_targetILNS1_3genE4ELNS1_11target_archE910ELNS1_3gpuE8ELNS1_3repE0EEENS1_38merge_mergepath_config_static_selectorELNS0_4arch9wavefront6targetE1EEEvSH_
; %bb.0:
	s_load_dwordx2 s[24:25], s[4:5], 0x40
	s_load_dword s0, s[4:5], 0x30
	s_add_u32 s22, s4, 64
	s_addc_u32 s23, s5, 0
	s_waitcnt lgkmcnt(0)
	s_mul_i32 s1, s25, s8
	s_add_i32 s1, s1, s7
	s_mul_i32 s1, s1, s24
	s_add_i32 s20, s1, s6
	s_cmp_ge_u32 s20, s0
	s_cbranch_scc1 .LBB200_53
; %bb.1:
	s_load_dwordx8 s[8:15], s[4:5], 0x10
	s_load_dwordx2 s[30:31], s[4:5], 0x8
	s_load_dwordx2 s[0:1], s[4:5], 0x38
	s_mov_b32 s21, 0
	v_mov_b32_e32 v1, 0
	s_waitcnt lgkmcnt(0)
	s_lshr_b32 s29, s14, 10
	s_cmp_lg_u32 s20, s29
	s_cselect_b64 s[18:19], -1, 0
	s_lshl_b64 s[2:3], s[20:21], 2
	s_add_u32 s0, s0, s2
	s_addc_u32 s1, s1, s3
	s_lshr_b32 s2, s15, 9
	s_and_b32 s2, s2, 0x7ffffe
	s_load_dwordx2 s[0:1], s[0:1], 0x0
	s_sub_i32 s3, 0, s2
	s_and_b32 s2, s20, s3
	s_lshl_b32 s7, s2, 10
	s_lshl_b32 s16, s20, 10
	;; [unrolled: 1-line block ×3, first 2 shown]
	s_sub_i32 s17, s16, s7
	s_add_i32 s25, s2, s15
	s_add_i32 s17, s25, s17
	s_waitcnt lgkmcnt(0)
	s_sub_i32 s2, s17, s0
	s_sub_i32 s17, s17, s1
	;; [unrolled: 1-line block ×3, first 2 shown]
	s_min_u32 s2, s14, s2
	s_addk_i32 s17, 0x400
	s_or_b32 s3, s20, s3
	s_min_u32 s25, s14, s7
	s_add_i32 s7, s7, s15
	s_cmp_eq_u32 s3, -1
	s_cselect_b32 s3, s7, s17
	s_cselect_b32 s1, s25, s1
	s_min_u32 s17, s3, s14
	s_sub_i32 s15, s1, s0
	s_add_u32 s26, s30, s0
	s_addc_u32 s28, s31, 0
	s_add_u32 s25, s30, s2
	s_addc_u32 s27, s31, 0
	s_cmp_lt_u32 s6, s24
	s_cselect_b32 s1, 12, 18
	global_load_dword v2, v1, s[22:23] offset:14
	s_add_u32 s6, s22, s1
	s_addc_u32 s7, s23, 0
	global_load_ushort v1, v1, s[6:7]
	s_mov_b32 s1, s21
	s_mov_b32 s3, s21
	s_cmp_eq_u32 s20, s29
	s_waitcnt vmcnt(1)
	v_lshrrev_b32_e32 v3, 16, v2
	v_and_b32_e32 v2, 0xffff, v2
	v_mul_lo_u32 v2, v2, v3
	s_waitcnt vmcnt(0)
	v_mul_lo_u32 v17, v2, v1
	v_add_u32_e32 v4, v17, v0
	v_add_u32_e32 v2, v4, v17
	s_cbranch_scc1 .LBB200_3
; %bb.2:
	v_mov_b32_e32 v1, s28
	v_add_co_u32_e32 v3, vcc, s26, v0
	v_addc_co_u32_e32 v1, vcc, 0, v1, vcc
	v_subrev_u32_e32 v5, s15, v0
	v_mov_b32_e32 v6, s27
	v_add_co_u32_e32 v5, vcc, s25, v5
	v_addc_co_u32_e32 v6, vcc, 0, v6, vcc
	v_cmp_gt_u32_e32 vcc, s15, v0
	v_cndmask_b32_e32 v7, v6, v1, vcc
	v_cndmask_b32_e32 v6, v5, v3, vcc
	v_mov_b32_e32 v1, s28
	v_add_co_u32_e32 v3, vcc, s26, v4
	v_addc_co_u32_e32 v1, vcc, 0, v1, vcc
	v_subrev_u32_e32 v5, s15, v4
	v_mov_b32_e32 v8, s27
	v_add_co_u32_e32 v5, vcc, s25, v5
	v_addc_co_u32_e32 v8, vcc, 0, v8, vcc
	v_cmp_gt_u32_e32 vcc, s15, v4
	v_cndmask_b32_e32 v9, v8, v1, vcc
	v_cndmask_b32_e32 v8, v5, v3, vcc
	;; [unrolled: 10-line block ×3, first 2 shown]
	global_load_ubyte v1, v[6:7], off
	global_load_ubyte v15, v[8:9], off
	;; [unrolled: 1-line block ×3, first 2 shown]
	v_add_u32_e32 v3, v2, v17
	s_mov_b64 s[6:7], -1
	s_sub_i32 s17, s17, s2
	s_cbranch_execz .LBB200_4
	s_branch .LBB200_11
.LBB200_3:
	s_mov_b64 s[6:7], 0
                                        ; implicit-def: $vgpr1
                                        ; implicit-def: $vgpr15
                                        ; implicit-def: $vgpr16
                                        ; implicit-def: $vgpr3
	s_sub_i32 s17, s17, s2
.LBB200_4:
	s_add_i32 s20, s17, s15
	v_cmp_gt_u32_e32 vcc, s20, v0
                                        ; implicit-def: $vgpr1
	s_and_saveexec_b64 s[6:7], vcc
	s_cbranch_execz .LBB200_6
; %bb.5:
	s_waitcnt vmcnt(2)
	v_mov_b32_e32 v1, s28
	v_add_co_u32_e32 v3, vcc, s26, v0
	v_addc_co_u32_e32 v1, vcc, 0, v1, vcc
	v_subrev_u32_e32 v5, s15, v0
	v_mov_b32_e32 v6, s27
	v_add_co_u32_e32 v5, vcc, s25, v5
	v_addc_co_u32_e32 v6, vcc, 0, v6, vcc
	v_cmp_gt_u32_e32 vcc, s15, v0
	v_cndmask_b32_e32 v7, v6, v1, vcc
	v_cndmask_b32_e32 v6, v5, v3, vcc
	global_load_ubyte v1, v[6:7], off
.LBB200_6:
	s_or_b64 exec, exec, s[6:7]
	v_cmp_gt_u32_e32 vcc, s20, v4
                                        ; implicit-def: $vgpr15
	s_and_saveexec_b64 s[6:7], vcc
	s_cbranch_execz .LBB200_8
; %bb.7:
	v_mov_b32_e32 v3, s28
	v_add_co_u32_e32 v5, vcc, s26, v4
	v_addc_co_u32_e32 v3, vcc, 0, v3, vcc
	v_subrev_u32_e32 v6, s15, v4
	v_mov_b32_e32 v7, s27
	v_add_co_u32_e32 v6, vcc, s25, v6
	v_addc_co_u32_e32 v7, vcc, 0, v7, vcc
	v_cmp_gt_u32_e32 vcc, s15, v4
	v_cndmask_b32_e32 v7, v7, v3, vcc
	v_cndmask_b32_e32 v6, v6, v5, vcc
	global_load_ubyte v15, v[6:7], off
.LBB200_8:
	s_or_b64 exec, exec, s[6:7]
	v_cmp_gt_u32_e32 vcc, s20, v2
                                        ; implicit-def: $vgpr16
	s_and_saveexec_b64 s[6:7], vcc
	s_cbranch_execz .LBB200_10
; %bb.9:
	v_mov_b32_e32 v3, s28
	v_add_co_u32_e32 v5, vcc, s26, v2
	v_addc_co_u32_e32 v3, vcc, 0, v3, vcc
	v_subrev_u32_e32 v6, s15, v2
	v_mov_b32_e32 v7, s27
	v_add_co_u32_e32 v6, vcc, s25, v6
	v_addc_co_u32_e32 v7, vcc, 0, v7, vcc
	v_cmp_gt_u32_e32 vcc, s15, v2
	v_cndmask_b32_e32 v7, v7, v3, vcc
	v_cndmask_b32_e32 v6, v6, v5, vcc
	global_load_ubyte v16, v[6:7], off
.LBB200_10:
	s_or_b64 exec, exec, s[6:7]
	v_add_u32_e32 v3, v2, v17
	v_cmp_gt_u32_e64 s[6:7], s20, v3
.LBB200_11:
                                        ; implicit-def: $vgpr18
	s_and_saveexec_b64 s[20:21], s[6:7]
	s_cbranch_execz .LBB200_13
; %bb.12:
	v_mov_b32_e32 v5, s28
	v_add_co_u32_e32 v6, vcc, s26, v3
	v_addc_co_u32_e32 v5, vcc, 0, v5, vcc
	v_subrev_u32_e32 v7, s15, v3
	v_mov_b32_e32 v8, s27
	v_add_co_u32_e32 v9, vcc, s25, v7
	v_addc_co_u32_e32 v7, vcc, 0, v8, vcc
	v_cmp_gt_u32_e32 vcc, s15, v3
	v_cndmask_b32_e32 v7, v7, v5, vcc
	v_cndmask_b32_e32 v6, v9, v6, vcc
	global_load_ubyte v18, v[6:7], off
.LBB200_13:
	s_or_b64 exec, exec, s[20:21]
	s_lshl_b64 s[0:1], s[0:1], 3
	s_add_u32 s20, s10, s0
	s_addc_u32 s21, s11, s1
	s_lshl_b64 s[0:1], s[2:3], 3
	s_add_u32 s6, s10, s0
	s_addc_u32 s7, s11, s1
	s_andn2_b64 vcc, exec, s[18:19]
	v_lshlrev_b32_e32 v14, 3, v0
	s_waitcnt vmcnt(0)
	ds_write_b8 v0, v1
	ds_write_b8 v0, v15 offset:256
	ds_write_b8 v0, v16 offset:512
	;; [unrolled: 1-line block ×3, first 2 shown]
	s_cbranch_vccnz .LBB200_15
; %bb.14:
	v_mov_b32_e32 v13, 0
	v_mov_b32_e32 v3, s21
	v_add_co_u32_e32 v5, vcc, s20, v14
	v_subrev_u32_e32 v12, s15, v0
	v_addc_co_u32_e32 v3, vcc, 0, v3, vcc
	v_lshlrev_b64 v[6:7], 3, v[12:13]
	v_mov_b32_e32 v8, s7
	v_add_co_u32_e32 v6, vcc, s6, v6
	v_addc_co_u32_e32 v7, vcc, v8, v7, vcc
	v_cmp_gt_u32_e32 vcc, s15, v0
	v_cndmask_b32_e32 v6, v6, v5, vcc
	v_mov_b32_e32 v5, v13
	v_lshlrev_b64 v[8:9], 3, v[4:5]
	v_cndmask_b32_e32 v7, v7, v3, vcc
	v_mov_b32_e32 v3, s21
	v_add_co_u32_e32 v5, vcc, s20, v8
	v_subrev_u32_e32 v12, s15, v4
	v_addc_co_u32_e32 v3, vcc, v3, v9, vcc
	v_lshlrev_b64 v[8:9], 3, v[12:13]
	v_mov_b32_e32 v10, s7
	v_add_co_u32_e32 v8, vcc, s6, v8
	v_addc_co_u32_e32 v9, vcc, v10, v9, vcc
	v_cmp_gt_u32_e32 vcc, s15, v4
	v_cndmask_b32_e32 v9, v9, v3, vcc
	v_mov_b32_e32 v3, v13
	v_lshlrev_b64 v[10:11], 3, v[2:3]
	v_cndmask_b32_e32 v8, v8, v5, vcc
	v_mov_b32_e32 v3, s21
	v_add_co_u32_e32 v5, vcc, s20, v10
	v_subrev_u32_e32 v12, s15, v2
	v_addc_co_u32_e32 v3, vcc, v3, v11, vcc
	v_lshlrev_b64 v[10:11], 3, v[12:13]
	v_mov_b32_e32 v12, s7
	v_add_co_u32_e32 v10, vcc, s6, v10
	v_addc_co_u32_e32 v11, vcc, v12, v11, vcc
	v_add_u32_e32 v12, v2, v17
	v_cmp_gt_u32_e32 vcc, s15, v2
	v_lshlrev_b64 v[20:21], 3, v[12:13]
	v_cndmask_b32_e32 v11, v11, v3, vcc
	v_cndmask_b32_e32 v10, v10, v5, vcc
	v_mov_b32_e32 v3, s21
	v_add_co_u32_e32 v5, vcc, s20, v20
	v_addc_co_u32_e32 v3, vcc, v3, v21, vcc
	v_cmp_gt_u32_e32 vcc, s15, v12
	v_subrev_u32_e32 v12, s15, v12
	v_lshlrev_b64 v[12:13], 3, v[12:13]
	v_mov_b32_e32 v19, s7
	v_add_co_u32_e64 v12, s[0:1], s6, v12
	v_addc_co_u32_e64 v13, s[0:1], v19, v13, s[0:1]
	v_cndmask_b32_e32 v13, v13, v3, vcc
	v_cndmask_b32_e32 v12, v12, v5, vcc
	global_load_dwordx2 v[6:7], v[6:7], off
	s_add_i32 s10, s17, s15
	global_load_dwordx2 v[8:9], v[8:9], off
	s_nop 0
	global_load_dwordx2 v[10:11], v[10:11], off
	s_nop 0
	global_load_dwordx2 v[12:13], v[12:13], off
	s_cbranch_execz .LBB200_16
	s_branch .LBB200_25
.LBB200_15:
                                        ; implicit-def: $vgpr6_vgpr7
                                        ; implicit-def: $vgpr8_vgpr9
                                        ; implicit-def: $vgpr10_vgpr11
                                        ; implicit-def: $vgpr12_vgpr13
                                        ; implicit-def: $sgpr10
.LBB200_16:
	s_add_i32 s10, s17, s15
	v_cmp_gt_u32_e32 vcc, s10, v0
                                        ; implicit-def: $vgpr6_vgpr7
	s_and_saveexec_b64 s[0:1], vcc
	s_cbranch_execz .LBB200_18
; %bb.17:
	s_waitcnt vmcnt(3)
	v_mov_b32_e32 v7, 0
	v_mov_b32_e32 v3, s21
	v_add_co_u32_e32 v5, vcc, s20, v14
	v_subrev_u32_e32 v6, s15, v0
	v_addc_co_u32_e32 v3, vcc, 0, v3, vcc
	v_lshlrev_b64 v[6:7], 3, v[6:7]
	s_waitcnt vmcnt(2)
	v_mov_b32_e32 v8, s7
	v_add_co_u32_e32 v6, vcc, s6, v6
	v_addc_co_u32_e32 v7, vcc, v8, v7, vcc
	v_cmp_gt_u32_e32 vcc, s15, v0
	v_cndmask_b32_e32 v7, v7, v3, vcc
	v_cndmask_b32_e32 v6, v6, v5, vcc
	global_load_dwordx2 v[6:7], v[6:7], off
.LBB200_18:
	s_or_b64 exec, exec, s[0:1]
	v_cmp_gt_u32_e32 vcc, s10, v4
                                        ; implicit-def: $vgpr8_vgpr9
	s_and_saveexec_b64 s[2:3], vcc
	s_cbranch_execz .LBB200_20
; %bb.19:
	v_mov_b32_e32 v5, 0
	s_waitcnt vmcnt(2)
	v_lshlrev_b64 v[8:9], 3, v[4:5]
	v_mov_b32_e32 v3, s21
	v_add_co_u32_e32 v8, vcc, s20, v8
	v_addc_co_u32_e32 v3, vcc, v3, v9, vcc
	v_cmp_gt_u32_e32 vcc, s15, v4
	v_subrev_u32_e32 v4, s15, v4
	v_lshlrev_b64 v[4:5], 3, v[4:5]
	v_mov_b32_e32 v9, s7
	v_add_co_u32_e64 v4, s[0:1], s6, v4
	v_addc_co_u32_e64 v5, s[0:1], v9, v5, s[0:1]
	v_cndmask_b32_e32 v5, v5, v3, vcc
	v_cndmask_b32_e32 v4, v4, v8, vcc
	global_load_dwordx2 v[8:9], v[4:5], off
.LBB200_20:
	s_or_b64 exec, exec, s[2:3]
	v_cmp_gt_u32_e32 vcc, s10, v2
                                        ; implicit-def: $vgpr10_vgpr11
	s_and_saveexec_b64 s[0:1], vcc
	s_cbranch_execz .LBB200_22
; %bb.21:
	v_mov_b32_e32 v3, 0
	v_lshlrev_b64 v[4:5], 3, v[2:3]
	s_waitcnt vmcnt(1)
	v_mov_b32_e32 v10, s21
	v_add_co_u32_e32 v11, vcc, s20, v4
	v_addc_co_u32_e32 v10, vcc, v10, v5, vcc
	v_subrev_u32_e32 v4, s15, v2
	v_mov_b32_e32 v5, v3
	v_lshlrev_b64 v[4:5], 3, v[4:5]
	v_mov_b32_e32 v3, s7
	v_add_co_u32_e32 v4, vcc, s6, v4
	v_addc_co_u32_e32 v3, vcc, v3, v5, vcc
	v_cmp_gt_u32_e32 vcc, s15, v2
	v_cndmask_b32_e32 v5, v3, v10, vcc
	v_cndmask_b32_e32 v4, v4, v11, vcc
	global_load_dwordx2 v[10:11], v[4:5], off
.LBB200_22:
	s_or_b64 exec, exec, s[0:1]
	v_add_u32_e32 v2, v2, v17
	v_cmp_gt_u32_e32 vcc, s10, v2
                                        ; implicit-def: $vgpr12_vgpr13
	s_and_saveexec_b64 s[2:3], vcc
	s_cbranch_execz .LBB200_24
; %bb.23:
	v_mov_b32_e32 v3, 0
	v_lshlrev_b64 v[4:5], 3, v[2:3]
	s_waitcnt vmcnt(0)
	v_mov_b32_e32 v12, s21
	v_add_co_u32_e32 v4, vcc, s20, v4
	v_addc_co_u32_e32 v5, vcc, v12, v5, vcc
	v_cmp_gt_u32_e32 vcc, s15, v2
	v_subrev_u32_e32 v2, s15, v2
	v_lshlrev_b64 v[2:3], 3, v[2:3]
	v_mov_b32_e32 v12, s7
	v_add_co_u32_e64 v2, s[0:1], s6, v2
	v_addc_co_u32_e64 v3, s[0:1], v12, v3, s[0:1]
	v_cndmask_b32_e32 v3, v3, v5, vcc
	v_cndmask_b32_e32 v2, v2, v4, vcc
	global_load_dwordx2 v[12:13], v[2:3], off
.LBB200_24:
	s_or_b64 exec, exec, s[2:3]
.LBB200_25:
	s_load_dword s11, s[4:5], 0x34
	v_lshlrev_b32_e32 v17, 2, v0
	v_min_u32_e32 v3, s10, v17
	v_sub_u32_e64 v2, v3, s17 clamp
	v_min_u32_e32 v4, s15, v3
	v_cmp_lt_u32_e32 vcc, v2, v4
	s_waitcnt lgkmcnt(0)
	s_barrier
	s_and_saveexec_b64 s[0:1], vcc
	s_cbranch_execz .LBB200_29
; %bb.26:
	v_add_u32_e32 v5, s15, v3
	s_mov_b64 s[2:3], 0
.LBB200_27:                             ; =>This Inner Loop Header: Depth=1
	v_add_u32_e32 v19, v4, v2
	v_lshrrev_b32_e32 v19, 1, v19
	v_xad_u32 v20, v19, -1, v5
	ds_read_u8 v21, v19
	ds_read_u8 v20, v20
	v_add_u32_e32 v22, 1, v19
	s_waitcnt lgkmcnt(1)
	v_and_b32_e32 v21, s11, v21
	s_waitcnt lgkmcnt(0)
	v_and_b32_e32 v20, s11, v20
	v_cmp_gt_u16_sdwa vcc, v21, v20 src0_sel:BYTE_0 src1_sel:BYTE_0
	v_cndmask_b32_e32 v4, v4, v19, vcc
	v_cndmask_b32_e32 v2, v22, v2, vcc
	v_cmp_ge_u32_e32 vcc, v2, v4
	s_or_b64 s[2:3], vcc, s[2:3]
	s_andn2_b64 exec, exec, s[2:3]
	s_cbranch_execnz .LBB200_27
; %bb.28:
	s_or_b64 exec, exec, s[2:3]
.LBB200_29:
	s_or_b64 exec, exec, s[0:1]
	v_sub_u32_e32 v3, v3, v2
	v_add_u32_e32 v19, s15, v3
	v_cmp_ge_u32_e32 vcc, s15, v2
	v_cmp_ge_u32_e64 s[0:1], s10, v19
	s_or_b64 s[0:1], vcc, s[0:1]
                                        ; implicit-def: $vgpr20
                                        ; implicit-def: $vgpr5
                                        ; implicit-def: $vgpr4
                                        ; implicit-def: $vgpr3
	s_and_saveexec_b64 s[6:7], s[0:1]
	s_cbranch_execz .LBB200_35
; %bb.30:
	v_cmp_gt_u32_e32 vcc, s15, v2
                                        ; implicit-def: $vgpr1
	s_and_saveexec_b64 s[0:1], vcc
	s_cbranch_execz .LBB200_32
; %bb.31:
	ds_read_u8 v1, v2
.LBB200_32:
	s_or_b64 exec, exec, s[0:1]
	v_cmp_le_u32_e64 s[0:1], s10, v19
	v_cmp_gt_u32_e64 s[2:3], s10, v19
                                        ; implicit-def: $vgpr15
	s_and_saveexec_b64 s[4:5], s[2:3]
	s_cbranch_execz .LBB200_34
; %bb.33:
	ds_read_u8 v15, v19
.LBB200_34:
	s_or_b64 exec, exec, s[4:5]
	s_waitcnt lgkmcnt(0)
	v_and_b32_e32 v3, s11, v15
	v_and_b32_e32 v4, s11, v1
	v_cmp_le_u16_sdwa s[2:3], v4, v3 src0_sel:BYTE_0 src1_sel:BYTE_0
	s_and_b64 s[2:3], vcc, s[2:3]
	s_or_b64 vcc, s[0:1], s[2:3]
	v_mov_b32_e32 v16, s10
	v_mov_b32_e32 v18, s15
	v_cndmask_b32_e32 v3, v19, v2, vcc
	v_cndmask_b32_e32 v4, v16, v18, vcc
	v_add_u32_e32 v5, 1, v3
	v_add_u32_e32 v4, -1, v4
	v_min_u32_e32 v4, v5, v4
	ds_read_u8 v4, v4
	v_cndmask_b32_e32 v19, v5, v19, vcc
	v_cndmask_b32_e32 v2, v2, v5, vcc
	v_cmp_gt_u32_e64 s[2:3], s15, v2
	v_cmp_le_u32_e64 s[0:1], s10, v19
	s_waitcnt lgkmcnt(0)
	v_cndmask_b32_e32 v20, v4, v15, vcc
	v_cndmask_b32_e32 v21, v1, v4, vcc
	v_and_b32_e32 v4, s11, v20
	v_and_b32_e32 v5, s11, v21
	v_cmp_le_u16_sdwa s[4:5], v5, v4 src0_sel:BYTE_0 src1_sel:BYTE_0
	s_and_b64 s[2:3], s[2:3], s[4:5]
	s_or_b64 s[0:1], s[0:1], s[2:3]
	v_cndmask_b32_e64 v4, v19, v2, s[0:1]
	v_cndmask_b32_e64 v5, v16, v18, s[0:1]
	v_add_u32_e32 v22, 1, v4
	v_add_u32_e32 v5, -1, v5
	v_min_u32_e32 v5, v22, v5
	ds_read_u8 v5, v5
	v_cndmask_b32_e64 v19, v22, v19, s[0:1]
	v_cndmask_b32_e64 v2, v2, v22, s[0:1]
	v_cmp_gt_u32_e64 s[4:5], s15, v2
	v_cmp_le_u32_e64 s[2:3], s10, v19
	s_waitcnt lgkmcnt(0)
	v_cndmask_b32_e64 v23, v5, v20, s[0:1]
	v_cndmask_b32_e64 v24, v21, v5, s[0:1]
	v_and_b32_e32 v5, s11, v23
	v_and_b32_e32 v22, s11, v24
	v_cmp_le_u16_sdwa s[20:21], v22, v5 src0_sel:BYTE_0 src1_sel:BYTE_0
	s_and_b64 s[4:5], s[4:5], s[20:21]
	s_or_b64 s[2:3], s[2:3], s[4:5]
	v_cndmask_b32_e64 v5, v19, v2, s[2:3]
	v_cndmask_b32_e64 v16, v16, v18, s[2:3]
	v_add_u32_e32 v18, 1, v5
	v_add_u32_e32 v16, -1, v16
	v_min_u32_e32 v16, v18, v16
	ds_read_u8 v22, v16
	v_cndmask_b32_e32 v1, v15, v1, vcc
	v_cndmask_b32_e64 v15, v20, v21, s[0:1]
	v_cndmask_b32_e64 v19, v18, v19, s[2:3]
	;; [unrolled: 1-line block ×3, first 2 shown]
	s_waitcnt lgkmcnt(0)
	v_cndmask_b32_e64 v21, v22, v23, s[2:3]
	v_cndmask_b32_e64 v22, v24, v22, s[2:3]
	v_and_b32_e32 v18, s11, v21
	v_and_b32_e32 v20, s11, v22
	v_cndmask_b32_e64 v16, v23, v24, s[2:3]
	v_cmp_gt_u32_e64 s[0:1], s15, v2
	v_cmp_le_u16_sdwa s[2:3], v20, v18 src0_sel:BYTE_0 src1_sel:BYTE_0
	v_cmp_le_u32_e32 vcc, s10, v19
	s_and_b64 s[0:1], s[0:1], s[2:3]
	s_or_b64 vcc, vcc, s[0:1]
	v_cndmask_b32_e32 v20, v19, v2, vcc
	v_cndmask_b32_e32 v18, v21, v22, vcc
.LBB200_35:
	s_or_b64 exec, exec, s[6:7]
	v_mad_u32_u24 v19, v0, 7, v0
	v_lshlrev_b32_e32 v2, 3, v3
	v_lshlrev_b32_e32 v3, 3, v4
	;; [unrolled: 1-line block ×4, first 2 shown]
	s_barrier
	s_waitcnt vmcnt(0)
	ds_write2st64_b64 v19, v[6:7], v[8:9] offset1:4
	ds_write2st64_b64 v19, v[10:11], v[12:13] offset0:8 offset1:12
	s_waitcnt lgkmcnt(0)
	s_barrier
	ds_read_b64 v[6:7], v2
	ds_read_b64 v[8:9], v3
	;; [unrolled: 1-line block ×4, first 2 shown]
	v_lshlrev_b16_e32 v11, 8, v15
	v_lshrrev_b32_e32 v20, 3, v0
	v_or_b32_sdwa v1, v1, v11 dst_sel:DWORD dst_unused:UNUSED_PAD src0_sel:BYTE_0 src1_sel:DWORD
	v_lshlrev_b16_e32 v11, 8, v18
	s_add_u32 s0, s8, s16
	v_and_b32_e32 v10, 28, v20
	v_or_b32_sdwa v11, v16, v11 dst_sel:WORD_1 dst_unused:UNUSED_PAD src0_sel:BYTE_0 src1_sel:DWORD
	s_addc_u32 s1, s9, 0
	v_add_u32_e32 v10, v10, v17
	v_or_b32_sdwa v1, v1, v11 dst_sel:DWORD dst_unused:UNUSED_PAD src0_sel:WORD_0 src1_sel:DWORD
	v_or_b32_e32 v23, 0x100, v0
	v_or_b32_e32 v22, 0x200, v0
	;; [unrolled: 1-line block ×3, first 2 shown]
	s_waitcnt lgkmcnt(0)
	s_barrier
	s_barrier
	ds_write_b32 v10, v1
	v_lshrrev_b32_e32 v1, 5, v23
	v_lshrrev_b32_e32 v13, 5, v22
	;; [unrolled: 1-line block ×3, first 2 shown]
	v_mov_b32_e32 v11, s1
	v_add_co_u32_e32 v10, vcc, s0, v0
	v_lshrrev_b32_e32 v15, 5, v0
	v_and_b32_e32 v12, 12, v1
	v_and_b32_e32 v16, 20, v13
	;; [unrolled: 1-line block ×3, first 2 shown]
	v_addc_co_u32_e32 v11, vcc, 0, v11, vcc
	s_mov_b32 s17, 0
	v_and_b32_e32 v24, 4, v15
	s_and_b64 vcc, exec, s[18:19]
	v_add_u32_e32 v25, v0, v12
	v_add_u32_e32 v26, v0, v16
	v_add_u32_e32 v27, v0, v18
	v_lshlrev_b32_e32 v18, 3, v17
	v_lshl_add_u32 v1, v1, 3, v19
	v_lshl_add_u32 v16, v13, 3, v19
	;; [unrolled: 1-line block ×3, first 2 shown]
	s_waitcnt lgkmcnt(0)
	s_cbranch_vccz .LBB200_37
; %bb.36:
	v_add_u32_e32 v12, v0, v24
	s_barrier
	ds_read_u8 v12, v12
	ds_read_u8 v13, v25 offset:256
	ds_read_u8 v28, v26 offset:512
	;; [unrolled: 1-line block ×3, first 2 shown]
	s_lshl_b64 s[0:1], s[16:17], 3
	s_add_u32 s0, s12, s0
	s_waitcnt lgkmcnt(3)
	global_store_byte v[10:11], v12, off
	s_waitcnt lgkmcnt(2)
	global_store_byte v[10:11], v13, off offset:256
	s_waitcnt lgkmcnt(1)
	global_store_byte v[10:11], v28, off offset:512
	s_waitcnt lgkmcnt(0)
	global_store_byte v[10:11], v29, off offset:768
	v_lshl_add_u32 v12, v20, 3, v18
	s_barrier
	ds_write2_b64 v12, v[6:7], v[8:9] offset1:1
	ds_write2_b64 v12, v[2:3], v[4:5] offset0:2 offset1:3
	v_lshl_add_u32 v12, v15, 3, v19
	s_addc_u32 s1, s13, s1
	s_waitcnt lgkmcnt(0)
	s_barrier
	ds_read_b64 v[28:29], v12
	ds_read_b64 v[30:31], v1 offset:2048
	ds_read_b64 v[32:33], v16 offset:4096
	;; [unrolled: 1-line block ×3, first 2 shown]
	v_mov_b32_e32 v34, s1
	v_add_co_u32_e32 v35, vcc, s0, v14
	v_addc_co_u32_e32 v34, vcc, 0, v34, vcc
	s_waitcnt lgkmcnt(3)
	global_store_dwordx2 v14, v[28:29], s[0:1]
	s_waitcnt lgkmcnt(2)
	global_store_dwordx2 v14, v[30:31], s[0:1] offset:2048
	v_add_co_u32_e32 v28, vcc, 0x1000, v35
	v_addc_co_u32_e32 v29, vcc, 0, v34, vcc
	s_waitcnt lgkmcnt(1)
	global_store_dwordx2 v[28:29], v[32:33], off
	s_mov_b64 s[6:7], -1
	s_cbranch_execz .LBB200_38
	s_branch .LBB200_51
.LBB200_37:
	s_mov_b64 s[6:7], 0
                                        ; implicit-def: $vgpr12_vgpr13
.LBB200_38:
	s_barrier
	s_waitcnt lgkmcnt(0)
	ds_read_u8 v25, v25 offset:256
	ds_read_u8 v13, v26 offset:512
	;; [unrolled: 1-line block ×3, first 2 shown]
	s_sub_i32 s6, s14, s16
	v_cmp_gt_u32_e32 vcc, s6, v0
	s_and_saveexec_b64 s[0:1], vcc
	s_cbranch_execz .LBB200_42
; %bb.39:
	v_add_u32_e32 v0, v0, v24
	ds_read_u8 v0, v0
	s_waitcnt lgkmcnt(0)
	global_store_byte v[10:11], v0, off
	s_or_b64 exec, exec, s[0:1]
	v_cmp_gt_u32_e64 s[0:1], s6, v23
	s_and_saveexec_b64 s[2:3], s[0:1]
	s_cbranch_execnz .LBB200_43
.LBB200_40:
	s_or_b64 exec, exec, s[2:3]
	v_cmp_gt_u32_e64 s[2:3], s6, v22
	s_and_saveexec_b64 s[4:5], s[2:3]
	s_cbranch_execz .LBB200_44
.LBB200_41:
	s_waitcnt lgkmcnt(1)
	global_store_byte v[10:11], v13, off offset:512
	s_or_b64 exec, exec, s[4:5]
	v_cmp_gt_u32_e64 s[6:7], s6, v21
	s_and_saveexec_b64 s[4:5], s[6:7]
	s_cbranch_execnz .LBB200_45
	s_branch .LBB200_46
.LBB200_42:
	s_or_b64 exec, exec, s[0:1]
	v_cmp_gt_u32_e64 s[0:1], s6, v23
	s_and_saveexec_b64 s[2:3], s[0:1]
	s_cbranch_execz .LBB200_40
.LBB200_43:
	s_waitcnt lgkmcnt(2)
	global_store_byte v[10:11], v25, off offset:256
	s_or_b64 exec, exec, s[2:3]
	v_cmp_gt_u32_e64 s[2:3], s6, v22
	s_and_saveexec_b64 s[4:5], s[2:3]
	s_cbranch_execnz .LBB200_41
.LBB200_44:
	s_or_b64 exec, exec, s[4:5]
	v_cmp_gt_u32_e64 s[6:7], s6, v21
	s_and_saveexec_b64 s[4:5], s[6:7]
	s_cbranch_execz .LBB200_46
.LBB200_45:
	s_waitcnt lgkmcnt(0)
	global_store_byte v[10:11], v12, off offset:768
.LBB200_46:
	s_or_b64 exec, exec, s[4:5]
	v_lshl_add_u32 v0, v20, 3, v18
	s_waitcnt lgkmcnt(0)
	s_barrier
	ds_write2_b64 v0, v[6:7], v[8:9] offset1:1
	ds_write2_b64 v0, v[2:3], v[4:5] offset0:2 offset1:3
	s_waitcnt lgkmcnt(0)
	s_barrier
	ds_read_b64 v[4:5], v1 offset:2048
	ds_read_b64 v[0:1], v16 offset:4096
	;; [unrolled: 1-line block ×3, first 2 shown]
	s_lshl_b64 s[4:5], s[16:17], 3
	s_add_u32 s4, s12, s4
	s_addc_u32 s5, s13, s5
	v_mov_b32_e32 v3, s5
	v_add_co_u32_e64 v2, s[4:5], s4, v14
	v_addc_co_u32_e64 v3, s[4:5], 0, v3, s[4:5]
	s_and_saveexec_b64 s[4:5], vcc
	s_cbranch_execz .LBB200_54
; %bb.47:
	v_lshl_add_u32 v6, v15, 3, v19
	ds_read_b64 v[6:7], v6
	s_waitcnt lgkmcnt(0)
	global_store_dwordx2 v[2:3], v[6:7], off
	s_or_b64 exec, exec, s[4:5]
	s_and_saveexec_b64 s[4:5], s[0:1]
	s_cbranch_execnz .LBB200_55
.LBB200_48:
	s_or_b64 exec, exec, s[4:5]
	s_and_saveexec_b64 s[0:1], s[2:3]
	s_cbranch_execz .LBB200_50
.LBB200_49:
	v_add_co_u32_e32 v2, vcc, 0x1000, v2
	v_addc_co_u32_e32 v3, vcc, 0, v3, vcc
	s_waitcnt lgkmcnt(1)
	global_store_dwordx2 v[2:3], v[0:1], off
.LBB200_50:
	s_or_b64 exec, exec, s[0:1]
.LBB200_51:
	s_and_saveexec_b64 s[0:1], s[6:7]
	s_cbranch_execz .LBB200_53
; %bb.52:
	s_lshl_b64 s[0:1], s[16:17], 3
	s_add_u32 s0, s12, s0
	s_addc_u32 s1, s13, s1
	s_waitcnt lgkmcnt(1)
	v_mov_b32_e32 v0, s1
	v_add_co_u32_e32 v1, vcc, s0, v14
	v_addc_co_u32_e32 v2, vcc, 0, v0, vcc
	v_add_co_u32_e32 v0, vcc, 0x1000, v1
	v_addc_co_u32_e32 v1, vcc, 0, v2, vcc
	s_waitcnt lgkmcnt(0)
	global_store_dwordx2 v[0:1], v[12:13], off offset:2048
.LBB200_53:
	s_endpgm
.LBB200_54:
	s_or_b64 exec, exec, s[4:5]
	s_and_saveexec_b64 s[4:5], s[0:1]
	s_cbranch_execz .LBB200_48
.LBB200_55:
	s_waitcnt lgkmcnt(2)
	global_store_dwordx2 v[2:3], v[4:5], off offset:2048
	s_or_b64 exec, exec, s[4:5]
	s_and_saveexec_b64 s[0:1], s[2:3]
	s_cbranch_execnz .LBB200_49
	s_branch .LBB200_50
	.section	.rodata,"a",@progbits
	.p2align	6, 0x0
	.amdhsa_kernel _ZN7rocprim17ROCPRIM_400000_NS6detail17trampoline_kernelINS0_14default_configENS1_38merge_sort_block_merge_config_selectorIhlEEZZNS1_27merge_sort_block_merge_implIS3_PhN6thrust23THRUST_200600_302600_NS10device_ptrIlEEjNS1_19radix_merge_compareILb0ELb1EhNS0_19identity_decomposerEEEEE10hipError_tT0_T1_T2_jT3_P12ihipStream_tbPNSt15iterator_traitsISG_E10value_typeEPNSM_ISH_E10value_typeEPSI_NS1_7vsmem_tEENKUlT_SG_SH_SI_E_clIS7_S7_PlSB_EESF_SV_SG_SH_SI_EUlSV_E0_NS1_11comp_targetILNS1_3genE4ELNS1_11target_archE910ELNS1_3gpuE8ELNS1_3repE0EEENS1_38merge_mergepath_config_static_selectorELNS0_4arch9wavefront6targetE1EEEvSH_
		.amdhsa_group_segment_fixed_size 8448
		.amdhsa_private_segment_fixed_size 0
		.amdhsa_kernarg_size 320
		.amdhsa_user_sgpr_count 6
		.amdhsa_user_sgpr_private_segment_buffer 1
		.amdhsa_user_sgpr_dispatch_ptr 0
		.amdhsa_user_sgpr_queue_ptr 0
		.amdhsa_user_sgpr_kernarg_segment_ptr 1
		.amdhsa_user_sgpr_dispatch_id 0
		.amdhsa_user_sgpr_flat_scratch_init 0
		.amdhsa_user_sgpr_kernarg_preload_length 0
		.amdhsa_user_sgpr_kernarg_preload_offset 0
		.amdhsa_user_sgpr_private_segment_size 0
		.amdhsa_uses_dynamic_stack 0
		.amdhsa_system_sgpr_private_segment_wavefront_offset 0
		.amdhsa_system_sgpr_workgroup_id_x 1
		.amdhsa_system_sgpr_workgroup_id_y 1
		.amdhsa_system_sgpr_workgroup_id_z 1
		.amdhsa_system_sgpr_workgroup_info 0
		.amdhsa_system_vgpr_workitem_id 0
		.amdhsa_next_free_vgpr 36
		.amdhsa_next_free_sgpr 32
		.amdhsa_accum_offset 36
		.amdhsa_reserve_vcc 1
		.amdhsa_reserve_flat_scratch 0
		.amdhsa_float_round_mode_32 0
		.amdhsa_float_round_mode_16_64 0
		.amdhsa_float_denorm_mode_32 3
		.amdhsa_float_denorm_mode_16_64 3
		.amdhsa_dx10_clamp 1
		.amdhsa_ieee_mode 1
		.amdhsa_fp16_overflow 0
		.amdhsa_tg_split 0
		.amdhsa_exception_fp_ieee_invalid_op 0
		.amdhsa_exception_fp_denorm_src 0
		.amdhsa_exception_fp_ieee_div_zero 0
		.amdhsa_exception_fp_ieee_overflow 0
		.amdhsa_exception_fp_ieee_underflow 0
		.amdhsa_exception_fp_ieee_inexact 0
		.amdhsa_exception_int_div_zero 0
	.end_amdhsa_kernel
	.section	.text._ZN7rocprim17ROCPRIM_400000_NS6detail17trampoline_kernelINS0_14default_configENS1_38merge_sort_block_merge_config_selectorIhlEEZZNS1_27merge_sort_block_merge_implIS3_PhN6thrust23THRUST_200600_302600_NS10device_ptrIlEEjNS1_19radix_merge_compareILb0ELb1EhNS0_19identity_decomposerEEEEE10hipError_tT0_T1_T2_jT3_P12ihipStream_tbPNSt15iterator_traitsISG_E10value_typeEPNSM_ISH_E10value_typeEPSI_NS1_7vsmem_tEENKUlT_SG_SH_SI_E_clIS7_S7_PlSB_EESF_SV_SG_SH_SI_EUlSV_E0_NS1_11comp_targetILNS1_3genE4ELNS1_11target_archE910ELNS1_3gpuE8ELNS1_3repE0EEENS1_38merge_mergepath_config_static_selectorELNS0_4arch9wavefront6targetE1EEEvSH_,"axG",@progbits,_ZN7rocprim17ROCPRIM_400000_NS6detail17trampoline_kernelINS0_14default_configENS1_38merge_sort_block_merge_config_selectorIhlEEZZNS1_27merge_sort_block_merge_implIS3_PhN6thrust23THRUST_200600_302600_NS10device_ptrIlEEjNS1_19radix_merge_compareILb0ELb1EhNS0_19identity_decomposerEEEEE10hipError_tT0_T1_T2_jT3_P12ihipStream_tbPNSt15iterator_traitsISG_E10value_typeEPNSM_ISH_E10value_typeEPSI_NS1_7vsmem_tEENKUlT_SG_SH_SI_E_clIS7_S7_PlSB_EESF_SV_SG_SH_SI_EUlSV_E0_NS1_11comp_targetILNS1_3genE4ELNS1_11target_archE910ELNS1_3gpuE8ELNS1_3repE0EEENS1_38merge_mergepath_config_static_selectorELNS0_4arch9wavefront6targetE1EEEvSH_,comdat
.Lfunc_end200:
	.size	_ZN7rocprim17ROCPRIM_400000_NS6detail17trampoline_kernelINS0_14default_configENS1_38merge_sort_block_merge_config_selectorIhlEEZZNS1_27merge_sort_block_merge_implIS3_PhN6thrust23THRUST_200600_302600_NS10device_ptrIlEEjNS1_19radix_merge_compareILb0ELb1EhNS0_19identity_decomposerEEEEE10hipError_tT0_T1_T2_jT3_P12ihipStream_tbPNSt15iterator_traitsISG_E10value_typeEPNSM_ISH_E10value_typeEPSI_NS1_7vsmem_tEENKUlT_SG_SH_SI_E_clIS7_S7_PlSB_EESF_SV_SG_SH_SI_EUlSV_E0_NS1_11comp_targetILNS1_3genE4ELNS1_11target_archE910ELNS1_3gpuE8ELNS1_3repE0EEENS1_38merge_mergepath_config_static_selectorELNS0_4arch9wavefront6targetE1EEEvSH_, .Lfunc_end200-_ZN7rocprim17ROCPRIM_400000_NS6detail17trampoline_kernelINS0_14default_configENS1_38merge_sort_block_merge_config_selectorIhlEEZZNS1_27merge_sort_block_merge_implIS3_PhN6thrust23THRUST_200600_302600_NS10device_ptrIlEEjNS1_19radix_merge_compareILb0ELb1EhNS0_19identity_decomposerEEEEE10hipError_tT0_T1_T2_jT3_P12ihipStream_tbPNSt15iterator_traitsISG_E10value_typeEPNSM_ISH_E10value_typeEPSI_NS1_7vsmem_tEENKUlT_SG_SH_SI_E_clIS7_S7_PlSB_EESF_SV_SG_SH_SI_EUlSV_E0_NS1_11comp_targetILNS1_3genE4ELNS1_11target_archE910ELNS1_3gpuE8ELNS1_3repE0EEENS1_38merge_mergepath_config_static_selectorELNS0_4arch9wavefront6targetE1EEEvSH_
                                        ; -- End function
	.section	.AMDGPU.csdata,"",@progbits
; Kernel info:
; codeLenInByte = 3188
; NumSgprs: 36
; NumVgprs: 36
; NumAgprs: 0
; TotalNumVgprs: 36
; ScratchSize: 0
; MemoryBound: 0
; FloatMode: 240
; IeeeMode: 1
; LDSByteSize: 8448 bytes/workgroup (compile time only)
; SGPRBlocks: 4
; VGPRBlocks: 4
; NumSGPRsForWavesPerEU: 36
; NumVGPRsForWavesPerEU: 36
; AccumOffset: 36
; Occupancy: 7
; WaveLimiterHint : 1
; COMPUTE_PGM_RSRC2:SCRATCH_EN: 0
; COMPUTE_PGM_RSRC2:USER_SGPR: 6
; COMPUTE_PGM_RSRC2:TRAP_HANDLER: 0
; COMPUTE_PGM_RSRC2:TGID_X_EN: 1
; COMPUTE_PGM_RSRC2:TGID_Y_EN: 1
; COMPUTE_PGM_RSRC2:TGID_Z_EN: 1
; COMPUTE_PGM_RSRC2:TIDIG_COMP_CNT: 0
; COMPUTE_PGM_RSRC3_GFX90A:ACCUM_OFFSET: 8
; COMPUTE_PGM_RSRC3_GFX90A:TG_SPLIT: 0
	.section	.text._ZN7rocprim17ROCPRIM_400000_NS6detail17trampoline_kernelINS0_14default_configENS1_38merge_sort_block_merge_config_selectorIhlEEZZNS1_27merge_sort_block_merge_implIS3_PhN6thrust23THRUST_200600_302600_NS10device_ptrIlEEjNS1_19radix_merge_compareILb0ELb1EhNS0_19identity_decomposerEEEEE10hipError_tT0_T1_T2_jT3_P12ihipStream_tbPNSt15iterator_traitsISG_E10value_typeEPNSM_ISH_E10value_typeEPSI_NS1_7vsmem_tEENKUlT_SG_SH_SI_E_clIS7_S7_PlSB_EESF_SV_SG_SH_SI_EUlSV_E0_NS1_11comp_targetILNS1_3genE3ELNS1_11target_archE908ELNS1_3gpuE7ELNS1_3repE0EEENS1_38merge_mergepath_config_static_selectorELNS0_4arch9wavefront6targetE1EEEvSH_,"axG",@progbits,_ZN7rocprim17ROCPRIM_400000_NS6detail17trampoline_kernelINS0_14default_configENS1_38merge_sort_block_merge_config_selectorIhlEEZZNS1_27merge_sort_block_merge_implIS3_PhN6thrust23THRUST_200600_302600_NS10device_ptrIlEEjNS1_19radix_merge_compareILb0ELb1EhNS0_19identity_decomposerEEEEE10hipError_tT0_T1_T2_jT3_P12ihipStream_tbPNSt15iterator_traitsISG_E10value_typeEPNSM_ISH_E10value_typeEPSI_NS1_7vsmem_tEENKUlT_SG_SH_SI_E_clIS7_S7_PlSB_EESF_SV_SG_SH_SI_EUlSV_E0_NS1_11comp_targetILNS1_3genE3ELNS1_11target_archE908ELNS1_3gpuE7ELNS1_3repE0EEENS1_38merge_mergepath_config_static_selectorELNS0_4arch9wavefront6targetE1EEEvSH_,comdat
	.protected	_ZN7rocprim17ROCPRIM_400000_NS6detail17trampoline_kernelINS0_14default_configENS1_38merge_sort_block_merge_config_selectorIhlEEZZNS1_27merge_sort_block_merge_implIS3_PhN6thrust23THRUST_200600_302600_NS10device_ptrIlEEjNS1_19radix_merge_compareILb0ELb1EhNS0_19identity_decomposerEEEEE10hipError_tT0_T1_T2_jT3_P12ihipStream_tbPNSt15iterator_traitsISG_E10value_typeEPNSM_ISH_E10value_typeEPSI_NS1_7vsmem_tEENKUlT_SG_SH_SI_E_clIS7_S7_PlSB_EESF_SV_SG_SH_SI_EUlSV_E0_NS1_11comp_targetILNS1_3genE3ELNS1_11target_archE908ELNS1_3gpuE7ELNS1_3repE0EEENS1_38merge_mergepath_config_static_selectorELNS0_4arch9wavefront6targetE1EEEvSH_ ; -- Begin function _ZN7rocprim17ROCPRIM_400000_NS6detail17trampoline_kernelINS0_14default_configENS1_38merge_sort_block_merge_config_selectorIhlEEZZNS1_27merge_sort_block_merge_implIS3_PhN6thrust23THRUST_200600_302600_NS10device_ptrIlEEjNS1_19radix_merge_compareILb0ELb1EhNS0_19identity_decomposerEEEEE10hipError_tT0_T1_T2_jT3_P12ihipStream_tbPNSt15iterator_traitsISG_E10value_typeEPNSM_ISH_E10value_typeEPSI_NS1_7vsmem_tEENKUlT_SG_SH_SI_E_clIS7_S7_PlSB_EESF_SV_SG_SH_SI_EUlSV_E0_NS1_11comp_targetILNS1_3genE3ELNS1_11target_archE908ELNS1_3gpuE7ELNS1_3repE0EEENS1_38merge_mergepath_config_static_selectorELNS0_4arch9wavefront6targetE1EEEvSH_
	.globl	_ZN7rocprim17ROCPRIM_400000_NS6detail17trampoline_kernelINS0_14default_configENS1_38merge_sort_block_merge_config_selectorIhlEEZZNS1_27merge_sort_block_merge_implIS3_PhN6thrust23THRUST_200600_302600_NS10device_ptrIlEEjNS1_19radix_merge_compareILb0ELb1EhNS0_19identity_decomposerEEEEE10hipError_tT0_T1_T2_jT3_P12ihipStream_tbPNSt15iterator_traitsISG_E10value_typeEPNSM_ISH_E10value_typeEPSI_NS1_7vsmem_tEENKUlT_SG_SH_SI_E_clIS7_S7_PlSB_EESF_SV_SG_SH_SI_EUlSV_E0_NS1_11comp_targetILNS1_3genE3ELNS1_11target_archE908ELNS1_3gpuE7ELNS1_3repE0EEENS1_38merge_mergepath_config_static_selectorELNS0_4arch9wavefront6targetE1EEEvSH_
	.p2align	8
	.type	_ZN7rocprim17ROCPRIM_400000_NS6detail17trampoline_kernelINS0_14default_configENS1_38merge_sort_block_merge_config_selectorIhlEEZZNS1_27merge_sort_block_merge_implIS3_PhN6thrust23THRUST_200600_302600_NS10device_ptrIlEEjNS1_19radix_merge_compareILb0ELb1EhNS0_19identity_decomposerEEEEE10hipError_tT0_T1_T2_jT3_P12ihipStream_tbPNSt15iterator_traitsISG_E10value_typeEPNSM_ISH_E10value_typeEPSI_NS1_7vsmem_tEENKUlT_SG_SH_SI_E_clIS7_S7_PlSB_EESF_SV_SG_SH_SI_EUlSV_E0_NS1_11comp_targetILNS1_3genE3ELNS1_11target_archE908ELNS1_3gpuE7ELNS1_3repE0EEENS1_38merge_mergepath_config_static_selectorELNS0_4arch9wavefront6targetE1EEEvSH_,@function
_ZN7rocprim17ROCPRIM_400000_NS6detail17trampoline_kernelINS0_14default_configENS1_38merge_sort_block_merge_config_selectorIhlEEZZNS1_27merge_sort_block_merge_implIS3_PhN6thrust23THRUST_200600_302600_NS10device_ptrIlEEjNS1_19radix_merge_compareILb0ELb1EhNS0_19identity_decomposerEEEEE10hipError_tT0_T1_T2_jT3_P12ihipStream_tbPNSt15iterator_traitsISG_E10value_typeEPNSM_ISH_E10value_typeEPSI_NS1_7vsmem_tEENKUlT_SG_SH_SI_E_clIS7_S7_PlSB_EESF_SV_SG_SH_SI_EUlSV_E0_NS1_11comp_targetILNS1_3genE3ELNS1_11target_archE908ELNS1_3gpuE7ELNS1_3repE0EEENS1_38merge_mergepath_config_static_selectorELNS0_4arch9wavefront6targetE1EEEvSH_: ; @_ZN7rocprim17ROCPRIM_400000_NS6detail17trampoline_kernelINS0_14default_configENS1_38merge_sort_block_merge_config_selectorIhlEEZZNS1_27merge_sort_block_merge_implIS3_PhN6thrust23THRUST_200600_302600_NS10device_ptrIlEEjNS1_19radix_merge_compareILb0ELb1EhNS0_19identity_decomposerEEEEE10hipError_tT0_T1_T2_jT3_P12ihipStream_tbPNSt15iterator_traitsISG_E10value_typeEPNSM_ISH_E10value_typeEPSI_NS1_7vsmem_tEENKUlT_SG_SH_SI_E_clIS7_S7_PlSB_EESF_SV_SG_SH_SI_EUlSV_E0_NS1_11comp_targetILNS1_3genE3ELNS1_11target_archE908ELNS1_3gpuE7ELNS1_3repE0EEENS1_38merge_mergepath_config_static_selectorELNS0_4arch9wavefront6targetE1EEEvSH_
; %bb.0:
	.section	.rodata,"a",@progbits
	.p2align	6, 0x0
	.amdhsa_kernel _ZN7rocprim17ROCPRIM_400000_NS6detail17trampoline_kernelINS0_14default_configENS1_38merge_sort_block_merge_config_selectorIhlEEZZNS1_27merge_sort_block_merge_implIS3_PhN6thrust23THRUST_200600_302600_NS10device_ptrIlEEjNS1_19radix_merge_compareILb0ELb1EhNS0_19identity_decomposerEEEEE10hipError_tT0_T1_T2_jT3_P12ihipStream_tbPNSt15iterator_traitsISG_E10value_typeEPNSM_ISH_E10value_typeEPSI_NS1_7vsmem_tEENKUlT_SG_SH_SI_E_clIS7_S7_PlSB_EESF_SV_SG_SH_SI_EUlSV_E0_NS1_11comp_targetILNS1_3genE3ELNS1_11target_archE908ELNS1_3gpuE7ELNS1_3repE0EEENS1_38merge_mergepath_config_static_selectorELNS0_4arch9wavefront6targetE1EEEvSH_
		.amdhsa_group_segment_fixed_size 0
		.amdhsa_private_segment_fixed_size 0
		.amdhsa_kernarg_size 64
		.amdhsa_user_sgpr_count 6
		.amdhsa_user_sgpr_private_segment_buffer 1
		.amdhsa_user_sgpr_dispatch_ptr 0
		.amdhsa_user_sgpr_queue_ptr 0
		.amdhsa_user_sgpr_kernarg_segment_ptr 1
		.amdhsa_user_sgpr_dispatch_id 0
		.amdhsa_user_sgpr_flat_scratch_init 0
		.amdhsa_user_sgpr_kernarg_preload_length 0
		.amdhsa_user_sgpr_kernarg_preload_offset 0
		.amdhsa_user_sgpr_private_segment_size 0
		.amdhsa_uses_dynamic_stack 0
		.amdhsa_system_sgpr_private_segment_wavefront_offset 0
		.amdhsa_system_sgpr_workgroup_id_x 1
		.amdhsa_system_sgpr_workgroup_id_y 0
		.amdhsa_system_sgpr_workgroup_id_z 0
		.amdhsa_system_sgpr_workgroup_info 0
		.amdhsa_system_vgpr_workitem_id 0
		.amdhsa_next_free_vgpr 1
		.amdhsa_next_free_sgpr 0
		.amdhsa_accum_offset 4
		.amdhsa_reserve_vcc 0
		.amdhsa_reserve_flat_scratch 0
		.amdhsa_float_round_mode_32 0
		.amdhsa_float_round_mode_16_64 0
		.amdhsa_float_denorm_mode_32 3
		.amdhsa_float_denorm_mode_16_64 3
		.amdhsa_dx10_clamp 1
		.amdhsa_ieee_mode 1
		.amdhsa_fp16_overflow 0
		.amdhsa_tg_split 0
		.amdhsa_exception_fp_ieee_invalid_op 0
		.amdhsa_exception_fp_denorm_src 0
		.amdhsa_exception_fp_ieee_div_zero 0
		.amdhsa_exception_fp_ieee_overflow 0
		.amdhsa_exception_fp_ieee_underflow 0
		.amdhsa_exception_fp_ieee_inexact 0
		.amdhsa_exception_int_div_zero 0
	.end_amdhsa_kernel
	.section	.text._ZN7rocprim17ROCPRIM_400000_NS6detail17trampoline_kernelINS0_14default_configENS1_38merge_sort_block_merge_config_selectorIhlEEZZNS1_27merge_sort_block_merge_implIS3_PhN6thrust23THRUST_200600_302600_NS10device_ptrIlEEjNS1_19radix_merge_compareILb0ELb1EhNS0_19identity_decomposerEEEEE10hipError_tT0_T1_T2_jT3_P12ihipStream_tbPNSt15iterator_traitsISG_E10value_typeEPNSM_ISH_E10value_typeEPSI_NS1_7vsmem_tEENKUlT_SG_SH_SI_E_clIS7_S7_PlSB_EESF_SV_SG_SH_SI_EUlSV_E0_NS1_11comp_targetILNS1_3genE3ELNS1_11target_archE908ELNS1_3gpuE7ELNS1_3repE0EEENS1_38merge_mergepath_config_static_selectorELNS0_4arch9wavefront6targetE1EEEvSH_,"axG",@progbits,_ZN7rocprim17ROCPRIM_400000_NS6detail17trampoline_kernelINS0_14default_configENS1_38merge_sort_block_merge_config_selectorIhlEEZZNS1_27merge_sort_block_merge_implIS3_PhN6thrust23THRUST_200600_302600_NS10device_ptrIlEEjNS1_19radix_merge_compareILb0ELb1EhNS0_19identity_decomposerEEEEE10hipError_tT0_T1_T2_jT3_P12ihipStream_tbPNSt15iterator_traitsISG_E10value_typeEPNSM_ISH_E10value_typeEPSI_NS1_7vsmem_tEENKUlT_SG_SH_SI_E_clIS7_S7_PlSB_EESF_SV_SG_SH_SI_EUlSV_E0_NS1_11comp_targetILNS1_3genE3ELNS1_11target_archE908ELNS1_3gpuE7ELNS1_3repE0EEENS1_38merge_mergepath_config_static_selectorELNS0_4arch9wavefront6targetE1EEEvSH_,comdat
.Lfunc_end201:
	.size	_ZN7rocprim17ROCPRIM_400000_NS6detail17trampoline_kernelINS0_14default_configENS1_38merge_sort_block_merge_config_selectorIhlEEZZNS1_27merge_sort_block_merge_implIS3_PhN6thrust23THRUST_200600_302600_NS10device_ptrIlEEjNS1_19radix_merge_compareILb0ELb1EhNS0_19identity_decomposerEEEEE10hipError_tT0_T1_T2_jT3_P12ihipStream_tbPNSt15iterator_traitsISG_E10value_typeEPNSM_ISH_E10value_typeEPSI_NS1_7vsmem_tEENKUlT_SG_SH_SI_E_clIS7_S7_PlSB_EESF_SV_SG_SH_SI_EUlSV_E0_NS1_11comp_targetILNS1_3genE3ELNS1_11target_archE908ELNS1_3gpuE7ELNS1_3repE0EEENS1_38merge_mergepath_config_static_selectorELNS0_4arch9wavefront6targetE1EEEvSH_, .Lfunc_end201-_ZN7rocprim17ROCPRIM_400000_NS6detail17trampoline_kernelINS0_14default_configENS1_38merge_sort_block_merge_config_selectorIhlEEZZNS1_27merge_sort_block_merge_implIS3_PhN6thrust23THRUST_200600_302600_NS10device_ptrIlEEjNS1_19radix_merge_compareILb0ELb1EhNS0_19identity_decomposerEEEEE10hipError_tT0_T1_T2_jT3_P12ihipStream_tbPNSt15iterator_traitsISG_E10value_typeEPNSM_ISH_E10value_typeEPSI_NS1_7vsmem_tEENKUlT_SG_SH_SI_E_clIS7_S7_PlSB_EESF_SV_SG_SH_SI_EUlSV_E0_NS1_11comp_targetILNS1_3genE3ELNS1_11target_archE908ELNS1_3gpuE7ELNS1_3repE0EEENS1_38merge_mergepath_config_static_selectorELNS0_4arch9wavefront6targetE1EEEvSH_
                                        ; -- End function
	.section	.AMDGPU.csdata,"",@progbits
; Kernel info:
; codeLenInByte = 0
; NumSgprs: 4
; NumVgprs: 0
; NumAgprs: 0
; TotalNumVgprs: 0
; ScratchSize: 0
; MemoryBound: 0
; FloatMode: 240
; IeeeMode: 1
; LDSByteSize: 0 bytes/workgroup (compile time only)
; SGPRBlocks: 0
; VGPRBlocks: 0
; NumSGPRsForWavesPerEU: 4
; NumVGPRsForWavesPerEU: 1
; AccumOffset: 4
; Occupancy: 8
; WaveLimiterHint : 0
; COMPUTE_PGM_RSRC2:SCRATCH_EN: 0
; COMPUTE_PGM_RSRC2:USER_SGPR: 6
; COMPUTE_PGM_RSRC2:TRAP_HANDLER: 0
; COMPUTE_PGM_RSRC2:TGID_X_EN: 1
; COMPUTE_PGM_RSRC2:TGID_Y_EN: 0
; COMPUTE_PGM_RSRC2:TGID_Z_EN: 0
; COMPUTE_PGM_RSRC2:TIDIG_COMP_CNT: 0
; COMPUTE_PGM_RSRC3_GFX90A:ACCUM_OFFSET: 0
; COMPUTE_PGM_RSRC3_GFX90A:TG_SPLIT: 0
	.section	.text._ZN7rocprim17ROCPRIM_400000_NS6detail17trampoline_kernelINS0_14default_configENS1_38merge_sort_block_merge_config_selectorIhlEEZZNS1_27merge_sort_block_merge_implIS3_PhN6thrust23THRUST_200600_302600_NS10device_ptrIlEEjNS1_19radix_merge_compareILb0ELb1EhNS0_19identity_decomposerEEEEE10hipError_tT0_T1_T2_jT3_P12ihipStream_tbPNSt15iterator_traitsISG_E10value_typeEPNSM_ISH_E10value_typeEPSI_NS1_7vsmem_tEENKUlT_SG_SH_SI_E_clIS7_S7_PlSB_EESF_SV_SG_SH_SI_EUlSV_E0_NS1_11comp_targetILNS1_3genE2ELNS1_11target_archE906ELNS1_3gpuE6ELNS1_3repE0EEENS1_38merge_mergepath_config_static_selectorELNS0_4arch9wavefront6targetE1EEEvSH_,"axG",@progbits,_ZN7rocprim17ROCPRIM_400000_NS6detail17trampoline_kernelINS0_14default_configENS1_38merge_sort_block_merge_config_selectorIhlEEZZNS1_27merge_sort_block_merge_implIS3_PhN6thrust23THRUST_200600_302600_NS10device_ptrIlEEjNS1_19radix_merge_compareILb0ELb1EhNS0_19identity_decomposerEEEEE10hipError_tT0_T1_T2_jT3_P12ihipStream_tbPNSt15iterator_traitsISG_E10value_typeEPNSM_ISH_E10value_typeEPSI_NS1_7vsmem_tEENKUlT_SG_SH_SI_E_clIS7_S7_PlSB_EESF_SV_SG_SH_SI_EUlSV_E0_NS1_11comp_targetILNS1_3genE2ELNS1_11target_archE906ELNS1_3gpuE6ELNS1_3repE0EEENS1_38merge_mergepath_config_static_selectorELNS0_4arch9wavefront6targetE1EEEvSH_,comdat
	.protected	_ZN7rocprim17ROCPRIM_400000_NS6detail17trampoline_kernelINS0_14default_configENS1_38merge_sort_block_merge_config_selectorIhlEEZZNS1_27merge_sort_block_merge_implIS3_PhN6thrust23THRUST_200600_302600_NS10device_ptrIlEEjNS1_19radix_merge_compareILb0ELb1EhNS0_19identity_decomposerEEEEE10hipError_tT0_T1_T2_jT3_P12ihipStream_tbPNSt15iterator_traitsISG_E10value_typeEPNSM_ISH_E10value_typeEPSI_NS1_7vsmem_tEENKUlT_SG_SH_SI_E_clIS7_S7_PlSB_EESF_SV_SG_SH_SI_EUlSV_E0_NS1_11comp_targetILNS1_3genE2ELNS1_11target_archE906ELNS1_3gpuE6ELNS1_3repE0EEENS1_38merge_mergepath_config_static_selectorELNS0_4arch9wavefront6targetE1EEEvSH_ ; -- Begin function _ZN7rocprim17ROCPRIM_400000_NS6detail17trampoline_kernelINS0_14default_configENS1_38merge_sort_block_merge_config_selectorIhlEEZZNS1_27merge_sort_block_merge_implIS3_PhN6thrust23THRUST_200600_302600_NS10device_ptrIlEEjNS1_19radix_merge_compareILb0ELb1EhNS0_19identity_decomposerEEEEE10hipError_tT0_T1_T2_jT3_P12ihipStream_tbPNSt15iterator_traitsISG_E10value_typeEPNSM_ISH_E10value_typeEPSI_NS1_7vsmem_tEENKUlT_SG_SH_SI_E_clIS7_S7_PlSB_EESF_SV_SG_SH_SI_EUlSV_E0_NS1_11comp_targetILNS1_3genE2ELNS1_11target_archE906ELNS1_3gpuE6ELNS1_3repE0EEENS1_38merge_mergepath_config_static_selectorELNS0_4arch9wavefront6targetE1EEEvSH_
	.globl	_ZN7rocprim17ROCPRIM_400000_NS6detail17trampoline_kernelINS0_14default_configENS1_38merge_sort_block_merge_config_selectorIhlEEZZNS1_27merge_sort_block_merge_implIS3_PhN6thrust23THRUST_200600_302600_NS10device_ptrIlEEjNS1_19radix_merge_compareILb0ELb1EhNS0_19identity_decomposerEEEEE10hipError_tT0_T1_T2_jT3_P12ihipStream_tbPNSt15iterator_traitsISG_E10value_typeEPNSM_ISH_E10value_typeEPSI_NS1_7vsmem_tEENKUlT_SG_SH_SI_E_clIS7_S7_PlSB_EESF_SV_SG_SH_SI_EUlSV_E0_NS1_11comp_targetILNS1_3genE2ELNS1_11target_archE906ELNS1_3gpuE6ELNS1_3repE0EEENS1_38merge_mergepath_config_static_selectorELNS0_4arch9wavefront6targetE1EEEvSH_
	.p2align	8
	.type	_ZN7rocprim17ROCPRIM_400000_NS6detail17trampoline_kernelINS0_14default_configENS1_38merge_sort_block_merge_config_selectorIhlEEZZNS1_27merge_sort_block_merge_implIS3_PhN6thrust23THRUST_200600_302600_NS10device_ptrIlEEjNS1_19radix_merge_compareILb0ELb1EhNS0_19identity_decomposerEEEEE10hipError_tT0_T1_T2_jT3_P12ihipStream_tbPNSt15iterator_traitsISG_E10value_typeEPNSM_ISH_E10value_typeEPSI_NS1_7vsmem_tEENKUlT_SG_SH_SI_E_clIS7_S7_PlSB_EESF_SV_SG_SH_SI_EUlSV_E0_NS1_11comp_targetILNS1_3genE2ELNS1_11target_archE906ELNS1_3gpuE6ELNS1_3repE0EEENS1_38merge_mergepath_config_static_selectorELNS0_4arch9wavefront6targetE1EEEvSH_,@function
_ZN7rocprim17ROCPRIM_400000_NS6detail17trampoline_kernelINS0_14default_configENS1_38merge_sort_block_merge_config_selectorIhlEEZZNS1_27merge_sort_block_merge_implIS3_PhN6thrust23THRUST_200600_302600_NS10device_ptrIlEEjNS1_19radix_merge_compareILb0ELb1EhNS0_19identity_decomposerEEEEE10hipError_tT0_T1_T2_jT3_P12ihipStream_tbPNSt15iterator_traitsISG_E10value_typeEPNSM_ISH_E10value_typeEPSI_NS1_7vsmem_tEENKUlT_SG_SH_SI_E_clIS7_S7_PlSB_EESF_SV_SG_SH_SI_EUlSV_E0_NS1_11comp_targetILNS1_3genE2ELNS1_11target_archE906ELNS1_3gpuE6ELNS1_3repE0EEENS1_38merge_mergepath_config_static_selectorELNS0_4arch9wavefront6targetE1EEEvSH_: ; @_ZN7rocprim17ROCPRIM_400000_NS6detail17trampoline_kernelINS0_14default_configENS1_38merge_sort_block_merge_config_selectorIhlEEZZNS1_27merge_sort_block_merge_implIS3_PhN6thrust23THRUST_200600_302600_NS10device_ptrIlEEjNS1_19radix_merge_compareILb0ELb1EhNS0_19identity_decomposerEEEEE10hipError_tT0_T1_T2_jT3_P12ihipStream_tbPNSt15iterator_traitsISG_E10value_typeEPNSM_ISH_E10value_typeEPSI_NS1_7vsmem_tEENKUlT_SG_SH_SI_E_clIS7_S7_PlSB_EESF_SV_SG_SH_SI_EUlSV_E0_NS1_11comp_targetILNS1_3genE2ELNS1_11target_archE906ELNS1_3gpuE6ELNS1_3repE0EEENS1_38merge_mergepath_config_static_selectorELNS0_4arch9wavefront6targetE1EEEvSH_
; %bb.0:
	.section	.rodata,"a",@progbits
	.p2align	6, 0x0
	.amdhsa_kernel _ZN7rocprim17ROCPRIM_400000_NS6detail17trampoline_kernelINS0_14default_configENS1_38merge_sort_block_merge_config_selectorIhlEEZZNS1_27merge_sort_block_merge_implIS3_PhN6thrust23THRUST_200600_302600_NS10device_ptrIlEEjNS1_19radix_merge_compareILb0ELb1EhNS0_19identity_decomposerEEEEE10hipError_tT0_T1_T2_jT3_P12ihipStream_tbPNSt15iterator_traitsISG_E10value_typeEPNSM_ISH_E10value_typeEPSI_NS1_7vsmem_tEENKUlT_SG_SH_SI_E_clIS7_S7_PlSB_EESF_SV_SG_SH_SI_EUlSV_E0_NS1_11comp_targetILNS1_3genE2ELNS1_11target_archE906ELNS1_3gpuE6ELNS1_3repE0EEENS1_38merge_mergepath_config_static_selectorELNS0_4arch9wavefront6targetE1EEEvSH_
		.amdhsa_group_segment_fixed_size 0
		.amdhsa_private_segment_fixed_size 0
		.amdhsa_kernarg_size 64
		.amdhsa_user_sgpr_count 6
		.amdhsa_user_sgpr_private_segment_buffer 1
		.amdhsa_user_sgpr_dispatch_ptr 0
		.amdhsa_user_sgpr_queue_ptr 0
		.amdhsa_user_sgpr_kernarg_segment_ptr 1
		.amdhsa_user_sgpr_dispatch_id 0
		.amdhsa_user_sgpr_flat_scratch_init 0
		.amdhsa_user_sgpr_kernarg_preload_length 0
		.amdhsa_user_sgpr_kernarg_preload_offset 0
		.amdhsa_user_sgpr_private_segment_size 0
		.amdhsa_uses_dynamic_stack 0
		.amdhsa_system_sgpr_private_segment_wavefront_offset 0
		.amdhsa_system_sgpr_workgroup_id_x 1
		.amdhsa_system_sgpr_workgroup_id_y 0
		.amdhsa_system_sgpr_workgroup_id_z 0
		.amdhsa_system_sgpr_workgroup_info 0
		.amdhsa_system_vgpr_workitem_id 0
		.amdhsa_next_free_vgpr 1
		.amdhsa_next_free_sgpr 0
		.amdhsa_accum_offset 4
		.amdhsa_reserve_vcc 0
		.amdhsa_reserve_flat_scratch 0
		.amdhsa_float_round_mode_32 0
		.amdhsa_float_round_mode_16_64 0
		.amdhsa_float_denorm_mode_32 3
		.amdhsa_float_denorm_mode_16_64 3
		.amdhsa_dx10_clamp 1
		.amdhsa_ieee_mode 1
		.amdhsa_fp16_overflow 0
		.amdhsa_tg_split 0
		.amdhsa_exception_fp_ieee_invalid_op 0
		.amdhsa_exception_fp_denorm_src 0
		.amdhsa_exception_fp_ieee_div_zero 0
		.amdhsa_exception_fp_ieee_overflow 0
		.amdhsa_exception_fp_ieee_underflow 0
		.amdhsa_exception_fp_ieee_inexact 0
		.amdhsa_exception_int_div_zero 0
	.end_amdhsa_kernel
	.section	.text._ZN7rocprim17ROCPRIM_400000_NS6detail17trampoline_kernelINS0_14default_configENS1_38merge_sort_block_merge_config_selectorIhlEEZZNS1_27merge_sort_block_merge_implIS3_PhN6thrust23THRUST_200600_302600_NS10device_ptrIlEEjNS1_19radix_merge_compareILb0ELb1EhNS0_19identity_decomposerEEEEE10hipError_tT0_T1_T2_jT3_P12ihipStream_tbPNSt15iterator_traitsISG_E10value_typeEPNSM_ISH_E10value_typeEPSI_NS1_7vsmem_tEENKUlT_SG_SH_SI_E_clIS7_S7_PlSB_EESF_SV_SG_SH_SI_EUlSV_E0_NS1_11comp_targetILNS1_3genE2ELNS1_11target_archE906ELNS1_3gpuE6ELNS1_3repE0EEENS1_38merge_mergepath_config_static_selectorELNS0_4arch9wavefront6targetE1EEEvSH_,"axG",@progbits,_ZN7rocprim17ROCPRIM_400000_NS6detail17trampoline_kernelINS0_14default_configENS1_38merge_sort_block_merge_config_selectorIhlEEZZNS1_27merge_sort_block_merge_implIS3_PhN6thrust23THRUST_200600_302600_NS10device_ptrIlEEjNS1_19radix_merge_compareILb0ELb1EhNS0_19identity_decomposerEEEEE10hipError_tT0_T1_T2_jT3_P12ihipStream_tbPNSt15iterator_traitsISG_E10value_typeEPNSM_ISH_E10value_typeEPSI_NS1_7vsmem_tEENKUlT_SG_SH_SI_E_clIS7_S7_PlSB_EESF_SV_SG_SH_SI_EUlSV_E0_NS1_11comp_targetILNS1_3genE2ELNS1_11target_archE906ELNS1_3gpuE6ELNS1_3repE0EEENS1_38merge_mergepath_config_static_selectorELNS0_4arch9wavefront6targetE1EEEvSH_,comdat
.Lfunc_end202:
	.size	_ZN7rocprim17ROCPRIM_400000_NS6detail17trampoline_kernelINS0_14default_configENS1_38merge_sort_block_merge_config_selectorIhlEEZZNS1_27merge_sort_block_merge_implIS3_PhN6thrust23THRUST_200600_302600_NS10device_ptrIlEEjNS1_19radix_merge_compareILb0ELb1EhNS0_19identity_decomposerEEEEE10hipError_tT0_T1_T2_jT3_P12ihipStream_tbPNSt15iterator_traitsISG_E10value_typeEPNSM_ISH_E10value_typeEPSI_NS1_7vsmem_tEENKUlT_SG_SH_SI_E_clIS7_S7_PlSB_EESF_SV_SG_SH_SI_EUlSV_E0_NS1_11comp_targetILNS1_3genE2ELNS1_11target_archE906ELNS1_3gpuE6ELNS1_3repE0EEENS1_38merge_mergepath_config_static_selectorELNS0_4arch9wavefront6targetE1EEEvSH_, .Lfunc_end202-_ZN7rocprim17ROCPRIM_400000_NS6detail17trampoline_kernelINS0_14default_configENS1_38merge_sort_block_merge_config_selectorIhlEEZZNS1_27merge_sort_block_merge_implIS3_PhN6thrust23THRUST_200600_302600_NS10device_ptrIlEEjNS1_19radix_merge_compareILb0ELb1EhNS0_19identity_decomposerEEEEE10hipError_tT0_T1_T2_jT3_P12ihipStream_tbPNSt15iterator_traitsISG_E10value_typeEPNSM_ISH_E10value_typeEPSI_NS1_7vsmem_tEENKUlT_SG_SH_SI_E_clIS7_S7_PlSB_EESF_SV_SG_SH_SI_EUlSV_E0_NS1_11comp_targetILNS1_3genE2ELNS1_11target_archE906ELNS1_3gpuE6ELNS1_3repE0EEENS1_38merge_mergepath_config_static_selectorELNS0_4arch9wavefront6targetE1EEEvSH_
                                        ; -- End function
	.section	.AMDGPU.csdata,"",@progbits
; Kernel info:
; codeLenInByte = 0
; NumSgprs: 4
; NumVgprs: 0
; NumAgprs: 0
; TotalNumVgprs: 0
; ScratchSize: 0
; MemoryBound: 0
; FloatMode: 240
; IeeeMode: 1
; LDSByteSize: 0 bytes/workgroup (compile time only)
; SGPRBlocks: 0
; VGPRBlocks: 0
; NumSGPRsForWavesPerEU: 4
; NumVGPRsForWavesPerEU: 1
; AccumOffset: 4
; Occupancy: 8
; WaveLimiterHint : 0
; COMPUTE_PGM_RSRC2:SCRATCH_EN: 0
; COMPUTE_PGM_RSRC2:USER_SGPR: 6
; COMPUTE_PGM_RSRC2:TRAP_HANDLER: 0
; COMPUTE_PGM_RSRC2:TGID_X_EN: 1
; COMPUTE_PGM_RSRC2:TGID_Y_EN: 0
; COMPUTE_PGM_RSRC2:TGID_Z_EN: 0
; COMPUTE_PGM_RSRC2:TIDIG_COMP_CNT: 0
; COMPUTE_PGM_RSRC3_GFX90A:ACCUM_OFFSET: 0
; COMPUTE_PGM_RSRC3_GFX90A:TG_SPLIT: 0
	.section	.text._ZN7rocprim17ROCPRIM_400000_NS6detail17trampoline_kernelINS0_14default_configENS1_38merge_sort_block_merge_config_selectorIhlEEZZNS1_27merge_sort_block_merge_implIS3_PhN6thrust23THRUST_200600_302600_NS10device_ptrIlEEjNS1_19radix_merge_compareILb0ELb1EhNS0_19identity_decomposerEEEEE10hipError_tT0_T1_T2_jT3_P12ihipStream_tbPNSt15iterator_traitsISG_E10value_typeEPNSM_ISH_E10value_typeEPSI_NS1_7vsmem_tEENKUlT_SG_SH_SI_E_clIS7_S7_PlSB_EESF_SV_SG_SH_SI_EUlSV_E0_NS1_11comp_targetILNS1_3genE9ELNS1_11target_archE1100ELNS1_3gpuE3ELNS1_3repE0EEENS1_38merge_mergepath_config_static_selectorELNS0_4arch9wavefront6targetE1EEEvSH_,"axG",@progbits,_ZN7rocprim17ROCPRIM_400000_NS6detail17trampoline_kernelINS0_14default_configENS1_38merge_sort_block_merge_config_selectorIhlEEZZNS1_27merge_sort_block_merge_implIS3_PhN6thrust23THRUST_200600_302600_NS10device_ptrIlEEjNS1_19radix_merge_compareILb0ELb1EhNS0_19identity_decomposerEEEEE10hipError_tT0_T1_T2_jT3_P12ihipStream_tbPNSt15iterator_traitsISG_E10value_typeEPNSM_ISH_E10value_typeEPSI_NS1_7vsmem_tEENKUlT_SG_SH_SI_E_clIS7_S7_PlSB_EESF_SV_SG_SH_SI_EUlSV_E0_NS1_11comp_targetILNS1_3genE9ELNS1_11target_archE1100ELNS1_3gpuE3ELNS1_3repE0EEENS1_38merge_mergepath_config_static_selectorELNS0_4arch9wavefront6targetE1EEEvSH_,comdat
	.protected	_ZN7rocprim17ROCPRIM_400000_NS6detail17trampoline_kernelINS0_14default_configENS1_38merge_sort_block_merge_config_selectorIhlEEZZNS1_27merge_sort_block_merge_implIS3_PhN6thrust23THRUST_200600_302600_NS10device_ptrIlEEjNS1_19radix_merge_compareILb0ELb1EhNS0_19identity_decomposerEEEEE10hipError_tT0_T1_T2_jT3_P12ihipStream_tbPNSt15iterator_traitsISG_E10value_typeEPNSM_ISH_E10value_typeEPSI_NS1_7vsmem_tEENKUlT_SG_SH_SI_E_clIS7_S7_PlSB_EESF_SV_SG_SH_SI_EUlSV_E0_NS1_11comp_targetILNS1_3genE9ELNS1_11target_archE1100ELNS1_3gpuE3ELNS1_3repE0EEENS1_38merge_mergepath_config_static_selectorELNS0_4arch9wavefront6targetE1EEEvSH_ ; -- Begin function _ZN7rocprim17ROCPRIM_400000_NS6detail17trampoline_kernelINS0_14default_configENS1_38merge_sort_block_merge_config_selectorIhlEEZZNS1_27merge_sort_block_merge_implIS3_PhN6thrust23THRUST_200600_302600_NS10device_ptrIlEEjNS1_19radix_merge_compareILb0ELb1EhNS0_19identity_decomposerEEEEE10hipError_tT0_T1_T2_jT3_P12ihipStream_tbPNSt15iterator_traitsISG_E10value_typeEPNSM_ISH_E10value_typeEPSI_NS1_7vsmem_tEENKUlT_SG_SH_SI_E_clIS7_S7_PlSB_EESF_SV_SG_SH_SI_EUlSV_E0_NS1_11comp_targetILNS1_3genE9ELNS1_11target_archE1100ELNS1_3gpuE3ELNS1_3repE0EEENS1_38merge_mergepath_config_static_selectorELNS0_4arch9wavefront6targetE1EEEvSH_
	.globl	_ZN7rocprim17ROCPRIM_400000_NS6detail17trampoline_kernelINS0_14default_configENS1_38merge_sort_block_merge_config_selectorIhlEEZZNS1_27merge_sort_block_merge_implIS3_PhN6thrust23THRUST_200600_302600_NS10device_ptrIlEEjNS1_19radix_merge_compareILb0ELb1EhNS0_19identity_decomposerEEEEE10hipError_tT0_T1_T2_jT3_P12ihipStream_tbPNSt15iterator_traitsISG_E10value_typeEPNSM_ISH_E10value_typeEPSI_NS1_7vsmem_tEENKUlT_SG_SH_SI_E_clIS7_S7_PlSB_EESF_SV_SG_SH_SI_EUlSV_E0_NS1_11comp_targetILNS1_3genE9ELNS1_11target_archE1100ELNS1_3gpuE3ELNS1_3repE0EEENS1_38merge_mergepath_config_static_selectorELNS0_4arch9wavefront6targetE1EEEvSH_
	.p2align	8
	.type	_ZN7rocprim17ROCPRIM_400000_NS6detail17trampoline_kernelINS0_14default_configENS1_38merge_sort_block_merge_config_selectorIhlEEZZNS1_27merge_sort_block_merge_implIS3_PhN6thrust23THRUST_200600_302600_NS10device_ptrIlEEjNS1_19radix_merge_compareILb0ELb1EhNS0_19identity_decomposerEEEEE10hipError_tT0_T1_T2_jT3_P12ihipStream_tbPNSt15iterator_traitsISG_E10value_typeEPNSM_ISH_E10value_typeEPSI_NS1_7vsmem_tEENKUlT_SG_SH_SI_E_clIS7_S7_PlSB_EESF_SV_SG_SH_SI_EUlSV_E0_NS1_11comp_targetILNS1_3genE9ELNS1_11target_archE1100ELNS1_3gpuE3ELNS1_3repE0EEENS1_38merge_mergepath_config_static_selectorELNS0_4arch9wavefront6targetE1EEEvSH_,@function
_ZN7rocprim17ROCPRIM_400000_NS6detail17trampoline_kernelINS0_14default_configENS1_38merge_sort_block_merge_config_selectorIhlEEZZNS1_27merge_sort_block_merge_implIS3_PhN6thrust23THRUST_200600_302600_NS10device_ptrIlEEjNS1_19radix_merge_compareILb0ELb1EhNS0_19identity_decomposerEEEEE10hipError_tT0_T1_T2_jT3_P12ihipStream_tbPNSt15iterator_traitsISG_E10value_typeEPNSM_ISH_E10value_typeEPSI_NS1_7vsmem_tEENKUlT_SG_SH_SI_E_clIS7_S7_PlSB_EESF_SV_SG_SH_SI_EUlSV_E0_NS1_11comp_targetILNS1_3genE9ELNS1_11target_archE1100ELNS1_3gpuE3ELNS1_3repE0EEENS1_38merge_mergepath_config_static_selectorELNS0_4arch9wavefront6targetE1EEEvSH_: ; @_ZN7rocprim17ROCPRIM_400000_NS6detail17trampoline_kernelINS0_14default_configENS1_38merge_sort_block_merge_config_selectorIhlEEZZNS1_27merge_sort_block_merge_implIS3_PhN6thrust23THRUST_200600_302600_NS10device_ptrIlEEjNS1_19radix_merge_compareILb0ELb1EhNS0_19identity_decomposerEEEEE10hipError_tT0_T1_T2_jT3_P12ihipStream_tbPNSt15iterator_traitsISG_E10value_typeEPNSM_ISH_E10value_typeEPSI_NS1_7vsmem_tEENKUlT_SG_SH_SI_E_clIS7_S7_PlSB_EESF_SV_SG_SH_SI_EUlSV_E0_NS1_11comp_targetILNS1_3genE9ELNS1_11target_archE1100ELNS1_3gpuE3ELNS1_3repE0EEENS1_38merge_mergepath_config_static_selectorELNS0_4arch9wavefront6targetE1EEEvSH_
; %bb.0:
	.section	.rodata,"a",@progbits
	.p2align	6, 0x0
	.amdhsa_kernel _ZN7rocprim17ROCPRIM_400000_NS6detail17trampoline_kernelINS0_14default_configENS1_38merge_sort_block_merge_config_selectorIhlEEZZNS1_27merge_sort_block_merge_implIS3_PhN6thrust23THRUST_200600_302600_NS10device_ptrIlEEjNS1_19radix_merge_compareILb0ELb1EhNS0_19identity_decomposerEEEEE10hipError_tT0_T1_T2_jT3_P12ihipStream_tbPNSt15iterator_traitsISG_E10value_typeEPNSM_ISH_E10value_typeEPSI_NS1_7vsmem_tEENKUlT_SG_SH_SI_E_clIS7_S7_PlSB_EESF_SV_SG_SH_SI_EUlSV_E0_NS1_11comp_targetILNS1_3genE9ELNS1_11target_archE1100ELNS1_3gpuE3ELNS1_3repE0EEENS1_38merge_mergepath_config_static_selectorELNS0_4arch9wavefront6targetE1EEEvSH_
		.amdhsa_group_segment_fixed_size 0
		.amdhsa_private_segment_fixed_size 0
		.amdhsa_kernarg_size 64
		.amdhsa_user_sgpr_count 6
		.amdhsa_user_sgpr_private_segment_buffer 1
		.amdhsa_user_sgpr_dispatch_ptr 0
		.amdhsa_user_sgpr_queue_ptr 0
		.amdhsa_user_sgpr_kernarg_segment_ptr 1
		.amdhsa_user_sgpr_dispatch_id 0
		.amdhsa_user_sgpr_flat_scratch_init 0
		.amdhsa_user_sgpr_kernarg_preload_length 0
		.amdhsa_user_sgpr_kernarg_preload_offset 0
		.amdhsa_user_sgpr_private_segment_size 0
		.amdhsa_uses_dynamic_stack 0
		.amdhsa_system_sgpr_private_segment_wavefront_offset 0
		.amdhsa_system_sgpr_workgroup_id_x 1
		.amdhsa_system_sgpr_workgroup_id_y 0
		.amdhsa_system_sgpr_workgroup_id_z 0
		.amdhsa_system_sgpr_workgroup_info 0
		.amdhsa_system_vgpr_workitem_id 0
		.amdhsa_next_free_vgpr 1
		.amdhsa_next_free_sgpr 0
		.amdhsa_accum_offset 4
		.amdhsa_reserve_vcc 0
		.amdhsa_reserve_flat_scratch 0
		.amdhsa_float_round_mode_32 0
		.amdhsa_float_round_mode_16_64 0
		.amdhsa_float_denorm_mode_32 3
		.amdhsa_float_denorm_mode_16_64 3
		.amdhsa_dx10_clamp 1
		.amdhsa_ieee_mode 1
		.amdhsa_fp16_overflow 0
		.amdhsa_tg_split 0
		.amdhsa_exception_fp_ieee_invalid_op 0
		.amdhsa_exception_fp_denorm_src 0
		.amdhsa_exception_fp_ieee_div_zero 0
		.amdhsa_exception_fp_ieee_overflow 0
		.amdhsa_exception_fp_ieee_underflow 0
		.amdhsa_exception_fp_ieee_inexact 0
		.amdhsa_exception_int_div_zero 0
	.end_amdhsa_kernel
	.section	.text._ZN7rocprim17ROCPRIM_400000_NS6detail17trampoline_kernelINS0_14default_configENS1_38merge_sort_block_merge_config_selectorIhlEEZZNS1_27merge_sort_block_merge_implIS3_PhN6thrust23THRUST_200600_302600_NS10device_ptrIlEEjNS1_19radix_merge_compareILb0ELb1EhNS0_19identity_decomposerEEEEE10hipError_tT0_T1_T2_jT3_P12ihipStream_tbPNSt15iterator_traitsISG_E10value_typeEPNSM_ISH_E10value_typeEPSI_NS1_7vsmem_tEENKUlT_SG_SH_SI_E_clIS7_S7_PlSB_EESF_SV_SG_SH_SI_EUlSV_E0_NS1_11comp_targetILNS1_3genE9ELNS1_11target_archE1100ELNS1_3gpuE3ELNS1_3repE0EEENS1_38merge_mergepath_config_static_selectorELNS0_4arch9wavefront6targetE1EEEvSH_,"axG",@progbits,_ZN7rocprim17ROCPRIM_400000_NS6detail17trampoline_kernelINS0_14default_configENS1_38merge_sort_block_merge_config_selectorIhlEEZZNS1_27merge_sort_block_merge_implIS3_PhN6thrust23THRUST_200600_302600_NS10device_ptrIlEEjNS1_19radix_merge_compareILb0ELb1EhNS0_19identity_decomposerEEEEE10hipError_tT0_T1_T2_jT3_P12ihipStream_tbPNSt15iterator_traitsISG_E10value_typeEPNSM_ISH_E10value_typeEPSI_NS1_7vsmem_tEENKUlT_SG_SH_SI_E_clIS7_S7_PlSB_EESF_SV_SG_SH_SI_EUlSV_E0_NS1_11comp_targetILNS1_3genE9ELNS1_11target_archE1100ELNS1_3gpuE3ELNS1_3repE0EEENS1_38merge_mergepath_config_static_selectorELNS0_4arch9wavefront6targetE1EEEvSH_,comdat
.Lfunc_end203:
	.size	_ZN7rocprim17ROCPRIM_400000_NS6detail17trampoline_kernelINS0_14default_configENS1_38merge_sort_block_merge_config_selectorIhlEEZZNS1_27merge_sort_block_merge_implIS3_PhN6thrust23THRUST_200600_302600_NS10device_ptrIlEEjNS1_19radix_merge_compareILb0ELb1EhNS0_19identity_decomposerEEEEE10hipError_tT0_T1_T2_jT3_P12ihipStream_tbPNSt15iterator_traitsISG_E10value_typeEPNSM_ISH_E10value_typeEPSI_NS1_7vsmem_tEENKUlT_SG_SH_SI_E_clIS7_S7_PlSB_EESF_SV_SG_SH_SI_EUlSV_E0_NS1_11comp_targetILNS1_3genE9ELNS1_11target_archE1100ELNS1_3gpuE3ELNS1_3repE0EEENS1_38merge_mergepath_config_static_selectorELNS0_4arch9wavefront6targetE1EEEvSH_, .Lfunc_end203-_ZN7rocprim17ROCPRIM_400000_NS6detail17trampoline_kernelINS0_14default_configENS1_38merge_sort_block_merge_config_selectorIhlEEZZNS1_27merge_sort_block_merge_implIS3_PhN6thrust23THRUST_200600_302600_NS10device_ptrIlEEjNS1_19radix_merge_compareILb0ELb1EhNS0_19identity_decomposerEEEEE10hipError_tT0_T1_T2_jT3_P12ihipStream_tbPNSt15iterator_traitsISG_E10value_typeEPNSM_ISH_E10value_typeEPSI_NS1_7vsmem_tEENKUlT_SG_SH_SI_E_clIS7_S7_PlSB_EESF_SV_SG_SH_SI_EUlSV_E0_NS1_11comp_targetILNS1_3genE9ELNS1_11target_archE1100ELNS1_3gpuE3ELNS1_3repE0EEENS1_38merge_mergepath_config_static_selectorELNS0_4arch9wavefront6targetE1EEEvSH_
                                        ; -- End function
	.section	.AMDGPU.csdata,"",@progbits
; Kernel info:
; codeLenInByte = 0
; NumSgprs: 4
; NumVgprs: 0
; NumAgprs: 0
; TotalNumVgprs: 0
; ScratchSize: 0
; MemoryBound: 0
; FloatMode: 240
; IeeeMode: 1
; LDSByteSize: 0 bytes/workgroup (compile time only)
; SGPRBlocks: 0
; VGPRBlocks: 0
; NumSGPRsForWavesPerEU: 4
; NumVGPRsForWavesPerEU: 1
; AccumOffset: 4
; Occupancy: 8
; WaveLimiterHint : 0
; COMPUTE_PGM_RSRC2:SCRATCH_EN: 0
; COMPUTE_PGM_RSRC2:USER_SGPR: 6
; COMPUTE_PGM_RSRC2:TRAP_HANDLER: 0
; COMPUTE_PGM_RSRC2:TGID_X_EN: 1
; COMPUTE_PGM_RSRC2:TGID_Y_EN: 0
; COMPUTE_PGM_RSRC2:TGID_Z_EN: 0
; COMPUTE_PGM_RSRC2:TIDIG_COMP_CNT: 0
; COMPUTE_PGM_RSRC3_GFX90A:ACCUM_OFFSET: 0
; COMPUTE_PGM_RSRC3_GFX90A:TG_SPLIT: 0
	.section	.text._ZN7rocprim17ROCPRIM_400000_NS6detail17trampoline_kernelINS0_14default_configENS1_38merge_sort_block_merge_config_selectorIhlEEZZNS1_27merge_sort_block_merge_implIS3_PhN6thrust23THRUST_200600_302600_NS10device_ptrIlEEjNS1_19radix_merge_compareILb0ELb1EhNS0_19identity_decomposerEEEEE10hipError_tT0_T1_T2_jT3_P12ihipStream_tbPNSt15iterator_traitsISG_E10value_typeEPNSM_ISH_E10value_typeEPSI_NS1_7vsmem_tEENKUlT_SG_SH_SI_E_clIS7_S7_PlSB_EESF_SV_SG_SH_SI_EUlSV_E0_NS1_11comp_targetILNS1_3genE8ELNS1_11target_archE1030ELNS1_3gpuE2ELNS1_3repE0EEENS1_38merge_mergepath_config_static_selectorELNS0_4arch9wavefront6targetE1EEEvSH_,"axG",@progbits,_ZN7rocprim17ROCPRIM_400000_NS6detail17trampoline_kernelINS0_14default_configENS1_38merge_sort_block_merge_config_selectorIhlEEZZNS1_27merge_sort_block_merge_implIS3_PhN6thrust23THRUST_200600_302600_NS10device_ptrIlEEjNS1_19radix_merge_compareILb0ELb1EhNS0_19identity_decomposerEEEEE10hipError_tT0_T1_T2_jT3_P12ihipStream_tbPNSt15iterator_traitsISG_E10value_typeEPNSM_ISH_E10value_typeEPSI_NS1_7vsmem_tEENKUlT_SG_SH_SI_E_clIS7_S7_PlSB_EESF_SV_SG_SH_SI_EUlSV_E0_NS1_11comp_targetILNS1_3genE8ELNS1_11target_archE1030ELNS1_3gpuE2ELNS1_3repE0EEENS1_38merge_mergepath_config_static_selectorELNS0_4arch9wavefront6targetE1EEEvSH_,comdat
	.protected	_ZN7rocprim17ROCPRIM_400000_NS6detail17trampoline_kernelINS0_14default_configENS1_38merge_sort_block_merge_config_selectorIhlEEZZNS1_27merge_sort_block_merge_implIS3_PhN6thrust23THRUST_200600_302600_NS10device_ptrIlEEjNS1_19radix_merge_compareILb0ELb1EhNS0_19identity_decomposerEEEEE10hipError_tT0_T1_T2_jT3_P12ihipStream_tbPNSt15iterator_traitsISG_E10value_typeEPNSM_ISH_E10value_typeEPSI_NS1_7vsmem_tEENKUlT_SG_SH_SI_E_clIS7_S7_PlSB_EESF_SV_SG_SH_SI_EUlSV_E0_NS1_11comp_targetILNS1_3genE8ELNS1_11target_archE1030ELNS1_3gpuE2ELNS1_3repE0EEENS1_38merge_mergepath_config_static_selectorELNS0_4arch9wavefront6targetE1EEEvSH_ ; -- Begin function _ZN7rocprim17ROCPRIM_400000_NS6detail17trampoline_kernelINS0_14default_configENS1_38merge_sort_block_merge_config_selectorIhlEEZZNS1_27merge_sort_block_merge_implIS3_PhN6thrust23THRUST_200600_302600_NS10device_ptrIlEEjNS1_19radix_merge_compareILb0ELb1EhNS0_19identity_decomposerEEEEE10hipError_tT0_T1_T2_jT3_P12ihipStream_tbPNSt15iterator_traitsISG_E10value_typeEPNSM_ISH_E10value_typeEPSI_NS1_7vsmem_tEENKUlT_SG_SH_SI_E_clIS7_S7_PlSB_EESF_SV_SG_SH_SI_EUlSV_E0_NS1_11comp_targetILNS1_3genE8ELNS1_11target_archE1030ELNS1_3gpuE2ELNS1_3repE0EEENS1_38merge_mergepath_config_static_selectorELNS0_4arch9wavefront6targetE1EEEvSH_
	.globl	_ZN7rocprim17ROCPRIM_400000_NS6detail17trampoline_kernelINS0_14default_configENS1_38merge_sort_block_merge_config_selectorIhlEEZZNS1_27merge_sort_block_merge_implIS3_PhN6thrust23THRUST_200600_302600_NS10device_ptrIlEEjNS1_19radix_merge_compareILb0ELb1EhNS0_19identity_decomposerEEEEE10hipError_tT0_T1_T2_jT3_P12ihipStream_tbPNSt15iterator_traitsISG_E10value_typeEPNSM_ISH_E10value_typeEPSI_NS1_7vsmem_tEENKUlT_SG_SH_SI_E_clIS7_S7_PlSB_EESF_SV_SG_SH_SI_EUlSV_E0_NS1_11comp_targetILNS1_3genE8ELNS1_11target_archE1030ELNS1_3gpuE2ELNS1_3repE0EEENS1_38merge_mergepath_config_static_selectorELNS0_4arch9wavefront6targetE1EEEvSH_
	.p2align	8
	.type	_ZN7rocprim17ROCPRIM_400000_NS6detail17trampoline_kernelINS0_14default_configENS1_38merge_sort_block_merge_config_selectorIhlEEZZNS1_27merge_sort_block_merge_implIS3_PhN6thrust23THRUST_200600_302600_NS10device_ptrIlEEjNS1_19radix_merge_compareILb0ELb1EhNS0_19identity_decomposerEEEEE10hipError_tT0_T1_T2_jT3_P12ihipStream_tbPNSt15iterator_traitsISG_E10value_typeEPNSM_ISH_E10value_typeEPSI_NS1_7vsmem_tEENKUlT_SG_SH_SI_E_clIS7_S7_PlSB_EESF_SV_SG_SH_SI_EUlSV_E0_NS1_11comp_targetILNS1_3genE8ELNS1_11target_archE1030ELNS1_3gpuE2ELNS1_3repE0EEENS1_38merge_mergepath_config_static_selectorELNS0_4arch9wavefront6targetE1EEEvSH_,@function
_ZN7rocprim17ROCPRIM_400000_NS6detail17trampoline_kernelINS0_14default_configENS1_38merge_sort_block_merge_config_selectorIhlEEZZNS1_27merge_sort_block_merge_implIS3_PhN6thrust23THRUST_200600_302600_NS10device_ptrIlEEjNS1_19radix_merge_compareILb0ELb1EhNS0_19identity_decomposerEEEEE10hipError_tT0_T1_T2_jT3_P12ihipStream_tbPNSt15iterator_traitsISG_E10value_typeEPNSM_ISH_E10value_typeEPSI_NS1_7vsmem_tEENKUlT_SG_SH_SI_E_clIS7_S7_PlSB_EESF_SV_SG_SH_SI_EUlSV_E0_NS1_11comp_targetILNS1_3genE8ELNS1_11target_archE1030ELNS1_3gpuE2ELNS1_3repE0EEENS1_38merge_mergepath_config_static_selectorELNS0_4arch9wavefront6targetE1EEEvSH_: ; @_ZN7rocprim17ROCPRIM_400000_NS6detail17trampoline_kernelINS0_14default_configENS1_38merge_sort_block_merge_config_selectorIhlEEZZNS1_27merge_sort_block_merge_implIS3_PhN6thrust23THRUST_200600_302600_NS10device_ptrIlEEjNS1_19radix_merge_compareILb0ELb1EhNS0_19identity_decomposerEEEEE10hipError_tT0_T1_T2_jT3_P12ihipStream_tbPNSt15iterator_traitsISG_E10value_typeEPNSM_ISH_E10value_typeEPSI_NS1_7vsmem_tEENKUlT_SG_SH_SI_E_clIS7_S7_PlSB_EESF_SV_SG_SH_SI_EUlSV_E0_NS1_11comp_targetILNS1_3genE8ELNS1_11target_archE1030ELNS1_3gpuE2ELNS1_3repE0EEENS1_38merge_mergepath_config_static_selectorELNS0_4arch9wavefront6targetE1EEEvSH_
; %bb.0:
	.section	.rodata,"a",@progbits
	.p2align	6, 0x0
	.amdhsa_kernel _ZN7rocprim17ROCPRIM_400000_NS6detail17trampoline_kernelINS0_14default_configENS1_38merge_sort_block_merge_config_selectorIhlEEZZNS1_27merge_sort_block_merge_implIS3_PhN6thrust23THRUST_200600_302600_NS10device_ptrIlEEjNS1_19radix_merge_compareILb0ELb1EhNS0_19identity_decomposerEEEEE10hipError_tT0_T1_T2_jT3_P12ihipStream_tbPNSt15iterator_traitsISG_E10value_typeEPNSM_ISH_E10value_typeEPSI_NS1_7vsmem_tEENKUlT_SG_SH_SI_E_clIS7_S7_PlSB_EESF_SV_SG_SH_SI_EUlSV_E0_NS1_11comp_targetILNS1_3genE8ELNS1_11target_archE1030ELNS1_3gpuE2ELNS1_3repE0EEENS1_38merge_mergepath_config_static_selectorELNS0_4arch9wavefront6targetE1EEEvSH_
		.amdhsa_group_segment_fixed_size 0
		.amdhsa_private_segment_fixed_size 0
		.amdhsa_kernarg_size 64
		.amdhsa_user_sgpr_count 6
		.amdhsa_user_sgpr_private_segment_buffer 1
		.amdhsa_user_sgpr_dispatch_ptr 0
		.amdhsa_user_sgpr_queue_ptr 0
		.amdhsa_user_sgpr_kernarg_segment_ptr 1
		.amdhsa_user_sgpr_dispatch_id 0
		.amdhsa_user_sgpr_flat_scratch_init 0
		.amdhsa_user_sgpr_kernarg_preload_length 0
		.amdhsa_user_sgpr_kernarg_preload_offset 0
		.amdhsa_user_sgpr_private_segment_size 0
		.amdhsa_uses_dynamic_stack 0
		.amdhsa_system_sgpr_private_segment_wavefront_offset 0
		.amdhsa_system_sgpr_workgroup_id_x 1
		.amdhsa_system_sgpr_workgroup_id_y 0
		.amdhsa_system_sgpr_workgroup_id_z 0
		.amdhsa_system_sgpr_workgroup_info 0
		.amdhsa_system_vgpr_workitem_id 0
		.amdhsa_next_free_vgpr 1
		.amdhsa_next_free_sgpr 0
		.amdhsa_accum_offset 4
		.amdhsa_reserve_vcc 0
		.amdhsa_reserve_flat_scratch 0
		.amdhsa_float_round_mode_32 0
		.amdhsa_float_round_mode_16_64 0
		.amdhsa_float_denorm_mode_32 3
		.amdhsa_float_denorm_mode_16_64 3
		.amdhsa_dx10_clamp 1
		.amdhsa_ieee_mode 1
		.amdhsa_fp16_overflow 0
		.amdhsa_tg_split 0
		.amdhsa_exception_fp_ieee_invalid_op 0
		.amdhsa_exception_fp_denorm_src 0
		.amdhsa_exception_fp_ieee_div_zero 0
		.amdhsa_exception_fp_ieee_overflow 0
		.amdhsa_exception_fp_ieee_underflow 0
		.amdhsa_exception_fp_ieee_inexact 0
		.amdhsa_exception_int_div_zero 0
	.end_amdhsa_kernel
	.section	.text._ZN7rocprim17ROCPRIM_400000_NS6detail17trampoline_kernelINS0_14default_configENS1_38merge_sort_block_merge_config_selectorIhlEEZZNS1_27merge_sort_block_merge_implIS3_PhN6thrust23THRUST_200600_302600_NS10device_ptrIlEEjNS1_19radix_merge_compareILb0ELb1EhNS0_19identity_decomposerEEEEE10hipError_tT0_T1_T2_jT3_P12ihipStream_tbPNSt15iterator_traitsISG_E10value_typeEPNSM_ISH_E10value_typeEPSI_NS1_7vsmem_tEENKUlT_SG_SH_SI_E_clIS7_S7_PlSB_EESF_SV_SG_SH_SI_EUlSV_E0_NS1_11comp_targetILNS1_3genE8ELNS1_11target_archE1030ELNS1_3gpuE2ELNS1_3repE0EEENS1_38merge_mergepath_config_static_selectorELNS0_4arch9wavefront6targetE1EEEvSH_,"axG",@progbits,_ZN7rocprim17ROCPRIM_400000_NS6detail17trampoline_kernelINS0_14default_configENS1_38merge_sort_block_merge_config_selectorIhlEEZZNS1_27merge_sort_block_merge_implIS3_PhN6thrust23THRUST_200600_302600_NS10device_ptrIlEEjNS1_19radix_merge_compareILb0ELb1EhNS0_19identity_decomposerEEEEE10hipError_tT0_T1_T2_jT3_P12ihipStream_tbPNSt15iterator_traitsISG_E10value_typeEPNSM_ISH_E10value_typeEPSI_NS1_7vsmem_tEENKUlT_SG_SH_SI_E_clIS7_S7_PlSB_EESF_SV_SG_SH_SI_EUlSV_E0_NS1_11comp_targetILNS1_3genE8ELNS1_11target_archE1030ELNS1_3gpuE2ELNS1_3repE0EEENS1_38merge_mergepath_config_static_selectorELNS0_4arch9wavefront6targetE1EEEvSH_,comdat
.Lfunc_end204:
	.size	_ZN7rocprim17ROCPRIM_400000_NS6detail17trampoline_kernelINS0_14default_configENS1_38merge_sort_block_merge_config_selectorIhlEEZZNS1_27merge_sort_block_merge_implIS3_PhN6thrust23THRUST_200600_302600_NS10device_ptrIlEEjNS1_19radix_merge_compareILb0ELb1EhNS0_19identity_decomposerEEEEE10hipError_tT0_T1_T2_jT3_P12ihipStream_tbPNSt15iterator_traitsISG_E10value_typeEPNSM_ISH_E10value_typeEPSI_NS1_7vsmem_tEENKUlT_SG_SH_SI_E_clIS7_S7_PlSB_EESF_SV_SG_SH_SI_EUlSV_E0_NS1_11comp_targetILNS1_3genE8ELNS1_11target_archE1030ELNS1_3gpuE2ELNS1_3repE0EEENS1_38merge_mergepath_config_static_selectorELNS0_4arch9wavefront6targetE1EEEvSH_, .Lfunc_end204-_ZN7rocprim17ROCPRIM_400000_NS6detail17trampoline_kernelINS0_14default_configENS1_38merge_sort_block_merge_config_selectorIhlEEZZNS1_27merge_sort_block_merge_implIS3_PhN6thrust23THRUST_200600_302600_NS10device_ptrIlEEjNS1_19radix_merge_compareILb0ELb1EhNS0_19identity_decomposerEEEEE10hipError_tT0_T1_T2_jT3_P12ihipStream_tbPNSt15iterator_traitsISG_E10value_typeEPNSM_ISH_E10value_typeEPSI_NS1_7vsmem_tEENKUlT_SG_SH_SI_E_clIS7_S7_PlSB_EESF_SV_SG_SH_SI_EUlSV_E0_NS1_11comp_targetILNS1_3genE8ELNS1_11target_archE1030ELNS1_3gpuE2ELNS1_3repE0EEENS1_38merge_mergepath_config_static_selectorELNS0_4arch9wavefront6targetE1EEEvSH_
                                        ; -- End function
	.section	.AMDGPU.csdata,"",@progbits
; Kernel info:
; codeLenInByte = 0
; NumSgprs: 4
; NumVgprs: 0
; NumAgprs: 0
; TotalNumVgprs: 0
; ScratchSize: 0
; MemoryBound: 0
; FloatMode: 240
; IeeeMode: 1
; LDSByteSize: 0 bytes/workgroup (compile time only)
; SGPRBlocks: 0
; VGPRBlocks: 0
; NumSGPRsForWavesPerEU: 4
; NumVGPRsForWavesPerEU: 1
; AccumOffset: 4
; Occupancy: 8
; WaveLimiterHint : 0
; COMPUTE_PGM_RSRC2:SCRATCH_EN: 0
; COMPUTE_PGM_RSRC2:USER_SGPR: 6
; COMPUTE_PGM_RSRC2:TRAP_HANDLER: 0
; COMPUTE_PGM_RSRC2:TGID_X_EN: 1
; COMPUTE_PGM_RSRC2:TGID_Y_EN: 0
; COMPUTE_PGM_RSRC2:TGID_Z_EN: 0
; COMPUTE_PGM_RSRC2:TIDIG_COMP_CNT: 0
; COMPUTE_PGM_RSRC3_GFX90A:ACCUM_OFFSET: 0
; COMPUTE_PGM_RSRC3_GFX90A:TG_SPLIT: 0
	.section	.text._ZN7rocprim17ROCPRIM_400000_NS6detail17trampoline_kernelINS0_14default_configENS1_38merge_sort_block_merge_config_selectorIhlEEZZNS1_27merge_sort_block_merge_implIS3_PhN6thrust23THRUST_200600_302600_NS10device_ptrIlEEjNS1_19radix_merge_compareILb0ELb1EhNS0_19identity_decomposerEEEEE10hipError_tT0_T1_T2_jT3_P12ihipStream_tbPNSt15iterator_traitsISG_E10value_typeEPNSM_ISH_E10value_typeEPSI_NS1_7vsmem_tEENKUlT_SG_SH_SI_E_clIS7_S7_PlSB_EESF_SV_SG_SH_SI_EUlSV_E1_NS1_11comp_targetILNS1_3genE0ELNS1_11target_archE4294967295ELNS1_3gpuE0ELNS1_3repE0EEENS1_36merge_oddeven_config_static_selectorELNS0_4arch9wavefront6targetE1EEEvSH_,"axG",@progbits,_ZN7rocprim17ROCPRIM_400000_NS6detail17trampoline_kernelINS0_14default_configENS1_38merge_sort_block_merge_config_selectorIhlEEZZNS1_27merge_sort_block_merge_implIS3_PhN6thrust23THRUST_200600_302600_NS10device_ptrIlEEjNS1_19radix_merge_compareILb0ELb1EhNS0_19identity_decomposerEEEEE10hipError_tT0_T1_T2_jT3_P12ihipStream_tbPNSt15iterator_traitsISG_E10value_typeEPNSM_ISH_E10value_typeEPSI_NS1_7vsmem_tEENKUlT_SG_SH_SI_E_clIS7_S7_PlSB_EESF_SV_SG_SH_SI_EUlSV_E1_NS1_11comp_targetILNS1_3genE0ELNS1_11target_archE4294967295ELNS1_3gpuE0ELNS1_3repE0EEENS1_36merge_oddeven_config_static_selectorELNS0_4arch9wavefront6targetE1EEEvSH_,comdat
	.protected	_ZN7rocprim17ROCPRIM_400000_NS6detail17trampoline_kernelINS0_14default_configENS1_38merge_sort_block_merge_config_selectorIhlEEZZNS1_27merge_sort_block_merge_implIS3_PhN6thrust23THRUST_200600_302600_NS10device_ptrIlEEjNS1_19radix_merge_compareILb0ELb1EhNS0_19identity_decomposerEEEEE10hipError_tT0_T1_T2_jT3_P12ihipStream_tbPNSt15iterator_traitsISG_E10value_typeEPNSM_ISH_E10value_typeEPSI_NS1_7vsmem_tEENKUlT_SG_SH_SI_E_clIS7_S7_PlSB_EESF_SV_SG_SH_SI_EUlSV_E1_NS1_11comp_targetILNS1_3genE0ELNS1_11target_archE4294967295ELNS1_3gpuE0ELNS1_3repE0EEENS1_36merge_oddeven_config_static_selectorELNS0_4arch9wavefront6targetE1EEEvSH_ ; -- Begin function _ZN7rocprim17ROCPRIM_400000_NS6detail17trampoline_kernelINS0_14default_configENS1_38merge_sort_block_merge_config_selectorIhlEEZZNS1_27merge_sort_block_merge_implIS3_PhN6thrust23THRUST_200600_302600_NS10device_ptrIlEEjNS1_19radix_merge_compareILb0ELb1EhNS0_19identity_decomposerEEEEE10hipError_tT0_T1_T2_jT3_P12ihipStream_tbPNSt15iterator_traitsISG_E10value_typeEPNSM_ISH_E10value_typeEPSI_NS1_7vsmem_tEENKUlT_SG_SH_SI_E_clIS7_S7_PlSB_EESF_SV_SG_SH_SI_EUlSV_E1_NS1_11comp_targetILNS1_3genE0ELNS1_11target_archE4294967295ELNS1_3gpuE0ELNS1_3repE0EEENS1_36merge_oddeven_config_static_selectorELNS0_4arch9wavefront6targetE1EEEvSH_
	.globl	_ZN7rocprim17ROCPRIM_400000_NS6detail17trampoline_kernelINS0_14default_configENS1_38merge_sort_block_merge_config_selectorIhlEEZZNS1_27merge_sort_block_merge_implIS3_PhN6thrust23THRUST_200600_302600_NS10device_ptrIlEEjNS1_19radix_merge_compareILb0ELb1EhNS0_19identity_decomposerEEEEE10hipError_tT0_T1_T2_jT3_P12ihipStream_tbPNSt15iterator_traitsISG_E10value_typeEPNSM_ISH_E10value_typeEPSI_NS1_7vsmem_tEENKUlT_SG_SH_SI_E_clIS7_S7_PlSB_EESF_SV_SG_SH_SI_EUlSV_E1_NS1_11comp_targetILNS1_3genE0ELNS1_11target_archE4294967295ELNS1_3gpuE0ELNS1_3repE0EEENS1_36merge_oddeven_config_static_selectorELNS0_4arch9wavefront6targetE1EEEvSH_
	.p2align	8
	.type	_ZN7rocprim17ROCPRIM_400000_NS6detail17trampoline_kernelINS0_14default_configENS1_38merge_sort_block_merge_config_selectorIhlEEZZNS1_27merge_sort_block_merge_implIS3_PhN6thrust23THRUST_200600_302600_NS10device_ptrIlEEjNS1_19radix_merge_compareILb0ELb1EhNS0_19identity_decomposerEEEEE10hipError_tT0_T1_T2_jT3_P12ihipStream_tbPNSt15iterator_traitsISG_E10value_typeEPNSM_ISH_E10value_typeEPSI_NS1_7vsmem_tEENKUlT_SG_SH_SI_E_clIS7_S7_PlSB_EESF_SV_SG_SH_SI_EUlSV_E1_NS1_11comp_targetILNS1_3genE0ELNS1_11target_archE4294967295ELNS1_3gpuE0ELNS1_3repE0EEENS1_36merge_oddeven_config_static_selectorELNS0_4arch9wavefront6targetE1EEEvSH_,@function
_ZN7rocprim17ROCPRIM_400000_NS6detail17trampoline_kernelINS0_14default_configENS1_38merge_sort_block_merge_config_selectorIhlEEZZNS1_27merge_sort_block_merge_implIS3_PhN6thrust23THRUST_200600_302600_NS10device_ptrIlEEjNS1_19radix_merge_compareILb0ELb1EhNS0_19identity_decomposerEEEEE10hipError_tT0_T1_T2_jT3_P12ihipStream_tbPNSt15iterator_traitsISG_E10value_typeEPNSM_ISH_E10value_typeEPSI_NS1_7vsmem_tEENKUlT_SG_SH_SI_E_clIS7_S7_PlSB_EESF_SV_SG_SH_SI_EUlSV_E1_NS1_11comp_targetILNS1_3genE0ELNS1_11target_archE4294967295ELNS1_3gpuE0ELNS1_3repE0EEENS1_36merge_oddeven_config_static_selectorELNS0_4arch9wavefront6targetE1EEEvSH_: ; @_ZN7rocprim17ROCPRIM_400000_NS6detail17trampoline_kernelINS0_14default_configENS1_38merge_sort_block_merge_config_selectorIhlEEZZNS1_27merge_sort_block_merge_implIS3_PhN6thrust23THRUST_200600_302600_NS10device_ptrIlEEjNS1_19radix_merge_compareILb0ELb1EhNS0_19identity_decomposerEEEEE10hipError_tT0_T1_T2_jT3_P12ihipStream_tbPNSt15iterator_traitsISG_E10value_typeEPNSM_ISH_E10value_typeEPSI_NS1_7vsmem_tEENKUlT_SG_SH_SI_E_clIS7_S7_PlSB_EESF_SV_SG_SH_SI_EUlSV_E1_NS1_11comp_targetILNS1_3genE0ELNS1_11target_archE4294967295ELNS1_3gpuE0ELNS1_3repE0EEENS1_36merge_oddeven_config_static_selectorELNS0_4arch9wavefront6targetE1EEEvSH_
; %bb.0:
	.section	.rodata,"a",@progbits
	.p2align	6, 0x0
	.amdhsa_kernel _ZN7rocprim17ROCPRIM_400000_NS6detail17trampoline_kernelINS0_14default_configENS1_38merge_sort_block_merge_config_selectorIhlEEZZNS1_27merge_sort_block_merge_implIS3_PhN6thrust23THRUST_200600_302600_NS10device_ptrIlEEjNS1_19radix_merge_compareILb0ELb1EhNS0_19identity_decomposerEEEEE10hipError_tT0_T1_T2_jT3_P12ihipStream_tbPNSt15iterator_traitsISG_E10value_typeEPNSM_ISH_E10value_typeEPSI_NS1_7vsmem_tEENKUlT_SG_SH_SI_E_clIS7_S7_PlSB_EESF_SV_SG_SH_SI_EUlSV_E1_NS1_11comp_targetILNS1_3genE0ELNS1_11target_archE4294967295ELNS1_3gpuE0ELNS1_3repE0EEENS1_36merge_oddeven_config_static_selectorELNS0_4arch9wavefront6targetE1EEEvSH_
		.amdhsa_group_segment_fixed_size 0
		.amdhsa_private_segment_fixed_size 0
		.amdhsa_kernarg_size 48
		.amdhsa_user_sgpr_count 6
		.amdhsa_user_sgpr_private_segment_buffer 1
		.amdhsa_user_sgpr_dispatch_ptr 0
		.amdhsa_user_sgpr_queue_ptr 0
		.amdhsa_user_sgpr_kernarg_segment_ptr 1
		.amdhsa_user_sgpr_dispatch_id 0
		.amdhsa_user_sgpr_flat_scratch_init 0
		.amdhsa_user_sgpr_kernarg_preload_length 0
		.amdhsa_user_sgpr_kernarg_preload_offset 0
		.amdhsa_user_sgpr_private_segment_size 0
		.amdhsa_uses_dynamic_stack 0
		.amdhsa_system_sgpr_private_segment_wavefront_offset 0
		.amdhsa_system_sgpr_workgroup_id_x 1
		.amdhsa_system_sgpr_workgroup_id_y 0
		.amdhsa_system_sgpr_workgroup_id_z 0
		.amdhsa_system_sgpr_workgroup_info 0
		.amdhsa_system_vgpr_workitem_id 0
		.amdhsa_next_free_vgpr 1
		.amdhsa_next_free_sgpr 0
		.amdhsa_accum_offset 4
		.amdhsa_reserve_vcc 0
		.amdhsa_reserve_flat_scratch 0
		.amdhsa_float_round_mode_32 0
		.amdhsa_float_round_mode_16_64 0
		.amdhsa_float_denorm_mode_32 3
		.amdhsa_float_denorm_mode_16_64 3
		.amdhsa_dx10_clamp 1
		.amdhsa_ieee_mode 1
		.amdhsa_fp16_overflow 0
		.amdhsa_tg_split 0
		.amdhsa_exception_fp_ieee_invalid_op 0
		.amdhsa_exception_fp_denorm_src 0
		.amdhsa_exception_fp_ieee_div_zero 0
		.amdhsa_exception_fp_ieee_overflow 0
		.amdhsa_exception_fp_ieee_underflow 0
		.amdhsa_exception_fp_ieee_inexact 0
		.amdhsa_exception_int_div_zero 0
	.end_amdhsa_kernel
	.section	.text._ZN7rocprim17ROCPRIM_400000_NS6detail17trampoline_kernelINS0_14default_configENS1_38merge_sort_block_merge_config_selectorIhlEEZZNS1_27merge_sort_block_merge_implIS3_PhN6thrust23THRUST_200600_302600_NS10device_ptrIlEEjNS1_19radix_merge_compareILb0ELb1EhNS0_19identity_decomposerEEEEE10hipError_tT0_T1_T2_jT3_P12ihipStream_tbPNSt15iterator_traitsISG_E10value_typeEPNSM_ISH_E10value_typeEPSI_NS1_7vsmem_tEENKUlT_SG_SH_SI_E_clIS7_S7_PlSB_EESF_SV_SG_SH_SI_EUlSV_E1_NS1_11comp_targetILNS1_3genE0ELNS1_11target_archE4294967295ELNS1_3gpuE0ELNS1_3repE0EEENS1_36merge_oddeven_config_static_selectorELNS0_4arch9wavefront6targetE1EEEvSH_,"axG",@progbits,_ZN7rocprim17ROCPRIM_400000_NS6detail17trampoline_kernelINS0_14default_configENS1_38merge_sort_block_merge_config_selectorIhlEEZZNS1_27merge_sort_block_merge_implIS3_PhN6thrust23THRUST_200600_302600_NS10device_ptrIlEEjNS1_19radix_merge_compareILb0ELb1EhNS0_19identity_decomposerEEEEE10hipError_tT0_T1_T2_jT3_P12ihipStream_tbPNSt15iterator_traitsISG_E10value_typeEPNSM_ISH_E10value_typeEPSI_NS1_7vsmem_tEENKUlT_SG_SH_SI_E_clIS7_S7_PlSB_EESF_SV_SG_SH_SI_EUlSV_E1_NS1_11comp_targetILNS1_3genE0ELNS1_11target_archE4294967295ELNS1_3gpuE0ELNS1_3repE0EEENS1_36merge_oddeven_config_static_selectorELNS0_4arch9wavefront6targetE1EEEvSH_,comdat
.Lfunc_end205:
	.size	_ZN7rocprim17ROCPRIM_400000_NS6detail17trampoline_kernelINS0_14default_configENS1_38merge_sort_block_merge_config_selectorIhlEEZZNS1_27merge_sort_block_merge_implIS3_PhN6thrust23THRUST_200600_302600_NS10device_ptrIlEEjNS1_19radix_merge_compareILb0ELb1EhNS0_19identity_decomposerEEEEE10hipError_tT0_T1_T2_jT3_P12ihipStream_tbPNSt15iterator_traitsISG_E10value_typeEPNSM_ISH_E10value_typeEPSI_NS1_7vsmem_tEENKUlT_SG_SH_SI_E_clIS7_S7_PlSB_EESF_SV_SG_SH_SI_EUlSV_E1_NS1_11comp_targetILNS1_3genE0ELNS1_11target_archE4294967295ELNS1_3gpuE0ELNS1_3repE0EEENS1_36merge_oddeven_config_static_selectorELNS0_4arch9wavefront6targetE1EEEvSH_, .Lfunc_end205-_ZN7rocprim17ROCPRIM_400000_NS6detail17trampoline_kernelINS0_14default_configENS1_38merge_sort_block_merge_config_selectorIhlEEZZNS1_27merge_sort_block_merge_implIS3_PhN6thrust23THRUST_200600_302600_NS10device_ptrIlEEjNS1_19radix_merge_compareILb0ELb1EhNS0_19identity_decomposerEEEEE10hipError_tT0_T1_T2_jT3_P12ihipStream_tbPNSt15iterator_traitsISG_E10value_typeEPNSM_ISH_E10value_typeEPSI_NS1_7vsmem_tEENKUlT_SG_SH_SI_E_clIS7_S7_PlSB_EESF_SV_SG_SH_SI_EUlSV_E1_NS1_11comp_targetILNS1_3genE0ELNS1_11target_archE4294967295ELNS1_3gpuE0ELNS1_3repE0EEENS1_36merge_oddeven_config_static_selectorELNS0_4arch9wavefront6targetE1EEEvSH_
                                        ; -- End function
	.section	.AMDGPU.csdata,"",@progbits
; Kernel info:
; codeLenInByte = 0
; NumSgprs: 4
; NumVgprs: 0
; NumAgprs: 0
; TotalNumVgprs: 0
; ScratchSize: 0
; MemoryBound: 0
; FloatMode: 240
; IeeeMode: 1
; LDSByteSize: 0 bytes/workgroup (compile time only)
; SGPRBlocks: 0
; VGPRBlocks: 0
; NumSGPRsForWavesPerEU: 4
; NumVGPRsForWavesPerEU: 1
; AccumOffset: 4
; Occupancy: 8
; WaveLimiterHint : 0
; COMPUTE_PGM_RSRC2:SCRATCH_EN: 0
; COMPUTE_PGM_RSRC2:USER_SGPR: 6
; COMPUTE_PGM_RSRC2:TRAP_HANDLER: 0
; COMPUTE_PGM_RSRC2:TGID_X_EN: 1
; COMPUTE_PGM_RSRC2:TGID_Y_EN: 0
; COMPUTE_PGM_RSRC2:TGID_Z_EN: 0
; COMPUTE_PGM_RSRC2:TIDIG_COMP_CNT: 0
; COMPUTE_PGM_RSRC3_GFX90A:ACCUM_OFFSET: 0
; COMPUTE_PGM_RSRC3_GFX90A:TG_SPLIT: 0
	.section	.text._ZN7rocprim17ROCPRIM_400000_NS6detail17trampoline_kernelINS0_14default_configENS1_38merge_sort_block_merge_config_selectorIhlEEZZNS1_27merge_sort_block_merge_implIS3_PhN6thrust23THRUST_200600_302600_NS10device_ptrIlEEjNS1_19radix_merge_compareILb0ELb1EhNS0_19identity_decomposerEEEEE10hipError_tT0_T1_T2_jT3_P12ihipStream_tbPNSt15iterator_traitsISG_E10value_typeEPNSM_ISH_E10value_typeEPSI_NS1_7vsmem_tEENKUlT_SG_SH_SI_E_clIS7_S7_PlSB_EESF_SV_SG_SH_SI_EUlSV_E1_NS1_11comp_targetILNS1_3genE10ELNS1_11target_archE1201ELNS1_3gpuE5ELNS1_3repE0EEENS1_36merge_oddeven_config_static_selectorELNS0_4arch9wavefront6targetE1EEEvSH_,"axG",@progbits,_ZN7rocprim17ROCPRIM_400000_NS6detail17trampoline_kernelINS0_14default_configENS1_38merge_sort_block_merge_config_selectorIhlEEZZNS1_27merge_sort_block_merge_implIS3_PhN6thrust23THRUST_200600_302600_NS10device_ptrIlEEjNS1_19radix_merge_compareILb0ELb1EhNS0_19identity_decomposerEEEEE10hipError_tT0_T1_T2_jT3_P12ihipStream_tbPNSt15iterator_traitsISG_E10value_typeEPNSM_ISH_E10value_typeEPSI_NS1_7vsmem_tEENKUlT_SG_SH_SI_E_clIS7_S7_PlSB_EESF_SV_SG_SH_SI_EUlSV_E1_NS1_11comp_targetILNS1_3genE10ELNS1_11target_archE1201ELNS1_3gpuE5ELNS1_3repE0EEENS1_36merge_oddeven_config_static_selectorELNS0_4arch9wavefront6targetE1EEEvSH_,comdat
	.protected	_ZN7rocprim17ROCPRIM_400000_NS6detail17trampoline_kernelINS0_14default_configENS1_38merge_sort_block_merge_config_selectorIhlEEZZNS1_27merge_sort_block_merge_implIS3_PhN6thrust23THRUST_200600_302600_NS10device_ptrIlEEjNS1_19radix_merge_compareILb0ELb1EhNS0_19identity_decomposerEEEEE10hipError_tT0_T1_T2_jT3_P12ihipStream_tbPNSt15iterator_traitsISG_E10value_typeEPNSM_ISH_E10value_typeEPSI_NS1_7vsmem_tEENKUlT_SG_SH_SI_E_clIS7_S7_PlSB_EESF_SV_SG_SH_SI_EUlSV_E1_NS1_11comp_targetILNS1_3genE10ELNS1_11target_archE1201ELNS1_3gpuE5ELNS1_3repE0EEENS1_36merge_oddeven_config_static_selectorELNS0_4arch9wavefront6targetE1EEEvSH_ ; -- Begin function _ZN7rocprim17ROCPRIM_400000_NS6detail17trampoline_kernelINS0_14default_configENS1_38merge_sort_block_merge_config_selectorIhlEEZZNS1_27merge_sort_block_merge_implIS3_PhN6thrust23THRUST_200600_302600_NS10device_ptrIlEEjNS1_19radix_merge_compareILb0ELb1EhNS0_19identity_decomposerEEEEE10hipError_tT0_T1_T2_jT3_P12ihipStream_tbPNSt15iterator_traitsISG_E10value_typeEPNSM_ISH_E10value_typeEPSI_NS1_7vsmem_tEENKUlT_SG_SH_SI_E_clIS7_S7_PlSB_EESF_SV_SG_SH_SI_EUlSV_E1_NS1_11comp_targetILNS1_3genE10ELNS1_11target_archE1201ELNS1_3gpuE5ELNS1_3repE0EEENS1_36merge_oddeven_config_static_selectorELNS0_4arch9wavefront6targetE1EEEvSH_
	.globl	_ZN7rocprim17ROCPRIM_400000_NS6detail17trampoline_kernelINS0_14default_configENS1_38merge_sort_block_merge_config_selectorIhlEEZZNS1_27merge_sort_block_merge_implIS3_PhN6thrust23THRUST_200600_302600_NS10device_ptrIlEEjNS1_19radix_merge_compareILb0ELb1EhNS0_19identity_decomposerEEEEE10hipError_tT0_T1_T2_jT3_P12ihipStream_tbPNSt15iterator_traitsISG_E10value_typeEPNSM_ISH_E10value_typeEPSI_NS1_7vsmem_tEENKUlT_SG_SH_SI_E_clIS7_S7_PlSB_EESF_SV_SG_SH_SI_EUlSV_E1_NS1_11comp_targetILNS1_3genE10ELNS1_11target_archE1201ELNS1_3gpuE5ELNS1_3repE0EEENS1_36merge_oddeven_config_static_selectorELNS0_4arch9wavefront6targetE1EEEvSH_
	.p2align	8
	.type	_ZN7rocprim17ROCPRIM_400000_NS6detail17trampoline_kernelINS0_14default_configENS1_38merge_sort_block_merge_config_selectorIhlEEZZNS1_27merge_sort_block_merge_implIS3_PhN6thrust23THRUST_200600_302600_NS10device_ptrIlEEjNS1_19radix_merge_compareILb0ELb1EhNS0_19identity_decomposerEEEEE10hipError_tT0_T1_T2_jT3_P12ihipStream_tbPNSt15iterator_traitsISG_E10value_typeEPNSM_ISH_E10value_typeEPSI_NS1_7vsmem_tEENKUlT_SG_SH_SI_E_clIS7_S7_PlSB_EESF_SV_SG_SH_SI_EUlSV_E1_NS1_11comp_targetILNS1_3genE10ELNS1_11target_archE1201ELNS1_3gpuE5ELNS1_3repE0EEENS1_36merge_oddeven_config_static_selectorELNS0_4arch9wavefront6targetE1EEEvSH_,@function
_ZN7rocprim17ROCPRIM_400000_NS6detail17trampoline_kernelINS0_14default_configENS1_38merge_sort_block_merge_config_selectorIhlEEZZNS1_27merge_sort_block_merge_implIS3_PhN6thrust23THRUST_200600_302600_NS10device_ptrIlEEjNS1_19radix_merge_compareILb0ELb1EhNS0_19identity_decomposerEEEEE10hipError_tT0_T1_T2_jT3_P12ihipStream_tbPNSt15iterator_traitsISG_E10value_typeEPNSM_ISH_E10value_typeEPSI_NS1_7vsmem_tEENKUlT_SG_SH_SI_E_clIS7_S7_PlSB_EESF_SV_SG_SH_SI_EUlSV_E1_NS1_11comp_targetILNS1_3genE10ELNS1_11target_archE1201ELNS1_3gpuE5ELNS1_3repE0EEENS1_36merge_oddeven_config_static_selectorELNS0_4arch9wavefront6targetE1EEEvSH_: ; @_ZN7rocprim17ROCPRIM_400000_NS6detail17trampoline_kernelINS0_14default_configENS1_38merge_sort_block_merge_config_selectorIhlEEZZNS1_27merge_sort_block_merge_implIS3_PhN6thrust23THRUST_200600_302600_NS10device_ptrIlEEjNS1_19radix_merge_compareILb0ELb1EhNS0_19identity_decomposerEEEEE10hipError_tT0_T1_T2_jT3_P12ihipStream_tbPNSt15iterator_traitsISG_E10value_typeEPNSM_ISH_E10value_typeEPSI_NS1_7vsmem_tEENKUlT_SG_SH_SI_E_clIS7_S7_PlSB_EESF_SV_SG_SH_SI_EUlSV_E1_NS1_11comp_targetILNS1_3genE10ELNS1_11target_archE1201ELNS1_3gpuE5ELNS1_3repE0EEENS1_36merge_oddeven_config_static_selectorELNS0_4arch9wavefront6targetE1EEEvSH_
; %bb.0:
	.section	.rodata,"a",@progbits
	.p2align	6, 0x0
	.amdhsa_kernel _ZN7rocprim17ROCPRIM_400000_NS6detail17trampoline_kernelINS0_14default_configENS1_38merge_sort_block_merge_config_selectorIhlEEZZNS1_27merge_sort_block_merge_implIS3_PhN6thrust23THRUST_200600_302600_NS10device_ptrIlEEjNS1_19radix_merge_compareILb0ELb1EhNS0_19identity_decomposerEEEEE10hipError_tT0_T1_T2_jT3_P12ihipStream_tbPNSt15iterator_traitsISG_E10value_typeEPNSM_ISH_E10value_typeEPSI_NS1_7vsmem_tEENKUlT_SG_SH_SI_E_clIS7_S7_PlSB_EESF_SV_SG_SH_SI_EUlSV_E1_NS1_11comp_targetILNS1_3genE10ELNS1_11target_archE1201ELNS1_3gpuE5ELNS1_3repE0EEENS1_36merge_oddeven_config_static_selectorELNS0_4arch9wavefront6targetE1EEEvSH_
		.amdhsa_group_segment_fixed_size 0
		.amdhsa_private_segment_fixed_size 0
		.amdhsa_kernarg_size 48
		.amdhsa_user_sgpr_count 6
		.amdhsa_user_sgpr_private_segment_buffer 1
		.amdhsa_user_sgpr_dispatch_ptr 0
		.amdhsa_user_sgpr_queue_ptr 0
		.amdhsa_user_sgpr_kernarg_segment_ptr 1
		.amdhsa_user_sgpr_dispatch_id 0
		.amdhsa_user_sgpr_flat_scratch_init 0
		.amdhsa_user_sgpr_kernarg_preload_length 0
		.amdhsa_user_sgpr_kernarg_preload_offset 0
		.amdhsa_user_sgpr_private_segment_size 0
		.amdhsa_uses_dynamic_stack 0
		.amdhsa_system_sgpr_private_segment_wavefront_offset 0
		.amdhsa_system_sgpr_workgroup_id_x 1
		.amdhsa_system_sgpr_workgroup_id_y 0
		.amdhsa_system_sgpr_workgroup_id_z 0
		.amdhsa_system_sgpr_workgroup_info 0
		.amdhsa_system_vgpr_workitem_id 0
		.amdhsa_next_free_vgpr 1
		.amdhsa_next_free_sgpr 0
		.amdhsa_accum_offset 4
		.amdhsa_reserve_vcc 0
		.amdhsa_reserve_flat_scratch 0
		.amdhsa_float_round_mode_32 0
		.amdhsa_float_round_mode_16_64 0
		.amdhsa_float_denorm_mode_32 3
		.amdhsa_float_denorm_mode_16_64 3
		.amdhsa_dx10_clamp 1
		.amdhsa_ieee_mode 1
		.amdhsa_fp16_overflow 0
		.amdhsa_tg_split 0
		.amdhsa_exception_fp_ieee_invalid_op 0
		.amdhsa_exception_fp_denorm_src 0
		.amdhsa_exception_fp_ieee_div_zero 0
		.amdhsa_exception_fp_ieee_overflow 0
		.amdhsa_exception_fp_ieee_underflow 0
		.amdhsa_exception_fp_ieee_inexact 0
		.amdhsa_exception_int_div_zero 0
	.end_amdhsa_kernel
	.section	.text._ZN7rocprim17ROCPRIM_400000_NS6detail17trampoline_kernelINS0_14default_configENS1_38merge_sort_block_merge_config_selectorIhlEEZZNS1_27merge_sort_block_merge_implIS3_PhN6thrust23THRUST_200600_302600_NS10device_ptrIlEEjNS1_19radix_merge_compareILb0ELb1EhNS0_19identity_decomposerEEEEE10hipError_tT0_T1_T2_jT3_P12ihipStream_tbPNSt15iterator_traitsISG_E10value_typeEPNSM_ISH_E10value_typeEPSI_NS1_7vsmem_tEENKUlT_SG_SH_SI_E_clIS7_S7_PlSB_EESF_SV_SG_SH_SI_EUlSV_E1_NS1_11comp_targetILNS1_3genE10ELNS1_11target_archE1201ELNS1_3gpuE5ELNS1_3repE0EEENS1_36merge_oddeven_config_static_selectorELNS0_4arch9wavefront6targetE1EEEvSH_,"axG",@progbits,_ZN7rocprim17ROCPRIM_400000_NS6detail17trampoline_kernelINS0_14default_configENS1_38merge_sort_block_merge_config_selectorIhlEEZZNS1_27merge_sort_block_merge_implIS3_PhN6thrust23THRUST_200600_302600_NS10device_ptrIlEEjNS1_19radix_merge_compareILb0ELb1EhNS0_19identity_decomposerEEEEE10hipError_tT0_T1_T2_jT3_P12ihipStream_tbPNSt15iterator_traitsISG_E10value_typeEPNSM_ISH_E10value_typeEPSI_NS1_7vsmem_tEENKUlT_SG_SH_SI_E_clIS7_S7_PlSB_EESF_SV_SG_SH_SI_EUlSV_E1_NS1_11comp_targetILNS1_3genE10ELNS1_11target_archE1201ELNS1_3gpuE5ELNS1_3repE0EEENS1_36merge_oddeven_config_static_selectorELNS0_4arch9wavefront6targetE1EEEvSH_,comdat
.Lfunc_end206:
	.size	_ZN7rocprim17ROCPRIM_400000_NS6detail17trampoline_kernelINS0_14default_configENS1_38merge_sort_block_merge_config_selectorIhlEEZZNS1_27merge_sort_block_merge_implIS3_PhN6thrust23THRUST_200600_302600_NS10device_ptrIlEEjNS1_19radix_merge_compareILb0ELb1EhNS0_19identity_decomposerEEEEE10hipError_tT0_T1_T2_jT3_P12ihipStream_tbPNSt15iterator_traitsISG_E10value_typeEPNSM_ISH_E10value_typeEPSI_NS1_7vsmem_tEENKUlT_SG_SH_SI_E_clIS7_S7_PlSB_EESF_SV_SG_SH_SI_EUlSV_E1_NS1_11comp_targetILNS1_3genE10ELNS1_11target_archE1201ELNS1_3gpuE5ELNS1_3repE0EEENS1_36merge_oddeven_config_static_selectorELNS0_4arch9wavefront6targetE1EEEvSH_, .Lfunc_end206-_ZN7rocprim17ROCPRIM_400000_NS6detail17trampoline_kernelINS0_14default_configENS1_38merge_sort_block_merge_config_selectorIhlEEZZNS1_27merge_sort_block_merge_implIS3_PhN6thrust23THRUST_200600_302600_NS10device_ptrIlEEjNS1_19radix_merge_compareILb0ELb1EhNS0_19identity_decomposerEEEEE10hipError_tT0_T1_T2_jT3_P12ihipStream_tbPNSt15iterator_traitsISG_E10value_typeEPNSM_ISH_E10value_typeEPSI_NS1_7vsmem_tEENKUlT_SG_SH_SI_E_clIS7_S7_PlSB_EESF_SV_SG_SH_SI_EUlSV_E1_NS1_11comp_targetILNS1_3genE10ELNS1_11target_archE1201ELNS1_3gpuE5ELNS1_3repE0EEENS1_36merge_oddeven_config_static_selectorELNS0_4arch9wavefront6targetE1EEEvSH_
                                        ; -- End function
	.section	.AMDGPU.csdata,"",@progbits
; Kernel info:
; codeLenInByte = 0
; NumSgprs: 4
; NumVgprs: 0
; NumAgprs: 0
; TotalNumVgprs: 0
; ScratchSize: 0
; MemoryBound: 0
; FloatMode: 240
; IeeeMode: 1
; LDSByteSize: 0 bytes/workgroup (compile time only)
; SGPRBlocks: 0
; VGPRBlocks: 0
; NumSGPRsForWavesPerEU: 4
; NumVGPRsForWavesPerEU: 1
; AccumOffset: 4
; Occupancy: 8
; WaveLimiterHint : 0
; COMPUTE_PGM_RSRC2:SCRATCH_EN: 0
; COMPUTE_PGM_RSRC2:USER_SGPR: 6
; COMPUTE_PGM_RSRC2:TRAP_HANDLER: 0
; COMPUTE_PGM_RSRC2:TGID_X_EN: 1
; COMPUTE_PGM_RSRC2:TGID_Y_EN: 0
; COMPUTE_PGM_RSRC2:TGID_Z_EN: 0
; COMPUTE_PGM_RSRC2:TIDIG_COMP_CNT: 0
; COMPUTE_PGM_RSRC3_GFX90A:ACCUM_OFFSET: 0
; COMPUTE_PGM_RSRC3_GFX90A:TG_SPLIT: 0
	.section	.text._ZN7rocprim17ROCPRIM_400000_NS6detail17trampoline_kernelINS0_14default_configENS1_38merge_sort_block_merge_config_selectorIhlEEZZNS1_27merge_sort_block_merge_implIS3_PhN6thrust23THRUST_200600_302600_NS10device_ptrIlEEjNS1_19radix_merge_compareILb0ELb1EhNS0_19identity_decomposerEEEEE10hipError_tT0_T1_T2_jT3_P12ihipStream_tbPNSt15iterator_traitsISG_E10value_typeEPNSM_ISH_E10value_typeEPSI_NS1_7vsmem_tEENKUlT_SG_SH_SI_E_clIS7_S7_PlSB_EESF_SV_SG_SH_SI_EUlSV_E1_NS1_11comp_targetILNS1_3genE5ELNS1_11target_archE942ELNS1_3gpuE9ELNS1_3repE0EEENS1_36merge_oddeven_config_static_selectorELNS0_4arch9wavefront6targetE1EEEvSH_,"axG",@progbits,_ZN7rocprim17ROCPRIM_400000_NS6detail17trampoline_kernelINS0_14default_configENS1_38merge_sort_block_merge_config_selectorIhlEEZZNS1_27merge_sort_block_merge_implIS3_PhN6thrust23THRUST_200600_302600_NS10device_ptrIlEEjNS1_19radix_merge_compareILb0ELb1EhNS0_19identity_decomposerEEEEE10hipError_tT0_T1_T2_jT3_P12ihipStream_tbPNSt15iterator_traitsISG_E10value_typeEPNSM_ISH_E10value_typeEPSI_NS1_7vsmem_tEENKUlT_SG_SH_SI_E_clIS7_S7_PlSB_EESF_SV_SG_SH_SI_EUlSV_E1_NS1_11comp_targetILNS1_3genE5ELNS1_11target_archE942ELNS1_3gpuE9ELNS1_3repE0EEENS1_36merge_oddeven_config_static_selectorELNS0_4arch9wavefront6targetE1EEEvSH_,comdat
	.protected	_ZN7rocprim17ROCPRIM_400000_NS6detail17trampoline_kernelINS0_14default_configENS1_38merge_sort_block_merge_config_selectorIhlEEZZNS1_27merge_sort_block_merge_implIS3_PhN6thrust23THRUST_200600_302600_NS10device_ptrIlEEjNS1_19radix_merge_compareILb0ELb1EhNS0_19identity_decomposerEEEEE10hipError_tT0_T1_T2_jT3_P12ihipStream_tbPNSt15iterator_traitsISG_E10value_typeEPNSM_ISH_E10value_typeEPSI_NS1_7vsmem_tEENKUlT_SG_SH_SI_E_clIS7_S7_PlSB_EESF_SV_SG_SH_SI_EUlSV_E1_NS1_11comp_targetILNS1_3genE5ELNS1_11target_archE942ELNS1_3gpuE9ELNS1_3repE0EEENS1_36merge_oddeven_config_static_selectorELNS0_4arch9wavefront6targetE1EEEvSH_ ; -- Begin function _ZN7rocprim17ROCPRIM_400000_NS6detail17trampoline_kernelINS0_14default_configENS1_38merge_sort_block_merge_config_selectorIhlEEZZNS1_27merge_sort_block_merge_implIS3_PhN6thrust23THRUST_200600_302600_NS10device_ptrIlEEjNS1_19radix_merge_compareILb0ELb1EhNS0_19identity_decomposerEEEEE10hipError_tT0_T1_T2_jT3_P12ihipStream_tbPNSt15iterator_traitsISG_E10value_typeEPNSM_ISH_E10value_typeEPSI_NS1_7vsmem_tEENKUlT_SG_SH_SI_E_clIS7_S7_PlSB_EESF_SV_SG_SH_SI_EUlSV_E1_NS1_11comp_targetILNS1_3genE5ELNS1_11target_archE942ELNS1_3gpuE9ELNS1_3repE0EEENS1_36merge_oddeven_config_static_selectorELNS0_4arch9wavefront6targetE1EEEvSH_
	.globl	_ZN7rocprim17ROCPRIM_400000_NS6detail17trampoline_kernelINS0_14default_configENS1_38merge_sort_block_merge_config_selectorIhlEEZZNS1_27merge_sort_block_merge_implIS3_PhN6thrust23THRUST_200600_302600_NS10device_ptrIlEEjNS1_19radix_merge_compareILb0ELb1EhNS0_19identity_decomposerEEEEE10hipError_tT0_T1_T2_jT3_P12ihipStream_tbPNSt15iterator_traitsISG_E10value_typeEPNSM_ISH_E10value_typeEPSI_NS1_7vsmem_tEENKUlT_SG_SH_SI_E_clIS7_S7_PlSB_EESF_SV_SG_SH_SI_EUlSV_E1_NS1_11comp_targetILNS1_3genE5ELNS1_11target_archE942ELNS1_3gpuE9ELNS1_3repE0EEENS1_36merge_oddeven_config_static_selectorELNS0_4arch9wavefront6targetE1EEEvSH_
	.p2align	8
	.type	_ZN7rocprim17ROCPRIM_400000_NS6detail17trampoline_kernelINS0_14default_configENS1_38merge_sort_block_merge_config_selectorIhlEEZZNS1_27merge_sort_block_merge_implIS3_PhN6thrust23THRUST_200600_302600_NS10device_ptrIlEEjNS1_19radix_merge_compareILb0ELb1EhNS0_19identity_decomposerEEEEE10hipError_tT0_T1_T2_jT3_P12ihipStream_tbPNSt15iterator_traitsISG_E10value_typeEPNSM_ISH_E10value_typeEPSI_NS1_7vsmem_tEENKUlT_SG_SH_SI_E_clIS7_S7_PlSB_EESF_SV_SG_SH_SI_EUlSV_E1_NS1_11comp_targetILNS1_3genE5ELNS1_11target_archE942ELNS1_3gpuE9ELNS1_3repE0EEENS1_36merge_oddeven_config_static_selectorELNS0_4arch9wavefront6targetE1EEEvSH_,@function
_ZN7rocprim17ROCPRIM_400000_NS6detail17trampoline_kernelINS0_14default_configENS1_38merge_sort_block_merge_config_selectorIhlEEZZNS1_27merge_sort_block_merge_implIS3_PhN6thrust23THRUST_200600_302600_NS10device_ptrIlEEjNS1_19radix_merge_compareILb0ELb1EhNS0_19identity_decomposerEEEEE10hipError_tT0_T1_T2_jT3_P12ihipStream_tbPNSt15iterator_traitsISG_E10value_typeEPNSM_ISH_E10value_typeEPSI_NS1_7vsmem_tEENKUlT_SG_SH_SI_E_clIS7_S7_PlSB_EESF_SV_SG_SH_SI_EUlSV_E1_NS1_11comp_targetILNS1_3genE5ELNS1_11target_archE942ELNS1_3gpuE9ELNS1_3repE0EEENS1_36merge_oddeven_config_static_selectorELNS0_4arch9wavefront6targetE1EEEvSH_: ; @_ZN7rocprim17ROCPRIM_400000_NS6detail17trampoline_kernelINS0_14default_configENS1_38merge_sort_block_merge_config_selectorIhlEEZZNS1_27merge_sort_block_merge_implIS3_PhN6thrust23THRUST_200600_302600_NS10device_ptrIlEEjNS1_19radix_merge_compareILb0ELb1EhNS0_19identity_decomposerEEEEE10hipError_tT0_T1_T2_jT3_P12ihipStream_tbPNSt15iterator_traitsISG_E10value_typeEPNSM_ISH_E10value_typeEPSI_NS1_7vsmem_tEENKUlT_SG_SH_SI_E_clIS7_S7_PlSB_EESF_SV_SG_SH_SI_EUlSV_E1_NS1_11comp_targetILNS1_3genE5ELNS1_11target_archE942ELNS1_3gpuE9ELNS1_3repE0EEENS1_36merge_oddeven_config_static_selectorELNS0_4arch9wavefront6targetE1EEEvSH_
; %bb.0:
	.section	.rodata,"a",@progbits
	.p2align	6, 0x0
	.amdhsa_kernel _ZN7rocprim17ROCPRIM_400000_NS6detail17trampoline_kernelINS0_14default_configENS1_38merge_sort_block_merge_config_selectorIhlEEZZNS1_27merge_sort_block_merge_implIS3_PhN6thrust23THRUST_200600_302600_NS10device_ptrIlEEjNS1_19radix_merge_compareILb0ELb1EhNS0_19identity_decomposerEEEEE10hipError_tT0_T1_T2_jT3_P12ihipStream_tbPNSt15iterator_traitsISG_E10value_typeEPNSM_ISH_E10value_typeEPSI_NS1_7vsmem_tEENKUlT_SG_SH_SI_E_clIS7_S7_PlSB_EESF_SV_SG_SH_SI_EUlSV_E1_NS1_11comp_targetILNS1_3genE5ELNS1_11target_archE942ELNS1_3gpuE9ELNS1_3repE0EEENS1_36merge_oddeven_config_static_selectorELNS0_4arch9wavefront6targetE1EEEvSH_
		.amdhsa_group_segment_fixed_size 0
		.amdhsa_private_segment_fixed_size 0
		.amdhsa_kernarg_size 48
		.amdhsa_user_sgpr_count 6
		.amdhsa_user_sgpr_private_segment_buffer 1
		.amdhsa_user_sgpr_dispatch_ptr 0
		.amdhsa_user_sgpr_queue_ptr 0
		.amdhsa_user_sgpr_kernarg_segment_ptr 1
		.amdhsa_user_sgpr_dispatch_id 0
		.amdhsa_user_sgpr_flat_scratch_init 0
		.amdhsa_user_sgpr_kernarg_preload_length 0
		.amdhsa_user_sgpr_kernarg_preload_offset 0
		.amdhsa_user_sgpr_private_segment_size 0
		.amdhsa_uses_dynamic_stack 0
		.amdhsa_system_sgpr_private_segment_wavefront_offset 0
		.amdhsa_system_sgpr_workgroup_id_x 1
		.amdhsa_system_sgpr_workgroup_id_y 0
		.amdhsa_system_sgpr_workgroup_id_z 0
		.amdhsa_system_sgpr_workgroup_info 0
		.amdhsa_system_vgpr_workitem_id 0
		.amdhsa_next_free_vgpr 1
		.amdhsa_next_free_sgpr 0
		.amdhsa_accum_offset 4
		.amdhsa_reserve_vcc 0
		.amdhsa_reserve_flat_scratch 0
		.amdhsa_float_round_mode_32 0
		.amdhsa_float_round_mode_16_64 0
		.amdhsa_float_denorm_mode_32 3
		.amdhsa_float_denorm_mode_16_64 3
		.amdhsa_dx10_clamp 1
		.amdhsa_ieee_mode 1
		.amdhsa_fp16_overflow 0
		.amdhsa_tg_split 0
		.amdhsa_exception_fp_ieee_invalid_op 0
		.amdhsa_exception_fp_denorm_src 0
		.amdhsa_exception_fp_ieee_div_zero 0
		.amdhsa_exception_fp_ieee_overflow 0
		.amdhsa_exception_fp_ieee_underflow 0
		.amdhsa_exception_fp_ieee_inexact 0
		.amdhsa_exception_int_div_zero 0
	.end_amdhsa_kernel
	.section	.text._ZN7rocprim17ROCPRIM_400000_NS6detail17trampoline_kernelINS0_14default_configENS1_38merge_sort_block_merge_config_selectorIhlEEZZNS1_27merge_sort_block_merge_implIS3_PhN6thrust23THRUST_200600_302600_NS10device_ptrIlEEjNS1_19radix_merge_compareILb0ELb1EhNS0_19identity_decomposerEEEEE10hipError_tT0_T1_T2_jT3_P12ihipStream_tbPNSt15iterator_traitsISG_E10value_typeEPNSM_ISH_E10value_typeEPSI_NS1_7vsmem_tEENKUlT_SG_SH_SI_E_clIS7_S7_PlSB_EESF_SV_SG_SH_SI_EUlSV_E1_NS1_11comp_targetILNS1_3genE5ELNS1_11target_archE942ELNS1_3gpuE9ELNS1_3repE0EEENS1_36merge_oddeven_config_static_selectorELNS0_4arch9wavefront6targetE1EEEvSH_,"axG",@progbits,_ZN7rocprim17ROCPRIM_400000_NS6detail17trampoline_kernelINS0_14default_configENS1_38merge_sort_block_merge_config_selectorIhlEEZZNS1_27merge_sort_block_merge_implIS3_PhN6thrust23THRUST_200600_302600_NS10device_ptrIlEEjNS1_19radix_merge_compareILb0ELb1EhNS0_19identity_decomposerEEEEE10hipError_tT0_T1_T2_jT3_P12ihipStream_tbPNSt15iterator_traitsISG_E10value_typeEPNSM_ISH_E10value_typeEPSI_NS1_7vsmem_tEENKUlT_SG_SH_SI_E_clIS7_S7_PlSB_EESF_SV_SG_SH_SI_EUlSV_E1_NS1_11comp_targetILNS1_3genE5ELNS1_11target_archE942ELNS1_3gpuE9ELNS1_3repE0EEENS1_36merge_oddeven_config_static_selectorELNS0_4arch9wavefront6targetE1EEEvSH_,comdat
.Lfunc_end207:
	.size	_ZN7rocprim17ROCPRIM_400000_NS6detail17trampoline_kernelINS0_14default_configENS1_38merge_sort_block_merge_config_selectorIhlEEZZNS1_27merge_sort_block_merge_implIS3_PhN6thrust23THRUST_200600_302600_NS10device_ptrIlEEjNS1_19radix_merge_compareILb0ELb1EhNS0_19identity_decomposerEEEEE10hipError_tT0_T1_T2_jT3_P12ihipStream_tbPNSt15iterator_traitsISG_E10value_typeEPNSM_ISH_E10value_typeEPSI_NS1_7vsmem_tEENKUlT_SG_SH_SI_E_clIS7_S7_PlSB_EESF_SV_SG_SH_SI_EUlSV_E1_NS1_11comp_targetILNS1_3genE5ELNS1_11target_archE942ELNS1_3gpuE9ELNS1_3repE0EEENS1_36merge_oddeven_config_static_selectorELNS0_4arch9wavefront6targetE1EEEvSH_, .Lfunc_end207-_ZN7rocprim17ROCPRIM_400000_NS6detail17trampoline_kernelINS0_14default_configENS1_38merge_sort_block_merge_config_selectorIhlEEZZNS1_27merge_sort_block_merge_implIS3_PhN6thrust23THRUST_200600_302600_NS10device_ptrIlEEjNS1_19radix_merge_compareILb0ELb1EhNS0_19identity_decomposerEEEEE10hipError_tT0_T1_T2_jT3_P12ihipStream_tbPNSt15iterator_traitsISG_E10value_typeEPNSM_ISH_E10value_typeEPSI_NS1_7vsmem_tEENKUlT_SG_SH_SI_E_clIS7_S7_PlSB_EESF_SV_SG_SH_SI_EUlSV_E1_NS1_11comp_targetILNS1_3genE5ELNS1_11target_archE942ELNS1_3gpuE9ELNS1_3repE0EEENS1_36merge_oddeven_config_static_selectorELNS0_4arch9wavefront6targetE1EEEvSH_
                                        ; -- End function
	.section	.AMDGPU.csdata,"",@progbits
; Kernel info:
; codeLenInByte = 0
; NumSgprs: 4
; NumVgprs: 0
; NumAgprs: 0
; TotalNumVgprs: 0
; ScratchSize: 0
; MemoryBound: 0
; FloatMode: 240
; IeeeMode: 1
; LDSByteSize: 0 bytes/workgroup (compile time only)
; SGPRBlocks: 0
; VGPRBlocks: 0
; NumSGPRsForWavesPerEU: 4
; NumVGPRsForWavesPerEU: 1
; AccumOffset: 4
; Occupancy: 8
; WaveLimiterHint : 0
; COMPUTE_PGM_RSRC2:SCRATCH_EN: 0
; COMPUTE_PGM_RSRC2:USER_SGPR: 6
; COMPUTE_PGM_RSRC2:TRAP_HANDLER: 0
; COMPUTE_PGM_RSRC2:TGID_X_EN: 1
; COMPUTE_PGM_RSRC2:TGID_Y_EN: 0
; COMPUTE_PGM_RSRC2:TGID_Z_EN: 0
; COMPUTE_PGM_RSRC2:TIDIG_COMP_CNT: 0
; COMPUTE_PGM_RSRC3_GFX90A:ACCUM_OFFSET: 0
; COMPUTE_PGM_RSRC3_GFX90A:TG_SPLIT: 0
	.section	.text._ZN7rocprim17ROCPRIM_400000_NS6detail17trampoline_kernelINS0_14default_configENS1_38merge_sort_block_merge_config_selectorIhlEEZZNS1_27merge_sort_block_merge_implIS3_PhN6thrust23THRUST_200600_302600_NS10device_ptrIlEEjNS1_19radix_merge_compareILb0ELb1EhNS0_19identity_decomposerEEEEE10hipError_tT0_T1_T2_jT3_P12ihipStream_tbPNSt15iterator_traitsISG_E10value_typeEPNSM_ISH_E10value_typeEPSI_NS1_7vsmem_tEENKUlT_SG_SH_SI_E_clIS7_S7_PlSB_EESF_SV_SG_SH_SI_EUlSV_E1_NS1_11comp_targetILNS1_3genE4ELNS1_11target_archE910ELNS1_3gpuE8ELNS1_3repE0EEENS1_36merge_oddeven_config_static_selectorELNS0_4arch9wavefront6targetE1EEEvSH_,"axG",@progbits,_ZN7rocprim17ROCPRIM_400000_NS6detail17trampoline_kernelINS0_14default_configENS1_38merge_sort_block_merge_config_selectorIhlEEZZNS1_27merge_sort_block_merge_implIS3_PhN6thrust23THRUST_200600_302600_NS10device_ptrIlEEjNS1_19radix_merge_compareILb0ELb1EhNS0_19identity_decomposerEEEEE10hipError_tT0_T1_T2_jT3_P12ihipStream_tbPNSt15iterator_traitsISG_E10value_typeEPNSM_ISH_E10value_typeEPSI_NS1_7vsmem_tEENKUlT_SG_SH_SI_E_clIS7_S7_PlSB_EESF_SV_SG_SH_SI_EUlSV_E1_NS1_11comp_targetILNS1_3genE4ELNS1_11target_archE910ELNS1_3gpuE8ELNS1_3repE0EEENS1_36merge_oddeven_config_static_selectorELNS0_4arch9wavefront6targetE1EEEvSH_,comdat
	.protected	_ZN7rocprim17ROCPRIM_400000_NS6detail17trampoline_kernelINS0_14default_configENS1_38merge_sort_block_merge_config_selectorIhlEEZZNS1_27merge_sort_block_merge_implIS3_PhN6thrust23THRUST_200600_302600_NS10device_ptrIlEEjNS1_19radix_merge_compareILb0ELb1EhNS0_19identity_decomposerEEEEE10hipError_tT0_T1_T2_jT3_P12ihipStream_tbPNSt15iterator_traitsISG_E10value_typeEPNSM_ISH_E10value_typeEPSI_NS1_7vsmem_tEENKUlT_SG_SH_SI_E_clIS7_S7_PlSB_EESF_SV_SG_SH_SI_EUlSV_E1_NS1_11comp_targetILNS1_3genE4ELNS1_11target_archE910ELNS1_3gpuE8ELNS1_3repE0EEENS1_36merge_oddeven_config_static_selectorELNS0_4arch9wavefront6targetE1EEEvSH_ ; -- Begin function _ZN7rocprim17ROCPRIM_400000_NS6detail17trampoline_kernelINS0_14default_configENS1_38merge_sort_block_merge_config_selectorIhlEEZZNS1_27merge_sort_block_merge_implIS3_PhN6thrust23THRUST_200600_302600_NS10device_ptrIlEEjNS1_19radix_merge_compareILb0ELb1EhNS0_19identity_decomposerEEEEE10hipError_tT0_T1_T2_jT3_P12ihipStream_tbPNSt15iterator_traitsISG_E10value_typeEPNSM_ISH_E10value_typeEPSI_NS1_7vsmem_tEENKUlT_SG_SH_SI_E_clIS7_S7_PlSB_EESF_SV_SG_SH_SI_EUlSV_E1_NS1_11comp_targetILNS1_3genE4ELNS1_11target_archE910ELNS1_3gpuE8ELNS1_3repE0EEENS1_36merge_oddeven_config_static_selectorELNS0_4arch9wavefront6targetE1EEEvSH_
	.globl	_ZN7rocprim17ROCPRIM_400000_NS6detail17trampoline_kernelINS0_14default_configENS1_38merge_sort_block_merge_config_selectorIhlEEZZNS1_27merge_sort_block_merge_implIS3_PhN6thrust23THRUST_200600_302600_NS10device_ptrIlEEjNS1_19radix_merge_compareILb0ELb1EhNS0_19identity_decomposerEEEEE10hipError_tT0_T1_T2_jT3_P12ihipStream_tbPNSt15iterator_traitsISG_E10value_typeEPNSM_ISH_E10value_typeEPSI_NS1_7vsmem_tEENKUlT_SG_SH_SI_E_clIS7_S7_PlSB_EESF_SV_SG_SH_SI_EUlSV_E1_NS1_11comp_targetILNS1_3genE4ELNS1_11target_archE910ELNS1_3gpuE8ELNS1_3repE0EEENS1_36merge_oddeven_config_static_selectorELNS0_4arch9wavefront6targetE1EEEvSH_
	.p2align	8
	.type	_ZN7rocprim17ROCPRIM_400000_NS6detail17trampoline_kernelINS0_14default_configENS1_38merge_sort_block_merge_config_selectorIhlEEZZNS1_27merge_sort_block_merge_implIS3_PhN6thrust23THRUST_200600_302600_NS10device_ptrIlEEjNS1_19radix_merge_compareILb0ELb1EhNS0_19identity_decomposerEEEEE10hipError_tT0_T1_T2_jT3_P12ihipStream_tbPNSt15iterator_traitsISG_E10value_typeEPNSM_ISH_E10value_typeEPSI_NS1_7vsmem_tEENKUlT_SG_SH_SI_E_clIS7_S7_PlSB_EESF_SV_SG_SH_SI_EUlSV_E1_NS1_11comp_targetILNS1_3genE4ELNS1_11target_archE910ELNS1_3gpuE8ELNS1_3repE0EEENS1_36merge_oddeven_config_static_selectorELNS0_4arch9wavefront6targetE1EEEvSH_,@function
_ZN7rocprim17ROCPRIM_400000_NS6detail17trampoline_kernelINS0_14default_configENS1_38merge_sort_block_merge_config_selectorIhlEEZZNS1_27merge_sort_block_merge_implIS3_PhN6thrust23THRUST_200600_302600_NS10device_ptrIlEEjNS1_19radix_merge_compareILb0ELb1EhNS0_19identity_decomposerEEEEE10hipError_tT0_T1_T2_jT3_P12ihipStream_tbPNSt15iterator_traitsISG_E10value_typeEPNSM_ISH_E10value_typeEPSI_NS1_7vsmem_tEENKUlT_SG_SH_SI_E_clIS7_S7_PlSB_EESF_SV_SG_SH_SI_EUlSV_E1_NS1_11comp_targetILNS1_3genE4ELNS1_11target_archE910ELNS1_3gpuE8ELNS1_3repE0EEENS1_36merge_oddeven_config_static_selectorELNS0_4arch9wavefront6targetE1EEEvSH_: ; @_ZN7rocprim17ROCPRIM_400000_NS6detail17trampoline_kernelINS0_14default_configENS1_38merge_sort_block_merge_config_selectorIhlEEZZNS1_27merge_sort_block_merge_implIS3_PhN6thrust23THRUST_200600_302600_NS10device_ptrIlEEjNS1_19radix_merge_compareILb0ELb1EhNS0_19identity_decomposerEEEEE10hipError_tT0_T1_T2_jT3_P12ihipStream_tbPNSt15iterator_traitsISG_E10value_typeEPNSM_ISH_E10value_typeEPSI_NS1_7vsmem_tEENKUlT_SG_SH_SI_E_clIS7_S7_PlSB_EESF_SV_SG_SH_SI_EUlSV_E1_NS1_11comp_targetILNS1_3genE4ELNS1_11target_archE910ELNS1_3gpuE8ELNS1_3repE0EEENS1_36merge_oddeven_config_static_selectorELNS0_4arch9wavefront6targetE1EEEvSH_
; %bb.0:
	s_load_dword s21, s[4:5], 0x20
	s_waitcnt lgkmcnt(0)
	s_lshr_b32 s2, s21, 8
	s_cmp_lg_u32 s6, s2
	s_cselect_b64 s[0:1], -1, 0
	s_cmp_eq_u32 s6, s2
	s_cselect_b64 s[16:17], -1, 0
	s_lshl_b32 s18, s6, 8
	s_sub_i32 s2, s21, s18
	v_cmp_gt_u32_e64 s[2:3], s2, v0
	s_or_b64 s[0:1], s[0:1], s[2:3]
	s_and_saveexec_b64 s[8:9], s[0:1]
	s_cbranch_execz .LBB208_26
; %bb.1:
	s_load_dwordx8 s[8:15], s[4:5], 0x0
	s_mov_b32 s19, 0
	v_lshlrev_b32_e32 v1, 3, v0
	v_add_u32_e32 v4, s18, v0
	s_waitcnt lgkmcnt(0)
	s_add_u32 s0, s8, s18
	s_addc_u32 s1, s9, 0
	s_lshl_b64 s[22:23], s[18:19], 3
	s_add_u32 s12, s12, s22
	s_addc_u32 s13, s13, s23
	global_load_dwordx2 v[2:3], v1, s[12:13]
	global_load_ubyte v6, v0, s[0:1]
	s_load_dword s22, s[4:5], 0x24
	s_waitcnt lgkmcnt(0)
	s_lshr_b32 s0, s22, 8
	s_sub_i32 s1, 0, s0
	s_and_b32 s1, s6, s1
	s_and_b32 s0, s1, s0
	s_lshl_b32 s23, s1, 8
	s_sub_i32 s12, 0, s22
	s_cmp_eq_u32 s0, 0
	s_cselect_b64 s[0:1], -1, 0
	s_and_b64 s[6:7], s[0:1], exec
	s_cselect_b32 s20, s22, s12
	s_add_i32 s20, s20, s23
	s_cmp_lt_u32 s20, s21
	s_cbranch_scc1 .LBB208_6
; %bb.2:
	s_and_b64 vcc, exec, s[16:17]
	s_cbranch_vccz .LBB208_7
; %bb.3:
	v_cmp_gt_u32_e32 vcc, s21, v4
	s_mov_b64 s[12:13], 0
	s_mov_b64 s[6:7], 0
                                        ; implicit-def: $vgpr0_vgpr1
	s_and_saveexec_b64 s[18:19], vcc
	s_cbranch_execz .LBB208_5
; %bb.4:
	v_mov_b32_e32 v5, 0
	v_lshlrev_b64 v[0:1], 3, v[4:5]
	v_mov_b32_e32 v5, s15
	v_add_co_u32_e32 v0, vcc, s14, v0
	s_mov_b64 s[6:7], exec
	v_addc_co_u32_e32 v1, vcc, v5, v1, vcc
	s_waitcnt vmcnt(0)
	global_store_byte v4, v6, s[10:11]
.LBB208_5:
	s_or_b64 exec, exec, s[18:19]
	s_and_b64 vcc, exec, s[12:13]
	s_cbranch_vccnz .LBB208_8
	s_branch .LBB208_9
.LBB208_6:
	s_mov_b64 s[6:7], 0
                                        ; implicit-def: $vgpr0_vgpr1
	s_cbranch_execnz .LBB208_10
	s_branch .LBB208_24
.LBB208_7:
	s_mov_b64 s[6:7], 0
                                        ; implicit-def: $vgpr0_vgpr1
	s_cbranch_execz .LBB208_9
.LBB208_8:
	v_mov_b32_e32 v5, 0
	v_lshlrev_b64 v[0:1], 3, v[4:5]
	v_mov_b32_e32 v5, s15
	v_add_co_u32_e32 v0, vcc, s14, v0
	v_addc_co_u32_e32 v1, vcc, v5, v1, vcc
	s_or_b64 s[6:7], s[6:7], exec
	s_waitcnt vmcnt(0)
	global_store_byte v4, v6, s[10:11]
.LBB208_9:
	s_branch .LBB208_24
.LBB208_10:
	s_load_dword s12, s[4:5], 0x28
	s_min_u32 s13, s20, s21
	s_add_i32 s4, s13, s22
	s_min_u32 s18, s4, s21
	s_min_u32 s4, s23, s13
	s_add_i32 s23, s23, s13
	v_subrev_u32_e32 v0, s23, v4
	v_add_u32_e32 v4, s4, v0
	s_and_b64 vcc, exec, s[16:17]
	s_cbranch_vccz .LBB208_18
; %bb.11:
                                        ; implicit-def: $vgpr0_vgpr1
	s_and_saveexec_b64 s[4:5], s[2:3]
	s_cbranch_execz .LBB208_17
; %bb.12:
	s_cmp_ge_u32 s20, s18
	v_mov_b32_e32 v0, s13
	s_cbranch_scc1 .LBB208_16
; %bb.13:
	s_waitcnt vmcnt(0) lgkmcnt(0)
	v_and_b32_e32 v1, s12, v6
	s_mov_b64 s[2:3], 0
	v_mov_b32_e32 v5, s18
	v_mov_b32_e32 v0, s13
.LBB208_14:                             ; =>This Inner Loop Header: Depth=1
	v_add_u32_e32 v7, v0, v5
	v_lshrrev_b32_e32 v7, 1, v7
	global_load_ubyte v8, v7, s[8:9]
	v_add_u32_e32 v9, 1, v7
	s_waitcnt vmcnt(0)
	v_and_b32_sdwa v8, v8, s12 dst_sel:DWORD dst_unused:UNUSED_PAD src0_sel:DWORD src1_sel:BYTE_0
	v_cmp_gt_u16_sdwa s[16:17], v1, v8 src0_sel:BYTE_0 src1_sel:DWORD
	v_cndmask_b32_e64 v10, 0, 1, s[16:17]
	v_cmp_le_u16_sdwa s[16:17], v8, v1 src0_sel:DWORD src1_sel:BYTE_0
	v_cndmask_b32_e64 v8, 0, 1, s[16:17]
	v_cndmask_b32_e64 v8, v8, v10, s[0:1]
	v_and_b32_e32 v8, 1, v8
	v_cmp_eq_u32_e32 vcc, 1, v8
	v_cndmask_b32_e32 v5, v7, v5, vcc
	v_cndmask_b32_e32 v0, v0, v9, vcc
	v_cmp_ge_u32_e32 vcc, v0, v5
	s_or_b64 s[2:3], vcc, s[2:3]
	s_andn2_b64 exec, exec, s[2:3]
	s_cbranch_execnz .LBB208_14
; %bb.15:
	s_or_b64 exec, exec, s[2:3]
.LBB208_16:
	v_add_u32_e32 v0, v0, v4
	v_mov_b32_e32 v1, 0
	s_waitcnt vmcnt(0)
	global_store_byte v0, v6, s[10:11]
	v_lshlrev_b64 v[0:1], 3, v[0:1]
	v_mov_b32_e32 v5, s15
	v_add_co_u32_e32 v0, vcc, s14, v0
	v_addc_co_u32_e32 v1, vcc, v5, v1, vcc
	s_or_b64 s[6:7], s[6:7], exec
.LBB208_17:
	s_or_b64 exec, exec, s[4:5]
	s_branch .LBB208_24
.LBB208_18:
                                        ; implicit-def: $vgpr0_vgpr1
	s_cbranch_execz .LBB208_24
; %bb.19:
	s_cmp_ge_u32 s20, s18
	v_mov_b32_e32 v0, s13
	s_cbranch_scc1 .LBB208_23
; %bb.20:
	s_waitcnt vmcnt(0) lgkmcnt(0)
	v_and_b32_e32 v1, s12, v6
	s_mov_b64 s[2:3], 0
	v_mov_b32_e32 v5, s18
	v_mov_b32_e32 v0, s13
.LBB208_21:                             ; =>This Inner Loop Header: Depth=1
	v_add_u32_e32 v7, v0, v5
	v_lshrrev_b32_e32 v7, 1, v7
	global_load_ubyte v8, v7, s[8:9]
	v_add_u32_e32 v9, 1, v7
	s_waitcnt vmcnt(0)
	v_and_b32_sdwa v8, v8, s12 dst_sel:DWORD dst_unused:UNUSED_PAD src0_sel:DWORD src1_sel:BYTE_0
	v_cmp_gt_u16_sdwa s[4:5], v1, v8 src0_sel:BYTE_0 src1_sel:DWORD
	v_cndmask_b32_e64 v10, 0, 1, s[4:5]
	v_cmp_le_u16_sdwa s[4:5], v8, v1 src0_sel:DWORD src1_sel:BYTE_0
	v_cndmask_b32_e64 v8, 0, 1, s[4:5]
	v_cndmask_b32_e64 v8, v8, v10, s[0:1]
	v_and_b32_e32 v8, 1, v8
	v_cmp_eq_u32_e32 vcc, 1, v8
	v_cndmask_b32_e32 v5, v7, v5, vcc
	v_cndmask_b32_e32 v0, v0, v9, vcc
	v_cmp_ge_u32_e32 vcc, v0, v5
	s_or_b64 s[2:3], vcc, s[2:3]
	s_andn2_b64 exec, exec, s[2:3]
	s_cbranch_execnz .LBB208_21
; %bb.22:
	s_or_b64 exec, exec, s[2:3]
.LBB208_23:
	v_add_u32_e32 v0, v0, v4
	v_mov_b32_e32 v1, 0
	s_waitcnt vmcnt(0)
	global_store_byte v0, v6, s[10:11]
	v_lshlrev_b64 v[0:1], 3, v[0:1]
	v_mov_b32_e32 v4, s15
	v_add_co_u32_e32 v0, vcc, s14, v0
	v_addc_co_u32_e32 v1, vcc, v4, v1, vcc
	s_mov_b64 s[6:7], -1
.LBB208_24:
	s_and_b64 exec, exec, s[6:7]
	s_cbranch_execz .LBB208_26
; %bb.25:
	s_waitcnt vmcnt(1)
	global_store_dwordx2 v[0:1], v[2:3], off
.LBB208_26:
	s_endpgm
	.section	.rodata,"a",@progbits
	.p2align	6, 0x0
	.amdhsa_kernel _ZN7rocprim17ROCPRIM_400000_NS6detail17trampoline_kernelINS0_14default_configENS1_38merge_sort_block_merge_config_selectorIhlEEZZNS1_27merge_sort_block_merge_implIS3_PhN6thrust23THRUST_200600_302600_NS10device_ptrIlEEjNS1_19radix_merge_compareILb0ELb1EhNS0_19identity_decomposerEEEEE10hipError_tT0_T1_T2_jT3_P12ihipStream_tbPNSt15iterator_traitsISG_E10value_typeEPNSM_ISH_E10value_typeEPSI_NS1_7vsmem_tEENKUlT_SG_SH_SI_E_clIS7_S7_PlSB_EESF_SV_SG_SH_SI_EUlSV_E1_NS1_11comp_targetILNS1_3genE4ELNS1_11target_archE910ELNS1_3gpuE8ELNS1_3repE0EEENS1_36merge_oddeven_config_static_selectorELNS0_4arch9wavefront6targetE1EEEvSH_
		.amdhsa_group_segment_fixed_size 0
		.amdhsa_private_segment_fixed_size 0
		.amdhsa_kernarg_size 48
		.amdhsa_user_sgpr_count 6
		.amdhsa_user_sgpr_private_segment_buffer 1
		.amdhsa_user_sgpr_dispatch_ptr 0
		.amdhsa_user_sgpr_queue_ptr 0
		.amdhsa_user_sgpr_kernarg_segment_ptr 1
		.amdhsa_user_sgpr_dispatch_id 0
		.amdhsa_user_sgpr_flat_scratch_init 0
		.amdhsa_user_sgpr_kernarg_preload_length 0
		.amdhsa_user_sgpr_kernarg_preload_offset 0
		.amdhsa_user_sgpr_private_segment_size 0
		.amdhsa_uses_dynamic_stack 0
		.amdhsa_system_sgpr_private_segment_wavefront_offset 0
		.amdhsa_system_sgpr_workgroup_id_x 1
		.amdhsa_system_sgpr_workgroup_id_y 0
		.amdhsa_system_sgpr_workgroup_id_z 0
		.amdhsa_system_sgpr_workgroup_info 0
		.amdhsa_system_vgpr_workitem_id 0
		.amdhsa_next_free_vgpr 11
		.amdhsa_next_free_sgpr 24
		.amdhsa_accum_offset 12
		.amdhsa_reserve_vcc 1
		.amdhsa_reserve_flat_scratch 0
		.amdhsa_float_round_mode_32 0
		.amdhsa_float_round_mode_16_64 0
		.amdhsa_float_denorm_mode_32 3
		.amdhsa_float_denorm_mode_16_64 3
		.amdhsa_dx10_clamp 1
		.amdhsa_ieee_mode 1
		.amdhsa_fp16_overflow 0
		.amdhsa_tg_split 0
		.amdhsa_exception_fp_ieee_invalid_op 0
		.amdhsa_exception_fp_denorm_src 0
		.amdhsa_exception_fp_ieee_div_zero 0
		.amdhsa_exception_fp_ieee_overflow 0
		.amdhsa_exception_fp_ieee_underflow 0
		.amdhsa_exception_fp_ieee_inexact 0
		.amdhsa_exception_int_div_zero 0
	.end_amdhsa_kernel
	.section	.text._ZN7rocprim17ROCPRIM_400000_NS6detail17trampoline_kernelINS0_14default_configENS1_38merge_sort_block_merge_config_selectorIhlEEZZNS1_27merge_sort_block_merge_implIS3_PhN6thrust23THRUST_200600_302600_NS10device_ptrIlEEjNS1_19radix_merge_compareILb0ELb1EhNS0_19identity_decomposerEEEEE10hipError_tT0_T1_T2_jT3_P12ihipStream_tbPNSt15iterator_traitsISG_E10value_typeEPNSM_ISH_E10value_typeEPSI_NS1_7vsmem_tEENKUlT_SG_SH_SI_E_clIS7_S7_PlSB_EESF_SV_SG_SH_SI_EUlSV_E1_NS1_11comp_targetILNS1_3genE4ELNS1_11target_archE910ELNS1_3gpuE8ELNS1_3repE0EEENS1_36merge_oddeven_config_static_selectorELNS0_4arch9wavefront6targetE1EEEvSH_,"axG",@progbits,_ZN7rocprim17ROCPRIM_400000_NS6detail17trampoline_kernelINS0_14default_configENS1_38merge_sort_block_merge_config_selectorIhlEEZZNS1_27merge_sort_block_merge_implIS3_PhN6thrust23THRUST_200600_302600_NS10device_ptrIlEEjNS1_19radix_merge_compareILb0ELb1EhNS0_19identity_decomposerEEEEE10hipError_tT0_T1_T2_jT3_P12ihipStream_tbPNSt15iterator_traitsISG_E10value_typeEPNSM_ISH_E10value_typeEPSI_NS1_7vsmem_tEENKUlT_SG_SH_SI_E_clIS7_S7_PlSB_EESF_SV_SG_SH_SI_EUlSV_E1_NS1_11comp_targetILNS1_3genE4ELNS1_11target_archE910ELNS1_3gpuE8ELNS1_3repE0EEENS1_36merge_oddeven_config_static_selectorELNS0_4arch9wavefront6targetE1EEEvSH_,comdat
.Lfunc_end208:
	.size	_ZN7rocprim17ROCPRIM_400000_NS6detail17trampoline_kernelINS0_14default_configENS1_38merge_sort_block_merge_config_selectorIhlEEZZNS1_27merge_sort_block_merge_implIS3_PhN6thrust23THRUST_200600_302600_NS10device_ptrIlEEjNS1_19radix_merge_compareILb0ELb1EhNS0_19identity_decomposerEEEEE10hipError_tT0_T1_T2_jT3_P12ihipStream_tbPNSt15iterator_traitsISG_E10value_typeEPNSM_ISH_E10value_typeEPSI_NS1_7vsmem_tEENKUlT_SG_SH_SI_E_clIS7_S7_PlSB_EESF_SV_SG_SH_SI_EUlSV_E1_NS1_11comp_targetILNS1_3genE4ELNS1_11target_archE910ELNS1_3gpuE8ELNS1_3repE0EEENS1_36merge_oddeven_config_static_selectorELNS0_4arch9wavefront6targetE1EEEvSH_, .Lfunc_end208-_ZN7rocprim17ROCPRIM_400000_NS6detail17trampoline_kernelINS0_14default_configENS1_38merge_sort_block_merge_config_selectorIhlEEZZNS1_27merge_sort_block_merge_implIS3_PhN6thrust23THRUST_200600_302600_NS10device_ptrIlEEjNS1_19radix_merge_compareILb0ELb1EhNS0_19identity_decomposerEEEEE10hipError_tT0_T1_T2_jT3_P12ihipStream_tbPNSt15iterator_traitsISG_E10value_typeEPNSM_ISH_E10value_typeEPSI_NS1_7vsmem_tEENKUlT_SG_SH_SI_E_clIS7_S7_PlSB_EESF_SV_SG_SH_SI_EUlSV_E1_NS1_11comp_targetILNS1_3genE4ELNS1_11target_archE910ELNS1_3gpuE8ELNS1_3repE0EEENS1_36merge_oddeven_config_static_selectorELNS0_4arch9wavefront6targetE1EEEvSH_
                                        ; -- End function
	.section	.AMDGPU.csdata,"",@progbits
; Kernel info:
; codeLenInByte = 788
; NumSgprs: 28
; NumVgprs: 11
; NumAgprs: 0
; TotalNumVgprs: 11
; ScratchSize: 0
; MemoryBound: 0
; FloatMode: 240
; IeeeMode: 1
; LDSByteSize: 0 bytes/workgroup (compile time only)
; SGPRBlocks: 3
; VGPRBlocks: 1
; NumSGPRsForWavesPerEU: 28
; NumVGPRsForWavesPerEU: 11
; AccumOffset: 12
; Occupancy: 8
; WaveLimiterHint : 0
; COMPUTE_PGM_RSRC2:SCRATCH_EN: 0
; COMPUTE_PGM_RSRC2:USER_SGPR: 6
; COMPUTE_PGM_RSRC2:TRAP_HANDLER: 0
; COMPUTE_PGM_RSRC2:TGID_X_EN: 1
; COMPUTE_PGM_RSRC2:TGID_Y_EN: 0
; COMPUTE_PGM_RSRC2:TGID_Z_EN: 0
; COMPUTE_PGM_RSRC2:TIDIG_COMP_CNT: 0
; COMPUTE_PGM_RSRC3_GFX90A:ACCUM_OFFSET: 2
; COMPUTE_PGM_RSRC3_GFX90A:TG_SPLIT: 0
	.section	.text._ZN7rocprim17ROCPRIM_400000_NS6detail17trampoline_kernelINS0_14default_configENS1_38merge_sort_block_merge_config_selectorIhlEEZZNS1_27merge_sort_block_merge_implIS3_PhN6thrust23THRUST_200600_302600_NS10device_ptrIlEEjNS1_19radix_merge_compareILb0ELb1EhNS0_19identity_decomposerEEEEE10hipError_tT0_T1_T2_jT3_P12ihipStream_tbPNSt15iterator_traitsISG_E10value_typeEPNSM_ISH_E10value_typeEPSI_NS1_7vsmem_tEENKUlT_SG_SH_SI_E_clIS7_S7_PlSB_EESF_SV_SG_SH_SI_EUlSV_E1_NS1_11comp_targetILNS1_3genE3ELNS1_11target_archE908ELNS1_3gpuE7ELNS1_3repE0EEENS1_36merge_oddeven_config_static_selectorELNS0_4arch9wavefront6targetE1EEEvSH_,"axG",@progbits,_ZN7rocprim17ROCPRIM_400000_NS6detail17trampoline_kernelINS0_14default_configENS1_38merge_sort_block_merge_config_selectorIhlEEZZNS1_27merge_sort_block_merge_implIS3_PhN6thrust23THRUST_200600_302600_NS10device_ptrIlEEjNS1_19radix_merge_compareILb0ELb1EhNS0_19identity_decomposerEEEEE10hipError_tT0_T1_T2_jT3_P12ihipStream_tbPNSt15iterator_traitsISG_E10value_typeEPNSM_ISH_E10value_typeEPSI_NS1_7vsmem_tEENKUlT_SG_SH_SI_E_clIS7_S7_PlSB_EESF_SV_SG_SH_SI_EUlSV_E1_NS1_11comp_targetILNS1_3genE3ELNS1_11target_archE908ELNS1_3gpuE7ELNS1_3repE0EEENS1_36merge_oddeven_config_static_selectorELNS0_4arch9wavefront6targetE1EEEvSH_,comdat
	.protected	_ZN7rocprim17ROCPRIM_400000_NS6detail17trampoline_kernelINS0_14default_configENS1_38merge_sort_block_merge_config_selectorIhlEEZZNS1_27merge_sort_block_merge_implIS3_PhN6thrust23THRUST_200600_302600_NS10device_ptrIlEEjNS1_19radix_merge_compareILb0ELb1EhNS0_19identity_decomposerEEEEE10hipError_tT0_T1_T2_jT3_P12ihipStream_tbPNSt15iterator_traitsISG_E10value_typeEPNSM_ISH_E10value_typeEPSI_NS1_7vsmem_tEENKUlT_SG_SH_SI_E_clIS7_S7_PlSB_EESF_SV_SG_SH_SI_EUlSV_E1_NS1_11comp_targetILNS1_3genE3ELNS1_11target_archE908ELNS1_3gpuE7ELNS1_3repE0EEENS1_36merge_oddeven_config_static_selectorELNS0_4arch9wavefront6targetE1EEEvSH_ ; -- Begin function _ZN7rocprim17ROCPRIM_400000_NS6detail17trampoline_kernelINS0_14default_configENS1_38merge_sort_block_merge_config_selectorIhlEEZZNS1_27merge_sort_block_merge_implIS3_PhN6thrust23THRUST_200600_302600_NS10device_ptrIlEEjNS1_19radix_merge_compareILb0ELb1EhNS0_19identity_decomposerEEEEE10hipError_tT0_T1_T2_jT3_P12ihipStream_tbPNSt15iterator_traitsISG_E10value_typeEPNSM_ISH_E10value_typeEPSI_NS1_7vsmem_tEENKUlT_SG_SH_SI_E_clIS7_S7_PlSB_EESF_SV_SG_SH_SI_EUlSV_E1_NS1_11comp_targetILNS1_3genE3ELNS1_11target_archE908ELNS1_3gpuE7ELNS1_3repE0EEENS1_36merge_oddeven_config_static_selectorELNS0_4arch9wavefront6targetE1EEEvSH_
	.globl	_ZN7rocprim17ROCPRIM_400000_NS6detail17trampoline_kernelINS0_14default_configENS1_38merge_sort_block_merge_config_selectorIhlEEZZNS1_27merge_sort_block_merge_implIS3_PhN6thrust23THRUST_200600_302600_NS10device_ptrIlEEjNS1_19radix_merge_compareILb0ELb1EhNS0_19identity_decomposerEEEEE10hipError_tT0_T1_T2_jT3_P12ihipStream_tbPNSt15iterator_traitsISG_E10value_typeEPNSM_ISH_E10value_typeEPSI_NS1_7vsmem_tEENKUlT_SG_SH_SI_E_clIS7_S7_PlSB_EESF_SV_SG_SH_SI_EUlSV_E1_NS1_11comp_targetILNS1_3genE3ELNS1_11target_archE908ELNS1_3gpuE7ELNS1_3repE0EEENS1_36merge_oddeven_config_static_selectorELNS0_4arch9wavefront6targetE1EEEvSH_
	.p2align	8
	.type	_ZN7rocprim17ROCPRIM_400000_NS6detail17trampoline_kernelINS0_14default_configENS1_38merge_sort_block_merge_config_selectorIhlEEZZNS1_27merge_sort_block_merge_implIS3_PhN6thrust23THRUST_200600_302600_NS10device_ptrIlEEjNS1_19radix_merge_compareILb0ELb1EhNS0_19identity_decomposerEEEEE10hipError_tT0_T1_T2_jT3_P12ihipStream_tbPNSt15iterator_traitsISG_E10value_typeEPNSM_ISH_E10value_typeEPSI_NS1_7vsmem_tEENKUlT_SG_SH_SI_E_clIS7_S7_PlSB_EESF_SV_SG_SH_SI_EUlSV_E1_NS1_11comp_targetILNS1_3genE3ELNS1_11target_archE908ELNS1_3gpuE7ELNS1_3repE0EEENS1_36merge_oddeven_config_static_selectorELNS0_4arch9wavefront6targetE1EEEvSH_,@function
_ZN7rocprim17ROCPRIM_400000_NS6detail17trampoline_kernelINS0_14default_configENS1_38merge_sort_block_merge_config_selectorIhlEEZZNS1_27merge_sort_block_merge_implIS3_PhN6thrust23THRUST_200600_302600_NS10device_ptrIlEEjNS1_19radix_merge_compareILb0ELb1EhNS0_19identity_decomposerEEEEE10hipError_tT0_T1_T2_jT3_P12ihipStream_tbPNSt15iterator_traitsISG_E10value_typeEPNSM_ISH_E10value_typeEPSI_NS1_7vsmem_tEENKUlT_SG_SH_SI_E_clIS7_S7_PlSB_EESF_SV_SG_SH_SI_EUlSV_E1_NS1_11comp_targetILNS1_3genE3ELNS1_11target_archE908ELNS1_3gpuE7ELNS1_3repE0EEENS1_36merge_oddeven_config_static_selectorELNS0_4arch9wavefront6targetE1EEEvSH_: ; @_ZN7rocprim17ROCPRIM_400000_NS6detail17trampoline_kernelINS0_14default_configENS1_38merge_sort_block_merge_config_selectorIhlEEZZNS1_27merge_sort_block_merge_implIS3_PhN6thrust23THRUST_200600_302600_NS10device_ptrIlEEjNS1_19radix_merge_compareILb0ELb1EhNS0_19identity_decomposerEEEEE10hipError_tT0_T1_T2_jT3_P12ihipStream_tbPNSt15iterator_traitsISG_E10value_typeEPNSM_ISH_E10value_typeEPSI_NS1_7vsmem_tEENKUlT_SG_SH_SI_E_clIS7_S7_PlSB_EESF_SV_SG_SH_SI_EUlSV_E1_NS1_11comp_targetILNS1_3genE3ELNS1_11target_archE908ELNS1_3gpuE7ELNS1_3repE0EEENS1_36merge_oddeven_config_static_selectorELNS0_4arch9wavefront6targetE1EEEvSH_
; %bb.0:
	.section	.rodata,"a",@progbits
	.p2align	6, 0x0
	.amdhsa_kernel _ZN7rocprim17ROCPRIM_400000_NS6detail17trampoline_kernelINS0_14default_configENS1_38merge_sort_block_merge_config_selectorIhlEEZZNS1_27merge_sort_block_merge_implIS3_PhN6thrust23THRUST_200600_302600_NS10device_ptrIlEEjNS1_19radix_merge_compareILb0ELb1EhNS0_19identity_decomposerEEEEE10hipError_tT0_T1_T2_jT3_P12ihipStream_tbPNSt15iterator_traitsISG_E10value_typeEPNSM_ISH_E10value_typeEPSI_NS1_7vsmem_tEENKUlT_SG_SH_SI_E_clIS7_S7_PlSB_EESF_SV_SG_SH_SI_EUlSV_E1_NS1_11comp_targetILNS1_3genE3ELNS1_11target_archE908ELNS1_3gpuE7ELNS1_3repE0EEENS1_36merge_oddeven_config_static_selectorELNS0_4arch9wavefront6targetE1EEEvSH_
		.amdhsa_group_segment_fixed_size 0
		.amdhsa_private_segment_fixed_size 0
		.amdhsa_kernarg_size 48
		.amdhsa_user_sgpr_count 6
		.amdhsa_user_sgpr_private_segment_buffer 1
		.amdhsa_user_sgpr_dispatch_ptr 0
		.amdhsa_user_sgpr_queue_ptr 0
		.amdhsa_user_sgpr_kernarg_segment_ptr 1
		.amdhsa_user_sgpr_dispatch_id 0
		.amdhsa_user_sgpr_flat_scratch_init 0
		.amdhsa_user_sgpr_kernarg_preload_length 0
		.amdhsa_user_sgpr_kernarg_preload_offset 0
		.amdhsa_user_sgpr_private_segment_size 0
		.amdhsa_uses_dynamic_stack 0
		.amdhsa_system_sgpr_private_segment_wavefront_offset 0
		.amdhsa_system_sgpr_workgroup_id_x 1
		.amdhsa_system_sgpr_workgroup_id_y 0
		.amdhsa_system_sgpr_workgroup_id_z 0
		.amdhsa_system_sgpr_workgroup_info 0
		.amdhsa_system_vgpr_workitem_id 0
		.amdhsa_next_free_vgpr 1
		.amdhsa_next_free_sgpr 0
		.amdhsa_accum_offset 4
		.amdhsa_reserve_vcc 0
		.amdhsa_reserve_flat_scratch 0
		.amdhsa_float_round_mode_32 0
		.amdhsa_float_round_mode_16_64 0
		.amdhsa_float_denorm_mode_32 3
		.amdhsa_float_denorm_mode_16_64 3
		.amdhsa_dx10_clamp 1
		.amdhsa_ieee_mode 1
		.amdhsa_fp16_overflow 0
		.amdhsa_tg_split 0
		.amdhsa_exception_fp_ieee_invalid_op 0
		.amdhsa_exception_fp_denorm_src 0
		.amdhsa_exception_fp_ieee_div_zero 0
		.amdhsa_exception_fp_ieee_overflow 0
		.amdhsa_exception_fp_ieee_underflow 0
		.amdhsa_exception_fp_ieee_inexact 0
		.amdhsa_exception_int_div_zero 0
	.end_amdhsa_kernel
	.section	.text._ZN7rocprim17ROCPRIM_400000_NS6detail17trampoline_kernelINS0_14default_configENS1_38merge_sort_block_merge_config_selectorIhlEEZZNS1_27merge_sort_block_merge_implIS3_PhN6thrust23THRUST_200600_302600_NS10device_ptrIlEEjNS1_19radix_merge_compareILb0ELb1EhNS0_19identity_decomposerEEEEE10hipError_tT0_T1_T2_jT3_P12ihipStream_tbPNSt15iterator_traitsISG_E10value_typeEPNSM_ISH_E10value_typeEPSI_NS1_7vsmem_tEENKUlT_SG_SH_SI_E_clIS7_S7_PlSB_EESF_SV_SG_SH_SI_EUlSV_E1_NS1_11comp_targetILNS1_3genE3ELNS1_11target_archE908ELNS1_3gpuE7ELNS1_3repE0EEENS1_36merge_oddeven_config_static_selectorELNS0_4arch9wavefront6targetE1EEEvSH_,"axG",@progbits,_ZN7rocprim17ROCPRIM_400000_NS6detail17trampoline_kernelINS0_14default_configENS1_38merge_sort_block_merge_config_selectorIhlEEZZNS1_27merge_sort_block_merge_implIS3_PhN6thrust23THRUST_200600_302600_NS10device_ptrIlEEjNS1_19radix_merge_compareILb0ELb1EhNS0_19identity_decomposerEEEEE10hipError_tT0_T1_T2_jT3_P12ihipStream_tbPNSt15iterator_traitsISG_E10value_typeEPNSM_ISH_E10value_typeEPSI_NS1_7vsmem_tEENKUlT_SG_SH_SI_E_clIS7_S7_PlSB_EESF_SV_SG_SH_SI_EUlSV_E1_NS1_11comp_targetILNS1_3genE3ELNS1_11target_archE908ELNS1_3gpuE7ELNS1_3repE0EEENS1_36merge_oddeven_config_static_selectorELNS0_4arch9wavefront6targetE1EEEvSH_,comdat
.Lfunc_end209:
	.size	_ZN7rocprim17ROCPRIM_400000_NS6detail17trampoline_kernelINS0_14default_configENS1_38merge_sort_block_merge_config_selectorIhlEEZZNS1_27merge_sort_block_merge_implIS3_PhN6thrust23THRUST_200600_302600_NS10device_ptrIlEEjNS1_19radix_merge_compareILb0ELb1EhNS0_19identity_decomposerEEEEE10hipError_tT0_T1_T2_jT3_P12ihipStream_tbPNSt15iterator_traitsISG_E10value_typeEPNSM_ISH_E10value_typeEPSI_NS1_7vsmem_tEENKUlT_SG_SH_SI_E_clIS7_S7_PlSB_EESF_SV_SG_SH_SI_EUlSV_E1_NS1_11comp_targetILNS1_3genE3ELNS1_11target_archE908ELNS1_3gpuE7ELNS1_3repE0EEENS1_36merge_oddeven_config_static_selectorELNS0_4arch9wavefront6targetE1EEEvSH_, .Lfunc_end209-_ZN7rocprim17ROCPRIM_400000_NS6detail17trampoline_kernelINS0_14default_configENS1_38merge_sort_block_merge_config_selectorIhlEEZZNS1_27merge_sort_block_merge_implIS3_PhN6thrust23THRUST_200600_302600_NS10device_ptrIlEEjNS1_19radix_merge_compareILb0ELb1EhNS0_19identity_decomposerEEEEE10hipError_tT0_T1_T2_jT3_P12ihipStream_tbPNSt15iterator_traitsISG_E10value_typeEPNSM_ISH_E10value_typeEPSI_NS1_7vsmem_tEENKUlT_SG_SH_SI_E_clIS7_S7_PlSB_EESF_SV_SG_SH_SI_EUlSV_E1_NS1_11comp_targetILNS1_3genE3ELNS1_11target_archE908ELNS1_3gpuE7ELNS1_3repE0EEENS1_36merge_oddeven_config_static_selectorELNS0_4arch9wavefront6targetE1EEEvSH_
                                        ; -- End function
	.section	.AMDGPU.csdata,"",@progbits
; Kernel info:
; codeLenInByte = 0
; NumSgprs: 4
; NumVgprs: 0
; NumAgprs: 0
; TotalNumVgprs: 0
; ScratchSize: 0
; MemoryBound: 0
; FloatMode: 240
; IeeeMode: 1
; LDSByteSize: 0 bytes/workgroup (compile time only)
; SGPRBlocks: 0
; VGPRBlocks: 0
; NumSGPRsForWavesPerEU: 4
; NumVGPRsForWavesPerEU: 1
; AccumOffset: 4
; Occupancy: 8
; WaveLimiterHint : 0
; COMPUTE_PGM_RSRC2:SCRATCH_EN: 0
; COMPUTE_PGM_RSRC2:USER_SGPR: 6
; COMPUTE_PGM_RSRC2:TRAP_HANDLER: 0
; COMPUTE_PGM_RSRC2:TGID_X_EN: 1
; COMPUTE_PGM_RSRC2:TGID_Y_EN: 0
; COMPUTE_PGM_RSRC2:TGID_Z_EN: 0
; COMPUTE_PGM_RSRC2:TIDIG_COMP_CNT: 0
; COMPUTE_PGM_RSRC3_GFX90A:ACCUM_OFFSET: 0
; COMPUTE_PGM_RSRC3_GFX90A:TG_SPLIT: 0
	.section	.text._ZN7rocprim17ROCPRIM_400000_NS6detail17trampoline_kernelINS0_14default_configENS1_38merge_sort_block_merge_config_selectorIhlEEZZNS1_27merge_sort_block_merge_implIS3_PhN6thrust23THRUST_200600_302600_NS10device_ptrIlEEjNS1_19radix_merge_compareILb0ELb1EhNS0_19identity_decomposerEEEEE10hipError_tT0_T1_T2_jT3_P12ihipStream_tbPNSt15iterator_traitsISG_E10value_typeEPNSM_ISH_E10value_typeEPSI_NS1_7vsmem_tEENKUlT_SG_SH_SI_E_clIS7_S7_PlSB_EESF_SV_SG_SH_SI_EUlSV_E1_NS1_11comp_targetILNS1_3genE2ELNS1_11target_archE906ELNS1_3gpuE6ELNS1_3repE0EEENS1_36merge_oddeven_config_static_selectorELNS0_4arch9wavefront6targetE1EEEvSH_,"axG",@progbits,_ZN7rocprim17ROCPRIM_400000_NS6detail17trampoline_kernelINS0_14default_configENS1_38merge_sort_block_merge_config_selectorIhlEEZZNS1_27merge_sort_block_merge_implIS3_PhN6thrust23THRUST_200600_302600_NS10device_ptrIlEEjNS1_19radix_merge_compareILb0ELb1EhNS0_19identity_decomposerEEEEE10hipError_tT0_T1_T2_jT3_P12ihipStream_tbPNSt15iterator_traitsISG_E10value_typeEPNSM_ISH_E10value_typeEPSI_NS1_7vsmem_tEENKUlT_SG_SH_SI_E_clIS7_S7_PlSB_EESF_SV_SG_SH_SI_EUlSV_E1_NS1_11comp_targetILNS1_3genE2ELNS1_11target_archE906ELNS1_3gpuE6ELNS1_3repE0EEENS1_36merge_oddeven_config_static_selectorELNS0_4arch9wavefront6targetE1EEEvSH_,comdat
	.protected	_ZN7rocprim17ROCPRIM_400000_NS6detail17trampoline_kernelINS0_14default_configENS1_38merge_sort_block_merge_config_selectorIhlEEZZNS1_27merge_sort_block_merge_implIS3_PhN6thrust23THRUST_200600_302600_NS10device_ptrIlEEjNS1_19radix_merge_compareILb0ELb1EhNS0_19identity_decomposerEEEEE10hipError_tT0_T1_T2_jT3_P12ihipStream_tbPNSt15iterator_traitsISG_E10value_typeEPNSM_ISH_E10value_typeEPSI_NS1_7vsmem_tEENKUlT_SG_SH_SI_E_clIS7_S7_PlSB_EESF_SV_SG_SH_SI_EUlSV_E1_NS1_11comp_targetILNS1_3genE2ELNS1_11target_archE906ELNS1_3gpuE6ELNS1_3repE0EEENS1_36merge_oddeven_config_static_selectorELNS0_4arch9wavefront6targetE1EEEvSH_ ; -- Begin function _ZN7rocprim17ROCPRIM_400000_NS6detail17trampoline_kernelINS0_14default_configENS1_38merge_sort_block_merge_config_selectorIhlEEZZNS1_27merge_sort_block_merge_implIS3_PhN6thrust23THRUST_200600_302600_NS10device_ptrIlEEjNS1_19radix_merge_compareILb0ELb1EhNS0_19identity_decomposerEEEEE10hipError_tT0_T1_T2_jT3_P12ihipStream_tbPNSt15iterator_traitsISG_E10value_typeEPNSM_ISH_E10value_typeEPSI_NS1_7vsmem_tEENKUlT_SG_SH_SI_E_clIS7_S7_PlSB_EESF_SV_SG_SH_SI_EUlSV_E1_NS1_11comp_targetILNS1_3genE2ELNS1_11target_archE906ELNS1_3gpuE6ELNS1_3repE0EEENS1_36merge_oddeven_config_static_selectorELNS0_4arch9wavefront6targetE1EEEvSH_
	.globl	_ZN7rocprim17ROCPRIM_400000_NS6detail17trampoline_kernelINS0_14default_configENS1_38merge_sort_block_merge_config_selectorIhlEEZZNS1_27merge_sort_block_merge_implIS3_PhN6thrust23THRUST_200600_302600_NS10device_ptrIlEEjNS1_19radix_merge_compareILb0ELb1EhNS0_19identity_decomposerEEEEE10hipError_tT0_T1_T2_jT3_P12ihipStream_tbPNSt15iterator_traitsISG_E10value_typeEPNSM_ISH_E10value_typeEPSI_NS1_7vsmem_tEENKUlT_SG_SH_SI_E_clIS7_S7_PlSB_EESF_SV_SG_SH_SI_EUlSV_E1_NS1_11comp_targetILNS1_3genE2ELNS1_11target_archE906ELNS1_3gpuE6ELNS1_3repE0EEENS1_36merge_oddeven_config_static_selectorELNS0_4arch9wavefront6targetE1EEEvSH_
	.p2align	8
	.type	_ZN7rocprim17ROCPRIM_400000_NS6detail17trampoline_kernelINS0_14default_configENS1_38merge_sort_block_merge_config_selectorIhlEEZZNS1_27merge_sort_block_merge_implIS3_PhN6thrust23THRUST_200600_302600_NS10device_ptrIlEEjNS1_19radix_merge_compareILb0ELb1EhNS0_19identity_decomposerEEEEE10hipError_tT0_T1_T2_jT3_P12ihipStream_tbPNSt15iterator_traitsISG_E10value_typeEPNSM_ISH_E10value_typeEPSI_NS1_7vsmem_tEENKUlT_SG_SH_SI_E_clIS7_S7_PlSB_EESF_SV_SG_SH_SI_EUlSV_E1_NS1_11comp_targetILNS1_3genE2ELNS1_11target_archE906ELNS1_3gpuE6ELNS1_3repE0EEENS1_36merge_oddeven_config_static_selectorELNS0_4arch9wavefront6targetE1EEEvSH_,@function
_ZN7rocprim17ROCPRIM_400000_NS6detail17trampoline_kernelINS0_14default_configENS1_38merge_sort_block_merge_config_selectorIhlEEZZNS1_27merge_sort_block_merge_implIS3_PhN6thrust23THRUST_200600_302600_NS10device_ptrIlEEjNS1_19radix_merge_compareILb0ELb1EhNS0_19identity_decomposerEEEEE10hipError_tT0_T1_T2_jT3_P12ihipStream_tbPNSt15iterator_traitsISG_E10value_typeEPNSM_ISH_E10value_typeEPSI_NS1_7vsmem_tEENKUlT_SG_SH_SI_E_clIS7_S7_PlSB_EESF_SV_SG_SH_SI_EUlSV_E1_NS1_11comp_targetILNS1_3genE2ELNS1_11target_archE906ELNS1_3gpuE6ELNS1_3repE0EEENS1_36merge_oddeven_config_static_selectorELNS0_4arch9wavefront6targetE1EEEvSH_: ; @_ZN7rocprim17ROCPRIM_400000_NS6detail17trampoline_kernelINS0_14default_configENS1_38merge_sort_block_merge_config_selectorIhlEEZZNS1_27merge_sort_block_merge_implIS3_PhN6thrust23THRUST_200600_302600_NS10device_ptrIlEEjNS1_19radix_merge_compareILb0ELb1EhNS0_19identity_decomposerEEEEE10hipError_tT0_T1_T2_jT3_P12ihipStream_tbPNSt15iterator_traitsISG_E10value_typeEPNSM_ISH_E10value_typeEPSI_NS1_7vsmem_tEENKUlT_SG_SH_SI_E_clIS7_S7_PlSB_EESF_SV_SG_SH_SI_EUlSV_E1_NS1_11comp_targetILNS1_3genE2ELNS1_11target_archE906ELNS1_3gpuE6ELNS1_3repE0EEENS1_36merge_oddeven_config_static_selectorELNS0_4arch9wavefront6targetE1EEEvSH_
; %bb.0:
	.section	.rodata,"a",@progbits
	.p2align	6, 0x0
	.amdhsa_kernel _ZN7rocprim17ROCPRIM_400000_NS6detail17trampoline_kernelINS0_14default_configENS1_38merge_sort_block_merge_config_selectorIhlEEZZNS1_27merge_sort_block_merge_implIS3_PhN6thrust23THRUST_200600_302600_NS10device_ptrIlEEjNS1_19radix_merge_compareILb0ELb1EhNS0_19identity_decomposerEEEEE10hipError_tT0_T1_T2_jT3_P12ihipStream_tbPNSt15iterator_traitsISG_E10value_typeEPNSM_ISH_E10value_typeEPSI_NS1_7vsmem_tEENKUlT_SG_SH_SI_E_clIS7_S7_PlSB_EESF_SV_SG_SH_SI_EUlSV_E1_NS1_11comp_targetILNS1_3genE2ELNS1_11target_archE906ELNS1_3gpuE6ELNS1_3repE0EEENS1_36merge_oddeven_config_static_selectorELNS0_4arch9wavefront6targetE1EEEvSH_
		.amdhsa_group_segment_fixed_size 0
		.amdhsa_private_segment_fixed_size 0
		.amdhsa_kernarg_size 48
		.amdhsa_user_sgpr_count 6
		.amdhsa_user_sgpr_private_segment_buffer 1
		.amdhsa_user_sgpr_dispatch_ptr 0
		.amdhsa_user_sgpr_queue_ptr 0
		.amdhsa_user_sgpr_kernarg_segment_ptr 1
		.amdhsa_user_sgpr_dispatch_id 0
		.amdhsa_user_sgpr_flat_scratch_init 0
		.amdhsa_user_sgpr_kernarg_preload_length 0
		.amdhsa_user_sgpr_kernarg_preload_offset 0
		.amdhsa_user_sgpr_private_segment_size 0
		.amdhsa_uses_dynamic_stack 0
		.amdhsa_system_sgpr_private_segment_wavefront_offset 0
		.amdhsa_system_sgpr_workgroup_id_x 1
		.amdhsa_system_sgpr_workgroup_id_y 0
		.amdhsa_system_sgpr_workgroup_id_z 0
		.amdhsa_system_sgpr_workgroup_info 0
		.amdhsa_system_vgpr_workitem_id 0
		.amdhsa_next_free_vgpr 1
		.amdhsa_next_free_sgpr 0
		.amdhsa_accum_offset 4
		.amdhsa_reserve_vcc 0
		.amdhsa_reserve_flat_scratch 0
		.amdhsa_float_round_mode_32 0
		.amdhsa_float_round_mode_16_64 0
		.amdhsa_float_denorm_mode_32 3
		.amdhsa_float_denorm_mode_16_64 3
		.amdhsa_dx10_clamp 1
		.amdhsa_ieee_mode 1
		.amdhsa_fp16_overflow 0
		.amdhsa_tg_split 0
		.amdhsa_exception_fp_ieee_invalid_op 0
		.amdhsa_exception_fp_denorm_src 0
		.amdhsa_exception_fp_ieee_div_zero 0
		.amdhsa_exception_fp_ieee_overflow 0
		.amdhsa_exception_fp_ieee_underflow 0
		.amdhsa_exception_fp_ieee_inexact 0
		.amdhsa_exception_int_div_zero 0
	.end_amdhsa_kernel
	.section	.text._ZN7rocprim17ROCPRIM_400000_NS6detail17trampoline_kernelINS0_14default_configENS1_38merge_sort_block_merge_config_selectorIhlEEZZNS1_27merge_sort_block_merge_implIS3_PhN6thrust23THRUST_200600_302600_NS10device_ptrIlEEjNS1_19radix_merge_compareILb0ELb1EhNS0_19identity_decomposerEEEEE10hipError_tT0_T1_T2_jT3_P12ihipStream_tbPNSt15iterator_traitsISG_E10value_typeEPNSM_ISH_E10value_typeEPSI_NS1_7vsmem_tEENKUlT_SG_SH_SI_E_clIS7_S7_PlSB_EESF_SV_SG_SH_SI_EUlSV_E1_NS1_11comp_targetILNS1_3genE2ELNS1_11target_archE906ELNS1_3gpuE6ELNS1_3repE0EEENS1_36merge_oddeven_config_static_selectorELNS0_4arch9wavefront6targetE1EEEvSH_,"axG",@progbits,_ZN7rocprim17ROCPRIM_400000_NS6detail17trampoline_kernelINS0_14default_configENS1_38merge_sort_block_merge_config_selectorIhlEEZZNS1_27merge_sort_block_merge_implIS3_PhN6thrust23THRUST_200600_302600_NS10device_ptrIlEEjNS1_19radix_merge_compareILb0ELb1EhNS0_19identity_decomposerEEEEE10hipError_tT0_T1_T2_jT3_P12ihipStream_tbPNSt15iterator_traitsISG_E10value_typeEPNSM_ISH_E10value_typeEPSI_NS1_7vsmem_tEENKUlT_SG_SH_SI_E_clIS7_S7_PlSB_EESF_SV_SG_SH_SI_EUlSV_E1_NS1_11comp_targetILNS1_3genE2ELNS1_11target_archE906ELNS1_3gpuE6ELNS1_3repE0EEENS1_36merge_oddeven_config_static_selectorELNS0_4arch9wavefront6targetE1EEEvSH_,comdat
.Lfunc_end210:
	.size	_ZN7rocprim17ROCPRIM_400000_NS6detail17trampoline_kernelINS0_14default_configENS1_38merge_sort_block_merge_config_selectorIhlEEZZNS1_27merge_sort_block_merge_implIS3_PhN6thrust23THRUST_200600_302600_NS10device_ptrIlEEjNS1_19radix_merge_compareILb0ELb1EhNS0_19identity_decomposerEEEEE10hipError_tT0_T1_T2_jT3_P12ihipStream_tbPNSt15iterator_traitsISG_E10value_typeEPNSM_ISH_E10value_typeEPSI_NS1_7vsmem_tEENKUlT_SG_SH_SI_E_clIS7_S7_PlSB_EESF_SV_SG_SH_SI_EUlSV_E1_NS1_11comp_targetILNS1_3genE2ELNS1_11target_archE906ELNS1_3gpuE6ELNS1_3repE0EEENS1_36merge_oddeven_config_static_selectorELNS0_4arch9wavefront6targetE1EEEvSH_, .Lfunc_end210-_ZN7rocprim17ROCPRIM_400000_NS6detail17trampoline_kernelINS0_14default_configENS1_38merge_sort_block_merge_config_selectorIhlEEZZNS1_27merge_sort_block_merge_implIS3_PhN6thrust23THRUST_200600_302600_NS10device_ptrIlEEjNS1_19radix_merge_compareILb0ELb1EhNS0_19identity_decomposerEEEEE10hipError_tT0_T1_T2_jT3_P12ihipStream_tbPNSt15iterator_traitsISG_E10value_typeEPNSM_ISH_E10value_typeEPSI_NS1_7vsmem_tEENKUlT_SG_SH_SI_E_clIS7_S7_PlSB_EESF_SV_SG_SH_SI_EUlSV_E1_NS1_11comp_targetILNS1_3genE2ELNS1_11target_archE906ELNS1_3gpuE6ELNS1_3repE0EEENS1_36merge_oddeven_config_static_selectorELNS0_4arch9wavefront6targetE1EEEvSH_
                                        ; -- End function
	.section	.AMDGPU.csdata,"",@progbits
; Kernel info:
; codeLenInByte = 0
; NumSgprs: 4
; NumVgprs: 0
; NumAgprs: 0
; TotalNumVgprs: 0
; ScratchSize: 0
; MemoryBound: 0
; FloatMode: 240
; IeeeMode: 1
; LDSByteSize: 0 bytes/workgroup (compile time only)
; SGPRBlocks: 0
; VGPRBlocks: 0
; NumSGPRsForWavesPerEU: 4
; NumVGPRsForWavesPerEU: 1
; AccumOffset: 4
; Occupancy: 8
; WaveLimiterHint : 0
; COMPUTE_PGM_RSRC2:SCRATCH_EN: 0
; COMPUTE_PGM_RSRC2:USER_SGPR: 6
; COMPUTE_PGM_RSRC2:TRAP_HANDLER: 0
; COMPUTE_PGM_RSRC2:TGID_X_EN: 1
; COMPUTE_PGM_RSRC2:TGID_Y_EN: 0
; COMPUTE_PGM_RSRC2:TGID_Z_EN: 0
; COMPUTE_PGM_RSRC2:TIDIG_COMP_CNT: 0
; COMPUTE_PGM_RSRC3_GFX90A:ACCUM_OFFSET: 0
; COMPUTE_PGM_RSRC3_GFX90A:TG_SPLIT: 0
	.section	.text._ZN7rocprim17ROCPRIM_400000_NS6detail17trampoline_kernelINS0_14default_configENS1_38merge_sort_block_merge_config_selectorIhlEEZZNS1_27merge_sort_block_merge_implIS3_PhN6thrust23THRUST_200600_302600_NS10device_ptrIlEEjNS1_19radix_merge_compareILb0ELb1EhNS0_19identity_decomposerEEEEE10hipError_tT0_T1_T2_jT3_P12ihipStream_tbPNSt15iterator_traitsISG_E10value_typeEPNSM_ISH_E10value_typeEPSI_NS1_7vsmem_tEENKUlT_SG_SH_SI_E_clIS7_S7_PlSB_EESF_SV_SG_SH_SI_EUlSV_E1_NS1_11comp_targetILNS1_3genE9ELNS1_11target_archE1100ELNS1_3gpuE3ELNS1_3repE0EEENS1_36merge_oddeven_config_static_selectorELNS0_4arch9wavefront6targetE1EEEvSH_,"axG",@progbits,_ZN7rocprim17ROCPRIM_400000_NS6detail17trampoline_kernelINS0_14default_configENS1_38merge_sort_block_merge_config_selectorIhlEEZZNS1_27merge_sort_block_merge_implIS3_PhN6thrust23THRUST_200600_302600_NS10device_ptrIlEEjNS1_19radix_merge_compareILb0ELb1EhNS0_19identity_decomposerEEEEE10hipError_tT0_T1_T2_jT3_P12ihipStream_tbPNSt15iterator_traitsISG_E10value_typeEPNSM_ISH_E10value_typeEPSI_NS1_7vsmem_tEENKUlT_SG_SH_SI_E_clIS7_S7_PlSB_EESF_SV_SG_SH_SI_EUlSV_E1_NS1_11comp_targetILNS1_3genE9ELNS1_11target_archE1100ELNS1_3gpuE3ELNS1_3repE0EEENS1_36merge_oddeven_config_static_selectorELNS0_4arch9wavefront6targetE1EEEvSH_,comdat
	.protected	_ZN7rocprim17ROCPRIM_400000_NS6detail17trampoline_kernelINS0_14default_configENS1_38merge_sort_block_merge_config_selectorIhlEEZZNS1_27merge_sort_block_merge_implIS3_PhN6thrust23THRUST_200600_302600_NS10device_ptrIlEEjNS1_19radix_merge_compareILb0ELb1EhNS0_19identity_decomposerEEEEE10hipError_tT0_T1_T2_jT3_P12ihipStream_tbPNSt15iterator_traitsISG_E10value_typeEPNSM_ISH_E10value_typeEPSI_NS1_7vsmem_tEENKUlT_SG_SH_SI_E_clIS7_S7_PlSB_EESF_SV_SG_SH_SI_EUlSV_E1_NS1_11comp_targetILNS1_3genE9ELNS1_11target_archE1100ELNS1_3gpuE3ELNS1_3repE0EEENS1_36merge_oddeven_config_static_selectorELNS0_4arch9wavefront6targetE1EEEvSH_ ; -- Begin function _ZN7rocprim17ROCPRIM_400000_NS6detail17trampoline_kernelINS0_14default_configENS1_38merge_sort_block_merge_config_selectorIhlEEZZNS1_27merge_sort_block_merge_implIS3_PhN6thrust23THRUST_200600_302600_NS10device_ptrIlEEjNS1_19radix_merge_compareILb0ELb1EhNS0_19identity_decomposerEEEEE10hipError_tT0_T1_T2_jT3_P12ihipStream_tbPNSt15iterator_traitsISG_E10value_typeEPNSM_ISH_E10value_typeEPSI_NS1_7vsmem_tEENKUlT_SG_SH_SI_E_clIS7_S7_PlSB_EESF_SV_SG_SH_SI_EUlSV_E1_NS1_11comp_targetILNS1_3genE9ELNS1_11target_archE1100ELNS1_3gpuE3ELNS1_3repE0EEENS1_36merge_oddeven_config_static_selectorELNS0_4arch9wavefront6targetE1EEEvSH_
	.globl	_ZN7rocprim17ROCPRIM_400000_NS6detail17trampoline_kernelINS0_14default_configENS1_38merge_sort_block_merge_config_selectorIhlEEZZNS1_27merge_sort_block_merge_implIS3_PhN6thrust23THRUST_200600_302600_NS10device_ptrIlEEjNS1_19radix_merge_compareILb0ELb1EhNS0_19identity_decomposerEEEEE10hipError_tT0_T1_T2_jT3_P12ihipStream_tbPNSt15iterator_traitsISG_E10value_typeEPNSM_ISH_E10value_typeEPSI_NS1_7vsmem_tEENKUlT_SG_SH_SI_E_clIS7_S7_PlSB_EESF_SV_SG_SH_SI_EUlSV_E1_NS1_11comp_targetILNS1_3genE9ELNS1_11target_archE1100ELNS1_3gpuE3ELNS1_3repE0EEENS1_36merge_oddeven_config_static_selectorELNS0_4arch9wavefront6targetE1EEEvSH_
	.p2align	8
	.type	_ZN7rocprim17ROCPRIM_400000_NS6detail17trampoline_kernelINS0_14default_configENS1_38merge_sort_block_merge_config_selectorIhlEEZZNS1_27merge_sort_block_merge_implIS3_PhN6thrust23THRUST_200600_302600_NS10device_ptrIlEEjNS1_19radix_merge_compareILb0ELb1EhNS0_19identity_decomposerEEEEE10hipError_tT0_T1_T2_jT3_P12ihipStream_tbPNSt15iterator_traitsISG_E10value_typeEPNSM_ISH_E10value_typeEPSI_NS1_7vsmem_tEENKUlT_SG_SH_SI_E_clIS7_S7_PlSB_EESF_SV_SG_SH_SI_EUlSV_E1_NS1_11comp_targetILNS1_3genE9ELNS1_11target_archE1100ELNS1_3gpuE3ELNS1_3repE0EEENS1_36merge_oddeven_config_static_selectorELNS0_4arch9wavefront6targetE1EEEvSH_,@function
_ZN7rocprim17ROCPRIM_400000_NS6detail17trampoline_kernelINS0_14default_configENS1_38merge_sort_block_merge_config_selectorIhlEEZZNS1_27merge_sort_block_merge_implIS3_PhN6thrust23THRUST_200600_302600_NS10device_ptrIlEEjNS1_19radix_merge_compareILb0ELb1EhNS0_19identity_decomposerEEEEE10hipError_tT0_T1_T2_jT3_P12ihipStream_tbPNSt15iterator_traitsISG_E10value_typeEPNSM_ISH_E10value_typeEPSI_NS1_7vsmem_tEENKUlT_SG_SH_SI_E_clIS7_S7_PlSB_EESF_SV_SG_SH_SI_EUlSV_E1_NS1_11comp_targetILNS1_3genE9ELNS1_11target_archE1100ELNS1_3gpuE3ELNS1_3repE0EEENS1_36merge_oddeven_config_static_selectorELNS0_4arch9wavefront6targetE1EEEvSH_: ; @_ZN7rocprim17ROCPRIM_400000_NS6detail17trampoline_kernelINS0_14default_configENS1_38merge_sort_block_merge_config_selectorIhlEEZZNS1_27merge_sort_block_merge_implIS3_PhN6thrust23THRUST_200600_302600_NS10device_ptrIlEEjNS1_19radix_merge_compareILb0ELb1EhNS0_19identity_decomposerEEEEE10hipError_tT0_T1_T2_jT3_P12ihipStream_tbPNSt15iterator_traitsISG_E10value_typeEPNSM_ISH_E10value_typeEPSI_NS1_7vsmem_tEENKUlT_SG_SH_SI_E_clIS7_S7_PlSB_EESF_SV_SG_SH_SI_EUlSV_E1_NS1_11comp_targetILNS1_3genE9ELNS1_11target_archE1100ELNS1_3gpuE3ELNS1_3repE0EEENS1_36merge_oddeven_config_static_selectorELNS0_4arch9wavefront6targetE1EEEvSH_
; %bb.0:
	.section	.rodata,"a",@progbits
	.p2align	6, 0x0
	.amdhsa_kernel _ZN7rocprim17ROCPRIM_400000_NS6detail17trampoline_kernelINS0_14default_configENS1_38merge_sort_block_merge_config_selectorIhlEEZZNS1_27merge_sort_block_merge_implIS3_PhN6thrust23THRUST_200600_302600_NS10device_ptrIlEEjNS1_19radix_merge_compareILb0ELb1EhNS0_19identity_decomposerEEEEE10hipError_tT0_T1_T2_jT3_P12ihipStream_tbPNSt15iterator_traitsISG_E10value_typeEPNSM_ISH_E10value_typeEPSI_NS1_7vsmem_tEENKUlT_SG_SH_SI_E_clIS7_S7_PlSB_EESF_SV_SG_SH_SI_EUlSV_E1_NS1_11comp_targetILNS1_3genE9ELNS1_11target_archE1100ELNS1_3gpuE3ELNS1_3repE0EEENS1_36merge_oddeven_config_static_selectorELNS0_4arch9wavefront6targetE1EEEvSH_
		.amdhsa_group_segment_fixed_size 0
		.amdhsa_private_segment_fixed_size 0
		.amdhsa_kernarg_size 48
		.amdhsa_user_sgpr_count 6
		.amdhsa_user_sgpr_private_segment_buffer 1
		.amdhsa_user_sgpr_dispatch_ptr 0
		.amdhsa_user_sgpr_queue_ptr 0
		.amdhsa_user_sgpr_kernarg_segment_ptr 1
		.amdhsa_user_sgpr_dispatch_id 0
		.amdhsa_user_sgpr_flat_scratch_init 0
		.amdhsa_user_sgpr_kernarg_preload_length 0
		.amdhsa_user_sgpr_kernarg_preload_offset 0
		.amdhsa_user_sgpr_private_segment_size 0
		.amdhsa_uses_dynamic_stack 0
		.amdhsa_system_sgpr_private_segment_wavefront_offset 0
		.amdhsa_system_sgpr_workgroup_id_x 1
		.amdhsa_system_sgpr_workgroup_id_y 0
		.amdhsa_system_sgpr_workgroup_id_z 0
		.amdhsa_system_sgpr_workgroup_info 0
		.amdhsa_system_vgpr_workitem_id 0
		.amdhsa_next_free_vgpr 1
		.amdhsa_next_free_sgpr 0
		.amdhsa_accum_offset 4
		.amdhsa_reserve_vcc 0
		.amdhsa_reserve_flat_scratch 0
		.amdhsa_float_round_mode_32 0
		.amdhsa_float_round_mode_16_64 0
		.amdhsa_float_denorm_mode_32 3
		.amdhsa_float_denorm_mode_16_64 3
		.amdhsa_dx10_clamp 1
		.amdhsa_ieee_mode 1
		.amdhsa_fp16_overflow 0
		.amdhsa_tg_split 0
		.amdhsa_exception_fp_ieee_invalid_op 0
		.amdhsa_exception_fp_denorm_src 0
		.amdhsa_exception_fp_ieee_div_zero 0
		.amdhsa_exception_fp_ieee_overflow 0
		.amdhsa_exception_fp_ieee_underflow 0
		.amdhsa_exception_fp_ieee_inexact 0
		.amdhsa_exception_int_div_zero 0
	.end_amdhsa_kernel
	.section	.text._ZN7rocprim17ROCPRIM_400000_NS6detail17trampoline_kernelINS0_14default_configENS1_38merge_sort_block_merge_config_selectorIhlEEZZNS1_27merge_sort_block_merge_implIS3_PhN6thrust23THRUST_200600_302600_NS10device_ptrIlEEjNS1_19radix_merge_compareILb0ELb1EhNS0_19identity_decomposerEEEEE10hipError_tT0_T1_T2_jT3_P12ihipStream_tbPNSt15iterator_traitsISG_E10value_typeEPNSM_ISH_E10value_typeEPSI_NS1_7vsmem_tEENKUlT_SG_SH_SI_E_clIS7_S7_PlSB_EESF_SV_SG_SH_SI_EUlSV_E1_NS1_11comp_targetILNS1_3genE9ELNS1_11target_archE1100ELNS1_3gpuE3ELNS1_3repE0EEENS1_36merge_oddeven_config_static_selectorELNS0_4arch9wavefront6targetE1EEEvSH_,"axG",@progbits,_ZN7rocprim17ROCPRIM_400000_NS6detail17trampoline_kernelINS0_14default_configENS1_38merge_sort_block_merge_config_selectorIhlEEZZNS1_27merge_sort_block_merge_implIS3_PhN6thrust23THRUST_200600_302600_NS10device_ptrIlEEjNS1_19radix_merge_compareILb0ELb1EhNS0_19identity_decomposerEEEEE10hipError_tT0_T1_T2_jT3_P12ihipStream_tbPNSt15iterator_traitsISG_E10value_typeEPNSM_ISH_E10value_typeEPSI_NS1_7vsmem_tEENKUlT_SG_SH_SI_E_clIS7_S7_PlSB_EESF_SV_SG_SH_SI_EUlSV_E1_NS1_11comp_targetILNS1_3genE9ELNS1_11target_archE1100ELNS1_3gpuE3ELNS1_3repE0EEENS1_36merge_oddeven_config_static_selectorELNS0_4arch9wavefront6targetE1EEEvSH_,comdat
.Lfunc_end211:
	.size	_ZN7rocprim17ROCPRIM_400000_NS6detail17trampoline_kernelINS0_14default_configENS1_38merge_sort_block_merge_config_selectorIhlEEZZNS1_27merge_sort_block_merge_implIS3_PhN6thrust23THRUST_200600_302600_NS10device_ptrIlEEjNS1_19radix_merge_compareILb0ELb1EhNS0_19identity_decomposerEEEEE10hipError_tT0_T1_T2_jT3_P12ihipStream_tbPNSt15iterator_traitsISG_E10value_typeEPNSM_ISH_E10value_typeEPSI_NS1_7vsmem_tEENKUlT_SG_SH_SI_E_clIS7_S7_PlSB_EESF_SV_SG_SH_SI_EUlSV_E1_NS1_11comp_targetILNS1_3genE9ELNS1_11target_archE1100ELNS1_3gpuE3ELNS1_3repE0EEENS1_36merge_oddeven_config_static_selectorELNS0_4arch9wavefront6targetE1EEEvSH_, .Lfunc_end211-_ZN7rocprim17ROCPRIM_400000_NS6detail17trampoline_kernelINS0_14default_configENS1_38merge_sort_block_merge_config_selectorIhlEEZZNS1_27merge_sort_block_merge_implIS3_PhN6thrust23THRUST_200600_302600_NS10device_ptrIlEEjNS1_19radix_merge_compareILb0ELb1EhNS0_19identity_decomposerEEEEE10hipError_tT0_T1_T2_jT3_P12ihipStream_tbPNSt15iterator_traitsISG_E10value_typeEPNSM_ISH_E10value_typeEPSI_NS1_7vsmem_tEENKUlT_SG_SH_SI_E_clIS7_S7_PlSB_EESF_SV_SG_SH_SI_EUlSV_E1_NS1_11comp_targetILNS1_3genE9ELNS1_11target_archE1100ELNS1_3gpuE3ELNS1_3repE0EEENS1_36merge_oddeven_config_static_selectorELNS0_4arch9wavefront6targetE1EEEvSH_
                                        ; -- End function
	.section	.AMDGPU.csdata,"",@progbits
; Kernel info:
; codeLenInByte = 0
; NumSgprs: 4
; NumVgprs: 0
; NumAgprs: 0
; TotalNumVgprs: 0
; ScratchSize: 0
; MemoryBound: 0
; FloatMode: 240
; IeeeMode: 1
; LDSByteSize: 0 bytes/workgroup (compile time only)
; SGPRBlocks: 0
; VGPRBlocks: 0
; NumSGPRsForWavesPerEU: 4
; NumVGPRsForWavesPerEU: 1
; AccumOffset: 4
; Occupancy: 8
; WaveLimiterHint : 0
; COMPUTE_PGM_RSRC2:SCRATCH_EN: 0
; COMPUTE_PGM_RSRC2:USER_SGPR: 6
; COMPUTE_PGM_RSRC2:TRAP_HANDLER: 0
; COMPUTE_PGM_RSRC2:TGID_X_EN: 1
; COMPUTE_PGM_RSRC2:TGID_Y_EN: 0
; COMPUTE_PGM_RSRC2:TGID_Z_EN: 0
; COMPUTE_PGM_RSRC2:TIDIG_COMP_CNT: 0
; COMPUTE_PGM_RSRC3_GFX90A:ACCUM_OFFSET: 0
; COMPUTE_PGM_RSRC3_GFX90A:TG_SPLIT: 0
	.section	.text._ZN7rocprim17ROCPRIM_400000_NS6detail17trampoline_kernelINS0_14default_configENS1_38merge_sort_block_merge_config_selectorIhlEEZZNS1_27merge_sort_block_merge_implIS3_PhN6thrust23THRUST_200600_302600_NS10device_ptrIlEEjNS1_19radix_merge_compareILb0ELb1EhNS0_19identity_decomposerEEEEE10hipError_tT0_T1_T2_jT3_P12ihipStream_tbPNSt15iterator_traitsISG_E10value_typeEPNSM_ISH_E10value_typeEPSI_NS1_7vsmem_tEENKUlT_SG_SH_SI_E_clIS7_S7_PlSB_EESF_SV_SG_SH_SI_EUlSV_E1_NS1_11comp_targetILNS1_3genE8ELNS1_11target_archE1030ELNS1_3gpuE2ELNS1_3repE0EEENS1_36merge_oddeven_config_static_selectorELNS0_4arch9wavefront6targetE1EEEvSH_,"axG",@progbits,_ZN7rocprim17ROCPRIM_400000_NS6detail17trampoline_kernelINS0_14default_configENS1_38merge_sort_block_merge_config_selectorIhlEEZZNS1_27merge_sort_block_merge_implIS3_PhN6thrust23THRUST_200600_302600_NS10device_ptrIlEEjNS1_19radix_merge_compareILb0ELb1EhNS0_19identity_decomposerEEEEE10hipError_tT0_T1_T2_jT3_P12ihipStream_tbPNSt15iterator_traitsISG_E10value_typeEPNSM_ISH_E10value_typeEPSI_NS1_7vsmem_tEENKUlT_SG_SH_SI_E_clIS7_S7_PlSB_EESF_SV_SG_SH_SI_EUlSV_E1_NS1_11comp_targetILNS1_3genE8ELNS1_11target_archE1030ELNS1_3gpuE2ELNS1_3repE0EEENS1_36merge_oddeven_config_static_selectorELNS0_4arch9wavefront6targetE1EEEvSH_,comdat
	.protected	_ZN7rocprim17ROCPRIM_400000_NS6detail17trampoline_kernelINS0_14default_configENS1_38merge_sort_block_merge_config_selectorIhlEEZZNS1_27merge_sort_block_merge_implIS3_PhN6thrust23THRUST_200600_302600_NS10device_ptrIlEEjNS1_19radix_merge_compareILb0ELb1EhNS0_19identity_decomposerEEEEE10hipError_tT0_T1_T2_jT3_P12ihipStream_tbPNSt15iterator_traitsISG_E10value_typeEPNSM_ISH_E10value_typeEPSI_NS1_7vsmem_tEENKUlT_SG_SH_SI_E_clIS7_S7_PlSB_EESF_SV_SG_SH_SI_EUlSV_E1_NS1_11comp_targetILNS1_3genE8ELNS1_11target_archE1030ELNS1_3gpuE2ELNS1_3repE0EEENS1_36merge_oddeven_config_static_selectorELNS0_4arch9wavefront6targetE1EEEvSH_ ; -- Begin function _ZN7rocprim17ROCPRIM_400000_NS6detail17trampoline_kernelINS0_14default_configENS1_38merge_sort_block_merge_config_selectorIhlEEZZNS1_27merge_sort_block_merge_implIS3_PhN6thrust23THRUST_200600_302600_NS10device_ptrIlEEjNS1_19radix_merge_compareILb0ELb1EhNS0_19identity_decomposerEEEEE10hipError_tT0_T1_T2_jT3_P12ihipStream_tbPNSt15iterator_traitsISG_E10value_typeEPNSM_ISH_E10value_typeEPSI_NS1_7vsmem_tEENKUlT_SG_SH_SI_E_clIS7_S7_PlSB_EESF_SV_SG_SH_SI_EUlSV_E1_NS1_11comp_targetILNS1_3genE8ELNS1_11target_archE1030ELNS1_3gpuE2ELNS1_3repE0EEENS1_36merge_oddeven_config_static_selectorELNS0_4arch9wavefront6targetE1EEEvSH_
	.globl	_ZN7rocprim17ROCPRIM_400000_NS6detail17trampoline_kernelINS0_14default_configENS1_38merge_sort_block_merge_config_selectorIhlEEZZNS1_27merge_sort_block_merge_implIS3_PhN6thrust23THRUST_200600_302600_NS10device_ptrIlEEjNS1_19radix_merge_compareILb0ELb1EhNS0_19identity_decomposerEEEEE10hipError_tT0_T1_T2_jT3_P12ihipStream_tbPNSt15iterator_traitsISG_E10value_typeEPNSM_ISH_E10value_typeEPSI_NS1_7vsmem_tEENKUlT_SG_SH_SI_E_clIS7_S7_PlSB_EESF_SV_SG_SH_SI_EUlSV_E1_NS1_11comp_targetILNS1_3genE8ELNS1_11target_archE1030ELNS1_3gpuE2ELNS1_3repE0EEENS1_36merge_oddeven_config_static_selectorELNS0_4arch9wavefront6targetE1EEEvSH_
	.p2align	8
	.type	_ZN7rocprim17ROCPRIM_400000_NS6detail17trampoline_kernelINS0_14default_configENS1_38merge_sort_block_merge_config_selectorIhlEEZZNS1_27merge_sort_block_merge_implIS3_PhN6thrust23THRUST_200600_302600_NS10device_ptrIlEEjNS1_19radix_merge_compareILb0ELb1EhNS0_19identity_decomposerEEEEE10hipError_tT0_T1_T2_jT3_P12ihipStream_tbPNSt15iterator_traitsISG_E10value_typeEPNSM_ISH_E10value_typeEPSI_NS1_7vsmem_tEENKUlT_SG_SH_SI_E_clIS7_S7_PlSB_EESF_SV_SG_SH_SI_EUlSV_E1_NS1_11comp_targetILNS1_3genE8ELNS1_11target_archE1030ELNS1_3gpuE2ELNS1_3repE0EEENS1_36merge_oddeven_config_static_selectorELNS0_4arch9wavefront6targetE1EEEvSH_,@function
_ZN7rocprim17ROCPRIM_400000_NS6detail17trampoline_kernelINS0_14default_configENS1_38merge_sort_block_merge_config_selectorIhlEEZZNS1_27merge_sort_block_merge_implIS3_PhN6thrust23THRUST_200600_302600_NS10device_ptrIlEEjNS1_19radix_merge_compareILb0ELb1EhNS0_19identity_decomposerEEEEE10hipError_tT0_T1_T2_jT3_P12ihipStream_tbPNSt15iterator_traitsISG_E10value_typeEPNSM_ISH_E10value_typeEPSI_NS1_7vsmem_tEENKUlT_SG_SH_SI_E_clIS7_S7_PlSB_EESF_SV_SG_SH_SI_EUlSV_E1_NS1_11comp_targetILNS1_3genE8ELNS1_11target_archE1030ELNS1_3gpuE2ELNS1_3repE0EEENS1_36merge_oddeven_config_static_selectorELNS0_4arch9wavefront6targetE1EEEvSH_: ; @_ZN7rocprim17ROCPRIM_400000_NS6detail17trampoline_kernelINS0_14default_configENS1_38merge_sort_block_merge_config_selectorIhlEEZZNS1_27merge_sort_block_merge_implIS3_PhN6thrust23THRUST_200600_302600_NS10device_ptrIlEEjNS1_19radix_merge_compareILb0ELb1EhNS0_19identity_decomposerEEEEE10hipError_tT0_T1_T2_jT3_P12ihipStream_tbPNSt15iterator_traitsISG_E10value_typeEPNSM_ISH_E10value_typeEPSI_NS1_7vsmem_tEENKUlT_SG_SH_SI_E_clIS7_S7_PlSB_EESF_SV_SG_SH_SI_EUlSV_E1_NS1_11comp_targetILNS1_3genE8ELNS1_11target_archE1030ELNS1_3gpuE2ELNS1_3repE0EEENS1_36merge_oddeven_config_static_selectorELNS0_4arch9wavefront6targetE1EEEvSH_
; %bb.0:
	.section	.rodata,"a",@progbits
	.p2align	6, 0x0
	.amdhsa_kernel _ZN7rocprim17ROCPRIM_400000_NS6detail17trampoline_kernelINS0_14default_configENS1_38merge_sort_block_merge_config_selectorIhlEEZZNS1_27merge_sort_block_merge_implIS3_PhN6thrust23THRUST_200600_302600_NS10device_ptrIlEEjNS1_19radix_merge_compareILb0ELb1EhNS0_19identity_decomposerEEEEE10hipError_tT0_T1_T2_jT3_P12ihipStream_tbPNSt15iterator_traitsISG_E10value_typeEPNSM_ISH_E10value_typeEPSI_NS1_7vsmem_tEENKUlT_SG_SH_SI_E_clIS7_S7_PlSB_EESF_SV_SG_SH_SI_EUlSV_E1_NS1_11comp_targetILNS1_3genE8ELNS1_11target_archE1030ELNS1_3gpuE2ELNS1_3repE0EEENS1_36merge_oddeven_config_static_selectorELNS0_4arch9wavefront6targetE1EEEvSH_
		.amdhsa_group_segment_fixed_size 0
		.amdhsa_private_segment_fixed_size 0
		.amdhsa_kernarg_size 48
		.amdhsa_user_sgpr_count 6
		.amdhsa_user_sgpr_private_segment_buffer 1
		.amdhsa_user_sgpr_dispatch_ptr 0
		.amdhsa_user_sgpr_queue_ptr 0
		.amdhsa_user_sgpr_kernarg_segment_ptr 1
		.amdhsa_user_sgpr_dispatch_id 0
		.amdhsa_user_sgpr_flat_scratch_init 0
		.amdhsa_user_sgpr_kernarg_preload_length 0
		.amdhsa_user_sgpr_kernarg_preload_offset 0
		.amdhsa_user_sgpr_private_segment_size 0
		.amdhsa_uses_dynamic_stack 0
		.amdhsa_system_sgpr_private_segment_wavefront_offset 0
		.amdhsa_system_sgpr_workgroup_id_x 1
		.amdhsa_system_sgpr_workgroup_id_y 0
		.amdhsa_system_sgpr_workgroup_id_z 0
		.amdhsa_system_sgpr_workgroup_info 0
		.amdhsa_system_vgpr_workitem_id 0
		.amdhsa_next_free_vgpr 1
		.amdhsa_next_free_sgpr 0
		.amdhsa_accum_offset 4
		.amdhsa_reserve_vcc 0
		.amdhsa_reserve_flat_scratch 0
		.amdhsa_float_round_mode_32 0
		.amdhsa_float_round_mode_16_64 0
		.amdhsa_float_denorm_mode_32 3
		.amdhsa_float_denorm_mode_16_64 3
		.amdhsa_dx10_clamp 1
		.amdhsa_ieee_mode 1
		.amdhsa_fp16_overflow 0
		.amdhsa_tg_split 0
		.amdhsa_exception_fp_ieee_invalid_op 0
		.amdhsa_exception_fp_denorm_src 0
		.amdhsa_exception_fp_ieee_div_zero 0
		.amdhsa_exception_fp_ieee_overflow 0
		.amdhsa_exception_fp_ieee_underflow 0
		.amdhsa_exception_fp_ieee_inexact 0
		.amdhsa_exception_int_div_zero 0
	.end_amdhsa_kernel
	.section	.text._ZN7rocprim17ROCPRIM_400000_NS6detail17trampoline_kernelINS0_14default_configENS1_38merge_sort_block_merge_config_selectorIhlEEZZNS1_27merge_sort_block_merge_implIS3_PhN6thrust23THRUST_200600_302600_NS10device_ptrIlEEjNS1_19radix_merge_compareILb0ELb1EhNS0_19identity_decomposerEEEEE10hipError_tT0_T1_T2_jT3_P12ihipStream_tbPNSt15iterator_traitsISG_E10value_typeEPNSM_ISH_E10value_typeEPSI_NS1_7vsmem_tEENKUlT_SG_SH_SI_E_clIS7_S7_PlSB_EESF_SV_SG_SH_SI_EUlSV_E1_NS1_11comp_targetILNS1_3genE8ELNS1_11target_archE1030ELNS1_3gpuE2ELNS1_3repE0EEENS1_36merge_oddeven_config_static_selectorELNS0_4arch9wavefront6targetE1EEEvSH_,"axG",@progbits,_ZN7rocprim17ROCPRIM_400000_NS6detail17trampoline_kernelINS0_14default_configENS1_38merge_sort_block_merge_config_selectorIhlEEZZNS1_27merge_sort_block_merge_implIS3_PhN6thrust23THRUST_200600_302600_NS10device_ptrIlEEjNS1_19radix_merge_compareILb0ELb1EhNS0_19identity_decomposerEEEEE10hipError_tT0_T1_T2_jT3_P12ihipStream_tbPNSt15iterator_traitsISG_E10value_typeEPNSM_ISH_E10value_typeEPSI_NS1_7vsmem_tEENKUlT_SG_SH_SI_E_clIS7_S7_PlSB_EESF_SV_SG_SH_SI_EUlSV_E1_NS1_11comp_targetILNS1_3genE8ELNS1_11target_archE1030ELNS1_3gpuE2ELNS1_3repE0EEENS1_36merge_oddeven_config_static_selectorELNS0_4arch9wavefront6targetE1EEEvSH_,comdat
.Lfunc_end212:
	.size	_ZN7rocprim17ROCPRIM_400000_NS6detail17trampoline_kernelINS0_14default_configENS1_38merge_sort_block_merge_config_selectorIhlEEZZNS1_27merge_sort_block_merge_implIS3_PhN6thrust23THRUST_200600_302600_NS10device_ptrIlEEjNS1_19radix_merge_compareILb0ELb1EhNS0_19identity_decomposerEEEEE10hipError_tT0_T1_T2_jT3_P12ihipStream_tbPNSt15iterator_traitsISG_E10value_typeEPNSM_ISH_E10value_typeEPSI_NS1_7vsmem_tEENKUlT_SG_SH_SI_E_clIS7_S7_PlSB_EESF_SV_SG_SH_SI_EUlSV_E1_NS1_11comp_targetILNS1_3genE8ELNS1_11target_archE1030ELNS1_3gpuE2ELNS1_3repE0EEENS1_36merge_oddeven_config_static_selectorELNS0_4arch9wavefront6targetE1EEEvSH_, .Lfunc_end212-_ZN7rocprim17ROCPRIM_400000_NS6detail17trampoline_kernelINS0_14default_configENS1_38merge_sort_block_merge_config_selectorIhlEEZZNS1_27merge_sort_block_merge_implIS3_PhN6thrust23THRUST_200600_302600_NS10device_ptrIlEEjNS1_19radix_merge_compareILb0ELb1EhNS0_19identity_decomposerEEEEE10hipError_tT0_T1_T2_jT3_P12ihipStream_tbPNSt15iterator_traitsISG_E10value_typeEPNSM_ISH_E10value_typeEPSI_NS1_7vsmem_tEENKUlT_SG_SH_SI_E_clIS7_S7_PlSB_EESF_SV_SG_SH_SI_EUlSV_E1_NS1_11comp_targetILNS1_3genE8ELNS1_11target_archE1030ELNS1_3gpuE2ELNS1_3repE0EEENS1_36merge_oddeven_config_static_selectorELNS0_4arch9wavefront6targetE1EEEvSH_
                                        ; -- End function
	.section	.AMDGPU.csdata,"",@progbits
; Kernel info:
; codeLenInByte = 0
; NumSgprs: 4
; NumVgprs: 0
; NumAgprs: 0
; TotalNumVgprs: 0
; ScratchSize: 0
; MemoryBound: 0
; FloatMode: 240
; IeeeMode: 1
; LDSByteSize: 0 bytes/workgroup (compile time only)
; SGPRBlocks: 0
; VGPRBlocks: 0
; NumSGPRsForWavesPerEU: 4
; NumVGPRsForWavesPerEU: 1
; AccumOffset: 4
; Occupancy: 8
; WaveLimiterHint : 0
; COMPUTE_PGM_RSRC2:SCRATCH_EN: 0
; COMPUTE_PGM_RSRC2:USER_SGPR: 6
; COMPUTE_PGM_RSRC2:TRAP_HANDLER: 0
; COMPUTE_PGM_RSRC2:TGID_X_EN: 1
; COMPUTE_PGM_RSRC2:TGID_Y_EN: 0
; COMPUTE_PGM_RSRC2:TGID_Z_EN: 0
; COMPUTE_PGM_RSRC2:TIDIG_COMP_CNT: 0
; COMPUTE_PGM_RSRC3_GFX90A:ACCUM_OFFSET: 0
; COMPUTE_PGM_RSRC3_GFX90A:TG_SPLIT: 0
	.section	.text._ZN7rocprim17ROCPRIM_400000_NS6detail17trampoline_kernelINS0_14default_configENS1_38merge_sort_block_merge_config_selectorIhlEEZZNS1_27merge_sort_block_merge_implIS3_PhN6thrust23THRUST_200600_302600_NS10device_ptrIlEEjNS1_19radix_merge_compareILb0ELb1EhNS0_19identity_decomposerEEEEE10hipError_tT0_T1_T2_jT3_P12ihipStream_tbPNSt15iterator_traitsISG_E10value_typeEPNSM_ISH_E10value_typeEPSI_NS1_7vsmem_tEENKUlT_SG_SH_SI_E_clIS7_S7_SB_PlEESF_SV_SG_SH_SI_EUlSV_E_NS1_11comp_targetILNS1_3genE0ELNS1_11target_archE4294967295ELNS1_3gpuE0ELNS1_3repE0EEENS1_48merge_mergepath_partition_config_static_selectorELNS0_4arch9wavefront6targetE1EEEvSH_,"axG",@progbits,_ZN7rocprim17ROCPRIM_400000_NS6detail17trampoline_kernelINS0_14default_configENS1_38merge_sort_block_merge_config_selectorIhlEEZZNS1_27merge_sort_block_merge_implIS3_PhN6thrust23THRUST_200600_302600_NS10device_ptrIlEEjNS1_19radix_merge_compareILb0ELb1EhNS0_19identity_decomposerEEEEE10hipError_tT0_T1_T2_jT3_P12ihipStream_tbPNSt15iterator_traitsISG_E10value_typeEPNSM_ISH_E10value_typeEPSI_NS1_7vsmem_tEENKUlT_SG_SH_SI_E_clIS7_S7_SB_PlEESF_SV_SG_SH_SI_EUlSV_E_NS1_11comp_targetILNS1_3genE0ELNS1_11target_archE4294967295ELNS1_3gpuE0ELNS1_3repE0EEENS1_48merge_mergepath_partition_config_static_selectorELNS0_4arch9wavefront6targetE1EEEvSH_,comdat
	.protected	_ZN7rocprim17ROCPRIM_400000_NS6detail17trampoline_kernelINS0_14default_configENS1_38merge_sort_block_merge_config_selectorIhlEEZZNS1_27merge_sort_block_merge_implIS3_PhN6thrust23THRUST_200600_302600_NS10device_ptrIlEEjNS1_19radix_merge_compareILb0ELb1EhNS0_19identity_decomposerEEEEE10hipError_tT0_T1_T2_jT3_P12ihipStream_tbPNSt15iterator_traitsISG_E10value_typeEPNSM_ISH_E10value_typeEPSI_NS1_7vsmem_tEENKUlT_SG_SH_SI_E_clIS7_S7_SB_PlEESF_SV_SG_SH_SI_EUlSV_E_NS1_11comp_targetILNS1_3genE0ELNS1_11target_archE4294967295ELNS1_3gpuE0ELNS1_3repE0EEENS1_48merge_mergepath_partition_config_static_selectorELNS0_4arch9wavefront6targetE1EEEvSH_ ; -- Begin function _ZN7rocprim17ROCPRIM_400000_NS6detail17trampoline_kernelINS0_14default_configENS1_38merge_sort_block_merge_config_selectorIhlEEZZNS1_27merge_sort_block_merge_implIS3_PhN6thrust23THRUST_200600_302600_NS10device_ptrIlEEjNS1_19radix_merge_compareILb0ELb1EhNS0_19identity_decomposerEEEEE10hipError_tT0_T1_T2_jT3_P12ihipStream_tbPNSt15iterator_traitsISG_E10value_typeEPNSM_ISH_E10value_typeEPSI_NS1_7vsmem_tEENKUlT_SG_SH_SI_E_clIS7_S7_SB_PlEESF_SV_SG_SH_SI_EUlSV_E_NS1_11comp_targetILNS1_3genE0ELNS1_11target_archE4294967295ELNS1_3gpuE0ELNS1_3repE0EEENS1_48merge_mergepath_partition_config_static_selectorELNS0_4arch9wavefront6targetE1EEEvSH_
	.globl	_ZN7rocprim17ROCPRIM_400000_NS6detail17trampoline_kernelINS0_14default_configENS1_38merge_sort_block_merge_config_selectorIhlEEZZNS1_27merge_sort_block_merge_implIS3_PhN6thrust23THRUST_200600_302600_NS10device_ptrIlEEjNS1_19radix_merge_compareILb0ELb1EhNS0_19identity_decomposerEEEEE10hipError_tT0_T1_T2_jT3_P12ihipStream_tbPNSt15iterator_traitsISG_E10value_typeEPNSM_ISH_E10value_typeEPSI_NS1_7vsmem_tEENKUlT_SG_SH_SI_E_clIS7_S7_SB_PlEESF_SV_SG_SH_SI_EUlSV_E_NS1_11comp_targetILNS1_3genE0ELNS1_11target_archE4294967295ELNS1_3gpuE0ELNS1_3repE0EEENS1_48merge_mergepath_partition_config_static_selectorELNS0_4arch9wavefront6targetE1EEEvSH_
	.p2align	8
	.type	_ZN7rocprim17ROCPRIM_400000_NS6detail17trampoline_kernelINS0_14default_configENS1_38merge_sort_block_merge_config_selectorIhlEEZZNS1_27merge_sort_block_merge_implIS3_PhN6thrust23THRUST_200600_302600_NS10device_ptrIlEEjNS1_19radix_merge_compareILb0ELb1EhNS0_19identity_decomposerEEEEE10hipError_tT0_T1_T2_jT3_P12ihipStream_tbPNSt15iterator_traitsISG_E10value_typeEPNSM_ISH_E10value_typeEPSI_NS1_7vsmem_tEENKUlT_SG_SH_SI_E_clIS7_S7_SB_PlEESF_SV_SG_SH_SI_EUlSV_E_NS1_11comp_targetILNS1_3genE0ELNS1_11target_archE4294967295ELNS1_3gpuE0ELNS1_3repE0EEENS1_48merge_mergepath_partition_config_static_selectorELNS0_4arch9wavefront6targetE1EEEvSH_,@function
_ZN7rocprim17ROCPRIM_400000_NS6detail17trampoline_kernelINS0_14default_configENS1_38merge_sort_block_merge_config_selectorIhlEEZZNS1_27merge_sort_block_merge_implIS3_PhN6thrust23THRUST_200600_302600_NS10device_ptrIlEEjNS1_19radix_merge_compareILb0ELb1EhNS0_19identity_decomposerEEEEE10hipError_tT0_T1_T2_jT3_P12ihipStream_tbPNSt15iterator_traitsISG_E10value_typeEPNSM_ISH_E10value_typeEPSI_NS1_7vsmem_tEENKUlT_SG_SH_SI_E_clIS7_S7_SB_PlEESF_SV_SG_SH_SI_EUlSV_E_NS1_11comp_targetILNS1_3genE0ELNS1_11target_archE4294967295ELNS1_3gpuE0ELNS1_3repE0EEENS1_48merge_mergepath_partition_config_static_selectorELNS0_4arch9wavefront6targetE1EEEvSH_: ; @_ZN7rocprim17ROCPRIM_400000_NS6detail17trampoline_kernelINS0_14default_configENS1_38merge_sort_block_merge_config_selectorIhlEEZZNS1_27merge_sort_block_merge_implIS3_PhN6thrust23THRUST_200600_302600_NS10device_ptrIlEEjNS1_19radix_merge_compareILb0ELb1EhNS0_19identity_decomposerEEEEE10hipError_tT0_T1_T2_jT3_P12ihipStream_tbPNSt15iterator_traitsISG_E10value_typeEPNSM_ISH_E10value_typeEPSI_NS1_7vsmem_tEENKUlT_SG_SH_SI_E_clIS7_S7_SB_PlEESF_SV_SG_SH_SI_EUlSV_E_NS1_11comp_targetILNS1_3genE0ELNS1_11target_archE4294967295ELNS1_3gpuE0ELNS1_3repE0EEENS1_48merge_mergepath_partition_config_static_selectorELNS0_4arch9wavefront6targetE1EEEvSH_
; %bb.0:
	.section	.rodata,"a",@progbits
	.p2align	6, 0x0
	.amdhsa_kernel _ZN7rocprim17ROCPRIM_400000_NS6detail17trampoline_kernelINS0_14default_configENS1_38merge_sort_block_merge_config_selectorIhlEEZZNS1_27merge_sort_block_merge_implIS3_PhN6thrust23THRUST_200600_302600_NS10device_ptrIlEEjNS1_19radix_merge_compareILb0ELb1EhNS0_19identity_decomposerEEEEE10hipError_tT0_T1_T2_jT3_P12ihipStream_tbPNSt15iterator_traitsISG_E10value_typeEPNSM_ISH_E10value_typeEPSI_NS1_7vsmem_tEENKUlT_SG_SH_SI_E_clIS7_S7_SB_PlEESF_SV_SG_SH_SI_EUlSV_E_NS1_11comp_targetILNS1_3genE0ELNS1_11target_archE4294967295ELNS1_3gpuE0ELNS1_3repE0EEENS1_48merge_mergepath_partition_config_static_selectorELNS0_4arch9wavefront6targetE1EEEvSH_
		.amdhsa_group_segment_fixed_size 0
		.amdhsa_private_segment_fixed_size 0
		.amdhsa_kernarg_size 40
		.amdhsa_user_sgpr_count 6
		.amdhsa_user_sgpr_private_segment_buffer 1
		.amdhsa_user_sgpr_dispatch_ptr 0
		.amdhsa_user_sgpr_queue_ptr 0
		.amdhsa_user_sgpr_kernarg_segment_ptr 1
		.amdhsa_user_sgpr_dispatch_id 0
		.amdhsa_user_sgpr_flat_scratch_init 0
		.amdhsa_user_sgpr_kernarg_preload_length 0
		.amdhsa_user_sgpr_kernarg_preload_offset 0
		.amdhsa_user_sgpr_private_segment_size 0
		.amdhsa_uses_dynamic_stack 0
		.amdhsa_system_sgpr_private_segment_wavefront_offset 0
		.amdhsa_system_sgpr_workgroup_id_x 1
		.amdhsa_system_sgpr_workgroup_id_y 0
		.amdhsa_system_sgpr_workgroup_id_z 0
		.amdhsa_system_sgpr_workgroup_info 0
		.amdhsa_system_vgpr_workitem_id 0
		.amdhsa_next_free_vgpr 1
		.amdhsa_next_free_sgpr 0
		.amdhsa_accum_offset 4
		.amdhsa_reserve_vcc 0
		.amdhsa_reserve_flat_scratch 0
		.amdhsa_float_round_mode_32 0
		.amdhsa_float_round_mode_16_64 0
		.amdhsa_float_denorm_mode_32 3
		.amdhsa_float_denorm_mode_16_64 3
		.amdhsa_dx10_clamp 1
		.amdhsa_ieee_mode 1
		.amdhsa_fp16_overflow 0
		.amdhsa_tg_split 0
		.amdhsa_exception_fp_ieee_invalid_op 0
		.amdhsa_exception_fp_denorm_src 0
		.amdhsa_exception_fp_ieee_div_zero 0
		.amdhsa_exception_fp_ieee_overflow 0
		.amdhsa_exception_fp_ieee_underflow 0
		.amdhsa_exception_fp_ieee_inexact 0
		.amdhsa_exception_int_div_zero 0
	.end_amdhsa_kernel
	.section	.text._ZN7rocprim17ROCPRIM_400000_NS6detail17trampoline_kernelINS0_14default_configENS1_38merge_sort_block_merge_config_selectorIhlEEZZNS1_27merge_sort_block_merge_implIS3_PhN6thrust23THRUST_200600_302600_NS10device_ptrIlEEjNS1_19radix_merge_compareILb0ELb1EhNS0_19identity_decomposerEEEEE10hipError_tT0_T1_T2_jT3_P12ihipStream_tbPNSt15iterator_traitsISG_E10value_typeEPNSM_ISH_E10value_typeEPSI_NS1_7vsmem_tEENKUlT_SG_SH_SI_E_clIS7_S7_SB_PlEESF_SV_SG_SH_SI_EUlSV_E_NS1_11comp_targetILNS1_3genE0ELNS1_11target_archE4294967295ELNS1_3gpuE0ELNS1_3repE0EEENS1_48merge_mergepath_partition_config_static_selectorELNS0_4arch9wavefront6targetE1EEEvSH_,"axG",@progbits,_ZN7rocprim17ROCPRIM_400000_NS6detail17trampoline_kernelINS0_14default_configENS1_38merge_sort_block_merge_config_selectorIhlEEZZNS1_27merge_sort_block_merge_implIS3_PhN6thrust23THRUST_200600_302600_NS10device_ptrIlEEjNS1_19radix_merge_compareILb0ELb1EhNS0_19identity_decomposerEEEEE10hipError_tT0_T1_T2_jT3_P12ihipStream_tbPNSt15iterator_traitsISG_E10value_typeEPNSM_ISH_E10value_typeEPSI_NS1_7vsmem_tEENKUlT_SG_SH_SI_E_clIS7_S7_SB_PlEESF_SV_SG_SH_SI_EUlSV_E_NS1_11comp_targetILNS1_3genE0ELNS1_11target_archE4294967295ELNS1_3gpuE0ELNS1_3repE0EEENS1_48merge_mergepath_partition_config_static_selectorELNS0_4arch9wavefront6targetE1EEEvSH_,comdat
.Lfunc_end213:
	.size	_ZN7rocprim17ROCPRIM_400000_NS6detail17trampoline_kernelINS0_14default_configENS1_38merge_sort_block_merge_config_selectorIhlEEZZNS1_27merge_sort_block_merge_implIS3_PhN6thrust23THRUST_200600_302600_NS10device_ptrIlEEjNS1_19radix_merge_compareILb0ELb1EhNS0_19identity_decomposerEEEEE10hipError_tT0_T1_T2_jT3_P12ihipStream_tbPNSt15iterator_traitsISG_E10value_typeEPNSM_ISH_E10value_typeEPSI_NS1_7vsmem_tEENKUlT_SG_SH_SI_E_clIS7_S7_SB_PlEESF_SV_SG_SH_SI_EUlSV_E_NS1_11comp_targetILNS1_3genE0ELNS1_11target_archE4294967295ELNS1_3gpuE0ELNS1_3repE0EEENS1_48merge_mergepath_partition_config_static_selectorELNS0_4arch9wavefront6targetE1EEEvSH_, .Lfunc_end213-_ZN7rocprim17ROCPRIM_400000_NS6detail17trampoline_kernelINS0_14default_configENS1_38merge_sort_block_merge_config_selectorIhlEEZZNS1_27merge_sort_block_merge_implIS3_PhN6thrust23THRUST_200600_302600_NS10device_ptrIlEEjNS1_19radix_merge_compareILb0ELb1EhNS0_19identity_decomposerEEEEE10hipError_tT0_T1_T2_jT3_P12ihipStream_tbPNSt15iterator_traitsISG_E10value_typeEPNSM_ISH_E10value_typeEPSI_NS1_7vsmem_tEENKUlT_SG_SH_SI_E_clIS7_S7_SB_PlEESF_SV_SG_SH_SI_EUlSV_E_NS1_11comp_targetILNS1_3genE0ELNS1_11target_archE4294967295ELNS1_3gpuE0ELNS1_3repE0EEENS1_48merge_mergepath_partition_config_static_selectorELNS0_4arch9wavefront6targetE1EEEvSH_
                                        ; -- End function
	.section	.AMDGPU.csdata,"",@progbits
; Kernel info:
; codeLenInByte = 0
; NumSgprs: 4
; NumVgprs: 0
; NumAgprs: 0
; TotalNumVgprs: 0
; ScratchSize: 0
; MemoryBound: 0
; FloatMode: 240
; IeeeMode: 1
; LDSByteSize: 0 bytes/workgroup (compile time only)
; SGPRBlocks: 0
; VGPRBlocks: 0
; NumSGPRsForWavesPerEU: 4
; NumVGPRsForWavesPerEU: 1
; AccumOffset: 4
; Occupancy: 8
; WaveLimiterHint : 0
; COMPUTE_PGM_RSRC2:SCRATCH_EN: 0
; COMPUTE_PGM_RSRC2:USER_SGPR: 6
; COMPUTE_PGM_RSRC2:TRAP_HANDLER: 0
; COMPUTE_PGM_RSRC2:TGID_X_EN: 1
; COMPUTE_PGM_RSRC2:TGID_Y_EN: 0
; COMPUTE_PGM_RSRC2:TGID_Z_EN: 0
; COMPUTE_PGM_RSRC2:TIDIG_COMP_CNT: 0
; COMPUTE_PGM_RSRC3_GFX90A:ACCUM_OFFSET: 0
; COMPUTE_PGM_RSRC3_GFX90A:TG_SPLIT: 0
	.section	.text._ZN7rocprim17ROCPRIM_400000_NS6detail17trampoline_kernelINS0_14default_configENS1_38merge_sort_block_merge_config_selectorIhlEEZZNS1_27merge_sort_block_merge_implIS3_PhN6thrust23THRUST_200600_302600_NS10device_ptrIlEEjNS1_19radix_merge_compareILb0ELb1EhNS0_19identity_decomposerEEEEE10hipError_tT0_T1_T2_jT3_P12ihipStream_tbPNSt15iterator_traitsISG_E10value_typeEPNSM_ISH_E10value_typeEPSI_NS1_7vsmem_tEENKUlT_SG_SH_SI_E_clIS7_S7_SB_PlEESF_SV_SG_SH_SI_EUlSV_E_NS1_11comp_targetILNS1_3genE10ELNS1_11target_archE1201ELNS1_3gpuE5ELNS1_3repE0EEENS1_48merge_mergepath_partition_config_static_selectorELNS0_4arch9wavefront6targetE1EEEvSH_,"axG",@progbits,_ZN7rocprim17ROCPRIM_400000_NS6detail17trampoline_kernelINS0_14default_configENS1_38merge_sort_block_merge_config_selectorIhlEEZZNS1_27merge_sort_block_merge_implIS3_PhN6thrust23THRUST_200600_302600_NS10device_ptrIlEEjNS1_19radix_merge_compareILb0ELb1EhNS0_19identity_decomposerEEEEE10hipError_tT0_T1_T2_jT3_P12ihipStream_tbPNSt15iterator_traitsISG_E10value_typeEPNSM_ISH_E10value_typeEPSI_NS1_7vsmem_tEENKUlT_SG_SH_SI_E_clIS7_S7_SB_PlEESF_SV_SG_SH_SI_EUlSV_E_NS1_11comp_targetILNS1_3genE10ELNS1_11target_archE1201ELNS1_3gpuE5ELNS1_3repE0EEENS1_48merge_mergepath_partition_config_static_selectorELNS0_4arch9wavefront6targetE1EEEvSH_,comdat
	.protected	_ZN7rocprim17ROCPRIM_400000_NS6detail17trampoline_kernelINS0_14default_configENS1_38merge_sort_block_merge_config_selectorIhlEEZZNS1_27merge_sort_block_merge_implIS3_PhN6thrust23THRUST_200600_302600_NS10device_ptrIlEEjNS1_19radix_merge_compareILb0ELb1EhNS0_19identity_decomposerEEEEE10hipError_tT0_T1_T2_jT3_P12ihipStream_tbPNSt15iterator_traitsISG_E10value_typeEPNSM_ISH_E10value_typeEPSI_NS1_7vsmem_tEENKUlT_SG_SH_SI_E_clIS7_S7_SB_PlEESF_SV_SG_SH_SI_EUlSV_E_NS1_11comp_targetILNS1_3genE10ELNS1_11target_archE1201ELNS1_3gpuE5ELNS1_3repE0EEENS1_48merge_mergepath_partition_config_static_selectorELNS0_4arch9wavefront6targetE1EEEvSH_ ; -- Begin function _ZN7rocprim17ROCPRIM_400000_NS6detail17trampoline_kernelINS0_14default_configENS1_38merge_sort_block_merge_config_selectorIhlEEZZNS1_27merge_sort_block_merge_implIS3_PhN6thrust23THRUST_200600_302600_NS10device_ptrIlEEjNS1_19radix_merge_compareILb0ELb1EhNS0_19identity_decomposerEEEEE10hipError_tT0_T1_T2_jT3_P12ihipStream_tbPNSt15iterator_traitsISG_E10value_typeEPNSM_ISH_E10value_typeEPSI_NS1_7vsmem_tEENKUlT_SG_SH_SI_E_clIS7_S7_SB_PlEESF_SV_SG_SH_SI_EUlSV_E_NS1_11comp_targetILNS1_3genE10ELNS1_11target_archE1201ELNS1_3gpuE5ELNS1_3repE0EEENS1_48merge_mergepath_partition_config_static_selectorELNS0_4arch9wavefront6targetE1EEEvSH_
	.globl	_ZN7rocprim17ROCPRIM_400000_NS6detail17trampoline_kernelINS0_14default_configENS1_38merge_sort_block_merge_config_selectorIhlEEZZNS1_27merge_sort_block_merge_implIS3_PhN6thrust23THRUST_200600_302600_NS10device_ptrIlEEjNS1_19radix_merge_compareILb0ELb1EhNS0_19identity_decomposerEEEEE10hipError_tT0_T1_T2_jT3_P12ihipStream_tbPNSt15iterator_traitsISG_E10value_typeEPNSM_ISH_E10value_typeEPSI_NS1_7vsmem_tEENKUlT_SG_SH_SI_E_clIS7_S7_SB_PlEESF_SV_SG_SH_SI_EUlSV_E_NS1_11comp_targetILNS1_3genE10ELNS1_11target_archE1201ELNS1_3gpuE5ELNS1_3repE0EEENS1_48merge_mergepath_partition_config_static_selectorELNS0_4arch9wavefront6targetE1EEEvSH_
	.p2align	8
	.type	_ZN7rocprim17ROCPRIM_400000_NS6detail17trampoline_kernelINS0_14default_configENS1_38merge_sort_block_merge_config_selectorIhlEEZZNS1_27merge_sort_block_merge_implIS3_PhN6thrust23THRUST_200600_302600_NS10device_ptrIlEEjNS1_19radix_merge_compareILb0ELb1EhNS0_19identity_decomposerEEEEE10hipError_tT0_T1_T2_jT3_P12ihipStream_tbPNSt15iterator_traitsISG_E10value_typeEPNSM_ISH_E10value_typeEPSI_NS1_7vsmem_tEENKUlT_SG_SH_SI_E_clIS7_S7_SB_PlEESF_SV_SG_SH_SI_EUlSV_E_NS1_11comp_targetILNS1_3genE10ELNS1_11target_archE1201ELNS1_3gpuE5ELNS1_3repE0EEENS1_48merge_mergepath_partition_config_static_selectorELNS0_4arch9wavefront6targetE1EEEvSH_,@function
_ZN7rocprim17ROCPRIM_400000_NS6detail17trampoline_kernelINS0_14default_configENS1_38merge_sort_block_merge_config_selectorIhlEEZZNS1_27merge_sort_block_merge_implIS3_PhN6thrust23THRUST_200600_302600_NS10device_ptrIlEEjNS1_19radix_merge_compareILb0ELb1EhNS0_19identity_decomposerEEEEE10hipError_tT0_T1_T2_jT3_P12ihipStream_tbPNSt15iterator_traitsISG_E10value_typeEPNSM_ISH_E10value_typeEPSI_NS1_7vsmem_tEENKUlT_SG_SH_SI_E_clIS7_S7_SB_PlEESF_SV_SG_SH_SI_EUlSV_E_NS1_11comp_targetILNS1_3genE10ELNS1_11target_archE1201ELNS1_3gpuE5ELNS1_3repE0EEENS1_48merge_mergepath_partition_config_static_selectorELNS0_4arch9wavefront6targetE1EEEvSH_: ; @_ZN7rocprim17ROCPRIM_400000_NS6detail17trampoline_kernelINS0_14default_configENS1_38merge_sort_block_merge_config_selectorIhlEEZZNS1_27merge_sort_block_merge_implIS3_PhN6thrust23THRUST_200600_302600_NS10device_ptrIlEEjNS1_19radix_merge_compareILb0ELb1EhNS0_19identity_decomposerEEEEE10hipError_tT0_T1_T2_jT3_P12ihipStream_tbPNSt15iterator_traitsISG_E10value_typeEPNSM_ISH_E10value_typeEPSI_NS1_7vsmem_tEENKUlT_SG_SH_SI_E_clIS7_S7_SB_PlEESF_SV_SG_SH_SI_EUlSV_E_NS1_11comp_targetILNS1_3genE10ELNS1_11target_archE1201ELNS1_3gpuE5ELNS1_3repE0EEENS1_48merge_mergepath_partition_config_static_selectorELNS0_4arch9wavefront6targetE1EEEvSH_
; %bb.0:
	.section	.rodata,"a",@progbits
	.p2align	6, 0x0
	.amdhsa_kernel _ZN7rocprim17ROCPRIM_400000_NS6detail17trampoline_kernelINS0_14default_configENS1_38merge_sort_block_merge_config_selectorIhlEEZZNS1_27merge_sort_block_merge_implIS3_PhN6thrust23THRUST_200600_302600_NS10device_ptrIlEEjNS1_19radix_merge_compareILb0ELb1EhNS0_19identity_decomposerEEEEE10hipError_tT0_T1_T2_jT3_P12ihipStream_tbPNSt15iterator_traitsISG_E10value_typeEPNSM_ISH_E10value_typeEPSI_NS1_7vsmem_tEENKUlT_SG_SH_SI_E_clIS7_S7_SB_PlEESF_SV_SG_SH_SI_EUlSV_E_NS1_11comp_targetILNS1_3genE10ELNS1_11target_archE1201ELNS1_3gpuE5ELNS1_3repE0EEENS1_48merge_mergepath_partition_config_static_selectorELNS0_4arch9wavefront6targetE1EEEvSH_
		.amdhsa_group_segment_fixed_size 0
		.amdhsa_private_segment_fixed_size 0
		.amdhsa_kernarg_size 40
		.amdhsa_user_sgpr_count 6
		.amdhsa_user_sgpr_private_segment_buffer 1
		.amdhsa_user_sgpr_dispatch_ptr 0
		.amdhsa_user_sgpr_queue_ptr 0
		.amdhsa_user_sgpr_kernarg_segment_ptr 1
		.amdhsa_user_sgpr_dispatch_id 0
		.amdhsa_user_sgpr_flat_scratch_init 0
		.amdhsa_user_sgpr_kernarg_preload_length 0
		.amdhsa_user_sgpr_kernarg_preload_offset 0
		.amdhsa_user_sgpr_private_segment_size 0
		.amdhsa_uses_dynamic_stack 0
		.amdhsa_system_sgpr_private_segment_wavefront_offset 0
		.amdhsa_system_sgpr_workgroup_id_x 1
		.amdhsa_system_sgpr_workgroup_id_y 0
		.amdhsa_system_sgpr_workgroup_id_z 0
		.amdhsa_system_sgpr_workgroup_info 0
		.amdhsa_system_vgpr_workitem_id 0
		.amdhsa_next_free_vgpr 1
		.amdhsa_next_free_sgpr 0
		.amdhsa_accum_offset 4
		.amdhsa_reserve_vcc 0
		.amdhsa_reserve_flat_scratch 0
		.amdhsa_float_round_mode_32 0
		.amdhsa_float_round_mode_16_64 0
		.amdhsa_float_denorm_mode_32 3
		.amdhsa_float_denorm_mode_16_64 3
		.amdhsa_dx10_clamp 1
		.amdhsa_ieee_mode 1
		.amdhsa_fp16_overflow 0
		.amdhsa_tg_split 0
		.amdhsa_exception_fp_ieee_invalid_op 0
		.amdhsa_exception_fp_denorm_src 0
		.amdhsa_exception_fp_ieee_div_zero 0
		.amdhsa_exception_fp_ieee_overflow 0
		.amdhsa_exception_fp_ieee_underflow 0
		.amdhsa_exception_fp_ieee_inexact 0
		.amdhsa_exception_int_div_zero 0
	.end_amdhsa_kernel
	.section	.text._ZN7rocprim17ROCPRIM_400000_NS6detail17trampoline_kernelINS0_14default_configENS1_38merge_sort_block_merge_config_selectorIhlEEZZNS1_27merge_sort_block_merge_implIS3_PhN6thrust23THRUST_200600_302600_NS10device_ptrIlEEjNS1_19radix_merge_compareILb0ELb1EhNS0_19identity_decomposerEEEEE10hipError_tT0_T1_T2_jT3_P12ihipStream_tbPNSt15iterator_traitsISG_E10value_typeEPNSM_ISH_E10value_typeEPSI_NS1_7vsmem_tEENKUlT_SG_SH_SI_E_clIS7_S7_SB_PlEESF_SV_SG_SH_SI_EUlSV_E_NS1_11comp_targetILNS1_3genE10ELNS1_11target_archE1201ELNS1_3gpuE5ELNS1_3repE0EEENS1_48merge_mergepath_partition_config_static_selectorELNS0_4arch9wavefront6targetE1EEEvSH_,"axG",@progbits,_ZN7rocprim17ROCPRIM_400000_NS6detail17trampoline_kernelINS0_14default_configENS1_38merge_sort_block_merge_config_selectorIhlEEZZNS1_27merge_sort_block_merge_implIS3_PhN6thrust23THRUST_200600_302600_NS10device_ptrIlEEjNS1_19radix_merge_compareILb0ELb1EhNS0_19identity_decomposerEEEEE10hipError_tT0_T1_T2_jT3_P12ihipStream_tbPNSt15iterator_traitsISG_E10value_typeEPNSM_ISH_E10value_typeEPSI_NS1_7vsmem_tEENKUlT_SG_SH_SI_E_clIS7_S7_SB_PlEESF_SV_SG_SH_SI_EUlSV_E_NS1_11comp_targetILNS1_3genE10ELNS1_11target_archE1201ELNS1_3gpuE5ELNS1_3repE0EEENS1_48merge_mergepath_partition_config_static_selectorELNS0_4arch9wavefront6targetE1EEEvSH_,comdat
.Lfunc_end214:
	.size	_ZN7rocprim17ROCPRIM_400000_NS6detail17trampoline_kernelINS0_14default_configENS1_38merge_sort_block_merge_config_selectorIhlEEZZNS1_27merge_sort_block_merge_implIS3_PhN6thrust23THRUST_200600_302600_NS10device_ptrIlEEjNS1_19radix_merge_compareILb0ELb1EhNS0_19identity_decomposerEEEEE10hipError_tT0_T1_T2_jT3_P12ihipStream_tbPNSt15iterator_traitsISG_E10value_typeEPNSM_ISH_E10value_typeEPSI_NS1_7vsmem_tEENKUlT_SG_SH_SI_E_clIS7_S7_SB_PlEESF_SV_SG_SH_SI_EUlSV_E_NS1_11comp_targetILNS1_3genE10ELNS1_11target_archE1201ELNS1_3gpuE5ELNS1_3repE0EEENS1_48merge_mergepath_partition_config_static_selectorELNS0_4arch9wavefront6targetE1EEEvSH_, .Lfunc_end214-_ZN7rocprim17ROCPRIM_400000_NS6detail17trampoline_kernelINS0_14default_configENS1_38merge_sort_block_merge_config_selectorIhlEEZZNS1_27merge_sort_block_merge_implIS3_PhN6thrust23THRUST_200600_302600_NS10device_ptrIlEEjNS1_19radix_merge_compareILb0ELb1EhNS0_19identity_decomposerEEEEE10hipError_tT0_T1_T2_jT3_P12ihipStream_tbPNSt15iterator_traitsISG_E10value_typeEPNSM_ISH_E10value_typeEPSI_NS1_7vsmem_tEENKUlT_SG_SH_SI_E_clIS7_S7_SB_PlEESF_SV_SG_SH_SI_EUlSV_E_NS1_11comp_targetILNS1_3genE10ELNS1_11target_archE1201ELNS1_3gpuE5ELNS1_3repE0EEENS1_48merge_mergepath_partition_config_static_selectorELNS0_4arch9wavefront6targetE1EEEvSH_
                                        ; -- End function
	.section	.AMDGPU.csdata,"",@progbits
; Kernel info:
; codeLenInByte = 0
; NumSgprs: 4
; NumVgprs: 0
; NumAgprs: 0
; TotalNumVgprs: 0
; ScratchSize: 0
; MemoryBound: 0
; FloatMode: 240
; IeeeMode: 1
; LDSByteSize: 0 bytes/workgroup (compile time only)
; SGPRBlocks: 0
; VGPRBlocks: 0
; NumSGPRsForWavesPerEU: 4
; NumVGPRsForWavesPerEU: 1
; AccumOffset: 4
; Occupancy: 8
; WaveLimiterHint : 0
; COMPUTE_PGM_RSRC2:SCRATCH_EN: 0
; COMPUTE_PGM_RSRC2:USER_SGPR: 6
; COMPUTE_PGM_RSRC2:TRAP_HANDLER: 0
; COMPUTE_PGM_RSRC2:TGID_X_EN: 1
; COMPUTE_PGM_RSRC2:TGID_Y_EN: 0
; COMPUTE_PGM_RSRC2:TGID_Z_EN: 0
; COMPUTE_PGM_RSRC2:TIDIG_COMP_CNT: 0
; COMPUTE_PGM_RSRC3_GFX90A:ACCUM_OFFSET: 0
; COMPUTE_PGM_RSRC3_GFX90A:TG_SPLIT: 0
	.section	.text._ZN7rocprim17ROCPRIM_400000_NS6detail17trampoline_kernelINS0_14default_configENS1_38merge_sort_block_merge_config_selectorIhlEEZZNS1_27merge_sort_block_merge_implIS3_PhN6thrust23THRUST_200600_302600_NS10device_ptrIlEEjNS1_19radix_merge_compareILb0ELb1EhNS0_19identity_decomposerEEEEE10hipError_tT0_T1_T2_jT3_P12ihipStream_tbPNSt15iterator_traitsISG_E10value_typeEPNSM_ISH_E10value_typeEPSI_NS1_7vsmem_tEENKUlT_SG_SH_SI_E_clIS7_S7_SB_PlEESF_SV_SG_SH_SI_EUlSV_E_NS1_11comp_targetILNS1_3genE5ELNS1_11target_archE942ELNS1_3gpuE9ELNS1_3repE0EEENS1_48merge_mergepath_partition_config_static_selectorELNS0_4arch9wavefront6targetE1EEEvSH_,"axG",@progbits,_ZN7rocprim17ROCPRIM_400000_NS6detail17trampoline_kernelINS0_14default_configENS1_38merge_sort_block_merge_config_selectorIhlEEZZNS1_27merge_sort_block_merge_implIS3_PhN6thrust23THRUST_200600_302600_NS10device_ptrIlEEjNS1_19radix_merge_compareILb0ELb1EhNS0_19identity_decomposerEEEEE10hipError_tT0_T1_T2_jT3_P12ihipStream_tbPNSt15iterator_traitsISG_E10value_typeEPNSM_ISH_E10value_typeEPSI_NS1_7vsmem_tEENKUlT_SG_SH_SI_E_clIS7_S7_SB_PlEESF_SV_SG_SH_SI_EUlSV_E_NS1_11comp_targetILNS1_3genE5ELNS1_11target_archE942ELNS1_3gpuE9ELNS1_3repE0EEENS1_48merge_mergepath_partition_config_static_selectorELNS0_4arch9wavefront6targetE1EEEvSH_,comdat
	.protected	_ZN7rocprim17ROCPRIM_400000_NS6detail17trampoline_kernelINS0_14default_configENS1_38merge_sort_block_merge_config_selectorIhlEEZZNS1_27merge_sort_block_merge_implIS3_PhN6thrust23THRUST_200600_302600_NS10device_ptrIlEEjNS1_19radix_merge_compareILb0ELb1EhNS0_19identity_decomposerEEEEE10hipError_tT0_T1_T2_jT3_P12ihipStream_tbPNSt15iterator_traitsISG_E10value_typeEPNSM_ISH_E10value_typeEPSI_NS1_7vsmem_tEENKUlT_SG_SH_SI_E_clIS7_S7_SB_PlEESF_SV_SG_SH_SI_EUlSV_E_NS1_11comp_targetILNS1_3genE5ELNS1_11target_archE942ELNS1_3gpuE9ELNS1_3repE0EEENS1_48merge_mergepath_partition_config_static_selectorELNS0_4arch9wavefront6targetE1EEEvSH_ ; -- Begin function _ZN7rocprim17ROCPRIM_400000_NS6detail17trampoline_kernelINS0_14default_configENS1_38merge_sort_block_merge_config_selectorIhlEEZZNS1_27merge_sort_block_merge_implIS3_PhN6thrust23THRUST_200600_302600_NS10device_ptrIlEEjNS1_19radix_merge_compareILb0ELb1EhNS0_19identity_decomposerEEEEE10hipError_tT0_T1_T2_jT3_P12ihipStream_tbPNSt15iterator_traitsISG_E10value_typeEPNSM_ISH_E10value_typeEPSI_NS1_7vsmem_tEENKUlT_SG_SH_SI_E_clIS7_S7_SB_PlEESF_SV_SG_SH_SI_EUlSV_E_NS1_11comp_targetILNS1_3genE5ELNS1_11target_archE942ELNS1_3gpuE9ELNS1_3repE0EEENS1_48merge_mergepath_partition_config_static_selectorELNS0_4arch9wavefront6targetE1EEEvSH_
	.globl	_ZN7rocprim17ROCPRIM_400000_NS6detail17trampoline_kernelINS0_14default_configENS1_38merge_sort_block_merge_config_selectorIhlEEZZNS1_27merge_sort_block_merge_implIS3_PhN6thrust23THRUST_200600_302600_NS10device_ptrIlEEjNS1_19radix_merge_compareILb0ELb1EhNS0_19identity_decomposerEEEEE10hipError_tT0_T1_T2_jT3_P12ihipStream_tbPNSt15iterator_traitsISG_E10value_typeEPNSM_ISH_E10value_typeEPSI_NS1_7vsmem_tEENKUlT_SG_SH_SI_E_clIS7_S7_SB_PlEESF_SV_SG_SH_SI_EUlSV_E_NS1_11comp_targetILNS1_3genE5ELNS1_11target_archE942ELNS1_3gpuE9ELNS1_3repE0EEENS1_48merge_mergepath_partition_config_static_selectorELNS0_4arch9wavefront6targetE1EEEvSH_
	.p2align	8
	.type	_ZN7rocprim17ROCPRIM_400000_NS6detail17trampoline_kernelINS0_14default_configENS1_38merge_sort_block_merge_config_selectorIhlEEZZNS1_27merge_sort_block_merge_implIS3_PhN6thrust23THRUST_200600_302600_NS10device_ptrIlEEjNS1_19radix_merge_compareILb0ELb1EhNS0_19identity_decomposerEEEEE10hipError_tT0_T1_T2_jT3_P12ihipStream_tbPNSt15iterator_traitsISG_E10value_typeEPNSM_ISH_E10value_typeEPSI_NS1_7vsmem_tEENKUlT_SG_SH_SI_E_clIS7_S7_SB_PlEESF_SV_SG_SH_SI_EUlSV_E_NS1_11comp_targetILNS1_3genE5ELNS1_11target_archE942ELNS1_3gpuE9ELNS1_3repE0EEENS1_48merge_mergepath_partition_config_static_selectorELNS0_4arch9wavefront6targetE1EEEvSH_,@function
_ZN7rocprim17ROCPRIM_400000_NS6detail17trampoline_kernelINS0_14default_configENS1_38merge_sort_block_merge_config_selectorIhlEEZZNS1_27merge_sort_block_merge_implIS3_PhN6thrust23THRUST_200600_302600_NS10device_ptrIlEEjNS1_19radix_merge_compareILb0ELb1EhNS0_19identity_decomposerEEEEE10hipError_tT0_T1_T2_jT3_P12ihipStream_tbPNSt15iterator_traitsISG_E10value_typeEPNSM_ISH_E10value_typeEPSI_NS1_7vsmem_tEENKUlT_SG_SH_SI_E_clIS7_S7_SB_PlEESF_SV_SG_SH_SI_EUlSV_E_NS1_11comp_targetILNS1_3genE5ELNS1_11target_archE942ELNS1_3gpuE9ELNS1_3repE0EEENS1_48merge_mergepath_partition_config_static_selectorELNS0_4arch9wavefront6targetE1EEEvSH_: ; @_ZN7rocprim17ROCPRIM_400000_NS6detail17trampoline_kernelINS0_14default_configENS1_38merge_sort_block_merge_config_selectorIhlEEZZNS1_27merge_sort_block_merge_implIS3_PhN6thrust23THRUST_200600_302600_NS10device_ptrIlEEjNS1_19radix_merge_compareILb0ELb1EhNS0_19identity_decomposerEEEEE10hipError_tT0_T1_T2_jT3_P12ihipStream_tbPNSt15iterator_traitsISG_E10value_typeEPNSM_ISH_E10value_typeEPSI_NS1_7vsmem_tEENKUlT_SG_SH_SI_E_clIS7_S7_SB_PlEESF_SV_SG_SH_SI_EUlSV_E_NS1_11comp_targetILNS1_3genE5ELNS1_11target_archE942ELNS1_3gpuE9ELNS1_3repE0EEENS1_48merge_mergepath_partition_config_static_selectorELNS0_4arch9wavefront6targetE1EEEvSH_
; %bb.0:
	.section	.rodata,"a",@progbits
	.p2align	6, 0x0
	.amdhsa_kernel _ZN7rocprim17ROCPRIM_400000_NS6detail17trampoline_kernelINS0_14default_configENS1_38merge_sort_block_merge_config_selectorIhlEEZZNS1_27merge_sort_block_merge_implIS3_PhN6thrust23THRUST_200600_302600_NS10device_ptrIlEEjNS1_19radix_merge_compareILb0ELb1EhNS0_19identity_decomposerEEEEE10hipError_tT0_T1_T2_jT3_P12ihipStream_tbPNSt15iterator_traitsISG_E10value_typeEPNSM_ISH_E10value_typeEPSI_NS1_7vsmem_tEENKUlT_SG_SH_SI_E_clIS7_S7_SB_PlEESF_SV_SG_SH_SI_EUlSV_E_NS1_11comp_targetILNS1_3genE5ELNS1_11target_archE942ELNS1_3gpuE9ELNS1_3repE0EEENS1_48merge_mergepath_partition_config_static_selectorELNS0_4arch9wavefront6targetE1EEEvSH_
		.amdhsa_group_segment_fixed_size 0
		.amdhsa_private_segment_fixed_size 0
		.amdhsa_kernarg_size 40
		.amdhsa_user_sgpr_count 6
		.amdhsa_user_sgpr_private_segment_buffer 1
		.amdhsa_user_sgpr_dispatch_ptr 0
		.amdhsa_user_sgpr_queue_ptr 0
		.amdhsa_user_sgpr_kernarg_segment_ptr 1
		.amdhsa_user_sgpr_dispatch_id 0
		.amdhsa_user_sgpr_flat_scratch_init 0
		.amdhsa_user_sgpr_kernarg_preload_length 0
		.amdhsa_user_sgpr_kernarg_preload_offset 0
		.amdhsa_user_sgpr_private_segment_size 0
		.amdhsa_uses_dynamic_stack 0
		.amdhsa_system_sgpr_private_segment_wavefront_offset 0
		.amdhsa_system_sgpr_workgroup_id_x 1
		.amdhsa_system_sgpr_workgroup_id_y 0
		.amdhsa_system_sgpr_workgroup_id_z 0
		.amdhsa_system_sgpr_workgroup_info 0
		.amdhsa_system_vgpr_workitem_id 0
		.amdhsa_next_free_vgpr 1
		.amdhsa_next_free_sgpr 0
		.amdhsa_accum_offset 4
		.amdhsa_reserve_vcc 0
		.amdhsa_reserve_flat_scratch 0
		.amdhsa_float_round_mode_32 0
		.amdhsa_float_round_mode_16_64 0
		.amdhsa_float_denorm_mode_32 3
		.amdhsa_float_denorm_mode_16_64 3
		.amdhsa_dx10_clamp 1
		.amdhsa_ieee_mode 1
		.amdhsa_fp16_overflow 0
		.amdhsa_tg_split 0
		.amdhsa_exception_fp_ieee_invalid_op 0
		.amdhsa_exception_fp_denorm_src 0
		.amdhsa_exception_fp_ieee_div_zero 0
		.amdhsa_exception_fp_ieee_overflow 0
		.amdhsa_exception_fp_ieee_underflow 0
		.amdhsa_exception_fp_ieee_inexact 0
		.amdhsa_exception_int_div_zero 0
	.end_amdhsa_kernel
	.section	.text._ZN7rocprim17ROCPRIM_400000_NS6detail17trampoline_kernelINS0_14default_configENS1_38merge_sort_block_merge_config_selectorIhlEEZZNS1_27merge_sort_block_merge_implIS3_PhN6thrust23THRUST_200600_302600_NS10device_ptrIlEEjNS1_19radix_merge_compareILb0ELb1EhNS0_19identity_decomposerEEEEE10hipError_tT0_T1_T2_jT3_P12ihipStream_tbPNSt15iterator_traitsISG_E10value_typeEPNSM_ISH_E10value_typeEPSI_NS1_7vsmem_tEENKUlT_SG_SH_SI_E_clIS7_S7_SB_PlEESF_SV_SG_SH_SI_EUlSV_E_NS1_11comp_targetILNS1_3genE5ELNS1_11target_archE942ELNS1_3gpuE9ELNS1_3repE0EEENS1_48merge_mergepath_partition_config_static_selectorELNS0_4arch9wavefront6targetE1EEEvSH_,"axG",@progbits,_ZN7rocprim17ROCPRIM_400000_NS6detail17trampoline_kernelINS0_14default_configENS1_38merge_sort_block_merge_config_selectorIhlEEZZNS1_27merge_sort_block_merge_implIS3_PhN6thrust23THRUST_200600_302600_NS10device_ptrIlEEjNS1_19radix_merge_compareILb0ELb1EhNS0_19identity_decomposerEEEEE10hipError_tT0_T1_T2_jT3_P12ihipStream_tbPNSt15iterator_traitsISG_E10value_typeEPNSM_ISH_E10value_typeEPSI_NS1_7vsmem_tEENKUlT_SG_SH_SI_E_clIS7_S7_SB_PlEESF_SV_SG_SH_SI_EUlSV_E_NS1_11comp_targetILNS1_3genE5ELNS1_11target_archE942ELNS1_3gpuE9ELNS1_3repE0EEENS1_48merge_mergepath_partition_config_static_selectorELNS0_4arch9wavefront6targetE1EEEvSH_,comdat
.Lfunc_end215:
	.size	_ZN7rocprim17ROCPRIM_400000_NS6detail17trampoline_kernelINS0_14default_configENS1_38merge_sort_block_merge_config_selectorIhlEEZZNS1_27merge_sort_block_merge_implIS3_PhN6thrust23THRUST_200600_302600_NS10device_ptrIlEEjNS1_19radix_merge_compareILb0ELb1EhNS0_19identity_decomposerEEEEE10hipError_tT0_T1_T2_jT3_P12ihipStream_tbPNSt15iterator_traitsISG_E10value_typeEPNSM_ISH_E10value_typeEPSI_NS1_7vsmem_tEENKUlT_SG_SH_SI_E_clIS7_S7_SB_PlEESF_SV_SG_SH_SI_EUlSV_E_NS1_11comp_targetILNS1_3genE5ELNS1_11target_archE942ELNS1_3gpuE9ELNS1_3repE0EEENS1_48merge_mergepath_partition_config_static_selectorELNS0_4arch9wavefront6targetE1EEEvSH_, .Lfunc_end215-_ZN7rocprim17ROCPRIM_400000_NS6detail17trampoline_kernelINS0_14default_configENS1_38merge_sort_block_merge_config_selectorIhlEEZZNS1_27merge_sort_block_merge_implIS3_PhN6thrust23THRUST_200600_302600_NS10device_ptrIlEEjNS1_19radix_merge_compareILb0ELb1EhNS0_19identity_decomposerEEEEE10hipError_tT0_T1_T2_jT3_P12ihipStream_tbPNSt15iterator_traitsISG_E10value_typeEPNSM_ISH_E10value_typeEPSI_NS1_7vsmem_tEENKUlT_SG_SH_SI_E_clIS7_S7_SB_PlEESF_SV_SG_SH_SI_EUlSV_E_NS1_11comp_targetILNS1_3genE5ELNS1_11target_archE942ELNS1_3gpuE9ELNS1_3repE0EEENS1_48merge_mergepath_partition_config_static_selectorELNS0_4arch9wavefront6targetE1EEEvSH_
                                        ; -- End function
	.section	.AMDGPU.csdata,"",@progbits
; Kernel info:
; codeLenInByte = 0
; NumSgprs: 4
; NumVgprs: 0
; NumAgprs: 0
; TotalNumVgprs: 0
; ScratchSize: 0
; MemoryBound: 0
; FloatMode: 240
; IeeeMode: 1
; LDSByteSize: 0 bytes/workgroup (compile time only)
; SGPRBlocks: 0
; VGPRBlocks: 0
; NumSGPRsForWavesPerEU: 4
; NumVGPRsForWavesPerEU: 1
; AccumOffset: 4
; Occupancy: 8
; WaveLimiterHint : 0
; COMPUTE_PGM_RSRC2:SCRATCH_EN: 0
; COMPUTE_PGM_RSRC2:USER_SGPR: 6
; COMPUTE_PGM_RSRC2:TRAP_HANDLER: 0
; COMPUTE_PGM_RSRC2:TGID_X_EN: 1
; COMPUTE_PGM_RSRC2:TGID_Y_EN: 0
; COMPUTE_PGM_RSRC2:TGID_Z_EN: 0
; COMPUTE_PGM_RSRC2:TIDIG_COMP_CNT: 0
; COMPUTE_PGM_RSRC3_GFX90A:ACCUM_OFFSET: 0
; COMPUTE_PGM_RSRC3_GFX90A:TG_SPLIT: 0
	.section	.text._ZN7rocprim17ROCPRIM_400000_NS6detail17trampoline_kernelINS0_14default_configENS1_38merge_sort_block_merge_config_selectorIhlEEZZNS1_27merge_sort_block_merge_implIS3_PhN6thrust23THRUST_200600_302600_NS10device_ptrIlEEjNS1_19radix_merge_compareILb0ELb1EhNS0_19identity_decomposerEEEEE10hipError_tT0_T1_T2_jT3_P12ihipStream_tbPNSt15iterator_traitsISG_E10value_typeEPNSM_ISH_E10value_typeEPSI_NS1_7vsmem_tEENKUlT_SG_SH_SI_E_clIS7_S7_SB_PlEESF_SV_SG_SH_SI_EUlSV_E_NS1_11comp_targetILNS1_3genE4ELNS1_11target_archE910ELNS1_3gpuE8ELNS1_3repE0EEENS1_48merge_mergepath_partition_config_static_selectorELNS0_4arch9wavefront6targetE1EEEvSH_,"axG",@progbits,_ZN7rocprim17ROCPRIM_400000_NS6detail17trampoline_kernelINS0_14default_configENS1_38merge_sort_block_merge_config_selectorIhlEEZZNS1_27merge_sort_block_merge_implIS3_PhN6thrust23THRUST_200600_302600_NS10device_ptrIlEEjNS1_19radix_merge_compareILb0ELb1EhNS0_19identity_decomposerEEEEE10hipError_tT0_T1_T2_jT3_P12ihipStream_tbPNSt15iterator_traitsISG_E10value_typeEPNSM_ISH_E10value_typeEPSI_NS1_7vsmem_tEENKUlT_SG_SH_SI_E_clIS7_S7_SB_PlEESF_SV_SG_SH_SI_EUlSV_E_NS1_11comp_targetILNS1_3genE4ELNS1_11target_archE910ELNS1_3gpuE8ELNS1_3repE0EEENS1_48merge_mergepath_partition_config_static_selectorELNS0_4arch9wavefront6targetE1EEEvSH_,comdat
	.protected	_ZN7rocprim17ROCPRIM_400000_NS6detail17trampoline_kernelINS0_14default_configENS1_38merge_sort_block_merge_config_selectorIhlEEZZNS1_27merge_sort_block_merge_implIS3_PhN6thrust23THRUST_200600_302600_NS10device_ptrIlEEjNS1_19radix_merge_compareILb0ELb1EhNS0_19identity_decomposerEEEEE10hipError_tT0_T1_T2_jT3_P12ihipStream_tbPNSt15iterator_traitsISG_E10value_typeEPNSM_ISH_E10value_typeEPSI_NS1_7vsmem_tEENKUlT_SG_SH_SI_E_clIS7_S7_SB_PlEESF_SV_SG_SH_SI_EUlSV_E_NS1_11comp_targetILNS1_3genE4ELNS1_11target_archE910ELNS1_3gpuE8ELNS1_3repE0EEENS1_48merge_mergepath_partition_config_static_selectorELNS0_4arch9wavefront6targetE1EEEvSH_ ; -- Begin function _ZN7rocprim17ROCPRIM_400000_NS6detail17trampoline_kernelINS0_14default_configENS1_38merge_sort_block_merge_config_selectorIhlEEZZNS1_27merge_sort_block_merge_implIS3_PhN6thrust23THRUST_200600_302600_NS10device_ptrIlEEjNS1_19radix_merge_compareILb0ELb1EhNS0_19identity_decomposerEEEEE10hipError_tT0_T1_T2_jT3_P12ihipStream_tbPNSt15iterator_traitsISG_E10value_typeEPNSM_ISH_E10value_typeEPSI_NS1_7vsmem_tEENKUlT_SG_SH_SI_E_clIS7_S7_SB_PlEESF_SV_SG_SH_SI_EUlSV_E_NS1_11comp_targetILNS1_3genE4ELNS1_11target_archE910ELNS1_3gpuE8ELNS1_3repE0EEENS1_48merge_mergepath_partition_config_static_selectorELNS0_4arch9wavefront6targetE1EEEvSH_
	.globl	_ZN7rocprim17ROCPRIM_400000_NS6detail17trampoline_kernelINS0_14default_configENS1_38merge_sort_block_merge_config_selectorIhlEEZZNS1_27merge_sort_block_merge_implIS3_PhN6thrust23THRUST_200600_302600_NS10device_ptrIlEEjNS1_19radix_merge_compareILb0ELb1EhNS0_19identity_decomposerEEEEE10hipError_tT0_T1_T2_jT3_P12ihipStream_tbPNSt15iterator_traitsISG_E10value_typeEPNSM_ISH_E10value_typeEPSI_NS1_7vsmem_tEENKUlT_SG_SH_SI_E_clIS7_S7_SB_PlEESF_SV_SG_SH_SI_EUlSV_E_NS1_11comp_targetILNS1_3genE4ELNS1_11target_archE910ELNS1_3gpuE8ELNS1_3repE0EEENS1_48merge_mergepath_partition_config_static_selectorELNS0_4arch9wavefront6targetE1EEEvSH_
	.p2align	8
	.type	_ZN7rocprim17ROCPRIM_400000_NS6detail17trampoline_kernelINS0_14default_configENS1_38merge_sort_block_merge_config_selectorIhlEEZZNS1_27merge_sort_block_merge_implIS3_PhN6thrust23THRUST_200600_302600_NS10device_ptrIlEEjNS1_19radix_merge_compareILb0ELb1EhNS0_19identity_decomposerEEEEE10hipError_tT0_T1_T2_jT3_P12ihipStream_tbPNSt15iterator_traitsISG_E10value_typeEPNSM_ISH_E10value_typeEPSI_NS1_7vsmem_tEENKUlT_SG_SH_SI_E_clIS7_S7_SB_PlEESF_SV_SG_SH_SI_EUlSV_E_NS1_11comp_targetILNS1_3genE4ELNS1_11target_archE910ELNS1_3gpuE8ELNS1_3repE0EEENS1_48merge_mergepath_partition_config_static_selectorELNS0_4arch9wavefront6targetE1EEEvSH_,@function
_ZN7rocprim17ROCPRIM_400000_NS6detail17trampoline_kernelINS0_14default_configENS1_38merge_sort_block_merge_config_selectorIhlEEZZNS1_27merge_sort_block_merge_implIS3_PhN6thrust23THRUST_200600_302600_NS10device_ptrIlEEjNS1_19radix_merge_compareILb0ELb1EhNS0_19identity_decomposerEEEEE10hipError_tT0_T1_T2_jT3_P12ihipStream_tbPNSt15iterator_traitsISG_E10value_typeEPNSM_ISH_E10value_typeEPSI_NS1_7vsmem_tEENKUlT_SG_SH_SI_E_clIS7_S7_SB_PlEESF_SV_SG_SH_SI_EUlSV_E_NS1_11comp_targetILNS1_3genE4ELNS1_11target_archE910ELNS1_3gpuE8ELNS1_3repE0EEENS1_48merge_mergepath_partition_config_static_selectorELNS0_4arch9wavefront6targetE1EEEvSH_: ; @_ZN7rocprim17ROCPRIM_400000_NS6detail17trampoline_kernelINS0_14default_configENS1_38merge_sort_block_merge_config_selectorIhlEEZZNS1_27merge_sort_block_merge_implIS3_PhN6thrust23THRUST_200600_302600_NS10device_ptrIlEEjNS1_19radix_merge_compareILb0ELb1EhNS0_19identity_decomposerEEEEE10hipError_tT0_T1_T2_jT3_P12ihipStream_tbPNSt15iterator_traitsISG_E10value_typeEPNSM_ISH_E10value_typeEPSI_NS1_7vsmem_tEENKUlT_SG_SH_SI_E_clIS7_S7_SB_PlEESF_SV_SG_SH_SI_EUlSV_E_NS1_11comp_targetILNS1_3genE4ELNS1_11target_archE910ELNS1_3gpuE8ELNS1_3repE0EEENS1_48merge_mergepath_partition_config_static_selectorELNS0_4arch9wavefront6targetE1EEEvSH_
; %bb.0:
	s_load_dword s0, s[4:5], 0x0
	v_lshl_or_b32 v0, s6, 7, v0
	s_waitcnt lgkmcnt(0)
	v_cmp_gt_u32_e32 vcc, s0, v0
	s_and_saveexec_b64 s[0:1], vcc
	s_cbranch_execz .LBB216_6
; %bb.1:
	s_load_dwordx2 s[2:3], s[4:5], 0x4
	s_load_dwordx2 s[0:1], s[4:5], 0x20
	s_waitcnt lgkmcnt(0)
	s_lshr_b32 s6, s2, 9
	s_and_b32 s6, s6, 0x7ffffe
	s_add_i32 s7, s6, -1
	s_sub_i32 s6, 0, s6
	v_and_b32_e32 v1, s6, v0
	v_lshlrev_b32_e32 v3, 10, v1
	v_min_u32_e32 v1, s3, v3
	v_add_u32_e32 v3, s2, v3
	v_min_u32_e32 v7, s3, v3
	v_add_u32_e32 v3, s2, v7
	v_and_b32_e32 v2, s7, v0
	v_min_u32_e32 v4, s3, v3
	v_sub_u32_e32 v3, v4, v1
	v_lshlrev_b32_e32 v2, 10, v2
	v_min_u32_e32 v3, v3, v2
	v_sub_u32_e32 v5, v7, v1
	v_sub_u32_e32 v2, v4, v7
	v_sub_u32_e64 v2, v3, v2 clamp
	v_min_u32_e32 v4, v3, v5
	v_cmp_lt_u32_e32 vcc, v2, v4
	s_and_saveexec_b64 s[2:3], vcc
	s_cbranch_execz .LBB216_5
; %bb.2:
	s_load_dwordx2 s[8:9], s[4:5], 0x10
	s_load_dword s6, s[4:5], 0x18
	s_mov_b64 s[4:5], 0
	s_waitcnt lgkmcnt(0)
	v_mov_b32_e32 v8, s9
	v_add_co_u32_e32 v5, vcc, s8, v1
	v_addc_co_u32_e32 v6, vcc, 0, v8, vcc
	v_add_co_u32_e32 v7, vcc, s8, v7
	v_addc_co_u32_e32 v8, vcc, 0, v8, vcc
.LBB216_3:                              ; =>This Inner Loop Header: Depth=1
	v_add_u32_e32 v9, v4, v2
	v_lshrrev_b32_e32 v9, 1, v9
	v_add_co_u32_e32 v10, vcc, v5, v9
	v_xad_u32 v12, v9, -1, v3
	v_addc_co_u32_e32 v11, vcc, 0, v6, vcc
	v_add_co_u32_e32 v12, vcc, v7, v12
	v_addc_co_u32_e32 v13, vcc, 0, v8, vcc
	global_load_ubyte v14, v[10:11], off
	global_load_ubyte v15, v[12:13], off
	v_add_u32_e32 v10, 1, v9
	s_waitcnt vmcnt(1)
	v_and_b32_e32 v11, s6, v14
	s_waitcnt vmcnt(0)
	v_and_b32_e32 v12, s6, v15
	v_cmp_gt_u16_sdwa vcc, v11, v12 src0_sel:BYTE_0 src1_sel:BYTE_0
	v_cndmask_b32_e32 v4, v4, v9, vcc
	v_cndmask_b32_e32 v2, v10, v2, vcc
	v_cmp_ge_u32_e32 vcc, v2, v4
	s_or_b64 s[4:5], vcc, s[4:5]
	s_andn2_b64 exec, exec, s[4:5]
	s_cbranch_execnz .LBB216_3
; %bb.4:
	s_or_b64 exec, exec, s[4:5]
.LBB216_5:
	s_or_b64 exec, exec, s[2:3]
	v_add_u32_e32 v2, v2, v1
	v_mov_b32_e32 v1, 0
	v_lshlrev_b64 v[0:1], 2, v[0:1]
	v_mov_b32_e32 v3, s1
	v_add_co_u32_e32 v0, vcc, s0, v0
	v_addc_co_u32_e32 v1, vcc, v3, v1, vcc
	global_store_dword v[0:1], v2, off
.LBB216_6:
	s_endpgm
	.section	.rodata,"a",@progbits
	.p2align	6, 0x0
	.amdhsa_kernel _ZN7rocprim17ROCPRIM_400000_NS6detail17trampoline_kernelINS0_14default_configENS1_38merge_sort_block_merge_config_selectorIhlEEZZNS1_27merge_sort_block_merge_implIS3_PhN6thrust23THRUST_200600_302600_NS10device_ptrIlEEjNS1_19radix_merge_compareILb0ELb1EhNS0_19identity_decomposerEEEEE10hipError_tT0_T1_T2_jT3_P12ihipStream_tbPNSt15iterator_traitsISG_E10value_typeEPNSM_ISH_E10value_typeEPSI_NS1_7vsmem_tEENKUlT_SG_SH_SI_E_clIS7_S7_SB_PlEESF_SV_SG_SH_SI_EUlSV_E_NS1_11comp_targetILNS1_3genE4ELNS1_11target_archE910ELNS1_3gpuE8ELNS1_3repE0EEENS1_48merge_mergepath_partition_config_static_selectorELNS0_4arch9wavefront6targetE1EEEvSH_
		.amdhsa_group_segment_fixed_size 0
		.amdhsa_private_segment_fixed_size 0
		.amdhsa_kernarg_size 40
		.amdhsa_user_sgpr_count 6
		.amdhsa_user_sgpr_private_segment_buffer 1
		.amdhsa_user_sgpr_dispatch_ptr 0
		.amdhsa_user_sgpr_queue_ptr 0
		.amdhsa_user_sgpr_kernarg_segment_ptr 1
		.amdhsa_user_sgpr_dispatch_id 0
		.amdhsa_user_sgpr_flat_scratch_init 0
		.amdhsa_user_sgpr_kernarg_preload_length 0
		.amdhsa_user_sgpr_kernarg_preload_offset 0
		.amdhsa_user_sgpr_private_segment_size 0
		.amdhsa_uses_dynamic_stack 0
		.amdhsa_system_sgpr_private_segment_wavefront_offset 0
		.amdhsa_system_sgpr_workgroup_id_x 1
		.amdhsa_system_sgpr_workgroup_id_y 0
		.amdhsa_system_sgpr_workgroup_id_z 0
		.amdhsa_system_sgpr_workgroup_info 0
		.amdhsa_system_vgpr_workitem_id 0
		.amdhsa_next_free_vgpr 16
		.amdhsa_next_free_sgpr 10
		.amdhsa_accum_offset 16
		.amdhsa_reserve_vcc 1
		.amdhsa_reserve_flat_scratch 0
		.amdhsa_float_round_mode_32 0
		.amdhsa_float_round_mode_16_64 0
		.amdhsa_float_denorm_mode_32 3
		.amdhsa_float_denorm_mode_16_64 3
		.amdhsa_dx10_clamp 1
		.amdhsa_ieee_mode 1
		.amdhsa_fp16_overflow 0
		.amdhsa_tg_split 0
		.amdhsa_exception_fp_ieee_invalid_op 0
		.amdhsa_exception_fp_denorm_src 0
		.amdhsa_exception_fp_ieee_div_zero 0
		.amdhsa_exception_fp_ieee_overflow 0
		.amdhsa_exception_fp_ieee_underflow 0
		.amdhsa_exception_fp_ieee_inexact 0
		.amdhsa_exception_int_div_zero 0
	.end_amdhsa_kernel
	.section	.text._ZN7rocprim17ROCPRIM_400000_NS6detail17trampoline_kernelINS0_14default_configENS1_38merge_sort_block_merge_config_selectorIhlEEZZNS1_27merge_sort_block_merge_implIS3_PhN6thrust23THRUST_200600_302600_NS10device_ptrIlEEjNS1_19radix_merge_compareILb0ELb1EhNS0_19identity_decomposerEEEEE10hipError_tT0_T1_T2_jT3_P12ihipStream_tbPNSt15iterator_traitsISG_E10value_typeEPNSM_ISH_E10value_typeEPSI_NS1_7vsmem_tEENKUlT_SG_SH_SI_E_clIS7_S7_SB_PlEESF_SV_SG_SH_SI_EUlSV_E_NS1_11comp_targetILNS1_3genE4ELNS1_11target_archE910ELNS1_3gpuE8ELNS1_3repE0EEENS1_48merge_mergepath_partition_config_static_selectorELNS0_4arch9wavefront6targetE1EEEvSH_,"axG",@progbits,_ZN7rocprim17ROCPRIM_400000_NS6detail17trampoline_kernelINS0_14default_configENS1_38merge_sort_block_merge_config_selectorIhlEEZZNS1_27merge_sort_block_merge_implIS3_PhN6thrust23THRUST_200600_302600_NS10device_ptrIlEEjNS1_19radix_merge_compareILb0ELb1EhNS0_19identity_decomposerEEEEE10hipError_tT0_T1_T2_jT3_P12ihipStream_tbPNSt15iterator_traitsISG_E10value_typeEPNSM_ISH_E10value_typeEPSI_NS1_7vsmem_tEENKUlT_SG_SH_SI_E_clIS7_S7_SB_PlEESF_SV_SG_SH_SI_EUlSV_E_NS1_11comp_targetILNS1_3genE4ELNS1_11target_archE910ELNS1_3gpuE8ELNS1_3repE0EEENS1_48merge_mergepath_partition_config_static_selectorELNS0_4arch9wavefront6targetE1EEEvSH_,comdat
.Lfunc_end216:
	.size	_ZN7rocprim17ROCPRIM_400000_NS6detail17trampoline_kernelINS0_14default_configENS1_38merge_sort_block_merge_config_selectorIhlEEZZNS1_27merge_sort_block_merge_implIS3_PhN6thrust23THRUST_200600_302600_NS10device_ptrIlEEjNS1_19radix_merge_compareILb0ELb1EhNS0_19identity_decomposerEEEEE10hipError_tT0_T1_T2_jT3_P12ihipStream_tbPNSt15iterator_traitsISG_E10value_typeEPNSM_ISH_E10value_typeEPSI_NS1_7vsmem_tEENKUlT_SG_SH_SI_E_clIS7_S7_SB_PlEESF_SV_SG_SH_SI_EUlSV_E_NS1_11comp_targetILNS1_3genE4ELNS1_11target_archE910ELNS1_3gpuE8ELNS1_3repE0EEENS1_48merge_mergepath_partition_config_static_selectorELNS0_4arch9wavefront6targetE1EEEvSH_, .Lfunc_end216-_ZN7rocprim17ROCPRIM_400000_NS6detail17trampoline_kernelINS0_14default_configENS1_38merge_sort_block_merge_config_selectorIhlEEZZNS1_27merge_sort_block_merge_implIS3_PhN6thrust23THRUST_200600_302600_NS10device_ptrIlEEjNS1_19radix_merge_compareILb0ELb1EhNS0_19identity_decomposerEEEEE10hipError_tT0_T1_T2_jT3_P12ihipStream_tbPNSt15iterator_traitsISG_E10value_typeEPNSM_ISH_E10value_typeEPSI_NS1_7vsmem_tEENKUlT_SG_SH_SI_E_clIS7_S7_SB_PlEESF_SV_SG_SH_SI_EUlSV_E_NS1_11comp_targetILNS1_3genE4ELNS1_11target_archE910ELNS1_3gpuE8ELNS1_3repE0EEENS1_48merge_mergepath_partition_config_static_selectorELNS0_4arch9wavefront6targetE1EEEvSH_
                                        ; -- End function
	.section	.AMDGPU.csdata,"",@progbits
; Kernel info:
; codeLenInByte = 340
; NumSgprs: 14
; NumVgprs: 16
; NumAgprs: 0
; TotalNumVgprs: 16
; ScratchSize: 0
; MemoryBound: 0
; FloatMode: 240
; IeeeMode: 1
; LDSByteSize: 0 bytes/workgroup (compile time only)
; SGPRBlocks: 1
; VGPRBlocks: 1
; NumSGPRsForWavesPerEU: 14
; NumVGPRsForWavesPerEU: 16
; AccumOffset: 16
; Occupancy: 8
; WaveLimiterHint : 0
; COMPUTE_PGM_RSRC2:SCRATCH_EN: 0
; COMPUTE_PGM_RSRC2:USER_SGPR: 6
; COMPUTE_PGM_RSRC2:TRAP_HANDLER: 0
; COMPUTE_PGM_RSRC2:TGID_X_EN: 1
; COMPUTE_PGM_RSRC2:TGID_Y_EN: 0
; COMPUTE_PGM_RSRC2:TGID_Z_EN: 0
; COMPUTE_PGM_RSRC2:TIDIG_COMP_CNT: 0
; COMPUTE_PGM_RSRC3_GFX90A:ACCUM_OFFSET: 3
; COMPUTE_PGM_RSRC3_GFX90A:TG_SPLIT: 0
	.section	.text._ZN7rocprim17ROCPRIM_400000_NS6detail17trampoline_kernelINS0_14default_configENS1_38merge_sort_block_merge_config_selectorIhlEEZZNS1_27merge_sort_block_merge_implIS3_PhN6thrust23THRUST_200600_302600_NS10device_ptrIlEEjNS1_19radix_merge_compareILb0ELb1EhNS0_19identity_decomposerEEEEE10hipError_tT0_T1_T2_jT3_P12ihipStream_tbPNSt15iterator_traitsISG_E10value_typeEPNSM_ISH_E10value_typeEPSI_NS1_7vsmem_tEENKUlT_SG_SH_SI_E_clIS7_S7_SB_PlEESF_SV_SG_SH_SI_EUlSV_E_NS1_11comp_targetILNS1_3genE3ELNS1_11target_archE908ELNS1_3gpuE7ELNS1_3repE0EEENS1_48merge_mergepath_partition_config_static_selectorELNS0_4arch9wavefront6targetE1EEEvSH_,"axG",@progbits,_ZN7rocprim17ROCPRIM_400000_NS6detail17trampoline_kernelINS0_14default_configENS1_38merge_sort_block_merge_config_selectorIhlEEZZNS1_27merge_sort_block_merge_implIS3_PhN6thrust23THRUST_200600_302600_NS10device_ptrIlEEjNS1_19radix_merge_compareILb0ELb1EhNS0_19identity_decomposerEEEEE10hipError_tT0_T1_T2_jT3_P12ihipStream_tbPNSt15iterator_traitsISG_E10value_typeEPNSM_ISH_E10value_typeEPSI_NS1_7vsmem_tEENKUlT_SG_SH_SI_E_clIS7_S7_SB_PlEESF_SV_SG_SH_SI_EUlSV_E_NS1_11comp_targetILNS1_3genE3ELNS1_11target_archE908ELNS1_3gpuE7ELNS1_3repE0EEENS1_48merge_mergepath_partition_config_static_selectorELNS0_4arch9wavefront6targetE1EEEvSH_,comdat
	.protected	_ZN7rocprim17ROCPRIM_400000_NS6detail17trampoline_kernelINS0_14default_configENS1_38merge_sort_block_merge_config_selectorIhlEEZZNS1_27merge_sort_block_merge_implIS3_PhN6thrust23THRUST_200600_302600_NS10device_ptrIlEEjNS1_19radix_merge_compareILb0ELb1EhNS0_19identity_decomposerEEEEE10hipError_tT0_T1_T2_jT3_P12ihipStream_tbPNSt15iterator_traitsISG_E10value_typeEPNSM_ISH_E10value_typeEPSI_NS1_7vsmem_tEENKUlT_SG_SH_SI_E_clIS7_S7_SB_PlEESF_SV_SG_SH_SI_EUlSV_E_NS1_11comp_targetILNS1_3genE3ELNS1_11target_archE908ELNS1_3gpuE7ELNS1_3repE0EEENS1_48merge_mergepath_partition_config_static_selectorELNS0_4arch9wavefront6targetE1EEEvSH_ ; -- Begin function _ZN7rocprim17ROCPRIM_400000_NS6detail17trampoline_kernelINS0_14default_configENS1_38merge_sort_block_merge_config_selectorIhlEEZZNS1_27merge_sort_block_merge_implIS3_PhN6thrust23THRUST_200600_302600_NS10device_ptrIlEEjNS1_19radix_merge_compareILb0ELb1EhNS0_19identity_decomposerEEEEE10hipError_tT0_T1_T2_jT3_P12ihipStream_tbPNSt15iterator_traitsISG_E10value_typeEPNSM_ISH_E10value_typeEPSI_NS1_7vsmem_tEENKUlT_SG_SH_SI_E_clIS7_S7_SB_PlEESF_SV_SG_SH_SI_EUlSV_E_NS1_11comp_targetILNS1_3genE3ELNS1_11target_archE908ELNS1_3gpuE7ELNS1_3repE0EEENS1_48merge_mergepath_partition_config_static_selectorELNS0_4arch9wavefront6targetE1EEEvSH_
	.globl	_ZN7rocprim17ROCPRIM_400000_NS6detail17trampoline_kernelINS0_14default_configENS1_38merge_sort_block_merge_config_selectorIhlEEZZNS1_27merge_sort_block_merge_implIS3_PhN6thrust23THRUST_200600_302600_NS10device_ptrIlEEjNS1_19radix_merge_compareILb0ELb1EhNS0_19identity_decomposerEEEEE10hipError_tT0_T1_T2_jT3_P12ihipStream_tbPNSt15iterator_traitsISG_E10value_typeEPNSM_ISH_E10value_typeEPSI_NS1_7vsmem_tEENKUlT_SG_SH_SI_E_clIS7_S7_SB_PlEESF_SV_SG_SH_SI_EUlSV_E_NS1_11comp_targetILNS1_3genE3ELNS1_11target_archE908ELNS1_3gpuE7ELNS1_3repE0EEENS1_48merge_mergepath_partition_config_static_selectorELNS0_4arch9wavefront6targetE1EEEvSH_
	.p2align	8
	.type	_ZN7rocprim17ROCPRIM_400000_NS6detail17trampoline_kernelINS0_14default_configENS1_38merge_sort_block_merge_config_selectorIhlEEZZNS1_27merge_sort_block_merge_implIS3_PhN6thrust23THRUST_200600_302600_NS10device_ptrIlEEjNS1_19radix_merge_compareILb0ELb1EhNS0_19identity_decomposerEEEEE10hipError_tT0_T1_T2_jT3_P12ihipStream_tbPNSt15iterator_traitsISG_E10value_typeEPNSM_ISH_E10value_typeEPSI_NS1_7vsmem_tEENKUlT_SG_SH_SI_E_clIS7_S7_SB_PlEESF_SV_SG_SH_SI_EUlSV_E_NS1_11comp_targetILNS1_3genE3ELNS1_11target_archE908ELNS1_3gpuE7ELNS1_3repE0EEENS1_48merge_mergepath_partition_config_static_selectorELNS0_4arch9wavefront6targetE1EEEvSH_,@function
_ZN7rocprim17ROCPRIM_400000_NS6detail17trampoline_kernelINS0_14default_configENS1_38merge_sort_block_merge_config_selectorIhlEEZZNS1_27merge_sort_block_merge_implIS3_PhN6thrust23THRUST_200600_302600_NS10device_ptrIlEEjNS1_19radix_merge_compareILb0ELb1EhNS0_19identity_decomposerEEEEE10hipError_tT0_T1_T2_jT3_P12ihipStream_tbPNSt15iterator_traitsISG_E10value_typeEPNSM_ISH_E10value_typeEPSI_NS1_7vsmem_tEENKUlT_SG_SH_SI_E_clIS7_S7_SB_PlEESF_SV_SG_SH_SI_EUlSV_E_NS1_11comp_targetILNS1_3genE3ELNS1_11target_archE908ELNS1_3gpuE7ELNS1_3repE0EEENS1_48merge_mergepath_partition_config_static_selectorELNS0_4arch9wavefront6targetE1EEEvSH_: ; @_ZN7rocprim17ROCPRIM_400000_NS6detail17trampoline_kernelINS0_14default_configENS1_38merge_sort_block_merge_config_selectorIhlEEZZNS1_27merge_sort_block_merge_implIS3_PhN6thrust23THRUST_200600_302600_NS10device_ptrIlEEjNS1_19radix_merge_compareILb0ELb1EhNS0_19identity_decomposerEEEEE10hipError_tT0_T1_T2_jT3_P12ihipStream_tbPNSt15iterator_traitsISG_E10value_typeEPNSM_ISH_E10value_typeEPSI_NS1_7vsmem_tEENKUlT_SG_SH_SI_E_clIS7_S7_SB_PlEESF_SV_SG_SH_SI_EUlSV_E_NS1_11comp_targetILNS1_3genE3ELNS1_11target_archE908ELNS1_3gpuE7ELNS1_3repE0EEENS1_48merge_mergepath_partition_config_static_selectorELNS0_4arch9wavefront6targetE1EEEvSH_
; %bb.0:
	.section	.rodata,"a",@progbits
	.p2align	6, 0x0
	.amdhsa_kernel _ZN7rocprim17ROCPRIM_400000_NS6detail17trampoline_kernelINS0_14default_configENS1_38merge_sort_block_merge_config_selectorIhlEEZZNS1_27merge_sort_block_merge_implIS3_PhN6thrust23THRUST_200600_302600_NS10device_ptrIlEEjNS1_19radix_merge_compareILb0ELb1EhNS0_19identity_decomposerEEEEE10hipError_tT0_T1_T2_jT3_P12ihipStream_tbPNSt15iterator_traitsISG_E10value_typeEPNSM_ISH_E10value_typeEPSI_NS1_7vsmem_tEENKUlT_SG_SH_SI_E_clIS7_S7_SB_PlEESF_SV_SG_SH_SI_EUlSV_E_NS1_11comp_targetILNS1_3genE3ELNS1_11target_archE908ELNS1_3gpuE7ELNS1_3repE0EEENS1_48merge_mergepath_partition_config_static_selectorELNS0_4arch9wavefront6targetE1EEEvSH_
		.amdhsa_group_segment_fixed_size 0
		.amdhsa_private_segment_fixed_size 0
		.amdhsa_kernarg_size 40
		.amdhsa_user_sgpr_count 6
		.amdhsa_user_sgpr_private_segment_buffer 1
		.amdhsa_user_sgpr_dispatch_ptr 0
		.amdhsa_user_sgpr_queue_ptr 0
		.amdhsa_user_sgpr_kernarg_segment_ptr 1
		.amdhsa_user_sgpr_dispatch_id 0
		.amdhsa_user_sgpr_flat_scratch_init 0
		.amdhsa_user_sgpr_kernarg_preload_length 0
		.amdhsa_user_sgpr_kernarg_preload_offset 0
		.amdhsa_user_sgpr_private_segment_size 0
		.amdhsa_uses_dynamic_stack 0
		.amdhsa_system_sgpr_private_segment_wavefront_offset 0
		.amdhsa_system_sgpr_workgroup_id_x 1
		.amdhsa_system_sgpr_workgroup_id_y 0
		.amdhsa_system_sgpr_workgroup_id_z 0
		.amdhsa_system_sgpr_workgroup_info 0
		.amdhsa_system_vgpr_workitem_id 0
		.amdhsa_next_free_vgpr 1
		.amdhsa_next_free_sgpr 0
		.amdhsa_accum_offset 4
		.amdhsa_reserve_vcc 0
		.amdhsa_reserve_flat_scratch 0
		.amdhsa_float_round_mode_32 0
		.amdhsa_float_round_mode_16_64 0
		.amdhsa_float_denorm_mode_32 3
		.amdhsa_float_denorm_mode_16_64 3
		.amdhsa_dx10_clamp 1
		.amdhsa_ieee_mode 1
		.amdhsa_fp16_overflow 0
		.amdhsa_tg_split 0
		.amdhsa_exception_fp_ieee_invalid_op 0
		.amdhsa_exception_fp_denorm_src 0
		.amdhsa_exception_fp_ieee_div_zero 0
		.amdhsa_exception_fp_ieee_overflow 0
		.amdhsa_exception_fp_ieee_underflow 0
		.amdhsa_exception_fp_ieee_inexact 0
		.amdhsa_exception_int_div_zero 0
	.end_amdhsa_kernel
	.section	.text._ZN7rocprim17ROCPRIM_400000_NS6detail17trampoline_kernelINS0_14default_configENS1_38merge_sort_block_merge_config_selectorIhlEEZZNS1_27merge_sort_block_merge_implIS3_PhN6thrust23THRUST_200600_302600_NS10device_ptrIlEEjNS1_19radix_merge_compareILb0ELb1EhNS0_19identity_decomposerEEEEE10hipError_tT0_T1_T2_jT3_P12ihipStream_tbPNSt15iterator_traitsISG_E10value_typeEPNSM_ISH_E10value_typeEPSI_NS1_7vsmem_tEENKUlT_SG_SH_SI_E_clIS7_S7_SB_PlEESF_SV_SG_SH_SI_EUlSV_E_NS1_11comp_targetILNS1_3genE3ELNS1_11target_archE908ELNS1_3gpuE7ELNS1_3repE0EEENS1_48merge_mergepath_partition_config_static_selectorELNS0_4arch9wavefront6targetE1EEEvSH_,"axG",@progbits,_ZN7rocprim17ROCPRIM_400000_NS6detail17trampoline_kernelINS0_14default_configENS1_38merge_sort_block_merge_config_selectorIhlEEZZNS1_27merge_sort_block_merge_implIS3_PhN6thrust23THRUST_200600_302600_NS10device_ptrIlEEjNS1_19radix_merge_compareILb0ELb1EhNS0_19identity_decomposerEEEEE10hipError_tT0_T1_T2_jT3_P12ihipStream_tbPNSt15iterator_traitsISG_E10value_typeEPNSM_ISH_E10value_typeEPSI_NS1_7vsmem_tEENKUlT_SG_SH_SI_E_clIS7_S7_SB_PlEESF_SV_SG_SH_SI_EUlSV_E_NS1_11comp_targetILNS1_3genE3ELNS1_11target_archE908ELNS1_3gpuE7ELNS1_3repE0EEENS1_48merge_mergepath_partition_config_static_selectorELNS0_4arch9wavefront6targetE1EEEvSH_,comdat
.Lfunc_end217:
	.size	_ZN7rocprim17ROCPRIM_400000_NS6detail17trampoline_kernelINS0_14default_configENS1_38merge_sort_block_merge_config_selectorIhlEEZZNS1_27merge_sort_block_merge_implIS3_PhN6thrust23THRUST_200600_302600_NS10device_ptrIlEEjNS1_19radix_merge_compareILb0ELb1EhNS0_19identity_decomposerEEEEE10hipError_tT0_T1_T2_jT3_P12ihipStream_tbPNSt15iterator_traitsISG_E10value_typeEPNSM_ISH_E10value_typeEPSI_NS1_7vsmem_tEENKUlT_SG_SH_SI_E_clIS7_S7_SB_PlEESF_SV_SG_SH_SI_EUlSV_E_NS1_11comp_targetILNS1_3genE3ELNS1_11target_archE908ELNS1_3gpuE7ELNS1_3repE0EEENS1_48merge_mergepath_partition_config_static_selectorELNS0_4arch9wavefront6targetE1EEEvSH_, .Lfunc_end217-_ZN7rocprim17ROCPRIM_400000_NS6detail17trampoline_kernelINS0_14default_configENS1_38merge_sort_block_merge_config_selectorIhlEEZZNS1_27merge_sort_block_merge_implIS3_PhN6thrust23THRUST_200600_302600_NS10device_ptrIlEEjNS1_19radix_merge_compareILb0ELb1EhNS0_19identity_decomposerEEEEE10hipError_tT0_T1_T2_jT3_P12ihipStream_tbPNSt15iterator_traitsISG_E10value_typeEPNSM_ISH_E10value_typeEPSI_NS1_7vsmem_tEENKUlT_SG_SH_SI_E_clIS7_S7_SB_PlEESF_SV_SG_SH_SI_EUlSV_E_NS1_11comp_targetILNS1_3genE3ELNS1_11target_archE908ELNS1_3gpuE7ELNS1_3repE0EEENS1_48merge_mergepath_partition_config_static_selectorELNS0_4arch9wavefront6targetE1EEEvSH_
                                        ; -- End function
	.section	.AMDGPU.csdata,"",@progbits
; Kernel info:
; codeLenInByte = 0
; NumSgprs: 4
; NumVgprs: 0
; NumAgprs: 0
; TotalNumVgprs: 0
; ScratchSize: 0
; MemoryBound: 0
; FloatMode: 240
; IeeeMode: 1
; LDSByteSize: 0 bytes/workgroup (compile time only)
; SGPRBlocks: 0
; VGPRBlocks: 0
; NumSGPRsForWavesPerEU: 4
; NumVGPRsForWavesPerEU: 1
; AccumOffset: 4
; Occupancy: 8
; WaveLimiterHint : 0
; COMPUTE_PGM_RSRC2:SCRATCH_EN: 0
; COMPUTE_PGM_RSRC2:USER_SGPR: 6
; COMPUTE_PGM_RSRC2:TRAP_HANDLER: 0
; COMPUTE_PGM_RSRC2:TGID_X_EN: 1
; COMPUTE_PGM_RSRC2:TGID_Y_EN: 0
; COMPUTE_PGM_RSRC2:TGID_Z_EN: 0
; COMPUTE_PGM_RSRC2:TIDIG_COMP_CNT: 0
; COMPUTE_PGM_RSRC3_GFX90A:ACCUM_OFFSET: 0
; COMPUTE_PGM_RSRC3_GFX90A:TG_SPLIT: 0
	.section	.text._ZN7rocprim17ROCPRIM_400000_NS6detail17trampoline_kernelINS0_14default_configENS1_38merge_sort_block_merge_config_selectorIhlEEZZNS1_27merge_sort_block_merge_implIS3_PhN6thrust23THRUST_200600_302600_NS10device_ptrIlEEjNS1_19radix_merge_compareILb0ELb1EhNS0_19identity_decomposerEEEEE10hipError_tT0_T1_T2_jT3_P12ihipStream_tbPNSt15iterator_traitsISG_E10value_typeEPNSM_ISH_E10value_typeEPSI_NS1_7vsmem_tEENKUlT_SG_SH_SI_E_clIS7_S7_SB_PlEESF_SV_SG_SH_SI_EUlSV_E_NS1_11comp_targetILNS1_3genE2ELNS1_11target_archE906ELNS1_3gpuE6ELNS1_3repE0EEENS1_48merge_mergepath_partition_config_static_selectorELNS0_4arch9wavefront6targetE1EEEvSH_,"axG",@progbits,_ZN7rocprim17ROCPRIM_400000_NS6detail17trampoline_kernelINS0_14default_configENS1_38merge_sort_block_merge_config_selectorIhlEEZZNS1_27merge_sort_block_merge_implIS3_PhN6thrust23THRUST_200600_302600_NS10device_ptrIlEEjNS1_19radix_merge_compareILb0ELb1EhNS0_19identity_decomposerEEEEE10hipError_tT0_T1_T2_jT3_P12ihipStream_tbPNSt15iterator_traitsISG_E10value_typeEPNSM_ISH_E10value_typeEPSI_NS1_7vsmem_tEENKUlT_SG_SH_SI_E_clIS7_S7_SB_PlEESF_SV_SG_SH_SI_EUlSV_E_NS1_11comp_targetILNS1_3genE2ELNS1_11target_archE906ELNS1_3gpuE6ELNS1_3repE0EEENS1_48merge_mergepath_partition_config_static_selectorELNS0_4arch9wavefront6targetE1EEEvSH_,comdat
	.protected	_ZN7rocprim17ROCPRIM_400000_NS6detail17trampoline_kernelINS0_14default_configENS1_38merge_sort_block_merge_config_selectorIhlEEZZNS1_27merge_sort_block_merge_implIS3_PhN6thrust23THRUST_200600_302600_NS10device_ptrIlEEjNS1_19radix_merge_compareILb0ELb1EhNS0_19identity_decomposerEEEEE10hipError_tT0_T1_T2_jT3_P12ihipStream_tbPNSt15iterator_traitsISG_E10value_typeEPNSM_ISH_E10value_typeEPSI_NS1_7vsmem_tEENKUlT_SG_SH_SI_E_clIS7_S7_SB_PlEESF_SV_SG_SH_SI_EUlSV_E_NS1_11comp_targetILNS1_3genE2ELNS1_11target_archE906ELNS1_3gpuE6ELNS1_3repE0EEENS1_48merge_mergepath_partition_config_static_selectorELNS0_4arch9wavefront6targetE1EEEvSH_ ; -- Begin function _ZN7rocprim17ROCPRIM_400000_NS6detail17trampoline_kernelINS0_14default_configENS1_38merge_sort_block_merge_config_selectorIhlEEZZNS1_27merge_sort_block_merge_implIS3_PhN6thrust23THRUST_200600_302600_NS10device_ptrIlEEjNS1_19radix_merge_compareILb0ELb1EhNS0_19identity_decomposerEEEEE10hipError_tT0_T1_T2_jT3_P12ihipStream_tbPNSt15iterator_traitsISG_E10value_typeEPNSM_ISH_E10value_typeEPSI_NS1_7vsmem_tEENKUlT_SG_SH_SI_E_clIS7_S7_SB_PlEESF_SV_SG_SH_SI_EUlSV_E_NS1_11comp_targetILNS1_3genE2ELNS1_11target_archE906ELNS1_3gpuE6ELNS1_3repE0EEENS1_48merge_mergepath_partition_config_static_selectorELNS0_4arch9wavefront6targetE1EEEvSH_
	.globl	_ZN7rocprim17ROCPRIM_400000_NS6detail17trampoline_kernelINS0_14default_configENS1_38merge_sort_block_merge_config_selectorIhlEEZZNS1_27merge_sort_block_merge_implIS3_PhN6thrust23THRUST_200600_302600_NS10device_ptrIlEEjNS1_19radix_merge_compareILb0ELb1EhNS0_19identity_decomposerEEEEE10hipError_tT0_T1_T2_jT3_P12ihipStream_tbPNSt15iterator_traitsISG_E10value_typeEPNSM_ISH_E10value_typeEPSI_NS1_7vsmem_tEENKUlT_SG_SH_SI_E_clIS7_S7_SB_PlEESF_SV_SG_SH_SI_EUlSV_E_NS1_11comp_targetILNS1_3genE2ELNS1_11target_archE906ELNS1_3gpuE6ELNS1_3repE0EEENS1_48merge_mergepath_partition_config_static_selectorELNS0_4arch9wavefront6targetE1EEEvSH_
	.p2align	8
	.type	_ZN7rocprim17ROCPRIM_400000_NS6detail17trampoline_kernelINS0_14default_configENS1_38merge_sort_block_merge_config_selectorIhlEEZZNS1_27merge_sort_block_merge_implIS3_PhN6thrust23THRUST_200600_302600_NS10device_ptrIlEEjNS1_19radix_merge_compareILb0ELb1EhNS0_19identity_decomposerEEEEE10hipError_tT0_T1_T2_jT3_P12ihipStream_tbPNSt15iterator_traitsISG_E10value_typeEPNSM_ISH_E10value_typeEPSI_NS1_7vsmem_tEENKUlT_SG_SH_SI_E_clIS7_S7_SB_PlEESF_SV_SG_SH_SI_EUlSV_E_NS1_11comp_targetILNS1_3genE2ELNS1_11target_archE906ELNS1_3gpuE6ELNS1_3repE0EEENS1_48merge_mergepath_partition_config_static_selectorELNS0_4arch9wavefront6targetE1EEEvSH_,@function
_ZN7rocprim17ROCPRIM_400000_NS6detail17trampoline_kernelINS0_14default_configENS1_38merge_sort_block_merge_config_selectorIhlEEZZNS1_27merge_sort_block_merge_implIS3_PhN6thrust23THRUST_200600_302600_NS10device_ptrIlEEjNS1_19radix_merge_compareILb0ELb1EhNS0_19identity_decomposerEEEEE10hipError_tT0_T1_T2_jT3_P12ihipStream_tbPNSt15iterator_traitsISG_E10value_typeEPNSM_ISH_E10value_typeEPSI_NS1_7vsmem_tEENKUlT_SG_SH_SI_E_clIS7_S7_SB_PlEESF_SV_SG_SH_SI_EUlSV_E_NS1_11comp_targetILNS1_3genE2ELNS1_11target_archE906ELNS1_3gpuE6ELNS1_3repE0EEENS1_48merge_mergepath_partition_config_static_selectorELNS0_4arch9wavefront6targetE1EEEvSH_: ; @_ZN7rocprim17ROCPRIM_400000_NS6detail17trampoline_kernelINS0_14default_configENS1_38merge_sort_block_merge_config_selectorIhlEEZZNS1_27merge_sort_block_merge_implIS3_PhN6thrust23THRUST_200600_302600_NS10device_ptrIlEEjNS1_19radix_merge_compareILb0ELb1EhNS0_19identity_decomposerEEEEE10hipError_tT0_T1_T2_jT3_P12ihipStream_tbPNSt15iterator_traitsISG_E10value_typeEPNSM_ISH_E10value_typeEPSI_NS1_7vsmem_tEENKUlT_SG_SH_SI_E_clIS7_S7_SB_PlEESF_SV_SG_SH_SI_EUlSV_E_NS1_11comp_targetILNS1_3genE2ELNS1_11target_archE906ELNS1_3gpuE6ELNS1_3repE0EEENS1_48merge_mergepath_partition_config_static_selectorELNS0_4arch9wavefront6targetE1EEEvSH_
; %bb.0:
	.section	.rodata,"a",@progbits
	.p2align	6, 0x0
	.amdhsa_kernel _ZN7rocprim17ROCPRIM_400000_NS6detail17trampoline_kernelINS0_14default_configENS1_38merge_sort_block_merge_config_selectorIhlEEZZNS1_27merge_sort_block_merge_implIS3_PhN6thrust23THRUST_200600_302600_NS10device_ptrIlEEjNS1_19radix_merge_compareILb0ELb1EhNS0_19identity_decomposerEEEEE10hipError_tT0_T1_T2_jT3_P12ihipStream_tbPNSt15iterator_traitsISG_E10value_typeEPNSM_ISH_E10value_typeEPSI_NS1_7vsmem_tEENKUlT_SG_SH_SI_E_clIS7_S7_SB_PlEESF_SV_SG_SH_SI_EUlSV_E_NS1_11comp_targetILNS1_3genE2ELNS1_11target_archE906ELNS1_3gpuE6ELNS1_3repE0EEENS1_48merge_mergepath_partition_config_static_selectorELNS0_4arch9wavefront6targetE1EEEvSH_
		.amdhsa_group_segment_fixed_size 0
		.amdhsa_private_segment_fixed_size 0
		.amdhsa_kernarg_size 40
		.amdhsa_user_sgpr_count 6
		.amdhsa_user_sgpr_private_segment_buffer 1
		.amdhsa_user_sgpr_dispatch_ptr 0
		.amdhsa_user_sgpr_queue_ptr 0
		.amdhsa_user_sgpr_kernarg_segment_ptr 1
		.amdhsa_user_sgpr_dispatch_id 0
		.amdhsa_user_sgpr_flat_scratch_init 0
		.amdhsa_user_sgpr_kernarg_preload_length 0
		.amdhsa_user_sgpr_kernarg_preload_offset 0
		.amdhsa_user_sgpr_private_segment_size 0
		.amdhsa_uses_dynamic_stack 0
		.amdhsa_system_sgpr_private_segment_wavefront_offset 0
		.amdhsa_system_sgpr_workgroup_id_x 1
		.amdhsa_system_sgpr_workgroup_id_y 0
		.amdhsa_system_sgpr_workgroup_id_z 0
		.amdhsa_system_sgpr_workgroup_info 0
		.amdhsa_system_vgpr_workitem_id 0
		.amdhsa_next_free_vgpr 1
		.amdhsa_next_free_sgpr 0
		.amdhsa_accum_offset 4
		.amdhsa_reserve_vcc 0
		.amdhsa_reserve_flat_scratch 0
		.amdhsa_float_round_mode_32 0
		.amdhsa_float_round_mode_16_64 0
		.amdhsa_float_denorm_mode_32 3
		.amdhsa_float_denorm_mode_16_64 3
		.amdhsa_dx10_clamp 1
		.amdhsa_ieee_mode 1
		.amdhsa_fp16_overflow 0
		.amdhsa_tg_split 0
		.amdhsa_exception_fp_ieee_invalid_op 0
		.amdhsa_exception_fp_denorm_src 0
		.amdhsa_exception_fp_ieee_div_zero 0
		.amdhsa_exception_fp_ieee_overflow 0
		.amdhsa_exception_fp_ieee_underflow 0
		.amdhsa_exception_fp_ieee_inexact 0
		.amdhsa_exception_int_div_zero 0
	.end_amdhsa_kernel
	.section	.text._ZN7rocprim17ROCPRIM_400000_NS6detail17trampoline_kernelINS0_14default_configENS1_38merge_sort_block_merge_config_selectorIhlEEZZNS1_27merge_sort_block_merge_implIS3_PhN6thrust23THRUST_200600_302600_NS10device_ptrIlEEjNS1_19radix_merge_compareILb0ELb1EhNS0_19identity_decomposerEEEEE10hipError_tT0_T1_T2_jT3_P12ihipStream_tbPNSt15iterator_traitsISG_E10value_typeEPNSM_ISH_E10value_typeEPSI_NS1_7vsmem_tEENKUlT_SG_SH_SI_E_clIS7_S7_SB_PlEESF_SV_SG_SH_SI_EUlSV_E_NS1_11comp_targetILNS1_3genE2ELNS1_11target_archE906ELNS1_3gpuE6ELNS1_3repE0EEENS1_48merge_mergepath_partition_config_static_selectorELNS0_4arch9wavefront6targetE1EEEvSH_,"axG",@progbits,_ZN7rocprim17ROCPRIM_400000_NS6detail17trampoline_kernelINS0_14default_configENS1_38merge_sort_block_merge_config_selectorIhlEEZZNS1_27merge_sort_block_merge_implIS3_PhN6thrust23THRUST_200600_302600_NS10device_ptrIlEEjNS1_19radix_merge_compareILb0ELb1EhNS0_19identity_decomposerEEEEE10hipError_tT0_T1_T2_jT3_P12ihipStream_tbPNSt15iterator_traitsISG_E10value_typeEPNSM_ISH_E10value_typeEPSI_NS1_7vsmem_tEENKUlT_SG_SH_SI_E_clIS7_S7_SB_PlEESF_SV_SG_SH_SI_EUlSV_E_NS1_11comp_targetILNS1_3genE2ELNS1_11target_archE906ELNS1_3gpuE6ELNS1_3repE0EEENS1_48merge_mergepath_partition_config_static_selectorELNS0_4arch9wavefront6targetE1EEEvSH_,comdat
.Lfunc_end218:
	.size	_ZN7rocprim17ROCPRIM_400000_NS6detail17trampoline_kernelINS0_14default_configENS1_38merge_sort_block_merge_config_selectorIhlEEZZNS1_27merge_sort_block_merge_implIS3_PhN6thrust23THRUST_200600_302600_NS10device_ptrIlEEjNS1_19radix_merge_compareILb0ELb1EhNS0_19identity_decomposerEEEEE10hipError_tT0_T1_T2_jT3_P12ihipStream_tbPNSt15iterator_traitsISG_E10value_typeEPNSM_ISH_E10value_typeEPSI_NS1_7vsmem_tEENKUlT_SG_SH_SI_E_clIS7_S7_SB_PlEESF_SV_SG_SH_SI_EUlSV_E_NS1_11comp_targetILNS1_3genE2ELNS1_11target_archE906ELNS1_3gpuE6ELNS1_3repE0EEENS1_48merge_mergepath_partition_config_static_selectorELNS0_4arch9wavefront6targetE1EEEvSH_, .Lfunc_end218-_ZN7rocprim17ROCPRIM_400000_NS6detail17trampoline_kernelINS0_14default_configENS1_38merge_sort_block_merge_config_selectorIhlEEZZNS1_27merge_sort_block_merge_implIS3_PhN6thrust23THRUST_200600_302600_NS10device_ptrIlEEjNS1_19radix_merge_compareILb0ELb1EhNS0_19identity_decomposerEEEEE10hipError_tT0_T1_T2_jT3_P12ihipStream_tbPNSt15iterator_traitsISG_E10value_typeEPNSM_ISH_E10value_typeEPSI_NS1_7vsmem_tEENKUlT_SG_SH_SI_E_clIS7_S7_SB_PlEESF_SV_SG_SH_SI_EUlSV_E_NS1_11comp_targetILNS1_3genE2ELNS1_11target_archE906ELNS1_3gpuE6ELNS1_3repE0EEENS1_48merge_mergepath_partition_config_static_selectorELNS0_4arch9wavefront6targetE1EEEvSH_
                                        ; -- End function
	.section	.AMDGPU.csdata,"",@progbits
; Kernel info:
; codeLenInByte = 0
; NumSgprs: 4
; NumVgprs: 0
; NumAgprs: 0
; TotalNumVgprs: 0
; ScratchSize: 0
; MemoryBound: 0
; FloatMode: 240
; IeeeMode: 1
; LDSByteSize: 0 bytes/workgroup (compile time only)
; SGPRBlocks: 0
; VGPRBlocks: 0
; NumSGPRsForWavesPerEU: 4
; NumVGPRsForWavesPerEU: 1
; AccumOffset: 4
; Occupancy: 8
; WaveLimiterHint : 0
; COMPUTE_PGM_RSRC2:SCRATCH_EN: 0
; COMPUTE_PGM_RSRC2:USER_SGPR: 6
; COMPUTE_PGM_RSRC2:TRAP_HANDLER: 0
; COMPUTE_PGM_RSRC2:TGID_X_EN: 1
; COMPUTE_PGM_RSRC2:TGID_Y_EN: 0
; COMPUTE_PGM_RSRC2:TGID_Z_EN: 0
; COMPUTE_PGM_RSRC2:TIDIG_COMP_CNT: 0
; COMPUTE_PGM_RSRC3_GFX90A:ACCUM_OFFSET: 0
; COMPUTE_PGM_RSRC3_GFX90A:TG_SPLIT: 0
	.section	.text._ZN7rocprim17ROCPRIM_400000_NS6detail17trampoline_kernelINS0_14default_configENS1_38merge_sort_block_merge_config_selectorIhlEEZZNS1_27merge_sort_block_merge_implIS3_PhN6thrust23THRUST_200600_302600_NS10device_ptrIlEEjNS1_19radix_merge_compareILb0ELb1EhNS0_19identity_decomposerEEEEE10hipError_tT0_T1_T2_jT3_P12ihipStream_tbPNSt15iterator_traitsISG_E10value_typeEPNSM_ISH_E10value_typeEPSI_NS1_7vsmem_tEENKUlT_SG_SH_SI_E_clIS7_S7_SB_PlEESF_SV_SG_SH_SI_EUlSV_E_NS1_11comp_targetILNS1_3genE9ELNS1_11target_archE1100ELNS1_3gpuE3ELNS1_3repE0EEENS1_48merge_mergepath_partition_config_static_selectorELNS0_4arch9wavefront6targetE1EEEvSH_,"axG",@progbits,_ZN7rocprim17ROCPRIM_400000_NS6detail17trampoline_kernelINS0_14default_configENS1_38merge_sort_block_merge_config_selectorIhlEEZZNS1_27merge_sort_block_merge_implIS3_PhN6thrust23THRUST_200600_302600_NS10device_ptrIlEEjNS1_19radix_merge_compareILb0ELb1EhNS0_19identity_decomposerEEEEE10hipError_tT0_T1_T2_jT3_P12ihipStream_tbPNSt15iterator_traitsISG_E10value_typeEPNSM_ISH_E10value_typeEPSI_NS1_7vsmem_tEENKUlT_SG_SH_SI_E_clIS7_S7_SB_PlEESF_SV_SG_SH_SI_EUlSV_E_NS1_11comp_targetILNS1_3genE9ELNS1_11target_archE1100ELNS1_3gpuE3ELNS1_3repE0EEENS1_48merge_mergepath_partition_config_static_selectorELNS0_4arch9wavefront6targetE1EEEvSH_,comdat
	.protected	_ZN7rocprim17ROCPRIM_400000_NS6detail17trampoline_kernelINS0_14default_configENS1_38merge_sort_block_merge_config_selectorIhlEEZZNS1_27merge_sort_block_merge_implIS3_PhN6thrust23THRUST_200600_302600_NS10device_ptrIlEEjNS1_19radix_merge_compareILb0ELb1EhNS0_19identity_decomposerEEEEE10hipError_tT0_T1_T2_jT3_P12ihipStream_tbPNSt15iterator_traitsISG_E10value_typeEPNSM_ISH_E10value_typeEPSI_NS1_7vsmem_tEENKUlT_SG_SH_SI_E_clIS7_S7_SB_PlEESF_SV_SG_SH_SI_EUlSV_E_NS1_11comp_targetILNS1_3genE9ELNS1_11target_archE1100ELNS1_3gpuE3ELNS1_3repE0EEENS1_48merge_mergepath_partition_config_static_selectorELNS0_4arch9wavefront6targetE1EEEvSH_ ; -- Begin function _ZN7rocprim17ROCPRIM_400000_NS6detail17trampoline_kernelINS0_14default_configENS1_38merge_sort_block_merge_config_selectorIhlEEZZNS1_27merge_sort_block_merge_implIS3_PhN6thrust23THRUST_200600_302600_NS10device_ptrIlEEjNS1_19radix_merge_compareILb0ELb1EhNS0_19identity_decomposerEEEEE10hipError_tT0_T1_T2_jT3_P12ihipStream_tbPNSt15iterator_traitsISG_E10value_typeEPNSM_ISH_E10value_typeEPSI_NS1_7vsmem_tEENKUlT_SG_SH_SI_E_clIS7_S7_SB_PlEESF_SV_SG_SH_SI_EUlSV_E_NS1_11comp_targetILNS1_3genE9ELNS1_11target_archE1100ELNS1_3gpuE3ELNS1_3repE0EEENS1_48merge_mergepath_partition_config_static_selectorELNS0_4arch9wavefront6targetE1EEEvSH_
	.globl	_ZN7rocprim17ROCPRIM_400000_NS6detail17trampoline_kernelINS0_14default_configENS1_38merge_sort_block_merge_config_selectorIhlEEZZNS1_27merge_sort_block_merge_implIS3_PhN6thrust23THRUST_200600_302600_NS10device_ptrIlEEjNS1_19radix_merge_compareILb0ELb1EhNS0_19identity_decomposerEEEEE10hipError_tT0_T1_T2_jT3_P12ihipStream_tbPNSt15iterator_traitsISG_E10value_typeEPNSM_ISH_E10value_typeEPSI_NS1_7vsmem_tEENKUlT_SG_SH_SI_E_clIS7_S7_SB_PlEESF_SV_SG_SH_SI_EUlSV_E_NS1_11comp_targetILNS1_3genE9ELNS1_11target_archE1100ELNS1_3gpuE3ELNS1_3repE0EEENS1_48merge_mergepath_partition_config_static_selectorELNS0_4arch9wavefront6targetE1EEEvSH_
	.p2align	8
	.type	_ZN7rocprim17ROCPRIM_400000_NS6detail17trampoline_kernelINS0_14default_configENS1_38merge_sort_block_merge_config_selectorIhlEEZZNS1_27merge_sort_block_merge_implIS3_PhN6thrust23THRUST_200600_302600_NS10device_ptrIlEEjNS1_19radix_merge_compareILb0ELb1EhNS0_19identity_decomposerEEEEE10hipError_tT0_T1_T2_jT3_P12ihipStream_tbPNSt15iterator_traitsISG_E10value_typeEPNSM_ISH_E10value_typeEPSI_NS1_7vsmem_tEENKUlT_SG_SH_SI_E_clIS7_S7_SB_PlEESF_SV_SG_SH_SI_EUlSV_E_NS1_11comp_targetILNS1_3genE9ELNS1_11target_archE1100ELNS1_3gpuE3ELNS1_3repE0EEENS1_48merge_mergepath_partition_config_static_selectorELNS0_4arch9wavefront6targetE1EEEvSH_,@function
_ZN7rocprim17ROCPRIM_400000_NS6detail17trampoline_kernelINS0_14default_configENS1_38merge_sort_block_merge_config_selectorIhlEEZZNS1_27merge_sort_block_merge_implIS3_PhN6thrust23THRUST_200600_302600_NS10device_ptrIlEEjNS1_19radix_merge_compareILb0ELb1EhNS0_19identity_decomposerEEEEE10hipError_tT0_T1_T2_jT3_P12ihipStream_tbPNSt15iterator_traitsISG_E10value_typeEPNSM_ISH_E10value_typeEPSI_NS1_7vsmem_tEENKUlT_SG_SH_SI_E_clIS7_S7_SB_PlEESF_SV_SG_SH_SI_EUlSV_E_NS1_11comp_targetILNS1_3genE9ELNS1_11target_archE1100ELNS1_3gpuE3ELNS1_3repE0EEENS1_48merge_mergepath_partition_config_static_selectorELNS0_4arch9wavefront6targetE1EEEvSH_: ; @_ZN7rocprim17ROCPRIM_400000_NS6detail17trampoline_kernelINS0_14default_configENS1_38merge_sort_block_merge_config_selectorIhlEEZZNS1_27merge_sort_block_merge_implIS3_PhN6thrust23THRUST_200600_302600_NS10device_ptrIlEEjNS1_19radix_merge_compareILb0ELb1EhNS0_19identity_decomposerEEEEE10hipError_tT0_T1_T2_jT3_P12ihipStream_tbPNSt15iterator_traitsISG_E10value_typeEPNSM_ISH_E10value_typeEPSI_NS1_7vsmem_tEENKUlT_SG_SH_SI_E_clIS7_S7_SB_PlEESF_SV_SG_SH_SI_EUlSV_E_NS1_11comp_targetILNS1_3genE9ELNS1_11target_archE1100ELNS1_3gpuE3ELNS1_3repE0EEENS1_48merge_mergepath_partition_config_static_selectorELNS0_4arch9wavefront6targetE1EEEvSH_
; %bb.0:
	.section	.rodata,"a",@progbits
	.p2align	6, 0x0
	.amdhsa_kernel _ZN7rocprim17ROCPRIM_400000_NS6detail17trampoline_kernelINS0_14default_configENS1_38merge_sort_block_merge_config_selectorIhlEEZZNS1_27merge_sort_block_merge_implIS3_PhN6thrust23THRUST_200600_302600_NS10device_ptrIlEEjNS1_19radix_merge_compareILb0ELb1EhNS0_19identity_decomposerEEEEE10hipError_tT0_T1_T2_jT3_P12ihipStream_tbPNSt15iterator_traitsISG_E10value_typeEPNSM_ISH_E10value_typeEPSI_NS1_7vsmem_tEENKUlT_SG_SH_SI_E_clIS7_S7_SB_PlEESF_SV_SG_SH_SI_EUlSV_E_NS1_11comp_targetILNS1_3genE9ELNS1_11target_archE1100ELNS1_3gpuE3ELNS1_3repE0EEENS1_48merge_mergepath_partition_config_static_selectorELNS0_4arch9wavefront6targetE1EEEvSH_
		.amdhsa_group_segment_fixed_size 0
		.amdhsa_private_segment_fixed_size 0
		.amdhsa_kernarg_size 40
		.amdhsa_user_sgpr_count 6
		.amdhsa_user_sgpr_private_segment_buffer 1
		.amdhsa_user_sgpr_dispatch_ptr 0
		.amdhsa_user_sgpr_queue_ptr 0
		.amdhsa_user_sgpr_kernarg_segment_ptr 1
		.amdhsa_user_sgpr_dispatch_id 0
		.amdhsa_user_sgpr_flat_scratch_init 0
		.amdhsa_user_sgpr_kernarg_preload_length 0
		.amdhsa_user_sgpr_kernarg_preload_offset 0
		.amdhsa_user_sgpr_private_segment_size 0
		.amdhsa_uses_dynamic_stack 0
		.amdhsa_system_sgpr_private_segment_wavefront_offset 0
		.amdhsa_system_sgpr_workgroup_id_x 1
		.amdhsa_system_sgpr_workgroup_id_y 0
		.amdhsa_system_sgpr_workgroup_id_z 0
		.amdhsa_system_sgpr_workgroup_info 0
		.amdhsa_system_vgpr_workitem_id 0
		.amdhsa_next_free_vgpr 1
		.amdhsa_next_free_sgpr 0
		.amdhsa_accum_offset 4
		.amdhsa_reserve_vcc 0
		.amdhsa_reserve_flat_scratch 0
		.amdhsa_float_round_mode_32 0
		.amdhsa_float_round_mode_16_64 0
		.amdhsa_float_denorm_mode_32 3
		.amdhsa_float_denorm_mode_16_64 3
		.amdhsa_dx10_clamp 1
		.amdhsa_ieee_mode 1
		.amdhsa_fp16_overflow 0
		.amdhsa_tg_split 0
		.amdhsa_exception_fp_ieee_invalid_op 0
		.amdhsa_exception_fp_denorm_src 0
		.amdhsa_exception_fp_ieee_div_zero 0
		.amdhsa_exception_fp_ieee_overflow 0
		.amdhsa_exception_fp_ieee_underflow 0
		.amdhsa_exception_fp_ieee_inexact 0
		.amdhsa_exception_int_div_zero 0
	.end_amdhsa_kernel
	.section	.text._ZN7rocprim17ROCPRIM_400000_NS6detail17trampoline_kernelINS0_14default_configENS1_38merge_sort_block_merge_config_selectorIhlEEZZNS1_27merge_sort_block_merge_implIS3_PhN6thrust23THRUST_200600_302600_NS10device_ptrIlEEjNS1_19radix_merge_compareILb0ELb1EhNS0_19identity_decomposerEEEEE10hipError_tT0_T1_T2_jT3_P12ihipStream_tbPNSt15iterator_traitsISG_E10value_typeEPNSM_ISH_E10value_typeEPSI_NS1_7vsmem_tEENKUlT_SG_SH_SI_E_clIS7_S7_SB_PlEESF_SV_SG_SH_SI_EUlSV_E_NS1_11comp_targetILNS1_3genE9ELNS1_11target_archE1100ELNS1_3gpuE3ELNS1_3repE0EEENS1_48merge_mergepath_partition_config_static_selectorELNS0_4arch9wavefront6targetE1EEEvSH_,"axG",@progbits,_ZN7rocprim17ROCPRIM_400000_NS6detail17trampoline_kernelINS0_14default_configENS1_38merge_sort_block_merge_config_selectorIhlEEZZNS1_27merge_sort_block_merge_implIS3_PhN6thrust23THRUST_200600_302600_NS10device_ptrIlEEjNS1_19radix_merge_compareILb0ELb1EhNS0_19identity_decomposerEEEEE10hipError_tT0_T1_T2_jT3_P12ihipStream_tbPNSt15iterator_traitsISG_E10value_typeEPNSM_ISH_E10value_typeEPSI_NS1_7vsmem_tEENKUlT_SG_SH_SI_E_clIS7_S7_SB_PlEESF_SV_SG_SH_SI_EUlSV_E_NS1_11comp_targetILNS1_3genE9ELNS1_11target_archE1100ELNS1_3gpuE3ELNS1_3repE0EEENS1_48merge_mergepath_partition_config_static_selectorELNS0_4arch9wavefront6targetE1EEEvSH_,comdat
.Lfunc_end219:
	.size	_ZN7rocprim17ROCPRIM_400000_NS6detail17trampoline_kernelINS0_14default_configENS1_38merge_sort_block_merge_config_selectorIhlEEZZNS1_27merge_sort_block_merge_implIS3_PhN6thrust23THRUST_200600_302600_NS10device_ptrIlEEjNS1_19radix_merge_compareILb0ELb1EhNS0_19identity_decomposerEEEEE10hipError_tT0_T1_T2_jT3_P12ihipStream_tbPNSt15iterator_traitsISG_E10value_typeEPNSM_ISH_E10value_typeEPSI_NS1_7vsmem_tEENKUlT_SG_SH_SI_E_clIS7_S7_SB_PlEESF_SV_SG_SH_SI_EUlSV_E_NS1_11comp_targetILNS1_3genE9ELNS1_11target_archE1100ELNS1_3gpuE3ELNS1_3repE0EEENS1_48merge_mergepath_partition_config_static_selectorELNS0_4arch9wavefront6targetE1EEEvSH_, .Lfunc_end219-_ZN7rocprim17ROCPRIM_400000_NS6detail17trampoline_kernelINS0_14default_configENS1_38merge_sort_block_merge_config_selectorIhlEEZZNS1_27merge_sort_block_merge_implIS3_PhN6thrust23THRUST_200600_302600_NS10device_ptrIlEEjNS1_19radix_merge_compareILb0ELb1EhNS0_19identity_decomposerEEEEE10hipError_tT0_T1_T2_jT3_P12ihipStream_tbPNSt15iterator_traitsISG_E10value_typeEPNSM_ISH_E10value_typeEPSI_NS1_7vsmem_tEENKUlT_SG_SH_SI_E_clIS7_S7_SB_PlEESF_SV_SG_SH_SI_EUlSV_E_NS1_11comp_targetILNS1_3genE9ELNS1_11target_archE1100ELNS1_3gpuE3ELNS1_3repE0EEENS1_48merge_mergepath_partition_config_static_selectorELNS0_4arch9wavefront6targetE1EEEvSH_
                                        ; -- End function
	.section	.AMDGPU.csdata,"",@progbits
; Kernel info:
; codeLenInByte = 0
; NumSgprs: 4
; NumVgprs: 0
; NumAgprs: 0
; TotalNumVgprs: 0
; ScratchSize: 0
; MemoryBound: 0
; FloatMode: 240
; IeeeMode: 1
; LDSByteSize: 0 bytes/workgroup (compile time only)
; SGPRBlocks: 0
; VGPRBlocks: 0
; NumSGPRsForWavesPerEU: 4
; NumVGPRsForWavesPerEU: 1
; AccumOffset: 4
; Occupancy: 8
; WaveLimiterHint : 0
; COMPUTE_PGM_RSRC2:SCRATCH_EN: 0
; COMPUTE_PGM_RSRC2:USER_SGPR: 6
; COMPUTE_PGM_RSRC2:TRAP_HANDLER: 0
; COMPUTE_PGM_RSRC2:TGID_X_EN: 1
; COMPUTE_PGM_RSRC2:TGID_Y_EN: 0
; COMPUTE_PGM_RSRC2:TGID_Z_EN: 0
; COMPUTE_PGM_RSRC2:TIDIG_COMP_CNT: 0
; COMPUTE_PGM_RSRC3_GFX90A:ACCUM_OFFSET: 0
; COMPUTE_PGM_RSRC3_GFX90A:TG_SPLIT: 0
	.section	.text._ZN7rocprim17ROCPRIM_400000_NS6detail17trampoline_kernelINS0_14default_configENS1_38merge_sort_block_merge_config_selectorIhlEEZZNS1_27merge_sort_block_merge_implIS3_PhN6thrust23THRUST_200600_302600_NS10device_ptrIlEEjNS1_19radix_merge_compareILb0ELb1EhNS0_19identity_decomposerEEEEE10hipError_tT0_T1_T2_jT3_P12ihipStream_tbPNSt15iterator_traitsISG_E10value_typeEPNSM_ISH_E10value_typeEPSI_NS1_7vsmem_tEENKUlT_SG_SH_SI_E_clIS7_S7_SB_PlEESF_SV_SG_SH_SI_EUlSV_E_NS1_11comp_targetILNS1_3genE8ELNS1_11target_archE1030ELNS1_3gpuE2ELNS1_3repE0EEENS1_48merge_mergepath_partition_config_static_selectorELNS0_4arch9wavefront6targetE1EEEvSH_,"axG",@progbits,_ZN7rocprim17ROCPRIM_400000_NS6detail17trampoline_kernelINS0_14default_configENS1_38merge_sort_block_merge_config_selectorIhlEEZZNS1_27merge_sort_block_merge_implIS3_PhN6thrust23THRUST_200600_302600_NS10device_ptrIlEEjNS1_19radix_merge_compareILb0ELb1EhNS0_19identity_decomposerEEEEE10hipError_tT0_T1_T2_jT3_P12ihipStream_tbPNSt15iterator_traitsISG_E10value_typeEPNSM_ISH_E10value_typeEPSI_NS1_7vsmem_tEENKUlT_SG_SH_SI_E_clIS7_S7_SB_PlEESF_SV_SG_SH_SI_EUlSV_E_NS1_11comp_targetILNS1_3genE8ELNS1_11target_archE1030ELNS1_3gpuE2ELNS1_3repE0EEENS1_48merge_mergepath_partition_config_static_selectorELNS0_4arch9wavefront6targetE1EEEvSH_,comdat
	.protected	_ZN7rocprim17ROCPRIM_400000_NS6detail17trampoline_kernelINS0_14default_configENS1_38merge_sort_block_merge_config_selectorIhlEEZZNS1_27merge_sort_block_merge_implIS3_PhN6thrust23THRUST_200600_302600_NS10device_ptrIlEEjNS1_19radix_merge_compareILb0ELb1EhNS0_19identity_decomposerEEEEE10hipError_tT0_T1_T2_jT3_P12ihipStream_tbPNSt15iterator_traitsISG_E10value_typeEPNSM_ISH_E10value_typeEPSI_NS1_7vsmem_tEENKUlT_SG_SH_SI_E_clIS7_S7_SB_PlEESF_SV_SG_SH_SI_EUlSV_E_NS1_11comp_targetILNS1_3genE8ELNS1_11target_archE1030ELNS1_3gpuE2ELNS1_3repE0EEENS1_48merge_mergepath_partition_config_static_selectorELNS0_4arch9wavefront6targetE1EEEvSH_ ; -- Begin function _ZN7rocprim17ROCPRIM_400000_NS6detail17trampoline_kernelINS0_14default_configENS1_38merge_sort_block_merge_config_selectorIhlEEZZNS1_27merge_sort_block_merge_implIS3_PhN6thrust23THRUST_200600_302600_NS10device_ptrIlEEjNS1_19radix_merge_compareILb0ELb1EhNS0_19identity_decomposerEEEEE10hipError_tT0_T1_T2_jT3_P12ihipStream_tbPNSt15iterator_traitsISG_E10value_typeEPNSM_ISH_E10value_typeEPSI_NS1_7vsmem_tEENKUlT_SG_SH_SI_E_clIS7_S7_SB_PlEESF_SV_SG_SH_SI_EUlSV_E_NS1_11comp_targetILNS1_3genE8ELNS1_11target_archE1030ELNS1_3gpuE2ELNS1_3repE0EEENS1_48merge_mergepath_partition_config_static_selectorELNS0_4arch9wavefront6targetE1EEEvSH_
	.globl	_ZN7rocprim17ROCPRIM_400000_NS6detail17trampoline_kernelINS0_14default_configENS1_38merge_sort_block_merge_config_selectorIhlEEZZNS1_27merge_sort_block_merge_implIS3_PhN6thrust23THRUST_200600_302600_NS10device_ptrIlEEjNS1_19radix_merge_compareILb0ELb1EhNS0_19identity_decomposerEEEEE10hipError_tT0_T1_T2_jT3_P12ihipStream_tbPNSt15iterator_traitsISG_E10value_typeEPNSM_ISH_E10value_typeEPSI_NS1_7vsmem_tEENKUlT_SG_SH_SI_E_clIS7_S7_SB_PlEESF_SV_SG_SH_SI_EUlSV_E_NS1_11comp_targetILNS1_3genE8ELNS1_11target_archE1030ELNS1_3gpuE2ELNS1_3repE0EEENS1_48merge_mergepath_partition_config_static_selectorELNS0_4arch9wavefront6targetE1EEEvSH_
	.p2align	8
	.type	_ZN7rocprim17ROCPRIM_400000_NS6detail17trampoline_kernelINS0_14default_configENS1_38merge_sort_block_merge_config_selectorIhlEEZZNS1_27merge_sort_block_merge_implIS3_PhN6thrust23THRUST_200600_302600_NS10device_ptrIlEEjNS1_19radix_merge_compareILb0ELb1EhNS0_19identity_decomposerEEEEE10hipError_tT0_T1_T2_jT3_P12ihipStream_tbPNSt15iterator_traitsISG_E10value_typeEPNSM_ISH_E10value_typeEPSI_NS1_7vsmem_tEENKUlT_SG_SH_SI_E_clIS7_S7_SB_PlEESF_SV_SG_SH_SI_EUlSV_E_NS1_11comp_targetILNS1_3genE8ELNS1_11target_archE1030ELNS1_3gpuE2ELNS1_3repE0EEENS1_48merge_mergepath_partition_config_static_selectorELNS0_4arch9wavefront6targetE1EEEvSH_,@function
_ZN7rocprim17ROCPRIM_400000_NS6detail17trampoline_kernelINS0_14default_configENS1_38merge_sort_block_merge_config_selectorIhlEEZZNS1_27merge_sort_block_merge_implIS3_PhN6thrust23THRUST_200600_302600_NS10device_ptrIlEEjNS1_19radix_merge_compareILb0ELb1EhNS0_19identity_decomposerEEEEE10hipError_tT0_T1_T2_jT3_P12ihipStream_tbPNSt15iterator_traitsISG_E10value_typeEPNSM_ISH_E10value_typeEPSI_NS1_7vsmem_tEENKUlT_SG_SH_SI_E_clIS7_S7_SB_PlEESF_SV_SG_SH_SI_EUlSV_E_NS1_11comp_targetILNS1_3genE8ELNS1_11target_archE1030ELNS1_3gpuE2ELNS1_3repE0EEENS1_48merge_mergepath_partition_config_static_selectorELNS0_4arch9wavefront6targetE1EEEvSH_: ; @_ZN7rocprim17ROCPRIM_400000_NS6detail17trampoline_kernelINS0_14default_configENS1_38merge_sort_block_merge_config_selectorIhlEEZZNS1_27merge_sort_block_merge_implIS3_PhN6thrust23THRUST_200600_302600_NS10device_ptrIlEEjNS1_19radix_merge_compareILb0ELb1EhNS0_19identity_decomposerEEEEE10hipError_tT0_T1_T2_jT3_P12ihipStream_tbPNSt15iterator_traitsISG_E10value_typeEPNSM_ISH_E10value_typeEPSI_NS1_7vsmem_tEENKUlT_SG_SH_SI_E_clIS7_S7_SB_PlEESF_SV_SG_SH_SI_EUlSV_E_NS1_11comp_targetILNS1_3genE8ELNS1_11target_archE1030ELNS1_3gpuE2ELNS1_3repE0EEENS1_48merge_mergepath_partition_config_static_selectorELNS0_4arch9wavefront6targetE1EEEvSH_
; %bb.0:
	.section	.rodata,"a",@progbits
	.p2align	6, 0x0
	.amdhsa_kernel _ZN7rocprim17ROCPRIM_400000_NS6detail17trampoline_kernelINS0_14default_configENS1_38merge_sort_block_merge_config_selectorIhlEEZZNS1_27merge_sort_block_merge_implIS3_PhN6thrust23THRUST_200600_302600_NS10device_ptrIlEEjNS1_19radix_merge_compareILb0ELb1EhNS0_19identity_decomposerEEEEE10hipError_tT0_T1_T2_jT3_P12ihipStream_tbPNSt15iterator_traitsISG_E10value_typeEPNSM_ISH_E10value_typeEPSI_NS1_7vsmem_tEENKUlT_SG_SH_SI_E_clIS7_S7_SB_PlEESF_SV_SG_SH_SI_EUlSV_E_NS1_11comp_targetILNS1_3genE8ELNS1_11target_archE1030ELNS1_3gpuE2ELNS1_3repE0EEENS1_48merge_mergepath_partition_config_static_selectorELNS0_4arch9wavefront6targetE1EEEvSH_
		.amdhsa_group_segment_fixed_size 0
		.amdhsa_private_segment_fixed_size 0
		.amdhsa_kernarg_size 40
		.amdhsa_user_sgpr_count 6
		.amdhsa_user_sgpr_private_segment_buffer 1
		.amdhsa_user_sgpr_dispatch_ptr 0
		.amdhsa_user_sgpr_queue_ptr 0
		.amdhsa_user_sgpr_kernarg_segment_ptr 1
		.amdhsa_user_sgpr_dispatch_id 0
		.amdhsa_user_sgpr_flat_scratch_init 0
		.amdhsa_user_sgpr_kernarg_preload_length 0
		.amdhsa_user_sgpr_kernarg_preload_offset 0
		.amdhsa_user_sgpr_private_segment_size 0
		.amdhsa_uses_dynamic_stack 0
		.amdhsa_system_sgpr_private_segment_wavefront_offset 0
		.amdhsa_system_sgpr_workgroup_id_x 1
		.amdhsa_system_sgpr_workgroup_id_y 0
		.amdhsa_system_sgpr_workgroup_id_z 0
		.amdhsa_system_sgpr_workgroup_info 0
		.amdhsa_system_vgpr_workitem_id 0
		.amdhsa_next_free_vgpr 1
		.amdhsa_next_free_sgpr 0
		.amdhsa_accum_offset 4
		.amdhsa_reserve_vcc 0
		.amdhsa_reserve_flat_scratch 0
		.amdhsa_float_round_mode_32 0
		.amdhsa_float_round_mode_16_64 0
		.amdhsa_float_denorm_mode_32 3
		.amdhsa_float_denorm_mode_16_64 3
		.amdhsa_dx10_clamp 1
		.amdhsa_ieee_mode 1
		.amdhsa_fp16_overflow 0
		.amdhsa_tg_split 0
		.amdhsa_exception_fp_ieee_invalid_op 0
		.amdhsa_exception_fp_denorm_src 0
		.amdhsa_exception_fp_ieee_div_zero 0
		.amdhsa_exception_fp_ieee_overflow 0
		.amdhsa_exception_fp_ieee_underflow 0
		.amdhsa_exception_fp_ieee_inexact 0
		.amdhsa_exception_int_div_zero 0
	.end_amdhsa_kernel
	.section	.text._ZN7rocprim17ROCPRIM_400000_NS6detail17trampoline_kernelINS0_14default_configENS1_38merge_sort_block_merge_config_selectorIhlEEZZNS1_27merge_sort_block_merge_implIS3_PhN6thrust23THRUST_200600_302600_NS10device_ptrIlEEjNS1_19radix_merge_compareILb0ELb1EhNS0_19identity_decomposerEEEEE10hipError_tT0_T1_T2_jT3_P12ihipStream_tbPNSt15iterator_traitsISG_E10value_typeEPNSM_ISH_E10value_typeEPSI_NS1_7vsmem_tEENKUlT_SG_SH_SI_E_clIS7_S7_SB_PlEESF_SV_SG_SH_SI_EUlSV_E_NS1_11comp_targetILNS1_3genE8ELNS1_11target_archE1030ELNS1_3gpuE2ELNS1_3repE0EEENS1_48merge_mergepath_partition_config_static_selectorELNS0_4arch9wavefront6targetE1EEEvSH_,"axG",@progbits,_ZN7rocprim17ROCPRIM_400000_NS6detail17trampoline_kernelINS0_14default_configENS1_38merge_sort_block_merge_config_selectorIhlEEZZNS1_27merge_sort_block_merge_implIS3_PhN6thrust23THRUST_200600_302600_NS10device_ptrIlEEjNS1_19radix_merge_compareILb0ELb1EhNS0_19identity_decomposerEEEEE10hipError_tT0_T1_T2_jT3_P12ihipStream_tbPNSt15iterator_traitsISG_E10value_typeEPNSM_ISH_E10value_typeEPSI_NS1_7vsmem_tEENKUlT_SG_SH_SI_E_clIS7_S7_SB_PlEESF_SV_SG_SH_SI_EUlSV_E_NS1_11comp_targetILNS1_3genE8ELNS1_11target_archE1030ELNS1_3gpuE2ELNS1_3repE0EEENS1_48merge_mergepath_partition_config_static_selectorELNS0_4arch9wavefront6targetE1EEEvSH_,comdat
.Lfunc_end220:
	.size	_ZN7rocprim17ROCPRIM_400000_NS6detail17trampoline_kernelINS0_14default_configENS1_38merge_sort_block_merge_config_selectorIhlEEZZNS1_27merge_sort_block_merge_implIS3_PhN6thrust23THRUST_200600_302600_NS10device_ptrIlEEjNS1_19radix_merge_compareILb0ELb1EhNS0_19identity_decomposerEEEEE10hipError_tT0_T1_T2_jT3_P12ihipStream_tbPNSt15iterator_traitsISG_E10value_typeEPNSM_ISH_E10value_typeEPSI_NS1_7vsmem_tEENKUlT_SG_SH_SI_E_clIS7_S7_SB_PlEESF_SV_SG_SH_SI_EUlSV_E_NS1_11comp_targetILNS1_3genE8ELNS1_11target_archE1030ELNS1_3gpuE2ELNS1_3repE0EEENS1_48merge_mergepath_partition_config_static_selectorELNS0_4arch9wavefront6targetE1EEEvSH_, .Lfunc_end220-_ZN7rocprim17ROCPRIM_400000_NS6detail17trampoline_kernelINS0_14default_configENS1_38merge_sort_block_merge_config_selectorIhlEEZZNS1_27merge_sort_block_merge_implIS3_PhN6thrust23THRUST_200600_302600_NS10device_ptrIlEEjNS1_19radix_merge_compareILb0ELb1EhNS0_19identity_decomposerEEEEE10hipError_tT0_T1_T2_jT3_P12ihipStream_tbPNSt15iterator_traitsISG_E10value_typeEPNSM_ISH_E10value_typeEPSI_NS1_7vsmem_tEENKUlT_SG_SH_SI_E_clIS7_S7_SB_PlEESF_SV_SG_SH_SI_EUlSV_E_NS1_11comp_targetILNS1_3genE8ELNS1_11target_archE1030ELNS1_3gpuE2ELNS1_3repE0EEENS1_48merge_mergepath_partition_config_static_selectorELNS0_4arch9wavefront6targetE1EEEvSH_
                                        ; -- End function
	.section	.AMDGPU.csdata,"",@progbits
; Kernel info:
; codeLenInByte = 0
; NumSgprs: 4
; NumVgprs: 0
; NumAgprs: 0
; TotalNumVgprs: 0
; ScratchSize: 0
; MemoryBound: 0
; FloatMode: 240
; IeeeMode: 1
; LDSByteSize: 0 bytes/workgroup (compile time only)
; SGPRBlocks: 0
; VGPRBlocks: 0
; NumSGPRsForWavesPerEU: 4
; NumVGPRsForWavesPerEU: 1
; AccumOffset: 4
; Occupancy: 8
; WaveLimiterHint : 0
; COMPUTE_PGM_RSRC2:SCRATCH_EN: 0
; COMPUTE_PGM_RSRC2:USER_SGPR: 6
; COMPUTE_PGM_RSRC2:TRAP_HANDLER: 0
; COMPUTE_PGM_RSRC2:TGID_X_EN: 1
; COMPUTE_PGM_RSRC2:TGID_Y_EN: 0
; COMPUTE_PGM_RSRC2:TGID_Z_EN: 0
; COMPUTE_PGM_RSRC2:TIDIG_COMP_CNT: 0
; COMPUTE_PGM_RSRC3_GFX90A:ACCUM_OFFSET: 0
; COMPUTE_PGM_RSRC3_GFX90A:TG_SPLIT: 0
	.section	.text._ZN7rocprim17ROCPRIM_400000_NS6detail17trampoline_kernelINS0_14default_configENS1_38merge_sort_block_merge_config_selectorIhlEEZZNS1_27merge_sort_block_merge_implIS3_PhN6thrust23THRUST_200600_302600_NS10device_ptrIlEEjNS1_19radix_merge_compareILb0ELb1EhNS0_19identity_decomposerEEEEE10hipError_tT0_T1_T2_jT3_P12ihipStream_tbPNSt15iterator_traitsISG_E10value_typeEPNSM_ISH_E10value_typeEPSI_NS1_7vsmem_tEENKUlT_SG_SH_SI_E_clIS7_S7_SB_PlEESF_SV_SG_SH_SI_EUlSV_E0_NS1_11comp_targetILNS1_3genE0ELNS1_11target_archE4294967295ELNS1_3gpuE0ELNS1_3repE0EEENS1_38merge_mergepath_config_static_selectorELNS0_4arch9wavefront6targetE1EEEvSH_,"axG",@progbits,_ZN7rocprim17ROCPRIM_400000_NS6detail17trampoline_kernelINS0_14default_configENS1_38merge_sort_block_merge_config_selectorIhlEEZZNS1_27merge_sort_block_merge_implIS3_PhN6thrust23THRUST_200600_302600_NS10device_ptrIlEEjNS1_19radix_merge_compareILb0ELb1EhNS0_19identity_decomposerEEEEE10hipError_tT0_T1_T2_jT3_P12ihipStream_tbPNSt15iterator_traitsISG_E10value_typeEPNSM_ISH_E10value_typeEPSI_NS1_7vsmem_tEENKUlT_SG_SH_SI_E_clIS7_S7_SB_PlEESF_SV_SG_SH_SI_EUlSV_E0_NS1_11comp_targetILNS1_3genE0ELNS1_11target_archE4294967295ELNS1_3gpuE0ELNS1_3repE0EEENS1_38merge_mergepath_config_static_selectorELNS0_4arch9wavefront6targetE1EEEvSH_,comdat
	.protected	_ZN7rocprim17ROCPRIM_400000_NS6detail17trampoline_kernelINS0_14default_configENS1_38merge_sort_block_merge_config_selectorIhlEEZZNS1_27merge_sort_block_merge_implIS3_PhN6thrust23THRUST_200600_302600_NS10device_ptrIlEEjNS1_19radix_merge_compareILb0ELb1EhNS0_19identity_decomposerEEEEE10hipError_tT0_T1_T2_jT3_P12ihipStream_tbPNSt15iterator_traitsISG_E10value_typeEPNSM_ISH_E10value_typeEPSI_NS1_7vsmem_tEENKUlT_SG_SH_SI_E_clIS7_S7_SB_PlEESF_SV_SG_SH_SI_EUlSV_E0_NS1_11comp_targetILNS1_3genE0ELNS1_11target_archE4294967295ELNS1_3gpuE0ELNS1_3repE0EEENS1_38merge_mergepath_config_static_selectorELNS0_4arch9wavefront6targetE1EEEvSH_ ; -- Begin function _ZN7rocprim17ROCPRIM_400000_NS6detail17trampoline_kernelINS0_14default_configENS1_38merge_sort_block_merge_config_selectorIhlEEZZNS1_27merge_sort_block_merge_implIS3_PhN6thrust23THRUST_200600_302600_NS10device_ptrIlEEjNS1_19radix_merge_compareILb0ELb1EhNS0_19identity_decomposerEEEEE10hipError_tT0_T1_T2_jT3_P12ihipStream_tbPNSt15iterator_traitsISG_E10value_typeEPNSM_ISH_E10value_typeEPSI_NS1_7vsmem_tEENKUlT_SG_SH_SI_E_clIS7_S7_SB_PlEESF_SV_SG_SH_SI_EUlSV_E0_NS1_11comp_targetILNS1_3genE0ELNS1_11target_archE4294967295ELNS1_3gpuE0ELNS1_3repE0EEENS1_38merge_mergepath_config_static_selectorELNS0_4arch9wavefront6targetE1EEEvSH_
	.globl	_ZN7rocprim17ROCPRIM_400000_NS6detail17trampoline_kernelINS0_14default_configENS1_38merge_sort_block_merge_config_selectorIhlEEZZNS1_27merge_sort_block_merge_implIS3_PhN6thrust23THRUST_200600_302600_NS10device_ptrIlEEjNS1_19radix_merge_compareILb0ELb1EhNS0_19identity_decomposerEEEEE10hipError_tT0_T1_T2_jT3_P12ihipStream_tbPNSt15iterator_traitsISG_E10value_typeEPNSM_ISH_E10value_typeEPSI_NS1_7vsmem_tEENKUlT_SG_SH_SI_E_clIS7_S7_SB_PlEESF_SV_SG_SH_SI_EUlSV_E0_NS1_11comp_targetILNS1_3genE0ELNS1_11target_archE4294967295ELNS1_3gpuE0ELNS1_3repE0EEENS1_38merge_mergepath_config_static_selectorELNS0_4arch9wavefront6targetE1EEEvSH_
	.p2align	8
	.type	_ZN7rocprim17ROCPRIM_400000_NS6detail17trampoline_kernelINS0_14default_configENS1_38merge_sort_block_merge_config_selectorIhlEEZZNS1_27merge_sort_block_merge_implIS3_PhN6thrust23THRUST_200600_302600_NS10device_ptrIlEEjNS1_19radix_merge_compareILb0ELb1EhNS0_19identity_decomposerEEEEE10hipError_tT0_T1_T2_jT3_P12ihipStream_tbPNSt15iterator_traitsISG_E10value_typeEPNSM_ISH_E10value_typeEPSI_NS1_7vsmem_tEENKUlT_SG_SH_SI_E_clIS7_S7_SB_PlEESF_SV_SG_SH_SI_EUlSV_E0_NS1_11comp_targetILNS1_3genE0ELNS1_11target_archE4294967295ELNS1_3gpuE0ELNS1_3repE0EEENS1_38merge_mergepath_config_static_selectorELNS0_4arch9wavefront6targetE1EEEvSH_,@function
_ZN7rocprim17ROCPRIM_400000_NS6detail17trampoline_kernelINS0_14default_configENS1_38merge_sort_block_merge_config_selectorIhlEEZZNS1_27merge_sort_block_merge_implIS3_PhN6thrust23THRUST_200600_302600_NS10device_ptrIlEEjNS1_19radix_merge_compareILb0ELb1EhNS0_19identity_decomposerEEEEE10hipError_tT0_T1_T2_jT3_P12ihipStream_tbPNSt15iterator_traitsISG_E10value_typeEPNSM_ISH_E10value_typeEPSI_NS1_7vsmem_tEENKUlT_SG_SH_SI_E_clIS7_S7_SB_PlEESF_SV_SG_SH_SI_EUlSV_E0_NS1_11comp_targetILNS1_3genE0ELNS1_11target_archE4294967295ELNS1_3gpuE0ELNS1_3repE0EEENS1_38merge_mergepath_config_static_selectorELNS0_4arch9wavefront6targetE1EEEvSH_: ; @_ZN7rocprim17ROCPRIM_400000_NS6detail17trampoline_kernelINS0_14default_configENS1_38merge_sort_block_merge_config_selectorIhlEEZZNS1_27merge_sort_block_merge_implIS3_PhN6thrust23THRUST_200600_302600_NS10device_ptrIlEEjNS1_19radix_merge_compareILb0ELb1EhNS0_19identity_decomposerEEEEE10hipError_tT0_T1_T2_jT3_P12ihipStream_tbPNSt15iterator_traitsISG_E10value_typeEPNSM_ISH_E10value_typeEPSI_NS1_7vsmem_tEENKUlT_SG_SH_SI_E_clIS7_S7_SB_PlEESF_SV_SG_SH_SI_EUlSV_E0_NS1_11comp_targetILNS1_3genE0ELNS1_11target_archE4294967295ELNS1_3gpuE0ELNS1_3repE0EEENS1_38merge_mergepath_config_static_selectorELNS0_4arch9wavefront6targetE1EEEvSH_
; %bb.0:
	.section	.rodata,"a",@progbits
	.p2align	6, 0x0
	.amdhsa_kernel _ZN7rocprim17ROCPRIM_400000_NS6detail17trampoline_kernelINS0_14default_configENS1_38merge_sort_block_merge_config_selectorIhlEEZZNS1_27merge_sort_block_merge_implIS3_PhN6thrust23THRUST_200600_302600_NS10device_ptrIlEEjNS1_19radix_merge_compareILb0ELb1EhNS0_19identity_decomposerEEEEE10hipError_tT0_T1_T2_jT3_P12ihipStream_tbPNSt15iterator_traitsISG_E10value_typeEPNSM_ISH_E10value_typeEPSI_NS1_7vsmem_tEENKUlT_SG_SH_SI_E_clIS7_S7_SB_PlEESF_SV_SG_SH_SI_EUlSV_E0_NS1_11comp_targetILNS1_3genE0ELNS1_11target_archE4294967295ELNS1_3gpuE0ELNS1_3repE0EEENS1_38merge_mergepath_config_static_selectorELNS0_4arch9wavefront6targetE1EEEvSH_
		.amdhsa_group_segment_fixed_size 0
		.amdhsa_private_segment_fixed_size 0
		.amdhsa_kernarg_size 64
		.amdhsa_user_sgpr_count 6
		.amdhsa_user_sgpr_private_segment_buffer 1
		.amdhsa_user_sgpr_dispatch_ptr 0
		.amdhsa_user_sgpr_queue_ptr 0
		.amdhsa_user_sgpr_kernarg_segment_ptr 1
		.amdhsa_user_sgpr_dispatch_id 0
		.amdhsa_user_sgpr_flat_scratch_init 0
		.amdhsa_user_sgpr_kernarg_preload_length 0
		.amdhsa_user_sgpr_kernarg_preload_offset 0
		.amdhsa_user_sgpr_private_segment_size 0
		.amdhsa_uses_dynamic_stack 0
		.amdhsa_system_sgpr_private_segment_wavefront_offset 0
		.amdhsa_system_sgpr_workgroup_id_x 1
		.amdhsa_system_sgpr_workgroup_id_y 0
		.amdhsa_system_sgpr_workgroup_id_z 0
		.amdhsa_system_sgpr_workgroup_info 0
		.amdhsa_system_vgpr_workitem_id 0
		.amdhsa_next_free_vgpr 1
		.amdhsa_next_free_sgpr 0
		.amdhsa_accum_offset 4
		.amdhsa_reserve_vcc 0
		.amdhsa_reserve_flat_scratch 0
		.amdhsa_float_round_mode_32 0
		.amdhsa_float_round_mode_16_64 0
		.amdhsa_float_denorm_mode_32 3
		.amdhsa_float_denorm_mode_16_64 3
		.amdhsa_dx10_clamp 1
		.amdhsa_ieee_mode 1
		.amdhsa_fp16_overflow 0
		.amdhsa_tg_split 0
		.amdhsa_exception_fp_ieee_invalid_op 0
		.amdhsa_exception_fp_denorm_src 0
		.amdhsa_exception_fp_ieee_div_zero 0
		.amdhsa_exception_fp_ieee_overflow 0
		.amdhsa_exception_fp_ieee_underflow 0
		.amdhsa_exception_fp_ieee_inexact 0
		.amdhsa_exception_int_div_zero 0
	.end_amdhsa_kernel
	.section	.text._ZN7rocprim17ROCPRIM_400000_NS6detail17trampoline_kernelINS0_14default_configENS1_38merge_sort_block_merge_config_selectorIhlEEZZNS1_27merge_sort_block_merge_implIS3_PhN6thrust23THRUST_200600_302600_NS10device_ptrIlEEjNS1_19radix_merge_compareILb0ELb1EhNS0_19identity_decomposerEEEEE10hipError_tT0_T1_T2_jT3_P12ihipStream_tbPNSt15iterator_traitsISG_E10value_typeEPNSM_ISH_E10value_typeEPSI_NS1_7vsmem_tEENKUlT_SG_SH_SI_E_clIS7_S7_SB_PlEESF_SV_SG_SH_SI_EUlSV_E0_NS1_11comp_targetILNS1_3genE0ELNS1_11target_archE4294967295ELNS1_3gpuE0ELNS1_3repE0EEENS1_38merge_mergepath_config_static_selectorELNS0_4arch9wavefront6targetE1EEEvSH_,"axG",@progbits,_ZN7rocprim17ROCPRIM_400000_NS6detail17trampoline_kernelINS0_14default_configENS1_38merge_sort_block_merge_config_selectorIhlEEZZNS1_27merge_sort_block_merge_implIS3_PhN6thrust23THRUST_200600_302600_NS10device_ptrIlEEjNS1_19radix_merge_compareILb0ELb1EhNS0_19identity_decomposerEEEEE10hipError_tT0_T1_T2_jT3_P12ihipStream_tbPNSt15iterator_traitsISG_E10value_typeEPNSM_ISH_E10value_typeEPSI_NS1_7vsmem_tEENKUlT_SG_SH_SI_E_clIS7_S7_SB_PlEESF_SV_SG_SH_SI_EUlSV_E0_NS1_11comp_targetILNS1_3genE0ELNS1_11target_archE4294967295ELNS1_3gpuE0ELNS1_3repE0EEENS1_38merge_mergepath_config_static_selectorELNS0_4arch9wavefront6targetE1EEEvSH_,comdat
.Lfunc_end221:
	.size	_ZN7rocprim17ROCPRIM_400000_NS6detail17trampoline_kernelINS0_14default_configENS1_38merge_sort_block_merge_config_selectorIhlEEZZNS1_27merge_sort_block_merge_implIS3_PhN6thrust23THRUST_200600_302600_NS10device_ptrIlEEjNS1_19radix_merge_compareILb0ELb1EhNS0_19identity_decomposerEEEEE10hipError_tT0_T1_T2_jT3_P12ihipStream_tbPNSt15iterator_traitsISG_E10value_typeEPNSM_ISH_E10value_typeEPSI_NS1_7vsmem_tEENKUlT_SG_SH_SI_E_clIS7_S7_SB_PlEESF_SV_SG_SH_SI_EUlSV_E0_NS1_11comp_targetILNS1_3genE0ELNS1_11target_archE4294967295ELNS1_3gpuE0ELNS1_3repE0EEENS1_38merge_mergepath_config_static_selectorELNS0_4arch9wavefront6targetE1EEEvSH_, .Lfunc_end221-_ZN7rocprim17ROCPRIM_400000_NS6detail17trampoline_kernelINS0_14default_configENS1_38merge_sort_block_merge_config_selectorIhlEEZZNS1_27merge_sort_block_merge_implIS3_PhN6thrust23THRUST_200600_302600_NS10device_ptrIlEEjNS1_19radix_merge_compareILb0ELb1EhNS0_19identity_decomposerEEEEE10hipError_tT0_T1_T2_jT3_P12ihipStream_tbPNSt15iterator_traitsISG_E10value_typeEPNSM_ISH_E10value_typeEPSI_NS1_7vsmem_tEENKUlT_SG_SH_SI_E_clIS7_S7_SB_PlEESF_SV_SG_SH_SI_EUlSV_E0_NS1_11comp_targetILNS1_3genE0ELNS1_11target_archE4294967295ELNS1_3gpuE0ELNS1_3repE0EEENS1_38merge_mergepath_config_static_selectorELNS0_4arch9wavefront6targetE1EEEvSH_
                                        ; -- End function
	.section	.AMDGPU.csdata,"",@progbits
; Kernel info:
; codeLenInByte = 0
; NumSgprs: 4
; NumVgprs: 0
; NumAgprs: 0
; TotalNumVgprs: 0
; ScratchSize: 0
; MemoryBound: 0
; FloatMode: 240
; IeeeMode: 1
; LDSByteSize: 0 bytes/workgroup (compile time only)
; SGPRBlocks: 0
; VGPRBlocks: 0
; NumSGPRsForWavesPerEU: 4
; NumVGPRsForWavesPerEU: 1
; AccumOffset: 4
; Occupancy: 8
; WaveLimiterHint : 0
; COMPUTE_PGM_RSRC2:SCRATCH_EN: 0
; COMPUTE_PGM_RSRC2:USER_SGPR: 6
; COMPUTE_PGM_RSRC2:TRAP_HANDLER: 0
; COMPUTE_PGM_RSRC2:TGID_X_EN: 1
; COMPUTE_PGM_RSRC2:TGID_Y_EN: 0
; COMPUTE_PGM_RSRC2:TGID_Z_EN: 0
; COMPUTE_PGM_RSRC2:TIDIG_COMP_CNT: 0
; COMPUTE_PGM_RSRC3_GFX90A:ACCUM_OFFSET: 0
; COMPUTE_PGM_RSRC3_GFX90A:TG_SPLIT: 0
	.section	.text._ZN7rocprim17ROCPRIM_400000_NS6detail17trampoline_kernelINS0_14default_configENS1_38merge_sort_block_merge_config_selectorIhlEEZZNS1_27merge_sort_block_merge_implIS3_PhN6thrust23THRUST_200600_302600_NS10device_ptrIlEEjNS1_19radix_merge_compareILb0ELb1EhNS0_19identity_decomposerEEEEE10hipError_tT0_T1_T2_jT3_P12ihipStream_tbPNSt15iterator_traitsISG_E10value_typeEPNSM_ISH_E10value_typeEPSI_NS1_7vsmem_tEENKUlT_SG_SH_SI_E_clIS7_S7_SB_PlEESF_SV_SG_SH_SI_EUlSV_E0_NS1_11comp_targetILNS1_3genE10ELNS1_11target_archE1201ELNS1_3gpuE5ELNS1_3repE0EEENS1_38merge_mergepath_config_static_selectorELNS0_4arch9wavefront6targetE1EEEvSH_,"axG",@progbits,_ZN7rocprim17ROCPRIM_400000_NS6detail17trampoline_kernelINS0_14default_configENS1_38merge_sort_block_merge_config_selectorIhlEEZZNS1_27merge_sort_block_merge_implIS3_PhN6thrust23THRUST_200600_302600_NS10device_ptrIlEEjNS1_19radix_merge_compareILb0ELb1EhNS0_19identity_decomposerEEEEE10hipError_tT0_T1_T2_jT3_P12ihipStream_tbPNSt15iterator_traitsISG_E10value_typeEPNSM_ISH_E10value_typeEPSI_NS1_7vsmem_tEENKUlT_SG_SH_SI_E_clIS7_S7_SB_PlEESF_SV_SG_SH_SI_EUlSV_E0_NS1_11comp_targetILNS1_3genE10ELNS1_11target_archE1201ELNS1_3gpuE5ELNS1_3repE0EEENS1_38merge_mergepath_config_static_selectorELNS0_4arch9wavefront6targetE1EEEvSH_,comdat
	.protected	_ZN7rocprim17ROCPRIM_400000_NS6detail17trampoline_kernelINS0_14default_configENS1_38merge_sort_block_merge_config_selectorIhlEEZZNS1_27merge_sort_block_merge_implIS3_PhN6thrust23THRUST_200600_302600_NS10device_ptrIlEEjNS1_19radix_merge_compareILb0ELb1EhNS0_19identity_decomposerEEEEE10hipError_tT0_T1_T2_jT3_P12ihipStream_tbPNSt15iterator_traitsISG_E10value_typeEPNSM_ISH_E10value_typeEPSI_NS1_7vsmem_tEENKUlT_SG_SH_SI_E_clIS7_S7_SB_PlEESF_SV_SG_SH_SI_EUlSV_E0_NS1_11comp_targetILNS1_3genE10ELNS1_11target_archE1201ELNS1_3gpuE5ELNS1_3repE0EEENS1_38merge_mergepath_config_static_selectorELNS0_4arch9wavefront6targetE1EEEvSH_ ; -- Begin function _ZN7rocprim17ROCPRIM_400000_NS6detail17trampoline_kernelINS0_14default_configENS1_38merge_sort_block_merge_config_selectorIhlEEZZNS1_27merge_sort_block_merge_implIS3_PhN6thrust23THRUST_200600_302600_NS10device_ptrIlEEjNS1_19radix_merge_compareILb0ELb1EhNS0_19identity_decomposerEEEEE10hipError_tT0_T1_T2_jT3_P12ihipStream_tbPNSt15iterator_traitsISG_E10value_typeEPNSM_ISH_E10value_typeEPSI_NS1_7vsmem_tEENKUlT_SG_SH_SI_E_clIS7_S7_SB_PlEESF_SV_SG_SH_SI_EUlSV_E0_NS1_11comp_targetILNS1_3genE10ELNS1_11target_archE1201ELNS1_3gpuE5ELNS1_3repE0EEENS1_38merge_mergepath_config_static_selectorELNS0_4arch9wavefront6targetE1EEEvSH_
	.globl	_ZN7rocprim17ROCPRIM_400000_NS6detail17trampoline_kernelINS0_14default_configENS1_38merge_sort_block_merge_config_selectorIhlEEZZNS1_27merge_sort_block_merge_implIS3_PhN6thrust23THRUST_200600_302600_NS10device_ptrIlEEjNS1_19radix_merge_compareILb0ELb1EhNS0_19identity_decomposerEEEEE10hipError_tT0_T1_T2_jT3_P12ihipStream_tbPNSt15iterator_traitsISG_E10value_typeEPNSM_ISH_E10value_typeEPSI_NS1_7vsmem_tEENKUlT_SG_SH_SI_E_clIS7_S7_SB_PlEESF_SV_SG_SH_SI_EUlSV_E0_NS1_11comp_targetILNS1_3genE10ELNS1_11target_archE1201ELNS1_3gpuE5ELNS1_3repE0EEENS1_38merge_mergepath_config_static_selectorELNS0_4arch9wavefront6targetE1EEEvSH_
	.p2align	8
	.type	_ZN7rocprim17ROCPRIM_400000_NS6detail17trampoline_kernelINS0_14default_configENS1_38merge_sort_block_merge_config_selectorIhlEEZZNS1_27merge_sort_block_merge_implIS3_PhN6thrust23THRUST_200600_302600_NS10device_ptrIlEEjNS1_19radix_merge_compareILb0ELb1EhNS0_19identity_decomposerEEEEE10hipError_tT0_T1_T2_jT3_P12ihipStream_tbPNSt15iterator_traitsISG_E10value_typeEPNSM_ISH_E10value_typeEPSI_NS1_7vsmem_tEENKUlT_SG_SH_SI_E_clIS7_S7_SB_PlEESF_SV_SG_SH_SI_EUlSV_E0_NS1_11comp_targetILNS1_3genE10ELNS1_11target_archE1201ELNS1_3gpuE5ELNS1_3repE0EEENS1_38merge_mergepath_config_static_selectorELNS0_4arch9wavefront6targetE1EEEvSH_,@function
_ZN7rocprim17ROCPRIM_400000_NS6detail17trampoline_kernelINS0_14default_configENS1_38merge_sort_block_merge_config_selectorIhlEEZZNS1_27merge_sort_block_merge_implIS3_PhN6thrust23THRUST_200600_302600_NS10device_ptrIlEEjNS1_19radix_merge_compareILb0ELb1EhNS0_19identity_decomposerEEEEE10hipError_tT0_T1_T2_jT3_P12ihipStream_tbPNSt15iterator_traitsISG_E10value_typeEPNSM_ISH_E10value_typeEPSI_NS1_7vsmem_tEENKUlT_SG_SH_SI_E_clIS7_S7_SB_PlEESF_SV_SG_SH_SI_EUlSV_E0_NS1_11comp_targetILNS1_3genE10ELNS1_11target_archE1201ELNS1_3gpuE5ELNS1_3repE0EEENS1_38merge_mergepath_config_static_selectorELNS0_4arch9wavefront6targetE1EEEvSH_: ; @_ZN7rocprim17ROCPRIM_400000_NS6detail17trampoline_kernelINS0_14default_configENS1_38merge_sort_block_merge_config_selectorIhlEEZZNS1_27merge_sort_block_merge_implIS3_PhN6thrust23THRUST_200600_302600_NS10device_ptrIlEEjNS1_19radix_merge_compareILb0ELb1EhNS0_19identity_decomposerEEEEE10hipError_tT0_T1_T2_jT3_P12ihipStream_tbPNSt15iterator_traitsISG_E10value_typeEPNSM_ISH_E10value_typeEPSI_NS1_7vsmem_tEENKUlT_SG_SH_SI_E_clIS7_S7_SB_PlEESF_SV_SG_SH_SI_EUlSV_E0_NS1_11comp_targetILNS1_3genE10ELNS1_11target_archE1201ELNS1_3gpuE5ELNS1_3repE0EEENS1_38merge_mergepath_config_static_selectorELNS0_4arch9wavefront6targetE1EEEvSH_
; %bb.0:
	.section	.rodata,"a",@progbits
	.p2align	6, 0x0
	.amdhsa_kernel _ZN7rocprim17ROCPRIM_400000_NS6detail17trampoline_kernelINS0_14default_configENS1_38merge_sort_block_merge_config_selectorIhlEEZZNS1_27merge_sort_block_merge_implIS3_PhN6thrust23THRUST_200600_302600_NS10device_ptrIlEEjNS1_19radix_merge_compareILb0ELb1EhNS0_19identity_decomposerEEEEE10hipError_tT0_T1_T2_jT3_P12ihipStream_tbPNSt15iterator_traitsISG_E10value_typeEPNSM_ISH_E10value_typeEPSI_NS1_7vsmem_tEENKUlT_SG_SH_SI_E_clIS7_S7_SB_PlEESF_SV_SG_SH_SI_EUlSV_E0_NS1_11comp_targetILNS1_3genE10ELNS1_11target_archE1201ELNS1_3gpuE5ELNS1_3repE0EEENS1_38merge_mergepath_config_static_selectorELNS0_4arch9wavefront6targetE1EEEvSH_
		.amdhsa_group_segment_fixed_size 0
		.amdhsa_private_segment_fixed_size 0
		.amdhsa_kernarg_size 64
		.amdhsa_user_sgpr_count 6
		.amdhsa_user_sgpr_private_segment_buffer 1
		.amdhsa_user_sgpr_dispatch_ptr 0
		.amdhsa_user_sgpr_queue_ptr 0
		.amdhsa_user_sgpr_kernarg_segment_ptr 1
		.amdhsa_user_sgpr_dispatch_id 0
		.amdhsa_user_sgpr_flat_scratch_init 0
		.amdhsa_user_sgpr_kernarg_preload_length 0
		.amdhsa_user_sgpr_kernarg_preload_offset 0
		.amdhsa_user_sgpr_private_segment_size 0
		.amdhsa_uses_dynamic_stack 0
		.amdhsa_system_sgpr_private_segment_wavefront_offset 0
		.amdhsa_system_sgpr_workgroup_id_x 1
		.amdhsa_system_sgpr_workgroup_id_y 0
		.amdhsa_system_sgpr_workgroup_id_z 0
		.amdhsa_system_sgpr_workgroup_info 0
		.amdhsa_system_vgpr_workitem_id 0
		.amdhsa_next_free_vgpr 1
		.amdhsa_next_free_sgpr 0
		.amdhsa_accum_offset 4
		.amdhsa_reserve_vcc 0
		.amdhsa_reserve_flat_scratch 0
		.amdhsa_float_round_mode_32 0
		.amdhsa_float_round_mode_16_64 0
		.amdhsa_float_denorm_mode_32 3
		.amdhsa_float_denorm_mode_16_64 3
		.amdhsa_dx10_clamp 1
		.amdhsa_ieee_mode 1
		.amdhsa_fp16_overflow 0
		.amdhsa_tg_split 0
		.amdhsa_exception_fp_ieee_invalid_op 0
		.amdhsa_exception_fp_denorm_src 0
		.amdhsa_exception_fp_ieee_div_zero 0
		.amdhsa_exception_fp_ieee_overflow 0
		.amdhsa_exception_fp_ieee_underflow 0
		.amdhsa_exception_fp_ieee_inexact 0
		.amdhsa_exception_int_div_zero 0
	.end_amdhsa_kernel
	.section	.text._ZN7rocprim17ROCPRIM_400000_NS6detail17trampoline_kernelINS0_14default_configENS1_38merge_sort_block_merge_config_selectorIhlEEZZNS1_27merge_sort_block_merge_implIS3_PhN6thrust23THRUST_200600_302600_NS10device_ptrIlEEjNS1_19radix_merge_compareILb0ELb1EhNS0_19identity_decomposerEEEEE10hipError_tT0_T1_T2_jT3_P12ihipStream_tbPNSt15iterator_traitsISG_E10value_typeEPNSM_ISH_E10value_typeEPSI_NS1_7vsmem_tEENKUlT_SG_SH_SI_E_clIS7_S7_SB_PlEESF_SV_SG_SH_SI_EUlSV_E0_NS1_11comp_targetILNS1_3genE10ELNS1_11target_archE1201ELNS1_3gpuE5ELNS1_3repE0EEENS1_38merge_mergepath_config_static_selectorELNS0_4arch9wavefront6targetE1EEEvSH_,"axG",@progbits,_ZN7rocprim17ROCPRIM_400000_NS6detail17trampoline_kernelINS0_14default_configENS1_38merge_sort_block_merge_config_selectorIhlEEZZNS1_27merge_sort_block_merge_implIS3_PhN6thrust23THRUST_200600_302600_NS10device_ptrIlEEjNS1_19radix_merge_compareILb0ELb1EhNS0_19identity_decomposerEEEEE10hipError_tT0_T1_T2_jT3_P12ihipStream_tbPNSt15iterator_traitsISG_E10value_typeEPNSM_ISH_E10value_typeEPSI_NS1_7vsmem_tEENKUlT_SG_SH_SI_E_clIS7_S7_SB_PlEESF_SV_SG_SH_SI_EUlSV_E0_NS1_11comp_targetILNS1_3genE10ELNS1_11target_archE1201ELNS1_3gpuE5ELNS1_3repE0EEENS1_38merge_mergepath_config_static_selectorELNS0_4arch9wavefront6targetE1EEEvSH_,comdat
.Lfunc_end222:
	.size	_ZN7rocprim17ROCPRIM_400000_NS6detail17trampoline_kernelINS0_14default_configENS1_38merge_sort_block_merge_config_selectorIhlEEZZNS1_27merge_sort_block_merge_implIS3_PhN6thrust23THRUST_200600_302600_NS10device_ptrIlEEjNS1_19radix_merge_compareILb0ELb1EhNS0_19identity_decomposerEEEEE10hipError_tT0_T1_T2_jT3_P12ihipStream_tbPNSt15iterator_traitsISG_E10value_typeEPNSM_ISH_E10value_typeEPSI_NS1_7vsmem_tEENKUlT_SG_SH_SI_E_clIS7_S7_SB_PlEESF_SV_SG_SH_SI_EUlSV_E0_NS1_11comp_targetILNS1_3genE10ELNS1_11target_archE1201ELNS1_3gpuE5ELNS1_3repE0EEENS1_38merge_mergepath_config_static_selectorELNS0_4arch9wavefront6targetE1EEEvSH_, .Lfunc_end222-_ZN7rocprim17ROCPRIM_400000_NS6detail17trampoline_kernelINS0_14default_configENS1_38merge_sort_block_merge_config_selectorIhlEEZZNS1_27merge_sort_block_merge_implIS3_PhN6thrust23THRUST_200600_302600_NS10device_ptrIlEEjNS1_19radix_merge_compareILb0ELb1EhNS0_19identity_decomposerEEEEE10hipError_tT0_T1_T2_jT3_P12ihipStream_tbPNSt15iterator_traitsISG_E10value_typeEPNSM_ISH_E10value_typeEPSI_NS1_7vsmem_tEENKUlT_SG_SH_SI_E_clIS7_S7_SB_PlEESF_SV_SG_SH_SI_EUlSV_E0_NS1_11comp_targetILNS1_3genE10ELNS1_11target_archE1201ELNS1_3gpuE5ELNS1_3repE0EEENS1_38merge_mergepath_config_static_selectorELNS0_4arch9wavefront6targetE1EEEvSH_
                                        ; -- End function
	.section	.AMDGPU.csdata,"",@progbits
; Kernel info:
; codeLenInByte = 0
; NumSgprs: 4
; NumVgprs: 0
; NumAgprs: 0
; TotalNumVgprs: 0
; ScratchSize: 0
; MemoryBound: 0
; FloatMode: 240
; IeeeMode: 1
; LDSByteSize: 0 bytes/workgroup (compile time only)
; SGPRBlocks: 0
; VGPRBlocks: 0
; NumSGPRsForWavesPerEU: 4
; NumVGPRsForWavesPerEU: 1
; AccumOffset: 4
; Occupancy: 8
; WaveLimiterHint : 0
; COMPUTE_PGM_RSRC2:SCRATCH_EN: 0
; COMPUTE_PGM_RSRC2:USER_SGPR: 6
; COMPUTE_PGM_RSRC2:TRAP_HANDLER: 0
; COMPUTE_PGM_RSRC2:TGID_X_EN: 1
; COMPUTE_PGM_RSRC2:TGID_Y_EN: 0
; COMPUTE_PGM_RSRC2:TGID_Z_EN: 0
; COMPUTE_PGM_RSRC2:TIDIG_COMP_CNT: 0
; COMPUTE_PGM_RSRC3_GFX90A:ACCUM_OFFSET: 0
; COMPUTE_PGM_RSRC3_GFX90A:TG_SPLIT: 0
	.section	.text._ZN7rocprim17ROCPRIM_400000_NS6detail17trampoline_kernelINS0_14default_configENS1_38merge_sort_block_merge_config_selectorIhlEEZZNS1_27merge_sort_block_merge_implIS3_PhN6thrust23THRUST_200600_302600_NS10device_ptrIlEEjNS1_19radix_merge_compareILb0ELb1EhNS0_19identity_decomposerEEEEE10hipError_tT0_T1_T2_jT3_P12ihipStream_tbPNSt15iterator_traitsISG_E10value_typeEPNSM_ISH_E10value_typeEPSI_NS1_7vsmem_tEENKUlT_SG_SH_SI_E_clIS7_S7_SB_PlEESF_SV_SG_SH_SI_EUlSV_E0_NS1_11comp_targetILNS1_3genE5ELNS1_11target_archE942ELNS1_3gpuE9ELNS1_3repE0EEENS1_38merge_mergepath_config_static_selectorELNS0_4arch9wavefront6targetE1EEEvSH_,"axG",@progbits,_ZN7rocprim17ROCPRIM_400000_NS6detail17trampoline_kernelINS0_14default_configENS1_38merge_sort_block_merge_config_selectorIhlEEZZNS1_27merge_sort_block_merge_implIS3_PhN6thrust23THRUST_200600_302600_NS10device_ptrIlEEjNS1_19radix_merge_compareILb0ELb1EhNS0_19identity_decomposerEEEEE10hipError_tT0_T1_T2_jT3_P12ihipStream_tbPNSt15iterator_traitsISG_E10value_typeEPNSM_ISH_E10value_typeEPSI_NS1_7vsmem_tEENKUlT_SG_SH_SI_E_clIS7_S7_SB_PlEESF_SV_SG_SH_SI_EUlSV_E0_NS1_11comp_targetILNS1_3genE5ELNS1_11target_archE942ELNS1_3gpuE9ELNS1_3repE0EEENS1_38merge_mergepath_config_static_selectorELNS0_4arch9wavefront6targetE1EEEvSH_,comdat
	.protected	_ZN7rocprim17ROCPRIM_400000_NS6detail17trampoline_kernelINS0_14default_configENS1_38merge_sort_block_merge_config_selectorIhlEEZZNS1_27merge_sort_block_merge_implIS3_PhN6thrust23THRUST_200600_302600_NS10device_ptrIlEEjNS1_19radix_merge_compareILb0ELb1EhNS0_19identity_decomposerEEEEE10hipError_tT0_T1_T2_jT3_P12ihipStream_tbPNSt15iterator_traitsISG_E10value_typeEPNSM_ISH_E10value_typeEPSI_NS1_7vsmem_tEENKUlT_SG_SH_SI_E_clIS7_S7_SB_PlEESF_SV_SG_SH_SI_EUlSV_E0_NS1_11comp_targetILNS1_3genE5ELNS1_11target_archE942ELNS1_3gpuE9ELNS1_3repE0EEENS1_38merge_mergepath_config_static_selectorELNS0_4arch9wavefront6targetE1EEEvSH_ ; -- Begin function _ZN7rocprim17ROCPRIM_400000_NS6detail17trampoline_kernelINS0_14default_configENS1_38merge_sort_block_merge_config_selectorIhlEEZZNS1_27merge_sort_block_merge_implIS3_PhN6thrust23THRUST_200600_302600_NS10device_ptrIlEEjNS1_19radix_merge_compareILb0ELb1EhNS0_19identity_decomposerEEEEE10hipError_tT0_T1_T2_jT3_P12ihipStream_tbPNSt15iterator_traitsISG_E10value_typeEPNSM_ISH_E10value_typeEPSI_NS1_7vsmem_tEENKUlT_SG_SH_SI_E_clIS7_S7_SB_PlEESF_SV_SG_SH_SI_EUlSV_E0_NS1_11comp_targetILNS1_3genE5ELNS1_11target_archE942ELNS1_3gpuE9ELNS1_3repE0EEENS1_38merge_mergepath_config_static_selectorELNS0_4arch9wavefront6targetE1EEEvSH_
	.globl	_ZN7rocprim17ROCPRIM_400000_NS6detail17trampoline_kernelINS0_14default_configENS1_38merge_sort_block_merge_config_selectorIhlEEZZNS1_27merge_sort_block_merge_implIS3_PhN6thrust23THRUST_200600_302600_NS10device_ptrIlEEjNS1_19radix_merge_compareILb0ELb1EhNS0_19identity_decomposerEEEEE10hipError_tT0_T1_T2_jT3_P12ihipStream_tbPNSt15iterator_traitsISG_E10value_typeEPNSM_ISH_E10value_typeEPSI_NS1_7vsmem_tEENKUlT_SG_SH_SI_E_clIS7_S7_SB_PlEESF_SV_SG_SH_SI_EUlSV_E0_NS1_11comp_targetILNS1_3genE5ELNS1_11target_archE942ELNS1_3gpuE9ELNS1_3repE0EEENS1_38merge_mergepath_config_static_selectorELNS0_4arch9wavefront6targetE1EEEvSH_
	.p2align	8
	.type	_ZN7rocprim17ROCPRIM_400000_NS6detail17trampoline_kernelINS0_14default_configENS1_38merge_sort_block_merge_config_selectorIhlEEZZNS1_27merge_sort_block_merge_implIS3_PhN6thrust23THRUST_200600_302600_NS10device_ptrIlEEjNS1_19radix_merge_compareILb0ELb1EhNS0_19identity_decomposerEEEEE10hipError_tT0_T1_T2_jT3_P12ihipStream_tbPNSt15iterator_traitsISG_E10value_typeEPNSM_ISH_E10value_typeEPSI_NS1_7vsmem_tEENKUlT_SG_SH_SI_E_clIS7_S7_SB_PlEESF_SV_SG_SH_SI_EUlSV_E0_NS1_11comp_targetILNS1_3genE5ELNS1_11target_archE942ELNS1_3gpuE9ELNS1_3repE0EEENS1_38merge_mergepath_config_static_selectorELNS0_4arch9wavefront6targetE1EEEvSH_,@function
_ZN7rocprim17ROCPRIM_400000_NS6detail17trampoline_kernelINS0_14default_configENS1_38merge_sort_block_merge_config_selectorIhlEEZZNS1_27merge_sort_block_merge_implIS3_PhN6thrust23THRUST_200600_302600_NS10device_ptrIlEEjNS1_19radix_merge_compareILb0ELb1EhNS0_19identity_decomposerEEEEE10hipError_tT0_T1_T2_jT3_P12ihipStream_tbPNSt15iterator_traitsISG_E10value_typeEPNSM_ISH_E10value_typeEPSI_NS1_7vsmem_tEENKUlT_SG_SH_SI_E_clIS7_S7_SB_PlEESF_SV_SG_SH_SI_EUlSV_E0_NS1_11comp_targetILNS1_3genE5ELNS1_11target_archE942ELNS1_3gpuE9ELNS1_3repE0EEENS1_38merge_mergepath_config_static_selectorELNS0_4arch9wavefront6targetE1EEEvSH_: ; @_ZN7rocprim17ROCPRIM_400000_NS6detail17trampoline_kernelINS0_14default_configENS1_38merge_sort_block_merge_config_selectorIhlEEZZNS1_27merge_sort_block_merge_implIS3_PhN6thrust23THRUST_200600_302600_NS10device_ptrIlEEjNS1_19radix_merge_compareILb0ELb1EhNS0_19identity_decomposerEEEEE10hipError_tT0_T1_T2_jT3_P12ihipStream_tbPNSt15iterator_traitsISG_E10value_typeEPNSM_ISH_E10value_typeEPSI_NS1_7vsmem_tEENKUlT_SG_SH_SI_E_clIS7_S7_SB_PlEESF_SV_SG_SH_SI_EUlSV_E0_NS1_11comp_targetILNS1_3genE5ELNS1_11target_archE942ELNS1_3gpuE9ELNS1_3repE0EEENS1_38merge_mergepath_config_static_selectorELNS0_4arch9wavefront6targetE1EEEvSH_
; %bb.0:
	.section	.rodata,"a",@progbits
	.p2align	6, 0x0
	.amdhsa_kernel _ZN7rocprim17ROCPRIM_400000_NS6detail17trampoline_kernelINS0_14default_configENS1_38merge_sort_block_merge_config_selectorIhlEEZZNS1_27merge_sort_block_merge_implIS3_PhN6thrust23THRUST_200600_302600_NS10device_ptrIlEEjNS1_19radix_merge_compareILb0ELb1EhNS0_19identity_decomposerEEEEE10hipError_tT0_T1_T2_jT3_P12ihipStream_tbPNSt15iterator_traitsISG_E10value_typeEPNSM_ISH_E10value_typeEPSI_NS1_7vsmem_tEENKUlT_SG_SH_SI_E_clIS7_S7_SB_PlEESF_SV_SG_SH_SI_EUlSV_E0_NS1_11comp_targetILNS1_3genE5ELNS1_11target_archE942ELNS1_3gpuE9ELNS1_3repE0EEENS1_38merge_mergepath_config_static_selectorELNS0_4arch9wavefront6targetE1EEEvSH_
		.amdhsa_group_segment_fixed_size 0
		.amdhsa_private_segment_fixed_size 0
		.amdhsa_kernarg_size 64
		.amdhsa_user_sgpr_count 6
		.amdhsa_user_sgpr_private_segment_buffer 1
		.amdhsa_user_sgpr_dispatch_ptr 0
		.amdhsa_user_sgpr_queue_ptr 0
		.amdhsa_user_sgpr_kernarg_segment_ptr 1
		.amdhsa_user_sgpr_dispatch_id 0
		.amdhsa_user_sgpr_flat_scratch_init 0
		.amdhsa_user_sgpr_kernarg_preload_length 0
		.amdhsa_user_sgpr_kernarg_preload_offset 0
		.amdhsa_user_sgpr_private_segment_size 0
		.amdhsa_uses_dynamic_stack 0
		.amdhsa_system_sgpr_private_segment_wavefront_offset 0
		.amdhsa_system_sgpr_workgroup_id_x 1
		.amdhsa_system_sgpr_workgroup_id_y 0
		.amdhsa_system_sgpr_workgroup_id_z 0
		.amdhsa_system_sgpr_workgroup_info 0
		.amdhsa_system_vgpr_workitem_id 0
		.amdhsa_next_free_vgpr 1
		.amdhsa_next_free_sgpr 0
		.amdhsa_accum_offset 4
		.amdhsa_reserve_vcc 0
		.amdhsa_reserve_flat_scratch 0
		.amdhsa_float_round_mode_32 0
		.amdhsa_float_round_mode_16_64 0
		.amdhsa_float_denorm_mode_32 3
		.amdhsa_float_denorm_mode_16_64 3
		.amdhsa_dx10_clamp 1
		.amdhsa_ieee_mode 1
		.amdhsa_fp16_overflow 0
		.amdhsa_tg_split 0
		.amdhsa_exception_fp_ieee_invalid_op 0
		.amdhsa_exception_fp_denorm_src 0
		.amdhsa_exception_fp_ieee_div_zero 0
		.amdhsa_exception_fp_ieee_overflow 0
		.amdhsa_exception_fp_ieee_underflow 0
		.amdhsa_exception_fp_ieee_inexact 0
		.amdhsa_exception_int_div_zero 0
	.end_amdhsa_kernel
	.section	.text._ZN7rocprim17ROCPRIM_400000_NS6detail17trampoline_kernelINS0_14default_configENS1_38merge_sort_block_merge_config_selectorIhlEEZZNS1_27merge_sort_block_merge_implIS3_PhN6thrust23THRUST_200600_302600_NS10device_ptrIlEEjNS1_19radix_merge_compareILb0ELb1EhNS0_19identity_decomposerEEEEE10hipError_tT0_T1_T2_jT3_P12ihipStream_tbPNSt15iterator_traitsISG_E10value_typeEPNSM_ISH_E10value_typeEPSI_NS1_7vsmem_tEENKUlT_SG_SH_SI_E_clIS7_S7_SB_PlEESF_SV_SG_SH_SI_EUlSV_E0_NS1_11comp_targetILNS1_3genE5ELNS1_11target_archE942ELNS1_3gpuE9ELNS1_3repE0EEENS1_38merge_mergepath_config_static_selectorELNS0_4arch9wavefront6targetE1EEEvSH_,"axG",@progbits,_ZN7rocprim17ROCPRIM_400000_NS6detail17trampoline_kernelINS0_14default_configENS1_38merge_sort_block_merge_config_selectorIhlEEZZNS1_27merge_sort_block_merge_implIS3_PhN6thrust23THRUST_200600_302600_NS10device_ptrIlEEjNS1_19radix_merge_compareILb0ELb1EhNS0_19identity_decomposerEEEEE10hipError_tT0_T1_T2_jT3_P12ihipStream_tbPNSt15iterator_traitsISG_E10value_typeEPNSM_ISH_E10value_typeEPSI_NS1_7vsmem_tEENKUlT_SG_SH_SI_E_clIS7_S7_SB_PlEESF_SV_SG_SH_SI_EUlSV_E0_NS1_11comp_targetILNS1_3genE5ELNS1_11target_archE942ELNS1_3gpuE9ELNS1_3repE0EEENS1_38merge_mergepath_config_static_selectorELNS0_4arch9wavefront6targetE1EEEvSH_,comdat
.Lfunc_end223:
	.size	_ZN7rocprim17ROCPRIM_400000_NS6detail17trampoline_kernelINS0_14default_configENS1_38merge_sort_block_merge_config_selectorIhlEEZZNS1_27merge_sort_block_merge_implIS3_PhN6thrust23THRUST_200600_302600_NS10device_ptrIlEEjNS1_19radix_merge_compareILb0ELb1EhNS0_19identity_decomposerEEEEE10hipError_tT0_T1_T2_jT3_P12ihipStream_tbPNSt15iterator_traitsISG_E10value_typeEPNSM_ISH_E10value_typeEPSI_NS1_7vsmem_tEENKUlT_SG_SH_SI_E_clIS7_S7_SB_PlEESF_SV_SG_SH_SI_EUlSV_E0_NS1_11comp_targetILNS1_3genE5ELNS1_11target_archE942ELNS1_3gpuE9ELNS1_3repE0EEENS1_38merge_mergepath_config_static_selectorELNS0_4arch9wavefront6targetE1EEEvSH_, .Lfunc_end223-_ZN7rocprim17ROCPRIM_400000_NS6detail17trampoline_kernelINS0_14default_configENS1_38merge_sort_block_merge_config_selectorIhlEEZZNS1_27merge_sort_block_merge_implIS3_PhN6thrust23THRUST_200600_302600_NS10device_ptrIlEEjNS1_19radix_merge_compareILb0ELb1EhNS0_19identity_decomposerEEEEE10hipError_tT0_T1_T2_jT3_P12ihipStream_tbPNSt15iterator_traitsISG_E10value_typeEPNSM_ISH_E10value_typeEPSI_NS1_7vsmem_tEENKUlT_SG_SH_SI_E_clIS7_S7_SB_PlEESF_SV_SG_SH_SI_EUlSV_E0_NS1_11comp_targetILNS1_3genE5ELNS1_11target_archE942ELNS1_3gpuE9ELNS1_3repE0EEENS1_38merge_mergepath_config_static_selectorELNS0_4arch9wavefront6targetE1EEEvSH_
                                        ; -- End function
	.section	.AMDGPU.csdata,"",@progbits
; Kernel info:
; codeLenInByte = 0
; NumSgprs: 4
; NumVgprs: 0
; NumAgprs: 0
; TotalNumVgprs: 0
; ScratchSize: 0
; MemoryBound: 0
; FloatMode: 240
; IeeeMode: 1
; LDSByteSize: 0 bytes/workgroup (compile time only)
; SGPRBlocks: 0
; VGPRBlocks: 0
; NumSGPRsForWavesPerEU: 4
; NumVGPRsForWavesPerEU: 1
; AccumOffset: 4
; Occupancy: 8
; WaveLimiterHint : 0
; COMPUTE_PGM_RSRC2:SCRATCH_EN: 0
; COMPUTE_PGM_RSRC2:USER_SGPR: 6
; COMPUTE_PGM_RSRC2:TRAP_HANDLER: 0
; COMPUTE_PGM_RSRC2:TGID_X_EN: 1
; COMPUTE_PGM_RSRC2:TGID_Y_EN: 0
; COMPUTE_PGM_RSRC2:TGID_Z_EN: 0
; COMPUTE_PGM_RSRC2:TIDIG_COMP_CNT: 0
; COMPUTE_PGM_RSRC3_GFX90A:ACCUM_OFFSET: 0
; COMPUTE_PGM_RSRC3_GFX90A:TG_SPLIT: 0
	.section	.text._ZN7rocprim17ROCPRIM_400000_NS6detail17trampoline_kernelINS0_14default_configENS1_38merge_sort_block_merge_config_selectorIhlEEZZNS1_27merge_sort_block_merge_implIS3_PhN6thrust23THRUST_200600_302600_NS10device_ptrIlEEjNS1_19radix_merge_compareILb0ELb1EhNS0_19identity_decomposerEEEEE10hipError_tT0_T1_T2_jT3_P12ihipStream_tbPNSt15iterator_traitsISG_E10value_typeEPNSM_ISH_E10value_typeEPSI_NS1_7vsmem_tEENKUlT_SG_SH_SI_E_clIS7_S7_SB_PlEESF_SV_SG_SH_SI_EUlSV_E0_NS1_11comp_targetILNS1_3genE4ELNS1_11target_archE910ELNS1_3gpuE8ELNS1_3repE0EEENS1_38merge_mergepath_config_static_selectorELNS0_4arch9wavefront6targetE1EEEvSH_,"axG",@progbits,_ZN7rocprim17ROCPRIM_400000_NS6detail17trampoline_kernelINS0_14default_configENS1_38merge_sort_block_merge_config_selectorIhlEEZZNS1_27merge_sort_block_merge_implIS3_PhN6thrust23THRUST_200600_302600_NS10device_ptrIlEEjNS1_19radix_merge_compareILb0ELb1EhNS0_19identity_decomposerEEEEE10hipError_tT0_T1_T2_jT3_P12ihipStream_tbPNSt15iterator_traitsISG_E10value_typeEPNSM_ISH_E10value_typeEPSI_NS1_7vsmem_tEENKUlT_SG_SH_SI_E_clIS7_S7_SB_PlEESF_SV_SG_SH_SI_EUlSV_E0_NS1_11comp_targetILNS1_3genE4ELNS1_11target_archE910ELNS1_3gpuE8ELNS1_3repE0EEENS1_38merge_mergepath_config_static_selectorELNS0_4arch9wavefront6targetE1EEEvSH_,comdat
	.protected	_ZN7rocprim17ROCPRIM_400000_NS6detail17trampoline_kernelINS0_14default_configENS1_38merge_sort_block_merge_config_selectorIhlEEZZNS1_27merge_sort_block_merge_implIS3_PhN6thrust23THRUST_200600_302600_NS10device_ptrIlEEjNS1_19radix_merge_compareILb0ELb1EhNS0_19identity_decomposerEEEEE10hipError_tT0_T1_T2_jT3_P12ihipStream_tbPNSt15iterator_traitsISG_E10value_typeEPNSM_ISH_E10value_typeEPSI_NS1_7vsmem_tEENKUlT_SG_SH_SI_E_clIS7_S7_SB_PlEESF_SV_SG_SH_SI_EUlSV_E0_NS1_11comp_targetILNS1_3genE4ELNS1_11target_archE910ELNS1_3gpuE8ELNS1_3repE0EEENS1_38merge_mergepath_config_static_selectorELNS0_4arch9wavefront6targetE1EEEvSH_ ; -- Begin function _ZN7rocprim17ROCPRIM_400000_NS6detail17trampoline_kernelINS0_14default_configENS1_38merge_sort_block_merge_config_selectorIhlEEZZNS1_27merge_sort_block_merge_implIS3_PhN6thrust23THRUST_200600_302600_NS10device_ptrIlEEjNS1_19radix_merge_compareILb0ELb1EhNS0_19identity_decomposerEEEEE10hipError_tT0_T1_T2_jT3_P12ihipStream_tbPNSt15iterator_traitsISG_E10value_typeEPNSM_ISH_E10value_typeEPSI_NS1_7vsmem_tEENKUlT_SG_SH_SI_E_clIS7_S7_SB_PlEESF_SV_SG_SH_SI_EUlSV_E0_NS1_11comp_targetILNS1_3genE4ELNS1_11target_archE910ELNS1_3gpuE8ELNS1_3repE0EEENS1_38merge_mergepath_config_static_selectorELNS0_4arch9wavefront6targetE1EEEvSH_
	.globl	_ZN7rocprim17ROCPRIM_400000_NS6detail17trampoline_kernelINS0_14default_configENS1_38merge_sort_block_merge_config_selectorIhlEEZZNS1_27merge_sort_block_merge_implIS3_PhN6thrust23THRUST_200600_302600_NS10device_ptrIlEEjNS1_19radix_merge_compareILb0ELb1EhNS0_19identity_decomposerEEEEE10hipError_tT0_T1_T2_jT3_P12ihipStream_tbPNSt15iterator_traitsISG_E10value_typeEPNSM_ISH_E10value_typeEPSI_NS1_7vsmem_tEENKUlT_SG_SH_SI_E_clIS7_S7_SB_PlEESF_SV_SG_SH_SI_EUlSV_E0_NS1_11comp_targetILNS1_3genE4ELNS1_11target_archE910ELNS1_3gpuE8ELNS1_3repE0EEENS1_38merge_mergepath_config_static_selectorELNS0_4arch9wavefront6targetE1EEEvSH_
	.p2align	8
	.type	_ZN7rocprim17ROCPRIM_400000_NS6detail17trampoline_kernelINS0_14default_configENS1_38merge_sort_block_merge_config_selectorIhlEEZZNS1_27merge_sort_block_merge_implIS3_PhN6thrust23THRUST_200600_302600_NS10device_ptrIlEEjNS1_19radix_merge_compareILb0ELb1EhNS0_19identity_decomposerEEEEE10hipError_tT0_T1_T2_jT3_P12ihipStream_tbPNSt15iterator_traitsISG_E10value_typeEPNSM_ISH_E10value_typeEPSI_NS1_7vsmem_tEENKUlT_SG_SH_SI_E_clIS7_S7_SB_PlEESF_SV_SG_SH_SI_EUlSV_E0_NS1_11comp_targetILNS1_3genE4ELNS1_11target_archE910ELNS1_3gpuE8ELNS1_3repE0EEENS1_38merge_mergepath_config_static_selectorELNS0_4arch9wavefront6targetE1EEEvSH_,@function
_ZN7rocprim17ROCPRIM_400000_NS6detail17trampoline_kernelINS0_14default_configENS1_38merge_sort_block_merge_config_selectorIhlEEZZNS1_27merge_sort_block_merge_implIS3_PhN6thrust23THRUST_200600_302600_NS10device_ptrIlEEjNS1_19radix_merge_compareILb0ELb1EhNS0_19identity_decomposerEEEEE10hipError_tT0_T1_T2_jT3_P12ihipStream_tbPNSt15iterator_traitsISG_E10value_typeEPNSM_ISH_E10value_typeEPSI_NS1_7vsmem_tEENKUlT_SG_SH_SI_E_clIS7_S7_SB_PlEESF_SV_SG_SH_SI_EUlSV_E0_NS1_11comp_targetILNS1_3genE4ELNS1_11target_archE910ELNS1_3gpuE8ELNS1_3repE0EEENS1_38merge_mergepath_config_static_selectorELNS0_4arch9wavefront6targetE1EEEvSH_: ; @_ZN7rocprim17ROCPRIM_400000_NS6detail17trampoline_kernelINS0_14default_configENS1_38merge_sort_block_merge_config_selectorIhlEEZZNS1_27merge_sort_block_merge_implIS3_PhN6thrust23THRUST_200600_302600_NS10device_ptrIlEEjNS1_19radix_merge_compareILb0ELb1EhNS0_19identity_decomposerEEEEE10hipError_tT0_T1_T2_jT3_P12ihipStream_tbPNSt15iterator_traitsISG_E10value_typeEPNSM_ISH_E10value_typeEPSI_NS1_7vsmem_tEENKUlT_SG_SH_SI_E_clIS7_S7_SB_PlEESF_SV_SG_SH_SI_EUlSV_E0_NS1_11comp_targetILNS1_3genE4ELNS1_11target_archE910ELNS1_3gpuE8ELNS1_3repE0EEENS1_38merge_mergepath_config_static_selectorELNS0_4arch9wavefront6targetE1EEEvSH_
; %bb.0:
	s_load_dwordx2 s[24:25], s[4:5], 0x40
	s_load_dword s0, s[4:5], 0x30
	s_add_u32 s22, s4, 64
	s_addc_u32 s23, s5, 0
	s_waitcnt lgkmcnt(0)
	s_mul_i32 s1, s25, s8
	s_add_i32 s1, s1, s7
	s_mul_i32 s1, s1, s24
	s_add_i32 s20, s1, s6
	s_cmp_ge_u32 s20, s0
	s_cbranch_scc1 .LBB224_53
; %bb.1:
	s_load_dwordx8 s[8:15], s[4:5], 0x10
	s_load_dwordx2 s[30:31], s[4:5], 0x8
	s_load_dwordx2 s[0:1], s[4:5], 0x38
	s_mov_b32 s21, 0
	v_mov_b32_e32 v1, 0
	s_waitcnt lgkmcnt(0)
	s_lshr_b32 s29, s14, 10
	s_cmp_lg_u32 s20, s29
	s_cselect_b64 s[18:19], -1, 0
	s_lshl_b64 s[2:3], s[20:21], 2
	s_add_u32 s0, s0, s2
	s_addc_u32 s1, s1, s3
	s_lshr_b32 s2, s15, 9
	s_and_b32 s2, s2, 0x7ffffe
	s_load_dwordx2 s[0:1], s[0:1], 0x0
	s_sub_i32 s3, 0, s2
	s_and_b32 s2, s20, s3
	s_lshl_b32 s7, s2, 10
	s_lshl_b32 s16, s20, 10
	;; [unrolled: 1-line block ×3, first 2 shown]
	s_sub_i32 s17, s16, s7
	s_add_i32 s25, s2, s15
	s_add_i32 s17, s25, s17
	s_waitcnt lgkmcnt(0)
	s_sub_i32 s2, s17, s0
	s_sub_i32 s17, s17, s1
	;; [unrolled: 1-line block ×3, first 2 shown]
	s_min_u32 s2, s14, s2
	s_addk_i32 s17, 0x400
	s_or_b32 s3, s20, s3
	s_min_u32 s25, s14, s7
	s_add_i32 s7, s7, s15
	s_cmp_eq_u32 s3, -1
	s_cselect_b32 s3, s7, s17
	s_cselect_b32 s1, s25, s1
	s_min_u32 s17, s3, s14
	s_sub_i32 s15, s1, s0
	s_add_u32 s26, s30, s0
	s_addc_u32 s28, s31, 0
	s_add_u32 s25, s30, s2
	s_addc_u32 s27, s31, 0
	s_cmp_lt_u32 s6, s24
	s_cselect_b32 s1, 12, 18
	global_load_dword v2, v1, s[22:23] offset:14
	s_add_u32 s6, s22, s1
	s_addc_u32 s7, s23, 0
	global_load_ushort v1, v1, s[6:7]
	s_mov_b32 s1, s21
	s_mov_b32 s3, s21
	s_cmp_eq_u32 s20, s29
	s_waitcnt vmcnt(1)
	v_lshrrev_b32_e32 v3, 16, v2
	v_and_b32_e32 v2, 0xffff, v2
	v_mul_lo_u32 v2, v2, v3
	s_waitcnt vmcnt(0)
	v_mul_lo_u32 v15, v2, v1
	v_add_u32_e32 v12, v15, v0
	v_add_u32_e32 v10, v12, v15
	s_cbranch_scc1 .LBB224_3
; %bb.2:
	v_mov_b32_e32 v1, s28
	v_add_co_u32_e32 v2, vcc, s26, v0
	v_addc_co_u32_e32 v1, vcc, 0, v1, vcc
	v_subrev_u32_e32 v3, s15, v0
	v_mov_b32_e32 v4, s27
	v_add_co_u32_e32 v5, vcc, s25, v3
	v_addc_co_u32_e32 v3, vcc, 0, v4, vcc
	v_cmp_gt_u32_e32 vcc, s15, v0
	v_cndmask_b32_e32 v3, v3, v1, vcc
	v_cndmask_b32_e32 v2, v5, v2, vcc
	v_mov_b32_e32 v1, s28
	v_add_co_u32_e32 v4, vcc, s26, v12
	v_addc_co_u32_e32 v1, vcc, 0, v1, vcc
	v_subrev_u32_e32 v5, s15, v12
	v_mov_b32_e32 v6, s27
	v_add_co_u32_e32 v7, vcc, s25, v5
	v_addc_co_u32_e32 v5, vcc, 0, v6, vcc
	v_cmp_gt_u32_e32 vcc, s15, v12
	v_cndmask_b32_e32 v5, v5, v1, vcc
	v_cndmask_b32_e32 v4, v7, v4, vcc
	;; [unrolled: 10-line block ×3, first 2 shown]
	global_load_ubyte v1, v[2:3], off
	global_load_ubyte v17, v[4:5], off
	;; [unrolled: 1-line block ×3, first 2 shown]
	v_add_u32_e32 v2, v10, v15
	s_mov_b64 s[6:7], -1
	s_sub_i32 s17, s17, s2
	s_cbranch_execz .LBB224_4
	s_branch .LBB224_11
.LBB224_3:
	s_mov_b64 s[6:7], 0
                                        ; implicit-def: $vgpr1
                                        ; implicit-def: $vgpr17
                                        ; implicit-def: $vgpr18
                                        ; implicit-def: $vgpr2
	s_sub_i32 s17, s17, s2
.LBB224_4:
	s_add_i32 s20, s17, s15
	v_cmp_gt_u32_e32 vcc, s20, v0
                                        ; implicit-def: $vgpr1
	s_and_saveexec_b64 s[6:7], vcc
	s_cbranch_execz .LBB224_6
; %bb.5:
	s_waitcnt vmcnt(2)
	v_mov_b32_e32 v1, s28
	v_add_co_u32_e32 v2, vcc, s26, v0
	v_addc_co_u32_e32 v1, vcc, 0, v1, vcc
	v_subrev_u32_e32 v3, s15, v0
	v_mov_b32_e32 v4, s27
	v_add_co_u32_e32 v5, vcc, s25, v3
	v_addc_co_u32_e32 v3, vcc, 0, v4, vcc
	v_cmp_gt_u32_e32 vcc, s15, v0
	v_cndmask_b32_e32 v3, v3, v1, vcc
	v_cndmask_b32_e32 v2, v5, v2, vcc
	global_load_ubyte v1, v[2:3], off
.LBB224_6:
	s_or_b64 exec, exec, s[6:7]
	v_cmp_gt_u32_e32 vcc, s20, v12
                                        ; implicit-def: $vgpr17
	s_and_saveexec_b64 s[6:7], vcc
	s_cbranch_execz .LBB224_8
; %bb.7:
	v_mov_b32_e32 v2, s28
	v_add_co_u32_e32 v4, vcc, s26, v12
	v_addc_co_u32_e32 v2, vcc, 0, v2, vcc
	v_subrev_u32_e32 v3, s15, v12
	v_mov_b32_e32 v5, s27
	v_add_co_u32_e32 v6, vcc, s25, v3
	v_addc_co_u32_e32 v3, vcc, 0, v5, vcc
	v_cmp_gt_u32_e32 vcc, s15, v12
	v_cndmask_b32_e32 v3, v3, v2, vcc
	v_cndmask_b32_e32 v2, v6, v4, vcc
	global_load_ubyte v17, v[2:3], off
.LBB224_8:
	s_or_b64 exec, exec, s[6:7]
	v_cmp_gt_u32_e32 vcc, s20, v10
                                        ; implicit-def: $vgpr18
	s_and_saveexec_b64 s[6:7], vcc
	s_cbranch_execz .LBB224_10
; %bb.9:
	v_mov_b32_e32 v2, s28
	v_add_co_u32_e32 v4, vcc, s26, v10
	v_addc_co_u32_e32 v2, vcc, 0, v2, vcc
	v_subrev_u32_e32 v3, s15, v10
	v_mov_b32_e32 v5, s27
	v_add_co_u32_e32 v6, vcc, s25, v3
	v_addc_co_u32_e32 v3, vcc, 0, v5, vcc
	v_cmp_gt_u32_e32 vcc, s15, v10
	v_cndmask_b32_e32 v3, v3, v2, vcc
	v_cndmask_b32_e32 v2, v6, v4, vcc
	global_load_ubyte v18, v[2:3], off
.LBB224_10:
	s_or_b64 exec, exec, s[6:7]
	v_add_u32_e32 v2, v10, v15
	v_cmp_gt_u32_e64 s[6:7], s20, v2
.LBB224_11:
                                        ; implicit-def: $vgpr19
	s_and_saveexec_b64 s[20:21], s[6:7]
	s_cbranch_execz .LBB224_13
; %bb.12:
	v_mov_b32_e32 v3, s28
	v_add_co_u32_e32 v4, vcc, s26, v2
	v_addc_co_u32_e32 v3, vcc, 0, v3, vcc
	v_subrev_u32_e32 v5, s15, v2
	v_mov_b32_e32 v6, s27
	v_add_co_u32_e32 v5, vcc, s25, v5
	v_addc_co_u32_e32 v6, vcc, 0, v6, vcc
	v_cmp_gt_u32_e32 vcc, s15, v2
	v_cndmask_b32_e32 v3, v6, v3, vcc
	v_cndmask_b32_e32 v2, v5, v4, vcc
	global_load_ubyte v19, v[2:3], off
.LBB224_13:
	s_or_b64 exec, exec, s[20:21]
	s_lshl_b64 s[0:1], s[0:1], 3
	s_add_u32 s6, s10, s0
	s_addc_u32 s7, s11, s1
	s_lshl_b64 s[0:1], s[2:3], 3
	s_add_u32 s10, s10, s0
	s_addc_u32 s11, s11, s1
	s_andn2_b64 vcc, exec, s[18:19]
	v_lshlrev_b32_e32 v16, 3, v0
	s_waitcnt vmcnt(0)
	ds_write_b8 v0, v1
	ds_write_b8 v0, v17 offset:256
	ds_write_b8 v0, v18 offset:512
	ds_write_b8 v0, v19 offset:768
	s_cbranch_vccnz .LBB224_15
; %bb.14:
	v_subrev_u32_e32 v6, s15, v0
	v_mov_b32_e32 v7, 0
	v_lshlrev_b64 v[2:3], 3, v[6:7]
	v_mov_b32_e32 v4, s11
	v_add_co_u32_e32 v2, vcc, s10, v2
	v_addc_co_u32_e32 v3, vcc, v4, v3, vcc
	v_mov_b32_e32 v4, s7
	v_add_co_u32_e32 v5, vcc, s6, v16
	v_addc_co_u32_e32 v4, vcc, 0, v4, vcc
	v_cmp_gt_u32_e32 vcc, s15, v0
	v_subrev_u32_e32 v6, s15, v12
	v_cndmask_b32_e32 v3, v3, v4, vcc
	v_cndmask_b32_e32 v2, v2, v5, vcc
	v_lshlrev_b64 v[4:5], 3, v[6:7]
	v_mov_b32_e32 v6, s11
	v_add_co_u32_e32 v8, vcc, s10, v4
	v_mov_b32_e32 v13, v7
	v_addc_co_u32_e32 v6, vcc, v6, v5, vcc
	v_lshlrev_b64 v[4:5], 3, v[12:13]
	v_mov_b32_e32 v9, s7
	v_add_co_u32_e32 v4, vcc, s6, v4
	v_addc_co_u32_e32 v5, vcc, v9, v5, vcc
	v_cmp_gt_u32_e32 vcc, s15, v12
	v_cndmask_b32_e32 v5, v6, v5, vcc
	v_subrev_u32_e32 v6, s15, v10
	v_cndmask_b32_e32 v4, v8, v4, vcc
	v_lshlrev_b64 v[8:9], 3, v[6:7]
	v_mov_b32_e32 v6, s11
	v_add_co_u32_e32 v8, vcc, s10, v8
	v_mov_b32_e32 v11, v7
	v_addc_co_u32_e32 v9, vcc, v6, v9, vcc
	v_lshlrev_b64 v[6:7], 3, v[10:11]
	v_mov_b32_e32 v11, s7
	v_add_co_u32_e32 v6, vcc, s6, v6
	v_addc_co_u32_e32 v7, vcc, v11, v7, vcc
	v_cmp_gt_u32_e32 vcc, s15, v10
	v_cndmask_b32_e32 v7, v9, v7, vcc
	v_cndmask_b32_e32 v6, v8, v6, vcc
	global_load_dwordx2 v[2:3], v[2:3], off
	v_add_u32_e32 v14, v10, v15
	global_load_dwordx2 v[4:5], v[4:5], off
	s_add_i32 s20, s17, s15
	global_load_dwordx2 v[6:7], v[6:7], off
	s_mov_b64 s[0:1], -1
	s_cbranch_execz .LBB224_16
	s_branch .LBB224_21
.LBB224_15:
	s_mov_b64 s[0:1], 0
                                        ; implicit-def: $vgpr14
                                        ; implicit-def: $vgpr2_vgpr3_vgpr4_vgpr5_vgpr6_vgpr7_vgpr8_vgpr9
                                        ; implicit-def: $sgpr20
.LBB224_16:
	s_add_i32 s20, s17, s15
	v_cmp_gt_u32_e32 vcc, s20, v0
                                        ; implicit-def: $vgpr2_vgpr3_vgpr4_vgpr5_vgpr6_vgpr7_vgpr8_vgpr9
	s_and_saveexec_b64 s[0:1], vcc
	s_cbranch_execz .LBB224_35
; %bb.17:
	s_waitcnt vmcnt(2)
	v_mov_b32_e32 v2, s7
	s_waitcnt vmcnt(1)
	v_add_co_u32_e32 v4, vcc, s6, v16
	v_mov_b32_e32 v3, 0
	v_addc_co_u32_e32 v5, vcc, 0, v2, vcc
	v_subrev_u32_e32 v2, s15, v0
	v_lshlrev_b64 v[2:3], 3, v[2:3]
	s_waitcnt vmcnt(0)
	v_mov_b32_e32 v6, s11
	v_add_co_u32_e32 v2, vcc, s10, v2
	v_addc_co_u32_e32 v3, vcc, v6, v3, vcc
	v_cmp_gt_u32_e32 vcc, s15, v0
	v_cndmask_b32_e32 v3, v3, v5, vcc
	v_cndmask_b32_e32 v2, v2, v4, vcc
	global_load_dwordx2 v[2:3], v[2:3], off
	s_or_b64 exec, exec, s[0:1]
	v_cmp_gt_u32_e32 vcc, s20, v12
	s_and_saveexec_b64 s[2:3], vcc
	s_cbranch_execnz .LBB224_36
.LBB224_18:
	s_or_b64 exec, exec, s[2:3]
	v_cmp_gt_u32_e32 vcc, s20, v10
	s_and_saveexec_b64 s[0:1], vcc
	s_cbranch_execz .LBB224_20
.LBB224_19:
	v_mov_b32_e32 v11, 0
	s_waitcnt vmcnt(0)
	v_lshlrev_b64 v[6:7], 3, v[10:11]
	v_mov_b32_e32 v12, s7
	v_add_co_u32_e32 v13, vcc, s6, v6
	v_addc_co_u32_e32 v12, vcc, v12, v7, vcc
	v_subrev_u32_e32 v6, s15, v10
	v_mov_b32_e32 v7, v11
	v_lshlrev_b64 v[6:7], 3, v[6:7]
	v_mov_b32_e32 v11, s11
	v_add_co_u32_e32 v6, vcc, s10, v6
	v_addc_co_u32_e32 v7, vcc, v11, v7, vcc
	v_cmp_gt_u32_e32 vcc, s15, v10
	v_cndmask_b32_e32 v7, v7, v12, vcc
	v_cndmask_b32_e32 v6, v6, v13, vcc
	global_load_dwordx2 v[6:7], v[6:7], off
.LBB224_20:
	s_or_b64 exec, exec, s[0:1]
	v_add_u32_e32 v14, v10, v15
	v_cmp_gt_u32_e64 s[0:1], s20, v14
.LBB224_21:
	v_mov_b32_e32 v10, s20
	s_and_saveexec_b64 s[2:3], s[0:1]
	s_cbranch_execz .LBB224_23
; %bb.22:
	v_subrev_u32_e32 v8, s15, v14
	v_mov_b32_e32 v9, 0
	v_lshlrev_b64 v[10:11], 3, v[8:9]
	v_mov_b32_e32 v8, s11
	v_add_co_u32_e32 v10, vcc, s10, v10
	v_mov_b32_e32 v15, v9
	v_addc_co_u32_e32 v11, vcc, v8, v11, vcc
	v_lshlrev_b64 v[8:9], 3, v[14:15]
	v_mov_b32_e32 v12, s7
	v_add_co_u32_e32 v8, vcc, s6, v8
	v_addc_co_u32_e32 v9, vcc, v12, v9, vcc
	v_cmp_gt_u32_e32 vcc, s15, v14
	v_cndmask_b32_e32 v9, v11, v9, vcc
	v_cndmask_b32_e32 v8, v10, v8, vcc
	global_load_dwordx2 v[8:9], v[8:9], off
	v_mov_b32_e32 v10, s20
.LBB224_23:
	s_or_b64 exec, exec, s[2:3]
	s_load_dword s10, s[4:5], 0x34
	v_lshlrev_b32_e32 v12, 2, v0
	v_min_u32_e32 v13, v10, v12
	v_sub_u32_e64 v11, v13, s17 clamp
	v_min_u32_e32 v14, s15, v13
	v_cmp_lt_u32_e32 vcc, v11, v14
	s_waitcnt lgkmcnt(0)
	s_barrier
	s_and_saveexec_b64 s[0:1], vcc
	s_cbranch_execz .LBB224_27
; %bb.24:
	v_add_u32_e32 v15, s15, v13
	s_mov_b64 s[2:3], 0
.LBB224_25:                             ; =>This Inner Loop Header: Depth=1
	v_add_u32_e32 v20, v14, v11
	v_lshrrev_b32_e32 v20, 1, v20
	v_xad_u32 v21, v20, -1, v15
	ds_read_u8 v22, v20
	ds_read_u8 v21, v21
	v_add_u32_e32 v23, 1, v20
	s_waitcnt lgkmcnt(1)
	v_and_b32_e32 v22, s10, v22
	s_waitcnt lgkmcnt(0)
	v_and_b32_e32 v21, s10, v21
	v_cmp_gt_u16_sdwa vcc, v22, v21 src0_sel:BYTE_0 src1_sel:BYTE_0
	v_cndmask_b32_e32 v14, v14, v20, vcc
	v_cndmask_b32_e32 v11, v23, v11, vcc
	v_cmp_ge_u32_e32 vcc, v11, v14
	s_or_b64 s[2:3], vcc, s[2:3]
	s_andn2_b64 exec, exec, s[2:3]
	s_cbranch_execnz .LBB224_25
; %bb.26:
	s_or_b64 exec, exec, s[2:3]
.LBB224_27:
	s_or_b64 exec, exec, s[0:1]
	v_sub_u32_e32 v13, v13, v11
	v_add_u32_e32 v14, s15, v13
	v_cmp_ge_u32_e32 vcc, s15, v11
	v_cmp_le_u32_e64 s[0:1], v14, v10
	s_or_b64 s[0:1], vcc, s[0:1]
                                        ; implicit-def: $vgpr21
                                        ; implicit-def: $vgpr20
                                        ; implicit-def: $vgpr15
                                        ; implicit-def: $vgpr13
	s_and_saveexec_b64 s[6:7], s[0:1]
	s_cbranch_execz .LBB224_33
; %bb.28:
	v_cmp_gt_u32_e32 vcc, s15, v11
                                        ; implicit-def: $vgpr1
	s_and_saveexec_b64 s[0:1], vcc
	s_cbranch_execz .LBB224_30
; %bb.29:
	ds_read_u8 v1, v11
.LBB224_30:
	s_or_b64 exec, exec, s[0:1]
	v_cmp_ge_u32_e64 s[0:1], v14, v10
	v_cmp_lt_u32_e64 s[2:3], v14, v10
                                        ; implicit-def: $vgpr17
	s_and_saveexec_b64 s[4:5], s[2:3]
	s_cbranch_execz .LBB224_32
; %bb.31:
	ds_read_u8 v17, v14
.LBB224_32:
	s_or_b64 exec, exec, s[4:5]
	s_waitcnt lgkmcnt(0)
	v_and_b32_e32 v13, s10, v17
	v_and_b32_e32 v15, s10, v1
	v_cmp_le_u16_sdwa s[2:3], v15, v13 src0_sel:BYTE_0 src1_sel:BYTE_0
	s_and_b64 s[2:3], vcc, s[2:3]
	s_or_b64 vcc, s[0:1], s[2:3]
	v_mov_b32_e32 v18, s15
	v_cndmask_b32_e32 v13, v14, v11, vcc
	v_cndmask_b32_e32 v15, v10, v18, vcc
	v_add_u32_e32 v19, 1, v13
	v_add_u32_e32 v15, -1, v15
	v_min_u32_e32 v15, v19, v15
	ds_read_u8 v15, v15
	v_cndmask_b32_e32 v14, v19, v14, vcc
	v_cndmask_b32_e32 v11, v11, v19, vcc
	v_cmp_gt_u32_e64 s[2:3], s15, v11
	v_cmp_ge_u32_e64 s[0:1], v14, v10
	s_waitcnt lgkmcnt(0)
	v_cndmask_b32_e32 v21, v15, v17, vcc
	v_cndmask_b32_e32 v22, v1, v15, vcc
	v_and_b32_e32 v15, s10, v21
	v_and_b32_e32 v19, s10, v22
	v_cmp_le_u16_sdwa s[4:5], v19, v15 src0_sel:BYTE_0 src1_sel:BYTE_0
	s_and_b64 s[2:3], s[2:3], s[4:5]
	s_or_b64 s[0:1], s[0:1], s[2:3]
	v_cndmask_b32_e64 v15, v14, v11, s[0:1]
	v_cndmask_b32_e64 v19, v10, v18, s[0:1]
	v_add_u32_e32 v20, 1, v15
	v_add_u32_e32 v19, -1, v19
	v_min_u32_e32 v19, v20, v19
	ds_read_u8 v19, v19
	v_cndmask_b32_e64 v14, v20, v14, s[0:1]
	v_cndmask_b32_e64 v11, v11, v20, s[0:1]
	v_cmp_gt_u32_e64 s[4:5], s15, v11
	v_cmp_ge_u32_e64 s[2:3], v14, v10
	s_waitcnt lgkmcnt(0)
	v_cndmask_b32_e64 v23, v19, v21, s[0:1]
	v_cndmask_b32_e64 v19, v22, v19, s[0:1]
	v_and_b32_e32 v20, s10, v23
	v_and_b32_e32 v24, s10, v19
	v_cmp_le_u16_sdwa s[20:21], v24, v20 src0_sel:BYTE_0 src1_sel:BYTE_0
	s_and_b64 s[4:5], s[4:5], s[20:21]
	s_or_b64 s[2:3], s[2:3], s[4:5]
	v_cndmask_b32_e64 v20, v14, v11, s[2:3]
	v_cndmask_b32_e64 v18, v10, v18, s[2:3]
	v_add_u32_e32 v24, 1, v20
	v_add_u32_e32 v18, -1, v18
	v_min_u32_e32 v18, v24, v18
	ds_read_u8 v25, v18
	v_cndmask_b32_e32 v1, v17, v1, vcc
	v_cndmask_b32_e64 v17, v21, v22, s[0:1]
	v_cndmask_b32_e64 v18, v23, v19, s[2:3]
	;; [unrolled: 1-line block ×3, first 2 shown]
	s_waitcnt lgkmcnt(0)
	v_cndmask_b32_e64 v22, v25, v23, s[2:3]
	v_cndmask_b32_e64 v19, v19, v25, s[2:3]
	;; [unrolled: 1-line block ×3, first 2 shown]
	v_cmp_ge_u32_e32 vcc, v14, v10
	v_and_b32_e32 v10, s10, v22
	v_and_b32_e32 v21, s10, v19
	v_cmp_gt_u32_e64 s[0:1], s15, v11
	v_cmp_le_u16_sdwa s[2:3], v21, v10 src0_sel:BYTE_0 src1_sel:BYTE_0
	s_and_b64 s[0:1], s[0:1], s[2:3]
	s_or_b64 vcc, vcc, s[0:1]
	v_cndmask_b32_e32 v21, v14, v11, vcc
	v_cndmask_b32_e32 v19, v22, v19, vcc
.LBB224_33:
	s_or_b64 exec, exec, s[6:7]
	v_mad_u32_u24 v14, v0, 7, v0
	s_barrier
	s_waitcnt vmcnt(0)
	ds_write2st64_b64 v14, v[2:3], v[4:5] offset1:4
	ds_write2st64_b64 v14, v[6:7], v[8:9] offset0:8 offset1:12
	v_lshlrev_b32_e32 v2, 3, v13
	v_lshlrev_b32_e32 v3, 3, v15
	;; [unrolled: 1-line block ×4, first 2 shown]
	s_waitcnt lgkmcnt(0)
	s_barrier
	ds_read_b64 v[6:7], v2
	ds_read_b64 v[8:9], v3
	;; [unrolled: 1-line block ×4, first 2 shown]
	v_lshlrev_b16_e32 v11, 8, v17
	v_lshrrev_b32_e32 v20, 3, v0
	v_or_b32_sdwa v1, v1, v11 dst_sel:DWORD dst_unused:UNUSED_PAD src0_sel:BYTE_0 src1_sel:DWORD
	v_lshlrev_b16_e32 v11, 8, v19
	s_add_u32 s0, s8, s16
	v_and_b32_e32 v10, 28, v20
	v_or_b32_sdwa v11, v18, v11 dst_sel:WORD_1 dst_unused:UNUSED_PAD src0_sel:BYTE_0 src1_sel:DWORD
	s_addc_u32 s1, s9, 0
	v_add_u32_e32 v10, v10, v12
	v_or_b32_sdwa v1, v1, v11 dst_sel:DWORD dst_unused:UNUSED_PAD src0_sel:WORD_0 src1_sel:DWORD
	v_or_b32_e32 v23, 0x100, v0
	v_or_b32_e32 v22, 0x200, v0
	;; [unrolled: 1-line block ×3, first 2 shown]
	s_waitcnt lgkmcnt(0)
	s_barrier
	s_barrier
	ds_write_b32 v10, v1
	v_lshrrev_b32_e32 v1, 5, v23
	v_lshrrev_b32_e32 v17, 5, v22
	;; [unrolled: 1-line block ×3, first 2 shown]
	v_mov_b32_e32 v11, s1
	v_add_co_u32_e32 v10, vcc, s0, v0
	v_lshrrev_b32_e32 v15, 5, v0
	v_and_b32_e32 v13, 12, v1
	v_and_b32_e32 v18, 20, v17
	;; [unrolled: 1-line block ×3, first 2 shown]
	v_addc_co_u32_e32 v11, vcc, 0, v11, vcc
	s_mov_b32 s17, 0
	v_and_b32_e32 v24, 4, v15
	s_and_b64 vcc, exec, s[18:19]
	v_add_u32_e32 v25, v0, v13
	v_add_u32_e32 v26, v0, v18
	;; [unrolled: 1-line block ×3, first 2 shown]
	v_lshlrev_b32_e32 v19, 3, v12
	v_lshl_add_u32 v1, v1, 3, v14
	v_lshl_add_u32 v17, v17, 3, v14
	v_lshl_add_u32 v18, v28, 3, v14
	s_waitcnt lgkmcnt(0)
	s_cbranch_vccz .LBB224_37
; %bb.34:
	v_add_u32_e32 v12, v0, v24
	s_barrier
	ds_read_u8 v12, v12
	ds_read_u8 v13, v25 offset:256
	ds_read_u8 v28, v26 offset:512
	;; [unrolled: 1-line block ×3, first 2 shown]
	s_lshl_b64 s[0:1], s[16:17], 3
	s_add_u32 s0, s12, s0
	s_waitcnt lgkmcnt(3)
	global_store_byte v[10:11], v12, off
	s_waitcnt lgkmcnt(2)
	global_store_byte v[10:11], v13, off offset:256
	s_waitcnt lgkmcnt(1)
	global_store_byte v[10:11], v28, off offset:512
	;; [unrolled: 2-line block ×3, first 2 shown]
	v_lshl_add_u32 v12, v20, 3, v19
	s_barrier
	ds_write2_b64 v12, v[6:7], v[8:9] offset1:1
	ds_write2_b64 v12, v[2:3], v[4:5] offset0:2 offset1:3
	v_lshl_add_u32 v12, v15, 3, v14
	s_addc_u32 s1, s13, s1
	s_waitcnt lgkmcnt(0)
	s_barrier
	ds_read_b64 v[28:29], v12
	ds_read_b64 v[30:31], v1 offset:2048
	ds_read_b64 v[32:33], v17 offset:4096
	ds_read_b64 v[12:13], v18 offset:6144
	v_mov_b32_e32 v34, s1
	v_add_co_u32_e32 v35, vcc, s0, v16
	v_addc_co_u32_e32 v34, vcc, 0, v34, vcc
	s_waitcnt lgkmcnt(3)
	global_store_dwordx2 v16, v[28:29], s[0:1]
	s_waitcnt lgkmcnt(2)
	global_store_dwordx2 v16, v[30:31], s[0:1] offset:2048
	v_add_co_u32_e32 v28, vcc, 0x1000, v35
	v_addc_co_u32_e32 v29, vcc, 0, v34, vcc
	s_waitcnt lgkmcnt(1)
	global_store_dwordx2 v[28:29], v[32:33], off
	s_mov_b64 s[6:7], -1
	s_cbranch_execz .LBB224_38
	s_branch .LBB224_51
.LBB224_35:
	s_or_b64 exec, exec, s[0:1]
	v_cmp_gt_u32_e32 vcc, s20, v12
	s_and_saveexec_b64 s[2:3], vcc
	s_cbranch_execz .LBB224_18
.LBB224_36:
	v_mov_b32_e32 v13, 0
	s_waitcnt vmcnt(1)
	v_lshlrev_b64 v[4:5], 3, v[12:13]
	v_mov_b32_e32 v11, s7
	v_add_co_u32_e32 v14, vcc, s6, v4
	v_addc_co_u32_e32 v11, vcc, v11, v5, vcc
	v_cmp_gt_u32_e32 vcc, s15, v12
	v_subrev_u32_e32 v12, s15, v12
	v_lshlrev_b64 v[4:5], 3, v[12:13]
	v_mov_b32_e32 v12, s11
	v_add_co_u32_e64 v4, s[0:1], s10, v4
	v_addc_co_u32_e64 v5, s[0:1], v12, v5, s[0:1]
	v_cndmask_b32_e32 v5, v5, v11, vcc
	v_cndmask_b32_e32 v4, v4, v14, vcc
	global_load_dwordx2 v[4:5], v[4:5], off
	s_or_b64 exec, exec, s[2:3]
	v_cmp_gt_u32_e32 vcc, s20, v10
	s_and_saveexec_b64 s[0:1], vcc
	s_cbranch_execnz .LBB224_19
	s_branch .LBB224_20
.LBB224_37:
	s_mov_b64 s[6:7], 0
                                        ; implicit-def: $vgpr12_vgpr13
.LBB224_38:
	s_barrier
	s_waitcnt lgkmcnt(0)
	ds_read_u8 v25, v25 offset:256
	ds_read_u8 v13, v26 offset:512
	;; [unrolled: 1-line block ×3, first 2 shown]
	s_sub_i32 s6, s14, s16
	v_cmp_gt_u32_e32 vcc, s6, v0
	s_and_saveexec_b64 s[0:1], vcc
	s_cbranch_execz .LBB224_42
; %bb.39:
	v_add_u32_e32 v0, v0, v24
	ds_read_u8 v0, v0
	s_waitcnt lgkmcnt(0)
	global_store_byte v[10:11], v0, off
	s_or_b64 exec, exec, s[0:1]
	v_cmp_gt_u32_e64 s[0:1], s6, v23
	s_and_saveexec_b64 s[2:3], s[0:1]
	s_cbranch_execnz .LBB224_43
.LBB224_40:
	s_or_b64 exec, exec, s[2:3]
	v_cmp_gt_u32_e64 s[2:3], s6, v22
	s_and_saveexec_b64 s[4:5], s[2:3]
	s_cbranch_execz .LBB224_44
.LBB224_41:
	s_waitcnt lgkmcnt(1)
	global_store_byte v[10:11], v13, off offset:512
	s_or_b64 exec, exec, s[4:5]
	v_cmp_gt_u32_e64 s[6:7], s6, v21
	s_and_saveexec_b64 s[4:5], s[6:7]
	s_cbranch_execnz .LBB224_45
	s_branch .LBB224_46
.LBB224_42:
	s_or_b64 exec, exec, s[0:1]
	v_cmp_gt_u32_e64 s[0:1], s6, v23
	s_and_saveexec_b64 s[2:3], s[0:1]
	s_cbranch_execz .LBB224_40
.LBB224_43:
	s_waitcnt lgkmcnt(2)
	global_store_byte v[10:11], v25, off offset:256
	s_or_b64 exec, exec, s[2:3]
	v_cmp_gt_u32_e64 s[2:3], s6, v22
	s_and_saveexec_b64 s[4:5], s[2:3]
	s_cbranch_execnz .LBB224_41
.LBB224_44:
	s_or_b64 exec, exec, s[4:5]
	v_cmp_gt_u32_e64 s[6:7], s6, v21
	s_and_saveexec_b64 s[4:5], s[6:7]
	s_cbranch_execz .LBB224_46
.LBB224_45:
	s_waitcnt lgkmcnt(0)
	global_store_byte v[10:11], v12, off offset:768
.LBB224_46:
	s_or_b64 exec, exec, s[4:5]
	v_lshl_add_u32 v0, v20, 3, v19
	s_waitcnt lgkmcnt(0)
	s_barrier
	ds_write2_b64 v0, v[6:7], v[8:9] offset1:1
	ds_write2_b64 v0, v[2:3], v[4:5] offset0:2 offset1:3
	s_waitcnt lgkmcnt(0)
	s_barrier
	ds_read_b64 v[4:5], v1 offset:2048
	ds_read_b64 v[0:1], v17 offset:4096
	;; [unrolled: 1-line block ×3, first 2 shown]
	s_lshl_b64 s[4:5], s[16:17], 3
	s_add_u32 s4, s12, s4
	s_addc_u32 s5, s13, s5
	v_mov_b32_e32 v3, s5
	v_add_co_u32_e64 v2, s[4:5], s4, v16
	v_addc_co_u32_e64 v3, s[4:5], 0, v3, s[4:5]
	s_and_saveexec_b64 s[4:5], vcc
	s_cbranch_execz .LBB224_54
; %bb.47:
	v_lshl_add_u32 v6, v15, 3, v14
	ds_read_b64 v[6:7], v6
	s_waitcnt lgkmcnt(0)
	global_store_dwordx2 v[2:3], v[6:7], off
	s_or_b64 exec, exec, s[4:5]
	s_and_saveexec_b64 s[4:5], s[0:1]
	s_cbranch_execnz .LBB224_55
.LBB224_48:
	s_or_b64 exec, exec, s[4:5]
	s_and_saveexec_b64 s[0:1], s[2:3]
	s_cbranch_execz .LBB224_50
.LBB224_49:
	v_add_co_u32_e32 v2, vcc, 0x1000, v2
	v_addc_co_u32_e32 v3, vcc, 0, v3, vcc
	s_waitcnt lgkmcnt(1)
	global_store_dwordx2 v[2:3], v[0:1], off
.LBB224_50:
	s_or_b64 exec, exec, s[0:1]
.LBB224_51:
	s_and_saveexec_b64 s[0:1], s[6:7]
	s_cbranch_execz .LBB224_53
; %bb.52:
	s_lshl_b64 s[0:1], s[16:17], 3
	s_add_u32 s0, s12, s0
	s_addc_u32 s1, s13, s1
	s_waitcnt lgkmcnt(1)
	v_mov_b32_e32 v0, s1
	v_add_co_u32_e32 v1, vcc, s0, v16
	v_addc_co_u32_e32 v2, vcc, 0, v0, vcc
	v_add_co_u32_e32 v0, vcc, 0x1000, v1
	v_addc_co_u32_e32 v1, vcc, 0, v2, vcc
	s_waitcnt lgkmcnt(0)
	global_store_dwordx2 v[0:1], v[12:13], off offset:2048
.LBB224_53:
	s_endpgm
.LBB224_54:
	s_or_b64 exec, exec, s[4:5]
	s_and_saveexec_b64 s[4:5], s[0:1]
	s_cbranch_execz .LBB224_48
.LBB224_55:
	s_waitcnt lgkmcnt(2)
	global_store_dwordx2 v[2:3], v[4:5], off offset:2048
	s_or_b64 exec, exec, s[4:5]
	s_and_saveexec_b64 s[0:1], s[2:3]
	s_cbranch_execnz .LBB224_49
	s_branch .LBB224_50
	.section	.rodata,"a",@progbits
	.p2align	6, 0x0
	.amdhsa_kernel _ZN7rocprim17ROCPRIM_400000_NS6detail17trampoline_kernelINS0_14default_configENS1_38merge_sort_block_merge_config_selectorIhlEEZZNS1_27merge_sort_block_merge_implIS3_PhN6thrust23THRUST_200600_302600_NS10device_ptrIlEEjNS1_19radix_merge_compareILb0ELb1EhNS0_19identity_decomposerEEEEE10hipError_tT0_T1_T2_jT3_P12ihipStream_tbPNSt15iterator_traitsISG_E10value_typeEPNSM_ISH_E10value_typeEPSI_NS1_7vsmem_tEENKUlT_SG_SH_SI_E_clIS7_S7_SB_PlEESF_SV_SG_SH_SI_EUlSV_E0_NS1_11comp_targetILNS1_3genE4ELNS1_11target_archE910ELNS1_3gpuE8ELNS1_3repE0EEENS1_38merge_mergepath_config_static_selectorELNS0_4arch9wavefront6targetE1EEEvSH_
		.amdhsa_group_segment_fixed_size 8448
		.amdhsa_private_segment_fixed_size 0
		.amdhsa_kernarg_size 320
		.amdhsa_user_sgpr_count 6
		.amdhsa_user_sgpr_private_segment_buffer 1
		.amdhsa_user_sgpr_dispatch_ptr 0
		.amdhsa_user_sgpr_queue_ptr 0
		.amdhsa_user_sgpr_kernarg_segment_ptr 1
		.amdhsa_user_sgpr_dispatch_id 0
		.amdhsa_user_sgpr_flat_scratch_init 0
		.amdhsa_user_sgpr_kernarg_preload_length 0
		.amdhsa_user_sgpr_kernarg_preload_offset 0
		.amdhsa_user_sgpr_private_segment_size 0
		.amdhsa_uses_dynamic_stack 0
		.amdhsa_system_sgpr_private_segment_wavefront_offset 0
		.amdhsa_system_sgpr_workgroup_id_x 1
		.amdhsa_system_sgpr_workgroup_id_y 1
		.amdhsa_system_sgpr_workgroup_id_z 1
		.amdhsa_system_sgpr_workgroup_info 0
		.amdhsa_system_vgpr_workitem_id 0
		.amdhsa_next_free_vgpr 36
		.amdhsa_next_free_sgpr 32
		.amdhsa_accum_offset 36
		.amdhsa_reserve_vcc 1
		.amdhsa_reserve_flat_scratch 0
		.amdhsa_float_round_mode_32 0
		.amdhsa_float_round_mode_16_64 0
		.amdhsa_float_denorm_mode_32 3
		.amdhsa_float_denorm_mode_16_64 3
		.amdhsa_dx10_clamp 1
		.amdhsa_ieee_mode 1
		.amdhsa_fp16_overflow 0
		.amdhsa_tg_split 0
		.amdhsa_exception_fp_ieee_invalid_op 0
		.amdhsa_exception_fp_denorm_src 0
		.amdhsa_exception_fp_ieee_div_zero 0
		.amdhsa_exception_fp_ieee_overflow 0
		.amdhsa_exception_fp_ieee_underflow 0
		.amdhsa_exception_fp_ieee_inexact 0
		.amdhsa_exception_int_div_zero 0
	.end_amdhsa_kernel
	.section	.text._ZN7rocprim17ROCPRIM_400000_NS6detail17trampoline_kernelINS0_14default_configENS1_38merge_sort_block_merge_config_selectorIhlEEZZNS1_27merge_sort_block_merge_implIS3_PhN6thrust23THRUST_200600_302600_NS10device_ptrIlEEjNS1_19radix_merge_compareILb0ELb1EhNS0_19identity_decomposerEEEEE10hipError_tT0_T1_T2_jT3_P12ihipStream_tbPNSt15iterator_traitsISG_E10value_typeEPNSM_ISH_E10value_typeEPSI_NS1_7vsmem_tEENKUlT_SG_SH_SI_E_clIS7_S7_SB_PlEESF_SV_SG_SH_SI_EUlSV_E0_NS1_11comp_targetILNS1_3genE4ELNS1_11target_archE910ELNS1_3gpuE8ELNS1_3repE0EEENS1_38merge_mergepath_config_static_selectorELNS0_4arch9wavefront6targetE1EEEvSH_,"axG",@progbits,_ZN7rocprim17ROCPRIM_400000_NS6detail17trampoline_kernelINS0_14default_configENS1_38merge_sort_block_merge_config_selectorIhlEEZZNS1_27merge_sort_block_merge_implIS3_PhN6thrust23THRUST_200600_302600_NS10device_ptrIlEEjNS1_19radix_merge_compareILb0ELb1EhNS0_19identity_decomposerEEEEE10hipError_tT0_T1_T2_jT3_P12ihipStream_tbPNSt15iterator_traitsISG_E10value_typeEPNSM_ISH_E10value_typeEPSI_NS1_7vsmem_tEENKUlT_SG_SH_SI_E_clIS7_S7_SB_PlEESF_SV_SG_SH_SI_EUlSV_E0_NS1_11comp_targetILNS1_3genE4ELNS1_11target_archE910ELNS1_3gpuE8ELNS1_3repE0EEENS1_38merge_mergepath_config_static_selectorELNS0_4arch9wavefront6targetE1EEEvSH_,comdat
.Lfunc_end224:
	.size	_ZN7rocprim17ROCPRIM_400000_NS6detail17trampoline_kernelINS0_14default_configENS1_38merge_sort_block_merge_config_selectorIhlEEZZNS1_27merge_sort_block_merge_implIS3_PhN6thrust23THRUST_200600_302600_NS10device_ptrIlEEjNS1_19radix_merge_compareILb0ELb1EhNS0_19identity_decomposerEEEEE10hipError_tT0_T1_T2_jT3_P12ihipStream_tbPNSt15iterator_traitsISG_E10value_typeEPNSM_ISH_E10value_typeEPSI_NS1_7vsmem_tEENKUlT_SG_SH_SI_E_clIS7_S7_SB_PlEESF_SV_SG_SH_SI_EUlSV_E0_NS1_11comp_targetILNS1_3genE4ELNS1_11target_archE910ELNS1_3gpuE8ELNS1_3repE0EEENS1_38merge_mergepath_config_static_selectorELNS0_4arch9wavefront6targetE1EEEvSH_, .Lfunc_end224-_ZN7rocprim17ROCPRIM_400000_NS6detail17trampoline_kernelINS0_14default_configENS1_38merge_sort_block_merge_config_selectorIhlEEZZNS1_27merge_sort_block_merge_implIS3_PhN6thrust23THRUST_200600_302600_NS10device_ptrIlEEjNS1_19radix_merge_compareILb0ELb1EhNS0_19identity_decomposerEEEEE10hipError_tT0_T1_T2_jT3_P12ihipStream_tbPNSt15iterator_traitsISG_E10value_typeEPNSM_ISH_E10value_typeEPSI_NS1_7vsmem_tEENKUlT_SG_SH_SI_E_clIS7_S7_SB_PlEESF_SV_SG_SH_SI_EUlSV_E0_NS1_11comp_targetILNS1_3genE4ELNS1_11target_archE910ELNS1_3gpuE8ELNS1_3repE0EEENS1_38merge_mergepath_config_static_selectorELNS0_4arch9wavefront6targetE1EEEvSH_
                                        ; -- End function
	.section	.AMDGPU.csdata,"",@progbits
; Kernel info:
; codeLenInByte = 3156
; NumSgprs: 36
; NumVgprs: 36
; NumAgprs: 0
; TotalNumVgprs: 36
; ScratchSize: 0
; MemoryBound: 0
; FloatMode: 240
; IeeeMode: 1
; LDSByteSize: 8448 bytes/workgroup (compile time only)
; SGPRBlocks: 4
; VGPRBlocks: 4
; NumSGPRsForWavesPerEU: 36
; NumVGPRsForWavesPerEU: 36
; AccumOffset: 36
; Occupancy: 7
; WaveLimiterHint : 1
; COMPUTE_PGM_RSRC2:SCRATCH_EN: 0
; COMPUTE_PGM_RSRC2:USER_SGPR: 6
; COMPUTE_PGM_RSRC2:TRAP_HANDLER: 0
; COMPUTE_PGM_RSRC2:TGID_X_EN: 1
; COMPUTE_PGM_RSRC2:TGID_Y_EN: 1
; COMPUTE_PGM_RSRC2:TGID_Z_EN: 1
; COMPUTE_PGM_RSRC2:TIDIG_COMP_CNT: 0
; COMPUTE_PGM_RSRC3_GFX90A:ACCUM_OFFSET: 8
; COMPUTE_PGM_RSRC3_GFX90A:TG_SPLIT: 0
	.section	.text._ZN7rocprim17ROCPRIM_400000_NS6detail17trampoline_kernelINS0_14default_configENS1_38merge_sort_block_merge_config_selectorIhlEEZZNS1_27merge_sort_block_merge_implIS3_PhN6thrust23THRUST_200600_302600_NS10device_ptrIlEEjNS1_19radix_merge_compareILb0ELb1EhNS0_19identity_decomposerEEEEE10hipError_tT0_T1_T2_jT3_P12ihipStream_tbPNSt15iterator_traitsISG_E10value_typeEPNSM_ISH_E10value_typeEPSI_NS1_7vsmem_tEENKUlT_SG_SH_SI_E_clIS7_S7_SB_PlEESF_SV_SG_SH_SI_EUlSV_E0_NS1_11comp_targetILNS1_3genE3ELNS1_11target_archE908ELNS1_3gpuE7ELNS1_3repE0EEENS1_38merge_mergepath_config_static_selectorELNS0_4arch9wavefront6targetE1EEEvSH_,"axG",@progbits,_ZN7rocprim17ROCPRIM_400000_NS6detail17trampoline_kernelINS0_14default_configENS1_38merge_sort_block_merge_config_selectorIhlEEZZNS1_27merge_sort_block_merge_implIS3_PhN6thrust23THRUST_200600_302600_NS10device_ptrIlEEjNS1_19radix_merge_compareILb0ELb1EhNS0_19identity_decomposerEEEEE10hipError_tT0_T1_T2_jT3_P12ihipStream_tbPNSt15iterator_traitsISG_E10value_typeEPNSM_ISH_E10value_typeEPSI_NS1_7vsmem_tEENKUlT_SG_SH_SI_E_clIS7_S7_SB_PlEESF_SV_SG_SH_SI_EUlSV_E0_NS1_11comp_targetILNS1_3genE3ELNS1_11target_archE908ELNS1_3gpuE7ELNS1_3repE0EEENS1_38merge_mergepath_config_static_selectorELNS0_4arch9wavefront6targetE1EEEvSH_,comdat
	.protected	_ZN7rocprim17ROCPRIM_400000_NS6detail17trampoline_kernelINS0_14default_configENS1_38merge_sort_block_merge_config_selectorIhlEEZZNS1_27merge_sort_block_merge_implIS3_PhN6thrust23THRUST_200600_302600_NS10device_ptrIlEEjNS1_19radix_merge_compareILb0ELb1EhNS0_19identity_decomposerEEEEE10hipError_tT0_T1_T2_jT3_P12ihipStream_tbPNSt15iterator_traitsISG_E10value_typeEPNSM_ISH_E10value_typeEPSI_NS1_7vsmem_tEENKUlT_SG_SH_SI_E_clIS7_S7_SB_PlEESF_SV_SG_SH_SI_EUlSV_E0_NS1_11comp_targetILNS1_3genE3ELNS1_11target_archE908ELNS1_3gpuE7ELNS1_3repE0EEENS1_38merge_mergepath_config_static_selectorELNS0_4arch9wavefront6targetE1EEEvSH_ ; -- Begin function _ZN7rocprim17ROCPRIM_400000_NS6detail17trampoline_kernelINS0_14default_configENS1_38merge_sort_block_merge_config_selectorIhlEEZZNS1_27merge_sort_block_merge_implIS3_PhN6thrust23THRUST_200600_302600_NS10device_ptrIlEEjNS1_19radix_merge_compareILb0ELb1EhNS0_19identity_decomposerEEEEE10hipError_tT0_T1_T2_jT3_P12ihipStream_tbPNSt15iterator_traitsISG_E10value_typeEPNSM_ISH_E10value_typeEPSI_NS1_7vsmem_tEENKUlT_SG_SH_SI_E_clIS7_S7_SB_PlEESF_SV_SG_SH_SI_EUlSV_E0_NS1_11comp_targetILNS1_3genE3ELNS1_11target_archE908ELNS1_3gpuE7ELNS1_3repE0EEENS1_38merge_mergepath_config_static_selectorELNS0_4arch9wavefront6targetE1EEEvSH_
	.globl	_ZN7rocprim17ROCPRIM_400000_NS6detail17trampoline_kernelINS0_14default_configENS1_38merge_sort_block_merge_config_selectorIhlEEZZNS1_27merge_sort_block_merge_implIS3_PhN6thrust23THRUST_200600_302600_NS10device_ptrIlEEjNS1_19radix_merge_compareILb0ELb1EhNS0_19identity_decomposerEEEEE10hipError_tT0_T1_T2_jT3_P12ihipStream_tbPNSt15iterator_traitsISG_E10value_typeEPNSM_ISH_E10value_typeEPSI_NS1_7vsmem_tEENKUlT_SG_SH_SI_E_clIS7_S7_SB_PlEESF_SV_SG_SH_SI_EUlSV_E0_NS1_11comp_targetILNS1_3genE3ELNS1_11target_archE908ELNS1_3gpuE7ELNS1_3repE0EEENS1_38merge_mergepath_config_static_selectorELNS0_4arch9wavefront6targetE1EEEvSH_
	.p2align	8
	.type	_ZN7rocprim17ROCPRIM_400000_NS6detail17trampoline_kernelINS0_14default_configENS1_38merge_sort_block_merge_config_selectorIhlEEZZNS1_27merge_sort_block_merge_implIS3_PhN6thrust23THRUST_200600_302600_NS10device_ptrIlEEjNS1_19radix_merge_compareILb0ELb1EhNS0_19identity_decomposerEEEEE10hipError_tT0_T1_T2_jT3_P12ihipStream_tbPNSt15iterator_traitsISG_E10value_typeEPNSM_ISH_E10value_typeEPSI_NS1_7vsmem_tEENKUlT_SG_SH_SI_E_clIS7_S7_SB_PlEESF_SV_SG_SH_SI_EUlSV_E0_NS1_11comp_targetILNS1_3genE3ELNS1_11target_archE908ELNS1_3gpuE7ELNS1_3repE0EEENS1_38merge_mergepath_config_static_selectorELNS0_4arch9wavefront6targetE1EEEvSH_,@function
_ZN7rocprim17ROCPRIM_400000_NS6detail17trampoline_kernelINS0_14default_configENS1_38merge_sort_block_merge_config_selectorIhlEEZZNS1_27merge_sort_block_merge_implIS3_PhN6thrust23THRUST_200600_302600_NS10device_ptrIlEEjNS1_19radix_merge_compareILb0ELb1EhNS0_19identity_decomposerEEEEE10hipError_tT0_T1_T2_jT3_P12ihipStream_tbPNSt15iterator_traitsISG_E10value_typeEPNSM_ISH_E10value_typeEPSI_NS1_7vsmem_tEENKUlT_SG_SH_SI_E_clIS7_S7_SB_PlEESF_SV_SG_SH_SI_EUlSV_E0_NS1_11comp_targetILNS1_3genE3ELNS1_11target_archE908ELNS1_3gpuE7ELNS1_3repE0EEENS1_38merge_mergepath_config_static_selectorELNS0_4arch9wavefront6targetE1EEEvSH_: ; @_ZN7rocprim17ROCPRIM_400000_NS6detail17trampoline_kernelINS0_14default_configENS1_38merge_sort_block_merge_config_selectorIhlEEZZNS1_27merge_sort_block_merge_implIS3_PhN6thrust23THRUST_200600_302600_NS10device_ptrIlEEjNS1_19radix_merge_compareILb0ELb1EhNS0_19identity_decomposerEEEEE10hipError_tT0_T1_T2_jT3_P12ihipStream_tbPNSt15iterator_traitsISG_E10value_typeEPNSM_ISH_E10value_typeEPSI_NS1_7vsmem_tEENKUlT_SG_SH_SI_E_clIS7_S7_SB_PlEESF_SV_SG_SH_SI_EUlSV_E0_NS1_11comp_targetILNS1_3genE3ELNS1_11target_archE908ELNS1_3gpuE7ELNS1_3repE0EEENS1_38merge_mergepath_config_static_selectorELNS0_4arch9wavefront6targetE1EEEvSH_
; %bb.0:
	.section	.rodata,"a",@progbits
	.p2align	6, 0x0
	.amdhsa_kernel _ZN7rocprim17ROCPRIM_400000_NS6detail17trampoline_kernelINS0_14default_configENS1_38merge_sort_block_merge_config_selectorIhlEEZZNS1_27merge_sort_block_merge_implIS3_PhN6thrust23THRUST_200600_302600_NS10device_ptrIlEEjNS1_19radix_merge_compareILb0ELb1EhNS0_19identity_decomposerEEEEE10hipError_tT0_T1_T2_jT3_P12ihipStream_tbPNSt15iterator_traitsISG_E10value_typeEPNSM_ISH_E10value_typeEPSI_NS1_7vsmem_tEENKUlT_SG_SH_SI_E_clIS7_S7_SB_PlEESF_SV_SG_SH_SI_EUlSV_E0_NS1_11comp_targetILNS1_3genE3ELNS1_11target_archE908ELNS1_3gpuE7ELNS1_3repE0EEENS1_38merge_mergepath_config_static_selectorELNS0_4arch9wavefront6targetE1EEEvSH_
		.amdhsa_group_segment_fixed_size 0
		.amdhsa_private_segment_fixed_size 0
		.amdhsa_kernarg_size 64
		.amdhsa_user_sgpr_count 6
		.amdhsa_user_sgpr_private_segment_buffer 1
		.amdhsa_user_sgpr_dispatch_ptr 0
		.amdhsa_user_sgpr_queue_ptr 0
		.amdhsa_user_sgpr_kernarg_segment_ptr 1
		.amdhsa_user_sgpr_dispatch_id 0
		.amdhsa_user_sgpr_flat_scratch_init 0
		.amdhsa_user_sgpr_kernarg_preload_length 0
		.amdhsa_user_sgpr_kernarg_preload_offset 0
		.amdhsa_user_sgpr_private_segment_size 0
		.amdhsa_uses_dynamic_stack 0
		.amdhsa_system_sgpr_private_segment_wavefront_offset 0
		.amdhsa_system_sgpr_workgroup_id_x 1
		.amdhsa_system_sgpr_workgroup_id_y 0
		.amdhsa_system_sgpr_workgroup_id_z 0
		.amdhsa_system_sgpr_workgroup_info 0
		.amdhsa_system_vgpr_workitem_id 0
		.amdhsa_next_free_vgpr 1
		.amdhsa_next_free_sgpr 0
		.amdhsa_accum_offset 4
		.amdhsa_reserve_vcc 0
		.amdhsa_reserve_flat_scratch 0
		.amdhsa_float_round_mode_32 0
		.amdhsa_float_round_mode_16_64 0
		.amdhsa_float_denorm_mode_32 3
		.amdhsa_float_denorm_mode_16_64 3
		.amdhsa_dx10_clamp 1
		.amdhsa_ieee_mode 1
		.amdhsa_fp16_overflow 0
		.amdhsa_tg_split 0
		.amdhsa_exception_fp_ieee_invalid_op 0
		.amdhsa_exception_fp_denorm_src 0
		.amdhsa_exception_fp_ieee_div_zero 0
		.amdhsa_exception_fp_ieee_overflow 0
		.amdhsa_exception_fp_ieee_underflow 0
		.amdhsa_exception_fp_ieee_inexact 0
		.amdhsa_exception_int_div_zero 0
	.end_amdhsa_kernel
	.section	.text._ZN7rocprim17ROCPRIM_400000_NS6detail17trampoline_kernelINS0_14default_configENS1_38merge_sort_block_merge_config_selectorIhlEEZZNS1_27merge_sort_block_merge_implIS3_PhN6thrust23THRUST_200600_302600_NS10device_ptrIlEEjNS1_19radix_merge_compareILb0ELb1EhNS0_19identity_decomposerEEEEE10hipError_tT0_T1_T2_jT3_P12ihipStream_tbPNSt15iterator_traitsISG_E10value_typeEPNSM_ISH_E10value_typeEPSI_NS1_7vsmem_tEENKUlT_SG_SH_SI_E_clIS7_S7_SB_PlEESF_SV_SG_SH_SI_EUlSV_E0_NS1_11comp_targetILNS1_3genE3ELNS1_11target_archE908ELNS1_3gpuE7ELNS1_3repE0EEENS1_38merge_mergepath_config_static_selectorELNS0_4arch9wavefront6targetE1EEEvSH_,"axG",@progbits,_ZN7rocprim17ROCPRIM_400000_NS6detail17trampoline_kernelINS0_14default_configENS1_38merge_sort_block_merge_config_selectorIhlEEZZNS1_27merge_sort_block_merge_implIS3_PhN6thrust23THRUST_200600_302600_NS10device_ptrIlEEjNS1_19radix_merge_compareILb0ELb1EhNS0_19identity_decomposerEEEEE10hipError_tT0_T1_T2_jT3_P12ihipStream_tbPNSt15iterator_traitsISG_E10value_typeEPNSM_ISH_E10value_typeEPSI_NS1_7vsmem_tEENKUlT_SG_SH_SI_E_clIS7_S7_SB_PlEESF_SV_SG_SH_SI_EUlSV_E0_NS1_11comp_targetILNS1_3genE3ELNS1_11target_archE908ELNS1_3gpuE7ELNS1_3repE0EEENS1_38merge_mergepath_config_static_selectorELNS0_4arch9wavefront6targetE1EEEvSH_,comdat
.Lfunc_end225:
	.size	_ZN7rocprim17ROCPRIM_400000_NS6detail17trampoline_kernelINS0_14default_configENS1_38merge_sort_block_merge_config_selectorIhlEEZZNS1_27merge_sort_block_merge_implIS3_PhN6thrust23THRUST_200600_302600_NS10device_ptrIlEEjNS1_19radix_merge_compareILb0ELb1EhNS0_19identity_decomposerEEEEE10hipError_tT0_T1_T2_jT3_P12ihipStream_tbPNSt15iterator_traitsISG_E10value_typeEPNSM_ISH_E10value_typeEPSI_NS1_7vsmem_tEENKUlT_SG_SH_SI_E_clIS7_S7_SB_PlEESF_SV_SG_SH_SI_EUlSV_E0_NS1_11comp_targetILNS1_3genE3ELNS1_11target_archE908ELNS1_3gpuE7ELNS1_3repE0EEENS1_38merge_mergepath_config_static_selectorELNS0_4arch9wavefront6targetE1EEEvSH_, .Lfunc_end225-_ZN7rocprim17ROCPRIM_400000_NS6detail17trampoline_kernelINS0_14default_configENS1_38merge_sort_block_merge_config_selectorIhlEEZZNS1_27merge_sort_block_merge_implIS3_PhN6thrust23THRUST_200600_302600_NS10device_ptrIlEEjNS1_19radix_merge_compareILb0ELb1EhNS0_19identity_decomposerEEEEE10hipError_tT0_T1_T2_jT3_P12ihipStream_tbPNSt15iterator_traitsISG_E10value_typeEPNSM_ISH_E10value_typeEPSI_NS1_7vsmem_tEENKUlT_SG_SH_SI_E_clIS7_S7_SB_PlEESF_SV_SG_SH_SI_EUlSV_E0_NS1_11comp_targetILNS1_3genE3ELNS1_11target_archE908ELNS1_3gpuE7ELNS1_3repE0EEENS1_38merge_mergepath_config_static_selectorELNS0_4arch9wavefront6targetE1EEEvSH_
                                        ; -- End function
	.section	.AMDGPU.csdata,"",@progbits
; Kernel info:
; codeLenInByte = 0
; NumSgprs: 4
; NumVgprs: 0
; NumAgprs: 0
; TotalNumVgprs: 0
; ScratchSize: 0
; MemoryBound: 0
; FloatMode: 240
; IeeeMode: 1
; LDSByteSize: 0 bytes/workgroup (compile time only)
; SGPRBlocks: 0
; VGPRBlocks: 0
; NumSGPRsForWavesPerEU: 4
; NumVGPRsForWavesPerEU: 1
; AccumOffset: 4
; Occupancy: 8
; WaveLimiterHint : 0
; COMPUTE_PGM_RSRC2:SCRATCH_EN: 0
; COMPUTE_PGM_RSRC2:USER_SGPR: 6
; COMPUTE_PGM_RSRC2:TRAP_HANDLER: 0
; COMPUTE_PGM_RSRC2:TGID_X_EN: 1
; COMPUTE_PGM_RSRC2:TGID_Y_EN: 0
; COMPUTE_PGM_RSRC2:TGID_Z_EN: 0
; COMPUTE_PGM_RSRC2:TIDIG_COMP_CNT: 0
; COMPUTE_PGM_RSRC3_GFX90A:ACCUM_OFFSET: 0
; COMPUTE_PGM_RSRC3_GFX90A:TG_SPLIT: 0
	.section	.text._ZN7rocprim17ROCPRIM_400000_NS6detail17trampoline_kernelINS0_14default_configENS1_38merge_sort_block_merge_config_selectorIhlEEZZNS1_27merge_sort_block_merge_implIS3_PhN6thrust23THRUST_200600_302600_NS10device_ptrIlEEjNS1_19radix_merge_compareILb0ELb1EhNS0_19identity_decomposerEEEEE10hipError_tT0_T1_T2_jT3_P12ihipStream_tbPNSt15iterator_traitsISG_E10value_typeEPNSM_ISH_E10value_typeEPSI_NS1_7vsmem_tEENKUlT_SG_SH_SI_E_clIS7_S7_SB_PlEESF_SV_SG_SH_SI_EUlSV_E0_NS1_11comp_targetILNS1_3genE2ELNS1_11target_archE906ELNS1_3gpuE6ELNS1_3repE0EEENS1_38merge_mergepath_config_static_selectorELNS0_4arch9wavefront6targetE1EEEvSH_,"axG",@progbits,_ZN7rocprim17ROCPRIM_400000_NS6detail17trampoline_kernelINS0_14default_configENS1_38merge_sort_block_merge_config_selectorIhlEEZZNS1_27merge_sort_block_merge_implIS3_PhN6thrust23THRUST_200600_302600_NS10device_ptrIlEEjNS1_19radix_merge_compareILb0ELb1EhNS0_19identity_decomposerEEEEE10hipError_tT0_T1_T2_jT3_P12ihipStream_tbPNSt15iterator_traitsISG_E10value_typeEPNSM_ISH_E10value_typeEPSI_NS1_7vsmem_tEENKUlT_SG_SH_SI_E_clIS7_S7_SB_PlEESF_SV_SG_SH_SI_EUlSV_E0_NS1_11comp_targetILNS1_3genE2ELNS1_11target_archE906ELNS1_3gpuE6ELNS1_3repE0EEENS1_38merge_mergepath_config_static_selectorELNS0_4arch9wavefront6targetE1EEEvSH_,comdat
	.protected	_ZN7rocprim17ROCPRIM_400000_NS6detail17trampoline_kernelINS0_14default_configENS1_38merge_sort_block_merge_config_selectorIhlEEZZNS1_27merge_sort_block_merge_implIS3_PhN6thrust23THRUST_200600_302600_NS10device_ptrIlEEjNS1_19radix_merge_compareILb0ELb1EhNS0_19identity_decomposerEEEEE10hipError_tT0_T1_T2_jT3_P12ihipStream_tbPNSt15iterator_traitsISG_E10value_typeEPNSM_ISH_E10value_typeEPSI_NS1_7vsmem_tEENKUlT_SG_SH_SI_E_clIS7_S7_SB_PlEESF_SV_SG_SH_SI_EUlSV_E0_NS1_11comp_targetILNS1_3genE2ELNS1_11target_archE906ELNS1_3gpuE6ELNS1_3repE0EEENS1_38merge_mergepath_config_static_selectorELNS0_4arch9wavefront6targetE1EEEvSH_ ; -- Begin function _ZN7rocprim17ROCPRIM_400000_NS6detail17trampoline_kernelINS0_14default_configENS1_38merge_sort_block_merge_config_selectorIhlEEZZNS1_27merge_sort_block_merge_implIS3_PhN6thrust23THRUST_200600_302600_NS10device_ptrIlEEjNS1_19radix_merge_compareILb0ELb1EhNS0_19identity_decomposerEEEEE10hipError_tT0_T1_T2_jT3_P12ihipStream_tbPNSt15iterator_traitsISG_E10value_typeEPNSM_ISH_E10value_typeEPSI_NS1_7vsmem_tEENKUlT_SG_SH_SI_E_clIS7_S7_SB_PlEESF_SV_SG_SH_SI_EUlSV_E0_NS1_11comp_targetILNS1_3genE2ELNS1_11target_archE906ELNS1_3gpuE6ELNS1_3repE0EEENS1_38merge_mergepath_config_static_selectorELNS0_4arch9wavefront6targetE1EEEvSH_
	.globl	_ZN7rocprim17ROCPRIM_400000_NS6detail17trampoline_kernelINS0_14default_configENS1_38merge_sort_block_merge_config_selectorIhlEEZZNS1_27merge_sort_block_merge_implIS3_PhN6thrust23THRUST_200600_302600_NS10device_ptrIlEEjNS1_19radix_merge_compareILb0ELb1EhNS0_19identity_decomposerEEEEE10hipError_tT0_T1_T2_jT3_P12ihipStream_tbPNSt15iterator_traitsISG_E10value_typeEPNSM_ISH_E10value_typeEPSI_NS1_7vsmem_tEENKUlT_SG_SH_SI_E_clIS7_S7_SB_PlEESF_SV_SG_SH_SI_EUlSV_E0_NS1_11comp_targetILNS1_3genE2ELNS1_11target_archE906ELNS1_3gpuE6ELNS1_3repE0EEENS1_38merge_mergepath_config_static_selectorELNS0_4arch9wavefront6targetE1EEEvSH_
	.p2align	8
	.type	_ZN7rocprim17ROCPRIM_400000_NS6detail17trampoline_kernelINS0_14default_configENS1_38merge_sort_block_merge_config_selectorIhlEEZZNS1_27merge_sort_block_merge_implIS3_PhN6thrust23THRUST_200600_302600_NS10device_ptrIlEEjNS1_19radix_merge_compareILb0ELb1EhNS0_19identity_decomposerEEEEE10hipError_tT0_T1_T2_jT3_P12ihipStream_tbPNSt15iterator_traitsISG_E10value_typeEPNSM_ISH_E10value_typeEPSI_NS1_7vsmem_tEENKUlT_SG_SH_SI_E_clIS7_S7_SB_PlEESF_SV_SG_SH_SI_EUlSV_E0_NS1_11comp_targetILNS1_3genE2ELNS1_11target_archE906ELNS1_3gpuE6ELNS1_3repE0EEENS1_38merge_mergepath_config_static_selectorELNS0_4arch9wavefront6targetE1EEEvSH_,@function
_ZN7rocprim17ROCPRIM_400000_NS6detail17trampoline_kernelINS0_14default_configENS1_38merge_sort_block_merge_config_selectorIhlEEZZNS1_27merge_sort_block_merge_implIS3_PhN6thrust23THRUST_200600_302600_NS10device_ptrIlEEjNS1_19radix_merge_compareILb0ELb1EhNS0_19identity_decomposerEEEEE10hipError_tT0_T1_T2_jT3_P12ihipStream_tbPNSt15iterator_traitsISG_E10value_typeEPNSM_ISH_E10value_typeEPSI_NS1_7vsmem_tEENKUlT_SG_SH_SI_E_clIS7_S7_SB_PlEESF_SV_SG_SH_SI_EUlSV_E0_NS1_11comp_targetILNS1_3genE2ELNS1_11target_archE906ELNS1_3gpuE6ELNS1_3repE0EEENS1_38merge_mergepath_config_static_selectorELNS0_4arch9wavefront6targetE1EEEvSH_: ; @_ZN7rocprim17ROCPRIM_400000_NS6detail17trampoline_kernelINS0_14default_configENS1_38merge_sort_block_merge_config_selectorIhlEEZZNS1_27merge_sort_block_merge_implIS3_PhN6thrust23THRUST_200600_302600_NS10device_ptrIlEEjNS1_19radix_merge_compareILb0ELb1EhNS0_19identity_decomposerEEEEE10hipError_tT0_T1_T2_jT3_P12ihipStream_tbPNSt15iterator_traitsISG_E10value_typeEPNSM_ISH_E10value_typeEPSI_NS1_7vsmem_tEENKUlT_SG_SH_SI_E_clIS7_S7_SB_PlEESF_SV_SG_SH_SI_EUlSV_E0_NS1_11comp_targetILNS1_3genE2ELNS1_11target_archE906ELNS1_3gpuE6ELNS1_3repE0EEENS1_38merge_mergepath_config_static_selectorELNS0_4arch9wavefront6targetE1EEEvSH_
; %bb.0:
	.section	.rodata,"a",@progbits
	.p2align	6, 0x0
	.amdhsa_kernel _ZN7rocprim17ROCPRIM_400000_NS6detail17trampoline_kernelINS0_14default_configENS1_38merge_sort_block_merge_config_selectorIhlEEZZNS1_27merge_sort_block_merge_implIS3_PhN6thrust23THRUST_200600_302600_NS10device_ptrIlEEjNS1_19radix_merge_compareILb0ELb1EhNS0_19identity_decomposerEEEEE10hipError_tT0_T1_T2_jT3_P12ihipStream_tbPNSt15iterator_traitsISG_E10value_typeEPNSM_ISH_E10value_typeEPSI_NS1_7vsmem_tEENKUlT_SG_SH_SI_E_clIS7_S7_SB_PlEESF_SV_SG_SH_SI_EUlSV_E0_NS1_11comp_targetILNS1_3genE2ELNS1_11target_archE906ELNS1_3gpuE6ELNS1_3repE0EEENS1_38merge_mergepath_config_static_selectorELNS0_4arch9wavefront6targetE1EEEvSH_
		.amdhsa_group_segment_fixed_size 0
		.amdhsa_private_segment_fixed_size 0
		.amdhsa_kernarg_size 64
		.amdhsa_user_sgpr_count 6
		.amdhsa_user_sgpr_private_segment_buffer 1
		.amdhsa_user_sgpr_dispatch_ptr 0
		.amdhsa_user_sgpr_queue_ptr 0
		.amdhsa_user_sgpr_kernarg_segment_ptr 1
		.amdhsa_user_sgpr_dispatch_id 0
		.amdhsa_user_sgpr_flat_scratch_init 0
		.amdhsa_user_sgpr_kernarg_preload_length 0
		.amdhsa_user_sgpr_kernarg_preload_offset 0
		.amdhsa_user_sgpr_private_segment_size 0
		.amdhsa_uses_dynamic_stack 0
		.amdhsa_system_sgpr_private_segment_wavefront_offset 0
		.amdhsa_system_sgpr_workgroup_id_x 1
		.amdhsa_system_sgpr_workgroup_id_y 0
		.amdhsa_system_sgpr_workgroup_id_z 0
		.amdhsa_system_sgpr_workgroup_info 0
		.amdhsa_system_vgpr_workitem_id 0
		.amdhsa_next_free_vgpr 1
		.amdhsa_next_free_sgpr 0
		.amdhsa_accum_offset 4
		.amdhsa_reserve_vcc 0
		.amdhsa_reserve_flat_scratch 0
		.amdhsa_float_round_mode_32 0
		.amdhsa_float_round_mode_16_64 0
		.amdhsa_float_denorm_mode_32 3
		.amdhsa_float_denorm_mode_16_64 3
		.amdhsa_dx10_clamp 1
		.amdhsa_ieee_mode 1
		.amdhsa_fp16_overflow 0
		.amdhsa_tg_split 0
		.amdhsa_exception_fp_ieee_invalid_op 0
		.amdhsa_exception_fp_denorm_src 0
		.amdhsa_exception_fp_ieee_div_zero 0
		.amdhsa_exception_fp_ieee_overflow 0
		.amdhsa_exception_fp_ieee_underflow 0
		.amdhsa_exception_fp_ieee_inexact 0
		.amdhsa_exception_int_div_zero 0
	.end_amdhsa_kernel
	.section	.text._ZN7rocprim17ROCPRIM_400000_NS6detail17trampoline_kernelINS0_14default_configENS1_38merge_sort_block_merge_config_selectorIhlEEZZNS1_27merge_sort_block_merge_implIS3_PhN6thrust23THRUST_200600_302600_NS10device_ptrIlEEjNS1_19radix_merge_compareILb0ELb1EhNS0_19identity_decomposerEEEEE10hipError_tT0_T1_T2_jT3_P12ihipStream_tbPNSt15iterator_traitsISG_E10value_typeEPNSM_ISH_E10value_typeEPSI_NS1_7vsmem_tEENKUlT_SG_SH_SI_E_clIS7_S7_SB_PlEESF_SV_SG_SH_SI_EUlSV_E0_NS1_11comp_targetILNS1_3genE2ELNS1_11target_archE906ELNS1_3gpuE6ELNS1_3repE0EEENS1_38merge_mergepath_config_static_selectorELNS0_4arch9wavefront6targetE1EEEvSH_,"axG",@progbits,_ZN7rocprim17ROCPRIM_400000_NS6detail17trampoline_kernelINS0_14default_configENS1_38merge_sort_block_merge_config_selectorIhlEEZZNS1_27merge_sort_block_merge_implIS3_PhN6thrust23THRUST_200600_302600_NS10device_ptrIlEEjNS1_19radix_merge_compareILb0ELb1EhNS0_19identity_decomposerEEEEE10hipError_tT0_T1_T2_jT3_P12ihipStream_tbPNSt15iterator_traitsISG_E10value_typeEPNSM_ISH_E10value_typeEPSI_NS1_7vsmem_tEENKUlT_SG_SH_SI_E_clIS7_S7_SB_PlEESF_SV_SG_SH_SI_EUlSV_E0_NS1_11comp_targetILNS1_3genE2ELNS1_11target_archE906ELNS1_3gpuE6ELNS1_3repE0EEENS1_38merge_mergepath_config_static_selectorELNS0_4arch9wavefront6targetE1EEEvSH_,comdat
.Lfunc_end226:
	.size	_ZN7rocprim17ROCPRIM_400000_NS6detail17trampoline_kernelINS0_14default_configENS1_38merge_sort_block_merge_config_selectorIhlEEZZNS1_27merge_sort_block_merge_implIS3_PhN6thrust23THRUST_200600_302600_NS10device_ptrIlEEjNS1_19radix_merge_compareILb0ELb1EhNS0_19identity_decomposerEEEEE10hipError_tT0_T1_T2_jT3_P12ihipStream_tbPNSt15iterator_traitsISG_E10value_typeEPNSM_ISH_E10value_typeEPSI_NS1_7vsmem_tEENKUlT_SG_SH_SI_E_clIS7_S7_SB_PlEESF_SV_SG_SH_SI_EUlSV_E0_NS1_11comp_targetILNS1_3genE2ELNS1_11target_archE906ELNS1_3gpuE6ELNS1_3repE0EEENS1_38merge_mergepath_config_static_selectorELNS0_4arch9wavefront6targetE1EEEvSH_, .Lfunc_end226-_ZN7rocprim17ROCPRIM_400000_NS6detail17trampoline_kernelINS0_14default_configENS1_38merge_sort_block_merge_config_selectorIhlEEZZNS1_27merge_sort_block_merge_implIS3_PhN6thrust23THRUST_200600_302600_NS10device_ptrIlEEjNS1_19radix_merge_compareILb0ELb1EhNS0_19identity_decomposerEEEEE10hipError_tT0_T1_T2_jT3_P12ihipStream_tbPNSt15iterator_traitsISG_E10value_typeEPNSM_ISH_E10value_typeEPSI_NS1_7vsmem_tEENKUlT_SG_SH_SI_E_clIS7_S7_SB_PlEESF_SV_SG_SH_SI_EUlSV_E0_NS1_11comp_targetILNS1_3genE2ELNS1_11target_archE906ELNS1_3gpuE6ELNS1_3repE0EEENS1_38merge_mergepath_config_static_selectorELNS0_4arch9wavefront6targetE1EEEvSH_
                                        ; -- End function
	.section	.AMDGPU.csdata,"",@progbits
; Kernel info:
; codeLenInByte = 0
; NumSgprs: 4
; NumVgprs: 0
; NumAgprs: 0
; TotalNumVgprs: 0
; ScratchSize: 0
; MemoryBound: 0
; FloatMode: 240
; IeeeMode: 1
; LDSByteSize: 0 bytes/workgroup (compile time only)
; SGPRBlocks: 0
; VGPRBlocks: 0
; NumSGPRsForWavesPerEU: 4
; NumVGPRsForWavesPerEU: 1
; AccumOffset: 4
; Occupancy: 8
; WaveLimiterHint : 0
; COMPUTE_PGM_RSRC2:SCRATCH_EN: 0
; COMPUTE_PGM_RSRC2:USER_SGPR: 6
; COMPUTE_PGM_RSRC2:TRAP_HANDLER: 0
; COMPUTE_PGM_RSRC2:TGID_X_EN: 1
; COMPUTE_PGM_RSRC2:TGID_Y_EN: 0
; COMPUTE_PGM_RSRC2:TGID_Z_EN: 0
; COMPUTE_PGM_RSRC2:TIDIG_COMP_CNT: 0
; COMPUTE_PGM_RSRC3_GFX90A:ACCUM_OFFSET: 0
; COMPUTE_PGM_RSRC3_GFX90A:TG_SPLIT: 0
	.section	.text._ZN7rocprim17ROCPRIM_400000_NS6detail17trampoline_kernelINS0_14default_configENS1_38merge_sort_block_merge_config_selectorIhlEEZZNS1_27merge_sort_block_merge_implIS3_PhN6thrust23THRUST_200600_302600_NS10device_ptrIlEEjNS1_19radix_merge_compareILb0ELb1EhNS0_19identity_decomposerEEEEE10hipError_tT0_T1_T2_jT3_P12ihipStream_tbPNSt15iterator_traitsISG_E10value_typeEPNSM_ISH_E10value_typeEPSI_NS1_7vsmem_tEENKUlT_SG_SH_SI_E_clIS7_S7_SB_PlEESF_SV_SG_SH_SI_EUlSV_E0_NS1_11comp_targetILNS1_3genE9ELNS1_11target_archE1100ELNS1_3gpuE3ELNS1_3repE0EEENS1_38merge_mergepath_config_static_selectorELNS0_4arch9wavefront6targetE1EEEvSH_,"axG",@progbits,_ZN7rocprim17ROCPRIM_400000_NS6detail17trampoline_kernelINS0_14default_configENS1_38merge_sort_block_merge_config_selectorIhlEEZZNS1_27merge_sort_block_merge_implIS3_PhN6thrust23THRUST_200600_302600_NS10device_ptrIlEEjNS1_19radix_merge_compareILb0ELb1EhNS0_19identity_decomposerEEEEE10hipError_tT0_T1_T2_jT3_P12ihipStream_tbPNSt15iterator_traitsISG_E10value_typeEPNSM_ISH_E10value_typeEPSI_NS1_7vsmem_tEENKUlT_SG_SH_SI_E_clIS7_S7_SB_PlEESF_SV_SG_SH_SI_EUlSV_E0_NS1_11comp_targetILNS1_3genE9ELNS1_11target_archE1100ELNS1_3gpuE3ELNS1_3repE0EEENS1_38merge_mergepath_config_static_selectorELNS0_4arch9wavefront6targetE1EEEvSH_,comdat
	.protected	_ZN7rocprim17ROCPRIM_400000_NS6detail17trampoline_kernelINS0_14default_configENS1_38merge_sort_block_merge_config_selectorIhlEEZZNS1_27merge_sort_block_merge_implIS3_PhN6thrust23THRUST_200600_302600_NS10device_ptrIlEEjNS1_19radix_merge_compareILb0ELb1EhNS0_19identity_decomposerEEEEE10hipError_tT0_T1_T2_jT3_P12ihipStream_tbPNSt15iterator_traitsISG_E10value_typeEPNSM_ISH_E10value_typeEPSI_NS1_7vsmem_tEENKUlT_SG_SH_SI_E_clIS7_S7_SB_PlEESF_SV_SG_SH_SI_EUlSV_E0_NS1_11comp_targetILNS1_3genE9ELNS1_11target_archE1100ELNS1_3gpuE3ELNS1_3repE0EEENS1_38merge_mergepath_config_static_selectorELNS0_4arch9wavefront6targetE1EEEvSH_ ; -- Begin function _ZN7rocprim17ROCPRIM_400000_NS6detail17trampoline_kernelINS0_14default_configENS1_38merge_sort_block_merge_config_selectorIhlEEZZNS1_27merge_sort_block_merge_implIS3_PhN6thrust23THRUST_200600_302600_NS10device_ptrIlEEjNS1_19radix_merge_compareILb0ELb1EhNS0_19identity_decomposerEEEEE10hipError_tT0_T1_T2_jT3_P12ihipStream_tbPNSt15iterator_traitsISG_E10value_typeEPNSM_ISH_E10value_typeEPSI_NS1_7vsmem_tEENKUlT_SG_SH_SI_E_clIS7_S7_SB_PlEESF_SV_SG_SH_SI_EUlSV_E0_NS1_11comp_targetILNS1_3genE9ELNS1_11target_archE1100ELNS1_3gpuE3ELNS1_3repE0EEENS1_38merge_mergepath_config_static_selectorELNS0_4arch9wavefront6targetE1EEEvSH_
	.globl	_ZN7rocprim17ROCPRIM_400000_NS6detail17trampoline_kernelINS0_14default_configENS1_38merge_sort_block_merge_config_selectorIhlEEZZNS1_27merge_sort_block_merge_implIS3_PhN6thrust23THRUST_200600_302600_NS10device_ptrIlEEjNS1_19radix_merge_compareILb0ELb1EhNS0_19identity_decomposerEEEEE10hipError_tT0_T1_T2_jT3_P12ihipStream_tbPNSt15iterator_traitsISG_E10value_typeEPNSM_ISH_E10value_typeEPSI_NS1_7vsmem_tEENKUlT_SG_SH_SI_E_clIS7_S7_SB_PlEESF_SV_SG_SH_SI_EUlSV_E0_NS1_11comp_targetILNS1_3genE9ELNS1_11target_archE1100ELNS1_3gpuE3ELNS1_3repE0EEENS1_38merge_mergepath_config_static_selectorELNS0_4arch9wavefront6targetE1EEEvSH_
	.p2align	8
	.type	_ZN7rocprim17ROCPRIM_400000_NS6detail17trampoline_kernelINS0_14default_configENS1_38merge_sort_block_merge_config_selectorIhlEEZZNS1_27merge_sort_block_merge_implIS3_PhN6thrust23THRUST_200600_302600_NS10device_ptrIlEEjNS1_19radix_merge_compareILb0ELb1EhNS0_19identity_decomposerEEEEE10hipError_tT0_T1_T2_jT3_P12ihipStream_tbPNSt15iterator_traitsISG_E10value_typeEPNSM_ISH_E10value_typeEPSI_NS1_7vsmem_tEENKUlT_SG_SH_SI_E_clIS7_S7_SB_PlEESF_SV_SG_SH_SI_EUlSV_E0_NS1_11comp_targetILNS1_3genE9ELNS1_11target_archE1100ELNS1_3gpuE3ELNS1_3repE0EEENS1_38merge_mergepath_config_static_selectorELNS0_4arch9wavefront6targetE1EEEvSH_,@function
_ZN7rocprim17ROCPRIM_400000_NS6detail17trampoline_kernelINS0_14default_configENS1_38merge_sort_block_merge_config_selectorIhlEEZZNS1_27merge_sort_block_merge_implIS3_PhN6thrust23THRUST_200600_302600_NS10device_ptrIlEEjNS1_19radix_merge_compareILb0ELb1EhNS0_19identity_decomposerEEEEE10hipError_tT0_T1_T2_jT3_P12ihipStream_tbPNSt15iterator_traitsISG_E10value_typeEPNSM_ISH_E10value_typeEPSI_NS1_7vsmem_tEENKUlT_SG_SH_SI_E_clIS7_S7_SB_PlEESF_SV_SG_SH_SI_EUlSV_E0_NS1_11comp_targetILNS1_3genE9ELNS1_11target_archE1100ELNS1_3gpuE3ELNS1_3repE0EEENS1_38merge_mergepath_config_static_selectorELNS0_4arch9wavefront6targetE1EEEvSH_: ; @_ZN7rocprim17ROCPRIM_400000_NS6detail17trampoline_kernelINS0_14default_configENS1_38merge_sort_block_merge_config_selectorIhlEEZZNS1_27merge_sort_block_merge_implIS3_PhN6thrust23THRUST_200600_302600_NS10device_ptrIlEEjNS1_19radix_merge_compareILb0ELb1EhNS0_19identity_decomposerEEEEE10hipError_tT0_T1_T2_jT3_P12ihipStream_tbPNSt15iterator_traitsISG_E10value_typeEPNSM_ISH_E10value_typeEPSI_NS1_7vsmem_tEENKUlT_SG_SH_SI_E_clIS7_S7_SB_PlEESF_SV_SG_SH_SI_EUlSV_E0_NS1_11comp_targetILNS1_3genE9ELNS1_11target_archE1100ELNS1_3gpuE3ELNS1_3repE0EEENS1_38merge_mergepath_config_static_selectorELNS0_4arch9wavefront6targetE1EEEvSH_
; %bb.0:
	.section	.rodata,"a",@progbits
	.p2align	6, 0x0
	.amdhsa_kernel _ZN7rocprim17ROCPRIM_400000_NS6detail17trampoline_kernelINS0_14default_configENS1_38merge_sort_block_merge_config_selectorIhlEEZZNS1_27merge_sort_block_merge_implIS3_PhN6thrust23THRUST_200600_302600_NS10device_ptrIlEEjNS1_19radix_merge_compareILb0ELb1EhNS0_19identity_decomposerEEEEE10hipError_tT0_T1_T2_jT3_P12ihipStream_tbPNSt15iterator_traitsISG_E10value_typeEPNSM_ISH_E10value_typeEPSI_NS1_7vsmem_tEENKUlT_SG_SH_SI_E_clIS7_S7_SB_PlEESF_SV_SG_SH_SI_EUlSV_E0_NS1_11comp_targetILNS1_3genE9ELNS1_11target_archE1100ELNS1_3gpuE3ELNS1_3repE0EEENS1_38merge_mergepath_config_static_selectorELNS0_4arch9wavefront6targetE1EEEvSH_
		.amdhsa_group_segment_fixed_size 0
		.amdhsa_private_segment_fixed_size 0
		.amdhsa_kernarg_size 64
		.amdhsa_user_sgpr_count 6
		.amdhsa_user_sgpr_private_segment_buffer 1
		.amdhsa_user_sgpr_dispatch_ptr 0
		.amdhsa_user_sgpr_queue_ptr 0
		.amdhsa_user_sgpr_kernarg_segment_ptr 1
		.amdhsa_user_sgpr_dispatch_id 0
		.amdhsa_user_sgpr_flat_scratch_init 0
		.amdhsa_user_sgpr_kernarg_preload_length 0
		.amdhsa_user_sgpr_kernarg_preload_offset 0
		.amdhsa_user_sgpr_private_segment_size 0
		.amdhsa_uses_dynamic_stack 0
		.amdhsa_system_sgpr_private_segment_wavefront_offset 0
		.amdhsa_system_sgpr_workgroup_id_x 1
		.amdhsa_system_sgpr_workgroup_id_y 0
		.amdhsa_system_sgpr_workgroup_id_z 0
		.amdhsa_system_sgpr_workgroup_info 0
		.amdhsa_system_vgpr_workitem_id 0
		.amdhsa_next_free_vgpr 1
		.amdhsa_next_free_sgpr 0
		.amdhsa_accum_offset 4
		.amdhsa_reserve_vcc 0
		.amdhsa_reserve_flat_scratch 0
		.amdhsa_float_round_mode_32 0
		.amdhsa_float_round_mode_16_64 0
		.amdhsa_float_denorm_mode_32 3
		.amdhsa_float_denorm_mode_16_64 3
		.amdhsa_dx10_clamp 1
		.amdhsa_ieee_mode 1
		.amdhsa_fp16_overflow 0
		.amdhsa_tg_split 0
		.amdhsa_exception_fp_ieee_invalid_op 0
		.amdhsa_exception_fp_denorm_src 0
		.amdhsa_exception_fp_ieee_div_zero 0
		.amdhsa_exception_fp_ieee_overflow 0
		.amdhsa_exception_fp_ieee_underflow 0
		.amdhsa_exception_fp_ieee_inexact 0
		.amdhsa_exception_int_div_zero 0
	.end_amdhsa_kernel
	.section	.text._ZN7rocprim17ROCPRIM_400000_NS6detail17trampoline_kernelINS0_14default_configENS1_38merge_sort_block_merge_config_selectorIhlEEZZNS1_27merge_sort_block_merge_implIS3_PhN6thrust23THRUST_200600_302600_NS10device_ptrIlEEjNS1_19radix_merge_compareILb0ELb1EhNS0_19identity_decomposerEEEEE10hipError_tT0_T1_T2_jT3_P12ihipStream_tbPNSt15iterator_traitsISG_E10value_typeEPNSM_ISH_E10value_typeEPSI_NS1_7vsmem_tEENKUlT_SG_SH_SI_E_clIS7_S7_SB_PlEESF_SV_SG_SH_SI_EUlSV_E0_NS1_11comp_targetILNS1_3genE9ELNS1_11target_archE1100ELNS1_3gpuE3ELNS1_3repE0EEENS1_38merge_mergepath_config_static_selectorELNS0_4arch9wavefront6targetE1EEEvSH_,"axG",@progbits,_ZN7rocprim17ROCPRIM_400000_NS6detail17trampoline_kernelINS0_14default_configENS1_38merge_sort_block_merge_config_selectorIhlEEZZNS1_27merge_sort_block_merge_implIS3_PhN6thrust23THRUST_200600_302600_NS10device_ptrIlEEjNS1_19radix_merge_compareILb0ELb1EhNS0_19identity_decomposerEEEEE10hipError_tT0_T1_T2_jT3_P12ihipStream_tbPNSt15iterator_traitsISG_E10value_typeEPNSM_ISH_E10value_typeEPSI_NS1_7vsmem_tEENKUlT_SG_SH_SI_E_clIS7_S7_SB_PlEESF_SV_SG_SH_SI_EUlSV_E0_NS1_11comp_targetILNS1_3genE9ELNS1_11target_archE1100ELNS1_3gpuE3ELNS1_3repE0EEENS1_38merge_mergepath_config_static_selectorELNS0_4arch9wavefront6targetE1EEEvSH_,comdat
.Lfunc_end227:
	.size	_ZN7rocprim17ROCPRIM_400000_NS6detail17trampoline_kernelINS0_14default_configENS1_38merge_sort_block_merge_config_selectorIhlEEZZNS1_27merge_sort_block_merge_implIS3_PhN6thrust23THRUST_200600_302600_NS10device_ptrIlEEjNS1_19radix_merge_compareILb0ELb1EhNS0_19identity_decomposerEEEEE10hipError_tT0_T1_T2_jT3_P12ihipStream_tbPNSt15iterator_traitsISG_E10value_typeEPNSM_ISH_E10value_typeEPSI_NS1_7vsmem_tEENKUlT_SG_SH_SI_E_clIS7_S7_SB_PlEESF_SV_SG_SH_SI_EUlSV_E0_NS1_11comp_targetILNS1_3genE9ELNS1_11target_archE1100ELNS1_3gpuE3ELNS1_3repE0EEENS1_38merge_mergepath_config_static_selectorELNS0_4arch9wavefront6targetE1EEEvSH_, .Lfunc_end227-_ZN7rocprim17ROCPRIM_400000_NS6detail17trampoline_kernelINS0_14default_configENS1_38merge_sort_block_merge_config_selectorIhlEEZZNS1_27merge_sort_block_merge_implIS3_PhN6thrust23THRUST_200600_302600_NS10device_ptrIlEEjNS1_19radix_merge_compareILb0ELb1EhNS0_19identity_decomposerEEEEE10hipError_tT0_T1_T2_jT3_P12ihipStream_tbPNSt15iterator_traitsISG_E10value_typeEPNSM_ISH_E10value_typeEPSI_NS1_7vsmem_tEENKUlT_SG_SH_SI_E_clIS7_S7_SB_PlEESF_SV_SG_SH_SI_EUlSV_E0_NS1_11comp_targetILNS1_3genE9ELNS1_11target_archE1100ELNS1_3gpuE3ELNS1_3repE0EEENS1_38merge_mergepath_config_static_selectorELNS0_4arch9wavefront6targetE1EEEvSH_
                                        ; -- End function
	.section	.AMDGPU.csdata,"",@progbits
; Kernel info:
; codeLenInByte = 0
; NumSgprs: 4
; NumVgprs: 0
; NumAgprs: 0
; TotalNumVgprs: 0
; ScratchSize: 0
; MemoryBound: 0
; FloatMode: 240
; IeeeMode: 1
; LDSByteSize: 0 bytes/workgroup (compile time only)
; SGPRBlocks: 0
; VGPRBlocks: 0
; NumSGPRsForWavesPerEU: 4
; NumVGPRsForWavesPerEU: 1
; AccumOffset: 4
; Occupancy: 8
; WaveLimiterHint : 0
; COMPUTE_PGM_RSRC2:SCRATCH_EN: 0
; COMPUTE_PGM_RSRC2:USER_SGPR: 6
; COMPUTE_PGM_RSRC2:TRAP_HANDLER: 0
; COMPUTE_PGM_RSRC2:TGID_X_EN: 1
; COMPUTE_PGM_RSRC2:TGID_Y_EN: 0
; COMPUTE_PGM_RSRC2:TGID_Z_EN: 0
; COMPUTE_PGM_RSRC2:TIDIG_COMP_CNT: 0
; COMPUTE_PGM_RSRC3_GFX90A:ACCUM_OFFSET: 0
; COMPUTE_PGM_RSRC3_GFX90A:TG_SPLIT: 0
	.section	.text._ZN7rocprim17ROCPRIM_400000_NS6detail17trampoline_kernelINS0_14default_configENS1_38merge_sort_block_merge_config_selectorIhlEEZZNS1_27merge_sort_block_merge_implIS3_PhN6thrust23THRUST_200600_302600_NS10device_ptrIlEEjNS1_19radix_merge_compareILb0ELb1EhNS0_19identity_decomposerEEEEE10hipError_tT0_T1_T2_jT3_P12ihipStream_tbPNSt15iterator_traitsISG_E10value_typeEPNSM_ISH_E10value_typeEPSI_NS1_7vsmem_tEENKUlT_SG_SH_SI_E_clIS7_S7_SB_PlEESF_SV_SG_SH_SI_EUlSV_E0_NS1_11comp_targetILNS1_3genE8ELNS1_11target_archE1030ELNS1_3gpuE2ELNS1_3repE0EEENS1_38merge_mergepath_config_static_selectorELNS0_4arch9wavefront6targetE1EEEvSH_,"axG",@progbits,_ZN7rocprim17ROCPRIM_400000_NS6detail17trampoline_kernelINS0_14default_configENS1_38merge_sort_block_merge_config_selectorIhlEEZZNS1_27merge_sort_block_merge_implIS3_PhN6thrust23THRUST_200600_302600_NS10device_ptrIlEEjNS1_19radix_merge_compareILb0ELb1EhNS0_19identity_decomposerEEEEE10hipError_tT0_T1_T2_jT3_P12ihipStream_tbPNSt15iterator_traitsISG_E10value_typeEPNSM_ISH_E10value_typeEPSI_NS1_7vsmem_tEENKUlT_SG_SH_SI_E_clIS7_S7_SB_PlEESF_SV_SG_SH_SI_EUlSV_E0_NS1_11comp_targetILNS1_3genE8ELNS1_11target_archE1030ELNS1_3gpuE2ELNS1_3repE0EEENS1_38merge_mergepath_config_static_selectorELNS0_4arch9wavefront6targetE1EEEvSH_,comdat
	.protected	_ZN7rocprim17ROCPRIM_400000_NS6detail17trampoline_kernelINS0_14default_configENS1_38merge_sort_block_merge_config_selectorIhlEEZZNS1_27merge_sort_block_merge_implIS3_PhN6thrust23THRUST_200600_302600_NS10device_ptrIlEEjNS1_19radix_merge_compareILb0ELb1EhNS0_19identity_decomposerEEEEE10hipError_tT0_T1_T2_jT3_P12ihipStream_tbPNSt15iterator_traitsISG_E10value_typeEPNSM_ISH_E10value_typeEPSI_NS1_7vsmem_tEENKUlT_SG_SH_SI_E_clIS7_S7_SB_PlEESF_SV_SG_SH_SI_EUlSV_E0_NS1_11comp_targetILNS1_3genE8ELNS1_11target_archE1030ELNS1_3gpuE2ELNS1_3repE0EEENS1_38merge_mergepath_config_static_selectorELNS0_4arch9wavefront6targetE1EEEvSH_ ; -- Begin function _ZN7rocprim17ROCPRIM_400000_NS6detail17trampoline_kernelINS0_14default_configENS1_38merge_sort_block_merge_config_selectorIhlEEZZNS1_27merge_sort_block_merge_implIS3_PhN6thrust23THRUST_200600_302600_NS10device_ptrIlEEjNS1_19radix_merge_compareILb0ELb1EhNS0_19identity_decomposerEEEEE10hipError_tT0_T1_T2_jT3_P12ihipStream_tbPNSt15iterator_traitsISG_E10value_typeEPNSM_ISH_E10value_typeEPSI_NS1_7vsmem_tEENKUlT_SG_SH_SI_E_clIS7_S7_SB_PlEESF_SV_SG_SH_SI_EUlSV_E0_NS1_11comp_targetILNS1_3genE8ELNS1_11target_archE1030ELNS1_3gpuE2ELNS1_3repE0EEENS1_38merge_mergepath_config_static_selectorELNS0_4arch9wavefront6targetE1EEEvSH_
	.globl	_ZN7rocprim17ROCPRIM_400000_NS6detail17trampoline_kernelINS0_14default_configENS1_38merge_sort_block_merge_config_selectorIhlEEZZNS1_27merge_sort_block_merge_implIS3_PhN6thrust23THRUST_200600_302600_NS10device_ptrIlEEjNS1_19radix_merge_compareILb0ELb1EhNS0_19identity_decomposerEEEEE10hipError_tT0_T1_T2_jT3_P12ihipStream_tbPNSt15iterator_traitsISG_E10value_typeEPNSM_ISH_E10value_typeEPSI_NS1_7vsmem_tEENKUlT_SG_SH_SI_E_clIS7_S7_SB_PlEESF_SV_SG_SH_SI_EUlSV_E0_NS1_11comp_targetILNS1_3genE8ELNS1_11target_archE1030ELNS1_3gpuE2ELNS1_3repE0EEENS1_38merge_mergepath_config_static_selectorELNS0_4arch9wavefront6targetE1EEEvSH_
	.p2align	8
	.type	_ZN7rocprim17ROCPRIM_400000_NS6detail17trampoline_kernelINS0_14default_configENS1_38merge_sort_block_merge_config_selectorIhlEEZZNS1_27merge_sort_block_merge_implIS3_PhN6thrust23THRUST_200600_302600_NS10device_ptrIlEEjNS1_19radix_merge_compareILb0ELb1EhNS0_19identity_decomposerEEEEE10hipError_tT0_T1_T2_jT3_P12ihipStream_tbPNSt15iterator_traitsISG_E10value_typeEPNSM_ISH_E10value_typeEPSI_NS1_7vsmem_tEENKUlT_SG_SH_SI_E_clIS7_S7_SB_PlEESF_SV_SG_SH_SI_EUlSV_E0_NS1_11comp_targetILNS1_3genE8ELNS1_11target_archE1030ELNS1_3gpuE2ELNS1_3repE0EEENS1_38merge_mergepath_config_static_selectorELNS0_4arch9wavefront6targetE1EEEvSH_,@function
_ZN7rocprim17ROCPRIM_400000_NS6detail17trampoline_kernelINS0_14default_configENS1_38merge_sort_block_merge_config_selectorIhlEEZZNS1_27merge_sort_block_merge_implIS3_PhN6thrust23THRUST_200600_302600_NS10device_ptrIlEEjNS1_19radix_merge_compareILb0ELb1EhNS0_19identity_decomposerEEEEE10hipError_tT0_T1_T2_jT3_P12ihipStream_tbPNSt15iterator_traitsISG_E10value_typeEPNSM_ISH_E10value_typeEPSI_NS1_7vsmem_tEENKUlT_SG_SH_SI_E_clIS7_S7_SB_PlEESF_SV_SG_SH_SI_EUlSV_E0_NS1_11comp_targetILNS1_3genE8ELNS1_11target_archE1030ELNS1_3gpuE2ELNS1_3repE0EEENS1_38merge_mergepath_config_static_selectorELNS0_4arch9wavefront6targetE1EEEvSH_: ; @_ZN7rocprim17ROCPRIM_400000_NS6detail17trampoline_kernelINS0_14default_configENS1_38merge_sort_block_merge_config_selectorIhlEEZZNS1_27merge_sort_block_merge_implIS3_PhN6thrust23THRUST_200600_302600_NS10device_ptrIlEEjNS1_19radix_merge_compareILb0ELb1EhNS0_19identity_decomposerEEEEE10hipError_tT0_T1_T2_jT3_P12ihipStream_tbPNSt15iterator_traitsISG_E10value_typeEPNSM_ISH_E10value_typeEPSI_NS1_7vsmem_tEENKUlT_SG_SH_SI_E_clIS7_S7_SB_PlEESF_SV_SG_SH_SI_EUlSV_E0_NS1_11comp_targetILNS1_3genE8ELNS1_11target_archE1030ELNS1_3gpuE2ELNS1_3repE0EEENS1_38merge_mergepath_config_static_selectorELNS0_4arch9wavefront6targetE1EEEvSH_
; %bb.0:
	.section	.rodata,"a",@progbits
	.p2align	6, 0x0
	.amdhsa_kernel _ZN7rocprim17ROCPRIM_400000_NS6detail17trampoline_kernelINS0_14default_configENS1_38merge_sort_block_merge_config_selectorIhlEEZZNS1_27merge_sort_block_merge_implIS3_PhN6thrust23THRUST_200600_302600_NS10device_ptrIlEEjNS1_19radix_merge_compareILb0ELb1EhNS0_19identity_decomposerEEEEE10hipError_tT0_T1_T2_jT3_P12ihipStream_tbPNSt15iterator_traitsISG_E10value_typeEPNSM_ISH_E10value_typeEPSI_NS1_7vsmem_tEENKUlT_SG_SH_SI_E_clIS7_S7_SB_PlEESF_SV_SG_SH_SI_EUlSV_E0_NS1_11comp_targetILNS1_3genE8ELNS1_11target_archE1030ELNS1_3gpuE2ELNS1_3repE0EEENS1_38merge_mergepath_config_static_selectorELNS0_4arch9wavefront6targetE1EEEvSH_
		.amdhsa_group_segment_fixed_size 0
		.amdhsa_private_segment_fixed_size 0
		.amdhsa_kernarg_size 64
		.amdhsa_user_sgpr_count 6
		.amdhsa_user_sgpr_private_segment_buffer 1
		.amdhsa_user_sgpr_dispatch_ptr 0
		.amdhsa_user_sgpr_queue_ptr 0
		.amdhsa_user_sgpr_kernarg_segment_ptr 1
		.amdhsa_user_sgpr_dispatch_id 0
		.amdhsa_user_sgpr_flat_scratch_init 0
		.amdhsa_user_sgpr_kernarg_preload_length 0
		.amdhsa_user_sgpr_kernarg_preload_offset 0
		.amdhsa_user_sgpr_private_segment_size 0
		.amdhsa_uses_dynamic_stack 0
		.amdhsa_system_sgpr_private_segment_wavefront_offset 0
		.amdhsa_system_sgpr_workgroup_id_x 1
		.amdhsa_system_sgpr_workgroup_id_y 0
		.amdhsa_system_sgpr_workgroup_id_z 0
		.amdhsa_system_sgpr_workgroup_info 0
		.amdhsa_system_vgpr_workitem_id 0
		.amdhsa_next_free_vgpr 1
		.amdhsa_next_free_sgpr 0
		.amdhsa_accum_offset 4
		.amdhsa_reserve_vcc 0
		.amdhsa_reserve_flat_scratch 0
		.amdhsa_float_round_mode_32 0
		.amdhsa_float_round_mode_16_64 0
		.amdhsa_float_denorm_mode_32 3
		.amdhsa_float_denorm_mode_16_64 3
		.amdhsa_dx10_clamp 1
		.amdhsa_ieee_mode 1
		.amdhsa_fp16_overflow 0
		.amdhsa_tg_split 0
		.amdhsa_exception_fp_ieee_invalid_op 0
		.amdhsa_exception_fp_denorm_src 0
		.amdhsa_exception_fp_ieee_div_zero 0
		.amdhsa_exception_fp_ieee_overflow 0
		.amdhsa_exception_fp_ieee_underflow 0
		.amdhsa_exception_fp_ieee_inexact 0
		.amdhsa_exception_int_div_zero 0
	.end_amdhsa_kernel
	.section	.text._ZN7rocprim17ROCPRIM_400000_NS6detail17trampoline_kernelINS0_14default_configENS1_38merge_sort_block_merge_config_selectorIhlEEZZNS1_27merge_sort_block_merge_implIS3_PhN6thrust23THRUST_200600_302600_NS10device_ptrIlEEjNS1_19radix_merge_compareILb0ELb1EhNS0_19identity_decomposerEEEEE10hipError_tT0_T1_T2_jT3_P12ihipStream_tbPNSt15iterator_traitsISG_E10value_typeEPNSM_ISH_E10value_typeEPSI_NS1_7vsmem_tEENKUlT_SG_SH_SI_E_clIS7_S7_SB_PlEESF_SV_SG_SH_SI_EUlSV_E0_NS1_11comp_targetILNS1_3genE8ELNS1_11target_archE1030ELNS1_3gpuE2ELNS1_3repE0EEENS1_38merge_mergepath_config_static_selectorELNS0_4arch9wavefront6targetE1EEEvSH_,"axG",@progbits,_ZN7rocprim17ROCPRIM_400000_NS6detail17trampoline_kernelINS0_14default_configENS1_38merge_sort_block_merge_config_selectorIhlEEZZNS1_27merge_sort_block_merge_implIS3_PhN6thrust23THRUST_200600_302600_NS10device_ptrIlEEjNS1_19radix_merge_compareILb0ELb1EhNS0_19identity_decomposerEEEEE10hipError_tT0_T1_T2_jT3_P12ihipStream_tbPNSt15iterator_traitsISG_E10value_typeEPNSM_ISH_E10value_typeEPSI_NS1_7vsmem_tEENKUlT_SG_SH_SI_E_clIS7_S7_SB_PlEESF_SV_SG_SH_SI_EUlSV_E0_NS1_11comp_targetILNS1_3genE8ELNS1_11target_archE1030ELNS1_3gpuE2ELNS1_3repE0EEENS1_38merge_mergepath_config_static_selectorELNS0_4arch9wavefront6targetE1EEEvSH_,comdat
.Lfunc_end228:
	.size	_ZN7rocprim17ROCPRIM_400000_NS6detail17trampoline_kernelINS0_14default_configENS1_38merge_sort_block_merge_config_selectorIhlEEZZNS1_27merge_sort_block_merge_implIS3_PhN6thrust23THRUST_200600_302600_NS10device_ptrIlEEjNS1_19radix_merge_compareILb0ELb1EhNS0_19identity_decomposerEEEEE10hipError_tT0_T1_T2_jT3_P12ihipStream_tbPNSt15iterator_traitsISG_E10value_typeEPNSM_ISH_E10value_typeEPSI_NS1_7vsmem_tEENKUlT_SG_SH_SI_E_clIS7_S7_SB_PlEESF_SV_SG_SH_SI_EUlSV_E0_NS1_11comp_targetILNS1_3genE8ELNS1_11target_archE1030ELNS1_3gpuE2ELNS1_3repE0EEENS1_38merge_mergepath_config_static_selectorELNS0_4arch9wavefront6targetE1EEEvSH_, .Lfunc_end228-_ZN7rocprim17ROCPRIM_400000_NS6detail17trampoline_kernelINS0_14default_configENS1_38merge_sort_block_merge_config_selectorIhlEEZZNS1_27merge_sort_block_merge_implIS3_PhN6thrust23THRUST_200600_302600_NS10device_ptrIlEEjNS1_19radix_merge_compareILb0ELb1EhNS0_19identity_decomposerEEEEE10hipError_tT0_T1_T2_jT3_P12ihipStream_tbPNSt15iterator_traitsISG_E10value_typeEPNSM_ISH_E10value_typeEPSI_NS1_7vsmem_tEENKUlT_SG_SH_SI_E_clIS7_S7_SB_PlEESF_SV_SG_SH_SI_EUlSV_E0_NS1_11comp_targetILNS1_3genE8ELNS1_11target_archE1030ELNS1_3gpuE2ELNS1_3repE0EEENS1_38merge_mergepath_config_static_selectorELNS0_4arch9wavefront6targetE1EEEvSH_
                                        ; -- End function
	.section	.AMDGPU.csdata,"",@progbits
; Kernel info:
; codeLenInByte = 0
; NumSgprs: 4
; NumVgprs: 0
; NumAgprs: 0
; TotalNumVgprs: 0
; ScratchSize: 0
; MemoryBound: 0
; FloatMode: 240
; IeeeMode: 1
; LDSByteSize: 0 bytes/workgroup (compile time only)
; SGPRBlocks: 0
; VGPRBlocks: 0
; NumSGPRsForWavesPerEU: 4
; NumVGPRsForWavesPerEU: 1
; AccumOffset: 4
; Occupancy: 8
; WaveLimiterHint : 0
; COMPUTE_PGM_RSRC2:SCRATCH_EN: 0
; COMPUTE_PGM_RSRC2:USER_SGPR: 6
; COMPUTE_PGM_RSRC2:TRAP_HANDLER: 0
; COMPUTE_PGM_RSRC2:TGID_X_EN: 1
; COMPUTE_PGM_RSRC2:TGID_Y_EN: 0
; COMPUTE_PGM_RSRC2:TGID_Z_EN: 0
; COMPUTE_PGM_RSRC2:TIDIG_COMP_CNT: 0
; COMPUTE_PGM_RSRC3_GFX90A:ACCUM_OFFSET: 0
; COMPUTE_PGM_RSRC3_GFX90A:TG_SPLIT: 0
	.section	.text._ZN7rocprim17ROCPRIM_400000_NS6detail17trampoline_kernelINS0_14default_configENS1_38merge_sort_block_merge_config_selectorIhlEEZZNS1_27merge_sort_block_merge_implIS3_PhN6thrust23THRUST_200600_302600_NS10device_ptrIlEEjNS1_19radix_merge_compareILb0ELb1EhNS0_19identity_decomposerEEEEE10hipError_tT0_T1_T2_jT3_P12ihipStream_tbPNSt15iterator_traitsISG_E10value_typeEPNSM_ISH_E10value_typeEPSI_NS1_7vsmem_tEENKUlT_SG_SH_SI_E_clIS7_S7_SB_PlEESF_SV_SG_SH_SI_EUlSV_E1_NS1_11comp_targetILNS1_3genE0ELNS1_11target_archE4294967295ELNS1_3gpuE0ELNS1_3repE0EEENS1_36merge_oddeven_config_static_selectorELNS0_4arch9wavefront6targetE1EEEvSH_,"axG",@progbits,_ZN7rocprim17ROCPRIM_400000_NS6detail17trampoline_kernelINS0_14default_configENS1_38merge_sort_block_merge_config_selectorIhlEEZZNS1_27merge_sort_block_merge_implIS3_PhN6thrust23THRUST_200600_302600_NS10device_ptrIlEEjNS1_19radix_merge_compareILb0ELb1EhNS0_19identity_decomposerEEEEE10hipError_tT0_T1_T2_jT3_P12ihipStream_tbPNSt15iterator_traitsISG_E10value_typeEPNSM_ISH_E10value_typeEPSI_NS1_7vsmem_tEENKUlT_SG_SH_SI_E_clIS7_S7_SB_PlEESF_SV_SG_SH_SI_EUlSV_E1_NS1_11comp_targetILNS1_3genE0ELNS1_11target_archE4294967295ELNS1_3gpuE0ELNS1_3repE0EEENS1_36merge_oddeven_config_static_selectorELNS0_4arch9wavefront6targetE1EEEvSH_,comdat
	.protected	_ZN7rocprim17ROCPRIM_400000_NS6detail17trampoline_kernelINS0_14default_configENS1_38merge_sort_block_merge_config_selectorIhlEEZZNS1_27merge_sort_block_merge_implIS3_PhN6thrust23THRUST_200600_302600_NS10device_ptrIlEEjNS1_19radix_merge_compareILb0ELb1EhNS0_19identity_decomposerEEEEE10hipError_tT0_T1_T2_jT3_P12ihipStream_tbPNSt15iterator_traitsISG_E10value_typeEPNSM_ISH_E10value_typeEPSI_NS1_7vsmem_tEENKUlT_SG_SH_SI_E_clIS7_S7_SB_PlEESF_SV_SG_SH_SI_EUlSV_E1_NS1_11comp_targetILNS1_3genE0ELNS1_11target_archE4294967295ELNS1_3gpuE0ELNS1_3repE0EEENS1_36merge_oddeven_config_static_selectorELNS0_4arch9wavefront6targetE1EEEvSH_ ; -- Begin function _ZN7rocprim17ROCPRIM_400000_NS6detail17trampoline_kernelINS0_14default_configENS1_38merge_sort_block_merge_config_selectorIhlEEZZNS1_27merge_sort_block_merge_implIS3_PhN6thrust23THRUST_200600_302600_NS10device_ptrIlEEjNS1_19radix_merge_compareILb0ELb1EhNS0_19identity_decomposerEEEEE10hipError_tT0_T1_T2_jT3_P12ihipStream_tbPNSt15iterator_traitsISG_E10value_typeEPNSM_ISH_E10value_typeEPSI_NS1_7vsmem_tEENKUlT_SG_SH_SI_E_clIS7_S7_SB_PlEESF_SV_SG_SH_SI_EUlSV_E1_NS1_11comp_targetILNS1_3genE0ELNS1_11target_archE4294967295ELNS1_3gpuE0ELNS1_3repE0EEENS1_36merge_oddeven_config_static_selectorELNS0_4arch9wavefront6targetE1EEEvSH_
	.globl	_ZN7rocprim17ROCPRIM_400000_NS6detail17trampoline_kernelINS0_14default_configENS1_38merge_sort_block_merge_config_selectorIhlEEZZNS1_27merge_sort_block_merge_implIS3_PhN6thrust23THRUST_200600_302600_NS10device_ptrIlEEjNS1_19radix_merge_compareILb0ELb1EhNS0_19identity_decomposerEEEEE10hipError_tT0_T1_T2_jT3_P12ihipStream_tbPNSt15iterator_traitsISG_E10value_typeEPNSM_ISH_E10value_typeEPSI_NS1_7vsmem_tEENKUlT_SG_SH_SI_E_clIS7_S7_SB_PlEESF_SV_SG_SH_SI_EUlSV_E1_NS1_11comp_targetILNS1_3genE0ELNS1_11target_archE4294967295ELNS1_3gpuE0ELNS1_3repE0EEENS1_36merge_oddeven_config_static_selectorELNS0_4arch9wavefront6targetE1EEEvSH_
	.p2align	8
	.type	_ZN7rocprim17ROCPRIM_400000_NS6detail17trampoline_kernelINS0_14default_configENS1_38merge_sort_block_merge_config_selectorIhlEEZZNS1_27merge_sort_block_merge_implIS3_PhN6thrust23THRUST_200600_302600_NS10device_ptrIlEEjNS1_19radix_merge_compareILb0ELb1EhNS0_19identity_decomposerEEEEE10hipError_tT0_T1_T2_jT3_P12ihipStream_tbPNSt15iterator_traitsISG_E10value_typeEPNSM_ISH_E10value_typeEPSI_NS1_7vsmem_tEENKUlT_SG_SH_SI_E_clIS7_S7_SB_PlEESF_SV_SG_SH_SI_EUlSV_E1_NS1_11comp_targetILNS1_3genE0ELNS1_11target_archE4294967295ELNS1_3gpuE0ELNS1_3repE0EEENS1_36merge_oddeven_config_static_selectorELNS0_4arch9wavefront6targetE1EEEvSH_,@function
_ZN7rocprim17ROCPRIM_400000_NS6detail17trampoline_kernelINS0_14default_configENS1_38merge_sort_block_merge_config_selectorIhlEEZZNS1_27merge_sort_block_merge_implIS3_PhN6thrust23THRUST_200600_302600_NS10device_ptrIlEEjNS1_19radix_merge_compareILb0ELb1EhNS0_19identity_decomposerEEEEE10hipError_tT0_T1_T2_jT3_P12ihipStream_tbPNSt15iterator_traitsISG_E10value_typeEPNSM_ISH_E10value_typeEPSI_NS1_7vsmem_tEENKUlT_SG_SH_SI_E_clIS7_S7_SB_PlEESF_SV_SG_SH_SI_EUlSV_E1_NS1_11comp_targetILNS1_3genE0ELNS1_11target_archE4294967295ELNS1_3gpuE0ELNS1_3repE0EEENS1_36merge_oddeven_config_static_selectorELNS0_4arch9wavefront6targetE1EEEvSH_: ; @_ZN7rocprim17ROCPRIM_400000_NS6detail17trampoline_kernelINS0_14default_configENS1_38merge_sort_block_merge_config_selectorIhlEEZZNS1_27merge_sort_block_merge_implIS3_PhN6thrust23THRUST_200600_302600_NS10device_ptrIlEEjNS1_19radix_merge_compareILb0ELb1EhNS0_19identity_decomposerEEEEE10hipError_tT0_T1_T2_jT3_P12ihipStream_tbPNSt15iterator_traitsISG_E10value_typeEPNSM_ISH_E10value_typeEPSI_NS1_7vsmem_tEENKUlT_SG_SH_SI_E_clIS7_S7_SB_PlEESF_SV_SG_SH_SI_EUlSV_E1_NS1_11comp_targetILNS1_3genE0ELNS1_11target_archE4294967295ELNS1_3gpuE0ELNS1_3repE0EEENS1_36merge_oddeven_config_static_selectorELNS0_4arch9wavefront6targetE1EEEvSH_
; %bb.0:
	.section	.rodata,"a",@progbits
	.p2align	6, 0x0
	.amdhsa_kernel _ZN7rocprim17ROCPRIM_400000_NS6detail17trampoline_kernelINS0_14default_configENS1_38merge_sort_block_merge_config_selectorIhlEEZZNS1_27merge_sort_block_merge_implIS3_PhN6thrust23THRUST_200600_302600_NS10device_ptrIlEEjNS1_19radix_merge_compareILb0ELb1EhNS0_19identity_decomposerEEEEE10hipError_tT0_T1_T2_jT3_P12ihipStream_tbPNSt15iterator_traitsISG_E10value_typeEPNSM_ISH_E10value_typeEPSI_NS1_7vsmem_tEENKUlT_SG_SH_SI_E_clIS7_S7_SB_PlEESF_SV_SG_SH_SI_EUlSV_E1_NS1_11comp_targetILNS1_3genE0ELNS1_11target_archE4294967295ELNS1_3gpuE0ELNS1_3repE0EEENS1_36merge_oddeven_config_static_selectorELNS0_4arch9wavefront6targetE1EEEvSH_
		.amdhsa_group_segment_fixed_size 0
		.amdhsa_private_segment_fixed_size 0
		.amdhsa_kernarg_size 48
		.amdhsa_user_sgpr_count 6
		.amdhsa_user_sgpr_private_segment_buffer 1
		.amdhsa_user_sgpr_dispatch_ptr 0
		.amdhsa_user_sgpr_queue_ptr 0
		.amdhsa_user_sgpr_kernarg_segment_ptr 1
		.amdhsa_user_sgpr_dispatch_id 0
		.amdhsa_user_sgpr_flat_scratch_init 0
		.amdhsa_user_sgpr_kernarg_preload_length 0
		.amdhsa_user_sgpr_kernarg_preload_offset 0
		.amdhsa_user_sgpr_private_segment_size 0
		.amdhsa_uses_dynamic_stack 0
		.amdhsa_system_sgpr_private_segment_wavefront_offset 0
		.amdhsa_system_sgpr_workgroup_id_x 1
		.amdhsa_system_sgpr_workgroup_id_y 0
		.amdhsa_system_sgpr_workgroup_id_z 0
		.amdhsa_system_sgpr_workgroup_info 0
		.amdhsa_system_vgpr_workitem_id 0
		.amdhsa_next_free_vgpr 1
		.amdhsa_next_free_sgpr 0
		.amdhsa_accum_offset 4
		.amdhsa_reserve_vcc 0
		.amdhsa_reserve_flat_scratch 0
		.amdhsa_float_round_mode_32 0
		.amdhsa_float_round_mode_16_64 0
		.amdhsa_float_denorm_mode_32 3
		.amdhsa_float_denorm_mode_16_64 3
		.amdhsa_dx10_clamp 1
		.amdhsa_ieee_mode 1
		.amdhsa_fp16_overflow 0
		.amdhsa_tg_split 0
		.amdhsa_exception_fp_ieee_invalid_op 0
		.amdhsa_exception_fp_denorm_src 0
		.amdhsa_exception_fp_ieee_div_zero 0
		.amdhsa_exception_fp_ieee_overflow 0
		.amdhsa_exception_fp_ieee_underflow 0
		.amdhsa_exception_fp_ieee_inexact 0
		.amdhsa_exception_int_div_zero 0
	.end_amdhsa_kernel
	.section	.text._ZN7rocprim17ROCPRIM_400000_NS6detail17trampoline_kernelINS0_14default_configENS1_38merge_sort_block_merge_config_selectorIhlEEZZNS1_27merge_sort_block_merge_implIS3_PhN6thrust23THRUST_200600_302600_NS10device_ptrIlEEjNS1_19radix_merge_compareILb0ELb1EhNS0_19identity_decomposerEEEEE10hipError_tT0_T1_T2_jT3_P12ihipStream_tbPNSt15iterator_traitsISG_E10value_typeEPNSM_ISH_E10value_typeEPSI_NS1_7vsmem_tEENKUlT_SG_SH_SI_E_clIS7_S7_SB_PlEESF_SV_SG_SH_SI_EUlSV_E1_NS1_11comp_targetILNS1_3genE0ELNS1_11target_archE4294967295ELNS1_3gpuE0ELNS1_3repE0EEENS1_36merge_oddeven_config_static_selectorELNS0_4arch9wavefront6targetE1EEEvSH_,"axG",@progbits,_ZN7rocprim17ROCPRIM_400000_NS6detail17trampoline_kernelINS0_14default_configENS1_38merge_sort_block_merge_config_selectorIhlEEZZNS1_27merge_sort_block_merge_implIS3_PhN6thrust23THRUST_200600_302600_NS10device_ptrIlEEjNS1_19radix_merge_compareILb0ELb1EhNS0_19identity_decomposerEEEEE10hipError_tT0_T1_T2_jT3_P12ihipStream_tbPNSt15iterator_traitsISG_E10value_typeEPNSM_ISH_E10value_typeEPSI_NS1_7vsmem_tEENKUlT_SG_SH_SI_E_clIS7_S7_SB_PlEESF_SV_SG_SH_SI_EUlSV_E1_NS1_11comp_targetILNS1_3genE0ELNS1_11target_archE4294967295ELNS1_3gpuE0ELNS1_3repE0EEENS1_36merge_oddeven_config_static_selectorELNS0_4arch9wavefront6targetE1EEEvSH_,comdat
.Lfunc_end229:
	.size	_ZN7rocprim17ROCPRIM_400000_NS6detail17trampoline_kernelINS0_14default_configENS1_38merge_sort_block_merge_config_selectorIhlEEZZNS1_27merge_sort_block_merge_implIS3_PhN6thrust23THRUST_200600_302600_NS10device_ptrIlEEjNS1_19radix_merge_compareILb0ELb1EhNS0_19identity_decomposerEEEEE10hipError_tT0_T1_T2_jT3_P12ihipStream_tbPNSt15iterator_traitsISG_E10value_typeEPNSM_ISH_E10value_typeEPSI_NS1_7vsmem_tEENKUlT_SG_SH_SI_E_clIS7_S7_SB_PlEESF_SV_SG_SH_SI_EUlSV_E1_NS1_11comp_targetILNS1_3genE0ELNS1_11target_archE4294967295ELNS1_3gpuE0ELNS1_3repE0EEENS1_36merge_oddeven_config_static_selectorELNS0_4arch9wavefront6targetE1EEEvSH_, .Lfunc_end229-_ZN7rocprim17ROCPRIM_400000_NS6detail17trampoline_kernelINS0_14default_configENS1_38merge_sort_block_merge_config_selectorIhlEEZZNS1_27merge_sort_block_merge_implIS3_PhN6thrust23THRUST_200600_302600_NS10device_ptrIlEEjNS1_19radix_merge_compareILb0ELb1EhNS0_19identity_decomposerEEEEE10hipError_tT0_T1_T2_jT3_P12ihipStream_tbPNSt15iterator_traitsISG_E10value_typeEPNSM_ISH_E10value_typeEPSI_NS1_7vsmem_tEENKUlT_SG_SH_SI_E_clIS7_S7_SB_PlEESF_SV_SG_SH_SI_EUlSV_E1_NS1_11comp_targetILNS1_3genE0ELNS1_11target_archE4294967295ELNS1_3gpuE0ELNS1_3repE0EEENS1_36merge_oddeven_config_static_selectorELNS0_4arch9wavefront6targetE1EEEvSH_
                                        ; -- End function
	.section	.AMDGPU.csdata,"",@progbits
; Kernel info:
; codeLenInByte = 0
; NumSgprs: 4
; NumVgprs: 0
; NumAgprs: 0
; TotalNumVgprs: 0
; ScratchSize: 0
; MemoryBound: 0
; FloatMode: 240
; IeeeMode: 1
; LDSByteSize: 0 bytes/workgroup (compile time only)
; SGPRBlocks: 0
; VGPRBlocks: 0
; NumSGPRsForWavesPerEU: 4
; NumVGPRsForWavesPerEU: 1
; AccumOffset: 4
; Occupancy: 8
; WaveLimiterHint : 0
; COMPUTE_PGM_RSRC2:SCRATCH_EN: 0
; COMPUTE_PGM_RSRC2:USER_SGPR: 6
; COMPUTE_PGM_RSRC2:TRAP_HANDLER: 0
; COMPUTE_PGM_RSRC2:TGID_X_EN: 1
; COMPUTE_PGM_RSRC2:TGID_Y_EN: 0
; COMPUTE_PGM_RSRC2:TGID_Z_EN: 0
; COMPUTE_PGM_RSRC2:TIDIG_COMP_CNT: 0
; COMPUTE_PGM_RSRC3_GFX90A:ACCUM_OFFSET: 0
; COMPUTE_PGM_RSRC3_GFX90A:TG_SPLIT: 0
	.section	.text._ZN7rocprim17ROCPRIM_400000_NS6detail17trampoline_kernelINS0_14default_configENS1_38merge_sort_block_merge_config_selectorIhlEEZZNS1_27merge_sort_block_merge_implIS3_PhN6thrust23THRUST_200600_302600_NS10device_ptrIlEEjNS1_19radix_merge_compareILb0ELb1EhNS0_19identity_decomposerEEEEE10hipError_tT0_T1_T2_jT3_P12ihipStream_tbPNSt15iterator_traitsISG_E10value_typeEPNSM_ISH_E10value_typeEPSI_NS1_7vsmem_tEENKUlT_SG_SH_SI_E_clIS7_S7_SB_PlEESF_SV_SG_SH_SI_EUlSV_E1_NS1_11comp_targetILNS1_3genE10ELNS1_11target_archE1201ELNS1_3gpuE5ELNS1_3repE0EEENS1_36merge_oddeven_config_static_selectorELNS0_4arch9wavefront6targetE1EEEvSH_,"axG",@progbits,_ZN7rocprim17ROCPRIM_400000_NS6detail17trampoline_kernelINS0_14default_configENS1_38merge_sort_block_merge_config_selectorIhlEEZZNS1_27merge_sort_block_merge_implIS3_PhN6thrust23THRUST_200600_302600_NS10device_ptrIlEEjNS1_19radix_merge_compareILb0ELb1EhNS0_19identity_decomposerEEEEE10hipError_tT0_T1_T2_jT3_P12ihipStream_tbPNSt15iterator_traitsISG_E10value_typeEPNSM_ISH_E10value_typeEPSI_NS1_7vsmem_tEENKUlT_SG_SH_SI_E_clIS7_S7_SB_PlEESF_SV_SG_SH_SI_EUlSV_E1_NS1_11comp_targetILNS1_3genE10ELNS1_11target_archE1201ELNS1_3gpuE5ELNS1_3repE0EEENS1_36merge_oddeven_config_static_selectorELNS0_4arch9wavefront6targetE1EEEvSH_,comdat
	.protected	_ZN7rocprim17ROCPRIM_400000_NS6detail17trampoline_kernelINS0_14default_configENS1_38merge_sort_block_merge_config_selectorIhlEEZZNS1_27merge_sort_block_merge_implIS3_PhN6thrust23THRUST_200600_302600_NS10device_ptrIlEEjNS1_19radix_merge_compareILb0ELb1EhNS0_19identity_decomposerEEEEE10hipError_tT0_T1_T2_jT3_P12ihipStream_tbPNSt15iterator_traitsISG_E10value_typeEPNSM_ISH_E10value_typeEPSI_NS1_7vsmem_tEENKUlT_SG_SH_SI_E_clIS7_S7_SB_PlEESF_SV_SG_SH_SI_EUlSV_E1_NS1_11comp_targetILNS1_3genE10ELNS1_11target_archE1201ELNS1_3gpuE5ELNS1_3repE0EEENS1_36merge_oddeven_config_static_selectorELNS0_4arch9wavefront6targetE1EEEvSH_ ; -- Begin function _ZN7rocprim17ROCPRIM_400000_NS6detail17trampoline_kernelINS0_14default_configENS1_38merge_sort_block_merge_config_selectorIhlEEZZNS1_27merge_sort_block_merge_implIS3_PhN6thrust23THRUST_200600_302600_NS10device_ptrIlEEjNS1_19radix_merge_compareILb0ELb1EhNS0_19identity_decomposerEEEEE10hipError_tT0_T1_T2_jT3_P12ihipStream_tbPNSt15iterator_traitsISG_E10value_typeEPNSM_ISH_E10value_typeEPSI_NS1_7vsmem_tEENKUlT_SG_SH_SI_E_clIS7_S7_SB_PlEESF_SV_SG_SH_SI_EUlSV_E1_NS1_11comp_targetILNS1_3genE10ELNS1_11target_archE1201ELNS1_3gpuE5ELNS1_3repE0EEENS1_36merge_oddeven_config_static_selectorELNS0_4arch9wavefront6targetE1EEEvSH_
	.globl	_ZN7rocprim17ROCPRIM_400000_NS6detail17trampoline_kernelINS0_14default_configENS1_38merge_sort_block_merge_config_selectorIhlEEZZNS1_27merge_sort_block_merge_implIS3_PhN6thrust23THRUST_200600_302600_NS10device_ptrIlEEjNS1_19radix_merge_compareILb0ELb1EhNS0_19identity_decomposerEEEEE10hipError_tT0_T1_T2_jT3_P12ihipStream_tbPNSt15iterator_traitsISG_E10value_typeEPNSM_ISH_E10value_typeEPSI_NS1_7vsmem_tEENKUlT_SG_SH_SI_E_clIS7_S7_SB_PlEESF_SV_SG_SH_SI_EUlSV_E1_NS1_11comp_targetILNS1_3genE10ELNS1_11target_archE1201ELNS1_3gpuE5ELNS1_3repE0EEENS1_36merge_oddeven_config_static_selectorELNS0_4arch9wavefront6targetE1EEEvSH_
	.p2align	8
	.type	_ZN7rocprim17ROCPRIM_400000_NS6detail17trampoline_kernelINS0_14default_configENS1_38merge_sort_block_merge_config_selectorIhlEEZZNS1_27merge_sort_block_merge_implIS3_PhN6thrust23THRUST_200600_302600_NS10device_ptrIlEEjNS1_19radix_merge_compareILb0ELb1EhNS0_19identity_decomposerEEEEE10hipError_tT0_T1_T2_jT3_P12ihipStream_tbPNSt15iterator_traitsISG_E10value_typeEPNSM_ISH_E10value_typeEPSI_NS1_7vsmem_tEENKUlT_SG_SH_SI_E_clIS7_S7_SB_PlEESF_SV_SG_SH_SI_EUlSV_E1_NS1_11comp_targetILNS1_3genE10ELNS1_11target_archE1201ELNS1_3gpuE5ELNS1_3repE0EEENS1_36merge_oddeven_config_static_selectorELNS0_4arch9wavefront6targetE1EEEvSH_,@function
_ZN7rocprim17ROCPRIM_400000_NS6detail17trampoline_kernelINS0_14default_configENS1_38merge_sort_block_merge_config_selectorIhlEEZZNS1_27merge_sort_block_merge_implIS3_PhN6thrust23THRUST_200600_302600_NS10device_ptrIlEEjNS1_19radix_merge_compareILb0ELb1EhNS0_19identity_decomposerEEEEE10hipError_tT0_T1_T2_jT3_P12ihipStream_tbPNSt15iterator_traitsISG_E10value_typeEPNSM_ISH_E10value_typeEPSI_NS1_7vsmem_tEENKUlT_SG_SH_SI_E_clIS7_S7_SB_PlEESF_SV_SG_SH_SI_EUlSV_E1_NS1_11comp_targetILNS1_3genE10ELNS1_11target_archE1201ELNS1_3gpuE5ELNS1_3repE0EEENS1_36merge_oddeven_config_static_selectorELNS0_4arch9wavefront6targetE1EEEvSH_: ; @_ZN7rocprim17ROCPRIM_400000_NS6detail17trampoline_kernelINS0_14default_configENS1_38merge_sort_block_merge_config_selectorIhlEEZZNS1_27merge_sort_block_merge_implIS3_PhN6thrust23THRUST_200600_302600_NS10device_ptrIlEEjNS1_19radix_merge_compareILb0ELb1EhNS0_19identity_decomposerEEEEE10hipError_tT0_T1_T2_jT3_P12ihipStream_tbPNSt15iterator_traitsISG_E10value_typeEPNSM_ISH_E10value_typeEPSI_NS1_7vsmem_tEENKUlT_SG_SH_SI_E_clIS7_S7_SB_PlEESF_SV_SG_SH_SI_EUlSV_E1_NS1_11comp_targetILNS1_3genE10ELNS1_11target_archE1201ELNS1_3gpuE5ELNS1_3repE0EEENS1_36merge_oddeven_config_static_selectorELNS0_4arch9wavefront6targetE1EEEvSH_
; %bb.0:
	.section	.rodata,"a",@progbits
	.p2align	6, 0x0
	.amdhsa_kernel _ZN7rocprim17ROCPRIM_400000_NS6detail17trampoline_kernelINS0_14default_configENS1_38merge_sort_block_merge_config_selectorIhlEEZZNS1_27merge_sort_block_merge_implIS3_PhN6thrust23THRUST_200600_302600_NS10device_ptrIlEEjNS1_19radix_merge_compareILb0ELb1EhNS0_19identity_decomposerEEEEE10hipError_tT0_T1_T2_jT3_P12ihipStream_tbPNSt15iterator_traitsISG_E10value_typeEPNSM_ISH_E10value_typeEPSI_NS1_7vsmem_tEENKUlT_SG_SH_SI_E_clIS7_S7_SB_PlEESF_SV_SG_SH_SI_EUlSV_E1_NS1_11comp_targetILNS1_3genE10ELNS1_11target_archE1201ELNS1_3gpuE5ELNS1_3repE0EEENS1_36merge_oddeven_config_static_selectorELNS0_4arch9wavefront6targetE1EEEvSH_
		.amdhsa_group_segment_fixed_size 0
		.amdhsa_private_segment_fixed_size 0
		.amdhsa_kernarg_size 48
		.amdhsa_user_sgpr_count 6
		.amdhsa_user_sgpr_private_segment_buffer 1
		.amdhsa_user_sgpr_dispatch_ptr 0
		.amdhsa_user_sgpr_queue_ptr 0
		.amdhsa_user_sgpr_kernarg_segment_ptr 1
		.amdhsa_user_sgpr_dispatch_id 0
		.amdhsa_user_sgpr_flat_scratch_init 0
		.amdhsa_user_sgpr_kernarg_preload_length 0
		.amdhsa_user_sgpr_kernarg_preload_offset 0
		.amdhsa_user_sgpr_private_segment_size 0
		.amdhsa_uses_dynamic_stack 0
		.amdhsa_system_sgpr_private_segment_wavefront_offset 0
		.amdhsa_system_sgpr_workgroup_id_x 1
		.amdhsa_system_sgpr_workgroup_id_y 0
		.amdhsa_system_sgpr_workgroup_id_z 0
		.amdhsa_system_sgpr_workgroup_info 0
		.amdhsa_system_vgpr_workitem_id 0
		.amdhsa_next_free_vgpr 1
		.amdhsa_next_free_sgpr 0
		.amdhsa_accum_offset 4
		.amdhsa_reserve_vcc 0
		.amdhsa_reserve_flat_scratch 0
		.amdhsa_float_round_mode_32 0
		.amdhsa_float_round_mode_16_64 0
		.amdhsa_float_denorm_mode_32 3
		.amdhsa_float_denorm_mode_16_64 3
		.amdhsa_dx10_clamp 1
		.amdhsa_ieee_mode 1
		.amdhsa_fp16_overflow 0
		.amdhsa_tg_split 0
		.amdhsa_exception_fp_ieee_invalid_op 0
		.amdhsa_exception_fp_denorm_src 0
		.amdhsa_exception_fp_ieee_div_zero 0
		.amdhsa_exception_fp_ieee_overflow 0
		.amdhsa_exception_fp_ieee_underflow 0
		.amdhsa_exception_fp_ieee_inexact 0
		.amdhsa_exception_int_div_zero 0
	.end_amdhsa_kernel
	.section	.text._ZN7rocprim17ROCPRIM_400000_NS6detail17trampoline_kernelINS0_14default_configENS1_38merge_sort_block_merge_config_selectorIhlEEZZNS1_27merge_sort_block_merge_implIS3_PhN6thrust23THRUST_200600_302600_NS10device_ptrIlEEjNS1_19radix_merge_compareILb0ELb1EhNS0_19identity_decomposerEEEEE10hipError_tT0_T1_T2_jT3_P12ihipStream_tbPNSt15iterator_traitsISG_E10value_typeEPNSM_ISH_E10value_typeEPSI_NS1_7vsmem_tEENKUlT_SG_SH_SI_E_clIS7_S7_SB_PlEESF_SV_SG_SH_SI_EUlSV_E1_NS1_11comp_targetILNS1_3genE10ELNS1_11target_archE1201ELNS1_3gpuE5ELNS1_3repE0EEENS1_36merge_oddeven_config_static_selectorELNS0_4arch9wavefront6targetE1EEEvSH_,"axG",@progbits,_ZN7rocprim17ROCPRIM_400000_NS6detail17trampoline_kernelINS0_14default_configENS1_38merge_sort_block_merge_config_selectorIhlEEZZNS1_27merge_sort_block_merge_implIS3_PhN6thrust23THRUST_200600_302600_NS10device_ptrIlEEjNS1_19radix_merge_compareILb0ELb1EhNS0_19identity_decomposerEEEEE10hipError_tT0_T1_T2_jT3_P12ihipStream_tbPNSt15iterator_traitsISG_E10value_typeEPNSM_ISH_E10value_typeEPSI_NS1_7vsmem_tEENKUlT_SG_SH_SI_E_clIS7_S7_SB_PlEESF_SV_SG_SH_SI_EUlSV_E1_NS1_11comp_targetILNS1_3genE10ELNS1_11target_archE1201ELNS1_3gpuE5ELNS1_3repE0EEENS1_36merge_oddeven_config_static_selectorELNS0_4arch9wavefront6targetE1EEEvSH_,comdat
.Lfunc_end230:
	.size	_ZN7rocprim17ROCPRIM_400000_NS6detail17trampoline_kernelINS0_14default_configENS1_38merge_sort_block_merge_config_selectorIhlEEZZNS1_27merge_sort_block_merge_implIS3_PhN6thrust23THRUST_200600_302600_NS10device_ptrIlEEjNS1_19radix_merge_compareILb0ELb1EhNS0_19identity_decomposerEEEEE10hipError_tT0_T1_T2_jT3_P12ihipStream_tbPNSt15iterator_traitsISG_E10value_typeEPNSM_ISH_E10value_typeEPSI_NS1_7vsmem_tEENKUlT_SG_SH_SI_E_clIS7_S7_SB_PlEESF_SV_SG_SH_SI_EUlSV_E1_NS1_11comp_targetILNS1_3genE10ELNS1_11target_archE1201ELNS1_3gpuE5ELNS1_3repE0EEENS1_36merge_oddeven_config_static_selectorELNS0_4arch9wavefront6targetE1EEEvSH_, .Lfunc_end230-_ZN7rocprim17ROCPRIM_400000_NS6detail17trampoline_kernelINS0_14default_configENS1_38merge_sort_block_merge_config_selectorIhlEEZZNS1_27merge_sort_block_merge_implIS3_PhN6thrust23THRUST_200600_302600_NS10device_ptrIlEEjNS1_19radix_merge_compareILb0ELb1EhNS0_19identity_decomposerEEEEE10hipError_tT0_T1_T2_jT3_P12ihipStream_tbPNSt15iterator_traitsISG_E10value_typeEPNSM_ISH_E10value_typeEPSI_NS1_7vsmem_tEENKUlT_SG_SH_SI_E_clIS7_S7_SB_PlEESF_SV_SG_SH_SI_EUlSV_E1_NS1_11comp_targetILNS1_3genE10ELNS1_11target_archE1201ELNS1_3gpuE5ELNS1_3repE0EEENS1_36merge_oddeven_config_static_selectorELNS0_4arch9wavefront6targetE1EEEvSH_
                                        ; -- End function
	.section	.AMDGPU.csdata,"",@progbits
; Kernel info:
; codeLenInByte = 0
; NumSgprs: 4
; NumVgprs: 0
; NumAgprs: 0
; TotalNumVgprs: 0
; ScratchSize: 0
; MemoryBound: 0
; FloatMode: 240
; IeeeMode: 1
; LDSByteSize: 0 bytes/workgroup (compile time only)
; SGPRBlocks: 0
; VGPRBlocks: 0
; NumSGPRsForWavesPerEU: 4
; NumVGPRsForWavesPerEU: 1
; AccumOffset: 4
; Occupancy: 8
; WaveLimiterHint : 0
; COMPUTE_PGM_RSRC2:SCRATCH_EN: 0
; COMPUTE_PGM_RSRC2:USER_SGPR: 6
; COMPUTE_PGM_RSRC2:TRAP_HANDLER: 0
; COMPUTE_PGM_RSRC2:TGID_X_EN: 1
; COMPUTE_PGM_RSRC2:TGID_Y_EN: 0
; COMPUTE_PGM_RSRC2:TGID_Z_EN: 0
; COMPUTE_PGM_RSRC2:TIDIG_COMP_CNT: 0
; COMPUTE_PGM_RSRC3_GFX90A:ACCUM_OFFSET: 0
; COMPUTE_PGM_RSRC3_GFX90A:TG_SPLIT: 0
	.section	.text._ZN7rocprim17ROCPRIM_400000_NS6detail17trampoline_kernelINS0_14default_configENS1_38merge_sort_block_merge_config_selectorIhlEEZZNS1_27merge_sort_block_merge_implIS3_PhN6thrust23THRUST_200600_302600_NS10device_ptrIlEEjNS1_19radix_merge_compareILb0ELb1EhNS0_19identity_decomposerEEEEE10hipError_tT0_T1_T2_jT3_P12ihipStream_tbPNSt15iterator_traitsISG_E10value_typeEPNSM_ISH_E10value_typeEPSI_NS1_7vsmem_tEENKUlT_SG_SH_SI_E_clIS7_S7_SB_PlEESF_SV_SG_SH_SI_EUlSV_E1_NS1_11comp_targetILNS1_3genE5ELNS1_11target_archE942ELNS1_3gpuE9ELNS1_3repE0EEENS1_36merge_oddeven_config_static_selectorELNS0_4arch9wavefront6targetE1EEEvSH_,"axG",@progbits,_ZN7rocprim17ROCPRIM_400000_NS6detail17trampoline_kernelINS0_14default_configENS1_38merge_sort_block_merge_config_selectorIhlEEZZNS1_27merge_sort_block_merge_implIS3_PhN6thrust23THRUST_200600_302600_NS10device_ptrIlEEjNS1_19radix_merge_compareILb0ELb1EhNS0_19identity_decomposerEEEEE10hipError_tT0_T1_T2_jT3_P12ihipStream_tbPNSt15iterator_traitsISG_E10value_typeEPNSM_ISH_E10value_typeEPSI_NS1_7vsmem_tEENKUlT_SG_SH_SI_E_clIS7_S7_SB_PlEESF_SV_SG_SH_SI_EUlSV_E1_NS1_11comp_targetILNS1_3genE5ELNS1_11target_archE942ELNS1_3gpuE9ELNS1_3repE0EEENS1_36merge_oddeven_config_static_selectorELNS0_4arch9wavefront6targetE1EEEvSH_,comdat
	.protected	_ZN7rocprim17ROCPRIM_400000_NS6detail17trampoline_kernelINS0_14default_configENS1_38merge_sort_block_merge_config_selectorIhlEEZZNS1_27merge_sort_block_merge_implIS3_PhN6thrust23THRUST_200600_302600_NS10device_ptrIlEEjNS1_19radix_merge_compareILb0ELb1EhNS0_19identity_decomposerEEEEE10hipError_tT0_T1_T2_jT3_P12ihipStream_tbPNSt15iterator_traitsISG_E10value_typeEPNSM_ISH_E10value_typeEPSI_NS1_7vsmem_tEENKUlT_SG_SH_SI_E_clIS7_S7_SB_PlEESF_SV_SG_SH_SI_EUlSV_E1_NS1_11comp_targetILNS1_3genE5ELNS1_11target_archE942ELNS1_3gpuE9ELNS1_3repE0EEENS1_36merge_oddeven_config_static_selectorELNS0_4arch9wavefront6targetE1EEEvSH_ ; -- Begin function _ZN7rocprim17ROCPRIM_400000_NS6detail17trampoline_kernelINS0_14default_configENS1_38merge_sort_block_merge_config_selectorIhlEEZZNS1_27merge_sort_block_merge_implIS3_PhN6thrust23THRUST_200600_302600_NS10device_ptrIlEEjNS1_19radix_merge_compareILb0ELb1EhNS0_19identity_decomposerEEEEE10hipError_tT0_T1_T2_jT3_P12ihipStream_tbPNSt15iterator_traitsISG_E10value_typeEPNSM_ISH_E10value_typeEPSI_NS1_7vsmem_tEENKUlT_SG_SH_SI_E_clIS7_S7_SB_PlEESF_SV_SG_SH_SI_EUlSV_E1_NS1_11comp_targetILNS1_3genE5ELNS1_11target_archE942ELNS1_3gpuE9ELNS1_3repE0EEENS1_36merge_oddeven_config_static_selectorELNS0_4arch9wavefront6targetE1EEEvSH_
	.globl	_ZN7rocprim17ROCPRIM_400000_NS6detail17trampoline_kernelINS0_14default_configENS1_38merge_sort_block_merge_config_selectorIhlEEZZNS1_27merge_sort_block_merge_implIS3_PhN6thrust23THRUST_200600_302600_NS10device_ptrIlEEjNS1_19radix_merge_compareILb0ELb1EhNS0_19identity_decomposerEEEEE10hipError_tT0_T1_T2_jT3_P12ihipStream_tbPNSt15iterator_traitsISG_E10value_typeEPNSM_ISH_E10value_typeEPSI_NS1_7vsmem_tEENKUlT_SG_SH_SI_E_clIS7_S7_SB_PlEESF_SV_SG_SH_SI_EUlSV_E1_NS1_11comp_targetILNS1_3genE5ELNS1_11target_archE942ELNS1_3gpuE9ELNS1_3repE0EEENS1_36merge_oddeven_config_static_selectorELNS0_4arch9wavefront6targetE1EEEvSH_
	.p2align	8
	.type	_ZN7rocprim17ROCPRIM_400000_NS6detail17trampoline_kernelINS0_14default_configENS1_38merge_sort_block_merge_config_selectorIhlEEZZNS1_27merge_sort_block_merge_implIS3_PhN6thrust23THRUST_200600_302600_NS10device_ptrIlEEjNS1_19radix_merge_compareILb0ELb1EhNS0_19identity_decomposerEEEEE10hipError_tT0_T1_T2_jT3_P12ihipStream_tbPNSt15iterator_traitsISG_E10value_typeEPNSM_ISH_E10value_typeEPSI_NS1_7vsmem_tEENKUlT_SG_SH_SI_E_clIS7_S7_SB_PlEESF_SV_SG_SH_SI_EUlSV_E1_NS1_11comp_targetILNS1_3genE5ELNS1_11target_archE942ELNS1_3gpuE9ELNS1_3repE0EEENS1_36merge_oddeven_config_static_selectorELNS0_4arch9wavefront6targetE1EEEvSH_,@function
_ZN7rocprim17ROCPRIM_400000_NS6detail17trampoline_kernelINS0_14default_configENS1_38merge_sort_block_merge_config_selectorIhlEEZZNS1_27merge_sort_block_merge_implIS3_PhN6thrust23THRUST_200600_302600_NS10device_ptrIlEEjNS1_19radix_merge_compareILb0ELb1EhNS0_19identity_decomposerEEEEE10hipError_tT0_T1_T2_jT3_P12ihipStream_tbPNSt15iterator_traitsISG_E10value_typeEPNSM_ISH_E10value_typeEPSI_NS1_7vsmem_tEENKUlT_SG_SH_SI_E_clIS7_S7_SB_PlEESF_SV_SG_SH_SI_EUlSV_E1_NS1_11comp_targetILNS1_3genE5ELNS1_11target_archE942ELNS1_3gpuE9ELNS1_3repE0EEENS1_36merge_oddeven_config_static_selectorELNS0_4arch9wavefront6targetE1EEEvSH_: ; @_ZN7rocprim17ROCPRIM_400000_NS6detail17trampoline_kernelINS0_14default_configENS1_38merge_sort_block_merge_config_selectorIhlEEZZNS1_27merge_sort_block_merge_implIS3_PhN6thrust23THRUST_200600_302600_NS10device_ptrIlEEjNS1_19radix_merge_compareILb0ELb1EhNS0_19identity_decomposerEEEEE10hipError_tT0_T1_T2_jT3_P12ihipStream_tbPNSt15iterator_traitsISG_E10value_typeEPNSM_ISH_E10value_typeEPSI_NS1_7vsmem_tEENKUlT_SG_SH_SI_E_clIS7_S7_SB_PlEESF_SV_SG_SH_SI_EUlSV_E1_NS1_11comp_targetILNS1_3genE5ELNS1_11target_archE942ELNS1_3gpuE9ELNS1_3repE0EEENS1_36merge_oddeven_config_static_selectorELNS0_4arch9wavefront6targetE1EEEvSH_
; %bb.0:
	.section	.rodata,"a",@progbits
	.p2align	6, 0x0
	.amdhsa_kernel _ZN7rocprim17ROCPRIM_400000_NS6detail17trampoline_kernelINS0_14default_configENS1_38merge_sort_block_merge_config_selectorIhlEEZZNS1_27merge_sort_block_merge_implIS3_PhN6thrust23THRUST_200600_302600_NS10device_ptrIlEEjNS1_19radix_merge_compareILb0ELb1EhNS0_19identity_decomposerEEEEE10hipError_tT0_T1_T2_jT3_P12ihipStream_tbPNSt15iterator_traitsISG_E10value_typeEPNSM_ISH_E10value_typeEPSI_NS1_7vsmem_tEENKUlT_SG_SH_SI_E_clIS7_S7_SB_PlEESF_SV_SG_SH_SI_EUlSV_E1_NS1_11comp_targetILNS1_3genE5ELNS1_11target_archE942ELNS1_3gpuE9ELNS1_3repE0EEENS1_36merge_oddeven_config_static_selectorELNS0_4arch9wavefront6targetE1EEEvSH_
		.amdhsa_group_segment_fixed_size 0
		.amdhsa_private_segment_fixed_size 0
		.amdhsa_kernarg_size 48
		.amdhsa_user_sgpr_count 6
		.amdhsa_user_sgpr_private_segment_buffer 1
		.amdhsa_user_sgpr_dispatch_ptr 0
		.amdhsa_user_sgpr_queue_ptr 0
		.amdhsa_user_sgpr_kernarg_segment_ptr 1
		.amdhsa_user_sgpr_dispatch_id 0
		.amdhsa_user_sgpr_flat_scratch_init 0
		.amdhsa_user_sgpr_kernarg_preload_length 0
		.amdhsa_user_sgpr_kernarg_preload_offset 0
		.amdhsa_user_sgpr_private_segment_size 0
		.amdhsa_uses_dynamic_stack 0
		.amdhsa_system_sgpr_private_segment_wavefront_offset 0
		.amdhsa_system_sgpr_workgroup_id_x 1
		.amdhsa_system_sgpr_workgroup_id_y 0
		.amdhsa_system_sgpr_workgroup_id_z 0
		.amdhsa_system_sgpr_workgroup_info 0
		.amdhsa_system_vgpr_workitem_id 0
		.amdhsa_next_free_vgpr 1
		.amdhsa_next_free_sgpr 0
		.amdhsa_accum_offset 4
		.amdhsa_reserve_vcc 0
		.amdhsa_reserve_flat_scratch 0
		.amdhsa_float_round_mode_32 0
		.amdhsa_float_round_mode_16_64 0
		.amdhsa_float_denorm_mode_32 3
		.amdhsa_float_denorm_mode_16_64 3
		.amdhsa_dx10_clamp 1
		.amdhsa_ieee_mode 1
		.amdhsa_fp16_overflow 0
		.amdhsa_tg_split 0
		.amdhsa_exception_fp_ieee_invalid_op 0
		.amdhsa_exception_fp_denorm_src 0
		.amdhsa_exception_fp_ieee_div_zero 0
		.amdhsa_exception_fp_ieee_overflow 0
		.amdhsa_exception_fp_ieee_underflow 0
		.amdhsa_exception_fp_ieee_inexact 0
		.amdhsa_exception_int_div_zero 0
	.end_amdhsa_kernel
	.section	.text._ZN7rocprim17ROCPRIM_400000_NS6detail17trampoline_kernelINS0_14default_configENS1_38merge_sort_block_merge_config_selectorIhlEEZZNS1_27merge_sort_block_merge_implIS3_PhN6thrust23THRUST_200600_302600_NS10device_ptrIlEEjNS1_19radix_merge_compareILb0ELb1EhNS0_19identity_decomposerEEEEE10hipError_tT0_T1_T2_jT3_P12ihipStream_tbPNSt15iterator_traitsISG_E10value_typeEPNSM_ISH_E10value_typeEPSI_NS1_7vsmem_tEENKUlT_SG_SH_SI_E_clIS7_S7_SB_PlEESF_SV_SG_SH_SI_EUlSV_E1_NS1_11comp_targetILNS1_3genE5ELNS1_11target_archE942ELNS1_3gpuE9ELNS1_3repE0EEENS1_36merge_oddeven_config_static_selectorELNS0_4arch9wavefront6targetE1EEEvSH_,"axG",@progbits,_ZN7rocprim17ROCPRIM_400000_NS6detail17trampoline_kernelINS0_14default_configENS1_38merge_sort_block_merge_config_selectorIhlEEZZNS1_27merge_sort_block_merge_implIS3_PhN6thrust23THRUST_200600_302600_NS10device_ptrIlEEjNS1_19radix_merge_compareILb0ELb1EhNS0_19identity_decomposerEEEEE10hipError_tT0_T1_T2_jT3_P12ihipStream_tbPNSt15iterator_traitsISG_E10value_typeEPNSM_ISH_E10value_typeEPSI_NS1_7vsmem_tEENKUlT_SG_SH_SI_E_clIS7_S7_SB_PlEESF_SV_SG_SH_SI_EUlSV_E1_NS1_11comp_targetILNS1_3genE5ELNS1_11target_archE942ELNS1_3gpuE9ELNS1_3repE0EEENS1_36merge_oddeven_config_static_selectorELNS0_4arch9wavefront6targetE1EEEvSH_,comdat
.Lfunc_end231:
	.size	_ZN7rocprim17ROCPRIM_400000_NS6detail17trampoline_kernelINS0_14default_configENS1_38merge_sort_block_merge_config_selectorIhlEEZZNS1_27merge_sort_block_merge_implIS3_PhN6thrust23THRUST_200600_302600_NS10device_ptrIlEEjNS1_19radix_merge_compareILb0ELb1EhNS0_19identity_decomposerEEEEE10hipError_tT0_T1_T2_jT3_P12ihipStream_tbPNSt15iterator_traitsISG_E10value_typeEPNSM_ISH_E10value_typeEPSI_NS1_7vsmem_tEENKUlT_SG_SH_SI_E_clIS7_S7_SB_PlEESF_SV_SG_SH_SI_EUlSV_E1_NS1_11comp_targetILNS1_3genE5ELNS1_11target_archE942ELNS1_3gpuE9ELNS1_3repE0EEENS1_36merge_oddeven_config_static_selectorELNS0_4arch9wavefront6targetE1EEEvSH_, .Lfunc_end231-_ZN7rocprim17ROCPRIM_400000_NS6detail17trampoline_kernelINS0_14default_configENS1_38merge_sort_block_merge_config_selectorIhlEEZZNS1_27merge_sort_block_merge_implIS3_PhN6thrust23THRUST_200600_302600_NS10device_ptrIlEEjNS1_19radix_merge_compareILb0ELb1EhNS0_19identity_decomposerEEEEE10hipError_tT0_T1_T2_jT3_P12ihipStream_tbPNSt15iterator_traitsISG_E10value_typeEPNSM_ISH_E10value_typeEPSI_NS1_7vsmem_tEENKUlT_SG_SH_SI_E_clIS7_S7_SB_PlEESF_SV_SG_SH_SI_EUlSV_E1_NS1_11comp_targetILNS1_3genE5ELNS1_11target_archE942ELNS1_3gpuE9ELNS1_3repE0EEENS1_36merge_oddeven_config_static_selectorELNS0_4arch9wavefront6targetE1EEEvSH_
                                        ; -- End function
	.section	.AMDGPU.csdata,"",@progbits
; Kernel info:
; codeLenInByte = 0
; NumSgprs: 4
; NumVgprs: 0
; NumAgprs: 0
; TotalNumVgprs: 0
; ScratchSize: 0
; MemoryBound: 0
; FloatMode: 240
; IeeeMode: 1
; LDSByteSize: 0 bytes/workgroup (compile time only)
; SGPRBlocks: 0
; VGPRBlocks: 0
; NumSGPRsForWavesPerEU: 4
; NumVGPRsForWavesPerEU: 1
; AccumOffset: 4
; Occupancy: 8
; WaveLimiterHint : 0
; COMPUTE_PGM_RSRC2:SCRATCH_EN: 0
; COMPUTE_PGM_RSRC2:USER_SGPR: 6
; COMPUTE_PGM_RSRC2:TRAP_HANDLER: 0
; COMPUTE_PGM_RSRC2:TGID_X_EN: 1
; COMPUTE_PGM_RSRC2:TGID_Y_EN: 0
; COMPUTE_PGM_RSRC2:TGID_Z_EN: 0
; COMPUTE_PGM_RSRC2:TIDIG_COMP_CNT: 0
; COMPUTE_PGM_RSRC3_GFX90A:ACCUM_OFFSET: 0
; COMPUTE_PGM_RSRC3_GFX90A:TG_SPLIT: 0
	.section	.text._ZN7rocprim17ROCPRIM_400000_NS6detail17trampoline_kernelINS0_14default_configENS1_38merge_sort_block_merge_config_selectorIhlEEZZNS1_27merge_sort_block_merge_implIS3_PhN6thrust23THRUST_200600_302600_NS10device_ptrIlEEjNS1_19radix_merge_compareILb0ELb1EhNS0_19identity_decomposerEEEEE10hipError_tT0_T1_T2_jT3_P12ihipStream_tbPNSt15iterator_traitsISG_E10value_typeEPNSM_ISH_E10value_typeEPSI_NS1_7vsmem_tEENKUlT_SG_SH_SI_E_clIS7_S7_SB_PlEESF_SV_SG_SH_SI_EUlSV_E1_NS1_11comp_targetILNS1_3genE4ELNS1_11target_archE910ELNS1_3gpuE8ELNS1_3repE0EEENS1_36merge_oddeven_config_static_selectorELNS0_4arch9wavefront6targetE1EEEvSH_,"axG",@progbits,_ZN7rocprim17ROCPRIM_400000_NS6detail17trampoline_kernelINS0_14default_configENS1_38merge_sort_block_merge_config_selectorIhlEEZZNS1_27merge_sort_block_merge_implIS3_PhN6thrust23THRUST_200600_302600_NS10device_ptrIlEEjNS1_19radix_merge_compareILb0ELb1EhNS0_19identity_decomposerEEEEE10hipError_tT0_T1_T2_jT3_P12ihipStream_tbPNSt15iterator_traitsISG_E10value_typeEPNSM_ISH_E10value_typeEPSI_NS1_7vsmem_tEENKUlT_SG_SH_SI_E_clIS7_S7_SB_PlEESF_SV_SG_SH_SI_EUlSV_E1_NS1_11comp_targetILNS1_3genE4ELNS1_11target_archE910ELNS1_3gpuE8ELNS1_3repE0EEENS1_36merge_oddeven_config_static_selectorELNS0_4arch9wavefront6targetE1EEEvSH_,comdat
	.protected	_ZN7rocprim17ROCPRIM_400000_NS6detail17trampoline_kernelINS0_14default_configENS1_38merge_sort_block_merge_config_selectorIhlEEZZNS1_27merge_sort_block_merge_implIS3_PhN6thrust23THRUST_200600_302600_NS10device_ptrIlEEjNS1_19radix_merge_compareILb0ELb1EhNS0_19identity_decomposerEEEEE10hipError_tT0_T1_T2_jT3_P12ihipStream_tbPNSt15iterator_traitsISG_E10value_typeEPNSM_ISH_E10value_typeEPSI_NS1_7vsmem_tEENKUlT_SG_SH_SI_E_clIS7_S7_SB_PlEESF_SV_SG_SH_SI_EUlSV_E1_NS1_11comp_targetILNS1_3genE4ELNS1_11target_archE910ELNS1_3gpuE8ELNS1_3repE0EEENS1_36merge_oddeven_config_static_selectorELNS0_4arch9wavefront6targetE1EEEvSH_ ; -- Begin function _ZN7rocprim17ROCPRIM_400000_NS6detail17trampoline_kernelINS0_14default_configENS1_38merge_sort_block_merge_config_selectorIhlEEZZNS1_27merge_sort_block_merge_implIS3_PhN6thrust23THRUST_200600_302600_NS10device_ptrIlEEjNS1_19radix_merge_compareILb0ELb1EhNS0_19identity_decomposerEEEEE10hipError_tT0_T1_T2_jT3_P12ihipStream_tbPNSt15iterator_traitsISG_E10value_typeEPNSM_ISH_E10value_typeEPSI_NS1_7vsmem_tEENKUlT_SG_SH_SI_E_clIS7_S7_SB_PlEESF_SV_SG_SH_SI_EUlSV_E1_NS1_11comp_targetILNS1_3genE4ELNS1_11target_archE910ELNS1_3gpuE8ELNS1_3repE0EEENS1_36merge_oddeven_config_static_selectorELNS0_4arch9wavefront6targetE1EEEvSH_
	.globl	_ZN7rocprim17ROCPRIM_400000_NS6detail17trampoline_kernelINS0_14default_configENS1_38merge_sort_block_merge_config_selectorIhlEEZZNS1_27merge_sort_block_merge_implIS3_PhN6thrust23THRUST_200600_302600_NS10device_ptrIlEEjNS1_19radix_merge_compareILb0ELb1EhNS0_19identity_decomposerEEEEE10hipError_tT0_T1_T2_jT3_P12ihipStream_tbPNSt15iterator_traitsISG_E10value_typeEPNSM_ISH_E10value_typeEPSI_NS1_7vsmem_tEENKUlT_SG_SH_SI_E_clIS7_S7_SB_PlEESF_SV_SG_SH_SI_EUlSV_E1_NS1_11comp_targetILNS1_3genE4ELNS1_11target_archE910ELNS1_3gpuE8ELNS1_3repE0EEENS1_36merge_oddeven_config_static_selectorELNS0_4arch9wavefront6targetE1EEEvSH_
	.p2align	8
	.type	_ZN7rocprim17ROCPRIM_400000_NS6detail17trampoline_kernelINS0_14default_configENS1_38merge_sort_block_merge_config_selectorIhlEEZZNS1_27merge_sort_block_merge_implIS3_PhN6thrust23THRUST_200600_302600_NS10device_ptrIlEEjNS1_19radix_merge_compareILb0ELb1EhNS0_19identity_decomposerEEEEE10hipError_tT0_T1_T2_jT3_P12ihipStream_tbPNSt15iterator_traitsISG_E10value_typeEPNSM_ISH_E10value_typeEPSI_NS1_7vsmem_tEENKUlT_SG_SH_SI_E_clIS7_S7_SB_PlEESF_SV_SG_SH_SI_EUlSV_E1_NS1_11comp_targetILNS1_3genE4ELNS1_11target_archE910ELNS1_3gpuE8ELNS1_3repE0EEENS1_36merge_oddeven_config_static_selectorELNS0_4arch9wavefront6targetE1EEEvSH_,@function
_ZN7rocprim17ROCPRIM_400000_NS6detail17trampoline_kernelINS0_14default_configENS1_38merge_sort_block_merge_config_selectorIhlEEZZNS1_27merge_sort_block_merge_implIS3_PhN6thrust23THRUST_200600_302600_NS10device_ptrIlEEjNS1_19radix_merge_compareILb0ELb1EhNS0_19identity_decomposerEEEEE10hipError_tT0_T1_T2_jT3_P12ihipStream_tbPNSt15iterator_traitsISG_E10value_typeEPNSM_ISH_E10value_typeEPSI_NS1_7vsmem_tEENKUlT_SG_SH_SI_E_clIS7_S7_SB_PlEESF_SV_SG_SH_SI_EUlSV_E1_NS1_11comp_targetILNS1_3genE4ELNS1_11target_archE910ELNS1_3gpuE8ELNS1_3repE0EEENS1_36merge_oddeven_config_static_selectorELNS0_4arch9wavefront6targetE1EEEvSH_: ; @_ZN7rocprim17ROCPRIM_400000_NS6detail17trampoline_kernelINS0_14default_configENS1_38merge_sort_block_merge_config_selectorIhlEEZZNS1_27merge_sort_block_merge_implIS3_PhN6thrust23THRUST_200600_302600_NS10device_ptrIlEEjNS1_19radix_merge_compareILb0ELb1EhNS0_19identity_decomposerEEEEE10hipError_tT0_T1_T2_jT3_P12ihipStream_tbPNSt15iterator_traitsISG_E10value_typeEPNSM_ISH_E10value_typeEPSI_NS1_7vsmem_tEENKUlT_SG_SH_SI_E_clIS7_S7_SB_PlEESF_SV_SG_SH_SI_EUlSV_E1_NS1_11comp_targetILNS1_3genE4ELNS1_11target_archE910ELNS1_3gpuE8ELNS1_3repE0EEENS1_36merge_oddeven_config_static_selectorELNS0_4arch9wavefront6targetE1EEEvSH_
; %bb.0:
	s_load_dword s21, s[4:5], 0x20
	s_waitcnt lgkmcnt(0)
	s_lshr_b32 s2, s21, 8
	s_cmp_lg_u32 s6, s2
	s_cselect_b64 s[0:1], -1, 0
	s_cmp_eq_u32 s6, s2
	s_cselect_b64 s[16:17], -1, 0
	s_lshl_b32 s18, s6, 8
	s_sub_i32 s2, s21, s18
	v_cmp_gt_u32_e64 s[2:3], s2, v0
	s_or_b64 s[0:1], s[0:1], s[2:3]
	s_and_saveexec_b64 s[8:9], s[0:1]
	s_cbranch_execz .LBB232_26
; %bb.1:
	s_load_dwordx8 s[8:15], s[4:5], 0x0
	s_mov_b32 s19, 0
	v_lshlrev_b32_e32 v1, 3, v0
	v_add_u32_e32 v4, s18, v0
	s_waitcnt lgkmcnt(0)
	s_add_u32 s0, s8, s18
	s_addc_u32 s1, s9, 0
	s_lshl_b64 s[22:23], s[18:19], 3
	s_add_u32 s12, s12, s22
	s_addc_u32 s13, s13, s23
	global_load_dwordx2 v[2:3], v1, s[12:13]
	global_load_ubyte v6, v0, s[0:1]
	s_load_dword s22, s[4:5], 0x24
	s_waitcnt lgkmcnt(0)
	s_lshr_b32 s0, s22, 8
	s_sub_i32 s1, 0, s0
	s_and_b32 s1, s6, s1
	s_and_b32 s0, s1, s0
	s_lshl_b32 s23, s1, 8
	s_sub_i32 s12, 0, s22
	s_cmp_eq_u32 s0, 0
	s_cselect_b64 s[0:1], -1, 0
	s_and_b64 s[6:7], s[0:1], exec
	s_cselect_b32 s20, s22, s12
	s_add_i32 s20, s20, s23
	s_cmp_lt_u32 s20, s21
	s_cbranch_scc1 .LBB232_6
; %bb.2:
	s_and_b64 vcc, exec, s[16:17]
	s_cbranch_vccz .LBB232_7
; %bb.3:
	v_cmp_gt_u32_e32 vcc, s21, v4
	s_mov_b64 s[12:13], 0
	s_mov_b64 s[6:7], 0
                                        ; implicit-def: $vgpr0_vgpr1
	s_and_saveexec_b64 s[18:19], vcc
	s_cbranch_execz .LBB232_5
; %bb.4:
	v_mov_b32_e32 v5, 0
	v_lshlrev_b64 v[0:1], 3, v[4:5]
	v_mov_b32_e32 v5, s15
	v_add_co_u32_e32 v0, vcc, s14, v0
	s_mov_b64 s[6:7], exec
	v_addc_co_u32_e32 v1, vcc, v5, v1, vcc
	s_waitcnt vmcnt(0)
	global_store_byte v4, v6, s[10:11]
.LBB232_5:
	s_or_b64 exec, exec, s[18:19]
	s_and_b64 vcc, exec, s[12:13]
	s_cbranch_vccnz .LBB232_8
	s_branch .LBB232_9
.LBB232_6:
	s_mov_b64 s[6:7], 0
                                        ; implicit-def: $vgpr0_vgpr1
	s_cbranch_execnz .LBB232_10
	s_branch .LBB232_24
.LBB232_7:
	s_mov_b64 s[6:7], 0
                                        ; implicit-def: $vgpr0_vgpr1
	s_cbranch_execz .LBB232_9
.LBB232_8:
	v_mov_b32_e32 v5, 0
	v_lshlrev_b64 v[0:1], 3, v[4:5]
	v_mov_b32_e32 v5, s15
	v_add_co_u32_e32 v0, vcc, s14, v0
	v_addc_co_u32_e32 v1, vcc, v5, v1, vcc
	s_or_b64 s[6:7], s[6:7], exec
	s_waitcnt vmcnt(0)
	global_store_byte v4, v6, s[10:11]
.LBB232_9:
	s_branch .LBB232_24
.LBB232_10:
	s_load_dword s12, s[4:5], 0x28
	s_min_u32 s13, s20, s21
	s_add_i32 s4, s13, s22
	s_min_u32 s18, s4, s21
	s_min_u32 s4, s23, s13
	s_add_i32 s23, s23, s13
	v_subrev_u32_e32 v0, s23, v4
	v_add_u32_e32 v4, s4, v0
	s_and_b64 vcc, exec, s[16:17]
	s_cbranch_vccz .LBB232_18
; %bb.11:
                                        ; implicit-def: $vgpr0_vgpr1
	s_and_saveexec_b64 s[4:5], s[2:3]
	s_cbranch_execz .LBB232_17
; %bb.12:
	s_cmp_ge_u32 s20, s18
	v_mov_b32_e32 v0, s13
	s_cbranch_scc1 .LBB232_16
; %bb.13:
	s_waitcnt vmcnt(0) lgkmcnt(0)
	v_and_b32_e32 v1, s12, v6
	s_mov_b64 s[2:3], 0
	v_mov_b32_e32 v5, s18
	v_mov_b32_e32 v0, s13
.LBB232_14:                             ; =>This Inner Loop Header: Depth=1
	v_add_u32_e32 v7, v0, v5
	v_lshrrev_b32_e32 v7, 1, v7
	global_load_ubyte v8, v7, s[8:9]
	v_add_u32_e32 v9, 1, v7
	s_waitcnt vmcnt(0)
	v_and_b32_sdwa v8, v8, s12 dst_sel:DWORD dst_unused:UNUSED_PAD src0_sel:DWORD src1_sel:BYTE_0
	v_cmp_gt_u16_sdwa s[16:17], v1, v8 src0_sel:BYTE_0 src1_sel:DWORD
	v_cndmask_b32_e64 v10, 0, 1, s[16:17]
	v_cmp_le_u16_sdwa s[16:17], v8, v1 src0_sel:DWORD src1_sel:BYTE_0
	v_cndmask_b32_e64 v8, 0, 1, s[16:17]
	v_cndmask_b32_e64 v8, v8, v10, s[0:1]
	v_and_b32_e32 v8, 1, v8
	v_cmp_eq_u32_e32 vcc, 1, v8
	v_cndmask_b32_e32 v5, v7, v5, vcc
	v_cndmask_b32_e32 v0, v0, v9, vcc
	v_cmp_ge_u32_e32 vcc, v0, v5
	s_or_b64 s[2:3], vcc, s[2:3]
	s_andn2_b64 exec, exec, s[2:3]
	s_cbranch_execnz .LBB232_14
; %bb.15:
	s_or_b64 exec, exec, s[2:3]
.LBB232_16:
	v_add_u32_e32 v0, v0, v4
	v_mov_b32_e32 v1, 0
	s_waitcnt vmcnt(0)
	global_store_byte v0, v6, s[10:11]
	v_lshlrev_b64 v[0:1], 3, v[0:1]
	v_mov_b32_e32 v5, s15
	v_add_co_u32_e32 v0, vcc, s14, v0
	v_addc_co_u32_e32 v1, vcc, v5, v1, vcc
	s_or_b64 s[6:7], s[6:7], exec
.LBB232_17:
	s_or_b64 exec, exec, s[4:5]
	s_branch .LBB232_24
.LBB232_18:
                                        ; implicit-def: $vgpr0_vgpr1
	s_cbranch_execz .LBB232_24
; %bb.19:
	s_cmp_ge_u32 s20, s18
	v_mov_b32_e32 v0, s13
	s_cbranch_scc1 .LBB232_23
; %bb.20:
	s_waitcnt vmcnt(0) lgkmcnt(0)
	v_and_b32_e32 v1, s12, v6
	s_mov_b64 s[2:3], 0
	v_mov_b32_e32 v5, s18
	v_mov_b32_e32 v0, s13
.LBB232_21:                             ; =>This Inner Loop Header: Depth=1
	v_add_u32_e32 v7, v0, v5
	v_lshrrev_b32_e32 v7, 1, v7
	global_load_ubyte v8, v7, s[8:9]
	v_add_u32_e32 v9, 1, v7
	s_waitcnt vmcnt(0)
	v_and_b32_sdwa v8, v8, s12 dst_sel:DWORD dst_unused:UNUSED_PAD src0_sel:DWORD src1_sel:BYTE_0
	v_cmp_gt_u16_sdwa s[4:5], v1, v8 src0_sel:BYTE_0 src1_sel:DWORD
	v_cndmask_b32_e64 v10, 0, 1, s[4:5]
	v_cmp_le_u16_sdwa s[4:5], v8, v1 src0_sel:DWORD src1_sel:BYTE_0
	v_cndmask_b32_e64 v8, 0, 1, s[4:5]
	v_cndmask_b32_e64 v8, v8, v10, s[0:1]
	v_and_b32_e32 v8, 1, v8
	v_cmp_eq_u32_e32 vcc, 1, v8
	v_cndmask_b32_e32 v5, v7, v5, vcc
	v_cndmask_b32_e32 v0, v0, v9, vcc
	v_cmp_ge_u32_e32 vcc, v0, v5
	s_or_b64 s[2:3], vcc, s[2:3]
	s_andn2_b64 exec, exec, s[2:3]
	s_cbranch_execnz .LBB232_21
; %bb.22:
	s_or_b64 exec, exec, s[2:3]
.LBB232_23:
	v_add_u32_e32 v0, v0, v4
	v_mov_b32_e32 v1, 0
	s_waitcnt vmcnt(0)
	global_store_byte v0, v6, s[10:11]
	v_lshlrev_b64 v[0:1], 3, v[0:1]
	v_mov_b32_e32 v4, s15
	v_add_co_u32_e32 v0, vcc, s14, v0
	v_addc_co_u32_e32 v1, vcc, v4, v1, vcc
	s_mov_b64 s[6:7], -1
.LBB232_24:
	s_and_b64 exec, exec, s[6:7]
	s_cbranch_execz .LBB232_26
; %bb.25:
	s_waitcnt vmcnt(1)
	global_store_dwordx2 v[0:1], v[2:3], off
.LBB232_26:
	s_endpgm
	.section	.rodata,"a",@progbits
	.p2align	6, 0x0
	.amdhsa_kernel _ZN7rocprim17ROCPRIM_400000_NS6detail17trampoline_kernelINS0_14default_configENS1_38merge_sort_block_merge_config_selectorIhlEEZZNS1_27merge_sort_block_merge_implIS3_PhN6thrust23THRUST_200600_302600_NS10device_ptrIlEEjNS1_19radix_merge_compareILb0ELb1EhNS0_19identity_decomposerEEEEE10hipError_tT0_T1_T2_jT3_P12ihipStream_tbPNSt15iterator_traitsISG_E10value_typeEPNSM_ISH_E10value_typeEPSI_NS1_7vsmem_tEENKUlT_SG_SH_SI_E_clIS7_S7_SB_PlEESF_SV_SG_SH_SI_EUlSV_E1_NS1_11comp_targetILNS1_3genE4ELNS1_11target_archE910ELNS1_3gpuE8ELNS1_3repE0EEENS1_36merge_oddeven_config_static_selectorELNS0_4arch9wavefront6targetE1EEEvSH_
		.amdhsa_group_segment_fixed_size 0
		.amdhsa_private_segment_fixed_size 0
		.amdhsa_kernarg_size 48
		.amdhsa_user_sgpr_count 6
		.amdhsa_user_sgpr_private_segment_buffer 1
		.amdhsa_user_sgpr_dispatch_ptr 0
		.amdhsa_user_sgpr_queue_ptr 0
		.amdhsa_user_sgpr_kernarg_segment_ptr 1
		.amdhsa_user_sgpr_dispatch_id 0
		.amdhsa_user_sgpr_flat_scratch_init 0
		.amdhsa_user_sgpr_kernarg_preload_length 0
		.amdhsa_user_sgpr_kernarg_preload_offset 0
		.amdhsa_user_sgpr_private_segment_size 0
		.amdhsa_uses_dynamic_stack 0
		.amdhsa_system_sgpr_private_segment_wavefront_offset 0
		.amdhsa_system_sgpr_workgroup_id_x 1
		.amdhsa_system_sgpr_workgroup_id_y 0
		.amdhsa_system_sgpr_workgroup_id_z 0
		.amdhsa_system_sgpr_workgroup_info 0
		.amdhsa_system_vgpr_workitem_id 0
		.amdhsa_next_free_vgpr 11
		.amdhsa_next_free_sgpr 24
		.amdhsa_accum_offset 12
		.amdhsa_reserve_vcc 1
		.amdhsa_reserve_flat_scratch 0
		.amdhsa_float_round_mode_32 0
		.amdhsa_float_round_mode_16_64 0
		.amdhsa_float_denorm_mode_32 3
		.amdhsa_float_denorm_mode_16_64 3
		.amdhsa_dx10_clamp 1
		.amdhsa_ieee_mode 1
		.amdhsa_fp16_overflow 0
		.amdhsa_tg_split 0
		.amdhsa_exception_fp_ieee_invalid_op 0
		.amdhsa_exception_fp_denorm_src 0
		.amdhsa_exception_fp_ieee_div_zero 0
		.amdhsa_exception_fp_ieee_overflow 0
		.amdhsa_exception_fp_ieee_underflow 0
		.amdhsa_exception_fp_ieee_inexact 0
		.amdhsa_exception_int_div_zero 0
	.end_amdhsa_kernel
	.section	.text._ZN7rocprim17ROCPRIM_400000_NS6detail17trampoline_kernelINS0_14default_configENS1_38merge_sort_block_merge_config_selectorIhlEEZZNS1_27merge_sort_block_merge_implIS3_PhN6thrust23THRUST_200600_302600_NS10device_ptrIlEEjNS1_19radix_merge_compareILb0ELb1EhNS0_19identity_decomposerEEEEE10hipError_tT0_T1_T2_jT3_P12ihipStream_tbPNSt15iterator_traitsISG_E10value_typeEPNSM_ISH_E10value_typeEPSI_NS1_7vsmem_tEENKUlT_SG_SH_SI_E_clIS7_S7_SB_PlEESF_SV_SG_SH_SI_EUlSV_E1_NS1_11comp_targetILNS1_3genE4ELNS1_11target_archE910ELNS1_3gpuE8ELNS1_3repE0EEENS1_36merge_oddeven_config_static_selectorELNS0_4arch9wavefront6targetE1EEEvSH_,"axG",@progbits,_ZN7rocprim17ROCPRIM_400000_NS6detail17trampoline_kernelINS0_14default_configENS1_38merge_sort_block_merge_config_selectorIhlEEZZNS1_27merge_sort_block_merge_implIS3_PhN6thrust23THRUST_200600_302600_NS10device_ptrIlEEjNS1_19radix_merge_compareILb0ELb1EhNS0_19identity_decomposerEEEEE10hipError_tT0_T1_T2_jT3_P12ihipStream_tbPNSt15iterator_traitsISG_E10value_typeEPNSM_ISH_E10value_typeEPSI_NS1_7vsmem_tEENKUlT_SG_SH_SI_E_clIS7_S7_SB_PlEESF_SV_SG_SH_SI_EUlSV_E1_NS1_11comp_targetILNS1_3genE4ELNS1_11target_archE910ELNS1_3gpuE8ELNS1_3repE0EEENS1_36merge_oddeven_config_static_selectorELNS0_4arch9wavefront6targetE1EEEvSH_,comdat
.Lfunc_end232:
	.size	_ZN7rocprim17ROCPRIM_400000_NS6detail17trampoline_kernelINS0_14default_configENS1_38merge_sort_block_merge_config_selectorIhlEEZZNS1_27merge_sort_block_merge_implIS3_PhN6thrust23THRUST_200600_302600_NS10device_ptrIlEEjNS1_19radix_merge_compareILb0ELb1EhNS0_19identity_decomposerEEEEE10hipError_tT0_T1_T2_jT3_P12ihipStream_tbPNSt15iterator_traitsISG_E10value_typeEPNSM_ISH_E10value_typeEPSI_NS1_7vsmem_tEENKUlT_SG_SH_SI_E_clIS7_S7_SB_PlEESF_SV_SG_SH_SI_EUlSV_E1_NS1_11comp_targetILNS1_3genE4ELNS1_11target_archE910ELNS1_3gpuE8ELNS1_3repE0EEENS1_36merge_oddeven_config_static_selectorELNS0_4arch9wavefront6targetE1EEEvSH_, .Lfunc_end232-_ZN7rocprim17ROCPRIM_400000_NS6detail17trampoline_kernelINS0_14default_configENS1_38merge_sort_block_merge_config_selectorIhlEEZZNS1_27merge_sort_block_merge_implIS3_PhN6thrust23THRUST_200600_302600_NS10device_ptrIlEEjNS1_19radix_merge_compareILb0ELb1EhNS0_19identity_decomposerEEEEE10hipError_tT0_T1_T2_jT3_P12ihipStream_tbPNSt15iterator_traitsISG_E10value_typeEPNSM_ISH_E10value_typeEPSI_NS1_7vsmem_tEENKUlT_SG_SH_SI_E_clIS7_S7_SB_PlEESF_SV_SG_SH_SI_EUlSV_E1_NS1_11comp_targetILNS1_3genE4ELNS1_11target_archE910ELNS1_3gpuE8ELNS1_3repE0EEENS1_36merge_oddeven_config_static_selectorELNS0_4arch9wavefront6targetE1EEEvSH_
                                        ; -- End function
	.section	.AMDGPU.csdata,"",@progbits
; Kernel info:
; codeLenInByte = 788
; NumSgprs: 28
; NumVgprs: 11
; NumAgprs: 0
; TotalNumVgprs: 11
; ScratchSize: 0
; MemoryBound: 0
; FloatMode: 240
; IeeeMode: 1
; LDSByteSize: 0 bytes/workgroup (compile time only)
; SGPRBlocks: 3
; VGPRBlocks: 1
; NumSGPRsForWavesPerEU: 28
; NumVGPRsForWavesPerEU: 11
; AccumOffset: 12
; Occupancy: 8
; WaveLimiterHint : 0
; COMPUTE_PGM_RSRC2:SCRATCH_EN: 0
; COMPUTE_PGM_RSRC2:USER_SGPR: 6
; COMPUTE_PGM_RSRC2:TRAP_HANDLER: 0
; COMPUTE_PGM_RSRC2:TGID_X_EN: 1
; COMPUTE_PGM_RSRC2:TGID_Y_EN: 0
; COMPUTE_PGM_RSRC2:TGID_Z_EN: 0
; COMPUTE_PGM_RSRC2:TIDIG_COMP_CNT: 0
; COMPUTE_PGM_RSRC3_GFX90A:ACCUM_OFFSET: 2
; COMPUTE_PGM_RSRC3_GFX90A:TG_SPLIT: 0
	.section	.text._ZN7rocprim17ROCPRIM_400000_NS6detail17trampoline_kernelINS0_14default_configENS1_38merge_sort_block_merge_config_selectorIhlEEZZNS1_27merge_sort_block_merge_implIS3_PhN6thrust23THRUST_200600_302600_NS10device_ptrIlEEjNS1_19radix_merge_compareILb0ELb1EhNS0_19identity_decomposerEEEEE10hipError_tT0_T1_T2_jT3_P12ihipStream_tbPNSt15iterator_traitsISG_E10value_typeEPNSM_ISH_E10value_typeEPSI_NS1_7vsmem_tEENKUlT_SG_SH_SI_E_clIS7_S7_SB_PlEESF_SV_SG_SH_SI_EUlSV_E1_NS1_11comp_targetILNS1_3genE3ELNS1_11target_archE908ELNS1_3gpuE7ELNS1_3repE0EEENS1_36merge_oddeven_config_static_selectorELNS0_4arch9wavefront6targetE1EEEvSH_,"axG",@progbits,_ZN7rocprim17ROCPRIM_400000_NS6detail17trampoline_kernelINS0_14default_configENS1_38merge_sort_block_merge_config_selectorIhlEEZZNS1_27merge_sort_block_merge_implIS3_PhN6thrust23THRUST_200600_302600_NS10device_ptrIlEEjNS1_19radix_merge_compareILb0ELb1EhNS0_19identity_decomposerEEEEE10hipError_tT0_T1_T2_jT3_P12ihipStream_tbPNSt15iterator_traitsISG_E10value_typeEPNSM_ISH_E10value_typeEPSI_NS1_7vsmem_tEENKUlT_SG_SH_SI_E_clIS7_S7_SB_PlEESF_SV_SG_SH_SI_EUlSV_E1_NS1_11comp_targetILNS1_3genE3ELNS1_11target_archE908ELNS1_3gpuE7ELNS1_3repE0EEENS1_36merge_oddeven_config_static_selectorELNS0_4arch9wavefront6targetE1EEEvSH_,comdat
	.protected	_ZN7rocprim17ROCPRIM_400000_NS6detail17trampoline_kernelINS0_14default_configENS1_38merge_sort_block_merge_config_selectorIhlEEZZNS1_27merge_sort_block_merge_implIS3_PhN6thrust23THRUST_200600_302600_NS10device_ptrIlEEjNS1_19radix_merge_compareILb0ELb1EhNS0_19identity_decomposerEEEEE10hipError_tT0_T1_T2_jT3_P12ihipStream_tbPNSt15iterator_traitsISG_E10value_typeEPNSM_ISH_E10value_typeEPSI_NS1_7vsmem_tEENKUlT_SG_SH_SI_E_clIS7_S7_SB_PlEESF_SV_SG_SH_SI_EUlSV_E1_NS1_11comp_targetILNS1_3genE3ELNS1_11target_archE908ELNS1_3gpuE7ELNS1_3repE0EEENS1_36merge_oddeven_config_static_selectorELNS0_4arch9wavefront6targetE1EEEvSH_ ; -- Begin function _ZN7rocprim17ROCPRIM_400000_NS6detail17trampoline_kernelINS0_14default_configENS1_38merge_sort_block_merge_config_selectorIhlEEZZNS1_27merge_sort_block_merge_implIS3_PhN6thrust23THRUST_200600_302600_NS10device_ptrIlEEjNS1_19radix_merge_compareILb0ELb1EhNS0_19identity_decomposerEEEEE10hipError_tT0_T1_T2_jT3_P12ihipStream_tbPNSt15iterator_traitsISG_E10value_typeEPNSM_ISH_E10value_typeEPSI_NS1_7vsmem_tEENKUlT_SG_SH_SI_E_clIS7_S7_SB_PlEESF_SV_SG_SH_SI_EUlSV_E1_NS1_11comp_targetILNS1_3genE3ELNS1_11target_archE908ELNS1_3gpuE7ELNS1_3repE0EEENS1_36merge_oddeven_config_static_selectorELNS0_4arch9wavefront6targetE1EEEvSH_
	.globl	_ZN7rocprim17ROCPRIM_400000_NS6detail17trampoline_kernelINS0_14default_configENS1_38merge_sort_block_merge_config_selectorIhlEEZZNS1_27merge_sort_block_merge_implIS3_PhN6thrust23THRUST_200600_302600_NS10device_ptrIlEEjNS1_19radix_merge_compareILb0ELb1EhNS0_19identity_decomposerEEEEE10hipError_tT0_T1_T2_jT3_P12ihipStream_tbPNSt15iterator_traitsISG_E10value_typeEPNSM_ISH_E10value_typeEPSI_NS1_7vsmem_tEENKUlT_SG_SH_SI_E_clIS7_S7_SB_PlEESF_SV_SG_SH_SI_EUlSV_E1_NS1_11comp_targetILNS1_3genE3ELNS1_11target_archE908ELNS1_3gpuE7ELNS1_3repE0EEENS1_36merge_oddeven_config_static_selectorELNS0_4arch9wavefront6targetE1EEEvSH_
	.p2align	8
	.type	_ZN7rocprim17ROCPRIM_400000_NS6detail17trampoline_kernelINS0_14default_configENS1_38merge_sort_block_merge_config_selectorIhlEEZZNS1_27merge_sort_block_merge_implIS3_PhN6thrust23THRUST_200600_302600_NS10device_ptrIlEEjNS1_19radix_merge_compareILb0ELb1EhNS0_19identity_decomposerEEEEE10hipError_tT0_T1_T2_jT3_P12ihipStream_tbPNSt15iterator_traitsISG_E10value_typeEPNSM_ISH_E10value_typeEPSI_NS1_7vsmem_tEENKUlT_SG_SH_SI_E_clIS7_S7_SB_PlEESF_SV_SG_SH_SI_EUlSV_E1_NS1_11comp_targetILNS1_3genE3ELNS1_11target_archE908ELNS1_3gpuE7ELNS1_3repE0EEENS1_36merge_oddeven_config_static_selectorELNS0_4arch9wavefront6targetE1EEEvSH_,@function
_ZN7rocprim17ROCPRIM_400000_NS6detail17trampoline_kernelINS0_14default_configENS1_38merge_sort_block_merge_config_selectorIhlEEZZNS1_27merge_sort_block_merge_implIS3_PhN6thrust23THRUST_200600_302600_NS10device_ptrIlEEjNS1_19radix_merge_compareILb0ELb1EhNS0_19identity_decomposerEEEEE10hipError_tT0_T1_T2_jT3_P12ihipStream_tbPNSt15iterator_traitsISG_E10value_typeEPNSM_ISH_E10value_typeEPSI_NS1_7vsmem_tEENKUlT_SG_SH_SI_E_clIS7_S7_SB_PlEESF_SV_SG_SH_SI_EUlSV_E1_NS1_11comp_targetILNS1_3genE3ELNS1_11target_archE908ELNS1_3gpuE7ELNS1_3repE0EEENS1_36merge_oddeven_config_static_selectorELNS0_4arch9wavefront6targetE1EEEvSH_: ; @_ZN7rocprim17ROCPRIM_400000_NS6detail17trampoline_kernelINS0_14default_configENS1_38merge_sort_block_merge_config_selectorIhlEEZZNS1_27merge_sort_block_merge_implIS3_PhN6thrust23THRUST_200600_302600_NS10device_ptrIlEEjNS1_19radix_merge_compareILb0ELb1EhNS0_19identity_decomposerEEEEE10hipError_tT0_T1_T2_jT3_P12ihipStream_tbPNSt15iterator_traitsISG_E10value_typeEPNSM_ISH_E10value_typeEPSI_NS1_7vsmem_tEENKUlT_SG_SH_SI_E_clIS7_S7_SB_PlEESF_SV_SG_SH_SI_EUlSV_E1_NS1_11comp_targetILNS1_3genE3ELNS1_11target_archE908ELNS1_3gpuE7ELNS1_3repE0EEENS1_36merge_oddeven_config_static_selectorELNS0_4arch9wavefront6targetE1EEEvSH_
; %bb.0:
	.section	.rodata,"a",@progbits
	.p2align	6, 0x0
	.amdhsa_kernel _ZN7rocprim17ROCPRIM_400000_NS6detail17trampoline_kernelINS0_14default_configENS1_38merge_sort_block_merge_config_selectorIhlEEZZNS1_27merge_sort_block_merge_implIS3_PhN6thrust23THRUST_200600_302600_NS10device_ptrIlEEjNS1_19radix_merge_compareILb0ELb1EhNS0_19identity_decomposerEEEEE10hipError_tT0_T1_T2_jT3_P12ihipStream_tbPNSt15iterator_traitsISG_E10value_typeEPNSM_ISH_E10value_typeEPSI_NS1_7vsmem_tEENKUlT_SG_SH_SI_E_clIS7_S7_SB_PlEESF_SV_SG_SH_SI_EUlSV_E1_NS1_11comp_targetILNS1_3genE3ELNS1_11target_archE908ELNS1_3gpuE7ELNS1_3repE0EEENS1_36merge_oddeven_config_static_selectorELNS0_4arch9wavefront6targetE1EEEvSH_
		.amdhsa_group_segment_fixed_size 0
		.amdhsa_private_segment_fixed_size 0
		.amdhsa_kernarg_size 48
		.amdhsa_user_sgpr_count 6
		.amdhsa_user_sgpr_private_segment_buffer 1
		.amdhsa_user_sgpr_dispatch_ptr 0
		.amdhsa_user_sgpr_queue_ptr 0
		.amdhsa_user_sgpr_kernarg_segment_ptr 1
		.amdhsa_user_sgpr_dispatch_id 0
		.amdhsa_user_sgpr_flat_scratch_init 0
		.amdhsa_user_sgpr_kernarg_preload_length 0
		.amdhsa_user_sgpr_kernarg_preload_offset 0
		.amdhsa_user_sgpr_private_segment_size 0
		.amdhsa_uses_dynamic_stack 0
		.amdhsa_system_sgpr_private_segment_wavefront_offset 0
		.amdhsa_system_sgpr_workgroup_id_x 1
		.amdhsa_system_sgpr_workgroup_id_y 0
		.amdhsa_system_sgpr_workgroup_id_z 0
		.amdhsa_system_sgpr_workgroup_info 0
		.amdhsa_system_vgpr_workitem_id 0
		.amdhsa_next_free_vgpr 1
		.amdhsa_next_free_sgpr 0
		.amdhsa_accum_offset 4
		.amdhsa_reserve_vcc 0
		.amdhsa_reserve_flat_scratch 0
		.amdhsa_float_round_mode_32 0
		.amdhsa_float_round_mode_16_64 0
		.amdhsa_float_denorm_mode_32 3
		.amdhsa_float_denorm_mode_16_64 3
		.amdhsa_dx10_clamp 1
		.amdhsa_ieee_mode 1
		.amdhsa_fp16_overflow 0
		.amdhsa_tg_split 0
		.amdhsa_exception_fp_ieee_invalid_op 0
		.amdhsa_exception_fp_denorm_src 0
		.amdhsa_exception_fp_ieee_div_zero 0
		.amdhsa_exception_fp_ieee_overflow 0
		.amdhsa_exception_fp_ieee_underflow 0
		.amdhsa_exception_fp_ieee_inexact 0
		.amdhsa_exception_int_div_zero 0
	.end_amdhsa_kernel
	.section	.text._ZN7rocprim17ROCPRIM_400000_NS6detail17trampoline_kernelINS0_14default_configENS1_38merge_sort_block_merge_config_selectorIhlEEZZNS1_27merge_sort_block_merge_implIS3_PhN6thrust23THRUST_200600_302600_NS10device_ptrIlEEjNS1_19radix_merge_compareILb0ELb1EhNS0_19identity_decomposerEEEEE10hipError_tT0_T1_T2_jT3_P12ihipStream_tbPNSt15iterator_traitsISG_E10value_typeEPNSM_ISH_E10value_typeEPSI_NS1_7vsmem_tEENKUlT_SG_SH_SI_E_clIS7_S7_SB_PlEESF_SV_SG_SH_SI_EUlSV_E1_NS1_11comp_targetILNS1_3genE3ELNS1_11target_archE908ELNS1_3gpuE7ELNS1_3repE0EEENS1_36merge_oddeven_config_static_selectorELNS0_4arch9wavefront6targetE1EEEvSH_,"axG",@progbits,_ZN7rocprim17ROCPRIM_400000_NS6detail17trampoline_kernelINS0_14default_configENS1_38merge_sort_block_merge_config_selectorIhlEEZZNS1_27merge_sort_block_merge_implIS3_PhN6thrust23THRUST_200600_302600_NS10device_ptrIlEEjNS1_19radix_merge_compareILb0ELb1EhNS0_19identity_decomposerEEEEE10hipError_tT0_T1_T2_jT3_P12ihipStream_tbPNSt15iterator_traitsISG_E10value_typeEPNSM_ISH_E10value_typeEPSI_NS1_7vsmem_tEENKUlT_SG_SH_SI_E_clIS7_S7_SB_PlEESF_SV_SG_SH_SI_EUlSV_E1_NS1_11comp_targetILNS1_3genE3ELNS1_11target_archE908ELNS1_3gpuE7ELNS1_3repE0EEENS1_36merge_oddeven_config_static_selectorELNS0_4arch9wavefront6targetE1EEEvSH_,comdat
.Lfunc_end233:
	.size	_ZN7rocprim17ROCPRIM_400000_NS6detail17trampoline_kernelINS0_14default_configENS1_38merge_sort_block_merge_config_selectorIhlEEZZNS1_27merge_sort_block_merge_implIS3_PhN6thrust23THRUST_200600_302600_NS10device_ptrIlEEjNS1_19radix_merge_compareILb0ELb1EhNS0_19identity_decomposerEEEEE10hipError_tT0_T1_T2_jT3_P12ihipStream_tbPNSt15iterator_traitsISG_E10value_typeEPNSM_ISH_E10value_typeEPSI_NS1_7vsmem_tEENKUlT_SG_SH_SI_E_clIS7_S7_SB_PlEESF_SV_SG_SH_SI_EUlSV_E1_NS1_11comp_targetILNS1_3genE3ELNS1_11target_archE908ELNS1_3gpuE7ELNS1_3repE0EEENS1_36merge_oddeven_config_static_selectorELNS0_4arch9wavefront6targetE1EEEvSH_, .Lfunc_end233-_ZN7rocprim17ROCPRIM_400000_NS6detail17trampoline_kernelINS0_14default_configENS1_38merge_sort_block_merge_config_selectorIhlEEZZNS1_27merge_sort_block_merge_implIS3_PhN6thrust23THRUST_200600_302600_NS10device_ptrIlEEjNS1_19radix_merge_compareILb0ELb1EhNS0_19identity_decomposerEEEEE10hipError_tT0_T1_T2_jT3_P12ihipStream_tbPNSt15iterator_traitsISG_E10value_typeEPNSM_ISH_E10value_typeEPSI_NS1_7vsmem_tEENKUlT_SG_SH_SI_E_clIS7_S7_SB_PlEESF_SV_SG_SH_SI_EUlSV_E1_NS1_11comp_targetILNS1_3genE3ELNS1_11target_archE908ELNS1_3gpuE7ELNS1_3repE0EEENS1_36merge_oddeven_config_static_selectorELNS0_4arch9wavefront6targetE1EEEvSH_
                                        ; -- End function
	.section	.AMDGPU.csdata,"",@progbits
; Kernel info:
; codeLenInByte = 0
; NumSgprs: 4
; NumVgprs: 0
; NumAgprs: 0
; TotalNumVgprs: 0
; ScratchSize: 0
; MemoryBound: 0
; FloatMode: 240
; IeeeMode: 1
; LDSByteSize: 0 bytes/workgroup (compile time only)
; SGPRBlocks: 0
; VGPRBlocks: 0
; NumSGPRsForWavesPerEU: 4
; NumVGPRsForWavesPerEU: 1
; AccumOffset: 4
; Occupancy: 8
; WaveLimiterHint : 0
; COMPUTE_PGM_RSRC2:SCRATCH_EN: 0
; COMPUTE_PGM_RSRC2:USER_SGPR: 6
; COMPUTE_PGM_RSRC2:TRAP_HANDLER: 0
; COMPUTE_PGM_RSRC2:TGID_X_EN: 1
; COMPUTE_PGM_RSRC2:TGID_Y_EN: 0
; COMPUTE_PGM_RSRC2:TGID_Z_EN: 0
; COMPUTE_PGM_RSRC2:TIDIG_COMP_CNT: 0
; COMPUTE_PGM_RSRC3_GFX90A:ACCUM_OFFSET: 0
; COMPUTE_PGM_RSRC3_GFX90A:TG_SPLIT: 0
	.section	.text._ZN7rocprim17ROCPRIM_400000_NS6detail17trampoline_kernelINS0_14default_configENS1_38merge_sort_block_merge_config_selectorIhlEEZZNS1_27merge_sort_block_merge_implIS3_PhN6thrust23THRUST_200600_302600_NS10device_ptrIlEEjNS1_19radix_merge_compareILb0ELb1EhNS0_19identity_decomposerEEEEE10hipError_tT0_T1_T2_jT3_P12ihipStream_tbPNSt15iterator_traitsISG_E10value_typeEPNSM_ISH_E10value_typeEPSI_NS1_7vsmem_tEENKUlT_SG_SH_SI_E_clIS7_S7_SB_PlEESF_SV_SG_SH_SI_EUlSV_E1_NS1_11comp_targetILNS1_3genE2ELNS1_11target_archE906ELNS1_3gpuE6ELNS1_3repE0EEENS1_36merge_oddeven_config_static_selectorELNS0_4arch9wavefront6targetE1EEEvSH_,"axG",@progbits,_ZN7rocprim17ROCPRIM_400000_NS6detail17trampoline_kernelINS0_14default_configENS1_38merge_sort_block_merge_config_selectorIhlEEZZNS1_27merge_sort_block_merge_implIS3_PhN6thrust23THRUST_200600_302600_NS10device_ptrIlEEjNS1_19radix_merge_compareILb0ELb1EhNS0_19identity_decomposerEEEEE10hipError_tT0_T1_T2_jT3_P12ihipStream_tbPNSt15iterator_traitsISG_E10value_typeEPNSM_ISH_E10value_typeEPSI_NS1_7vsmem_tEENKUlT_SG_SH_SI_E_clIS7_S7_SB_PlEESF_SV_SG_SH_SI_EUlSV_E1_NS1_11comp_targetILNS1_3genE2ELNS1_11target_archE906ELNS1_3gpuE6ELNS1_3repE0EEENS1_36merge_oddeven_config_static_selectorELNS0_4arch9wavefront6targetE1EEEvSH_,comdat
	.protected	_ZN7rocprim17ROCPRIM_400000_NS6detail17trampoline_kernelINS0_14default_configENS1_38merge_sort_block_merge_config_selectorIhlEEZZNS1_27merge_sort_block_merge_implIS3_PhN6thrust23THRUST_200600_302600_NS10device_ptrIlEEjNS1_19radix_merge_compareILb0ELb1EhNS0_19identity_decomposerEEEEE10hipError_tT0_T1_T2_jT3_P12ihipStream_tbPNSt15iterator_traitsISG_E10value_typeEPNSM_ISH_E10value_typeEPSI_NS1_7vsmem_tEENKUlT_SG_SH_SI_E_clIS7_S7_SB_PlEESF_SV_SG_SH_SI_EUlSV_E1_NS1_11comp_targetILNS1_3genE2ELNS1_11target_archE906ELNS1_3gpuE6ELNS1_3repE0EEENS1_36merge_oddeven_config_static_selectorELNS0_4arch9wavefront6targetE1EEEvSH_ ; -- Begin function _ZN7rocprim17ROCPRIM_400000_NS6detail17trampoline_kernelINS0_14default_configENS1_38merge_sort_block_merge_config_selectorIhlEEZZNS1_27merge_sort_block_merge_implIS3_PhN6thrust23THRUST_200600_302600_NS10device_ptrIlEEjNS1_19radix_merge_compareILb0ELb1EhNS0_19identity_decomposerEEEEE10hipError_tT0_T1_T2_jT3_P12ihipStream_tbPNSt15iterator_traitsISG_E10value_typeEPNSM_ISH_E10value_typeEPSI_NS1_7vsmem_tEENKUlT_SG_SH_SI_E_clIS7_S7_SB_PlEESF_SV_SG_SH_SI_EUlSV_E1_NS1_11comp_targetILNS1_3genE2ELNS1_11target_archE906ELNS1_3gpuE6ELNS1_3repE0EEENS1_36merge_oddeven_config_static_selectorELNS0_4arch9wavefront6targetE1EEEvSH_
	.globl	_ZN7rocprim17ROCPRIM_400000_NS6detail17trampoline_kernelINS0_14default_configENS1_38merge_sort_block_merge_config_selectorIhlEEZZNS1_27merge_sort_block_merge_implIS3_PhN6thrust23THRUST_200600_302600_NS10device_ptrIlEEjNS1_19radix_merge_compareILb0ELb1EhNS0_19identity_decomposerEEEEE10hipError_tT0_T1_T2_jT3_P12ihipStream_tbPNSt15iterator_traitsISG_E10value_typeEPNSM_ISH_E10value_typeEPSI_NS1_7vsmem_tEENKUlT_SG_SH_SI_E_clIS7_S7_SB_PlEESF_SV_SG_SH_SI_EUlSV_E1_NS1_11comp_targetILNS1_3genE2ELNS1_11target_archE906ELNS1_3gpuE6ELNS1_3repE0EEENS1_36merge_oddeven_config_static_selectorELNS0_4arch9wavefront6targetE1EEEvSH_
	.p2align	8
	.type	_ZN7rocprim17ROCPRIM_400000_NS6detail17trampoline_kernelINS0_14default_configENS1_38merge_sort_block_merge_config_selectorIhlEEZZNS1_27merge_sort_block_merge_implIS3_PhN6thrust23THRUST_200600_302600_NS10device_ptrIlEEjNS1_19radix_merge_compareILb0ELb1EhNS0_19identity_decomposerEEEEE10hipError_tT0_T1_T2_jT3_P12ihipStream_tbPNSt15iterator_traitsISG_E10value_typeEPNSM_ISH_E10value_typeEPSI_NS1_7vsmem_tEENKUlT_SG_SH_SI_E_clIS7_S7_SB_PlEESF_SV_SG_SH_SI_EUlSV_E1_NS1_11comp_targetILNS1_3genE2ELNS1_11target_archE906ELNS1_3gpuE6ELNS1_3repE0EEENS1_36merge_oddeven_config_static_selectorELNS0_4arch9wavefront6targetE1EEEvSH_,@function
_ZN7rocprim17ROCPRIM_400000_NS6detail17trampoline_kernelINS0_14default_configENS1_38merge_sort_block_merge_config_selectorIhlEEZZNS1_27merge_sort_block_merge_implIS3_PhN6thrust23THRUST_200600_302600_NS10device_ptrIlEEjNS1_19radix_merge_compareILb0ELb1EhNS0_19identity_decomposerEEEEE10hipError_tT0_T1_T2_jT3_P12ihipStream_tbPNSt15iterator_traitsISG_E10value_typeEPNSM_ISH_E10value_typeEPSI_NS1_7vsmem_tEENKUlT_SG_SH_SI_E_clIS7_S7_SB_PlEESF_SV_SG_SH_SI_EUlSV_E1_NS1_11comp_targetILNS1_3genE2ELNS1_11target_archE906ELNS1_3gpuE6ELNS1_3repE0EEENS1_36merge_oddeven_config_static_selectorELNS0_4arch9wavefront6targetE1EEEvSH_: ; @_ZN7rocprim17ROCPRIM_400000_NS6detail17trampoline_kernelINS0_14default_configENS1_38merge_sort_block_merge_config_selectorIhlEEZZNS1_27merge_sort_block_merge_implIS3_PhN6thrust23THRUST_200600_302600_NS10device_ptrIlEEjNS1_19radix_merge_compareILb0ELb1EhNS0_19identity_decomposerEEEEE10hipError_tT0_T1_T2_jT3_P12ihipStream_tbPNSt15iterator_traitsISG_E10value_typeEPNSM_ISH_E10value_typeEPSI_NS1_7vsmem_tEENKUlT_SG_SH_SI_E_clIS7_S7_SB_PlEESF_SV_SG_SH_SI_EUlSV_E1_NS1_11comp_targetILNS1_3genE2ELNS1_11target_archE906ELNS1_3gpuE6ELNS1_3repE0EEENS1_36merge_oddeven_config_static_selectorELNS0_4arch9wavefront6targetE1EEEvSH_
; %bb.0:
	.section	.rodata,"a",@progbits
	.p2align	6, 0x0
	.amdhsa_kernel _ZN7rocprim17ROCPRIM_400000_NS6detail17trampoline_kernelINS0_14default_configENS1_38merge_sort_block_merge_config_selectorIhlEEZZNS1_27merge_sort_block_merge_implIS3_PhN6thrust23THRUST_200600_302600_NS10device_ptrIlEEjNS1_19radix_merge_compareILb0ELb1EhNS0_19identity_decomposerEEEEE10hipError_tT0_T1_T2_jT3_P12ihipStream_tbPNSt15iterator_traitsISG_E10value_typeEPNSM_ISH_E10value_typeEPSI_NS1_7vsmem_tEENKUlT_SG_SH_SI_E_clIS7_S7_SB_PlEESF_SV_SG_SH_SI_EUlSV_E1_NS1_11comp_targetILNS1_3genE2ELNS1_11target_archE906ELNS1_3gpuE6ELNS1_3repE0EEENS1_36merge_oddeven_config_static_selectorELNS0_4arch9wavefront6targetE1EEEvSH_
		.amdhsa_group_segment_fixed_size 0
		.amdhsa_private_segment_fixed_size 0
		.amdhsa_kernarg_size 48
		.amdhsa_user_sgpr_count 6
		.amdhsa_user_sgpr_private_segment_buffer 1
		.amdhsa_user_sgpr_dispatch_ptr 0
		.amdhsa_user_sgpr_queue_ptr 0
		.amdhsa_user_sgpr_kernarg_segment_ptr 1
		.amdhsa_user_sgpr_dispatch_id 0
		.amdhsa_user_sgpr_flat_scratch_init 0
		.amdhsa_user_sgpr_kernarg_preload_length 0
		.amdhsa_user_sgpr_kernarg_preload_offset 0
		.amdhsa_user_sgpr_private_segment_size 0
		.amdhsa_uses_dynamic_stack 0
		.amdhsa_system_sgpr_private_segment_wavefront_offset 0
		.amdhsa_system_sgpr_workgroup_id_x 1
		.amdhsa_system_sgpr_workgroup_id_y 0
		.amdhsa_system_sgpr_workgroup_id_z 0
		.amdhsa_system_sgpr_workgroup_info 0
		.amdhsa_system_vgpr_workitem_id 0
		.amdhsa_next_free_vgpr 1
		.amdhsa_next_free_sgpr 0
		.amdhsa_accum_offset 4
		.amdhsa_reserve_vcc 0
		.amdhsa_reserve_flat_scratch 0
		.amdhsa_float_round_mode_32 0
		.amdhsa_float_round_mode_16_64 0
		.amdhsa_float_denorm_mode_32 3
		.amdhsa_float_denorm_mode_16_64 3
		.amdhsa_dx10_clamp 1
		.amdhsa_ieee_mode 1
		.amdhsa_fp16_overflow 0
		.amdhsa_tg_split 0
		.amdhsa_exception_fp_ieee_invalid_op 0
		.amdhsa_exception_fp_denorm_src 0
		.amdhsa_exception_fp_ieee_div_zero 0
		.amdhsa_exception_fp_ieee_overflow 0
		.amdhsa_exception_fp_ieee_underflow 0
		.amdhsa_exception_fp_ieee_inexact 0
		.amdhsa_exception_int_div_zero 0
	.end_amdhsa_kernel
	.section	.text._ZN7rocprim17ROCPRIM_400000_NS6detail17trampoline_kernelINS0_14default_configENS1_38merge_sort_block_merge_config_selectorIhlEEZZNS1_27merge_sort_block_merge_implIS3_PhN6thrust23THRUST_200600_302600_NS10device_ptrIlEEjNS1_19radix_merge_compareILb0ELb1EhNS0_19identity_decomposerEEEEE10hipError_tT0_T1_T2_jT3_P12ihipStream_tbPNSt15iterator_traitsISG_E10value_typeEPNSM_ISH_E10value_typeEPSI_NS1_7vsmem_tEENKUlT_SG_SH_SI_E_clIS7_S7_SB_PlEESF_SV_SG_SH_SI_EUlSV_E1_NS1_11comp_targetILNS1_3genE2ELNS1_11target_archE906ELNS1_3gpuE6ELNS1_3repE0EEENS1_36merge_oddeven_config_static_selectorELNS0_4arch9wavefront6targetE1EEEvSH_,"axG",@progbits,_ZN7rocprim17ROCPRIM_400000_NS6detail17trampoline_kernelINS0_14default_configENS1_38merge_sort_block_merge_config_selectorIhlEEZZNS1_27merge_sort_block_merge_implIS3_PhN6thrust23THRUST_200600_302600_NS10device_ptrIlEEjNS1_19radix_merge_compareILb0ELb1EhNS0_19identity_decomposerEEEEE10hipError_tT0_T1_T2_jT3_P12ihipStream_tbPNSt15iterator_traitsISG_E10value_typeEPNSM_ISH_E10value_typeEPSI_NS1_7vsmem_tEENKUlT_SG_SH_SI_E_clIS7_S7_SB_PlEESF_SV_SG_SH_SI_EUlSV_E1_NS1_11comp_targetILNS1_3genE2ELNS1_11target_archE906ELNS1_3gpuE6ELNS1_3repE0EEENS1_36merge_oddeven_config_static_selectorELNS0_4arch9wavefront6targetE1EEEvSH_,comdat
.Lfunc_end234:
	.size	_ZN7rocprim17ROCPRIM_400000_NS6detail17trampoline_kernelINS0_14default_configENS1_38merge_sort_block_merge_config_selectorIhlEEZZNS1_27merge_sort_block_merge_implIS3_PhN6thrust23THRUST_200600_302600_NS10device_ptrIlEEjNS1_19radix_merge_compareILb0ELb1EhNS0_19identity_decomposerEEEEE10hipError_tT0_T1_T2_jT3_P12ihipStream_tbPNSt15iterator_traitsISG_E10value_typeEPNSM_ISH_E10value_typeEPSI_NS1_7vsmem_tEENKUlT_SG_SH_SI_E_clIS7_S7_SB_PlEESF_SV_SG_SH_SI_EUlSV_E1_NS1_11comp_targetILNS1_3genE2ELNS1_11target_archE906ELNS1_3gpuE6ELNS1_3repE0EEENS1_36merge_oddeven_config_static_selectorELNS0_4arch9wavefront6targetE1EEEvSH_, .Lfunc_end234-_ZN7rocprim17ROCPRIM_400000_NS6detail17trampoline_kernelINS0_14default_configENS1_38merge_sort_block_merge_config_selectorIhlEEZZNS1_27merge_sort_block_merge_implIS3_PhN6thrust23THRUST_200600_302600_NS10device_ptrIlEEjNS1_19radix_merge_compareILb0ELb1EhNS0_19identity_decomposerEEEEE10hipError_tT0_T1_T2_jT3_P12ihipStream_tbPNSt15iterator_traitsISG_E10value_typeEPNSM_ISH_E10value_typeEPSI_NS1_7vsmem_tEENKUlT_SG_SH_SI_E_clIS7_S7_SB_PlEESF_SV_SG_SH_SI_EUlSV_E1_NS1_11comp_targetILNS1_3genE2ELNS1_11target_archE906ELNS1_3gpuE6ELNS1_3repE0EEENS1_36merge_oddeven_config_static_selectorELNS0_4arch9wavefront6targetE1EEEvSH_
                                        ; -- End function
	.section	.AMDGPU.csdata,"",@progbits
; Kernel info:
; codeLenInByte = 0
; NumSgprs: 4
; NumVgprs: 0
; NumAgprs: 0
; TotalNumVgprs: 0
; ScratchSize: 0
; MemoryBound: 0
; FloatMode: 240
; IeeeMode: 1
; LDSByteSize: 0 bytes/workgroup (compile time only)
; SGPRBlocks: 0
; VGPRBlocks: 0
; NumSGPRsForWavesPerEU: 4
; NumVGPRsForWavesPerEU: 1
; AccumOffset: 4
; Occupancy: 8
; WaveLimiterHint : 0
; COMPUTE_PGM_RSRC2:SCRATCH_EN: 0
; COMPUTE_PGM_RSRC2:USER_SGPR: 6
; COMPUTE_PGM_RSRC2:TRAP_HANDLER: 0
; COMPUTE_PGM_RSRC2:TGID_X_EN: 1
; COMPUTE_PGM_RSRC2:TGID_Y_EN: 0
; COMPUTE_PGM_RSRC2:TGID_Z_EN: 0
; COMPUTE_PGM_RSRC2:TIDIG_COMP_CNT: 0
; COMPUTE_PGM_RSRC3_GFX90A:ACCUM_OFFSET: 0
; COMPUTE_PGM_RSRC3_GFX90A:TG_SPLIT: 0
	.section	.text._ZN7rocprim17ROCPRIM_400000_NS6detail17trampoline_kernelINS0_14default_configENS1_38merge_sort_block_merge_config_selectorIhlEEZZNS1_27merge_sort_block_merge_implIS3_PhN6thrust23THRUST_200600_302600_NS10device_ptrIlEEjNS1_19radix_merge_compareILb0ELb1EhNS0_19identity_decomposerEEEEE10hipError_tT0_T1_T2_jT3_P12ihipStream_tbPNSt15iterator_traitsISG_E10value_typeEPNSM_ISH_E10value_typeEPSI_NS1_7vsmem_tEENKUlT_SG_SH_SI_E_clIS7_S7_SB_PlEESF_SV_SG_SH_SI_EUlSV_E1_NS1_11comp_targetILNS1_3genE9ELNS1_11target_archE1100ELNS1_3gpuE3ELNS1_3repE0EEENS1_36merge_oddeven_config_static_selectorELNS0_4arch9wavefront6targetE1EEEvSH_,"axG",@progbits,_ZN7rocprim17ROCPRIM_400000_NS6detail17trampoline_kernelINS0_14default_configENS1_38merge_sort_block_merge_config_selectorIhlEEZZNS1_27merge_sort_block_merge_implIS3_PhN6thrust23THRUST_200600_302600_NS10device_ptrIlEEjNS1_19radix_merge_compareILb0ELb1EhNS0_19identity_decomposerEEEEE10hipError_tT0_T1_T2_jT3_P12ihipStream_tbPNSt15iterator_traitsISG_E10value_typeEPNSM_ISH_E10value_typeEPSI_NS1_7vsmem_tEENKUlT_SG_SH_SI_E_clIS7_S7_SB_PlEESF_SV_SG_SH_SI_EUlSV_E1_NS1_11comp_targetILNS1_3genE9ELNS1_11target_archE1100ELNS1_3gpuE3ELNS1_3repE0EEENS1_36merge_oddeven_config_static_selectorELNS0_4arch9wavefront6targetE1EEEvSH_,comdat
	.protected	_ZN7rocprim17ROCPRIM_400000_NS6detail17trampoline_kernelINS0_14default_configENS1_38merge_sort_block_merge_config_selectorIhlEEZZNS1_27merge_sort_block_merge_implIS3_PhN6thrust23THRUST_200600_302600_NS10device_ptrIlEEjNS1_19radix_merge_compareILb0ELb1EhNS0_19identity_decomposerEEEEE10hipError_tT0_T1_T2_jT3_P12ihipStream_tbPNSt15iterator_traitsISG_E10value_typeEPNSM_ISH_E10value_typeEPSI_NS1_7vsmem_tEENKUlT_SG_SH_SI_E_clIS7_S7_SB_PlEESF_SV_SG_SH_SI_EUlSV_E1_NS1_11comp_targetILNS1_3genE9ELNS1_11target_archE1100ELNS1_3gpuE3ELNS1_3repE0EEENS1_36merge_oddeven_config_static_selectorELNS0_4arch9wavefront6targetE1EEEvSH_ ; -- Begin function _ZN7rocprim17ROCPRIM_400000_NS6detail17trampoline_kernelINS0_14default_configENS1_38merge_sort_block_merge_config_selectorIhlEEZZNS1_27merge_sort_block_merge_implIS3_PhN6thrust23THRUST_200600_302600_NS10device_ptrIlEEjNS1_19radix_merge_compareILb0ELb1EhNS0_19identity_decomposerEEEEE10hipError_tT0_T1_T2_jT3_P12ihipStream_tbPNSt15iterator_traitsISG_E10value_typeEPNSM_ISH_E10value_typeEPSI_NS1_7vsmem_tEENKUlT_SG_SH_SI_E_clIS7_S7_SB_PlEESF_SV_SG_SH_SI_EUlSV_E1_NS1_11comp_targetILNS1_3genE9ELNS1_11target_archE1100ELNS1_3gpuE3ELNS1_3repE0EEENS1_36merge_oddeven_config_static_selectorELNS0_4arch9wavefront6targetE1EEEvSH_
	.globl	_ZN7rocprim17ROCPRIM_400000_NS6detail17trampoline_kernelINS0_14default_configENS1_38merge_sort_block_merge_config_selectorIhlEEZZNS1_27merge_sort_block_merge_implIS3_PhN6thrust23THRUST_200600_302600_NS10device_ptrIlEEjNS1_19radix_merge_compareILb0ELb1EhNS0_19identity_decomposerEEEEE10hipError_tT0_T1_T2_jT3_P12ihipStream_tbPNSt15iterator_traitsISG_E10value_typeEPNSM_ISH_E10value_typeEPSI_NS1_7vsmem_tEENKUlT_SG_SH_SI_E_clIS7_S7_SB_PlEESF_SV_SG_SH_SI_EUlSV_E1_NS1_11comp_targetILNS1_3genE9ELNS1_11target_archE1100ELNS1_3gpuE3ELNS1_3repE0EEENS1_36merge_oddeven_config_static_selectorELNS0_4arch9wavefront6targetE1EEEvSH_
	.p2align	8
	.type	_ZN7rocprim17ROCPRIM_400000_NS6detail17trampoline_kernelINS0_14default_configENS1_38merge_sort_block_merge_config_selectorIhlEEZZNS1_27merge_sort_block_merge_implIS3_PhN6thrust23THRUST_200600_302600_NS10device_ptrIlEEjNS1_19radix_merge_compareILb0ELb1EhNS0_19identity_decomposerEEEEE10hipError_tT0_T1_T2_jT3_P12ihipStream_tbPNSt15iterator_traitsISG_E10value_typeEPNSM_ISH_E10value_typeEPSI_NS1_7vsmem_tEENKUlT_SG_SH_SI_E_clIS7_S7_SB_PlEESF_SV_SG_SH_SI_EUlSV_E1_NS1_11comp_targetILNS1_3genE9ELNS1_11target_archE1100ELNS1_3gpuE3ELNS1_3repE0EEENS1_36merge_oddeven_config_static_selectorELNS0_4arch9wavefront6targetE1EEEvSH_,@function
_ZN7rocprim17ROCPRIM_400000_NS6detail17trampoline_kernelINS0_14default_configENS1_38merge_sort_block_merge_config_selectorIhlEEZZNS1_27merge_sort_block_merge_implIS3_PhN6thrust23THRUST_200600_302600_NS10device_ptrIlEEjNS1_19radix_merge_compareILb0ELb1EhNS0_19identity_decomposerEEEEE10hipError_tT0_T1_T2_jT3_P12ihipStream_tbPNSt15iterator_traitsISG_E10value_typeEPNSM_ISH_E10value_typeEPSI_NS1_7vsmem_tEENKUlT_SG_SH_SI_E_clIS7_S7_SB_PlEESF_SV_SG_SH_SI_EUlSV_E1_NS1_11comp_targetILNS1_3genE9ELNS1_11target_archE1100ELNS1_3gpuE3ELNS1_3repE0EEENS1_36merge_oddeven_config_static_selectorELNS0_4arch9wavefront6targetE1EEEvSH_: ; @_ZN7rocprim17ROCPRIM_400000_NS6detail17trampoline_kernelINS0_14default_configENS1_38merge_sort_block_merge_config_selectorIhlEEZZNS1_27merge_sort_block_merge_implIS3_PhN6thrust23THRUST_200600_302600_NS10device_ptrIlEEjNS1_19radix_merge_compareILb0ELb1EhNS0_19identity_decomposerEEEEE10hipError_tT0_T1_T2_jT3_P12ihipStream_tbPNSt15iterator_traitsISG_E10value_typeEPNSM_ISH_E10value_typeEPSI_NS1_7vsmem_tEENKUlT_SG_SH_SI_E_clIS7_S7_SB_PlEESF_SV_SG_SH_SI_EUlSV_E1_NS1_11comp_targetILNS1_3genE9ELNS1_11target_archE1100ELNS1_3gpuE3ELNS1_3repE0EEENS1_36merge_oddeven_config_static_selectorELNS0_4arch9wavefront6targetE1EEEvSH_
; %bb.0:
	.section	.rodata,"a",@progbits
	.p2align	6, 0x0
	.amdhsa_kernel _ZN7rocprim17ROCPRIM_400000_NS6detail17trampoline_kernelINS0_14default_configENS1_38merge_sort_block_merge_config_selectorIhlEEZZNS1_27merge_sort_block_merge_implIS3_PhN6thrust23THRUST_200600_302600_NS10device_ptrIlEEjNS1_19radix_merge_compareILb0ELb1EhNS0_19identity_decomposerEEEEE10hipError_tT0_T1_T2_jT3_P12ihipStream_tbPNSt15iterator_traitsISG_E10value_typeEPNSM_ISH_E10value_typeEPSI_NS1_7vsmem_tEENKUlT_SG_SH_SI_E_clIS7_S7_SB_PlEESF_SV_SG_SH_SI_EUlSV_E1_NS1_11comp_targetILNS1_3genE9ELNS1_11target_archE1100ELNS1_3gpuE3ELNS1_3repE0EEENS1_36merge_oddeven_config_static_selectorELNS0_4arch9wavefront6targetE1EEEvSH_
		.amdhsa_group_segment_fixed_size 0
		.amdhsa_private_segment_fixed_size 0
		.amdhsa_kernarg_size 48
		.amdhsa_user_sgpr_count 6
		.amdhsa_user_sgpr_private_segment_buffer 1
		.amdhsa_user_sgpr_dispatch_ptr 0
		.amdhsa_user_sgpr_queue_ptr 0
		.amdhsa_user_sgpr_kernarg_segment_ptr 1
		.amdhsa_user_sgpr_dispatch_id 0
		.amdhsa_user_sgpr_flat_scratch_init 0
		.amdhsa_user_sgpr_kernarg_preload_length 0
		.amdhsa_user_sgpr_kernarg_preload_offset 0
		.amdhsa_user_sgpr_private_segment_size 0
		.amdhsa_uses_dynamic_stack 0
		.amdhsa_system_sgpr_private_segment_wavefront_offset 0
		.amdhsa_system_sgpr_workgroup_id_x 1
		.amdhsa_system_sgpr_workgroup_id_y 0
		.amdhsa_system_sgpr_workgroup_id_z 0
		.amdhsa_system_sgpr_workgroup_info 0
		.amdhsa_system_vgpr_workitem_id 0
		.amdhsa_next_free_vgpr 1
		.amdhsa_next_free_sgpr 0
		.amdhsa_accum_offset 4
		.amdhsa_reserve_vcc 0
		.amdhsa_reserve_flat_scratch 0
		.amdhsa_float_round_mode_32 0
		.amdhsa_float_round_mode_16_64 0
		.amdhsa_float_denorm_mode_32 3
		.amdhsa_float_denorm_mode_16_64 3
		.amdhsa_dx10_clamp 1
		.amdhsa_ieee_mode 1
		.amdhsa_fp16_overflow 0
		.amdhsa_tg_split 0
		.amdhsa_exception_fp_ieee_invalid_op 0
		.amdhsa_exception_fp_denorm_src 0
		.amdhsa_exception_fp_ieee_div_zero 0
		.amdhsa_exception_fp_ieee_overflow 0
		.amdhsa_exception_fp_ieee_underflow 0
		.amdhsa_exception_fp_ieee_inexact 0
		.amdhsa_exception_int_div_zero 0
	.end_amdhsa_kernel
	.section	.text._ZN7rocprim17ROCPRIM_400000_NS6detail17trampoline_kernelINS0_14default_configENS1_38merge_sort_block_merge_config_selectorIhlEEZZNS1_27merge_sort_block_merge_implIS3_PhN6thrust23THRUST_200600_302600_NS10device_ptrIlEEjNS1_19radix_merge_compareILb0ELb1EhNS0_19identity_decomposerEEEEE10hipError_tT0_T1_T2_jT3_P12ihipStream_tbPNSt15iterator_traitsISG_E10value_typeEPNSM_ISH_E10value_typeEPSI_NS1_7vsmem_tEENKUlT_SG_SH_SI_E_clIS7_S7_SB_PlEESF_SV_SG_SH_SI_EUlSV_E1_NS1_11comp_targetILNS1_3genE9ELNS1_11target_archE1100ELNS1_3gpuE3ELNS1_3repE0EEENS1_36merge_oddeven_config_static_selectorELNS0_4arch9wavefront6targetE1EEEvSH_,"axG",@progbits,_ZN7rocprim17ROCPRIM_400000_NS6detail17trampoline_kernelINS0_14default_configENS1_38merge_sort_block_merge_config_selectorIhlEEZZNS1_27merge_sort_block_merge_implIS3_PhN6thrust23THRUST_200600_302600_NS10device_ptrIlEEjNS1_19radix_merge_compareILb0ELb1EhNS0_19identity_decomposerEEEEE10hipError_tT0_T1_T2_jT3_P12ihipStream_tbPNSt15iterator_traitsISG_E10value_typeEPNSM_ISH_E10value_typeEPSI_NS1_7vsmem_tEENKUlT_SG_SH_SI_E_clIS7_S7_SB_PlEESF_SV_SG_SH_SI_EUlSV_E1_NS1_11comp_targetILNS1_3genE9ELNS1_11target_archE1100ELNS1_3gpuE3ELNS1_3repE0EEENS1_36merge_oddeven_config_static_selectorELNS0_4arch9wavefront6targetE1EEEvSH_,comdat
.Lfunc_end235:
	.size	_ZN7rocprim17ROCPRIM_400000_NS6detail17trampoline_kernelINS0_14default_configENS1_38merge_sort_block_merge_config_selectorIhlEEZZNS1_27merge_sort_block_merge_implIS3_PhN6thrust23THRUST_200600_302600_NS10device_ptrIlEEjNS1_19radix_merge_compareILb0ELb1EhNS0_19identity_decomposerEEEEE10hipError_tT0_T1_T2_jT3_P12ihipStream_tbPNSt15iterator_traitsISG_E10value_typeEPNSM_ISH_E10value_typeEPSI_NS1_7vsmem_tEENKUlT_SG_SH_SI_E_clIS7_S7_SB_PlEESF_SV_SG_SH_SI_EUlSV_E1_NS1_11comp_targetILNS1_3genE9ELNS1_11target_archE1100ELNS1_3gpuE3ELNS1_3repE0EEENS1_36merge_oddeven_config_static_selectorELNS0_4arch9wavefront6targetE1EEEvSH_, .Lfunc_end235-_ZN7rocprim17ROCPRIM_400000_NS6detail17trampoline_kernelINS0_14default_configENS1_38merge_sort_block_merge_config_selectorIhlEEZZNS1_27merge_sort_block_merge_implIS3_PhN6thrust23THRUST_200600_302600_NS10device_ptrIlEEjNS1_19radix_merge_compareILb0ELb1EhNS0_19identity_decomposerEEEEE10hipError_tT0_T1_T2_jT3_P12ihipStream_tbPNSt15iterator_traitsISG_E10value_typeEPNSM_ISH_E10value_typeEPSI_NS1_7vsmem_tEENKUlT_SG_SH_SI_E_clIS7_S7_SB_PlEESF_SV_SG_SH_SI_EUlSV_E1_NS1_11comp_targetILNS1_3genE9ELNS1_11target_archE1100ELNS1_3gpuE3ELNS1_3repE0EEENS1_36merge_oddeven_config_static_selectorELNS0_4arch9wavefront6targetE1EEEvSH_
                                        ; -- End function
	.section	.AMDGPU.csdata,"",@progbits
; Kernel info:
; codeLenInByte = 0
; NumSgprs: 4
; NumVgprs: 0
; NumAgprs: 0
; TotalNumVgprs: 0
; ScratchSize: 0
; MemoryBound: 0
; FloatMode: 240
; IeeeMode: 1
; LDSByteSize: 0 bytes/workgroup (compile time only)
; SGPRBlocks: 0
; VGPRBlocks: 0
; NumSGPRsForWavesPerEU: 4
; NumVGPRsForWavesPerEU: 1
; AccumOffset: 4
; Occupancy: 8
; WaveLimiterHint : 0
; COMPUTE_PGM_RSRC2:SCRATCH_EN: 0
; COMPUTE_PGM_RSRC2:USER_SGPR: 6
; COMPUTE_PGM_RSRC2:TRAP_HANDLER: 0
; COMPUTE_PGM_RSRC2:TGID_X_EN: 1
; COMPUTE_PGM_RSRC2:TGID_Y_EN: 0
; COMPUTE_PGM_RSRC2:TGID_Z_EN: 0
; COMPUTE_PGM_RSRC2:TIDIG_COMP_CNT: 0
; COMPUTE_PGM_RSRC3_GFX90A:ACCUM_OFFSET: 0
; COMPUTE_PGM_RSRC3_GFX90A:TG_SPLIT: 0
	.section	.text._ZN7rocprim17ROCPRIM_400000_NS6detail17trampoline_kernelINS0_14default_configENS1_38merge_sort_block_merge_config_selectorIhlEEZZNS1_27merge_sort_block_merge_implIS3_PhN6thrust23THRUST_200600_302600_NS10device_ptrIlEEjNS1_19radix_merge_compareILb0ELb1EhNS0_19identity_decomposerEEEEE10hipError_tT0_T1_T2_jT3_P12ihipStream_tbPNSt15iterator_traitsISG_E10value_typeEPNSM_ISH_E10value_typeEPSI_NS1_7vsmem_tEENKUlT_SG_SH_SI_E_clIS7_S7_SB_PlEESF_SV_SG_SH_SI_EUlSV_E1_NS1_11comp_targetILNS1_3genE8ELNS1_11target_archE1030ELNS1_3gpuE2ELNS1_3repE0EEENS1_36merge_oddeven_config_static_selectorELNS0_4arch9wavefront6targetE1EEEvSH_,"axG",@progbits,_ZN7rocprim17ROCPRIM_400000_NS6detail17trampoline_kernelINS0_14default_configENS1_38merge_sort_block_merge_config_selectorIhlEEZZNS1_27merge_sort_block_merge_implIS3_PhN6thrust23THRUST_200600_302600_NS10device_ptrIlEEjNS1_19radix_merge_compareILb0ELb1EhNS0_19identity_decomposerEEEEE10hipError_tT0_T1_T2_jT3_P12ihipStream_tbPNSt15iterator_traitsISG_E10value_typeEPNSM_ISH_E10value_typeEPSI_NS1_7vsmem_tEENKUlT_SG_SH_SI_E_clIS7_S7_SB_PlEESF_SV_SG_SH_SI_EUlSV_E1_NS1_11comp_targetILNS1_3genE8ELNS1_11target_archE1030ELNS1_3gpuE2ELNS1_3repE0EEENS1_36merge_oddeven_config_static_selectorELNS0_4arch9wavefront6targetE1EEEvSH_,comdat
	.protected	_ZN7rocprim17ROCPRIM_400000_NS6detail17trampoline_kernelINS0_14default_configENS1_38merge_sort_block_merge_config_selectorIhlEEZZNS1_27merge_sort_block_merge_implIS3_PhN6thrust23THRUST_200600_302600_NS10device_ptrIlEEjNS1_19radix_merge_compareILb0ELb1EhNS0_19identity_decomposerEEEEE10hipError_tT0_T1_T2_jT3_P12ihipStream_tbPNSt15iterator_traitsISG_E10value_typeEPNSM_ISH_E10value_typeEPSI_NS1_7vsmem_tEENKUlT_SG_SH_SI_E_clIS7_S7_SB_PlEESF_SV_SG_SH_SI_EUlSV_E1_NS1_11comp_targetILNS1_3genE8ELNS1_11target_archE1030ELNS1_3gpuE2ELNS1_3repE0EEENS1_36merge_oddeven_config_static_selectorELNS0_4arch9wavefront6targetE1EEEvSH_ ; -- Begin function _ZN7rocprim17ROCPRIM_400000_NS6detail17trampoline_kernelINS0_14default_configENS1_38merge_sort_block_merge_config_selectorIhlEEZZNS1_27merge_sort_block_merge_implIS3_PhN6thrust23THRUST_200600_302600_NS10device_ptrIlEEjNS1_19radix_merge_compareILb0ELb1EhNS0_19identity_decomposerEEEEE10hipError_tT0_T1_T2_jT3_P12ihipStream_tbPNSt15iterator_traitsISG_E10value_typeEPNSM_ISH_E10value_typeEPSI_NS1_7vsmem_tEENKUlT_SG_SH_SI_E_clIS7_S7_SB_PlEESF_SV_SG_SH_SI_EUlSV_E1_NS1_11comp_targetILNS1_3genE8ELNS1_11target_archE1030ELNS1_3gpuE2ELNS1_3repE0EEENS1_36merge_oddeven_config_static_selectorELNS0_4arch9wavefront6targetE1EEEvSH_
	.globl	_ZN7rocprim17ROCPRIM_400000_NS6detail17trampoline_kernelINS0_14default_configENS1_38merge_sort_block_merge_config_selectorIhlEEZZNS1_27merge_sort_block_merge_implIS3_PhN6thrust23THRUST_200600_302600_NS10device_ptrIlEEjNS1_19radix_merge_compareILb0ELb1EhNS0_19identity_decomposerEEEEE10hipError_tT0_T1_T2_jT3_P12ihipStream_tbPNSt15iterator_traitsISG_E10value_typeEPNSM_ISH_E10value_typeEPSI_NS1_7vsmem_tEENKUlT_SG_SH_SI_E_clIS7_S7_SB_PlEESF_SV_SG_SH_SI_EUlSV_E1_NS1_11comp_targetILNS1_3genE8ELNS1_11target_archE1030ELNS1_3gpuE2ELNS1_3repE0EEENS1_36merge_oddeven_config_static_selectorELNS0_4arch9wavefront6targetE1EEEvSH_
	.p2align	8
	.type	_ZN7rocprim17ROCPRIM_400000_NS6detail17trampoline_kernelINS0_14default_configENS1_38merge_sort_block_merge_config_selectorIhlEEZZNS1_27merge_sort_block_merge_implIS3_PhN6thrust23THRUST_200600_302600_NS10device_ptrIlEEjNS1_19radix_merge_compareILb0ELb1EhNS0_19identity_decomposerEEEEE10hipError_tT0_T1_T2_jT3_P12ihipStream_tbPNSt15iterator_traitsISG_E10value_typeEPNSM_ISH_E10value_typeEPSI_NS1_7vsmem_tEENKUlT_SG_SH_SI_E_clIS7_S7_SB_PlEESF_SV_SG_SH_SI_EUlSV_E1_NS1_11comp_targetILNS1_3genE8ELNS1_11target_archE1030ELNS1_3gpuE2ELNS1_3repE0EEENS1_36merge_oddeven_config_static_selectorELNS0_4arch9wavefront6targetE1EEEvSH_,@function
_ZN7rocprim17ROCPRIM_400000_NS6detail17trampoline_kernelINS0_14default_configENS1_38merge_sort_block_merge_config_selectorIhlEEZZNS1_27merge_sort_block_merge_implIS3_PhN6thrust23THRUST_200600_302600_NS10device_ptrIlEEjNS1_19radix_merge_compareILb0ELb1EhNS0_19identity_decomposerEEEEE10hipError_tT0_T1_T2_jT3_P12ihipStream_tbPNSt15iterator_traitsISG_E10value_typeEPNSM_ISH_E10value_typeEPSI_NS1_7vsmem_tEENKUlT_SG_SH_SI_E_clIS7_S7_SB_PlEESF_SV_SG_SH_SI_EUlSV_E1_NS1_11comp_targetILNS1_3genE8ELNS1_11target_archE1030ELNS1_3gpuE2ELNS1_3repE0EEENS1_36merge_oddeven_config_static_selectorELNS0_4arch9wavefront6targetE1EEEvSH_: ; @_ZN7rocprim17ROCPRIM_400000_NS6detail17trampoline_kernelINS0_14default_configENS1_38merge_sort_block_merge_config_selectorIhlEEZZNS1_27merge_sort_block_merge_implIS3_PhN6thrust23THRUST_200600_302600_NS10device_ptrIlEEjNS1_19radix_merge_compareILb0ELb1EhNS0_19identity_decomposerEEEEE10hipError_tT0_T1_T2_jT3_P12ihipStream_tbPNSt15iterator_traitsISG_E10value_typeEPNSM_ISH_E10value_typeEPSI_NS1_7vsmem_tEENKUlT_SG_SH_SI_E_clIS7_S7_SB_PlEESF_SV_SG_SH_SI_EUlSV_E1_NS1_11comp_targetILNS1_3genE8ELNS1_11target_archE1030ELNS1_3gpuE2ELNS1_3repE0EEENS1_36merge_oddeven_config_static_selectorELNS0_4arch9wavefront6targetE1EEEvSH_
; %bb.0:
	.section	.rodata,"a",@progbits
	.p2align	6, 0x0
	.amdhsa_kernel _ZN7rocprim17ROCPRIM_400000_NS6detail17trampoline_kernelINS0_14default_configENS1_38merge_sort_block_merge_config_selectorIhlEEZZNS1_27merge_sort_block_merge_implIS3_PhN6thrust23THRUST_200600_302600_NS10device_ptrIlEEjNS1_19radix_merge_compareILb0ELb1EhNS0_19identity_decomposerEEEEE10hipError_tT0_T1_T2_jT3_P12ihipStream_tbPNSt15iterator_traitsISG_E10value_typeEPNSM_ISH_E10value_typeEPSI_NS1_7vsmem_tEENKUlT_SG_SH_SI_E_clIS7_S7_SB_PlEESF_SV_SG_SH_SI_EUlSV_E1_NS1_11comp_targetILNS1_3genE8ELNS1_11target_archE1030ELNS1_3gpuE2ELNS1_3repE0EEENS1_36merge_oddeven_config_static_selectorELNS0_4arch9wavefront6targetE1EEEvSH_
		.amdhsa_group_segment_fixed_size 0
		.amdhsa_private_segment_fixed_size 0
		.amdhsa_kernarg_size 48
		.amdhsa_user_sgpr_count 6
		.amdhsa_user_sgpr_private_segment_buffer 1
		.amdhsa_user_sgpr_dispatch_ptr 0
		.amdhsa_user_sgpr_queue_ptr 0
		.amdhsa_user_sgpr_kernarg_segment_ptr 1
		.amdhsa_user_sgpr_dispatch_id 0
		.amdhsa_user_sgpr_flat_scratch_init 0
		.amdhsa_user_sgpr_kernarg_preload_length 0
		.amdhsa_user_sgpr_kernarg_preload_offset 0
		.amdhsa_user_sgpr_private_segment_size 0
		.amdhsa_uses_dynamic_stack 0
		.amdhsa_system_sgpr_private_segment_wavefront_offset 0
		.amdhsa_system_sgpr_workgroup_id_x 1
		.amdhsa_system_sgpr_workgroup_id_y 0
		.amdhsa_system_sgpr_workgroup_id_z 0
		.amdhsa_system_sgpr_workgroup_info 0
		.amdhsa_system_vgpr_workitem_id 0
		.amdhsa_next_free_vgpr 1
		.amdhsa_next_free_sgpr 0
		.amdhsa_accum_offset 4
		.amdhsa_reserve_vcc 0
		.amdhsa_reserve_flat_scratch 0
		.amdhsa_float_round_mode_32 0
		.amdhsa_float_round_mode_16_64 0
		.amdhsa_float_denorm_mode_32 3
		.amdhsa_float_denorm_mode_16_64 3
		.amdhsa_dx10_clamp 1
		.amdhsa_ieee_mode 1
		.amdhsa_fp16_overflow 0
		.amdhsa_tg_split 0
		.amdhsa_exception_fp_ieee_invalid_op 0
		.amdhsa_exception_fp_denorm_src 0
		.amdhsa_exception_fp_ieee_div_zero 0
		.amdhsa_exception_fp_ieee_overflow 0
		.amdhsa_exception_fp_ieee_underflow 0
		.amdhsa_exception_fp_ieee_inexact 0
		.amdhsa_exception_int_div_zero 0
	.end_amdhsa_kernel
	.section	.text._ZN7rocprim17ROCPRIM_400000_NS6detail17trampoline_kernelINS0_14default_configENS1_38merge_sort_block_merge_config_selectorIhlEEZZNS1_27merge_sort_block_merge_implIS3_PhN6thrust23THRUST_200600_302600_NS10device_ptrIlEEjNS1_19radix_merge_compareILb0ELb1EhNS0_19identity_decomposerEEEEE10hipError_tT0_T1_T2_jT3_P12ihipStream_tbPNSt15iterator_traitsISG_E10value_typeEPNSM_ISH_E10value_typeEPSI_NS1_7vsmem_tEENKUlT_SG_SH_SI_E_clIS7_S7_SB_PlEESF_SV_SG_SH_SI_EUlSV_E1_NS1_11comp_targetILNS1_3genE8ELNS1_11target_archE1030ELNS1_3gpuE2ELNS1_3repE0EEENS1_36merge_oddeven_config_static_selectorELNS0_4arch9wavefront6targetE1EEEvSH_,"axG",@progbits,_ZN7rocprim17ROCPRIM_400000_NS6detail17trampoline_kernelINS0_14default_configENS1_38merge_sort_block_merge_config_selectorIhlEEZZNS1_27merge_sort_block_merge_implIS3_PhN6thrust23THRUST_200600_302600_NS10device_ptrIlEEjNS1_19radix_merge_compareILb0ELb1EhNS0_19identity_decomposerEEEEE10hipError_tT0_T1_T2_jT3_P12ihipStream_tbPNSt15iterator_traitsISG_E10value_typeEPNSM_ISH_E10value_typeEPSI_NS1_7vsmem_tEENKUlT_SG_SH_SI_E_clIS7_S7_SB_PlEESF_SV_SG_SH_SI_EUlSV_E1_NS1_11comp_targetILNS1_3genE8ELNS1_11target_archE1030ELNS1_3gpuE2ELNS1_3repE0EEENS1_36merge_oddeven_config_static_selectorELNS0_4arch9wavefront6targetE1EEEvSH_,comdat
.Lfunc_end236:
	.size	_ZN7rocprim17ROCPRIM_400000_NS6detail17trampoline_kernelINS0_14default_configENS1_38merge_sort_block_merge_config_selectorIhlEEZZNS1_27merge_sort_block_merge_implIS3_PhN6thrust23THRUST_200600_302600_NS10device_ptrIlEEjNS1_19radix_merge_compareILb0ELb1EhNS0_19identity_decomposerEEEEE10hipError_tT0_T1_T2_jT3_P12ihipStream_tbPNSt15iterator_traitsISG_E10value_typeEPNSM_ISH_E10value_typeEPSI_NS1_7vsmem_tEENKUlT_SG_SH_SI_E_clIS7_S7_SB_PlEESF_SV_SG_SH_SI_EUlSV_E1_NS1_11comp_targetILNS1_3genE8ELNS1_11target_archE1030ELNS1_3gpuE2ELNS1_3repE0EEENS1_36merge_oddeven_config_static_selectorELNS0_4arch9wavefront6targetE1EEEvSH_, .Lfunc_end236-_ZN7rocprim17ROCPRIM_400000_NS6detail17trampoline_kernelINS0_14default_configENS1_38merge_sort_block_merge_config_selectorIhlEEZZNS1_27merge_sort_block_merge_implIS3_PhN6thrust23THRUST_200600_302600_NS10device_ptrIlEEjNS1_19radix_merge_compareILb0ELb1EhNS0_19identity_decomposerEEEEE10hipError_tT0_T1_T2_jT3_P12ihipStream_tbPNSt15iterator_traitsISG_E10value_typeEPNSM_ISH_E10value_typeEPSI_NS1_7vsmem_tEENKUlT_SG_SH_SI_E_clIS7_S7_SB_PlEESF_SV_SG_SH_SI_EUlSV_E1_NS1_11comp_targetILNS1_3genE8ELNS1_11target_archE1030ELNS1_3gpuE2ELNS1_3repE0EEENS1_36merge_oddeven_config_static_selectorELNS0_4arch9wavefront6targetE1EEEvSH_
                                        ; -- End function
	.section	.AMDGPU.csdata,"",@progbits
; Kernel info:
; codeLenInByte = 0
; NumSgprs: 4
; NumVgprs: 0
; NumAgprs: 0
; TotalNumVgprs: 0
; ScratchSize: 0
; MemoryBound: 0
; FloatMode: 240
; IeeeMode: 1
; LDSByteSize: 0 bytes/workgroup (compile time only)
; SGPRBlocks: 0
; VGPRBlocks: 0
; NumSGPRsForWavesPerEU: 4
; NumVGPRsForWavesPerEU: 1
; AccumOffset: 4
; Occupancy: 8
; WaveLimiterHint : 0
; COMPUTE_PGM_RSRC2:SCRATCH_EN: 0
; COMPUTE_PGM_RSRC2:USER_SGPR: 6
; COMPUTE_PGM_RSRC2:TRAP_HANDLER: 0
; COMPUTE_PGM_RSRC2:TGID_X_EN: 1
; COMPUTE_PGM_RSRC2:TGID_Y_EN: 0
; COMPUTE_PGM_RSRC2:TGID_Z_EN: 0
; COMPUTE_PGM_RSRC2:TIDIG_COMP_CNT: 0
; COMPUTE_PGM_RSRC3_GFX90A:ACCUM_OFFSET: 0
; COMPUTE_PGM_RSRC3_GFX90A:TG_SPLIT: 0
	.section	.text._ZN7rocprim17ROCPRIM_400000_NS6detail17trampoline_kernelINS0_14default_configENS1_35radix_sort_onesweep_config_selectorIhlEEZNS1_34radix_sort_onesweep_global_offsetsIS3_Lb0EPhN6thrust23THRUST_200600_302600_NS10device_ptrIlEEjNS0_19identity_decomposerEEE10hipError_tT1_T2_PT3_SG_jT4_jjP12ihipStream_tbEUlT_E_NS1_11comp_targetILNS1_3genE0ELNS1_11target_archE4294967295ELNS1_3gpuE0ELNS1_3repE0EEENS1_52radix_sort_onesweep_histogram_config_static_selectorELNS0_4arch9wavefront6targetE1EEEvSE_,"axG",@progbits,_ZN7rocprim17ROCPRIM_400000_NS6detail17trampoline_kernelINS0_14default_configENS1_35radix_sort_onesweep_config_selectorIhlEEZNS1_34radix_sort_onesweep_global_offsetsIS3_Lb0EPhN6thrust23THRUST_200600_302600_NS10device_ptrIlEEjNS0_19identity_decomposerEEE10hipError_tT1_T2_PT3_SG_jT4_jjP12ihipStream_tbEUlT_E_NS1_11comp_targetILNS1_3genE0ELNS1_11target_archE4294967295ELNS1_3gpuE0ELNS1_3repE0EEENS1_52radix_sort_onesweep_histogram_config_static_selectorELNS0_4arch9wavefront6targetE1EEEvSE_,comdat
	.protected	_ZN7rocprim17ROCPRIM_400000_NS6detail17trampoline_kernelINS0_14default_configENS1_35radix_sort_onesweep_config_selectorIhlEEZNS1_34radix_sort_onesweep_global_offsetsIS3_Lb0EPhN6thrust23THRUST_200600_302600_NS10device_ptrIlEEjNS0_19identity_decomposerEEE10hipError_tT1_T2_PT3_SG_jT4_jjP12ihipStream_tbEUlT_E_NS1_11comp_targetILNS1_3genE0ELNS1_11target_archE4294967295ELNS1_3gpuE0ELNS1_3repE0EEENS1_52radix_sort_onesweep_histogram_config_static_selectorELNS0_4arch9wavefront6targetE1EEEvSE_ ; -- Begin function _ZN7rocprim17ROCPRIM_400000_NS6detail17trampoline_kernelINS0_14default_configENS1_35radix_sort_onesweep_config_selectorIhlEEZNS1_34radix_sort_onesweep_global_offsetsIS3_Lb0EPhN6thrust23THRUST_200600_302600_NS10device_ptrIlEEjNS0_19identity_decomposerEEE10hipError_tT1_T2_PT3_SG_jT4_jjP12ihipStream_tbEUlT_E_NS1_11comp_targetILNS1_3genE0ELNS1_11target_archE4294967295ELNS1_3gpuE0ELNS1_3repE0EEENS1_52radix_sort_onesweep_histogram_config_static_selectorELNS0_4arch9wavefront6targetE1EEEvSE_
	.globl	_ZN7rocprim17ROCPRIM_400000_NS6detail17trampoline_kernelINS0_14default_configENS1_35radix_sort_onesweep_config_selectorIhlEEZNS1_34radix_sort_onesweep_global_offsetsIS3_Lb0EPhN6thrust23THRUST_200600_302600_NS10device_ptrIlEEjNS0_19identity_decomposerEEE10hipError_tT1_T2_PT3_SG_jT4_jjP12ihipStream_tbEUlT_E_NS1_11comp_targetILNS1_3genE0ELNS1_11target_archE4294967295ELNS1_3gpuE0ELNS1_3repE0EEENS1_52radix_sort_onesweep_histogram_config_static_selectorELNS0_4arch9wavefront6targetE1EEEvSE_
	.p2align	8
	.type	_ZN7rocprim17ROCPRIM_400000_NS6detail17trampoline_kernelINS0_14default_configENS1_35radix_sort_onesweep_config_selectorIhlEEZNS1_34radix_sort_onesweep_global_offsetsIS3_Lb0EPhN6thrust23THRUST_200600_302600_NS10device_ptrIlEEjNS0_19identity_decomposerEEE10hipError_tT1_T2_PT3_SG_jT4_jjP12ihipStream_tbEUlT_E_NS1_11comp_targetILNS1_3genE0ELNS1_11target_archE4294967295ELNS1_3gpuE0ELNS1_3repE0EEENS1_52radix_sort_onesweep_histogram_config_static_selectorELNS0_4arch9wavefront6targetE1EEEvSE_,@function
_ZN7rocprim17ROCPRIM_400000_NS6detail17trampoline_kernelINS0_14default_configENS1_35radix_sort_onesweep_config_selectorIhlEEZNS1_34radix_sort_onesweep_global_offsetsIS3_Lb0EPhN6thrust23THRUST_200600_302600_NS10device_ptrIlEEjNS0_19identity_decomposerEEE10hipError_tT1_T2_PT3_SG_jT4_jjP12ihipStream_tbEUlT_E_NS1_11comp_targetILNS1_3genE0ELNS1_11target_archE4294967295ELNS1_3gpuE0ELNS1_3repE0EEENS1_52radix_sort_onesweep_histogram_config_static_selectorELNS0_4arch9wavefront6targetE1EEEvSE_: ; @_ZN7rocprim17ROCPRIM_400000_NS6detail17trampoline_kernelINS0_14default_configENS1_35radix_sort_onesweep_config_selectorIhlEEZNS1_34radix_sort_onesweep_global_offsetsIS3_Lb0EPhN6thrust23THRUST_200600_302600_NS10device_ptrIlEEjNS0_19identity_decomposerEEE10hipError_tT1_T2_PT3_SG_jT4_jjP12ihipStream_tbEUlT_E_NS1_11comp_targetILNS1_3genE0ELNS1_11target_archE4294967295ELNS1_3gpuE0ELNS1_3repE0EEENS1_52radix_sort_onesweep_histogram_config_static_selectorELNS0_4arch9wavefront6targetE1EEEvSE_
; %bb.0:
	.section	.rodata,"a",@progbits
	.p2align	6, 0x0
	.amdhsa_kernel _ZN7rocprim17ROCPRIM_400000_NS6detail17trampoline_kernelINS0_14default_configENS1_35radix_sort_onesweep_config_selectorIhlEEZNS1_34radix_sort_onesweep_global_offsetsIS3_Lb0EPhN6thrust23THRUST_200600_302600_NS10device_ptrIlEEjNS0_19identity_decomposerEEE10hipError_tT1_T2_PT3_SG_jT4_jjP12ihipStream_tbEUlT_E_NS1_11comp_targetILNS1_3genE0ELNS1_11target_archE4294967295ELNS1_3gpuE0ELNS1_3repE0EEENS1_52radix_sort_onesweep_histogram_config_static_selectorELNS0_4arch9wavefront6targetE1EEEvSE_
		.amdhsa_group_segment_fixed_size 0
		.amdhsa_private_segment_fixed_size 0
		.amdhsa_kernarg_size 40
		.amdhsa_user_sgpr_count 6
		.amdhsa_user_sgpr_private_segment_buffer 1
		.amdhsa_user_sgpr_dispatch_ptr 0
		.amdhsa_user_sgpr_queue_ptr 0
		.amdhsa_user_sgpr_kernarg_segment_ptr 1
		.amdhsa_user_sgpr_dispatch_id 0
		.amdhsa_user_sgpr_flat_scratch_init 0
		.amdhsa_user_sgpr_kernarg_preload_length 0
		.amdhsa_user_sgpr_kernarg_preload_offset 0
		.amdhsa_user_sgpr_private_segment_size 0
		.amdhsa_uses_dynamic_stack 0
		.amdhsa_system_sgpr_private_segment_wavefront_offset 0
		.amdhsa_system_sgpr_workgroup_id_x 1
		.amdhsa_system_sgpr_workgroup_id_y 0
		.amdhsa_system_sgpr_workgroup_id_z 0
		.amdhsa_system_sgpr_workgroup_info 0
		.amdhsa_system_vgpr_workitem_id 0
		.amdhsa_next_free_vgpr 1
		.amdhsa_next_free_sgpr 0
		.amdhsa_accum_offset 4
		.amdhsa_reserve_vcc 0
		.amdhsa_reserve_flat_scratch 0
		.amdhsa_float_round_mode_32 0
		.amdhsa_float_round_mode_16_64 0
		.amdhsa_float_denorm_mode_32 3
		.amdhsa_float_denorm_mode_16_64 3
		.amdhsa_dx10_clamp 1
		.amdhsa_ieee_mode 1
		.amdhsa_fp16_overflow 0
		.amdhsa_tg_split 0
		.amdhsa_exception_fp_ieee_invalid_op 0
		.amdhsa_exception_fp_denorm_src 0
		.amdhsa_exception_fp_ieee_div_zero 0
		.amdhsa_exception_fp_ieee_overflow 0
		.amdhsa_exception_fp_ieee_underflow 0
		.amdhsa_exception_fp_ieee_inexact 0
		.amdhsa_exception_int_div_zero 0
	.end_amdhsa_kernel
	.section	.text._ZN7rocprim17ROCPRIM_400000_NS6detail17trampoline_kernelINS0_14default_configENS1_35radix_sort_onesweep_config_selectorIhlEEZNS1_34radix_sort_onesweep_global_offsetsIS3_Lb0EPhN6thrust23THRUST_200600_302600_NS10device_ptrIlEEjNS0_19identity_decomposerEEE10hipError_tT1_T2_PT3_SG_jT4_jjP12ihipStream_tbEUlT_E_NS1_11comp_targetILNS1_3genE0ELNS1_11target_archE4294967295ELNS1_3gpuE0ELNS1_3repE0EEENS1_52radix_sort_onesweep_histogram_config_static_selectorELNS0_4arch9wavefront6targetE1EEEvSE_,"axG",@progbits,_ZN7rocprim17ROCPRIM_400000_NS6detail17trampoline_kernelINS0_14default_configENS1_35radix_sort_onesweep_config_selectorIhlEEZNS1_34radix_sort_onesweep_global_offsetsIS3_Lb0EPhN6thrust23THRUST_200600_302600_NS10device_ptrIlEEjNS0_19identity_decomposerEEE10hipError_tT1_T2_PT3_SG_jT4_jjP12ihipStream_tbEUlT_E_NS1_11comp_targetILNS1_3genE0ELNS1_11target_archE4294967295ELNS1_3gpuE0ELNS1_3repE0EEENS1_52radix_sort_onesweep_histogram_config_static_selectorELNS0_4arch9wavefront6targetE1EEEvSE_,comdat
.Lfunc_end237:
	.size	_ZN7rocprim17ROCPRIM_400000_NS6detail17trampoline_kernelINS0_14default_configENS1_35radix_sort_onesweep_config_selectorIhlEEZNS1_34radix_sort_onesweep_global_offsetsIS3_Lb0EPhN6thrust23THRUST_200600_302600_NS10device_ptrIlEEjNS0_19identity_decomposerEEE10hipError_tT1_T2_PT3_SG_jT4_jjP12ihipStream_tbEUlT_E_NS1_11comp_targetILNS1_3genE0ELNS1_11target_archE4294967295ELNS1_3gpuE0ELNS1_3repE0EEENS1_52radix_sort_onesweep_histogram_config_static_selectorELNS0_4arch9wavefront6targetE1EEEvSE_, .Lfunc_end237-_ZN7rocprim17ROCPRIM_400000_NS6detail17trampoline_kernelINS0_14default_configENS1_35radix_sort_onesweep_config_selectorIhlEEZNS1_34radix_sort_onesweep_global_offsetsIS3_Lb0EPhN6thrust23THRUST_200600_302600_NS10device_ptrIlEEjNS0_19identity_decomposerEEE10hipError_tT1_T2_PT3_SG_jT4_jjP12ihipStream_tbEUlT_E_NS1_11comp_targetILNS1_3genE0ELNS1_11target_archE4294967295ELNS1_3gpuE0ELNS1_3repE0EEENS1_52radix_sort_onesweep_histogram_config_static_selectorELNS0_4arch9wavefront6targetE1EEEvSE_
                                        ; -- End function
	.section	.AMDGPU.csdata,"",@progbits
; Kernel info:
; codeLenInByte = 0
; NumSgprs: 4
; NumVgprs: 0
; NumAgprs: 0
; TotalNumVgprs: 0
; ScratchSize: 0
; MemoryBound: 0
; FloatMode: 240
; IeeeMode: 1
; LDSByteSize: 0 bytes/workgroup (compile time only)
; SGPRBlocks: 0
; VGPRBlocks: 0
; NumSGPRsForWavesPerEU: 4
; NumVGPRsForWavesPerEU: 1
; AccumOffset: 4
; Occupancy: 8
; WaveLimiterHint : 0
; COMPUTE_PGM_RSRC2:SCRATCH_EN: 0
; COMPUTE_PGM_RSRC2:USER_SGPR: 6
; COMPUTE_PGM_RSRC2:TRAP_HANDLER: 0
; COMPUTE_PGM_RSRC2:TGID_X_EN: 1
; COMPUTE_PGM_RSRC2:TGID_Y_EN: 0
; COMPUTE_PGM_RSRC2:TGID_Z_EN: 0
; COMPUTE_PGM_RSRC2:TIDIG_COMP_CNT: 0
; COMPUTE_PGM_RSRC3_GFX90A:ACCUM_OFFSET: 0
; COMPUTE_PGM_RSRC3_GFX90A:TG_SPLIT: 0
	.section	.text._ZN7rocprim17ROCPRIM_400000_NS6detail17trampoline_kernelINS0_14default_configENS1_35radix_sort_onesweep_config_selectorIhlEEZNS1_34radix_sort_onesweep_global_offsetsIS3_Lb0EPhN6thrust23THRUST_200600_302600_NS10device_ptrIlEEjNS0_19identity_decomposerEEE10hipError_tT1_T2_PT3_SG_jT4_jjP12ihipStream_tbEUlT_E_NS1_11comp_targetILNS1_3genE6ELNS1_11target_archE950ELNS1_3gpuE13ELNS1_3repE0EEENS1_52radix_sort_onesweep_histogram_config_static_selectorELNS0_4arch9wavefront6targetE1EEEvSE_,"axG",@progbits,_ZN7rocprim17ROCPRIM_400000_NS6detail17trampoline_kernelINS0_14default_configENS1_35radix_sort_onesweep_config_selectorIhlEEZNS1_34radix_sort_onesweep_global_offsetsIS3_Lb0EPhN6thrust23THRUST_200600_302600_NS10device_ptrIlEEjNS0_19identity_decomposerEEE10hipError_tT1_T2_PT3_SG_jT4_jjP12ihipStream_tbEUlT_E_NS1_11comp_targetILNS1_3genE6ELNS1_11target_archE950ELNS1_3gpuE13ELNS1_3repE0EEENS1_52radix_sort_onesweep_histogram_config_static_selectorELNS0_4arch9wavefront6targetE1EEEvSE_,comdat
	.protected	_ZN7rocprim17ROCPRIM_400000_NS6detail17trampoline_kernelINS0_14default_configENS1_35radix_sort_onesweep_config_selectorIhlEEZNS1_34radix_sort_onesweep_global_offsetsIS3_Lb0EPhN6thrust23THRUST_200600_302600_NS10device_ptrIlEEjNS0_19identity_decomposerEEE10hipError_tT1_T2_PT3_SG_jT4_jjP12ihipStream_tbEUlT_E_NS1_11comp_targetILNS1_3genE6ELNS1_11target_archE950ELNS1_3gpuE13ELNS1_3repE0EEENS1_52radix_sort_onesweep_histogram_config_static_selectorELNS0_4arch9wavefront6targetE1EEEvSE_ ; -- Begin function _ZN7rocprim17ROCPRIM_400000_NS6detail17trampoline_kernelINS0_14default_configENS1_35radix_sort_onesweep_config_selectorIhlEEZNS1_34radix_sort_onesweep_global_offsetsIS3_Lb0EPhN6thrust23THRUST_200600_302600_NS10device_ptrIlEEjNS0_19identity_decomposerEEE10hipError_tT1_T2_PT3_SG_jT4_jjP12ihipStream_tbEUlT_E_NS1_11comp_targetILNS1_3genE6ELNS1_11target_archE950ELNS1_3gpuE13ELNS1_3repE0EEENS1_52radix_sort_onesweep_histogram_config_static_selectorELNS0_4arch9wavefront6targetE1EEEvSE_
	.globl	_ZN7rocprim17ROCPRIM_400000_NS6detail17trampoline_kernelINS0_14default_configENS1_35radix_sort_onesweep_config_selectorIhlEEZNS1_34radix_sort_onesweep_global_offsetsIS3_Lb0EPhN6thrust23THRUST_200600_302600_NS10device_ptrIlEEjNS0_19identity_decomposerEEE10hipError_tT1_T2_PT3_SG_jT4_jjP12ihipStream_tbEUlT_E_NS1_11comp_targetILNS1_3genE6ELNS1_11target_archE950ELNS1_3gpuE13ELNS1_3repE0EEENS1_52radix_sort_onesweep_histogram_config_static_selectorELNS0_4arch9wavefront6targetE1EEEvSE_
	.p2align	8
	.type	_ZN7rocprim17ROCPRIM_400000_NS6detail17trampoline_kernelINS0_14default_configENS1_35radix_sort_onesweep_config_selectorIhlEEZNS1_34radix_sort_onesweep_global_offsetsIS3_Lb0EPhN6thrust23THRUST_200600_302600_NS10device_ptrIlEEjNS0_19identity_decomposerEEE10hipError_tT1_T2_PT3_SG_jT4_jjP12ihipStream_tbEUlT_E_NS1_11comp_targetILNS1_3genE6ELNS1_11target_archE950ELNS1_3gpuE13ELNS1_3repE0EEENS1_52radix_sort_onesweep_histogram_config_static_selectorELNS0_4arch9wavefront6targetE1EEEvSE_,@function
_ZN7rocprim17ROCPRIM_400000_NS6detail17trampoline_kernelINS0_14default_configENS1_35radix_sort_onesweep_config_selectorIhlEEZNS1_34radix_sort_onesweep_global_offsetsIS3_Lb0EPhN6thrust23THRUST_200600_302600_NS10device_ptrIlEEjNS0_19identity_decomposerEEE10hipError_tT1_T2_PT3_SG_jT4_jjP12ihipStream_tbEUlT_E_NS1_11comp_targetILNS1_3genE6ELNS1_11target_archE950ELNS1_3gpuE13ELNS1_3repE0EEENS1_52radix_sort_onesweep_histogram_config_static_selectorELNS0_4arch9wavefront6targetE1EEEvSE_: ; @_ZN7rocprim17ROCPRIM_400000_NS6detail17trampoline_kernelINS0_14default_configENS1_35radix_sort_onesweep_config_selectorIhlEEZNS1_34radix_sort_onesweep_global_offsetsIS3_Lb0EPhN6thrust23THRUST_200600_302600_NS10device_ptrIlEEjNS0_19identity_decomposerEEE10hipError_tT1_T2_PT3_SG_jT4_jjP12ihipStream_tbEUlT_E_NS1_11comp_targetILNS1_3genE6ELNS1_11target_archE950ELNS1_3gpuE13ELNS1_3repE0EEENS1_52radix_sort_onesweep_histogram_config_static_selectorELNS0_4arch9wavefront6targetE1EEEvSE_
; %bb.0:
	.section	.rodata,"a",@progbits
	.p2align	6, 0x0
	.amdhsa_kernel _ZN7rocprim17ROCPRIM_400000_NS6detail17trampoline_kernelINS0_14default_configENS1_35radix_sort_onesweep_config_selectorIhlEEZNS1_34radix_sort_onesweep_global_offsetsIS3_Lb0EPhN6thrust23THRUST_200600_302600_NS10device_ptrIlEEjNS0_19identity_decomposerEEE10hipError_tT1_T2_PT3_SG_jT4_jjP12ihipStream_tbEUlT_E_NS1_11comp_targetILNS1_3genE6ELNS1_11target_archE950ELNS1_3gpuE13ELNS1_3repE0EEENS1_52radix_sort_onesweep_histogram_config_static_selectorELNS0_4arch9wavefront6targetE1EEEvSE_
		.amdhsa_group_segment_fixed_size 0
		.amdhsa_private_segment_fixed_size 0
		.amdhsa_kernarg_size 40
		.amdhsa_user_sgpr_count 6
		.amdhsa_user_sgpr_private_segment_buffer 1
		.amdhsa_user_sgpr_dispatch_ptr 0
		.amdhsa_user_sgpr_queue_ptr 0
		.amdhsa_user_sgpr_kernarg_segment_ptr 1
		.amdhsa_user_sgpr_dispatch_id 0
		.amdhsa_user_sgpr_flat_scratch_init 0
		.amdhsa_user_sgpr_kernarg_preload_length 0
		.amdhsa_user_sgpr_kernarg_preload_offset 0
		.amdhsa_user_sgpr_private_segment_size 0
		.amdhsa_uses_dynamic_stack 0
		.amdhsa_system_sgpr_private_segment_wavefront_offset 0
		.amdhsa_system_sgpr_workgroup_id_x 1
		.amdhsa_system_sgpr_workgroup_id_y 0
		.amdhsa_system_sgpr_workgroup_id_z 0
		.amdhsa_system_sgpr_workgroup_info 0
		.amdhsa_system_vgpr_workitem_id 0
		.amdhsa_next_free_vgpr 1
		.amdhsa_next_free_sgpr 0
		.amdhsa_accum_offset 4
		.amdhsa_reserve_vcc 0
		.amdhsa_reserve_flat_scratch 0
		.amdhsa_float_round_mode_32 0
		.amdhsa_float_round_mode_16_64 0
		.amdhsa_float_denorm_mode_32 3
		.amdhsa_float_denorm_mode_16_64 3
		.amdhsa_dx10_clamp 1
		.amdhsa_ieee_mode 1
		.amdhsa_fp16_overflow 0
		.amdhsa_tg_split 0
		.amdhsa_exception_fp_ieee_invalid_op 0
		.amdhsa_exception_fp_denorm_src 0
		.amdhsa_exception_fp_ieee_div_zero 0
		.amdhsa_exception_fp_ieee_overflow 0
		.amdhsa_exception_fp_ieee_underflow 0
		.amdhsa_exception_fp_ieee_inexact 0
		.amdhsa_exception_int_div_zero 0
	.end_amdhsa_kernel
	.section	.text._ZN7rocprim17ROCPRIM_400000_NS6detail17trampoline_kernelINS0_14default_configENS1_35radix_sort_onesweep_config_selectorIhlEEZNS1_34radix_sort_onesweep_global_offsetsIS3_Lb0EPhN6thrust23THRUST_200600_302600_NS10device_ptrIlEEjNS0_19identity_decomposerEEE10hipError_tT1_T2_PT3_SG_jT4_jjP12ihipStream_tbEUlT_E_NS1_11comp_targetILNS1_3genE6ELNS1_11target_archE950ELNS1_3gpuE13ELNS1_3repE0EEENS1_52radix_sort_onesweep_histogram_config_static_selectorELNS0_4arch9wavefront6targetE1EEEvSE_,"axG",@progbits,_ZN7rocprim17ROCPRIM_400000_NS6detail17trampoline_kernelINS0_14default_configENS1_35radix_sort_onesweep_config_selectorIhlEEZNS1_34radix_sort_onesweep_global_offsetsIS3_Lb0EPhN6thrust23THRUST_200600_302600_NS10device_ptrIlEEjNS0_19identity_decomposerEEE10hipError_tT1_T2_PT3_SG_jT4_jjP12ihipStream_tbEUlT_E_NS1_11comp_targetILNS1_3genE6ELNS1_11target_archE950ELNS1_3gpuE13ELNS1_3repE0EEENS1_52radix_sort_onesweep_histogram_config_static_selectorELNS0_4arch9wavefront6targetE1EEEvSE_,comdat
.Lfunc_end238:
	.size	_ZN7rocprim17ROCPRIM_400000_NS6detail17trampoline_kernelINS0_14default_configENS1_35radix_sort_onesweep_config_selectorIhlEEZNS1_34radix_sort_onesweep_global_offsetsIS3_Lb0EPhN6thrust23THRUST_200600_302600_NS10device_ptrIlEEjNS0_19identity_decomposerEEE10hipError_tT1_T2_PT3_SG_jT4_jjP12ihipStream_tbEUlT_E_NS1_11comp_targetILNS1_3genE6ELNS1_11target_archE950ELNS1_3gpuE13ELNS1_3repE0EEENS1_52radix_sort_onesweep_histogram_config_static_selectorELNS0_4arch9wavefront6targetE1EEEvSE_, .Lfunc_end238-_ZN7rocprim17ROCPRIM_400000_NS6detail17trampoline_kernelINS0_14default_configENS1_35radix_sort_onesweep_config_selectorIhlEEZNS1_34radix_sort_onesweep_global_offsetsIS3_Lb0EPhN6thrust23THRUST_200600_302600_NS10device_ptrIlEEjNS0_19identity_decomposerEEE10hipError_tT1_T2_PT3_SG_jT4_jjP12ihipStream_tbEUlT_E_NS1_11comp_targetILNS1_3genE6ELNS1_11target_archE950ELNS1_3gpuE13ELNS1_3repE0EEENS1_52radix_sort_onesweep_histogram_config_static_selectorELNS0_4arch9wavefront6targetE1EEEvSE_
                                        ; -- End function
	.section	.AMDGPU.csdata,"",@progbits
; Kernel info:
; codeLenInByte = 0
; NumSgprs: 4
; NumVgprs: 0
; NumAgprs: 0
; TotalNumVgprs: 0
; ScratchSize: 0
; MemoryBound: 0
; FloatMode: 240
; IeeeMode: 1
; LDSByteSize: 0 bytes/workgroup (compile time only)
; SGPRBlocks: 0
; VGPRBlocks: 0
; NumSGPRsForWavesPerEU: 4
; NumVGPRsForWavesPerEU: 1
; AccumOffset: 4
; Occupancy: 8
; WaveLimiterHint : 0
; COMPUTE_PGM_RSRC2:SCRATCH_EN: 0
; COMPUTE_PGM_RSRC2:USER_SGPR: 6
; COMPUTE_PGM_RSRC2:TRAP_HANDLER: 0
; COMPUTE_PGM_RSRC2:TGID_X_EN: 1
; COMPUTE_PGM_RSRC2:TGID_Y_EN: 0
; COMPUTE_PGM_RSRC2:TGID_Z_EN: 0
; COMPUTE_PGM_RSRC2:TIDIG_COMP_CNT: 0
; COMPUTE_PGM_RSRC3_GFX90A:ACCUM_OFFSET: 0
; COMPUTE_PGM_RSRC3_GFX90A:TG_SPLIT: 0
	.section	.text._ZN7rocprim17ROCPRIM_400000_NS6detail17trampoline_kernelINS0_14default_configENS1_35radix_sort_onesweep_config_selectorIhlEEZNS1_34radix_sort_onesweep_global_offsetsIS3_Lb0EPhN6thrust23THRUST_200600_302600_NS10device_ptrIlEEjNS0_19identity_decomposerEEE10hipError_tT1_T2_PT3_SG_jT4_jjP12ihipStream_tbEUlT_E_NS1_11comp_targetILNS1_3genE5ELNS1_11target_archE942ELNS1_3gpuE9ELNS1_3repE0EEENS1_52radix_sort_onesweep_histogram_config_static_selectorELNS0_4arch9wavefront6targetE1EEEvSE_,"axG",@progbits,_ZN7rocprim17ROCPRIM_400000_NS6detail17trampoline_kernelINS0_14default_configENS1_35radix_sort_onesweep_config_selectorIhlEEZNS1_34radix_sort_onesweep_global_offsetsIS3_Lb0EPhN6thrust23THRUST_200600_302600_NS10device_ptrIlEEjNS0_19identity_decomposerEEE10hipError_tT1_T2_PT3_SG_jT4_jjP12ihipStream_tbEUlT_E_NS1_11comp_targetILNS1_3genE5ELNS1_11target_archE942ELNS1_3gpuE9ELNS1_3repE0EEENS1_52radix_sort_onesweep_histogram_config_static_selectorELNS0_4arch9wavefront6targetE1EEEvSE_,comdat
	.protected	_ZN7rocprim17ROCPRIM_400000_NS6detail17trampoline_kernelINS0_14default_configENS1_35radix_sort_onesweep_config_selectorIhlEEZNS1_34radix_sort_onesweep_global_offsetsIS3_Lb0EPhN6thrust23THRUST_200600_302600_NS10device_ptrIlEEjNS0_19identity_decomposerEEE10hipError_tT1_T2_PT3_SG_jT4_jjP12ihipStream_tbEUlT_E_NS1_11comp_targetILNS1_3genE5ELNS1_11target_archE942ELNS1_3gpuE9ELNS1_3repE0EEENS1_52radix_sort_onesweep_histogram_config_static_selectorELNS0_4arch9wavefront6targetE1EEEvSE_ ; -- Begin function _ZN7rocprim17ROCPRIM_400000_NS6detail17trampoline_kernelINS0_14default_configENS1_35radix_sort_onesweep_config_selectorIhlEEZNS1_34radix_sort_onesweep_global_offsetsIS3_Lb0EPhN6thrust23THRUST_200600_302600_NS10device_ptrIlEEjNS0_19identity_decomposerEEE10hipError_tT1_T2_PT3_SG_jT4_jjP12ihipStream_tbEUlT_E_NS1_11comp_targetILNS1_3genE5ELNS1_11target_archE942ELNS1_3gpuE9ELNS1_3repE0EEENS1_52radix_sort_onesweep_histogram_config_static_selectorELNS0_4arch9wavefront6targetE1EEEvSE_
	.globl	_ZN7rocprim17ROCPRIM_400000_NS6detail17trampoline_kernelINS0_14default_configENS1_35radix_sort_onesweep_config_selectorIhlEEZNS1_34radix_sort_onesweep_global_offsetsIS3_Lb0EPhN6thrust23THRUST_200600_302600_NS10device_ptrIlEEjNS0_19identity_decomposerEEE10hipError_tT1_T2_PT3_SG_jT4_jjP12ihipStream_tbEUlT_E_NS1_11comp_targetILNS1_3genE5ELNS1_11target_archE942ELNS1_3gpuE9ELNS1_3repE0EEENS1_52radix_sort_onesweep_histogram_config_static_selectorELNS0_4arch9wavefront6targetE1EEEvSE_
	.p2align	8
	.type	_ZN7rocprim17ROCPRIM_400000_NS6detail17trampoline_kernelINS0_14default_configENS1_35radix_sort_onesweep_config_selectorIhlEEZNS1_34radix_sort_onesweep_global_offsetsIS3_Lb0EPhN6thrust23THRUST_200600_302600_NS10device_ptrIlEEjNS0_19identity_decomposerEEE10hipError_tT1_T2_PT3_SG_jT4_jjP12ihipStream_tbEUlT_E_NS1_11comp_targetILNS1_3genE5ELNS1_11target_archE942ELNS1_3gpuE9ELNS1_3repE0EEENS1_52radix_sort_onesweep_histogram_config_static_selectorELNS0_4arch9wavefront6targetE1EEEvSE_,@function
_ZN7rocprim17ROCPRIM_400000_NS6detail17trampoline_kernelINS0_14default_configENS1_35radix_sort_onesweep_config_selectorIhlEEZNS1_34radix_sort_onesweep_global_offsetsIS3_Lb0EPhN6thrust23THRUST_200600_302600_NS10device_ptrIlEEjNS0_19identity_decomposerEEE10hipError_tT1_T2_PT3_SG_jT4_jjP12ihipStream_tbEUlT_E_NS1_11comp_targetILNS1_3genE5ELNS1_11target_archE942ELNS1_3gpuE9ELNS1_3repE0EEENS1_52radix_sort_onesweep_histogram_config_static_selectorELNS0_4arch9wavefront6targetE1EEEvSE_: ; @_ZN7rocprim17ROCPRIM_400000_NS6detail17trampoline_kernelINS0_14default_configENS1_35radix_sort_onesweep_config_selectorIhlEEZNS1_34radix_sort_onesweep_global_offsetsIS3_Lb0EPhN6thrust23THRUST_200600_302600_NS10device_ptrIlEEjNS0_19identity_decomposerEEE10hipError_tT1_T2_PT3_SG_jT4_jjP12ihipStream_tbEUlT_E_NS1_11comp_targetILNS1_3genE5ELNS1_11target_archE942ELNS1_3gpuE9ELNS1_3repE0EEENS1_52radix_sort_onesweep_histogram_config_static_selectorELNS0_4arch9wavefront6targetE1EEEvSE_
; %bb.0:
	.section	.rodata,"a",@progbits
	.p2align	6, 0x0
	.amdhsa_kernel _ZN7rocprim17ROCPRIM_400000_NS6detail17trampoline_kernelINS0_14default_configENS1_35radix_sort_onesweep_config_selectorIhlEEZNS1_34radix_sort_onesweep_global_offsetsIS3_Lb0EPhN6thrust23THRUST_200600_302600_NS10device_ptrIlEEjNS0_19identity_decomposerEEE10hipError_tT1_T2_PT3_SG_jT4_jjP12ihipStream_tbEUlT_E_NS1_11comp_targetILNS1_3genE5ELNS1_11target_archE942ELNS1_3gpuE9ELNS1_3repE0EEENS1_52radix_sort_onesweep_histogram_config_static_selectorELNS0_4arch9wavefront6targetE1EEEvSE_
		.amdhsa_group_segment_fixed_size 0
		.amdhsa_private_segment_fixed_size 0
		.amdhsa_kernarg_size 40
		.amdhsa_user_sgpr_count 6
		.amdhsa_user_sgpr_private_segment_buffer 1
		.amdhsa_user_sgpr_dispatch_ptr 0
		.amdhsa_user_sgpr_queue_ptr 0
		.amdhsa_user_sgpr_kernarg_segment_ptr 1
		.amdhsa_user_sgpr_dispatch_id 0
		.amdhsa_user_sgpr_flat_scratch_init 0
		.amdhsa_user_sgpr_kernarg_preload_length 0
		.amdhsa_user_sgpr_kernarg_preload_offset 0
		.amdhsa_user_sgpr_private_segment_size 0
		.amdhsa_uses_dynamic_stack 0
		.amdhsa_system_sgpr_private_segment_wavefront_offset 0
		.amdhsa_system_sgpr_workgroup_id_x 1
		.amdhsa_system_sgpr_workgroup_id_y 0
		.amdhsa_system_sgpr_workgroup_id_z 0
		.amdhsa_system_sgpr_workgroup_info 0
		.amdhsa_system_vgpr_workitem_id 0
		.amdhsa_next_free_vgpr 1
		.amdhsa_next_free_sgpr 0
		.amdhsa_accum_offset 4
		.amdhsa_reserve_vcc 0
		.amdhsa_reserve_flat_scratch 0
		.amdhsa_float_round_mode_32 0
		.amdhsa_float_round_mode_16_64 0
		.amdhsa_float_denorm_mode_32 3
		.amdhsa_float_denorm_mode_16_64 3
		.amdhsa_dx10_clamp 1
		.amdhsa_ieee_mode 1
		.amdhsa_fp16_overflow 0
		.amdhsa_tg_split 0
		.amdhsa_exception_fp_ieee_invalid_op 0
		.amdhsa_exception_fp_denorm_src 0
		.amdhsa_exception_fp_ieee_div_zero 0
		.amdhsa_exception_fp_ieee_overflow 0
		.amdhsa_exception_fp_ieee_underflow 0
		.amdhsa_exception_fp_ieee_inexact 0
		.amdhsa_exception_int_div_zero 0
	.end_amdhsa_kernel
	.section	.text._ZN7rocprim17ROCPRIM_400000_NS6detail17trampoline_kernelINS0_14default_configENS1_35radix_sort_onesweep_config_selectorIhlEEZNS1_34radix_sort_onesweep_global_offsetsIS3_Lb0EPhN6thrust23THRUST_200600_302600_NS10device_ptrIlEEjNS0_19identity_decomposerEEE10hipError_tT1_T2_PT3_SG_jT4_jjP12ihipStream_tbEUlT_E_NS1_11comp_targetILNS1_3genE5ELNS1_11target_archE942ELNS1_3gpuE9ELNS1_3repE0EEENS1_52radix_sort_onesweep_histogram_config_static_selectorELNS0_4arch9wavefront6targetE1EEEvSE_,"axG",@progbits,_ZN7rocprim17ROCPRIM_400000_NS6detail17trampoline_kernelINS0_14default_configENS1_35radix_sort_onesweep_config_selectorIhlEEZNS1_34radix_sort_onesweep_global_offsetsIS3_Lb0EPhN6thrust23THRUST_200600_302600_NS10device_ptrIlEEjNS0_19identity_decomposerEEE10hipError_tT1_T2_PT3_SG_jT4_jjP12ihipStream_tbEUlT_E_NS1_11comp_targetILNS1_3genE5ELNS1_11target_archE942ELNS1_3gpuE9ELNS1_3repE0EEENS1_52radix_sort_onesweep_histogram_config_static_selectorELNS0_4arch9wavefront6targetE1EEEvSE_,comdat
.Lfunc_end239:
	.size	_ZN7rocprim17ROCPRIM_400000_NS6detail17trampoline_kernelINS0_14default_configENS1_35radix_sort_onesweep_config_selectorIhlEEZNS1_34radix_sort_onesweep_global_offsetsIS3_Lb0EPhN6thrust23THRUST_200600_302600_NS10device_ptrIlEEjNS0_19identity_decomposerEEE10hipError_tT1_T2_PT3_SG_jT4_jjP12ihipStream_tbEUlT_E_NS1_11comp_targetILNS1_3genE5ELNS1_11target_archE942ELNS1_3gpuE9ELNS1_3repE0EEENS1_52radix_sort_onesweep_histogram_config_static_selectorELNS0_4arch9wavefront6targetE1EEEvSE_, .Lfunc_end239-_ZN7rocprim17ROCPRIM_400000_NS6detail17trampoline_kernelINS0_14default_configENS1_35radix_sort_onesweep_config_selectorIhlEEZNS1_34radix_sort_onesweep_global_offsetsIS3_Lb0EPhN6thrust23THRUST_200600_302600_NS10device_ptrIlEEjNS0_19identity_decomposerEEE10hipError_tT1_T2_PT3_SG_jT4_jjP12ihipStream_tbEUlT_E_NS1_11comp_targetILNS1_3genE5ELNS1_11target_archE942ELNS1_3gpuE9ELNS1_3repE0EEENS1_52radix_sort_onesweep_histogram_config_static_selectorELNS0_4arch9wavefront6targetE1EEEvSE_
                                        ; -- End function
	.section	.AMDGPU.csdata,"",@progbits
; Kernel info:
; codeLenInByte = 0
; NumSgprs: 4
; NumVgprs: 0
; NumAgprs: 0
; TotalNumVgprs: 0
; ScratchSize: 0
; MemoryBound: 0
; FloatMode: 240
; IeeeMode: 1
; LDSByteSize: 0 bytes/workgroup (compile time only)
; SGPRBlocks: 0
; VGPRBlocks: 0
; NumSGPRsForWavesPerEU: 4
; NumVGPRsForWavesPerEU: 1
; AccumOffset: 4
; Occupancy: 8
; WaveLimiterHint : 0
; COMPUTE_PGM_RSRC2:SCRATCH_EN: 0
; COMPUTE_PGM_RSRC2:USER_SGPR: 6
; COMPUTE_PGM_RSRC2:TRAP_HANDLER: 0
; COMPUTE_PGM_RSRC2:TGID_X_EN: 1
; COMPUTE_PGM_RSRC2:TGID_Y_EN: 0
; COMPUTE_PGM_RSRC2:TGID_Z_EN: 0
; COMPUTE_PGM_RSRC2:TIDIG_COMP_CNT: 0
; COMPUTE_PGM_RSRC3_GFX90A:ACCUM_OFFSET: 0
; COMPUTE_PGM_RSRC3_GFX90A:TG_SPLIT: 0
	.section	.text._ZN7rocprim17ROCPRIM_400000_NS6detail17trampoline_kernelINS0_14default_configENS1_35radix_sort_onesweep_config_selectorIhlEEZNS1_34radix_sort_onesweep_global_offsetsIS3_Lb0EPhN6thrust23THRUST_200600_302600_NS10device_ptrIlEEjNS0_19identity_decomposerEEE10hipError_tT1_T2_PT3_SG_jT4_jjP12ihipStream_tbEUlT_E_NS1_11comp_targetILNS1_3genE2ELNS1_11target_archE906ELNS1_3gpuE6ELNS1_3repE0EEENS1_52radix_sort_onesweep_histogram_config_static_selectorELNS0_4arch9wavefront6targetE1EEEvSE_,"axG",@progbits,_ZN7rocprim17ROCPRIM_400000_NS6detail17trampoline_kernelINS0_14default_configENS1_35radix_sort_onesweep_config_selectorIhlEEZNS1_34radix_sort_onesweep_global_offsetsIS3_Lb0EPhN6thrust23THRUST_200600_302600_NS10device_ptrIlEEjNS0_19identity_decomposerEEE10hipError_tT1_T2_PT3_SG_jT4_jjP12ihipStream_tbEUlT_E_NS1_11comp_targetILNS1_3genE2ELNS1_11target_archE906ELNS1_3gpuE6ELNS1_3repE0EEENS1_52radix_sort_onesweep_histogram_config_static_selectorELNS0_4arch9wavefront6targetE1EEEvSE_,comdat
	.protected	_ZN7rocprim17ROCPRIM_400000_NS6detail17trampoline_kernelINS0_14default_configENS1_35radix_sort_onesweep_config_selectorIhlEEZNS1_34radix_sort_onesweep_global_offsetsIS3_Lb0EPhN6thrust23THRUST_200600_302600_NS10device_ptrIlEEjNS0_19identity_decomposerEEE10hipError_tT1_T2_PT3_SG_jT4_jjP12ihipStream_tbEUlT_E_NS1_11comp_targetILNS1_3genE2ELNS1_11target_archE906ELNS1_3gpuE6ELNS1_3repE0EEENS1_52radix_sort_onesweep_histogram_config_static_selectorELNS0_4arch9wavefront6targetE1EEEvSE_ ; -- Begin function _ZN7rocprim17ROCPRIM_400000_NS6detail17trampoline_kernelINS0_14default_configENS1_35radix_sort_onesweep_config_selectorIhlEEZNS1_34radix_sort_onesweep_global_offsetsIS3_Lb0EPhN6thrust23THRUST_200600_302600_NS10device_ptrIlEEjNS0_19identity_decomposerEEE10hipError_tT1_T2_PT3_SG_jT4_jjP12ihipStream_tbEUlT_E_NS1_11comp_targetILNS1_3genE2ELNS1_11target_archE906ELNS1_3gpuE6ELNS1_3repE0EEENS1_52radix_sort_onesweep_histogram_config_static_selectorELNS0_4arch9wavefront6targetE1EEEvSE_
	.globl	_ZN7rocprim17ROCPRIM_400000_NS6detail17trampoline_kernelINS0_14default_configENS1_35radix_sort_onesweep_config_selectorIhlEEZNS1_34radix_sort_onesweep_global_offsetsIS3_Lb0EPhN6thrust23THRUST_200600_302600_NS10device_ptrIlEEjNS0_19identity_decomposerEEE10hipError_tT1_T2_PT3_SG_jT4_jjP12ihipStream_tbEUlT_E_NS1_11comp_targetILNS1_3genE2ELNS1_11target_archE906ELNS1_3gpuE6ELNS1_3repE0EEENS1_52radix_sort_onesweep_histogram_config_static_selectorELNS0_4arch9wavefront6targetE1EEEvSE_
	.p2align	8
	.type	_ZN7rocprim17ROCPRIM_400000_NS6detail17trampoline_kernelINS0_14default_configENS1_35radix_sort_onesweep_config_selectorIhlEEZNS1_34radix_sort_onesweep_global_offsetsIS3_Lb0EPhN6thrust23THRUST_200600_302600_NS10device_ptrIlEEjNS0_19identity_decomposerEEE10hipError_tT1_T2_PT3_SG_jT4_jjP12ihipStream_tbEUlT_E_NS1_11comp_targetILNS1_3genE2ELNS1_11target_archE906ELNS1_3gpuE6ELNS1_3repE0EEENS1_52radix_sort_onesweep_histogram_config_static_selectorELNS0_4arch9wavefront6targetE1EEEvSE_,@function
_ZN7rocprim17ROCPRIM_400000_NS6detail17trampoline_kernelINS0_14default_configENS1_35radix_sort_onesweep_config_selectorIhlEEZNS1_34radix_sort_onesweep_global_offsetsIS3_Lb0EPhN6thrust23THRUST_200600_302600_NS10device_ptrIlEEjNS0_19identity_decomposerEEE10hipError_tT1_T2_PT3_SG_jT4_jjP12ihipStream_tbEUlT_E_NS1_11comp_targetILNS1_3genE2ELNS1_11target_archE906ELNS1_3gpuE6ELNS1_3repE0EEENS1_52radix_sort_onesweep_histogram_config_static_selectorELNS0_4arch9wavefront6targetE1EEEvSE_: ; @_ZN7rocprim17ROCPRIM_400000_NS6detail17trampoline_kernelINS0_14default_configENS1_35radix_sort_onesweep_config_selectorIhlEEZNS1_34radix_sort_onesweep_global_offsetsIS3_Lb0EPhN6thrust23THRUST_200600_302600_NS10device_ptrIlEEjNS0_19identity_decomposerEEE10hipError_tT1_T2_PT3_SG_jT4_jjP12ihipStream_tbEUlT_E_NS1_11comp_targetILNS1_3genE2ELNS1_11target_archE906ELNS1_3gpuE6ELNS1_3repE0EEENS1_52radix_sort_onesweep_histogram_config_static_selectorELNS0_4arch9wavefront6targetE1EEEvSE_
; %bb.0:
	.section	.rodata,"a",@progbits
	.p2align	6, 0x0
	.amdhsa_kernel _ZN7rocprim17ROCPRIM_400000_NS6detail17trampoline_kernelINS0_14default_configENS1_35radix_sort_onesweep_config_selectorIhlEEZNS1_34radix_sort_onesweep_global_offsetsIS3_Lb0EPhN6thrust23THRUST_200600_302600_NS10device_ptrIlEEjNS0_19identity_decomposerEEE10hipError_tT1_T2_PT3_SG_jT4_jjP12ihipStream_tbEUlT_E_NS1_11comp_targetILNS1_3genE2ELNS1_11target_archE906ELNS1_3gpuE6ELNS1_3repE0EEENS1_52radix_sort_onesweep_histogram_config_static_selectorELNS0_4arch9wavefront6targetE1EEEvSE_
		.amdhsa_group_segment_fixed_size 0
		.amdhsa_private_segment_fixed_size 0
		.amdhsa_kernarg_size 40
		.amdhsa_user_sgpr_count 6
		.amdhsa_user_sgpr_private_segment_buffer 1
		.amdhsa_user_sgpr_dispatch_ptr 0
		.amdhsa_user_sgpr_queue_ptr 0
		.amdhsa_user_sgpr_kernarg_segment_ptr 1
		.amdhsa_user_sgpr_dispatch_id 0
		.amdhsa_user_sgpr_flat_scratch_init 0
		.amdhsa_user_sgpr_kernarg_preload_length 0
		.amdhsa_user_sgpr_kernarg_preload_offset 0
		.amdhsa_user_sgpr_private_segment_size 0
		.amdhsa_uses_dynamic_stack 0
		.amdhsa_system_sgpr_private_segment_wavefront_offset 0
		.amdhsa_system_sgpr_workgroup_id_x 1
		.amdhsa_system_sgpr_workgroup_id_y 0
		.amdhsa_system_sgpr_workgroup_id_z 0
		.amdhsa_system_sgpr_workgroup_info 0
		.amdhsa_system_vgpr_workitem_id 0
		.amdhsa_next_free_vgpr 1
		.amdhsa_next_free_sgpr 0
		.amdhsa_accum_offset 4
		.amdhsa_reserve_vcc 0
		.amdhsa_reserve_flat_scratch 0
		.amdhsa_float_round_mode_32 0
		.amdhsa_float_round_mode_16_64 0
		.amdhsa_float_denorm_mode_32 3
		.amdhsa_float_denorm_mode_16_64 3
		.amdhsa_dx10_clamp 1
		.amdhsa_ieee_mode 1
		.amdhsa_fp16_overflow 0
		.amdhsa_tg_split 0
		.amdhsa_exception_fp_ieee_invalid_op 0
		.amdhsa_exception_fp_denorm_src 0
		.amdhsa_exception_fp_ieee_div_zero 0
		.amdhsa_exception_fp_ieee_overflow 0
		.amdhsa_exception_fp_ieee_underflow 0
		.amdhsa_exception_fp_ieee_inexact 0
		.amdhsa_exception_int_div_zero 0
	.end_amdhsa_kernel
	.section	.text._ZN7rocprim17ROCPRIM_400000_NS6detail17trampoline_kernelINS0_14default_configENS1_35radix_sort_onesweep_config_selectorIhlEEZNS1_34radix_sort_onesweep_global_offsetsIS3_Lb0EPhN6thrust23THRUST_200600_302600_NS10device_ptrIlEEjNS0_19identity_decomposerEEE10hipError_tT1_T2_PT3_SG_jT4_jjP12ihipStream_tbEUlT_E_NS1_11comp_targetILNS1_3genE2ELNS1_11target_archE906ELNS1_3gpuE6ELNS1_3repE0EEENS1_52radix_sort_onesweep_histogram_config_static_selectorELNS0_4arch9wavefront6targetE1EEEvSE_,"axG",@progbits,_ZN7rocprim17ROCPRIM_400000_NS6detail17trampoline_kernelINS0_14default_configENS1_35radix_sort_onesweep_config_selectorIhlEEZNS1_34radix_sort_onesweep_global_offsetsIS3_Lb0EPhN6thrust23THRUST_200600_302600_NS10device_ptrIlEEjNS0_19identity_decomposerEEE10hipError_tT1_T2_PT3_SG_jT4_jjP12ihipStream_tbEUlT_E_NS1_11comp_targetILNS1_3genE2ELNS1_11target_archE906ELNS1_3gpuE6ELNS1_3repE0EEENS1_52radix_sort_onesweep_histogram_config_static_selectorELNS0_4arch9wavefront6targetE1EEEvSE_,comdat
.Lfunc_end240:
	.size	_ZN7rocprim17ROCPRIM_400000_NS6detail17trampoline_kernelINS0_14default_configENS1_35radix_sort_onesweep_config_selectorIhlEEZNS1_34radix_sort_onesweep_global_offsetsIS3_Lb0EPhN6thrust23THRUST_200600_302600_NS10device_ptrIlEEjNS0_19identity_decomposerEEE10hipError_tT1_T2_PT3_SG_jT4_jjP12ihipStream_tbEUlT_E_NS1_11comp_targetILNS1_3genE2ELNS1_11target_archE906ELNS1_3gpuE6ELNS1_3repE0EEENS1_52radix_sort_onesweep_histogram_config_static_selectorELNS0_4arch9wavefront6targetE1EEEvSE_, .Lfunc_end240-_ZN7rocprim17ROCPRIM_400000_NS6detail17trampoline_kernelINS0_14default_configENS1_35radix_sort_onesweep_config_selectorIhlEEZNS1_34radix_sort_onesweep_global_offsetsIS3_Lb0EPhN6thrust23THRUST_200600_302600_NS10device_ptrIlEEjNS0_19identity_decomposerEEE10hipError_tT1_T2_PT3_SG_jT4_jjP12ihipStream_tbEUlT_E_NS1_11comp_targetILNS1_3genE2ELNS1_11target_archE906ELNS1_3gpuE6ELNS1_3repE0EEENS1_52radix_sort_onesweep_histogram_config_static_selectorELNS0_4arch9wavefront6targetE1EEEvSE_
                                        ; -- End function
	.section	.AMDGPU.csdata,"",@progbits
; Kernel info:
; codeLenInByte = 0
; NumSgprs: 4
; NumVgprs: 0
; NumAgprs: 0
; TotalNumVgprs: 0
; ScratchSize: 0
; MemoryBound: 0
; FloatMode: 240
; IeeeMode: 1
; LDSByteSize: 0 bytes/workgroup (compile time only)
; SGPRBlocks: 0
; VGPRBlocks: 0
; NumSGPRsForWavesPerEU: 4
; NumVGPRsForWavesPerEU: 1
; AccumOffset: 4
; Occupancy: 8
; WaveLimiterHint : 0
; COMPUTE_PGM_RSRC2:SCRATCH_EN: 0
; COMPUTE_PGM_RSRC2:USER_SGPR: 6
; COMPUTE_PGM_RSRC2:TRAP_HANDLER: 0
; COMPUTE_PGM_RSRC2:TGID_X_EN: 1
; COMPUTE_PGM_RSRC2:TGID_Y_EN: 0
; COMPUTE_PGM_RSRC2:TGID_Z_EN: 0
; COMPUTE_PGM_RSRC2:TIDIG_COMP_CNT: 0
; COMPUTE_PGM_RSRC3_GFX90A:ACCUM_OFFSET: 0
; COMPUTE_PGM_RSRC3_GFX90A:TG_SPLIT: 0
	.section	.text._ZN7rocprim17ROCPRIM_400000_NS6detail17trampoline_kernelINS0_14default_configENS1_35radix_sort_onesweep_config_selectorIhlEEZNS1_34radix_sort_onesweep_global_offsetsIS3_Lb0EPhN6thrust23THRUST_200600_302600_NS10device_ptrIlEEjNS0_19identity_decomposerEEE10hipError_tT1_T2_PT3_SG_jT4_jjP12ihipStream_tbEUlT_E_NS1_11comp_targetILNS1_3genE4ELNS1_11target_archE910ELNS1_3gpuE8ELNS1_3repE0EEENS1_52radix_sort_onesweep_histogram_config_static_selectorELNS0_4arch9wavefront6targetE1EEEvSE_,"axG",@progbits,_ZN7rocprim17ROCPRIM_400000_NS6detail17trampoline_kernelINS0_14default_configENS1_35radix_sort_onesweep_config_selectorIhlEEZNS1_34radix_sort_onesweep_global_offsetsIS3_Lb0EPhN6thrust23THRUST_200600_302600_NS10device_ptrIlEEjNS0_19identity_decomposerEEE10hipError_tT1_T2_PT3_SG_jT4_jjP12ihipStream_tbEUlT_E_NS1_11comp_targetILNS1_3genE4ELNS1_11target_archE910ELNS1_3gpuE8ELNS1_3repE0EEENS1_52radix_sort_onesweep_histogram_config_static_selectorELNS0_4arch9wavefront6targetE1EEEvSE_,comdat
	.protected	_ZN7rocprim17ROCPRIM_400000_NS6detail17trampoline_kernelINS0_14default_configENS1_35radix_sort_onesweep_config_selectorIhlEEZNS1_34radix_sort_onesweep_global_offsetsIS3_Lb0EPhN6thrust23THRUST_200600_302600_NS10device_ptrIlEEjNS0_19identity_decomposerEEE10hipError_tT1_T2_PT3_SG_jT4_jjP12ihipStream_tbEUlT_E_NS1_11comp_targetILNS1_3genE4ELNS1_11target_archE910ELNS1_3gpuE8ELNS1_3repE0EEENS1_52radix_sort_onesweep_histogram_config_static_selectorELNS0_4arch9wavefront6targetE1EEEvSE_ ; -- Begin function _ZN7rocprim17ROCPRIM_400000_NS6detail17trampoline_kernelINS0_14default_configENS1_35radix_sort_onesweep_config_selectorIhlEEZNS1_34radix_sort_onesweep_global_offsetsIS3_Lb0EPhN6thrust23THRUST_200600_302600_NS10device_ptrIlEEjNS0_19identity_decomposerEEE10hipError_tT1_T2_PT3_SG_jT4_jjP12ihipStream_tbEUlT_E_NS1_11comp_targetILNS1_3genE4ELNS1_11target_archE910ELNS1_3gpuE8ELNS1_3repE0EEENS1_52radix_sort_onesweep_histogram_config_static_selectorELNS0_4arch9wavefront6targetE1EEEvSE_
	.globl	_ZN7rocprim17ROCPRIM_400000_NS6detail17trampoline_kernelINS0_14default_configENS1_35radix_sort_onesweep_config_selectorIhlEEZNS1_34radix_sort_onesweep_global_offsetsIS3_Lb0EPhN6thrust23THRUST_200600_302600_NS10device_ptrIlEEjNS0_19identity_decomposerEEE10hipError_tT1_T2_PT3_SG_jT4_jjP12ihipStream_tbEUlT_E_NS1_11comp_targetILNS1_3genE4ELNS1_11target_archE910ELNS1_3gpuE8ELNS1_3repE0EEENS1_52radix_sort_onesweep_histogram_config_static_selectorELNS0_4arch9wavefront6targetE1EEEvSE_
	.p2align	8
	.type	_ZN7rocprim17ROCPRIM_400000_NS6detail17trampoline_kernelINS0_14default_configENS1_35radix_sort_onesweep_config_selectorIhlEEZNS1_34radix_sort_onesweep_global_offsetsIS3_Lb0EPhN6thrust23THRUST_200600_302600_NS10device_ptrIlEEjNS0_19identity_decomposerEEE10hipError_tT1_T2_PT3_SG_jT4_jjP12ihipStream_tbEUlT_E_NS1_11comp_targetILNS1_3genE4ELNS1_11target_archE910ELNS1_3gpuE8ELNS1_3repE0EEENS1_52radix_sort_onesweep_histogram_config_static_selectorELNS0_4arch9wavefront6targetE1EEEvSE_,@function
_ZN7rocprim17ROCPRIM_400000_NS6detail17trampoline_kernelINS0_14default_configENS1_35radix_sort_onesweep_config_selectorIhlEEZNS1_34radix_sort_onesweep_global_offsetsIS3_Lb0EPhN6thrust23THRUST_200600_302600_NS10device_ptrIlEEjNS0_19identity_decomposerEEE10hipError_tT1_T2_PT3_SG_jT4_jjP12ihipStream_tbEUlT_E_NS1_11comp_targetILNS1_3genE4ELNS1_11target_archE910ELNS1_3gpuE8ELNS1_3repE0EEENS1_52radix_sort_onesweep_histogram_config_static_selectorELNS0_4arch9wavefront6targetE1EEEvSE_: ; @_ZN7rocprim17ROCPRIM_400000_NS6detail17trampoline_kernelINS0_14default_configENS1_35radix_sort_onesweep_config_selectorIhlEEZNS1_34radix_sort_onesweep_global_offsetsIS3_Lb0EPhN6thrust23THRUST_200600_302600_NS10device_ptrIlEEjNS0_19identity_decomposerEEE10hipError_tT1_T2_PT3_SG_jT4_jjP12ihipStream_tbEUlT_E_NS1_11comp_targetILNS1_3genE4ELNS1_11target_archE910ELNS1_3gpuE8ELNS1_3repE0EEENS1_52radix_sort_onesweep_histogram_config_static_selectorELNS0_4arch9wavefront6targetE1EEEvSE_
; %bb.0:
	s_load_dword s2, s[4:5], 0x14
	s_load_dwordx4 s[16:19], s[4:5], 0x0
	s_load_dwordx2 s[20:21], s[4:5], 0x1c
	s_lshl_b32 s26, s6, 13
	s_mov_b64 s[0:1], -1
	s_waitcnt lgkmcnt(0)
	s_cmp_ge_u32 s6, s2
	s_cbranch_scc0 .LBB241_39
; %bb.1:
	s_load_dword s0, s[4:5], 0x10
	s_lshl_b32 s1, s2, 13
                                        ; implicit-def: $vgpr4
	s_waitcnt lgkmcnt(0)
	s_sub_i32 s24, s0, s1
	s_add_u32 s22, s16, s26
	v_cmp_le_u32_e32 vcc, s24, v0
	s_addc_u32 s23, s17, 0
	v_cmp_gt_u32_e64 s[0:1], s24, v0
	s_and_saveexec_b64 s[2:3], s[0:1]
	s_cbranch_execz .LBB241_3
; %bb.2:
	global_load_ubyte v4, v0, s[22:23]
.LBB241_3:
	s_or_b64 exec, exec, s[2:3]
	v_or_b32_e32 v1, 0x400, v0
	v_cmp_le_u32_e64 s[0:1], s24, v1
	v_cmp_gt_u32_e64 s[2:3], s24, v1
                                        ; implicit-def: $vgpr5
	s_and_saveexec_b64 s[4:5], s[2:3]
	s_cbranch_execz .LBB241_5
; %bb.4:
	global_load_ubyte v5, v0, s[22:23] offset:1024
.LBB241_5:
	s_or_b64 exec, exec, s[4:5]
	v_or_b32_e32 v1, 0x800, v0
	v_cmp_le_u32_e64 s[2:3], s24, v1
	v_cmp_gt_u32_e64 s[4:5], s24, v1
	v_mov_b32_e32 v1, 0
	v_mov_b32_e32 v6, 0
	s_and_saveexec_b64 s[6:7], s[4:5]
	s_cbranch_execz .LBB241_7
; %bb.6:
	global_load_ubyte v6, v0, s[22:23] offset:2048
.LBB241_7:
	s_or_b64 exec, exec, s[6:7]
	v_or_b32_e32 v2, 0xc00, v0
	v_cmp_le_u32_e64 s[4:5], s24, v2
	v_cmp_gt_u32_e64 s[6:7], s24, v2
	s_and_saveexec_b64 s[8:9], s[6:7]
	s_cbranch_execz .LBB241_9
; %bb.8:
	global_load_ubyte v1, v0, s[22:23] offset:3072
.LBB241_9:
	s_or_b64 exec, exec, s[8:9]
	v_or_b32_e32 v3, 0x1000, v0
	v_cmp_le_u32_e64 s[6:7], s24, v3
	v_cmp_gt_u32_e64 s[8:9], s24, v3
	v_mov_b32_e32 v2, 0
	v_mov_b32_e32 v7, 0
	s_and_saveexec_b64 s[10:11], s[8:9]
	s_cbranch_execz .LBB241_11
; %bb.10:
	global_load_ubyte v7, v3, s[22:23]
.LBB241_11:
	s_or_b64 exec, exec, s[10:11]
	v_or_b32_e32 v3, 0x1400, v0
	v_cmp_le_u32_e64 s[8:9], s24, v3
	v_cmp_gt_u32_e64 s[10:11], s24, v3
	s_and_saveexec_b64 s[12:13], s[10:11]
	s_cbranch_execz .LBB241_13
; %bb.12:
	global_load_ubyte v2, v3, s[22:23]
.LBB241_13:
	s_or_b64 exec, exec, s[12:13]
	v_or_b32_e32 v9, 0x1800, v0
	v_cmp_le_u32_e64 s[10:11], s24, v9
	v_cmp_gt_u32_e64 s[12:13], s24, v9
	v_mov_b32_e32 v3, 0
	v_mov_b32_e32 v8, 0
	s_and_saveexec_b64 s[14:15], s[12:13]
	s_cbranch_execz .LBB241_15
; %bb.14:
	global_load_ubyte v8, v9, s[22:23]
.LBB241_15:
	s_or_b64 exec, exec, s[14:15]
	v_or_b32_e32 v9, 0x1c00, v0
	v_cmp_le_u32_e64 s[12:13], s24, v9
	v_cmp_gt_u32_e64 s[14:15], s24, v9
	s_and_saveexec_b64 s[24:25], s[14:15]
	s_cbranch_execz .LBB241_17
; %bb.16:
	global_load_ubyte v3, v9, s[22:23]
.LBB241_17:
	s_or_b64 exec, exec, s[24:25]
	s_cmp_le_u32 s21, s20
	s_cselect_b64 s[22:23], -1, 0
	s_cmp_gt_u32 s21, s20
	s_cselect_b64 s[14:15], -1, 0
	s_sub_i32 s24, s21, s20
	s_min_u32 s24, s24, 8
	s_lshl_b32 s24, -1, s24
	v_and_b32_e32 v9, 3, v0
	s_not_b32 s27, s24
	s_or_b64 s[24:25], s[22:23], vcc
	v_lshlrev_b32_e32 v10, 2, v0
	v_mov_b32_e32 v11, 0
	s_xor_b64 s[28:29], s[24:25], -1
	v_lshlrev_b32_e32 v9, 2, v9
	ds_write_b32 v10, v11
	s_waitcnt lgkmcnt(0)
	s_barrier
	s_and_saveexec_b64 s[24:25], s[28:29]
	s_cbranch_execz .LBB241_19
; %bb.18:
	s_waitcnt vmcnt(0)
	v_lshrrev_b32_sdwa v4, s20, v4 dst_sel:DWORD dst_unused:UNUSED_PAD src0_sel:DWORD src1_sel:BYTE_0
	v_and_b32_e32 v4, s27, v4
	v_lshl_or_b32 v4, v4, 4, v9
	v_mov_b32_e32 v10, 1
	ds_add_u32 v4, v10
.LBB241_19:
	s_or_b64 exec, exec, s[24:25]
	s_or_b64 s[0:1], s[22:23], s[0:1]
	s_xor_b64 s[24:25], s[0:1], -1
	s_and_saveexec_b64 s[0:1], s[24:25]
	s_cbranch_execz .LBB241_21
; %bb.20:
	s_waitcnt vmcnt(0)
	v_lshrrev_b32_sdwa v4, s20, v5 dst_sel:DWORD dst_unused:UNUSED_PAD src0_sel:DWORD src1_sel:BYTE_0
	v_and_b32_e32 v4, s27, v4
	v_lshl_or_b32 v4, v4, 4, v9
	v_mov_b32_e32 v5, 1
	ds_add_u32 v4, v5
.LBB241_21:
	s_or_b64 exec, exec, s[0:1]
	s_or_b64 s[0:1], s[22:23], s[2:3]
	s_xor_b64 s[2:3], s[0:1], -1
	s_and_saveexec_b64 s[0:1], s[2:3]
	s_cbranch_execz .LBB241_23
; %bb.22:
	s_waitcnt vmcnt(0)
	v_lshrrev_b32_e32 v4, s20, v6
	v_and_b32_e32 v4, s27, v4
	v_lshl_or_b32 v4, v4, 4, v9
	v_mov_b32_e32 v5, 1
	ds_add_u32 v4, v5
.LBB241_23:
	s_or_b64 exec, exec, s[0:1]
	s_or_b64 s[0:1], s[22:23], s[4:5]
	s_xor_b64 s[2:3], s[0:1], -1
	s_and_saveexec_b64 s[0:1], s[2:3]
	s_cbranch_execz .LBB241_25
; %bb.24:
	s_waitcnt vmcnt(0)
	v_lshrrev_b32_e32 v1, s20, v1
	v_and_b32_e32 v1, s27, v1
	v_lshl_or_b32 v1, v1, 4, v9
	v_mov_b32_e32 v4, 1
	ds_add_u32 v1, v4
.LBB241_25:
	;; [unrolled: 13-line block ×6, first 2 shown]
	s_or_b64 exec, exec, s[0:1]
	s_and_b64 vcc, exec, s[14:15]
	s_waitcnt lgkmcnt(0)
	s_barrier
	s_cbranch_vccz .LBB241_38
; %bb.34:
	s_movk_i32 s0, 0x100
	v_cmp_gt_u32_e32 vcc, s0, v0
	s_waitcnt vmcnt(0)
	v_lshlrev_b32_e32 v1, 4, v0
	v_mov_b32_e32 v3, 0
	v_mov_b32_e32 v2, v0
	s_mov_b32 s4, s20
	s_branch .LBB241_36
.LBB241_35:                             ;   in Loop: Header=BB241_36 Depth=1
	s_or_b64 exec, exec, s[2:3]
	s_add_i32 s4, s4, 8
	v_add_u32_e32 v2, 0x100, v2
	s_cmp_lt_u32 s4, s21
	v_add_u32_e32 v1, 0x1000, v1
	s_cbranch_scc0 .LBB241_38
.LBB241_36:                             ; =>This Inner Loop Header: Depth=1
	s_and_saveexec_b64 s[2:3], vcc
	s_cbranch_execz .LBB241_35
; %bb.37:                               ;   in Loop: Header=BB241_36 Depth=1
	ds_read2_b32 v[4:5], v1 offset1:1
	ds_read2_b32 v[6:7], v1 offset0:2 offset1:3
	v_lshlrev_b64 v[8:9], 2, v[2:3]
	v_mov_b32_e32 v10, s19
	s_waitcnt lgkmcnt(1)
	v_add_u32_e32 v4, v5, v4
	s_waitcnt lgkmcnt(0)
	v_add3_u32 v6, v4, v6, v7
	v_add_co_u32_e64 v4, s[0:1], s18, v8
	v_addc_co_u32_e64 v5, s[0:1], v10, v9, s[0:1]
	global_atomic_add v[4:5], v6, off
	s_branch .LBB241_35
.LBB241_38:
	s_mov_b64 s[0:1], 0
.LBB241_39:
	s_and_b64 vcc, exec, s[0:1]
	s_cbranch_vccz .LBB241_52
; %bb.40:
	s_cmp_lg_u32 s20, 0
	s_cselect_b64 s[0:1], -1, 0
	s_cmp_lg_u32 s21, 8
	s_cselect_b64 s[2:3], -1, 0
	s_or_b64 s[2:3], s[0:1], s[2:3]
	s_add_u32 s0, s16, s26
	s_addc_u32 s1, s17, 0
	s_waitcnt vmcnt(0)
	v_mov_b32_e32 v1, s1
	v_add_co_u32_e32 v2, vcc, s0, v0
	v_addc_co_u32_e32 v1, vcc, 0, v1, vcc
	v_add_co_u32_e32 v2, vcc, 0x1000, v2
	v_addc_co_u32_e32 v3, vcc, 0, v1, vcc
	global_load_ubyte v4, v0, s[0:1] offset:1024
	global_load_ubyte v5, v0, s[0:1] offset:2048
	;; [unrolled: 1-line block ×3, first 2 shown]
	global_load_ubyte v7, v[2:3], off
	global_load_ubyte v8, v[2:3], off offset:1024
	global_load_ubyte v9, v[2:3], off offset:2048
	global_load_ubyte v11, v0, s[0:1]
	global_load_ubyte v10, v[2:3], off offset:3072
	v_mov_b32_e32 v2, 0
	v_lshlrev_b32_e32 v1, 2, v0
	s_mov_b64 s[0:1], -1
	s_and_b64 vcc, exec, s[2:3]
	ds_write_b32 v1, v2
	s_waitcnt lgkmcnt(0)
	s_cbranch_vccz .LBB241_49
; %bb.41:
	s_cmp_gt_u32 s21, s20
	s_cselect_b64 s[0:1], -1, 0
	s_and_b64 vcc, exec, s[0:1]
	s_barrier
	s_cbranch_vccz .LBB241_43
; %bb.42:
	s_sub_i32 s2, s21, s20
	s_min_u32 s2, s2, 8
	s_lshl_b32 s2, -1, s2
	s_not_b32 s2, s2
	v_and_b32_e32 v2, 3, v0
	s_waitcnt vmcnt(1)
	v_lshrrev_b32_sdwa v3, s20, v11 dst_sel:DWORD dst_unused:UNUSED_PAD src0_sel:DWORD src1_sel:BYTE_0
	v_and_b32_e32 v3, s2, v3
	v_lshlrev_b32_e32 v2, 2, v2
	v_lshl_or_b32 v3, v3, 4, v2
	v_mov_b32_e32 v12, 1
	ds_add_u32 v3, v12
	v_lshrrev_b32_sdwa v3, s20, v4 dst_sel:DWORD dst_unused:UNUSED_PAD src0_sel:DWORD src1_sel:BYTE_0
	v_and_b32_e32 v3, s2, v3
	v_lshl_or_b32 v3, v3, 4, v2
	ds_add_u32 v3, v12
	v_lshrrev_b32_sdwa v3, s20, v5 dst_sel:DWORD dst_unused:UNUSED_PAD src0_sel:DWORD src1_sel:BYTE_0
	v_and_b32_e32 v3, s2, v3
	v_lshl_or_b32 v3, v3, 4, v2
	;; [unrolled: 4-line block ×6, first 2 shown]
	ds_add_u32 v3, v12
	s_waitcnt vmcnt(0)
	v_lshrrev_b32_sdwa v3, s20, v10 dst_sel:DWORD dst_unused:UNUSED_PAD src0_sel:DWORD src1_sel:BYTE_0
	v_and_b32_e32 v3, s2, v3
	v_lshl_or_b32 v2, v3, 4, v2
	ds_add_u32 v2, v12
.LBB241_43:
	s_and_b64 vcc, exec, s[0:1]
	s_waitcnt lgkmcnt(0)
	s_barrier
	s_cbranch_vccz .LBB241_48
; %bb.44:
	s_movk_i32 s0, 0x100
	v_cmp_gt_u32_e32 vcc, s0, v0
	v_lshlrev_b32_e32 v12, 4, v0
	v_mov_b32_e32 v3, 0
	v_mov_b32_e32 v2, v0
	s_branch .LBB241_46
.LBB241_45:                             ;   in Loop: Header=BB241_46 Depth=1
	s_or_b64 exec, exec, s[2:3]
	s_add_i32 s20, s20, 8
	v_add_u32_e32 v2, 0x100, v2
	s_cmp_ge_u32 s20, s21
	v_add_u32_e32 v12, 0x1000, v12
	s_cbranch_scc1 .LBB241_48
.LBB241_46:                             ; =>This Inner Loop Header: Depth=1
	s_and_saveexec_b64 s[2:3], vcc
	s_cbranch_execz .LBB241_45
; %bb.47:                               ;   in Loop: Header=BB241_46 Depth=1
	ds_read2_b32 v[14:15], v12 offset1:1
	ds_read2_b32 v[16:17], v12 offset0:2 offset1:3
	v_lshlrev_b64 v[18:19], 2, v[2:3]
	v_mov_b32_e32 v13, s19
	s_waitcnt lgkmcnt(1)
	v_add_u32_e32 v14, v15, v14
	s_waitcnt lgkmcnt(0)
	v_add3_u32 v16, v14, v16, v17
	v_add_co_u32_e64 v14, s[0:1], s18, v18
	v_addc_co_u32_e64 v15, s[0:1], v13, v19, s[0:1]
	global_atomic_add v[14:15], v16, off
	s_branch .LBB241_45
.LBB241_48:
	s_mov_b64 s[0:1], 0
.LBB241_49:
	s_and_b64 vcc, exec, s[0:1]
	s_cbranch_vccz .LBB241_52
; %bb.50:
	s_waitcnt vmcnt(7)
	v_and_b32_e32 v3, 0xff, v4
	s_waitcnt vmcnt(6)
	v_and_b32_e32 v4, 0xff, v5
	s_waitcnt vmcnt(5)
	v_and_b32_e32 v5, 0xff, v6
	s_waitcnt vmcnt(4)
	v_and_b32_e32 v6, 0xff, v7
	s_waitcnt vmcnt(3)
	v_and_b32_e32 v7, 0xff, v8
	s_waitcnt vmcnt(2)
	v_and_b32_e32 v8, 0xff, v9
	s_waitcnt vmcnt(0)
	v_and_b32_e32 v9, 0xff, v10
	v_and_b32_e32 v10, 3, v0
	v_and_b32_e32 v2, 0xff, v11
	v_lshlrev_b32_e32 v10, 2, v10
	v_lshl_or_b32 v2, v2, 4, v10
	v_mov_b32_e32 v11, 1
	s_barrier
	ds_add_u32 v2, v11
	v_lshl_or_b32 v2, v3, 4, v10
	ds_add_u32 v2, v11
	v_lshl_or_b32 v2, v4, 4, v10
	;; [unrolled: 2-line block ×7, first 2 shown]
	ds_add_u32 v2, v11
	s_movk_i32 s0, 0x100
	v_cmp_gt_u32_e32 vcc, s0, v0
	s_waitcnt lgkmcnt(0)
	s_barrier
	s_and_saveexec_b64 s[0:1], vcc
	s_cbranch_execz .LBB241_52
; %bb.51:
	v_mad_u32_u24 v1, v0, 12, v1
	ds_read2_b32 v[2:3], v1 offset1:1
	ds_read2_b32 v[4:5], v1 offset0:2 offset1:3
	v_lshlrev_b32_e32 v0, 2, v0
	s_waitcnt lgkmcnt(1)
	v_add_u32_e32 v1, v3, v2
	s_waitcnt lgkmcnt(0)
	v_add3_u32 v1, v1, v4, v5
	global_atomic_add v0, v1, s[18:19]
.LBB241_52:
	s_endpgm
	.section	.rodata,"a",@progbits
	.p2align	6, 0x0
	.amdhsa_kernel _ZN7rocprim17ROCPRIM_400000_NS6detail17trampoline_kernelINS0_14default_configENS1_35radix_sort_onesweep_config_selectorIhlEEZNS1_34radix_sort_onesweep_global_offsetsIS3_Lb0EPhN6thrust23THRUST_200600_302600_NS10device_ptrIlEEjNS0_19identity_decomposerEEE10hipError_tT1_T2_PT3_SG_jT4_jjP12ihipStream_tbEUlT_E_NS1_11comp_targetILNS1_3genE4ELNS1_11target_archE910ELNS1_3gpuE8ELNS1_3repE0EEENS1_52radix_sort_onesweep_histogram_config_static_selectorELNS0_4arch9wavefront6targetE1EEEvSE_
		.amdhsa_group_segment_fixed_size 4096
		.amdhsa_private_segment_fixed_size 0
		.amdhsa_kernarg_size 40
		.amdhsa_user_sgpr_count 6
		.amdhsa_user_sgpr_private_segment_buffer 1
		.amdhsa_user_sgpr_dispatch_ptr 0
		.amdhsa_user_sgpr_queue_ptr 0
		.amdhsa_user_sgpr_kernarg_segment_ptr 1
		.amdhsa_user_sgpr_dispatch_id 0
		.amdhsa_user_sgpr_flat_scratch_init 0
		.amdhsa_user_sgpr_kernarg_preload_length 0
		.amdhsa_user_sgpr_kernarg_preload_offset 0
		.amdhsa_user_sgpr_private_segment_size 0
		.amdhsa_uses_dynamic_stack 0
		.amdhsa_system_sgpr_private_segment_wavefront_offset 0
		.amdhsa_system_sgpr_workgroup_id_x 1
		.amdhsa_system_sgpr_workgroup_id_y 0
		.amdhsa_system_sgpr_workgroup_id_z 0
		.amdhsa_system_sgpr_workgroup_info 0
		.amdhsa_system_vgpr_workitem_id 0
		.amdhsa_next_free_vgpr 20
		.amdhsa_next_free_sgpr 30
		.amdhsa_accum_offset 20
		.amdhsa_reserve_vcc 1
		.amdhsa_reserve_flat_scratch 0
		.amdhsa_float_round_mode_32 0
		.amdhsa_float_round_mode_16_64 0
		.amdhsa_float_denorm_mode_32 3
		.amdhsa_float_denorm_mode_16_64 3
		.amdhsa_dx10_clamp 1
		.amdhsa_ieee_mode 1
		.amdhsa_fp16_overflow 0
		.amdhsa_tg_split 0
		.amdhsa_exception_fp_ieee_invalid_op 0
		.amdhsa_exception_fp_denorm_src 0
		.amdhsa_exception_fp_ieee_div_zero 0
		.amdhsa_exception_fp_ieee_overflow 0
		.amdhsa_exception_fp_ieee_underflow 0
		.amdhsa_exception_fp_ieee_inexact 0
		.amdhsa_exception_int_div_zero 0
	.end_amdhsa_kernel
	.section	.text._ZN7rocprim17ROCPRIM_400000_NS6detail17trampoline_kernelINS0_14default_configENS1_35radix_sort_onesweep_config_selectorIhlEEZNS1_34radix_sort_onesweep_global_offsetsIS3_Lb0EPhN6thrust23THRUST_200600_302600_NS10device_ptrIlEEjNS0_19identity_decomposerEEE10hipError_tT1_T2_PT3_SG_jT4_jjP12ihipStream_tbEUlT_E_NS1_11comp_targetILNS1_3genE4ELNS1_11target_archE910ELNS1_3gpuE8ELNS1_3repE0EEENS1_52radix_sort_onesweep_histogram_config_static_selectorELNS0_4arch9wavefront6targetE1EEEvSE_,"axG",@progbits,_ZN7rocprim17ROCPRIM_400000_NS6detail17trampoline_kernelINS0_14default_configENS1_35radix_sort_onesweep_config_selectorIhlEEZNS1_34radix_sort_onesweep_global_offsetsIS3_Lb0EPhN6thrust23THRUST_200600_302600_NS10device_ptrIlEEjNS0_19identity_decomposerEEE10hipError_tT1_T2_PT3_SG_jT4_jjP12ihipStream_tbEUlT_E_NS1_11comp_targetILNS1_3genE4ELNS1_11target_archE910ELNS1_3gpuE8ELNS1_3repE0EEENS1_52radix_sort_onesweep_histogram_config_static_selectorELNS0_4arch9wavefront6targetE1EEEvSE_,comdat
.Lfunc_end241:
	.size	_ZN7rocprim17ROCPRIM_400000_NS6detail17trampoline_kernelINS0_14default_configENS1_35radix_sort_onesweep_config_selectorIhlEEZNS1_34radix_sort_onesweep_global_offsetsIS3_Lb0EPhN6thrust23THRUST_200600_302600_NS10device_ptrIlEEjNS0_19identity_decomposerEEE10hipError_tT1_T2_PT3_SG_jT4_jjP12ihipStream_tbEUlT_E_NS1_11comp_targetILNS1_3genE4ELNS1_11target_archE910ELNS1_3gpuE8ELNS1_3repE0EEENS1_52radix_sort_onesweep_histogram_config_static_selectorELNS0_4arch9wavefront6targetE1EEEvSE_, .Lfunc_end241-_ZN7rocprim17ROCPRIM_400000_NS6detail17trampoline_kernelINS0_14default_configENS1_35radix_sort_onesweep_config_selectorIhlEEZNS1_34radix_sort_onesweep_global_offsetsIS3_Lb0EPhN6thrust23THRUST_200600_302600_NS10device_ptrIlEEjNS0_19identity_decomposerEEE10hipError_tT1_T2_PT3_SG_jT4_jjP12ihipStream_tbEUlT_E_NS1_11comp_targetILNS1_3genE4ELNS1_11target_archE910ELNS1_3gpuE8ELNS1_3repE0EEENS1_52radix_sort_onesweep_histogram_config_static_selectorELNS0_4arch9wavefront6targetE1EEEvSE_
                                        ; -- End function
	.section	.AMDGPU.csdata,"",@progbits
; Kernel info:
; codeLenInByte = 2020
; NumSgprs: 34
; NumVgprs: 20
; NumAgprs: 0
; TotalNumVgprs: 20
; ScratchSize: 0
; MemoryBound: 0
; FloatMode: 240
; IeeeMode: 1
; LDSByteSize: 4096 bytes/workgroup (compile time only)
; SGPRBlocks: 4
; VGPRBlocks: 2
; NumSGPRsForWavesPerEU: 34
; NumVGPRsForWavesPerEU: 20
; AccumOffset: 20
; Occupancy: 8
; WaveLimiterHint : 1
; COMPUTE_PGM_RSRC2:SCRATCH_EN: 0
; COMPUTE_PGM_RSRC2:USER_SGPR: 6
; COMPUTE_PGM_RSRC2:TRAP_HANDLER: 0
; COMPUTE_PGM_RSRC2:TGID_X_EN: 1
; COMPUTE_PGM_RSRC2:TGID_Y_EN: 0
; COMPUTE_PGM_RSRC2:TGID_Z_EN: 0
; COMPUTE_PGM_RSRC2:TIDIG_COMP_CNT: 0
; COMPUTE_PGM_RSRC3_GFX90A:ACCUM_OFFSET: 4
; COMPUTE_PGM_RSRC3_GFX90A:TG_SPLIT: 0
	.section	.text._ZN7rocprim17ROCPRIM_400000_NS6detail17trampoline_kernelINS0_14default_configENS1_35radix_sort_onesweep_config_selectorIhlEEZNS1_34radix_sort_onesweep_global_offsetsIS3_Lb0EPhN6thrust23THRUST_200600_302600_NS10device_ptrIlEEjNS0_19identity_decomposerEEE10hipError_tT1_T2_PT3_SG_jT4_jjP12ihipStream_tbEUlT_E_NS1_11comp_targetILNS1_3genE3ELNS1_11target_archE908ELNS1_3gpuE7ELNS1_3repE0EEENS1_52radix_sort_onesweep_histogram_config_static_selectorELNS0_4arch9wavefront6targetE1EEEvSE_,"axG",@progbits,_ZN7rocprim17ROCPRIM_400000_NS6detail17trampoline_kernelINS0_14default_configENS1_35radix_sort_onesweep_config_selectorIhlEEZNS1_34radix_sort_onesweep_global_offsetsIS3_Lb0EPhN6thrust23THRUST_200600_302600_NS10device_ptrIlEEjNS0_19identity_decomposerEEE10hipError_tT1_T2_PT3_SG_jT4_jjP12ihipStream_tbEUlT_E_NS1_11comp_targetILNS1_3genE3ELNS1_11target_archE908ELNS1_3gpuE7ELNS1_3repE0EEENS1_52radix_sort_onesweep_histogram_config_static_selectorELNS0_4arch9wavefront6targetE1EEEvSE_,comdat
	.protected	_ZN7rocprim17ROCPRIM_400000_NS6detail17trampoline_kernelINS0_14default_configENS1_35radix_sort_onesweep_config_selectorIhlEEZNS1_34radix_sort_onesweep_global_offsetsIS3_Lb0EPhN6thrust23THRUST_200600_302600_NS10device_ptrIlEEjNS0_19identity_decomposerEEE10hipError_tT1_T2_PT3_SG_jT4_jjP12ihipStream_tbEUlT_E_NS1_11comp_targetILNS1_3genE3ELNS1_11target_archE908ELNS1_3gpuE7ELNS1_3repE0EEENS1_52radix_sort_onesweep_histogram_config_static_selectorELNS0_4arch9wavefront6targetE1EEEvSE_ ; -- Begin function _ZN7rocprim17ROCPRIM_400000_NS6detail17trampoline_kernelINS0_14default_configENS1_35radix_sort_onesweep_config_selectorIhlEEZNS1_34radix_sort_onesweep_global_offsetsIS3_Lb0EPhN6thrust23THRUST_200600_302600_NS10device_ptrIlEEjNS0_19identity_decomposerEEE10hipError_tT1_T2_PT3_SG_jT4_jjP12ihipStream_tbEUlT_E_NS1_11comp_targetILNS1_3genE3ELNS1_11target_archE908ELNS1_3gpuE7ELNS1_3repE0EEENS1_52radix_sort_onesweep_histogram_config_static_selectorELNS0_4arch9wavefront6targetE1EEEvSE_
	.globl	_ZN7rocprim17ROCPRIM_400000_NS6detail17trampoline_kernelINS0_14default_configENS1_35radix_sort_onesweep_config_selectorIhlEEZNS1_34radix_sort_onesweep_global_offsetsIS3_Lb0EPhN6thrust23THRUST_200600_302600_NS10device_ptrIlEEjNS0_19identity_decomposerEEE10hipError_tT1_T2_PT3_SG_jT4_jjP12ihipStream_tbEUlT_E_NS1_11comp_targetILNS1_3genE3ELNS1_11target_archE908ELNS1_3gpuE7ELNS1_3repE0EEENS1_52radix_sort_onesweep_histogram_config_static_selectorELNS0_4arch9wavefront6targetE1EEEvSE_
	.p2align	8
	.type	_ZN7rocprim17ROCPRIM_400000_NS6detail17trampoline_kernelINS0_14default_configENS1_35radix_sort_onesweep_config_selectorIhlEEZNS1_34radix_sort_onesweep_global_offsetsIS3_Lb0EPhN6thrust23THRUST_200600_302600_NS10device_ptrIlEEjNS0_19identity_decomposerEEE10hipError_tT1_T2_PT3_SG_jT4_jjP12ihipStream_tbEUlT_E_NS1_11comp_targetILNS1_3genE3ELNS1_11target_archE908ELNS1_3gpuE7ELNS1_3repE0EEENS1_52radix_sort_onesweep_histogram_config_static_selectorELNS0_4arch9wavefront6targetE1EEEvSE_,@function
_ZN7rocprim17ROCPRIM_400000_NS6detail17trampoline_kernelINS0_14default_configENS1_35radix_sort_onesweep_config_selectorIhlEEZNS1_34radix_sort_onesweep_global_offsetsIS3_Lb0EPhN6thrust23THRUST_200600_302600_NS10device_ptrIlEEjNS0_19identity_decomposerEEE10hipError_tT1_T2_PT3_SG_jT4_jjP12ihipStream_tbEUlT_E_NS1_11comp_targetILNS1_3genE3ELNS1_11target_archE908ELNS1_3gpuE7ELNS1_3repE0EEENS1_52radix_sort_onesweep_histogram_config_static_selectorELNS0_4arch9wavefront6targetE1EEEvSE_: ; @_ZN7rocprim17ROCPRIM_400000_NS6detail17trampoline_kernelINS0_14default_configENS1_35radix_sort_onesweep_config_selectorIhlEEZNS1_34radix_sort_onesweep_global_offsetsIS3_Lb0EPhN6thrust23THRUST_200600_302600_NS10device_ptrIlEEjNS0_19identity_decomposerEEE10hipError_tT1_T2_PT3_SG_jT4_jjP12ihipStream_tbEUlT_E_NS1_11comp_targetILNS1_3genE3ELNS1_11target_archE908ELNS1_3gpuE7ELNS1_3repE0EEENS1_52radix_sort_onesweep_histogram_config_static_selectorELNS0_4arch9wavefront6targetE1EEEvSE_
; %bb.0:
	.section	.rodata,"a",@progbits
	.p2align	6, 0x0
	.amdhsa_kernel _ZN7rocprim17ROCPRIM_400000_NS6detail17trampoline_kernelINS0_14default_configENS1_35radix_sort_onesweep_config_selectorIhlEEZNS1_34radix_sort_onesweep_global_offsetsIS3_Lb0EPhN6thrust23THRUST_200600_302600_NS10device_ptrIlEEjNS0_19identity_decomposerEEE10hipError_tT1_T2_PT3_SG_jT4_jjP12ihipStream_tbEUlT_E_NS1_11comp_targetILNS1_3genE3ELNS1_11target_archE908ELNS1_3gpuE7ELNS1_3repE0EEENS1_52radix_sort_onesweep_histogram_config_static_selectorELNS0_4arch9wavefront6targetE1EEEvSE_
		.amdhsa_group_segment_fixed_size 0
		.amdhsa_private_segment_fixed_size 0
		.amdhsa_kernarg_size 40
		.amdhsa_user_sgpr_count 6
		.amdhsa_user_sgpr_private_segment_buffer 1
		.amdhsa_user_sgpr_dispatch_ptr 0
		.amdhsa_user_sgpr_queue_ptr 0
		.amdhsa_user_sgpr_kernarg_segment_ptr 1
		.amdhsa_user_sgpr_dispatch_id 0
		.amdhsa_user_sgpr_flat_scratch_init 0
		.amdhsa_user_sgpr_kernarg_preload_length 0
		.amdhsa_user_sgpr_kernarg_preload_offset 0
		.amdhsa_user_sgpr_private_segment_size 0
		.amdhsa_uses_dynamic_stack 0
		.amdhsa_system_sgpr_private_segment_wavefront_offset 0
		.amdhsa_system_sgpr_workgroup_id_x 1
		.amdhsa_system_sgpr_workgroup_id_y 0
		.amdhsa_system_sgpr_workgroup_id_z 0
		.amdhsa_system_sgpr_workgroup_info 0
		.amdhsa_system_vgpr_workitem_id 0
		.amdhsa_next_free_vgpr 1
		.amdhsa_next_free_sgpr 0
		.amdhsa_accum_offset 4
		.amdhsa_reserve_vcc 0
		.amdhsa_reserve_flat_scratch 0
		.amdhsa_float_round_mode_32 0
		.amdhsa_float_round_mode_16_64 0
		.amdhsa_float_denorm_mode_32 3
		.amdhsa_float_denorm_mode_16_64 3
		.amdhsa_dx10_clamp 1
		.amdhsa_ieee_mode 1
		.amdhsa_fp16_overflow 0
		.amdhsa_tg_split 0
		.amdhsa_exception_fp_ieee_invalid_op 0
		.amdhsa_exception_fp_denorm_src 0
		.amdhsa_exception_fp_ieee_div_zero 0
		.amdhsa_exception_fp_ieee_overflow 0
		.amdhsa_exception_fp_ieee_underflow 0
		.amdhsa_exception_fp_ieee_inexact 0
		.amdhsa_exception_int_div_zero 0
	.end_amdhsa_kernel
	.section	.text._ZN7rocprim17ROCPRIM_400000_NS6detail17trampoline_kernelINS0_14default_configENS1_35radix_sort_onesweep_config_selectorIhlEEZNS1_34radix_sort_onesweep_global_offsetsIS3_Lb0EPhN6thrust23THRUST_200600_302600_NS10device_ptrIlEEjNS0_19identity_decomposerEEE10hipError_tT1_T2_PT3_SG_jT4_jjP12ihipStream_tbEUlT_E_NS1_11comp_targetILNS1_3genE3ELNS1_11target_archE908ELNS1_3gpuE7ELNS1_3repE0EEENS1_52radix_sort_onesweep_histogram_config_static_selectorELNS0_4arch9wavefront6targetE1EEEvSE_,"axG",@progbits,_ZN7rocprim17ROCPRIM_400000_NS6detail17trampoline_kernelINS0_14default_configENS1_35radix_sort_onesweep_config_selectorIhlEEZNS1_34radix_sort_onesweep_global_offsetsIS3_Lb0EPhN6thrust23THRUST_200600_302600_NS10device_ptrIlEEjNS0_19identity_decomposerEEE10hipError_tT1_T2_PT3_SG_jT4_jjP12ihipStream_tbEUlT_E_NS1_11comp_targetILNS1_3genE3ELNS1_11target_archE908ELNS1_3gpuE7ELNS1_3repE0EEENS1_52radix_sort_onesweep_histogram_config_static_selectorELNS0_4arch9wavefront6targetE1EEEvSE_,comdat
.Lfunc_end242:
	.size	_ZN7rocprim17ROCPRIM_400000_NS6detail17trampoline_kernelINS0_14default_configENS1_35radix_sort_onesweep_config_selectorIhlEEZNS1_34radix_sort_onesweep_global_offsetsIS3_Lb0EPhN6thrust23THRUST_200600_302600_NS10device_ptrIlEEjNS0_19identity_decomposerEEE10hipError_tT1_T2_PT3_SG_jT4_jjP12ihipStream_tbEUlT_E_NS1_11comp_targetILNS1_3genE3ELNS1_11target_archE908ELNS1_3gpuE7ELNS1_3repE0EEENS1_52radix_sort_onesweep_histogram_config_static_selectorELNS0_4arch9wavefront6targetE1EEEvSE_, .Lfunc_end242-_ZN7rocprim17ROCPRIM_400000_NS6detail17trampoline_kernelINS0_14default_configENS1_35radix_sort_onesweep_config_selectorIhlEEZNS1_34radix_sort_onesweep_global_offsetsIS3_Lb0EPhN6thrust23THRUST_200600_302600_NS10device_ptrIlEEjNS0_19identity_decomposerEEE10hipError_tT1_T2_PT3_SG_jT4_jjP12ihipStream_tbEUlT_E_NS1_11comp_targetILNS1_3genE3ELNS1_11target_archE908ELNS1_3gpuE7ELNS1_3repE0EEENS1_52radix_sort_onesweep_histogram_config_static_selectorELNS0_4arch9wavefront6targetE1EEEvSE_
                                        ; -- End function
	.section	.AMDGPU.csdata,"",@progbits
; Kernel info:
; codeLenInByte = 0
; NumSgprs: 4
; NumVgprs: 0
; NumAgprs: 0
; TotalNumVgprs: 0
; ScratchSize: 0
; MemoryBound: 0
; FloatMode: 240
; IeeeMode: 1
; LDSByteSize: 0 bytes/workgroup (compile time only)
; SGPRBlocks: 0
; VGPRBlocks: 0
; NumSGPRsForWavesPerEU: 4
; NumVGPRsForWavesPerEU: 1
; AccumOffset: 4
; Occupancy: 8
; WaveLimiterHint : 0
; COMPUTE_PGM_RSRC2:SCRATCH_EN: 0
; COMPUTE_PGM_RSRC2:USER_SGPR: 6
; COMPUTE_PGM_RSRC2:TRAP_HANDLER: 0
; COMPUTE_PGM_RSRC2:TGID_X_EN: 1
; COMPUTE_PGM_RSRC2:TGID_Y_EN: 0
; COMPUTE_PGM_RSRC2:TGID_Z_EN: 0
; COMPUTE_PGM_RSRC2:TIDIG_COMP_CNT: 0
; COMPUTE_PGM_RSRC3_GFX90A:ACCUM_OFFSET: 0
; COMPUTE_PGM_RSRC3_GFX90A:TG_SPLIT: 0
	.section	.text._ZN7rocprim17ROCPRIM_400000_NS6detail17trampoline_kernelINS0_14default_configENS1_35radix_sort_onesweep_config_selectorIhlEEZNS1_34radix_sort_onesweep_global_offsetsIS3_Lb0EPhN6thrust23THRUST_200600_302600_NS10device_ptrIlEEjNS0_19identity_decomposerEEE10hipError_tT1_T2_PT3_SG_jT4_jjP12ihipStream_tbEUlT_E_NS1_11comp_targetILNS1_3genE10ELNS1_11target_archE1201ELNS1_3gpuE5ELNS1_3repE0EEENS1_52radix_sort_onesweep_histogram_config_static_selectorELNS0_4arch9wavefront6targetE1EEEvSE_,"axG",@progbits,_ZN7rocprim17ROCPRIM_400000_NS6detail17trampoline_kernelINS0_14default_configENS1_35radix_sort_onesweep_config_selectorIhlEEZNS1_34radix_sort_onesweep_global_offsetsIS3_Lb0EPhN6thrust23THRUST_200600_302600_NS10device_ptrIlEEjNS0_19identity_decomposerEEE10hipError_tT1_T2_PT3_SG_jT4_jjP12ihipStream_tbEUlT_E_NS1_11comp_targetILNS1_3genE10ELNS1_11target_archE1201ELNS1_3gpuE5ELNS1_3repE0EEENS1_52radix_sort_onesweep_histogram_config_static_selectorELNS0_4arch9wavefront6targetE1EEEvSE_,comdat
	.protected	_ZN7rocprim17ROCPRIM_400000_NS6detail17trampoline_kernelINS0_14default_configENS1_35radix_sort_onesweep_config_selectorIhlEEZNS1_34radix_sort_onesweep_global_offsetsIS3_Lb0EPhN6thrust23THRUST_200600_302600_NS10device_ptrIlEEjNS0_19identity_decomposerEEE10hipError_tT1_T2_PT3_SG_jT4_jjP12ihipStream_tbEUlT_E_NS1_11comp_targetILNS1_3genE10ELNS1_11target_archE1201ELNS1_3gpuE5ELNS1_3repE0EEENS1_52radix_sort_onesweep_histogram_config_static_selectorELNS0_4arch9wavefront6targetE1EEEvSE_ ; -- Begin function _ZN7rocprim17ROCPRIM_400000_NS6detail17trampoline_kernelINS0_14default_configENS1_35radix_sort_onesweep_config_selectorIhlEEZNS1_34radix_sort_onesweep_global_offsetsIS3_Lb0EPhN6thrust23THRUST_200600_302600_NS10device_ptrIlEEjNS0_19identity_decomposerEEE10hipError_tT1_T2_PT3_SG_jT4_jjP12ihipStream_tbEUlT_E_NS1_11comp_targetILNS1_3genE10ELNS1_11target_archE1201ELNS1_3gpuE5ELNS1_3repE0EEENS1_52radix_sort_onesweep_histogram_config_static_selectorELNS0_4arch9wavefront6targetE1EEEvSE_
	.globl	_ZN7rocprim17ROCPRIM_400000_NS6detail17trampoline_kernelINS0_14default_configENS1_35radix_sort_onesweep_config_selectorIhlEEZNS1_34radix_sort_onesweep_global_offsetsIS3_Lb0EPhN6thrust23THRUST_200600_302600_NS10device_ptrIlEEjNS0_19identity_decomposerEEE10hipError_tT1_T2_PT3_SG_jT4_jjP12ihipStream_tbEUlT_E_NS1_11comp_targetILNS1_3genE10ELNS1_11target_archE1201ELNS1_3gpuE5ELNS1_3repE0EEENS1_52radix_sort_onesweep_histogram_config_static_selectorELNS0_4arch9wavefront6targetE1EEEvSE_
	.p2align	8
	.type	_ZN7rocprim17ROCPRIM_400000_NS6detail17trampoline_kernelINS0_14default_configENS1_35radix_sort_onesweep_config_selectorIhlEEZNS1_34radix_sort_onesweep_global_offsetsIS3_Lb0EPhN6thrust23THRUST_200600_302600_NS10device_ptrIlEEjNS0_19identity_decomposerEEE10hipError_tT1_T2_PT3_SG_jT4_jjP12ihipStream_tbEUlT_E_NS1_11comp_targetILNS1_3genE10ELNS1_11target_archE1201ELNS1_3gpuE5ELNS1_3repE0EEENS1_52radix_sort_onesweep_histogram_config_static_selectorELNS0_4arch9wavefront6targetE1EEEvSE_,@function
_ZN7rocprim17ROCPRIM_400000_NS6detail17trampoline_kernelINS0_14default_configENS1_35radix_sort_onesweep_config_selectorIhlEEZNS1_34radix_sort_onesweep_global_offsetsIS3_Lb0EPhN6thrust23THRUST_200600_302600_NS10device_ptrIlEEjNS0_19identity_decomposerEEE10hipError_tT1_T2_PT3_SG_jT4_jjP12ihipStream_tbEUlT_E_NS1_11comp_targetILNS1_3genE10ELNS1_11target_archE1201ELNS1_3gpuE5ELNS1_3repE0EEENS1_52radix_sort_onesweep_histogram_config_static_selectorELNS0_4arch9wavefront6targetE1EEEvSE_: ; @_ZN7rocprim17ROCPRIM_400000_NS6detail17trampoline_kernelINS0_14default_configENS1_35radix_sort_onesweep_config_selectorIhlEEZNS1_34radix_sort_onesweep_global_offsetsIS3_Lb0EPhN6thrust23THRUST_200600_302600_NS10device_ptrIlEEjNS0_19identity_decomposerEEE10hipError_tT1_T2_PT3_SG_jT4_jjP12ihipStream_tbEUlT_E_NS1_11comp_targetILNS1_3genE10ELNS1_11target_archE1201ELNS1_3gpuE5ELNS1_3repE0EEENS1_52radix_sort_onesweep_histogram_config_static_selectorELNS0_4arch9wavefront6targetE1EEEvSE_
; %bb.0:
	.section	.rodata,"a",@progbits
	.p2align	6, 0x0
	.amdhsa_kernel _ZN7rocprim17ROCPRIM_400000_NS6detail17trampoline_kernelINS0_14default_configENS1_35radix_sort_onesweep_config_selectorIhlEEZNS1_34radix_sort_onesweep_global_offsetsIS3_Lb0EPhN6thrust23THRUST_200600_302600_NS10device_ptrIlEEjNS0_19identity_decomposerEEE10hipError_tT1_T2_PT3_SG_jT4_jjP12ihipStream_tbEUlT_E_NS1_11comp_targetILNS1_3genE10ELNS1_11target_archE1201ELNS1_3gpuE5ELNS1_3repE0EEENS1_52radix_sort_onesweep_histogram_config_static_selectorELNS0_4arch9wavefront6targetE1EEEvSE_
		.amdhsa_group_segment_fixed_size 0
		.amdhsa_private_segment_fixed_size 0
		.amdhsa_kernarg_size 40
		.amdhsa_user_sgpr_count 6
		.amdhsa_user_sgpr_private_segment_buffer 1
		.amdhsa_user_sgpr_dispatch_ptr 0
		.amdhsa_user_sgpr_queue_ptr 0
		.amdhsa_user_sgpr_kernarg_segment_ptr 1
		.amdhsa_user_sgpr_dispatch_id 0
		.amdhsa_user_sgpr_flat_scratch_init 0
		.amdhsa_user_sgpr_kernarg_preload_length 0
		.amdhsa_user_sgpr_kernarg_preload_offset 0
		.amdhsa_user_sgpr_private_segment_size 0
		.amdhsa_uses_dynamic_stack 0
		.amdhsa_system_sgpr_private_segment_wavefront_offset 0
		.amdhsa_system_sgpr_workgroup_id_x 1
		.amdhsa_system_sgpr_workgroup_id_y 0
		.amdhsa_system_sgpr_workgroup_id_z 0
		.amdhsa_system_sgpr_workgroup_info 0
		.amdhsa_system_vgpr_workitem_id 0
		.amdhsa_next_free_vgpr 1
		.amdhsa_next_free_sgpr 0
		.amdhsa_accum_offset 4
		.amdhsa_reserve_vcc 0
		.amdhsa_reserve_flat_scratch 0
		.amdhsa_float_round_mode_32 0
		.amdhsa_float_round_mode_16_64 0
		.amdhsa_float_denorm_mode_32 3
		.amdhsa_float_denorm_mode_16_64 3
		.amdhsa_dx10_clamp 1
		.amdhsa_ieee_mode 1
		.amdhsa_fp16_overflow 0
		.amdhsa_tg_split 0
		.amdhsa_exception_fp_ieee_invalid_op 0
		.amdhsa_exception_fp_denorm_src 0
		.amdhsa_exception_fp_ieee_div_zero 0
		.amdhsa_exception_fp_ieee_overflow 0
		.amdhsa_exception_fp_ieee_underflow 0
		.amdhsa_exception_fp_ieee_inexact 0
		.amdhsa_exception_int_div_zero 0
	.end_amdhsa_kernel
	.section	.text._ZN7rocprim17ROCPRIM_400000_NS6detail17trampoline_kernelINS0_14default_configENS1_35radix_sort_onesweep_config_selectorIhlEEZNS1_34radix_sort_onesweep_global_offsetsIS3_Lb0EPhN6thrust23THRUST_200600_302600_NS10device_ptrIlEEjNS0_19identity_decomposerEEE10hipError_tT1_T2_PT3_SG_jT4_jjP12ihipStream_tbEUlT_E_NS1_11comp_targetILNS1_3genE10ELNS1_11target_archE1201ELNS1_3gpuE5ELNS1_3repE0EEENS1_52radix_sort_onesweep_histogram_config_static_selectorELNS0_4arch9wavefront6targetE1EEEvSE_,"axG",@progbits,_ZN7rocprim17ROCPRIM_400000_NS6detail17trampoline_kernelINS0_14default_configENS1_35radix_sort_onesweep_config_selectorIhlEEZNS1_34radix_sort_onesweep_global_offsetsIS3_Lb0EPhN6thrust23THRUST_200600_302600_NS10device_ptrIlEEjNS0_19identity_decomposerEEE10hipError_tT1_T2_PT3_SG_jT4_jjP12ihipStream_tbEUlT_E_NS1_11comp_targetILNS1_3genE10ELNS1_11target_archE1201ELNS1_3gpuE5ELNS1_3repE0EEENS1_52radix_sort_onesweep_histogram_config_static_selectorELNS0_4arch9wavefront6targetE1EEEvSE_,comdat
.Lfunc_end243:
	.size	_ZN7rocprim17ROCPRIM_400000_NS6detail17trampoline_kernelINS0_14default_configENS1_35radix_sort_onesweep_config_selectorIhlEEZNS1_34radix_sort_onesweep_global_offsetsIS3_Lb0EPhN6thrust23THRUST_200600_302600_NS10device_ptrIlEEjNS0_19identity_decomposerEEE10hipError_tT1_T2_PT3_SG_jT4_jjP12ihipStream_tbEUlT_E_NS1_11comp_targetILNS1_3genE10ELNS1_11target_archE1201ELNS1_3gpuE5ELNS1_3repE0EEENS1_52radix_sort_onesweep_histogram_config_static_selectorELNS0_4arch9wavefront6targetE1EEEvSE_, .Lfunc_end243-_ZN7rocprim17ROCPRIM_400000_NS6detail17trampoline_kernelINS0_14default_configENS1_35radix_sort_onesweep_config_selectorIhlEEZNS1_34radix_sort_onesweep_global_offsetsIS3_Lb0EPhN6thrust23THRUST_200600_302600_NS10device_ptrIlEEjNS0_19identity_decomposerEEE10hipError_tT1_T2_PT3_SG_jT4_jjP12ihipStream_tbEUlT_E_NS1_11comp_targetILNS1_3genE10ELNS1_11target_archE1201ELNS1_3gpuE5ELNS1_3repE0EEENS1_52radix_sort_onesweep_histogram_config_static_selectorELNS0_4arch9wavefront6targetE1EEEvSE_
                                        ; -- End function
	.section	.AMDGPU.csdata,"",@progbits
; Kernel info:
; codeLenInByte = 0
; NumSgprs: 4
; NumVgprs: 0
; NumAgprs: 0
; TotalNumVgprs: 0
; ScratchSize: 0
; MemoryBound: 0
; FloatMode: 240
; IeeeMode: 1
; LDSByteSize: 0 bytes/workgroup (compile time only)
; SGPRBlocks: 0
; VGPRBlocks: 0
; NumSGPRsForWavesPerEU: 4
; NumVGPRsForWavesPerEU: 1
; AccumOffset: 4
; Occupancy: 8
; WaveLimiterHint : 0
; COMPUTE_PGM_RSRC2:SCRATCH_EN: 0
; COMPUTE_PGM_RSRC2:USER_SGPR: 6
; COMPUTE_PGM_RSRC2:TRAP_HANDLER: 0
; COMPUTE_PGM_RSRC2:TGID_X_EN: 1
; COMPUTE_PGM_RSRC2:TGID_Y_EN: 0
; COMPUTE_PGM_RSRC2:TGID_Z_EN: 0
; COMPUTE_PGM_RSRC2:TIDIG_COMP_CNT: 0
; COMPUTE_PGM_RSRC3_GFX90A:ACCUM_OFFSET: 0
; COMPUTE_PGM_RSRC3_GFX90A:TG_SPLIT: 0
	.section	.text._ZN7rocprim17ROCPRIM_400000_NS6detail17trampoline_kernelINS0_14default_configENS1_35radix_sort_onesweep_config_selectorIhlEEZNS1_34radix_sort_onesweep_global_offsetsIS3_Lb0EPhN6thrust23THRUST_200600_302600_NS10device_ptrIlEEjNS0_19identity_decomposerEEE10hipError_tT1_T2_PT3_SG_jT4_jjP12ihipStream_tbEUlT_E_NS1_11comp_targetILNS1_3genE9ELNS1_11target_archE1100ELNS1_3gpuE3ELNS1_3repE0EEENS1_52radix_sort_onesweep_histogram_config_static_selectorELNS0_4arch9wavefront6targetE1EEEvSE_,"axG",@progbits,_ZN7rocprim17ROCPRIM_400000_NS6detail17trampoline_kernelINS0_14default_configENS1_35radix_sort_onesweep_config_selectorIhlEEZNS1_34radix_sort_onesweep_global_offsetsIS3_Lb0EPhN6thrust23THRUST_200600_302600_NS10device_ptrIlEEjNS0_19identity_decomposerEEE10hipError_tT1_T2_PT3_SG_jT4_jjP12ihipStream_tbEUlT_E_NS1_11comp_targetILNS1_3genE9ELNS1_11target_archE1100ELNS1_3gpuE3ELNS1_3repE0EEENS1_52radix_sort_onesweep_histogram_config_static_selectorELNS0_4arch9wavefront6targetE1EEEvSE_,comdat
	.protected	_ZN7rocprim17ROCPRIM_400000_NS6detail17trampoline_kernelINS0_14default_configENS1_35radix_sort_onesweep_config_selectorIhlEEZNS1_34radix_sort_onesweep_global_offsetsIS3_Lb0EPhN6thrust23THRUST_200600_302600_NS10device_ptrIlEEjNS0_19identity_decomposerEEE10hipError_tT1_T2_PT3_SG_jT4_jjP12ihipStream_tbEUlT_E_NS1_11comp_targetILNS1_3genE9ELNS1_11target_archE1100ELNS1_3gpuE3ELNS1_3repE0EEENS1_52radix_sort_onesweep_histogram_config_static_selectorELNS0_4arch9wavefront6targetE1EEEvSE_ ; -- Begin function _ZN7rocprim17ROCPRIM_400000_NS6detail17trampoline_kernelINS0_14default_configENS1_35radix_sort_onesweep_config_selectorIhlEEZNS1_34radix_sort_onesweep_global_offsetsIS3_Lb0EPhN6thrust23THRUST_200600_302600_NS10device_ptrIlEEjNS0_19identity_decomposerEEE10hipError_tT1_T2_PT3_SG_jT4_jjP12ihipStream_tbEUlT_E_NS1_11comp_targetILNS1_3genE9ELNS1_11target_archE1100ELNS1_3gpuE3ELNS1_3repE0EEENS1_52radix_sort_onesweep_histogram_config_static_selectorELNS0_4arch9wavefront6targetE1EEEvSE_
	.globl	_ZN7rocprim17ROCPRIM_400000_NS6detail17trampoline_kernelINS0_14default_configENS1_35radix_sort_onesweep_config_selectorIhlEEZNS1_34radix_sort_onesweep_global_offsetsIS3_Lb0EPhN6thrust23THRUST_200600_302600_NS10device_ptrIlEEjNS0_19identity_decomposerEEE10hipError_tT1_T2_PT3_SG_jT4_jjP12ihipStream_tbEUlT_E_NS1_11comp_targetILNS1_3genE9ELNS1_11target_archE1100ELNS1_3gpuE3ELNS1_3repE0EEENS1_52radix_sort_onesweep_histogram_config_static_selectorELNS0_4arch9wavefront6targetE1EEEvSE_
	.p2align	8
	.type	_ZN7rocprim17ROCPRIM_400000_NS6detail17trampoline_kernelINS0_14default_configENS1_35radix_sort_onesweep_config_selectorIhlEEZNS1_34radix_sort_onesweep_global_offsetsIS3_Lb0EPhN6thrust23THRUST_200600_302600_NS10device_ptrIlEEjNS0_19identity_decomposerEEE10hipError_tT1_T2_PT3_SG_jT4_jjP12ihipStream_tbEUlT_E_NS1_11comp_targetILNS1_3genE9ELNS1_11target_archE1100ELNS1_3gpuE3ELNS1_3repE0EEENS1_52radix_sort_onesweep_histogram_config_static_selectorELNS0_4arch9wavefront6targetE1EEEvSE_,@function
_ZN7rocprim17ROCPRIM_400000_NS6detail17trampoline_kernelINS0_14default_configENS1_35radix_sort_onesweep_config_selectorIhlEEZNS1_34radix_sort_onesweep_global_offsetsIS3_Lb0EPhN6thrust23THRUST_200600_302600_NS10device_ptrIlEEjNS0_19identity_decomposerEEE10hipError_tT1_T2_PT3_SG_jT4_jjP12ihipStream_tbEUlT_E_NS1_11comp_targetILNS1_3genE9ELNS1_11target_archE1100ELNS1_3gpuE3ELNS1_3repE0EEENS1_52radix_sort_onesweep_histogram_config_static_selectorELNS0_4arch9wavefront6targetE1EEEvSE_: ; @_ZN7rocprim17ROCPRIM_400000_NS6detail17trampoline_kernelINS0_14default_configENS1_35radix_sort_onesweep_config_selectorIhlEEZNS1_34radix_sort_onesweep_global_offsetsIS3_Lb0EPhN6thrust23THRUST_200600_302600_NS10device_ptrIlEEjNS0_19identity_decomposerEEE10hipError_tT1_T2_PT3_SG_jT4_jjP12ihipStream_tbEUlT_E_NS1_11comp_targetILNS1_3genE9ELNS1_11target_archE1100ELNS1_3gpuE3ELNS1_3repE0EEENS1_52radix_sort_onesweep_histogram_config_static_selectorELNS0_4arch9wavefront6targetE1EEEvSE_
; %bb.0:
	.section	.rodata,"a",@progbits
	.p2align	6, 0x0
	.amdhsa_kernel _ZN7rocprim17ROCPRIM_400000_NS6detail17trampoline_kernelINS0_14default_configENS1_35radix_sort_onesweep_config_selectorIhlEEZNS1_34radix_sort_onesweep_global_offsetsIS3_Lb0EPhN6thrust23THRUST_200600_302600_NS10device_ptrIlEEjNS0_19identity_decomposerEEE10hipError_tT1_T2_PT3_SG_jT4_jjP12ihipStream_tbEUlT_E_NS1_11comp_targetILNS1_3genE9ELNS1_11target_archE1100ELNS1_3gpuE3ELNS1_3repE0EEENS1_52radix_sort_onesweep_histogram_config_static_selectorELNS0_4arch9wavefront6targetE1EEEvSE_
		.amdhsa_group_segment_fixed_size 0
		.amdhsa_private_segment_fixed_size 0
		.amdhsa_kernarg_size 40
		.amdhsa_user_sgpr_count 6
		.amdhsa_user_sgpr_private_segment_buffer 1
		.amdhsa_user_sgpr_dispatch_ptr 0
		.amdhsa_user_sgpr_queue_ptr 0
		.amdhsa_user_sgpr_kernarg_segment_ptr 1
		.amdhsa_user_sgpr_dispatch_id 0
		.amdhsa_user_sgpr_flat_scratch_init 0
		.amdhsa_user_sgpr_kernarg_preload_length 0
		.amdhsa_user_sgpr_kernarg_preload_offset 0
		.amdhsa_user_sgpr_private_segment_size 0
		.amdhsa_uses_dynamic_stack 0
		.amdhsa_system_sgpr_private_segment_wavefront_offset 0
		.amdhsa_system_sgpr_workgroup_id_x 1
		.amdhsa_system_sgpr_workgroup_id_y 0
		.amdhsa_system_sgpr_workgroup_id_z 0
		.amdhsa_system_sgpr_workgroup_info 0
		.amdhsa_system_vgpr_workitem_id 0
		.amdhsa_next_free_vgpr 1
		.amdhsa_next_free_sgpr 0
		.amdhsa_accum_offset 4
		.amdhsa_reserve_vcc 0
		.amdhsa_reserve_flat_scratch 0
		.amdhsa_float_round_mode_32 0
		.amdhsa_float_round_mode_16_64 0
		.amdhsa_float_denorm_mode_32 3
		.amdhsa_float_denorm_mode_16_64 3
		.amdhsa_dx10_clamp 1
		.amdhsa_ieee_mode 1
		.amdhsa_fp16_overflow 0
		.amdhsa_tg_split 0
		.amdhsa_exception_fp_ieee_invalid_op 0
		.amdhsa_exception_fp_denorm_src 0
		.amdhsa_exception_fp_ieee_div_zero 0
		.amdhsa_exception_fp_ieee_overflow 0
		.amdhsa_exception_fp_ieee_underflow 0
		.amdhsa_exception_fp_ieee_inexact 0
		.amdhsa_exception_int_div_zero 0
	.end_amdhsa_kernel
	.section	.text._ZN7rocprim17ROCPRIM_400000_NS6detail17trampoline_kernelINS0_14default_configENS1_35radix_sort_onesweep_config_selectorIhlEEZNS1_34radix_sort_onesweep_global_offsetsIS3_Lb0EPhN6thrust23THRUST_200600_302600_NS10device_ptrIlEEjNS0_19identity_decomposerEEE10hipError_tT1_T2_PT3_SG_jT4_jjP12ihipStream_tbEUlT_E_NS1_11comp_targetILNS1_3genE9ELNS1_11target_archE1100ELNS1_3gpuE3ELNS1_3repE0EEENS1_52radix_sort_onesweep_histogram_config_static_selectorELNS0_4arch9wavefront6targetE1EEEvSE_,"axG",@progbits,_ZN7rocprim17ROCPRIM_400000_NS6detail17trampoline_kernelINS0_14default_configENS1_35radix_sort_onesweep_config_selectorIhlEEZNS1_34radix_sort_onesweep_global_offsetsIS3_Lb0EPhN6thrust23THRUST_200600_302600_NS10device_ptrIlEEjNS0_19identity_decomposerEEE10hipError_tT1_T2_PT3_SG_jT4_jjP12ihipStream_tbEUlT_E_NS1_11comp_targetILNS1_3genE9ELNS1_11target_archE1100ELNS1_3gpuE3ELNS1_3repE0EEENS1_52radix_sort_onesweep_histogram_config_static_selectorELNS0_4arch9wavefront6targetE1EEEvSE_,comdat
.Lfunc_end244:
	.size	_ZN7rocprim17ROCPRIM_400000_NS6detail17trampoline_kernelINS0_14default_configENS1_35radix_sort_onesweep_config_selectorIhlEEZNS1_34radix_sort_onesweep_global_offsetsIS3_Lb0EPhN6thrust23THRUST_200600_302600_NS10device_ptrIlEEjNS0_19identity_decomposerEEE10hipError_tT1_T2_PT3_SG_jT4_jjP12ihipStream_tbEUlT_E_NS1_11comp_targetILNS1_3genE9ELNS1_11target_archE1100ELNS1_3gpuE3ELNS1_3repE0EEENS1_52radix_sort_onesweep_histogram_config_static_selectorELNS0_4arch9wavefront6targetE1EEEvSE_, .Lfunc_end244-_ZN7rocprim17ROCPRIM_400000_NS6detail17trampoline_kernelINS0_14default_configENS1_35radix_sort_onesweep_config_selectorIhlEEZNS1_34radix_sort_onesweep_global_offsetsIS3_Lb0EPhN6thrust23THRUST_200600_302600_NS10device_ptrIlEEjNS0_19identity_decomposerEEE10hipError_tT1_T2_PT3_SG_jT4_jjP12ihipStream_tbEUlT_E_NS1_11comp_targetILNS1_3genE9ELNS1_11target_archE1100ELNS1_3gpuE3ELNS1_3repE0EEENS1_52radix_sort_onesweep_histogram_config_static_selectorELNS0_4arch9wavefront6targetE1EEEvSE_
                                        ; -- End function
	.section	.AMDGPU.csdata,"",@progbits
; Kernel info:
; codeLenInByte = 0
; NumSgprs: 4
; NumVgprs: 0
; NumAgprs: 0
; TotalNumVgprs: 0
; ScratchSize: 0
; MemoryBound: 0
; FloatMode: 240
; IeeeMode: 1
; LDSByteSize: 0 bytes/workgroup (compile time only)
; SGPRBlocks: 0
; VGPRBlocks: 0
; NumSGPRsForWavesPerEU: 4
; NumVGPRsForWavesPerEU: 1
; AccumOffset: 4
; Occupancy: 8
; WaveLimiterHint : 0
; COMPUTE_PGM_RSRC2:SCRATCH_EN: 0
; COMPUTE_PGM_RSRC2:USER_SGPR: 6
; COMPUTE_PGM_RSRC2:TRAP_HANDLER: 0
; COMPUTE_PGM_RSRC2:TGID_X_EN: 1
; COMPUTE_PGM_RSRC2:TGID_Y_EN: 0
; COMPUTE_PGM_RSRC2:TGID_Z_EN: 0
; COMPUTE_PGM_RSRC2:TIDIG_COMP_CNT: 0
; COMPUTE_PGM_RSRC3_GFX90A:ACCUM_OFFSET: 0
; COMPUTE_PGM_RSRC3_GFX90A:TG_SPLIT: 0
	.section	.text._ZN7rocprim17ROCPRIM_400000_NS6detail17trampoline_kernelINS0_14default_configENS1_35radix_sort_onesweep_config_selectorIhlEEZNS1_34radix_sort_onesweep_global_offsetsIS3_Lb0EPhN6thrust23THRUST_200600_302600_NS10device_ptrIlEEjNS0_19identity_decomposerEEE10hipError_tT1_T2_PT3_SG_jT4_jjP12ihipStream_tbEUlT_E_NS1_11comp_targetILNS1_3genE8ELNS1_11target_archE1030ELNS1_3gpuE2ELNS1_3repE0EEENS1_52radix_sort_onesweep_histogram_config_static_selectorELNS0_4arch9wavefront6targetE1EEEvSE_,"axG",@progbits,_ZN7rocprim17ROCPRIM_400000_NS6detail17trampoline_kernelINS0_14default_configENS1_35radix_sort_onesweep_config_selectorIhlEEZNS1_34radix_sort_onesweep_global_offsetsIS3_Lb0EPhN6thrust23THRUST_200600_302600_NS10device_ptrIlEEjNS0_19identity_decomposerEEE10hipError_tT1_T2_PT3_SG_jT4_jjP12ihipStream_tbEUlT_E_NS1_11comp_targetILNS1_3genE8ELNS1_11target_archE1030ELNS1_3gpuE2ELNS1_3repE0EEENS1_52radix_sort_onesweep_histogram_config_static_selectorELNS0_4arch9wavefront6targetE1EEEvSE_,comdat
	.protected	_ZN7rocprim17ROCPRIM_400000_NS6detail17trampoline_kernelINS0_14default_configENS1_35radix_sort_onesweep_config_selectorIhlEEZNS1_34radix_sort_onesweep_global_offsetsIS3_Lb0EPhN6thrust23THRUST_200600_302600_NS10device_ptrIlEEjNS0_19identity_decomposerEEE10hipError_tT1_T2_PT3_SG_jT4_jjP12ihipStream_tbEUlT_E_NS1_11comp_targetILNS1_3genE8ELNS1_11target_archE1030ELNS1_3gpuE2ELNS1_3repE0EEENS1_52radix_sort_onesweep_histogram_config_static_selectorELNS0_4arch9wavefront6targetE1EEEvSE_ ; -- Begin function _ZN7rocprim17ROCPRIM_400000_NS6detail17trampoline_kernelINS0_14default_configENS1_35radix_sort_onesweep_config_selectorIhlEEZNS1_34radix_sort_onesweep_global_offsetsIS3_Lb0EPhN6thrust23THRUST_200600_302600_NS10device_ptrIlEEjNS0_19identity_decomposerEEE10hipError_tT1_T2_PT3_SG_jT4_jjP12ihipStream_tbEUlT_E_NS1_11comp_targetILNS1_3genE8ELNS1_11target_archE1030ELNS1_3gpuE2ELNS1_3repE0EEENS1_52radix_sort_onesweep_histogram_config_static_selectorELNS0_4arch9wavefront6targetE1EEEvSE_
	.globl	_ZN7rocprim17ROCPRIM_400000_NS6detail17trampoline_kernelINS0_14default_configENS1_35radix_sort_onesweep_config_selectorIhlEEZNS1_34radix_sort_onesweep_global_offsetsIS3_Lb0EPhN6thrust23THRUST_200600_302600_NS10device_ptrIlEEjNS0_19identity_decomposerEEE10hipError_tT1_T2_PT3_SG_jT4_jjP12ihipStream_tbEUlT_E_NS1_11comp_targetILNS1_3genE8ELNS1_11target_archE1030ELNS1_3gpuE2ELNS1_3repE0EEENS1_52radix_sort_onesweep_histogram_config_static_selectorELNS0_4arch9wavefront6targetE1EEEvSE_
	.p2align	8
	.type	_ZN7rocprim17ROCPRIM_400000_NS6detail17trampoline_kernelINS0_14default_configENS1_35radix_sort_onesweep_config_selectorIhlEEZNS1_34radix_sort_onesweep_global_offsetsIS3_Lb0EPhN6thrust23THRUST_200600_302600_NS10device_ptrIlEEjNS0_19identity_decomposerEEE10hipError_tT1_T2_PT3_SG_jT4_jjP12ihipStream_tbEUlT_E_NS1_11comp_targetILNS1_3genE8ELNS1_11target_archE1030ELNS1_3gpuE2ELNS1_3repE0EEENS1_52radix_sort_onesweep_histogram_config_static_selectorELNS0_4arch9wavefront6targetE1EEEvSE_,@function
_ZN7rocprim17ROCPRIM_400000_NS6detail17trampoline_kernelINS0_14default_configENS1_35radix_sort_onesweep_config_selectorIhlEEZNS1_34radix_sort_onesweep_global_offsetsIS3_Lb0EPhN6thrust23THRUST_200600_302600_NS10device_ptrIlEEjNS0_19identity_decomposerEEE10hipError_tT1_T2_PT3_SG_jT4_jjP12ihipStream_tbEUlT_E_NS1_11comp_targetILNS1_3genE8ELNS1_11target_archE1030ELNS1_3gpuE2ELNS1_3repE0EEENS1_52radix_sort_onesweep_histogram_config_static_selectorELNS0_4arch9wavefront6targetE1EEEvSE_: ; @_ZN7rocprim17ROCPRIM_400000_NS6detail17trampoline_kernelINS0_14default_configENS1_35radix_sort_onesweep_config_selectorIhlEEZNS1_34radix_sort_onesweep_global_offsetsIS3_Lb0EPhN6thrust23THRUST_200600_302600_NS10device_ptrIlEEjNS0_19identity_decomposerEEE10hipError_tT1_T2_PT3_SG_jT4_jjP12ihipStream_tbEUlT_E_NS1_11comp_targetILNS1_3genE8ELNS1_11target_archE1030ELNS1_3gpuE2ELNS1_3repE0EEENS1_52radix_sort_onesweep_histogram_config_static_selectorELNS0_4arch9wavefront6targetE1EEEvSE_
; %bb.0:
	.section	.rodata,"a",@progbits
	.p2align	6, 0x0
	.amdhsa_kernel _ZN7rocprim17ROCPRIM_400000_NS6detail17trampoline_kernelINS0_14default_configENS1_35radix_sort_onesweep_config_selectorIhlEEZNS1_34radix_sort_onesweep_global_offsetsIS3_Lb0EPhN6thrust23THRUST_200600_302600_NS10device_ptrIlEEjNS0_19identity_decomposerEEE10hipError_tT1_T2_PT3_SG_jT4_jjP12ihipStream_tbEUlT_E_NS1_11comp_targetILNS1_3genE8ELNS1_11target_archE1030ELNS1_3gpuE2ELNS1_3repE0EEENS1_52radix_sort_onesweep_histogram_config_static_selectorELNS0_4arch9wavefront6targetE1EEEvSE_
		.amdhsa_group_segment_fixed_size 0
		.amdhsa_private_segment_fixed_size 0
		.amdhsa_kernarg_size 40
		.amdhsa_user_sgpr_count 6
		.amdhsa_user_sgpr_private_segment_buffer 1
		.amdhsa_user_sgpr_dispatch_ptr 0
		.amdhsa_user_sgpr_queue_ptr 0
		.amdhsa_user_sgpr_kernarg_segment_ptr 1
		.amdhsa_user_sgpr_dispatch_id 0
		.amdhsa_user_sgpr_flat_scratch_init 0
		.amdhsa_user_sgpr_kernarg_preload_length 0
		.amdhsa_user_sgpr_kernarg_preload_offset 0
		.amdhsa_user_sgpr_private_segment_size 0
		.amdhsa_uses_dynamic_stack 0
		.amdhsa_system_sgpr_private_segment_wavefront_offset 0
		.amdhsa_system_sgpr_workgroup_id_x 1
		.amdhsa_system_sgpr_workgroup_id_y 0
		.amdhsa_system_sgpr_workgroup_id_z 0
		.amdhsa_system_sgpr_workgroup_info 0
		.amdhsa_system_vgpr_workitem_id 0
		.amdhsa_next_free_vgpr 1
		.amdhsa_next_free_sgpr 0
		.amdhsa_accum_offset 4
		.amdhsa_reserve_vcc 0
		.amdhsa_reserve_flat_scratch 0
		.amdhsa_float_round_mode_32 0
		.amdhsa_float_round_mode_16_64 0
		.amdhsa_float_denorm_mode_32 3
		.amdhsa_float_denorm_mode_16_64 3
		.amdhsa_dx10_clamp 1
		.amdhsa_ieee_mode 1
		.amdhsa_fp16_overflow 0
		.amdhsa_tg_split 0
		.amdhsa_exception_fp_ieee_invalid_op 0
		.amdhsa_exception_fp_denorm_src 0
		.amdhsa_exception_fp_ieee_div_zero 0
		.amdhsa_exception_fp_ieee_overflow 0
		.amdhsa_exception_fp_ieee_underflow 0
		.amdhsa_exception_fp_ieee_inexact 0
		.amdhsa_exception_int_div_zero 0
	.end_amdhsa_kernel
	.section	.text._ZN7rocprim17ROCPRIM_400000_NS6detail17trampoline_kernelINS0_14default_configENS1_35radix_sort_onesweep_config_selectorIhlEEZNS1_34radix_sort_onesweep_global_offsetsIS3_Lb0EPhN6thrust23THRUST_200600_302600_NS10device_ptrIlEEjNS0_19identity_decomposerEEE10hipError_tT1_T2_PT3_SG_jT4_jjP12ihipStream_tbEUlT_E_NS1_11comp_targetILNS1_3genE8ELNS1_11target_archE1030ELNS1_3gpuE2ELNS1_3repE0EEENS1_52radix_sort_onesweep_histogram_config_static_selectorELNS0_4arch9wavefront6targetE1EEEvSE_,"axG",@progbits,_ZN7rocprim17ROCPRIM_400000_NS6detail17trampoline_kernelINS0_14default_configENS1_35radix_sort_onesweep_config_selectorIhlEEZNS1_34radix_sort_onesweep_global_offsetsIS3_Lb0EPhN6thrust23THRUST_200600_302600_NS10device_ptrIlEEjNS0_19identity_decomposerEEE10hipError_tT1_T2_PT3_SG_jT4_jjP12ihipStream_tbEUlT_E_NS1_11comp_targetILNS1_3genE8ELNS1_11target_archE1030ELNS1_3gpuE2ELNS1_3repE0EEENS1_52radix_sort_onesweep_histogram_config_static_selectorELNS0_4arch9wavefront6targetE1EEEvSE_,comdat
.Lfunc_end245:
	.size	_ZN7rocprim17ROCPRIM_400000_NS6detail17trampoline_kernelINS0_14default_configENS1_35radix_sort_onesweep_config_selectorIhlEEZNS1_34radix_sort_onesweep_global_offsetsIS3_Lb0EPhN6thrust23THRUST_200600_302600_NS10device_ptrIlEEjNS0_19identity_decomposerEEE10hipError_tT1_T2_PT3_SG_jT4_jjP12ihipStream_tbEUlT_E_NS1_11comp_targetILNS1_3genE8ELNS1_11target_archE1030ELNS1_3gpuE2ELNS1_3repE0EEENS1_52radix_sort_onesweep_histogram_config_static_selectorELNS0_4arch9wavefront6targetE1EEEvSE_, .Lfunc_end245-_ZN7rocprim17ROCPRIM_400000_NS6detail17trampoline_kernelINS0_14default_configENS1_35radix_sort_onesweep_config_selectorIhlEEZNS1_34radix_sort_onesweep_global_offsetsIS3_Lb0EPhN6thrust23THRUST_200600_302600_NS10device_ptrIlEEjNS0_19identity_decomposerEEE10hipError_tT1_T2_PT3_SG_jT4_jjP12ihipStream_tbEUlT_E_NS1_11comp_targetILNS1_3genE8ELNS1_11target_archE1030ELNS1_3gpuE2ELNS1_3repE0EEENS1_52radix_sort_onesweep_histogram_config_static_selectorELNS0_4arch9wavefront6targetE1EEEvSE_
                                        ; -- End function
	.section	.AMDGPU.csdata,"",@progbits
; Kernel info:
; codeLenInByte = 0
; NumSgprs: 4
; NumVgprs: 0
; NumAgprs: 0
; TotalNumVgprs: 0
; ScratchSize: 0
; MemoryBound: 0
; FloatMode: 240
; IeeeMode: 1
; LDSByteSize: 0 bytes/workgroup (compile time only)
; SGPRBlocks: 0
; VGPRBlocks: 0
; NumSGPRsForWavesPerEU: 4
; NumVGPRsForWavesPerEU: 1
; AccumOffset: 4
; Occupancy: 8
; WaveLimiterHint : 0
; COMPUTE_PGM_RSRC2:SCRATCH_EN: 0
; COMPUTE_PGM_RSRC2:USER_SGPR: 6
; COMPUTE_PGM_RSRC2:TRAP_HANDLER: 0
; COMPUTE_PGM_RSRC2:TGID_X_EN: 1
; COMPUTE_PGM_RSRC2:TGID_Y_EN: 0
; COMPUTE_PGM_RSRC2:TGID_Z_EN: 0
; COMPUTE_PGM_RSRC2:TIDIG_COMP_CNT: 0
; COMPUTE_PGM_RSRC3_GFX90A:ACCUM_OFFSET: 0
; COMPUTE_PGM_RSRC3_GFX90A:TG_SPLIT: 0
	.section	.text._ZN7rocprim17ROCPRIM_400000_NS6detail17trampoline_kernelINS0_14default_configENS1_35radix_sort_onesweep_config_selectorIhlEEZNS1_34radix_sort_onesweep_global_offsetsIS3_Lb0EPhN6thrust23THRUST_200600_302600_NS10device_ptrIlEEjNS0_19identity_decomposerEEE10hipError_tT1_T2_PT3_SG_jT4_jjP12ihipStream_tbEUlT_E0_NS1_11comp_targetILNS1_3genE0ELNS1_11target_archE4294967295ELNS1_3gpuE0ELNS1_3repE0EEENS1_52radix_sort_onesweep_histogram_config_static_selectorELNS0_4arch9wavefront6targetE1EEEvSE_,"axG",@progbits,_ZN7rocprim17ROCPRIM_400000_NS6detail17trampoline_kernelINS0_14default_configENS1_35radix_sort_onesweep_config_selectorIhlEEZNS1_34radix_sort_onesweep_global_offsetsIS3_Lb0EPhN6thrust23THRUST_200600_302600_NS10device_ptrIlEEjNS0_19identity_decomposerEEE10hipError_tT1_T2_PT3_SG_jT4_jjP12ihipStream_tbEUlT_E0_NS1_11comp_targetILNS1_3genE0ELNS1_11target_archE4294967295ELNS1_3gpuE0ELNS1_3repE0EEENS1_52radix_sort_onesweep_histogram_config_static_selectorELNS0_4arch9wavefront6targetE1EEEvSE_,comdat
	.protected	_ZN7rocprim17ROCPRIM_400000_NS6detail17trampoline_kernelINS0_14default_configENS1_35radix_sort_onesweep_config_selectorIhlEEZNS1_34radix_sort_onesweep_global_offsetsIS3_Lb0EPhN6thrust23THRUST_200600_302600_NS10device_ptrIlEEjNS0_19identity_decomposerEEE10hipError_tT1_T2_PT3_SG_jT4_jjP12ihipStream_tbEUlT_E0_NS1_11comp_targetILNS1_3genE0ELNS1_11target_archE4294967295ELNS1_3gpuE0ELNS1_3repE0EEENS1_52radix_sort_onesweep_histogram_config_static_selectorELNS0_4arch9wavefront6targetE1EEEvSE_ ; -- Begin function _ZN7rocprim17ROCPRIM_400000_NS6detail17trampoline_kernelINS0_14default_configENS1_35radix_sort_onesweep_config_selectorIhlEEZNS1_34radix_sort_onesweep_global_offsetsIS3_Lb0EPhN6thrust23THRUST_200600_302600_NS10device_ptrIlEEjNS0_19identity_decomposerEEE10hipError_tT1_T2_PT3_SG_jT4_jjP12ihipStream_tbEUlT_E0_NS1_11comp_targetILNS1_3genE0ELNS1_11target_archE4294967295ELNS1_3gpuE0ELNS1_3repE0EEENS1_52radix_sort_onesweep_histogram_config_static_selectorELNS0_4arch9wavefront6targetE1EEEvSE_
	.globl	_ZN7rocprim17ROCPRIM_400000_NS6detail17trampoline_kernelINS0_14default_configENS1_35radix_sort_onesweep_config_selectorIhlEEZNS1_34radix_sort_onesweep_global_offsetsIS3_Lb0EPhN6thrust23THRUST_200600_302600_NS10device_ptrIlEEjNS0_19identity_decomposerEEE10hipError_tT1_T2_PT3_SG_jT4_jjP12ihipStream_tbEUlT_E0_NS1_11comp_targetILNS1_3genE0ELNS1_11target_archE4294967295ELNS1_3gpuE0ELNS1_3repE0EEENS1_52radix_sort_onesweep_histogram_config_static_selectorELNS0_4arch9wavefront6targetE1EEEvSE_
	.p2align	8
	.type	_ZN7rocprim17ROCPRIM_400000_NS6detail17trampoline_kernelINS0_14default_configENS1_35radix_sort_onesweep_config_selectorIhlEEZNS1_34radix_sort_onesweep_global_offsetsIS3_Lb0EPhN6thrust23THRUST_200600_302600_NS10device_ptrIlEEjNS0_19identity_decomposerEEE10hipError_tT1_T2_PT3_SG_jT4_jjP12ihipStream_tbEUlT_E0_NS1_11comp_targetILNS1_3genE0ELNS1_11target_archE4294967295ELNS1_3gpuE0ELNS1_3repE0EEENS1_52radix_sort_onesweep_histogram_config_static_selectorELNS0_4arch9wavefront6targetE1EEEvSE_,@function
_ZN7rocprim17ROCPRIM_400000_NS6detail17trampoline_kernelINS0_14default_configENS1_35radix_sort_onesweep_config_selectorIhlEEZNS1_34radix_sort_onesweep_global_offsetsIS3_Lb0EPhN6thrust23THRUST_200600_302600_NS10device_ptrIlEEjNS0_19identity_decomposerEEE10hipError_tT1_T2_PT3_SG_jT4_jjP12ihipStream_tbEUlT_E0_NS1_11comp_targetILNS1_3genE0ELNS1_11target_archE4294967295ELNS1_3gpuE0ELNS1_3repE0EEENS1_52radix_sort_onesweep_histogram_config_static_selectorELNS0_4arch9wavefront6targetE1EEEvSE_: ; @_ZN7rocprim17ROCPRIM_400000_NS6detail17trampoline_kernelINS0_14default_configENS1_35radix_sort_onesweep_config_selectorIhlEEZNS1_34radix_sort_onesweep_global_offsetsIS3_Lb0EPhN6thrust23THRUST_200600_302600_NS10device_ptrIlEEjNS0_19identity_decomposerEEE10hipError_tT1_T2_PT3_SG_jT4_jjP12ihipStream_tbEUlT_E0_NS1_11comp_targetILNS1_3genE0ELNS1_11target_archE4294967295ELNS1_3gpuE0ELNS1_3repE0EEENS1_52radix_sort_onesweep_histogram_config_static_selectorELNS0_4arch9wavefront6targetE1EEEvSE_
; %bb.0:
	.section	.rodata,"a",@progbits
	.p2align	6, 0x0
	.amdhsa_kernel _ZN7rocprim17ROCPRIM_400000_NS6detail17trampoline_kernelINS0_14default_configENS1_35radix_sort_onesweep_config_selectorIhlEEZNS1_34radix_sort_onesweep_global_offsetsIS3_Lb0EPhN6thrust23THRUST_200600_302600_NS10device_ptrIlEEjNS0_19identity_decomposerEEE10hipError_tT1_T2_PT3_SG_jT4_jjP12ihipStream_tbEUlT_E0_NS1_11comp_targetILNS1_3genE0ELNS1_11target_archE4294967295ELNS1_3gpuE0ELNS1_3repE0EEENS1_52radix_sort_onesweep_histogram_config_static_selectorELNS0_4arch9wavefront6targetE1EEEvSE_
		.amdhsa_group_segment_fixed_size 0
		.amdhsa_private_segment_fixed_size 0
		.amdhsa_kernarg_size 8
		.amdhsa_user_sgpr_count 6
		.amdhsa_user_sgpr_private_segment_buffer 1
		.amdhsa_user_sgpr_dispatch_ptr 0
		.amdhsa_user_sgpr_queue_ptr 0
		.amdhsa_user_sgpr_kernarg_segment_ptr 1
		.amdhsa_user_sgpr_dispatch_id 0
		.amdhsa_user_sgpr_flat_scratch_init 0
		.amdhsa_user_sgpr_kernarg_preload_length 0
		.amdhsa_user_sgpr_kernarg_preload_offset 0
		.amdhsa_user_sgpr_private_segment_size 0
		.amdhsa_uses_dynamic_stack 0
		.amdhsa_system_sgpr_private_segment_wavefront_offset 0
		.amdhsa_system_sgpr_workgroup_id_x 1
		.amdhsa_system_sgpr_workgroup_id_y 0
		.amdhsa_system_sgpr_workgroup_id_z 0
		.amdhsa_system_sgpr_workgroup_info 0
		.amdhsa_system_vgpr_workitem_id 0
		.amdhsa_next_free_vgpr 1
		.amdhsa_next_free_sgpr 0
		.amdhsa_accum_offset 4
		.amdhsa_reserve_vcc 0
		.amdhsa_reserve_flat_scratch 0
		.amdhsa_float_round_mode_32 0
		.amdhsa_float_round_mode_16_64 0
		.amdhsa_float_denorm_mode_32 3
		.amdhsa_float_denorm_mode_16_64 3
		.amdhsa_dx10_clamp 1
		.amdhsa_ieee_mode 1
		.amdhsa_fp16_overflow 0
		.amdhsa_tg_split 0
		.amdhsa_exception_fp_ieee_invalid_op 0
		.amdhsa_exception_fp_denorm_src 0
		.amdhsa_exception_fp_ieee_div_zero 0
		.amdhsa_exception_fp_ieee_overflow 0
		.amdhsa_exception_fp_ieee_underflow 0
		.amdhsa_exception_fp_ieee_inexact 0
		.amdhsa_exception_int_div_zero 0
	.end_amdhsa_kernel
	.section	.text._ZN7rocprim17ROCPRIM_400000_NS6detail17trampoline_kernelINS0_14default_configENS1_35radix_sort_onesweep_config_selectorIhlEEZNS1_34radix_sort_onesweep_global_offsetsIS3_Lb0EPhN6thrust23THRUST_200600_302600_NS10device_ptrIlEEjNS0_19identity_decomposerEEE10hipError_tT1_T2_PT3_SG_jT4_jjP12ihipStream_tbEUlT_E0_NS1_11comp_targetILNS1_3genE0ELNS1_11target_archE4294967295ELNS1_3gpuE0ELNS1_3repE0EEENS1_52radix_sort_onesweep_histogram_config_static_selectorELNS0_4arch9wavefront6targetE1EEEvSE_,"axG",@progbits,_ZN7rocprim17ROCPRIM_400000_NS6detail17trampoline_kernelINS0_14default_configENS1_35radix_sort_onesweep_config_selectorIhlEEZNS1_34radix_sort_onesweep_global_offsetsIS3_Lb0EPhN6thrust23THRUST_200600_302600_NS10device_ptrIlEEjNS0_19identity_decomposerEEE10hipError_tT1_T2_PT3_SG_jT4_jjP12ihipStream_tbEUlT_E0_NS1_11comp_targetILNS1_3genE0ELNS1_11target_archE4294967295ELNS1_3gpuE0ELNS1_3repE0EEENS1_52radix_sort_onesweep_histogram_config_static_selectorELNS0_4arch9wavefront6targetE1EEEvSE_,comdat
.Lfunc_end246:
	.size	_ZN7rocprim17ROCPRIM_400000_NS6detail17trampoline_kernelINS0_14default_configENS1_35radix_sort_onesweep_config_selectorIhlEEZNS1_34radix_sort_onesweep_global_offsetsIS3_Lb0EPhN6thrust23THRUST_200600_302600_NS10device_ptrIlEEjNS0_19identity_decomposerEEE10hipError_tT1_T2_PT3_SG_jT4_jjP12ihipStream_tbEUlT_E0_NS1_11comp_targetILNS1_3genE0ELNS1_11target_archE4294967295ELNS1_3gpuE0ELNS1_3repE0EEENS1_52radix_sort_onesweep_histogram_config_static_selectorELNS0_4arch9wavefront6targetE1EEEvSE_, .Lfunc_end246-_ZN7rocprim17ROCPRIM_400000_NS6detail17trampoline_kernelINS0_14default_configENS1_35radix_sort_onesweep_config_selectorIhlEEZNS1_34radix_sort_onesweep_global_offsetsIS3_Lb0EPhN6thrust23THRUST_200600_302600_NS10device_ptrIlEEjNS0_19identity_decomposerEEE10hipError_tT1_T2_PT3_SG_jT4_jjP12ihipStream_tbEUlT_E0_NS1_11comp_targetILNS1_3genE0ELNS1_11target_archE4294967295ELNS1_3gpuE0ELNS1_3repE0EEENS1_52radix_sort_onesweep_histogram_config_static_selectorELNS0_4arch9wavefront6targetE1EEEvSE_
                                        ; -- End function
	.section	.AMDGPU.csdata,"",@progbits
; Kernel info:
; codeLenInByte = 0
; NumSgprs: 4
; NumVgprs: 0
; NumAgprs: 0
; TotalNumVgprs: 0
; ScratchSize: 0
; MemoryBound: 0
; FloatMode: 240
; IeeeMode: 1
; LDSByteSize: 0 bytes/workgroup (compile time only)
; SGPRBlocks: 0
; VGPRBlocks: 0
; NumSGPRsForWavesPerEU: 4
; NumVGPRsForWavesPerEU: 1
; AccumOffset: 4
; Occupancy: 8
; WaveLimiterHint : 0
; COMPUTE_PGM_RSRC2:SCRATCH_EN: 0
; COMPUTE_PGM_RSRC2:USER_SGPR: 6
; COMPUTE_PGM_RSRC2:TRAP_HANDLER: 0
; COMPUTE_PGM_RSRC2:TGID_X_EN: 1
; COMPUTE_PGM_RSRC2:TGID_Y_EN: 0
; COMPUTE_PGM_RSRC2:TGID_Z_EN: 0
; COMPUTE_PGM_RSRC2:TIDIG_COMP_CNT: 0
; COMPUTE_PGM_RSRC3_GFX90A:ACCUM_OFFSET: 0
; COMPUTE_PGM_RSRC3_GFX90A:TG_SPLIT: 0
	.section	.text._ZN7rocprim17ROCPRIM_400000_NS6detail17trampoline_kernelINS0_14default_configENS1_35radix_sort_onesweep_config_selectorIhlEEZNS1_34radix_sort_onesweep_global_offsetsIS3_Lb0EPhN6thrust23THRUST_200600_302600_NS10device_ptrIlEEjNS0_19identity_decomposerEEE10hipError_tT1_T2_PT3_SG_jT4_jjP12ihipStream_tbEUlT_E0_NS1_11comp_targetILNS1_3genE6ELNS1_11target_archE950ELNS1_3gpuE13ELNS1_3repE0EEENS1_52radix_sort_onesweep_histogram_config_static_selectorELNS0_4arch9wavefront6targetE1EEEvSE_,"axG",@progbits,_ZN7rocprim17ROCPRIM_400000_NS6detail17trampoline_kernelINS0_14default_configENS1_35radix_sort_onesweep_config_selectorIhlEEZNS1_34radix_sort_onesweep_global_offsetsIS3_Lb0EPhN6thrust23THRUST_200600_302600_NS10device_ptrIlEEjNS0_19identity_decomposerEEE10hipError_tT1_T2_PT3_SG_jT4_jjP12ihipStream_tbEUlT_E0_NS1_11comp_targetILNS1_3genE6ELNS1_11target_archE950ELNS1_3gpuE13ELNS1_3repE0EEENS1_52radix_sort_onesweep_histogram_config_static_selectorELNS0_4arch9wavefront6targetE1EEEvSE_,comdat
	.protected	_ZN7rocprim17ROCPRIM_400000_NS6detail17trampoline_kernelINS0_14default_configENS1_35radix_sort_onesweep_config_selectorIhlEEZNS1_34radix_sort_onesweep_global_offsetsIS3_Lb0EPhN6thrust23THRUST_200600_302600_NS10device_ptrIlEEjNS0_19identity_decomposerEEE10hipError_tT1_T2_PT3_SG_jT4_jjP12ihipStream_tbEUlT_E0_NS1_11comp_targetILNS1_3genE6ELNS1_11target_archE950ELNS1_3gpuE13ELNS1_3repE0EEENS1_52radix_sort_onesweep_histogram_config_static_selectorELNS0_4arch9wavefront6targetE1EEEvSE_ ; -- Begin function _ZN7rocprim17ROCPRIM_400000_NS6detail17trampoline_kernelINS0_14default_configENS1_35radix_sort_onesweep_config_selectorIhlEEZNS1_34radix_sort_onesweep_global_offsetsIS3_Lb0EPhN6thrust23THRUST_200600_302600_NS10device_ptrIlEEjNS0_19identity_decomposerEEE10hipError_tT1_T2_PT3_SG_jT4_jjP12ihipStream_tbEUlT_E0_NS1_11comp_targetILNS1_3genE6ELNS1_11target_archE950ELNS1_3gpuE13ELNS1_3repE0EEENS1_52radix_sort_onesweep_histogram_config_static_selectorELNS0_4arch9wavefront6targetE1EEEvSE_
	.globl	_ZN7rocprim17ROCPRIM_400000_NS6detail17trampoline_kernelINS0_14default_configENS1_35radix_sort_onesweep_config_selectorIhlEEZNS1_34radix_sort_onesweep_global_offsetsIS3_Lb0EPhN6thrust23THRUST_200600_302600_NS10device_ptrIlEEjNS0_19identity_decomposerEEE10hipError_tT1_T2_PT3_SG_jT4_jjP12ihipStream_tbEUlT_E0_NS1_11comp_targetILNS1_3genE6ELNS1_11target_archE950ELNS1_3gpuE13ELNS1_3repE0EEENS1_52radix_sort_onesweep_histogram_config_static_selectorELNS0_4arch9wavefront6targetE1EEEvSE_
	.p2align	8
	.type	_ZN7rocprim17ROCPRIM_400000_NS6detail17trampoline_kernelINS0_14default_configENS1_35radix_sort_onesweep_config_selectorIhlEEZNS1_34radix_sort_onesweep_global_offsetsIS3_Lb0EPhN6thrust23THRUST_200600_302600_NS10device_ptrIlEEjNS0_19identity_decomposerEEE10hipError_tT1_T2_PT3_SG_jT4_jjP12ihipStream_tbEUlT_E0_NS1_11comp_targetILNS1_3genE6ELNS1_11target_archE950ELNS1_3gpuE13ELNS1_3repE0EEENS1_52radix_sort_onesweep_histogram_config_static_selectorELNS0_4arch9wavefront6targetE1EEEvSE_,@function
_ZN7rocprim17ROCPRIM_400000_NS6detail17trampoline_kernelINS0_14default_configENS1_35radix_sort_onesweep_config_selectorIhlEEZNS1_34radix_sort_onesweep_global_offsetsIS3_Lb0EPhN6thrust23THRUST_200600_302600_NS10device_ptrIlEEjNS0_19identity_decomposerEEE10hipError_tT1_T2_PT3_SG_jT4_jjP12ihipStream_tbEUlT_E0_NS1_11comp_targetILNS1_3genE6ELNS1_11target_archE950ELNS1_3gpuE13ELNS1_3repE0EEENS1_52radix_sort_onesweep_histogram_config_static_selectorELNS0_4arch9wavefront6targetE1EEEvSE_: ; @_ZN7rocprim17ROCPRIM_400000_NS6detail17trampoline_kernelINS0_14default_configENS1_35radix_sort_onesweep_config_selectorIhlEEZNS1_34radix_sort_onesweep_global_offsetsIS3_Lb0EPhN6thrust23THRUST_200600_302600_NS10device_ptrIlEEjNS0_19identity_decomposerEEE10hipError_tT1_T2_PT3_SG_jT4_jjP12ihipStream_tbEUlT_E0_NS1_11comp_targetILNS1_3genE6ELNS1_11target_archE950ELNS1_3gpuE13ELNS1_3repE0EEENS1_52radix_sort_onesweep_histogram_config_static_selectorELNS0_4arch9wavefront6targetE1EEEvSE_
; %bb.0:
	.section	.rodata,"a",@progbits
	.p2align	6, 0x0
	.amdhsa_kernel _ZN7rocprim17ROCPRIM_400000_NS6detail17trampoline_kernelINS0_14default_configENS1_35radix_sort_onesweep_config_selectorIhlEEZNS1_34radix_sort_onesweep_global_offsetsIS3_Lb0EPhN6thrust23THRUST_200600_302600_NS10device_ptrIlEEjNS0_19identity_decomposerEEE10hipError_tT1_T2_PT3_SG_jT4_jjP12ihipStream_tbEUlT_E0_NS1_11comp_targetILNS1_3genE6ELNS1_11target_archE950ELNS1_3gpuE13ELNS1_3repE0EEENS1_52radix_sort_onesweep_histogram_config_static_selectorELNS0_4arch9wavefront6targetE1EEEvSE_
		.amdhsa_group_segment_fixed_size 0
		.amdhsa_private_segment_fixed_size 0
		.amdhsa_kernarg_size 8
		.amdhsa_user_sgpr_count 6
		.amdhsa_user_sgpr_private_segment_buffer 1
		.amdhsa_user_sgpr_dispatch_ptr 0
		.amdhsa_user_sgpr_queue_ptr 0
		.amdhsa_user_sgpr_kernarg_segment_ptr 1
		.amdhsa_user_sgpr_dispatch_id 0
		.amdhsa_user_sgpr_flat_scratch_init 0
		.amdhsa_user_sgpr_kernarg_preload_length 0
		.amdhsa_user_sgpr_kernarg_preload_offset 0
		.amdhsa_user_sgpr_private_segment_size 0
		.amdhsa_uses_dynamic_stack 0
		.amdhsa_system_sgpr_private_segment_wavefront_offset 0
		.amdhsa_system_sgpr_workgroup_id_x 1
		.amdhsa_system_sgpr_workgroup_id_y 0
		.amdhsa_system_sgpr_workgroup_id_z 0
		.amdhsa_system_sgpr_workgroup_info 0
		.amdhsa_system_vgpr_workitem_id 0
		.amdhsa_next_free_vgpr 1
		.amdhsa_next_free_sgpr 0
		.amdhsa_accum_offset 4
		.amdhsa_reserve_vcc 0
		.amdhsa_reserve_flat_scratch 0
		.amdhsa_float_round_mode_32 0
		.amdhsa_float_round_mode_16_64 0
		.amdhsa_float_denorm_mode_32 3
		.amdhsa_float_denorm_mode_16_64 3
		.amdhsa_dx10_clamp 1
		.amdhsa_ieee_mode 1
		.amdhsa_fp16_overflow 0
		.amdhsa_tg_split 0
		.amdhsa_exception_fp_ieee_invalid_op 0
		.amdhsa_exception_fp_denorm_src 0
		.amdhsa_exception_fp_ieee_div_zero 0
		.amdhsa_exception_fp_ieee_overflow 0
		.amdhsa_exception_fp_ieee_underflow 0
		.amdhsa_exception_fp_ieee_inexact 0
		.amdhsa_exception_int_div_zero 0
	.end_amdhsa_kernel
	.section	.text._ZN7rocprim17ROCPRIM_400000_NS6detail17trampoline_kernelINS0_14default_configENS1_35radix_sort_onesweep_config_selectorIhlEEZNS1_34radix_sort_onesweep_global_offsetsIS3_Lb0EPhN6thrust23THRUST_200600_302600_NS10device_ptrIlEEjNS0_19identity_decomposerEEE10hipError_tT1_T2_PT3_SG_jT4_jjP12ihipStream_tbEUlT_E0_NS1_11comp_targetILNS1_3genE6ELNS1_11target_archE950ELNS1_3gpuE13ELNS1_3repE0EEENS1_52radix_sort_onesweep_histogram_config_static_selectorELNS0_4arch9wavefront6targetE1EEEvSE_,"axG",@progbits,_ZN7rocprim17ROCPRIM_400000_NS6detail17trampoline_kernelINS0_14default_configENS1_35radix_sort_onesweep_config_selectorIhlEEZNS1_34radix_sort_onesweep_global_offsetsIS3_Lb0EPhN6thrust23THRUST_200600_302600_NS10device_ptrIlEEjNS0_19identity_decomposerEEE10hipError_tT1_T2_PT3_SG_jT4_jjP12ihipStream_tbEUlT_E0_NS1_11comp_targetILNS1_3genE6ELNS1_11target_archE950ELNS1_3gpuE13ELNS1_3repE0EEENS1_52radix_sort_onesweep_histogram_config_static_selectorELNS0_4arch9wavefront6targetE1EEEvSE_,comdat
.Lfunc_end247:
	.size	_ZN7rocprim17ROCPRIM_400000_NS6detail17trampoline_kernelINS0_14default_configENS1_35radix_sort_onesweep_config_selectorIhlEEZNS1_34radix_sort_onesweep_global_offsetsIS3_Lb0EPhN6thrust23THRUST_200600_302600_NS10device_ptrIlEEjNS0_19identity_decomposerEEE10hipError_tT1_T2_PT3_SG_jT4_jjP12ihipStream_tbEUlT_E0_NS1_11comp_targetILNS1_3genE6ELNS1_11target_archE950ELNS1_3gpuE13ELNS1_3repE0EEENS1_52radix_sort_onesweep_histogram_config_static_selectorELNS0_4arch9wavefront6targetE1EEEvSE_, .Lfunc_end247-_ZN7rocprim17ROCPRIM_400000_NS6detail17trampoline_kernelINS0_14default_configENS1_35radix_sort_onesweep_config_selectorIhlEEZNS1_34radix_sort_onesweep_global_offsetsIS3_Lb0EPhN6thrust23THRUST_200600_302600_NS10device_ptrIlEEjNS0_19identity_decomposerEEE10hipError_tT1_T2_PT3_SG_jT4_jjP12ihipStream_tbEUlT_E0_NS1_11comp_targetILNS1_3genE6ELNS1_11target_archE950ELNS1_3gpuE13ELNS1_3repE0EEENS1_52radix_sort_onesweep_histogram_config_static_selectorELNS0_4arch9wavefront6targetE1EEEvSE_
                                        ; -- End function
	.section	.AMDGPU.csdata,"",@progbits
; Kernel info:
; codeLenInByte = 0
; NumSgprs: 4
; NumVgprs: 0
; NumAgprs: 0
; TotalNumVgprs: 0
; ScratchSize: 0
; MemoryBound: 0
; FloatMode: 240
; IeeeMode: 1
; LDSByteSize: 0 bytes/workgroup (compile time only)
; SGPRBlocks: 0
; VGPRBlocks: 0
; NumSGPRsForWavesPerEU: 4
; NumVGPRsForWavesPerEU: 1
; AccumOffset: 4
; Occupancy: 8
; WaveLimiterHint : 0
; COMPUTE_PGM_RSRC2:SCRATCH_EN: 0
; COMPUTE_PGM_RSRC2:USER_SGPR: 6
; COMPUTE_PGM_RSRC2:TRAP_HANDLER: 0
; COMPUTE_PGM_RSRC2:TGID_X_EN: 1
; COMPUTE_PGM_RSRC2:TGID_Y_EN: 0
; COMPUTE_PGM_RSRC2:TGID_Z_EN: 0
; COMPUTE_PGM_RSRC2:TIDIG_COMP_CNT: 0
; COMPUTE_PGM_RSRC3_GFX90A:ACCUM_OFFSET: 0
; COMPUTE_PGM_RSRC3_GFX90A:TG_SPLIT: 0
	.section	.text._ZN7rocprim17ROCPRIM_400000_NS6detail17trampoline_kernelINS0_14default_configENS1_35radix_sort_onesweep_config_selectorIhlEEZNS1_34radix_sort_onesweep_global_offsetsIS3_Lb0EPhN6thrust23THRUST_200600_302600_NS10device_ptrIlEEjNS0_19identity_decomposerEEE10hipError_tT1_T2_PT3_SG_jT4_jjP12ihipStream_tbEUlT_E0_NS1_11comp_targetILNS1_3genE5ELNS1_11target_archE942ELNS1_3gpuE9ELNS1_3repE0EEENS1_52radix_sort_onesweep_histogram_config_static_selectorELNS0_4arch9wavefront6targetE1EEEvSE_,"axG",@progbits,_ZN7rocprim17ROCPRIM_400000_NS6detail17trampoline_kernelINS0_14default_configENS1_35radix_sort_onesweep_config_selectorIhlEEZNS1_34radix_sort_onesweep_global_offsetsIS3_Lb0EPhN6thrust23THRUST_200600_302600_NS10device_ptrIlEEjNS0_19identity_decomposerEEE10hipError_tT1_T2_PT3_SG_jT4_jjP12ihipStream_tbEUlT_E0_NS1_11comp_targetILNS1_3genE5ELNS1_11target_archE942ELNS1_3gpuE9ELNS1_3repE0EEENS1_52radix_sort_onesweep_histogram_config_static_selectorELNS0_4arch9wavefront6targetE1EEEvSE_,comdat
	.protected	_ZN7rocprim17ROCPRIM_400000_NS6detail17trampoline_kernelINS0_14default_configENS1_35radix_sort_onesweep_config_selectorIhlEEZNS1_34radix_sort_onesweep_global_offsetsIS3_Lb0EPhN6thrust23THRUST_200600_302600_NS10device_ptrIlEEjNS0_19identity_decomposerEEE10hipError_tT1_T2_PT3_SG_jT4_jjP12ihipStream_tbEUlT_E0_NS1_11comp_targetILNS1_3genE5ELNS1_11target_archE942ELNS1_3gpuE9ELNS1_3repE0EEENS1_52radix_sort_onesweep_histogram_config_static_selectorELNS0_4arch9wavefront6targetE1EEEvSE_ ; -- Begin function _ZN7rocprim17ROCPRIM_400000_NS6detail17trampoline_kernelINS0_14default_configENS1_35radix_sort_onesweep_config_selectorIhlEEZNS1_34radix_sort_onesweep_global_offsetsIS3_Lb0EPhN6thrust23THRUST_200600_302600_NS10device_ptrIlEEjNS0_19identity_decomposerEEE10hipError_tT1_T2_PT3_SG_jT4_jjP12ihipStream_tbEUlT_E0_NS1_11comp_targetILNS1_3genE5ELNS1_11target_archE942ELNS1_3gpuE9ELNS1_3repE0EEENS1_52radix_sort_onesweep_histogram_config_static_selectorELNS0_4arch9wavefront6targetE1EEEvSE_
	.globl	_ZN7rocprim17ROCPRIM_400000_NS6detail17trampoline_kernelINS0_14default_configENS1_35radix_sort_onesweep_config_selectorIhlEEZNS1_34radix_sort_onesweep_global_offsetsIS3_Lb0EPhN6thrust23THRUST_200600_302600_NS10device_ptrIlEEjNS0_19identity_decomposerEEE10hipError_tT1_T2_PT3_SG_jT4_jjP12ihipStream_tbEUlT_E0_NS1_11comp_targetILNS1_3genE5ELNS1_11target_archE942ELNS1_3gpuE9ELNS1_3repE0EEENS1_52radix_sort_onesweep_histogram_config_static_selectorELNS0_4arch9wavefront6targetE1EEEvSE_
	.p2align	8
	.type	_ZN7rocprim17ROCPRIM_400000_NS6detail17trampoline_kernelINS0_14default_configENS1_35radix_sort_onesweep_config_selectorIhlEEZNS1_34radix_sort_onesweep_global_offsetsIS3_Lb0EPhN6thrust23THRUST_200600_302600_NS10device_ptrIlEEjNS0_19identity_decomposerEEE10hipError_tT1_T2_PT3_SG_jT4_jjP12ihipStream_tbEUlT_E0_NS1_11comp_targetILNS1_3genE5ELNS1_11target_archE942ELNS1_3gpuE9ELNS1_3repE0EEENS1_52radix_sort_onesweep_histogram_config_static_selectorELNS0_4arch9wavefront6targetE1EEEvSE_,@function
_ZN7rocprim17ROCPRIM_400000_NS6detail17trampoline_kernelINS0_14default_configENS1_35radix_sort_onesweep_config_selectorIhlEEZNS1_34radix_sort_onesweep_global_offsetsIS3_Lb0EPhN6thrust23THRUST_200600_302600_NS10device_ptrIlEEjNS0_19identity_decomposerEEE10hipError_tT1_T2_PT3_SG_jT4_jjP12ihipStream_tbEUlT_E0_NS1_11comp_targetILNS1_3genE5ELNS1_11target_archE942ELNS1_3gpuE9ELNS1_3repE0EEENS1_52radix_sort_onesweep_histogram_config_static_selectorELNS0_4arch9wavefront6targetE1EEEvSE_: ; @_ZN7rocprim17ROCPRIM_400000_NS6detail17trampoline_kernelINS0_14default_configENS1_35radix_sort_onesweep_config_selectorIhlEEZNS1_34radix_sort_onesweep_global_offsetsIS3_Lb0EPhN6thrust23THRUST_200600_302600_NS10device_ptrIlEEjNS0_19identity_decomposerEEE10hipError_tT1_T2_PT3_SG_jT4_jjP12ihipStream_tbEUlT_E0_NS1_11comp_targetILNS1_3genE5ELNS1_11target_archE942ELNS1_3gpuE9ELNS1_3repE0EEENS1_52radix_sort_onesweep_histogram_config_static_selectorELNS0_4arch9wavefront6targetE1EEEvSE_
; %bb.0:
	.section	.rodata,"a",@progbits
	.p2align	6, 0x0
	.amdhsa_kernel _ZN7rocprim17ROCPRIM_400000_NS6detail17trampoline_kernelINS0_14default_configENS1_35radix_sort_onesweep_config_selectorIhlEEZNS1_34radix_sort_onesweep_global_offsetsIS3_Lb0EPhN6thrust23THRUST_200600_302600_NS10device_ptrIlEEjNS0_19identity_decomposerEEE10hipError_tT1_T2_PT3_SG_jT4_jjP12ihipStream_tbEUlT_E0_NS1_11comp_targetILNS1_3genE5ELNS1_11target_archE942ELNS1_3gpuE9ELNS1_3repE0EEENS1_52radix_sort_onesweep_histogram_config_static_selectorELNS0_4arch9wavefront6targetE1EEEvSE_
		.amdhsa_group_segment_fixed_size 0
		.amdhsa_private_segment_fixed_size 0
		.amdhsa_kernarg_size 8
		.amdhsa_user_sgpr_count 6
		.amdhsa_user_sgpr_private_segment_buffer 1
		.amdhsa_user_sgpr_dispatch_ptr 0
		.amdhsa_user_sgpr_queue_ptr 0
		.amdhsa_user_sgpr_kernarg_segment_ptr 1
		.amdhsa_user_sgpr_dispatch_id 0
		.amdhsa_user_sgpr_flat_scratch_init 0
		.amdhsa_user_sgpr_kernarg_preload_length 0
		.amdhsa_user_sgpr_kernarg_preload_offset 0
		.amdhsa_user_sgpr_private_segment_size 0
		.amdhsa_uses_dynamic_stack 0
		.amdhsa_system_sgpr_private_segment_wavefront_offset 0
		.amdhsa_system_sgpr_workgroup_id_x 1
		.amdhsa_system_sgpr_workgroup_id_y 0
		.amdhsa_system_sgpr_workgroup_id_z 0
		.amdhsa_system_sgpr_workgroup_info 0
		.amdhsa_system_vgpr_workitem_id 0
		.amdhsa_next_free_vgpr 1
		.amdhsa_next_free_sgpr 0
		.amdhsa_accum_offset 4
		.amdhsa_reserve_vcc 0
		.amdhsa_reserve_flat_scratch 0
		.amdhsa_float_round_mode_32 0
		.amdhsa_float_round_mode_16_64 0
		.amdhsa_float_denorm_mode_32 3
		.amdhsa_float_denorm_mode_16_64 3
		.amdhsa_dx10_clamp 1
		.amdhsa_ieee_mode 1
		.amdhsa_fp16_overflow 0
		.amdhsa_tg_split 0
		.amdhsa_exception_fp_ieee_invalid_op 0
		.amdhsa_exception_fp_denorm_src 0
		.amdhsa_exception_fp_ieee_div_zero 0
		.amdhsa_exception_fp_ieee_overflow 0
		.amdhsa_exception_fp_ieee_underflow 0
		.amdhsa_exception_fp_ieee_inexact 0
		.amdhsa_exception_int_div_zero 0
	.end_amdhsa_kernel
	.section	.text._ZN7rocprim17ROCPRIM_400000_NS6detail17trampoline_kernelINS0_14default_configENS1_35radix_sort_onesweep_config_selectorIhlEEZNS1_34radix_sort_onesweep_global_offsetsIS3_Lb0EPhN6thrust23THRUST_200600_302600_NS10device_ptrIlEEjNS0_19identity_decomposerEEE10hipError_tT1_T2_PT3_SG_jT4_jjP12ihipStream_tbEUlT_E0_NS1_11comp_targetILNS1_3genE5ELNS1_11target_archE942ELNS1_3gpuE9ELNS1_3repE0EEENS1_52radix_sort_onesweep_histogram_config_static_selectorELNS0_4arch9wavefront6targetE1EEEvSE_,"axG",@progbits,_ZN7rocprim17ROCPRIM_400000_NS6detail17trampoline_kernelINS0_14default_configENS1_35radix_sort_onesweep_config_selectorIhlEEZNS1_34radix_sort_onesweep_global_offsetsIS3_Lb0EPhN6thrust23THRUST_200600_302600_NS10device_ptrIlEEjNS0_19identity_decomposerEEE10hipError_tT1_T2_PT3_SG_jT4_jjP12ihipStream_tbEUlT_E0_NS1_11comp_targetILNS1_3genE5ELNS1_11target_archE942ELNS1_3gpuE9ELNS1_3repE0EEENS1_52radix_sort_onesweep_histogram_config_static_selectorELNS0_4arch9wavefront6targetE1EEEvSE_,comdat
.Lfunc_end248:
	.size	_ZN7rocprim17ROCPRIM_400000_NS6detail17trampoline_kernelINS0_14default_configENS1_35radix_sort_onesweep_config_selectorIhlEEZNS1_34radix_sort_onesweep_global_offsetsIS3_Lb0EPhN6thrust23THRUST_200600_302600_NS10device_ptrIlEEjNS0_19identity_decomposerEEE10hipError_tT1_T2_PT3_SG_jT4_jjP12ihipStream_tbEUlT_E0_NS1_11comp_targetILNS1_3genE5ELNS1_11target_archE942ELNS1_3gpuE9ELNS1_3repE0EEENS1_52radix_sort_onesweep_histogram_config_static_selectorELNS0_4arch9wavefront6targetE1EEEvSE_, .Lfunc_end248-_ZN7rocprim17ROCPRIM_400000_NS6detail17trampoline_kernelINS0_14default_configENS1_35radix_sort_onesweep_config_selectorIhlEEZNS1_34radix_sort_onesweep_global_offsetsIS3_Lb0EPhN6thrust23THRUST_200600_302600_NS10device_ptrIlEEjNS0_19identity_decomposerEEE10hipError_tT1_T2_PT3_SG_jT4_jjP12ihipStream_tbEUlT_E0_NS1_11comp_targetILNS1_3genE5ELNS1_11target_archE942ELNS1_3gpuE9ELNS1_3repE0EEENS1_52radix_sort_onesweep_histogram_config_static_selectorELNS0_4arch9wavefront6targetE1EEEvSE_
                                        ; -- End function
	.section	.AMDGPU.csdata,"",@progbits
; Kernel info:
; codeLenInByte = 0
; NumSgprs: 4
; NumVgprs: 0
; NumAgprs: 0
; TotalNumVgprs: 0
; ScratchSize: 0
; MemoryBound: 0
; FloatMode: 240
; IeeeMode: 1
; LDSByteSize: 0 bytes/workgroup (compile time only)
; SGPRBlocks: 0
; VGPRBlocks: 0
; NumSGPRsForWavesPerEU: 4
; NumVGPRsForWavesPerEU: 1
; AccumOffset: 4
; Occupancy: 8
; WaveLimiterHint : 0
; COMPUTE_PGM_RSRC2:SCRATCH_EN: 0
; COMPUTE_PGM_RSRC2:USER_SGPR: 6
; COMPUTE_PGM_RSRC2:TRAP_HANDLER: 0
; COMPUTE_PGM_RSRC2:TGID_X_EN: 1
; COMPUTE_PGM_RSRC2:TGID_Y_EN: 0
; COMPUTE_PGM_RSRC2:TGID_Z_EN: 0
; COMPUTE_PGM_RSRC2:TIDIG_COMP_CNT: 0
; COMPUTE_PGM_RSRC3_GFX90A:ACCUM_OFFSET: 0
; COMPUTE_PGM_RSRC3_GFX90A:TG_SPLIT: 0
	.section	.text._ZN7rocprim17ROCPRIM_400000_NS6detail17trampoline_kernelINS0_14default_configENS1_35radix_sort_onesweep_config_selectorIhlEEZNS1_34radix_sort_onesweep_global_offsetsIS3_Lb0EPhN6thrust23THRUST_200600_302600_NS10device_ptrIlEEjNS0_19identity_decomposerEEE10hipError_tT1_T2_PT3_SG_jT4_jjP12ihipStream_tbEUlT_E0_NS1_11comp_targetILNS1_3genE2ELNS1_11target_archE906ELNS1_3gpuE6ELNS1_3repE0EEENS1_52radix_sort_onesweep_histogram_config_static_selectorELNS0_4arch9wavefront6targetE1EEEvSE_,"axG",@progbits,_ZN7rocprim17ROCPRIM_400000_NS6detail17trampoline_kernelINS0_14default_configENS1_35radix_sort_onesweep_config_selectorIhlEEZNS1_34radix_sort_onesweep_global_offsetsIS3_Lb0EPhN6thrust23THRUST_200600_302600_NS10device_ptrIlEEjNS0_19identity_decomposerEEE10hipError_tT1_T2_PT3_SG_jT4_jjP12ihipStream_tbEUlT_E0_NS1_11comp_targetILNS1_3genE2ELNS1_11target_archE906ELNS1_3gpuE6ELNS1_3repE0EEENS1_52radix_sort_onesweep_histogram_config_static_selectorELNS0_4arch9wavefront6targetE1EEEvSE_,comdat
	.protected	_ZN7rocprim17ROCPRIM_400000_NS6detail17trampoline_kernelINS0_14default_configENS1_35radix_sort_onesweep_config_selectorIhlEEZNS1_34radix_sort_onesweep_global_offsetsIS3_Lb0EPhN6thrust23THRUST_200600_302600_NS10device_ptrIlEEjNS0_19identity_decomposerEEE10hipError_tT1_T2_PT3_SG_jT4_jjP12ihipStream_tbEUlT_E0_NS1_11comp_targetILNS1_3genE2ELNS1_11target_archE906ELNS1_3gpuE6ELNS1_3repE0EEENS1_52radix_sort_onesweep_histogram_config_static_selectorELNS0_4arch9wavefront6targetE1EEEvSE_ ; -- Begin function _ZN7rocprim17ROCPRIM_400000_NS6detail17trampoline_kernelINS0_14default_configENS1_35radix_sort_onesweep_config_selectorIhlEEZNS1_34radix_sort_onesweep_global_offsetsIS3_Lb0EPhN6thrust23THRUST_200600_302600_NS10device_ptrIlEEjNS0_19identity_decomposerEEE10hipError_tT1_T2_PT3_SG_jT4_jjP12ihipStream_tbEUlT_E0_NS1_11comp_targetILNS1_3genE2ELNS1_11target_archE906ELNS1_3gpuE6ELNS1_3repE0EEENS1_52radix_sort_onesweep_histogram_config_static_selectorELNS0_4arch9wavefront6targetE1EEEvSE_
	.globl	_ZN7rocprim17ROCPRIM_400000_NS6detail17trampoline_kernelINS0_14default_configENS1_35radix_sort_onesweep_config_selectorIhlEEZNS1_34radix_sort_onesweep_global_offsetsIS3_Lb0EPhN6thrust23THRUST_200600_302600_NS10device_ptrIlEEjNS0_19identity_decomposerEEE10hipError_tT1_T2_PT3_SG_jT4_jjP12ihipStream_tbEUlT_E0_NS1_11comp_targetILNS1_3genE2ELNS1_11target_archE906ELNS1_3gpuE6ELNS1_3repE0EEENS1_52radix_sort_onesweep_histogram_config_static_selectorELNS0_4arch9wavefront6targetE1EEEvSE_
	.p2align	8
	.type	_ZN7rocprim17ROCPRIM_400000_NS6detail17trampoline_kernelINS0_14default_configENS1_35radix_sort_onesweep_config_selectorIhlEEZNS1_34radix_sort_onesweep_global_offsetsIS3_Lb0EPhN6thrust23THRUST_200600_302600_NS10device_ptrIlEEjNS0_19identity_decomposerEEE10hipError_tT1_T2_PT3_SG_jT4_jjP12ihipStream_tbEUlT_E0_NS1_11comp_targetILNS1_3genE2ELNS1_11target_archE906ELNS1_3gpuE6ELNS1_3repE0EEENS1_52radix_sort_onesweep_histogram_config_static_selectorELNS0_4arch9wavefront6targetE1EEEvSE_,@function
_ZN7rocprim17ROCPRIM_400000_NS6detail17trampoline_kernelINS0_14default_configENS1_35radix_sort_onesweep_config_selectorIhlEEZNS1_34radix_sort_onesweep_global_offsetsIS3_Lb0EPhN6thrust23THRUST_200600_302600_NS10device_ptrIlEEjNS0_19identity_decomposerEEE10hipError_tT1_T2_PT3_SG_jT4_jjP12ihipStream_tbEUlT_E0_NS1_11comp_targetILNS1_3genE2ELNS1_11target_archE906ELNS1_3gpuE6ELNS1_3repE0EEENS1_52radix_sort_onesweep_histogram_config_static_selectorELNS0_4arch9wavefront6targetE1EEEvSE_: ; @_ZN7rocprim17ROCPRIM_400000_NS6detail17trampoline_kernelINS0_14default_configENS1_35radix_sort_onesweep_config_selectorIhlEEZNS1_34radix_sort_onesweep_global_offsetsIS3_Lb0EPhN6thrust23THRUST_200600_302600_NS10device_ptrIlEEjNS0_19identity_decomposerEEE10hipError_tT1_T2_PT3_SG_jT4_jjP12ihipStream_tbEUlT_E0_NS1_11comp_targetILNS1_3genE2ELNS1_11target_archE906ELNS1_3gpuE6ELNS1_3repE0EEENS1_52radix_sort_onesweep_histogram_config_static_selectorELNS0_4arch9wavefront6targetE1EEEvSE_
; %bb.0:
	.section	.rodata,"a",@progbits
	.p2align	6, 0x0
	.amdhsa_kernel _ZN7rocprim17ROCPRIM_400000_NS6detail17trampoline_kernelINS0_14default_configENS1_35radix_sort_onesweep_config_selectorIhlEEZNS1_34radix_sort_onesweep_global_offsetsIS3_Lb0EPhN6thrust23THRUST_200600_302600_NS10device_ptrIlEEjNS0_19identity_decomposerEEE10hipError_tT1_T2_PT3_SG_jT4_jjP12ihipStream_tbEUlT_E0_NS1_11comp_targetILNS1_3genE2ELNS1_11target_archE906ELNS1_3gpuE6ELNS1_3repE0EEENS1_52radix_sort_onesweep_histogram_config_static_selectorELNS0_4arch9wavefront6targetE1EEEvSE_
		.amdhsa_group_segment_fixed_size 0
		.amdhsa_private_segment_fixed_size 0
		.amdhsa_kernarg_size 8
		.amdhsa_user_sgpr_count 6
		.amdhsa_user_sgpr_private_segment_buffer 1
		.amdhsa_user_sgpr_dispatch_ptr 0
		.amdhsa_user_sgpr_queue_ptr 0
		.amdhsa_user_sgpr_kernarg_segment_ptr 1
		.amdhsa_user_sgpr_dispatch_id 0
		.amdhsa_user_sgpr_flat_scratch_init 0
		.amdhsa_user_sgpr_kernarg_preload_length 0
		.amdhsa_user_sgpr_kernarg_preload_offset 0
		.amdhsa_user_sgpr_private_segment_size 0
		.amdhsa_uses_dynamic_stack 0
		.amdhsa_system_sgpr_private_segment_wavefront_offset 0
		.amdhsa_system_sgpr_workgroup_id_x 1
		.amdhsa_system_sgpr_workgroup_id_y 0
		.amdhsa_system_sgpr_workgroup_id_z 0
		.amdhsa_system_sgpr_workgroup_info 0
		.amdhsa_system_vgpr_workitem_id 0
		.amdhsa_next_free_vgpr 1
		.amdhsa_next_free_sgpr 0
		.amdhsa_accum_offset 4
		.amdhsa_reserve_vcc 0
		.amdhsa_reserve_flat_scratch 0
		.amdhsa_float_round_mode_32 0
		.amdhsa_float_round_mode_16_64 0
		.amdhsa_float_denorm_mode_32 3
		.amdhsa_float_denorm_mode_16_64 3
		.amdhsa_dx10_clamp 1
		.amdhsa_ieee_mode 1
		.amdhsa_fp16_overflow 0
		.amdhsa_tg_split 0
		.amdhsa_exception_fp_ieee_invalid_op 0
		.amdhsa_exception_fp_denorm_src 0
		.amdhsa_exception_fp_ieee_div_zero 0
		.amdhsa_exception_fp_ieee_overflow 0
		.amdhsa_exception_fp_ieee_underflow 0
		.amdhsa_exception_fp_ieee_inexact 0
		.amdhsa_exception_int_div_zero 0
	.end_amdhsa_kernel
	.section	.text._ZN7rocprim17ROCPRIM_400000_NS6detail17trampoline_kernelINS0_14default_configENS1_35radix_sort_onesweep_config_selectorIhlEEZNS1_34radix_sort_onesweep_global_offsetsIS3_Lb0EPhN6thrust23THRUST_200600_302600_NS10device_ptrIlEEjNS0_19identity_decomposerEEE10hipError_tT1_T2_PT3_SG_jT4_jjP12ihipStream_tbEUlT_E0_NS1_11comp_targetILNS1_3genE2ELNS1_11target_archE906ELNS1_3gpuE6ELNS1_3repE0EEENS1_52radix_sort_onesweep_histogram_config_static_selectorELNS0_4arch9wavefront6targetE1EEEvSE_,"axG",@progbits,_ZN7rocprim17ROCPRIM_400000_NS6detail17trampoline_kernelINS0_14default_configENS1_35radix_sort_onesweep_config_selectorIhlEEZNS1_34radix_sort_onesweep_global_offsetsIS3_Lb0EPhN6thrust23THRUST_200600_302600_NS10device_ptrIlEEjNS0_19identity_decomposerEEE10hipError_tT1_T2_PT3_SG_jT4_jjP12ihipStream_tbEUlT_E0_NS1_11comp_targetILNS1_3genE2ELNS1_11target_archE906ELNS1_3gpuE6ELNS1_3repE0EEENS1_52radix_sort_onesweep_histogram_config_static_selectorELNS0_4arch9wavefront6targetE1EEEvSE_,comdat
.Lfunc_end249:
	.size	_ZN7rocprim17ROCPRIM_400000_NS6detail17trampoline_kernelINS0_14default_configENS1_35radix_sort_onesweep_config_selectorIhlEEZNS1_34radix_sort_onesweep_global_offsetsIS3_Lb0EPhN6thrust23THRUST_200600_302600_NS10device_ptrIlEEjNS0_19identity_decomposerEEE10hipError_tT1_T2_PT3_SG_jT4_jjP12ihipStream_tbEUlT_E0_NS1_11comp_targetILNS1_3genE2ELNS1_11target_archE906ELNS1_3gpuE6ELNS1_3repE0EEENS1_52radix_sort_onesweep_histogram_config_static_selectorELNS0_4arch9wavefront6targetE1EEEvSE_, .Lfunc_end249-_ZN7rocprim17ROCPRIM_400000_NS6detail17trampoline_kernelINS0_14default_configENS1_35radix_sort_onesweep_config_selectorIhlEEZNS1_34radix_sort_onesweep_global_offsetsIS3_Lb0EPhN6thrust23THRUST_200600_302600_NS10device_ptrIlEEjNS0_19identity_decomposerEEE10hipError_tT1_T2_PT3_SG_jT4_jjP12ihipStream_tbEUlT_E0_NS1_11comp_targetILNS1_3genE2ELNS1_11target_archE906ELNS1_3gpuE6ELNS1_3repE0EEENS1_52radix_sort_onesweep_histogram_config_static_selectorELNS0_4arch9wavefront6targetE1EEEvSE_
                                        ; -- End function
	.section	.AMDGPU.csdata,"",@progbits
; Kernel info:
; codeLenInByte = 0
; NumSgprs: 4
; NumVgprs: 0
; NumAgprs: 0
; TotalNumVgprs: 0
; ScratchSize: 0
; MemoryBound: 0
; FloatMode: 240
; IeeeMode: 1
; LDSByteSize: 0 bytes/workgroup (compile time only)
; SGPRBlocks: 0
; VGPRBlocks: 0
; NumSGPRsForWavesPerEU: 4
; NumVGPRsForWavesPerEU: 1
; AccumOffset: 4
; Occupancy: 8
; WaveLimiterHint : 0
; COMPUTE_PGM_RSRC2:SCRATCH_EN: 0
; COMPUTE_PGM_RSRC2:USER_SGPR: 6
; COMPUTE_PGM_RSRC2:TRAP_HANDLER: 0
; COMPUTE_PGM_RSRC2:TGID_X_EN: 1
; COMPUTE_PGM_RSRC2:TGID_Y_EN: 0
; COMPUTE_PGM_RSRC2:TGID_Z_EN: 0
; COMPUTE_PGM_RSRC2:TIDIG_COMP_CNT: 0
; COMPUTE_PGM_RSRC3_GFX90A:ACCUM_OFFSET: 0
; COMPUTE_PGM_RSRC3_GFX90A:TG_SPLIT: 0
	.section	.text._ZN7rocprim17ROCPRIM_400000_NS6detail17trampoline_kernelINS0_14default_configENS1_35radix_sort_onesweep_config_selectorIhlEEZNS1_34radix_sort_onesweep_global_offsetsIS3_Lb0EPhN6thrust23THRUST_200600_302600_NS10device_ptrIlEEjNS0_19identity_decomposerEEE10hipError_tT1_T2_PT3_SG_jT4_jjP12ihipStream_tbEUlT_E0_NS1_11comp_targetILNS1_3genE4ELNS1_11target_archE910ELNS1_3gpuE8ELNS1_3repE0EEENS1_52radix_sort_onesweep_histogram_config_static_selectorELNS0_4arch9wavefront6targetE1EEEvSE_,"axG",@progbits,_ZN7rocprim17ROCPRIM_400000_NS6detail17trampoline_kernelINS0_14default_configENS1_35radix_sort_onesweep_config_selectorIhlEEZNS1_34radix_sort_onesweep_global_offsetsIS3_Lb0EPhN6thrust23THRUST_200600_302600_NS10device_ptrIlEEjNS0_19identity_decomposerEEE10hipError_tT1_T2_PT3_SG_jT4_jjP12ihipStream_tbEUlT_E0_NS1_11comp_targetILNS1_3genE4ELNS1_11target_archE910ELNS1_3gpuE8ELNS1_3repE0EEENS1_52radix_sort_onesweep_histogram_config_static_selectorELNS0_4arch9wavefront6targetE1EEEvSE_,comdat
	.protected	_ZN7rocprim17ROCPRIM_400000_NS6detail17trampoline_kernelINS0_14default_configENS1_35radix_sort_onesweep_config_selectorIhlEEZNS1_34radix_sort_onesweep_global_offsetsIS3_Lb0EPhN6thrust23THRUST_200600_302600_NS10device_ptrIlEEjNS0_19identity_decomposerEEE10hipError_tT1_T2_PT3_SG_jT4_jjP12ihipStream_tbEUlT_E0_NS1_11comp_targetILNS1_3genE4ELNS1_11target_archE910ELNS1_3gpuE8ELNS1_3repE0EEENS1_52radix_sort_onesweep_histogram_config_static_selectorELNS0_4arch9wavefront6targetE1EEEvSE_ ; -- Begin function _ZN7rocprim17ROCPRIM_400000_NS6detail17trampoline_kernelINS0_14default_configENS1_35radix_sort_onesweep_config_selectorIhlEEZNS1_34radix_sort_onesweep_global_offsetsIS3_Lb0EPhN6thrust23THRUST_200600_302600_NS10device_ptrIlEEjNS0_19identity_decomposerEEE10hipError_tT1_T2_PT3_SG_jT4_jjP12ihipStream_tbEUlT_E0_NS1_11comp_targetILNS1_3genE4ELNS1_11target_archE910ELNS1_3gpuE8ELNS1_3repE0EEENS1_52radix_sort_onesweep_histogram_config_static_selectorELNS0_4arch9wavefront6targetE1EEEvSE_
	.globl	_ZN7rocprim17ROCPRIM_400000_NS6detail17trampoline_kernelINS0_14default_configENS1_35radix_sort_onesweep_config_selectorIhlEEZNS1_34radix_sort_onesweep_global_offsetsIS3_Lb0EPhN6thrust23THRUST_200600_302600_NS10device_ptrIlEEjNS0_19identity_decomposerEEE10hipError_tT1_T2_PT3_SG_jT4_jjP12ihipStream_tbEUlT_E0_NS1_11comp_targetILNS1_3genE4ELNS1_11target_archE910ELNS1_3gpuE8ELNS1_3repE0EEENS1_52radix_sort_onesweep_histogram_config_static_selectorELNS0_4arch9wavefront6targetE1EEEvSE_
	.p2align	8
	.type	_ZN7rocprim17ROCPRIM_400000_NS6detail17trampoline_kernelINS0_14default_configENS1_35radix_sort_onesweep_config_selectorIhlEEZNS1_34radix_sort_onesweep_global_offsetsIS3_Lb0EPhN6thrust23THRUST_200600_302600_NS10device_ptrIlEEjNS0_19identity_decomposerEEE10hipError_tT1_T2_PT3_SG_jT4_jjP12ihipStream_tbEUlT_E0_NS1_11comp_targetILNS1_3genE4ELNS1_11target_archE910ELNS1_3gpuE8ELNS1_3repE0EEENS1_52radix_sort_onesweep_histogram_config_static_selectorELNS0_4arch9wavefront6targetE1EEEvSE_,@function
_ZN7rocprim17ROCPRIM_400000_NS6detail17trampoline_kernelINS0_14default_configENS1_35radix_sort_onesweep_config_selectorIhlEEZNS1_34radix_sort_onesweep_global_offsetsIS3_Lb0EPhN6thrust23THRUST_200600_302600_NS10device_ptrIlEEjNS0_19identity_decomposerEEE10hipError_tT1_T2_PT3_SG_jT4_jjP12ihipStream_tbEUlT_E0_NS1_11comp_targetILNS1_3genE4ELNS1_11target_archE910ELNS1_3gpuE8ELNS1_3repE0EEENS1_52radix_sort_onesweep_histogram_config_static_selectorELNS0_4arch9wavefront6targetE1EEEvSE_: ; @_ZN7rocprim17ROCPRIM_400000_NS6detail17trampoline_kernelINS0_14default_configENS1_35radix_sort_onesweep_config_selectorIhlEEZNS1_34radix_sort_onesweep_global_offsetsIS3_Lb0EPhN6thrust23THRUST_200600_302600_NS10device_ptrIlEEjNS0_19identity_decomposerEEE10hipError_tT1_T2_PT3_SG_jT4_jjP12ihipStream_tbEUlT_E0_NS1_11comp_targetILNS1_3genE4ELNS1_11target_archE910ELNS1_3gpuE8ELNS1_3repE0EEENS1_52radix_sort_onesweep_histogram_config_static_selectorELNS0_4arch9wavefront6targetE1EEEvSE_
; %bb.0:
	s_load_dwordx2 s[0:1], s[4:5], 0x0
	s_lshl_b32 s2, s6, 8
	s_mov_b32 s3, 0
	s_lshl_b64 s[2:3], s[2:3], 2
	v_lshlrev_b32_e32 v1, 2, v0
	s_waitcnt lgkmcnt(0)
	s_add_u32 s10, s0, s2
	s_movk_i32 s0, 0x100
	s_addc_u32 s11, s1, s3
	v_cmp_gt_u32_e32 vcc, s0, v0
                                        ; implicit-def: $vgpr3
	s_and_saveexec_b64 s[0:1], vcc
	s_cbranch_execz .LBB250_2
; %bb.1:
	global_load_dword v3, v1, s[10:11]
.LBB250_2:
	s_or_b64 exec, exec, s[0:1]
	v_mbcnt_lo_u32_b32 v2, -1, 0
	v_mbcnt_hi_u32_b32 v2, -1, v2
	v_and_b32_e32 v4, 15, v2
	s_waitcnt vmcnt(0)
	v_mov_b32_dpp v5, v3 row_shr:1 row_mask:0xf bank_mask:0xf
	v_cmp_eq_u32_e64 s[0:1], 0, v4
	v_cndmask_b32_e64 v5, v5, 0, s[0:1]
	v_add_u32_e32 v3, v5, v3
	v_cmp_lt_u32_e64 s[2:3], 1, v4
	v_cmp_lt_u32_e64 s[4:5], 3, v4
	v_mov_b32_dpp v5, v3 row_shr:2 row_mask:0xf bank_mask:0xf
	v_cndmask_b32_e64 v5, 0, v5, s[2:3]
	v_add_u32_e32 v3, v3, v5
	v_cmp_lt_u32_e64 s[6:7], 7, v4
	v_cmp_lt_u32_e64 s[8:9], 31, v2
	v_mov_b32_dpp v5, v3 row_shr:4 row_mask:0xf bank_mask:0xf
	v_cndmask_b32_e64 v5, 0, v5, s[4:5]
	v_add_u32_e32 v3, v3, v5
	s_nop 1
	v_mov_b32_dpp v5, v3 row_shr:8 row_mask:0xf bank_mask:0xf
	v_cndmask_b32_e64 v4, 0, v5, s[6:7]
	v_add_u32_e32 v3, v3, v4
	v_bfe_i32 v5, v2, 4, 1
	s_nop 0
	v_mov_b32_dpp v4, v3 row_bcast:15 row_mask:0xf bank_mask:0xf
	v_and_b32_e32 v4, v5, v4
	v_add_u32_e32 v3, v3, v4
	v_and_b32_e32 v5, 63, v0
	s_nop 0
	v_mov_b32_dpp v4, v3 row_bcast:31 row_mask:0xf bank_mask:0xf
	v_cndmask_b32_e64 v4, 0, v4, s[8:9]
	v_add_u32_e32 v3, v3, v4
	v_lshrrev_b32_e32 v4, 6, v0
	v_cmp_eq_u32_e64 s[8:9], 63, v5
	s_and_saveexec_b64 s[12:13], s[8:9]
	s_cbranch_execz .LBB250_4
; %bb.3:
	v_lshlrev_b32_e32 v5, 2, v4
	ds_write_b32 v5, v3
.LBB250_4:
	s_or_b64 exec, exec, s[12:13]
	v_cmp_gt_u32_e64 s[8:9], 16, v0
	s_waitcnt lgkmcnt(0)
	s_barrier
	s_and_saveexec_b64 s[12:13], s[8:9]
	s_cbranch_execz .LBB250_6
; %bb.5:
	ds_read_b32 v5, v1
	s_waitcnt lgkmcnt(0)
	s_nop 0
	v_mov_b32_dpp v6, v5 row_shr:1 row_mask:0xf bank_mask:0xf
	v_cndmask_b32_e64 v6, v6, 0, s[0:1]
	v_add_u32_e32 v5, v6, v5
	s_nop 1
	v_mov_b32_dpp v6, v5 row_shr:2 row_mask:0xf bank_mask:0xf
	v_cndmask_b32_e64 v6, 0, v6, s[2:3]
	v_add_u32_e32 v5, v5, v6
	;; [unrolled: 4-line block ×4, first 2 shown]
	ds_write_b32 v1, v5
.LBB250_6:
	s_or_b64 exec, exec, s[12:13]
	v_cmp_lt_u32_e64 s[0:1], 63, v0
	v_mov_b32_e32 v0, 0
	s_waitcnt lgkmcnt(0)
	s_barrier
	s_and_saveexec_b64 s[2:3], s[0:1]
	s_cbranch_execz .LBB250_8
; %bb.7:
	v_lshl_add_u32 v0, v4, 2, -4
	ds_read_b32 v0, v0
.LBB250_8:
	s_or_b64 exec, exec, s[2:3]
	v_add_u32_e32 v4, -1, v2
	v_and_b32_e32 v5, 64, v2
	v_cmp_lt_i32_e64 s[0:1], v4, v5
	v_cndmask_b32_e64 v4, v4, v2, s[0:1]
	s_waitcnt lgkmcnt(0)
	v_add_u32_e32 v3, v0, v3
	v_lshlrev_b32_e32 v4, 2, v4
	ds_bpermute_b32 v3, v4, v3
	s_and_saveexec_b64 s[0:1], vcc
	s_cbranch_execz .LBB250_10
; %bb.9:
	v_cmp_eq_u32_e32 vcc, 0, v2
	s_waitcnt lgkmcnt(0)
	v_cndmask_b32_e32 v0, v3, v0, vcc
	global_store_dword v1, v0, s[10:11]
.LBB250_10:
	s_endpgm
	.section	.rodata,"a",@progbits
	.p2align	6, 0x0
	.amdhsa_kernel _ZN7rocprim17ROCPRIM_400000_NS6detail17trampoline_kernelINS0_14default_configENS1_35radix_sort_onesweep_config_selectorIhlEEZNS1_34radix_sort_onesweep_global_offsetsIS3_Lb0EPhN6thrust23THRUST_200600_302600_NS10device_ptrIlEEjNS0_19identity_decomposerEEE10hipError_tT1_T2_PT3_SG_jT4_jjP12ihipStream_tbEUlT_E0_NS1_11comp_targetILNS1_3genE4ELNS1_11target_archE910ELNS1_3gpuE8ELNS1_3repE0EEENS1_52radix_sort_onesweep_histogram_config_static_selectorELNS0_4arch9wavefront6targetE1EEEvSE_
		.amdhsa_group_segment_fixed_size 64
		.amdhsa_private_segment_fixed_size 0
		.amdhsa_kernarg_size 8
		.amdhsa_user_sgpr_count 6
		.amdhsa_user_sgpr_private_segment_buffer 1
		.amdhsa_user_sgpr_dispatch_ptr 0
		.amdhsa_user_sgpr_queue_ptr 0
		.amdhsa_user_sgpr_kernarg_segment_ptr 1
		.amdhsa_user_sgpr_dispatch_id 0
		.amdhsa_user_sgpr_flat_scratch_init 0
		.amdhsa_user_sgpr_kernarg_preload_length 0
		.amdhsa_user_sgpr_kernarg_preload_offset 0
		.amdhsa_user_sgpr_private_segment_size 0
		.amdhsa_uses_dynamic_stack 0
		.amdhsa_system_sgpr_private_segment_wavefront_offset 0
		.amdhsa_system_sgpr_workgroup_id_x 1
		.amdhsa_system_sgpr_workgroup_id_y 0
		.amdhsa_system_sgpr_workgroup_id_z 0
		.amdhsa_system_sgpr_workgroup_info 0
		.amdhsa_system_vgpr_workitem_id 0
		.amdhsa_next_free_vgpr 7
		.amdhsa_next_free_sgpr 14
		.amdhsa_accum_offset 8
		.amdhsa_reserve_vcc 1
		.amdhsa_reserve_flat_scratch 0
		.amdhsa_float_round_mode_32 0
		.amdhsa_float_round_mode_16_64 0
		.amdhsa_float_denorm_mode_32 3
		.amdhsa_float_denorm_mode_16_64 3
		.amdhsa_dx10_clamp 1
		.amdhsa_ieee_mode 1
		.amdhsa_fp16_overflow 0
		.amdhsa_tg_split 0
		.amdhsa_exception_fp_ieee_invalid_op 0
		.amdhsa_exception_fp_denorm_src 0
		.amdhsa_exception_fp_ieee_div_zero 0
		.amdhsa_exception_fp_ieee_overflow 0
		.amdhsa_exception_fp_ieee_underflow 0
		.amdhsa_exception_fp_ieee_inexact 0
		.amdhsa_exception_int_div_zero 0
	.end_amdhsa_kernel
	.section	.text._ZN7rocprim17ROCPRIM_400000_NS6detail17trampoline_kernelINS0_14default_configENS1_35radix_sort_onesweep_config_selectorIhlEEZNS1_34radix_sort_onesweep_global_offsetsIS3_Lb0EPhN6thrust23THRUST_200600_302600_NS10device_ptrIlEEjNS0_19identity_decomposerEEE10hipError_tT1_T2_PT3_SG_jT4_jjP12ihipStream_tbEUlT_E0_NS1_11comp_targetILNS1_3genE4ELNS1_11target_archE910ELNS1_3gpuE8ELNS1_3repE0EEENS1_52radix_sort_onesweep_histogram_config_static_selectorELNS0_4arch9wavefront6targetE1EEEvSE_,"axG",@progbits,_ZN7rocprim17ROCPRIM_400000_NS6detail17trampoline_kernelINS0_14default_configENS1_35radix_sort_onesweep_config_selectorIhlEEZNS1_34radix_sort_onesweep_global_offsetsIS3_Lb0EPhN6thrust23THRUST_200600_302600_NS10device_ptrIlEEjNS0_19identity_decomposerEEE10hipError_tT1_T2_PT3_SG_jT4_jjP12ihipStream_tbEUlT_E0_NS1_11comp_targetILNS1_3genE4ELNS1_11target_archE910ELNS1_3gpuE8ELNS1_3repE0EEENS1_52radix_sort_onesweep_histogram_config_static_selectorELNS0_4arch9wavefront6targetE1EEEvSE_,comdat
.Lfunc_end250:
	.size	_ZN7rocprim17ROCPRIM_400000_NS6detail17trampoline_kernelINS0_14default_configENS1_35radix_sort_onesweep_config_selectorIhlEEZNS1_34radix_sort_onesweep_global_offsetsIS3_Lb0EPhN6thrust23THRUST_200600_302600_NS10device_ptrIlEEjNS0_19identity_decomposerEEE10hipError_tT1_T2_PT3_SG_jT4_jjP12ihipStream_tbEUlT_E0_NS1_11comp_targetILNS1_3genE4ELNS1_11target_archE910ELNS1_3gpuE8ELNS1_3repE0EEENS1_52radix_sort_onesweep_histogram_config_static_selectorELNS0_4arch9wavefront6targetE1EEEvSE_, .Lfunc_end250-_ZN7rocprim17ROCPRIM_400000_NS6detail17trampoline_kernelINS0_14default_configENS1_35radix_sort_onesweep_config_selectorIhlEEZNS1_34radix_sort_onesweep_global_offsetsIS3_Lb0EPhN6thrust23THRUST_200600_302600_NS10device_ptrIlEEjNS0_19identity_decomposerEEE10hipError_tT1_T2_PT3_SG_jT4_jjP12ihipStream_tbEUlT_E0_NS1_11comp_targetILNS1_3genE4ELNS1_11target_archE910ELNS1_3gpuE8ELNS1_3repE0EEENS1_52radix_sort_onesweep_histogram_config_static_selectorELNS0_4arch9wavefront6targetE1EEEvSE_
                                        ; -- End function
	.section	.AMDGPU.csdata,"",@progbits
; Kernel info:
; codeLenInByte = 572
; NumSgprs: 18
; NumVgprs: 7
; NumAgprs: 0
; TotalNumVgprs: 7
; ScratchSize: 0
; MemoryBound: 0
; FloatMode: 240
; IeeeMode: 1
; LDSByteSize: 64 bytes/workgroup (compile time only)
; SGPRBlocks: 2
; VGPRBlocks: 0
; NumSGPRsForWavesPerEU: 18
; NumVGPRsForWavesPerEU: 7
; AccumOffset: 8
; Occupancy: 8
; WaveLimiterHint : 0
; COMPUTE_PGM_RSRC2:SCRATCH_EN: 0
; COMPUTE_PGM_RSRC2:USER_SGPR: 6
; COMPUTE_PGM_RSRC2:TRAP_HANDLER: 0
; COMPUTE_PGM_RSRC2:TGID_X_EN: 1
; COMPUTE_PGM_RSRC2:TGID_Y_EN: 0
; COMPUTE_PGM_RSRC2:TGID_Z_EN: 0
; COMPUTE_PGM_RSRC2:TIDIG_COMP_CNT: 0
; COMPUTE_PGM_RSRC3_GFX90A:ACCUM_OFFSET: 1
; COMPUTE_PGM_RSRC3_GFX90A:TG_SPLIT: 0
	.section	.text._ZN7rocprim17ROCPRIM_400000_NS6detail17trampoline_kernelINS0_14default_configENS1_35radix_sort_onesweep_config_selectorIhlEEZNS1_34radix_sort_onesweep_global_offsetsIS3_Lb0EPhN6thrust23THRUST_200600_302600_NS10device_ptrIlEEjNS0_19identity_decomposerEEE10hipError_tT1_T2_PT3_SG_jT4_jjP12ihipStream_tbEUlT_E0_NS1_11comp_targetILNS1_3genE3ELNS1_11target_archE908ELNS1_3gpuE7ELNS1_3repE0EEENS1_52radix_sort_onesweep_histogram_config_static_selectorELNS0_4arch9wavefront6targetE1EEEvSE_,"axG",@progbits,_ZN7rocprim17ROCPRIM_400000_NS6detail17trampoline_kernelINS0_14default_configENS1_35radix_sort_onesweep_config_selectorIhlEEZNS1_34radix_sort_onesweep_global_offsetsIS3_Lb0EPhN6thrust23THRUST_200600_302600_NS10device_ptrIlEEjNS0_19identity_decomposerEEE10hipError_tT1_T2_PT3_SG_jT4_jjP12ihipStream_tbEUlT_E0_NS1_11comp_targetILNS1_3genE3ELNS1_11target_archE908ELNS1_3gpuE7ELNS1_3repE0EEENS1_52radix_sort_onesweep_histogram_config_static_selectorELNS0_4arch9wavefront6targetE1EEEvSE_,comdat
	.protected	_ZN7rocprim17ROCPRIM_400000_NS6detail17trampoline_kernelINS0_14default_configENS1_35radix_sort_onesweep_config_selectorIhlEEZNS1_34radix_sort_onesweep_global_offsetsIS3_Lb0EPhN6thrust23THRUST_200600_302600_NS10device_ptrIlEEjNS0_19identity_decomposerEEE10hipError_tT1_T2_PT3_SG_jT4_jjP12ihipStream_tbEUlT_E0_NS1_11comp_targetILNS1_3genE3ELNS1_11target_archE908ELNS1_3gpuE7ELNS1_3repE0EEENS1_52radix_sort_onesweep_histogram_config_static_selectorELNS0_4arch9wavefront6targetE1EEEvSE_ ; -- Begin function _ZN7rocprim17ROCPRIM_400000_NS6detail17trampoline_kernelINS0_14default_configENS1_35radix_sort_onesweep_config_selectorIhlEEZNS1_34radix_sort_onesweep_global_offsetsIS3_Lb0EPhN6thrust23THRUST_200600_302600_NS10device_ptrIlEEjNS0_19identity_decomposerEEE10hipError_tT1_T2_PT3_SG_jT4_jjP12ihipStream_tbEUlT_E0_NS1_11comp_targetILNS1_3genE3ELNS1_11target_archE908ELNS1_3gpuE7ELNS1_3repE0EEENS1_52radix_sort_onesweep_histogram_config_static_selectorELNS0_4arch9wavefront6targetE1EEEvSE_
	.globl	_ZN7rocprim17ROCPRIM_400000_NS6detail17trampoline_kernelINS0_14default_configENS1_35radix_sort_onesweep_config_selectorIhlEEZNS1_34radix_sort_onesweep_global_offsetsIS3_Lb0EPhN6thrust23THRUST_200600_302600_NS10device_ptrIlEEjNS0_19identity_decomposerEEE10hipError_tT1_T2_PT3_SG_jT4_jjP12ihipStream_tbEUlT_E0_NS1_11comp_targetILNS1_3genE3ELNS1_11target_archE908ELNS1_3gpuE7ELNS1_3repE0EEENS1_52radix_sort_onesweep_histogram_config_static_selectorELNS0_4arch9wavefront6targetE1EEEvSE_
	.p2align	8
	.type	_ZN7rocprim17ROCPRIM_400000_NS6detail17trampoline_kernelINS0_14default_configENS1_35radix_sort_onesweep_config_selectorIhlEEZNS1_34radix_sort_onesweep_global_offsetsIS3_Lb0EPhN6thrust23THRUST_200600_302600_NS10device_ptrIlEEjNS0_19identity_decomposerEEE10hipError_tT1_T2_PT3_SG_jT4_jjP12ihipStream_tbEUlT_E0_NS1_11comp_targetILNS1_3genE3ELNS1_11target_archE908ELNS1_3gpuE7ELNS1_3repE0EEENS1_52radix_sort_onesweep_histogram_config_static_selectorELNS0_4arch9wavefront6targetE1EEEvSE_,@function
_ZN7rocprim17ROCPRIM_400000_NS6detail17trampoline_kernelINS0_14default_configENS1_35radix_sort_onesweep_config_selectorIhlEEZNS1_34radix_sort_onesweep_global_offsetsIS3_Lb0EPhN6thrust23THRUST_200600_302600_NS10device_ptrIlEEjNS0_19identity_decomposerEEE10hipError_tT1_T2_PT3_SG_jT4_jjP12ihipStream_tbEUlT_E0_NS1_11comp_targetILNS1_3genE3ELNS1_11target_archE908ELNS1_3gpuE7ELNS1_3repE0EEENS1_52radix_sort_onesweep_histogram_config_static_selectorELNS0_4arch9wavefront6targetE1EEEvSE_: ; @_ZN7rocprim17ROCPRIM_400000_NS6detail17trampoline_kernelINS0_14default_configENS1_35radix_sort_onesweep_config_selectorIhlEEZNS1_34radix_sort_onesweep_global_offsetsIS3_Lb0EPhN6thrust23THRUST_200600_302600_NS10device_ptrIlEEjNS0_19identity_decomposerEEE10hipError_tT1_T2_PT3_SG_jT4_jjP12ihipStream_tbEUlT_E0_NS1_11comp_targetILNS1_3genE3ELNS1_11target_archE908ELNS1_3gpuE7ELNS1_3repE0EEENS1_52radix_sort_onesweep_histogram_config_static_selectorELNS0_4arch9wavefront6targetE1EEEvSE_
; %bb.0:
	.section	.rodata,"a",@progbits
	.p2align	6, 0x0
	.amdhsa_kernel _ZN7rocprim17ROCPRIM_400000_NS6detail17trampoline_kernelINS0_14default_configENS1_35radix_sort_onesweep_config_selectorIhlEEZNS1_34radix_sort_onesweep_global_offsetsIS3_Lb0EPhN6thrust23THRUST_200600_302600_NS10device_ptrIlEEjNS0_19identity_decomposerEEE10hipError_tT1_T2_PT3_SG_jT4_jjP12ihipStream_tbEUlT_E0_NS1_11comp_targetILNS1_3genE3ELNS1_11target_archE908ELNS1_3gpuE7ELNS1_3repE0EEENS1_52radix_sort_onesweep_histogram_config_static_selectorELNS0_4arch9wavefront6targetE1EEEvSE_
		.amdhsa_group_segment_fixed_size 0
		.amdhsa_private_segment_fixed_size 0
		.amdhsa_kernarg_size 8
		.amdhsa_user_sgpr_count 6
		.amdhsa_user_sgpr_private_segment_buffer 1
		.amdhsa_user_sgpr_dispatch_ptr 0
		.amdhsa_user_sgpr_queue_ptr 0
		.amdhsa_user_sgpr_kernarg_segment_ptr 1
		.amdhsa_user_sgpr_dispatch_id 0
		.amdhsa_user_sgpr_flat_scratch_init 0
		.amdhsa_user_sgpr_kernarg_preload_length 0
		.amdhsa_user_sgpr_kernarg_preload_offset 0
		.amdhsa_user_sgpr_private_segment_size 0
		.amdhsa_uses_dynamic_stack 0
		.amdhsa_system_sgpr_private_segment_wavefront_offset 0
		.amdhsa_system_sgpr_workgroup_id_x 1
		.amdhsa_system_sgpr_workgroup_id_y 0
		.amdhsa_system_sgpr_workgroup_id_z 0
		.amdhsa_system_sgpr_workgroup_info 0
		.amdhsa_system_vgpr_workitem_id 0
		.amdhsa_next_free_vgpr 1
		.amdhsa_next_free_sgpr 0
		.amdhsa_accum_offset 4
		.amdhsa_reserve_vcc 0
		.amdhsa_reserve_flat_scratch 0
		.amdhsa_float_round_mode_32 0
		.amdhsa_float_round_mode_16_64 0
		.amdhsa_float_denorm_mode_32 3
		.amdhsa_float_denorm_mode_16_64 3
		.amdhsa_dx10_clamp 1
		.amdhsa_ieee_mode 1
		.amdhsa_fp16_overflow 0
		.amdhsa_tg_split 0
		.amdhsa_exception_fp_ieee_invalid_op 0
		.amdhsa_exception_fp_denorm_src 0
		.amdhsa_exception_fp_ieee_div_zero 0
		.amdhsa_exception_fp_ieee_overflow 0
		.amdhsa_exception_fp_ieee_underflow 0
		.amdhsa_exception_fp_ieee_inexact 0
		.amdhsa_exception_int_div_zero 0
	.end_amdhsa_kernel
	.section	.text._ZN7rocprim17ROCPRIM_400000_NS6detail17trampoline_kernelINS0_14default_configENS1_35radix_sort_onesweep_config_selectorIhlEEZNS1_34radix_sort_onesweep_global_offsetsIS3_Lb0EPhN6thrust23THRUST_200600_302600_NS10device_ptrIlEEjNS0_19identity_decomposerEEE10hipError_tT1_T2_PT3_SG_jT4_jjP12ihipStream_tbEUlT_E0_NS1_11comp_targetILNS1_3genE3ELNS1_11target_archE908ELNS1_3gpuE7ELNS1_3repE0EEENS1_52radix_sort_onesweep_histogram_config_static_selectorELNS0_4arch9wavefront6targetE1EEEvSE_,"axG",@progbits,_ZN7rocprim17ROCPRIM_400000_NS6detail17trampoline_kernelINS0_14default_configENS1_35radix_sort_onesweep_config_selectorIhlEEZNS1_34radix_sort_onesweep_global_offsetsIS3_Lb0EPhN6thrust23THRUST_200600_302600_NS10device_ptrIlEEjNS0_19identity_decomposerEEE10hipError_tT1_T2_PT3_SG_jT4_jjP12ihipStream_tbEUlT_E0_NS1_11comp_targetILNS1_3genE3ELNS1_11target_archE908ELNS1_3gpuE7ELNS1_3repE0EEENS1_52radix_sort_onesweep_histogram_config_static_selectorELNS0_4arch9wavefront6targetE1EEEvSE_,comdat
.Lfunc_end251:
	.size	_ZN7rocprim17ROCPRIM_400000_NS6detail17trampoline_kernelINS0_14default_configENS1_35radix_sort_onesweep_config_selectorIhlEEZNS1_34radix_sort_onesweep_global_offsetsIS3_Lb0EPhN6thrust23THRUST_200600_302600_NS10device_ptrIlEEjNS0_19identity_decomposerEEE10hipError_tT1_T2_PT3_SG_jT4_jjP12ihipStream_tbEUlT_E0_NS1_11comp_targetILNS1_3genE3ELNS1_11target_archE908ELNS1_3gpuE7ELNS1_3repE0EEENS1_52radix_sort_onesweep_histogram_config_static_selectorELNS0_4arch9wavefront6targetE1EEEvSE_, .Lfunc_end251-_ZN7rocprim17ROCPRIM_400000_NS6detail17trampoline_kernelINS0_14default_configENS1_35radix_sort_onesweep_config_selectorIhlEEZNS1_34radix_sort_onesweep_global_offsetsIS3_Lb0EPhN6thrust23THRUST_200600_302600_NS10device_ptrIlEEjNS0_19identity_decomposerEEE10hipError_tT1_T2_PT3_SG_jT4_jjP12ihipStream_tbEUlT_E0_NS1_11comp_targetILNS1_3genE3ELNS1_11target_archE908ELNS1_3gpuE7ELNS1_3repE0EEENS1_52radix_sort_onesweep_histogram_config_static_selectorELNS0_4arch9wavefront6targetE1EEEvSE_
                                        ; -- End function
	.section	.AMDGPU.csdata,"",@progbits
; Kernel info:
; codeLenInByte = 0
; NumSgprs: 4
; NumVgprs: 0
; NumAgprs: 0
; TotalNumVgprs: 0
; ScratchSize: 0
; MemoryBound: 0
; FloatMode: 240
; IeeeMode: 1
; LDSByteSize: 0 bytes/workgroup (compile time only)
; SGPRBlocks: 0
; VGPRBlocks: 0
; NumSGPRsForWavesPerEU: 4
; NumVGPRsForWavesPerEU: 1
; AccumOffset: 4
; Occupancy: 8
; WaveLimiterHint : 0
; COMPUTE_PGM_RSRC2:SCRATCH_EN: 0
; COMPUTE_PGM_RSRC2:USER_SGPR: 6
; COMPUTE_PGM_RSRC2:TRAP_HANDLER: 0
; COMPUTE_PGM_RSRC2:TGID_X_EN: 1
; COMPUTE_PGM_RSRC2:TGID_Y_EN: 0
; COMPUTE_PGM_RSRC2:TGID_Z_EN: 0
; COMPUTE_PGM_RSRC2:TIDIG_COMP_CNT: 0
; COMPUTE_PGM_RSRC3_GFX90A:ACCUM_OFFSET: 0
; COMPUTE_PGM_RSRC3_GFX90A:TG_SPLIT: 0
	.section	.text._ZN7rocprim17ROCPRIM_400000_NS6detail17trampoline_kernelINS0_14default_configENS1_35radix_sort_onesweep_config_selectorIhlEEZNS1_34radix_sort_onesweep_global_offsetsIS3_Lb0EPhN6thrust23THRUST_200600_302600_NS10device_ptrIlEEjNS0_19identity_decomposerEEE10hipError_tT1_T2_PT3_SG_jT4_jjP12ihipStream_tbEUlT_E0_NS1_11comp_targetILNS1_3genE10ELNS1_11target_archE1201ELNS1_3gpuE5ELNS1_3repE0EEENS1_52radix_sort_onesweep_histogram_config_static_selectorELNS0_4arch9wavefront6targetE1EEEvSE_,"axG",@progbits,_ZN7rocprim17ROCPRIM_400000_NS6detail17trampoline_kernelINS0_14default_configENS1_35radix_sort_onesweep_config_selectorIhlEEZNS1_34radix_sort_onesweep_global_offsetsIS3_Lb0EPhN6thrust23THRUST_200600_302600_NS10device_ptrIlEEjNS0_19identity_decomposerEEE10hipError_tT1_T2_PT3_SG_jT4_jjP12ihipStream_tbEUlT_E0_NS1_11comp_targetILNS1_3genE10ELNS1_11target_archE1201ELNS1_3gpuE5ELNS1_3repE0EEENS1_52radix_sort_onesweep_histogram_config_static_selectorELNS0_4arch9wavefront6targetE1EEEvSE_,comdat
	.protected	_ZN7rocprim17ROCPRIM_400000_NS6detail17trampoline_kernelINS0_14default_configENS1_35radix_sort_onesweep_config_selectorIhlEEZNS1_34radix_sort_onesweep_global_offsetsIS3_Lb0EPhN6thrust23THRUST_200600_302600_NS10device_ptrIlEEjNS0_19identity_decomposerEEE10hipError_tT1_T2_PT3_SG_jT4_jjP12ihipStream_tbEUlT_E0_NS1_11comp_targetILNS1_3genE10ELNS1_11target_archE1201ELNS1_3gpuE5ELNS1_3repE0EEENS1_52radix_sort_onesweep_histogram_config_static_selectorELNS0_4arch9wavefront6targetE1EEEvSE_ ; -- Begin function _ZN7rocprim17ROCPRIM_400000_NS6detail17trampoline_kernelINS0_14default_configENS1_35radix_sort_onesweep_config_selectorIhlEEZNS1_34radix_sort_onesweep_global_offsetsIS3_Lb0EPhN6thrust23THRUST_200600_302600_NS10device_ptrIlEEjNS0_19identity_decomposerEEE10hipError_tT1_T2_PT3_SG_jT4_jjP12ihipStream_tbEUlT_E0_NS1_11comp_targetILNS1_3genE10ELNS1_11target_archE1201ELNS1_3gpuE5ELNS1_3repE0EEENS1_52radix_sort_onesweep_histogram_config_static_selectorELNS0_4arch9wavefront6targetE1EEEvSE_
	.globl	_ZN7rocprim17ROCPRIM_400000_NS6detail17trampoline_kernelINS0_14default_configENS1_35radix_sort_onesweep_config_selectorIhlEEZNS1_34radix_sort_onesweep_global_offsetsIS3_Lb0EPhN6thrust23THRUST_200600_302600_NS10device_ptrIlEEjNS0_19identity_decomposerEEE10hipError_tT1_T2_PT3_SG_jT4_jjP12ihipStream_tbEUlT_E0_NS1_11comp_targetILNS1_3genE10ELNS1_11target_archE1201ELNS1_3gpuE5ELNS1_3repE0EEENS1_52radix_sort_onesweep_histogram_config_static_selectorELNS0_4arch9wavefront6targetE1EEEvSE_
	.p2align	8
	.type	_ZN7rocprim17ROCPRIM_400000_NS6detail17trampoline_kernelINS0_14default_configENS1_35radix_sort_onesweep_config_selectorIhlEEZNS1_34radix_sort_onesweep_global_offsetsIS3_Lb0EPhN6thrust23THRUST_200600_302600_NS10device_ptrIlEEjNS0_19identity_decomposerEEE10hipError_tT1_T2_PT3_SG_jT4_jjP12ihipStream_tbEUlT_E0_NS1_11comp_targetILNS1_3genE10ELNS1_11target_archE1201ELNS1_3gpuE5ELNS1_3repE0EEENS1_52radix_sort_onesweep_histogram_config_static_selectorELNS0_4arch9wavefront6targetE1EEEvSE_,@function
_ZN7rocprim17ROCPRIM_400000_NS6detail17trampoline_kernelINS0_14default_configENS1_35radix_sort_onesweep_config_selectorIhlEEZNS1_34radix_sort_onesweep_global_offsetsIS3_Lb0EPhN6thrust23THRUST_200600_302600_NS10device_ptrIlEEjNS0_19identity_decomposerEEE10hipError_tT1_T2_PT3_SG_jT4_jjP12ihipStream_tbEUlT_E0_NS1_11comp_targetILNS1_3genE10ELNS1_11target_archE1201ELNS1_3gpuE5ELNS1_3repE0EEENS1_52radix_sort_onesweep_histogram_config_static_selectorELNS0_4arch9wavefront6targetE1EEEvSE_: ; @_ZN7rocprim17ROCPRIM_400000_NS6detail17trampoline_kernelINS0_14default_configENS1_35radix_sort_onesweep_config_selectorIhlEEZNS1_34radix_sort_onesweep_global_offsetsIS3_Lb0EPhN6thrust23THRUST_200600_302600_NS10device_ptrIlEEjNS0_19identity_decomposerEEE10hipError_tT1_T2_PT3_SG_jT4_jjP12ihipStream_tbEUlT_E0_NS1_11comp_targetILNS1_3genE10ELNS1_11target_archE1201ELNS1_3gpuE5ELNS1_3repE0EEENS1_52radix_sort_onesweep_histogram_config_static_selectorELNS0_4arch9wavefront6targetE1EEEvSE_
; %bb.0:
	.section	.rodata,"a",@progbits
	.p2align	6, 0x0
	.amdhsa_kernel _ZN7rocprim17ROCPRIM_400000_NS6detail17trampoline_kernelINS0_14default_configENS1_35radix_sort_onesweep_config_selectorIhlEEZNS1_34radix_sort_onesweep_global_offsetsIS3_Lb0EPhN6thrust23THRUST_200600_302600_NS10device_ptrIlEEjNS0_19identity_decomposerEEE10hipError_tT1_T2_PT3_SG_jT4_jjP12ihipStream_tbEUlT_E0_NS1_11comp_targetILNS1_3genE10ELNS1_11target_archE1201ELNS1_3gpuE5ELNS1_3repE0EEENS1_52radix_sort_onesweep_histogram_config_static_selectorELNS0_4arch9wavefront6targetE1EEEvSE_
		.amdhsa_group_segment_fixed_size 0
		.amdhsa_private_segment_fixed_size 0
		.amdhsa_kernarg_size 8
		.amdhsa_user_sgpr_count 6
		.amdhsa_user_sgpr_private_segment_buffer 1
		.amdhsa_user_sgpr_dispatch_ptr 0
		.amdhsa_user_sgpr_queue_ptr 0
		.amdhsa_user_sgpr_kernarg_segment_ptr 1
		.amdhsa_user_sgpr_dispatch_id 0
		.amdhsa_user_sgpr_flat_scratch_init 0
		.amdhsa_user_sgpr_kernarg_preload_length 0
		.amdhsa_user_sgpr_kernarg_preload_offset 0
		.amdhsa_user_sgpr_private_segment_size 0
		.amdhsa_uses_dynamic_stack 0
		.amdhsa_system_sgpr_private_segment_wavefront_offset 0
		.amdhsa_system_sgpr_workgroup_id_x 1
		.amdhsa_system_sgpr_workgroup_id_y 0
		.amdhsa_system_sgpr_workgroup_id_z 0
		.amdhsa_system_sgpr_workgroup_info 0
		.amdhsa_system_vgpr_workitem_id 0
		.amdhsa_next_free_vgpr 1
		.amdhsa_next_free_sgpr 0
		.amdhsa_accum_offset 4
		.amdhsa_reserve_vcc 0
		.amdhsa_reserve_flat_scratch 0
		.amdhsa_float_round_mode_32 0
		.amdhsa_float_round_mode_16_64 0
		.amdhsa_float_denorm_mode_32 3
		.amdhsa_float_denorm_mode_16_64 3
		.amdhsa_dx10_clamp 1
		.amdhsa_ieee_mode 1
		.amdhsa_fp16_overflow 0
		.amdhsa_tg_split 0
		.amdhsa_exception_fp_ieee_invalid_op 0
		.amdhsa_exception_fp_denorm_src 0
		.amdhsa_exception_fp_ieee_div_zero 0
		.amdhsa_exception_fp_ieee_overflow 0
		.amdhsa_exception_fp_ieee_underflow 0
		.amdhsa_exception_fp_ieee_inexact 0
		.amdhsa_exception_int_div_zero 0
	.end_amdhsa_kernel
	.section	.text._ZN7rocprim17ROCPRIM_400000_NS6detail17trampoline_kernelINS0_14default_configENS1_35radix_sort_onesweep_config_selectorIhlEEZNS1_34radix_sort_onesweep_global_offsetsIS3_Lb0EPhN6thrust23THRUST_200600_302600_NS10device_ptrIlEEjNS0_19identity_decomposerEEE10hipError_tT1_T2_PT3_SG_jT4_jjP12ihipStream_tbEUlT_E0_NS1_11comp_targetILNS1_3genE10ELNS1_11target_archE1201ELNS1_3gpuE5ELNS1_3repE0EEENS1_52radix_sort_onesweep_histogram_config_static_selectorELNS0_4arch9wavefront6targetE1EEEvSE_,"axG",@progbits,_ZN7rocprim17ROCPRIM_400000_NS6detail17trampoline_kernelINS0_14default_configENS1_35radix_sort_onesweep_config_selectorIhlEEZNS1_34radix_sort_onesweep_global_offsetsIS3_Lb0EPhN6thrust23THRUST_200600_302600_NS10device_ptrIlEEjNS0_19identity_decomposerEEE10hipError_tT1_T2_PT3_SG_jT4_jjP12ihipStream_tbEUlT_E0_NS1_11comp_targetILNS1_3genE10ELNS1_11target_archE1201ELNS1_3gpuE5ELNS1_3repE0EEENS1_52radix_sort_onesweep_histogram_config_static_selectorELNS0_4arch9wavefront6targetE1EEEvSE_,comdat
.Lfunc_end252:
	.size	_ZN7rocprim17ROCPRIM_400000_NS6detail17trampoline_kernelINS0_14default_configENS1_35radix_sort_onesweep_config_selectorIhlEEZNS1_34radix_sort_onesweep_global_offsetsIS3_Lb0EPhN6thrust23THRUST_200600_302600_NS10device_ptrIlEEjNS0_19identity_decomposerEEE10hipError_tT1_T2_PT3_SG_jT4_jjP12ihipStream_tbEUlT_E0_NS1_11comp_targetILNS1_3genE10ELNS1_11target_archE1201ELNS1_3gpuE5ELNS1_3repE0EEENS1_52radix_sort_onesweep_histogram_config_static_selectorELNS0_4arch9wavefront6targetE1EEEvSE_, .Lfunc_end252-_ZN7rocprim17ROCPRIM_400000_NS6detail17trampoline_kernelINS0_14default_configENS1_35radix_sort_onesweep_config_selectorIhlEEZNS1_34radix_sort_onesweep_global_offsetsIS3_Lb0EPhN6thrust23THRUST_200600_302600_NS10device_ptrIlEEjNS0_19identity_decomposerEEE10hipError_tT1_T2_PT3_SG_jT4_jjP12ihipStream_tbEUlT_E0_NS1_11comp_targetILNS1_3genE10ELNS1_11target_archE1201ELNS1_3gpuE5ELNS1_3repE0EEENS1_52radix_sort_onesweep_histogram_config_static_selectorELNS0_4arch9wavefront6targetE1EEEvSE_
                                        ; -- End function
	.section	.AMDGPU.csdata,"",@progbits
; Kernel info:
; codeLenInByte = 0
; NumSgprs: 4
; NumVgprs: 0
; NumAgprs: 0
; TotalNumVgprs: 0
; ScratchSize: 0
; MemoryBound: 0
; FloatMode: 240
; IeeeMode: 1
; LDSByteSize: 0 bytes/workgroup (compile time only)
; SGPRBlocks: 0
; VGPRBlocks: 0
; NumSGPRsForWavesPerEU: 4
; NumVGPRsForWavesPerEU: 1
; AccumOffset: 4
; Occupancy: 8
; WaveLimiterHint : 0
; COMPUTE_PGM_RSRC2:SCRATCH_EN: 0
; COMPUTE_PGM_RSRC2:USER_SGPR: 6
; COMPUTE_PGM_RSRC2:TRAP_HANDLER: 0
; COMPUTE_PGM_RSRC2:TGID_X_EN: 1
; COMPUTE_PGM_RSRC2:TGID_Y_EN: 0
; COMPUTE_PGM_RSRC2:TGID_Z_EN: 0
; COMPUTE_PGM_RSRC2:TIDIG_COMP_CNT: 0
; COMPUTE_PGM_RSRC3_GFX90A:ACCUM_OFFSET: 0
; COMPUTE_PGM_RSRC3_GFX90A:TG_SPLIT: 0
	.section	.text._ZN7rocprim17ROCPRIM_400000_NS6detail17trampoline_kernelINS0_14default_configENS1_35radix_sort_onesweep_config_selectorIhlEEZNS1_34radix_sort_onesweep_global_offsetsIS3_Lb0EPhN6thrust23THRUST_200600_302600_NS10device_ptrIlEEjNS0_19identity_decomposerEEE10hipError_tT1_T2_PT3_SG_jT4_jjP12ihipStream_tbEUlT_E0_NS1_11comp_targetILNS1_3genE9ELNS1_11target_archE1100ELNS1_3gpuE3ELNS1_3repE0EEENS1_52radix_sort_onesweep_histogram_config_static_selectorELNS0_4arch9wavefront6targetE1EEEvSE_,"axG",@progbits,_ZN7rocprim17ROCPRIM_400000_NS6detail17trampoline_kernelINS0_14default_configENS1_35radix_sort_onesweep_config_selectorIhlEEZNS1_34radix_sort_onesweep_global_offsetsIS3_Lb0EPhN6thrust23THRUST_200600_302600_NS10device_ptrIlEEjNS0_19identity_decomposerEEE10hipError_tT1_T2_PT3_SG_jT4_jjP12ihipStream_tbEUlT_E0_NS1_11comp_targetILNS1_3genE9ELNS1_11target_archE1100ELNS1_3gpuE3ELNS1_3repE0EEENS1_52radix_sort_onesweep_histogram_config_static_selectorELNS0_4arch9wavefront6targetE1EEEvSE_,comdat
	.protected	_ZN7rocprim17ROCPRIM_400000_NS6detail17trampoline_kernelINS0_14default_configENS1_35radix_sort_onesweep_config_selectorIhlEEZNS1_34radix_sort_onesweep_global_offsetsIS3_Lb0EPhN6thrust23THRUST_200600_302600_NS10device_ptrIlEEjNS0_19identity_decomposerEEE10hipError_tT1_T2_PT3_SG_jT4_jjP12ihipStream_tbEUlT_E0_NS1_11comp_targetILNS1_3genE9ELNS1_11target_archE1100ELNS1_3gpuE3ELNS1_3repE0EEENS1_52radix_sort_onesweep_histogram_config_static_selectorELNS0_4arch9wavefront6targetE1EEEvSE_ ; -- Begin function _ZN7rocprim17ROCPRIM_400000_NS6detail17trampoline_kernelINS0_14default_configENS1_35radix_sort_onesweep_config_selectorIhlEEZNS1_34radix_sort_onesweep_global_offsetsIS3_Lb0EPhN6thrust23THRUST_200600_302600_NS10device_ptrIlEEjNS0_19identity_decomposerEEE10hipError_tT1_T2_PT3_SG_jT4_jjP12ihipStream_tbEUlT_E0_NS1_11comp_targetILNS1_3genE9ELNS1_11target_archE1100ELNS1_3gpuE3ELNS1_3repE0EEENS1_52radix_sort_onesweep_histogram_config_static_selectorELNS0_4arch9wavefront6targetE1EEEvSE_
	.globl	_ZN7rocprim17ROCPRIM_400000_NS6detail17trampoline_kernelINS0_14default_configENS1_35radix_sort_onesweep_config_selectorIhlEEZNS1_34radix_sort_onesweep_global_offsetsIS3_Lb0EPhN6thrust23THRUST_200600_302600_NS10device_ptrIlEEjNS0_19identity_decomposerEEE10hipError_tT1_T2_PT3_SG_jT4_jjP12ihipStream_tbEUlT_E0_NS1_11comp_targetILNS1_3genE9ELNS1_11target_archE1100ELNS1_3gpuE3ELNS1_3repE0EEENS1_52radix_sort_onesweep_histogram_config_static_selectorELNS0_4arch9wavefront6targetE1EEEvSE_
	.p2align	8
	.type	_ZN7rocprim17ROCPRIM_400000_NS6detail17trampoline_kernelINS0_14default_configENS1_35radix_sort_onesweep_config_selectorIhlEEZNS1_34radix_sort_onesweep_global_offsetsIS3_Lb0EPhN6thrust23THRUST_200600_302600_NS10device_ptrIlEEjNS0_19identity_decomposerEEE10hipError_tT1_T2_PT3_SG_jT4_jjP12ihipStream_tbEUlT_E0_NS1_11comp_targetILNS1_3genE9ELNS1_11target_archE1100ELNS1_3gpuE3ELNS1_3repE0EEENS1_52radix_sort_onesweep_histogram_config_static_selectorELNS0_4arch9wavefront6targetE1EEEvSE_,@function
_ZN7rocprim17ROCPRIM_400000_NS6detail17trampoline_kernelINS0_14default_configENS1_35radix_sort_onesweep_config_selectorIhlEEZNS1_34radix_sort_onesweep_global_offsetsIS3_Lb0EPhN6thrust23THRUST_200600_302600_NS10device_ptrIlEEjNS0_19identity_decomposerEEE10hipError_tT1_T2_PT3_SG_jT4_jjP12ihipStream_tbEUlT_E0_NS1_11comp_targetILNS1_3genE9ELNS1_11target_archE1100ELNS1_3gpuE3ELNS1_3repE0EEENS1_52radix_sort_onesweep_histogram_config_static_selectorELNS0_4arch9wavefront6targetE1EEEvSE_: ; @_ZN7rocprim17ROCPRIM_400000_NS6detail17trampoline_kernelINS0_14default_configENS1_35radix_sort_onesweep_config_selectorIhlEEZNS1_34radix_sort_onesweep_global_offsetsIS3_Lb0EPhN6thrust23THRUST_200600_302600_NS10device_ptrIlEEjNS0_19identity_decomposerEEE10hipError_tT1_T2_PT3_SG_jT4_jjP12ihipStream_tbEUlT_E0_NS1_11comp_targetILNS1_3genE9ELNS1_11target_archE1100ELNS1_3gpuE3ELNS1_3repE0EEENS1_52radix_sort_onesweep_histogram_config_static_selectorELNS0_4arch9wavefront6targetE1EEEvSE_
; %bb.0:
	.section	.rodata,"a",@progbits
	.p2align	6, 0x0
	.amdhsa_kernel _ZN7rocprim17ROCPRIM_400000_NS6detail17trampoline_kernelINS0_14default_configENS1_35radix_sort_onesweep_config_selectorIhlEEZNS1_34radix_sort_onesweep_global_offsetsIS3_Lb0EPhN6thrust23THRUST_200600_302600_NS10device_ptrIlEEjNS0_19identity_decomposerEEE10hipError_tT1_T2_PT3_SG_jT4_jjP12ihipStream_tbEUlT_E0_NS1_11comp_targetILNS1_3genE9ELNS1_11target_archE1100ELNS1_3gpuE3ELNS1_3repE0EEENS1_52radix_sort_onesweep_histogram_config_static_selectorELNS0_4arch9wavefront6targetE1EEEvSE_
		.amdhsa_group_segment_fixed_size 0
		.amdhsa_private_segment_fixed_size 0
		.amdhsa_kernarg_size 8
		.amdhsa_user_sgpr_count 6
		.amdhsa_user_sgpr_private_segment_buffer 1
		.amdhsa_user_sgpr_dispatch_ptr 0
		.amdhsa_user_sgpr_queue_ptr 0
		.amdhsa_user_sgpr_kernarg_segment_ptr 1
		.amdhsa_user_sgpr_dispatch_id 0
		.amdhsa_user_sgpr_flat_scratch_init 0
		.amdhsa_user_sgpr_kernarg_preload_length 0
		.amdhsa_user_sgpr_kernarg_preload_offset 0
		.amdhsa_user_sgpr_private_segment_size 0
		.amdhsa_uses_dynamic_stack 0
		.amdhsa_system_sgpr_private_segment_wavefront_offset 0
		.amdhsa_system_sgpr_workgroup_id_x 1
		.amdhsa_system_sgpr_workgroup_id_y 0
		.amdhsa_system_sgpr_workgroup_id_z 0
		.amdhsa_system_sgpr_workgroup_info 0
		.amdhsa_system_vgpr_workitem_id 0
		.amdhsa_next_free_vgpr 1
		.amdhsa_next_free_sgpr 0
		.amdhsa_accum_offset 4
		.amdhsa_reserve_vcc 0
		.amdhsa_reserve_flat_scratch 0
		.amdhsa_float_round_mode_32 0
		.amdhsa_float_round_mode_16_64 0
		.amdhsa_float_denorm_mode_32 3
		.amdhsa_float_denorm_mode_16_64 3
		.amdhsa_dx10_clamp 1
		.amdhsa_ieee_mode 1
		.amdhsa_fp16_overflow 0
		.amdhsa_tg_split 0
		.amdhsa_exception_fp_ieee_invalid_op 0
		.amdhsa_exception_fp_denorm_src 0
		.amdhsa_exception_fp_ieee_div_zero 0
		.amdhsa_exception_fp_ieee_overflow 0
		.amdhsa_exception_fp_ieee_underflow 0
		.amdhsa_exception_fp_ieee_inexact 0
		.amdhsa_exception_int_div_zero 0
	.end_amdhsa_kernel
	.section	.text._ZN7rocprim17ROCPRIM_400000_NS6detail17trampoline_kernelINS0_14default_configENS1_35radix_sort_onesweep_config_selectorIhlEEZNS1_34radix_sort_onesweep_global_offsetsIS3_Lb0EPhN6thrust23THRUST_200600_302600_NS10device_ptrIlEEjNS0_19identity_decomposerEEE10hipError_tT1_T2_PT3_SG_jT4_jjP12ihipStream_tbEUlT_E0_NS1_11comp_targetILNS1_3genE9ELNS1_11target_archE1100ELNS1_3gpuE3ELNS1_3repE0EEENS1_52radix_sort_onesweep_histogram_config_static_selectorELNS0_4arch9wavefront6targetE1EEEvSE_,"axG",@progbits,_ZN7rocprim17ROCPRIM_400000_NS6detail17trampoline_kernelINS0_14default_configENS1_35radix_sort_onesweep_config_selectorIhlEEZNS1_34radix_sort_onesweep_global_offsetsIS3_Lb0EPhN6thrust23THRUST_200600_302600_NS10device_ptrIlEEjNS0_19identity_decomposerEEE10hipError_tT1_T2_PT3_SG_jT4_jjP12ihipStream_tbEUlT_E0_NS1_11comp_targetILNS1_3genE9ELNS1_11target_archE1100ELNS1_3gpuE3ELNS1_3repE0EEENS1_52radix_sort_onesweep_histogram_config_static_selectorELNS0_4arch9wavefront6targetE1EEEvSE_,comdat
.Lfunc_end253:
	.size	_ZN7rocprim17ROCPRIM_400000_NS6detail17trampoline_kernelINS0_14default_configENS1_35radix_sort_onesweep_config_selectorIhlEEZNS1_34radix_sort_onesweep_global_offsetsIS3_Lb0EPhN6thrust23THRUST_200600_302600_NS10device_ptrIlEEjNS0_19identity_decomposerEEE10hipError_tT1_T2_PT3_SG_jT4_jjP12ihipStream_tbEUlT_E0_NS1_11comp_targetILNS1_3genE9ELNS1_11target_archE1100ELNS1_3gpuE3ELNS1_3repE0EEENS1_52radix_sort_onesweep_histogram_config_static_selectorELNS0_4arch9wavefront6targetE1EEEvSE_, .Lfunc_end253-_ZN7rocprim17ROCPRIM_400000_NS6detail17trampoline_kernelINS0_14default_configENS1_35radix_sort_onesweep_config_selectorIhlEEZNS1_34radix_sort_onesweep_global_offsetsIS3_Lb0EPhN6thrust23THRUST_200600_302600_NS10device_ptrIlEEjNS0_19identity_decomposerEEE10hipError_tT1_T2_PT3_SG_jT4_jjP12ihipStream_tbEUlT_E0_NS1_11comp_targetILNS1_3genE9ELNS1_11target_archE1100ELNS1_3gpuE3ELNS1_3repE0EEENS1_52radix_sort_onesweep_histogram_config_static_selectorELNS0_4arch9wavefront6targetE1EEEvSE_
                                        ; -- End function
	.section	.AMDGPU.csdata,"",@progbits
; Kernel info:
; codeLenInByte = 0
; NumSgprs: 4
; NumVgprs: 0
; NumAgprs: 0
; TotalNumVgprs: 0
; ScratchSize: 0
; MemoryBound: 0
; FloatMode: 240
; IeeeMode: 1
; LDSByteSize: 0 bytes/workgroup (compile time only)
; SGPRBlocks: 0
; VGPRBlocks: 0
; NumSGPRsForWavesPerEU: 4
; NumVGPRsForWavesPerEU: 1
; AccumOffset: 4
; Occupancy: 8
; WaveLimiterHint : 0
; COMPUTE_PGM_RSRC2:SCRATCH_EN: 0
; COMPUTE_PGM_RSRC2:USER_SGPR: 6
; COMPUTE_PGM_RSRC2:TRAP_HANDLER: 0
; COMPUTE_PGM_RSRC2:TGID_X_EN: 1
; COMPUTE_PGM_RSRC2:TGID_Y_EN: 0
; COMPUTE_PGM_RSRC2:TGID_Z_EN: 0
; COMPUTE_PGM_RSRC2:TIDIG_COMP_CNT: 0
; COMPUTE_PGM_RSRC3_GFX90A:ACCUM_OFFSET: 0
; COMPUTE_PGM_RSRC3_GFX90A:TG_SPLIT: 0
	.section	.text._ZN7rocprim17ROCPRIM_400000_NS6detail17trampoline_kernelINS0_14default_configENS1_35radix_sort_onesweep_config_selectorIhlEEZNS1_34radix_sort_onesweep_global_offsetsIS3_Lb0EPhN6thrust23THRUST_200600_302600_NS10device_ptrIlEEjNS0_19identity_decomposerEEE10hipError_tT1_T2_PT3_SG_jT4_jjP12ihipStream_tbEUlT_E0_NS1_11comp_targetILNS1_3genE8ELNS1_11target_archE1030ELNS1_3gpuE2ELNS1_3repE0EEENS1_52radix_sort_onesweep_histogram_config_static_selectorELNS0_4arch9wavefront6targetE1EEEvSE_,"axG",@progbits,_ZN7rocprim17ROCPRIM_400000_NS6detail17trampoline_kernelINS0_14default_configENS1_35radix_sort_onesweep_config_selectorIhlEEZNS1_34radix_sort_onesweep_global_offsetsIS3_Lb0EPhN6thrust23THRUST_200600_302600_NS10device_ptrIlEEjNS0_19identity_decomposerEEE10hipError_tT1_T2_PT3_SG_jT4_jjP12ihipStream_tbEUlT_E0_NS1_11comp_targetILNS1_3genE8ELNS1_11target_archE1030ELNS1_3gpuE2ELNS1_3repE0EEENS1_52radix_sort_onesweep_histogram_config_static_selectorELNS0_4arch9wavefront6targetE1EEEvSE_,comdat
	.protected	_ZN7rocprim17ROCPRIM_400000_NS6detail17trampoline_kernelINS0_14default_configENS1_35radix_sort_onesweep_config_selectorIhlEEZNS1_34radix_sort_onesweep_global_offsetsIS3_Lb0EPhN6thrust23THRUST_200600_302600_NS10device_ptrIlEEjNS0_19identity_decomposerEEE10hipError_tT1_T2_PT3_SG_jT4_jjP12ihipStream_tbEUlT_E0_NS1_11comp_targetILNS1_3genE8ELNS1_11target_archE1030ELNS1_3gpuE2ELNS1_3repE0EEENS1_52radix_sort_onesweep_histogram_config_static_selectorELNS0_4arch9wavefront6targetE1EEEvSE_ ; -- Begin function _ZN7rocprim17ROCPRIM_400000_NS6detail17trampoline_kernelINS0_14default_configENS1_35radix_sort_onesweep_config_selectorIhlEEZNS1_34radix_sort_onesweep_global_offsetsIS3_Lb0EPhN6thrust23THRUST_200600_302600_NS10device_ptrIlEEjNS0_19identity_decomposerEEE10hipError_tT1_T2_PT3_SG_jT4_jjP12ihipStream_tbEUlT_E0_NS1_11comp_targetILNS1_3genE8ELNS1_11target_archE1030ELNS1_3gpuE2ELNS1_3repE0EEENS1_52radix_sort_onesweep_histogram_config_static_selectorELNS0_4arch9wavefront6targetE1EEEvSE_
	.globl	_ZN7rocprim17ROCPRIM_400000_NS6detail17trampoline_kernelINS0_14default_configENS1_35radix_sort_onesweep_config_selectorIhlEEZNS1_34radix_sort_onesweep_global_offsetsIS3_Lb0EPhN6thrust23THRUST_200600_302600_NS10device_ptrIlEEjNS0_19identity_decomposerEEE10hipError_tT1_T2_PT3_SG_jT4_jjP12ihipStream_tbEUlT_E0_NS1_11comp_targetILNS1_3genE8ELNS1_11target_archE1030ELNS1_3gpuE2ELNS1_3repE0EEENS1_52radix_sort_onesweep_histogram_config_static_selectorELNS0_4arch9wavefront6targetE1EEEvSE_
	.p2align	8
	.type	_ZN7rocprim17ROCPRIM_400000_NS6detail17trampoline_kernelINS0_14default_configENS1_35radix_sort_onesweep_config_selectorIhlEEZNS1_34radix_sort_onesweep_global_offsetsIS3_Lb0EPhN6thrust23THRUST_200600_302600_NS10device_ptrIlEEjNS0_19identity_decomposerEEE10hipError_tT1_T2_PT3_SG_jT4_jjP12ihipStream_tbEUlT_E0_NS1_11comp_targetILNS1_3genE8ELNS1_11target_archE1030ELNS1_3gpuE2ELNS1_3repE0EEENS1_52radix_sort_onesweep_histogram_config_static_selectorELNS0_4arch9wavefront6targetE1EEEvSE_,@function
_ZN7rocprim17ROCPRIM_400000_NS6detail17trampoline_kernelINS0_14default_configENS1_35radix_sort_onesweep_config_selectorIhlEEZNS1_34radix_sort_onesweep_global_offsetsIS3_Lb0EPhN6thrust23THRUST_200600_302600_NS10device_ptrIlEEjNS0_19identity_decomposerEEE10hipError_tT1_T2_PT3_SG_jT4_jjP12ihipStream_tbEUlT_E0_NS1_11comp_targetILNS1_3genE8ELNS1_11target_archE1030ELNS1_3gpuE2ELNS1_3repE0EEENS1_52radix_sort_onesweep_histogram_config_static_selectorELNS0_4arch9wavefront6targetE1EEEvSE_: ; @_ZN7rocprim17ROCPRIM_400000_NS6detail17trampoline_kernelINS0_14default_configENS1_35radix_sort_onesweep_config_selectorIhlEEZNS1_34radix_sort_onesweep_global_offsetsIS3_Lb0EPhN6thrust23THRUST_200600_302600_NS10device_ptrIlEEjNS0_19identity_decomposerEEE10hipError_tT1_T2_PT3_SG_jT4_jjP12ihipStream_tbEUlT_E0_NS1_11comp_targetILNS1_3genE8ELNS1_11target_archE1030ELNS1_3gpuE2ELNS1_3repE0EEENS1_52radix_sort_onesweep_histogram_config_static_selectorELNS0_4arch9wavefront6targetE1EEEvSE_
; %bb.0:
	.section	.rodata,"a",@progbits
	.p2align	6, 0x0
	.amdhsa_kernel _ZN7rocprim17ROCPRIM_400000_NS6detail17trampoline_kernelINS0_14default_configENS1_35radix_sort_onesweep_config_selectorIhlEEZNS1_34radix_sort_onesweep_global_offsetsIS3_Lb0EPhN6thrust23THRUST_200600_302600_NS10device_ptrIlEEjNS0_19identity_decomposerEEE10hipError_tT1_T2_PT3_SG_jT4_jjP12ihipStream_tbEUlT_E0_NS1_11comp_targetILNS1_3genE8ELNS1_11target_archE1030ELNS1_3gpuE2ELNS1_3repE0EEENS1_52radix_sort_onesweep_histogram_config_static_selectorELNS0_4arch9wavefront6targetE1EEEvSE_
		.amdhsa_group_segment_fixed_size 0
		.amdhsa_private_segment_fixed_size 0
		.amdhsa_kernarg_size 8
		.amdhsa_user_sgpr_count 6
		.amdhsa_user_sgpr_private_segment_buffer 1
		.amdhsa_user_sgpr_dispatch_ptr 0
		.amdhsa_user_sgpr_queue_ptr 0
		.amdhsa_user_sgpr_kernarg_segment_ptr 1
		.amdhsa_user_sgpr_dispatch_id 0
		.amdhsa_user_sgpr_flat_scratch_init 0
		.amdhsa_user_sgpr_kernarg_preload_length 0
		.amdhsa_user_sgpr_kernarg_preload_offset 0
		.amdhsa_user_sgpr_private_segment_size 0
		.amdhsa_uses_dynamic_stack 0
		.amdhsa_system_sgpr_private_segment_wavefront_offset 0
		.amdhsa_system_sgpr_workgroup_id_x 1
		.amdhsa_system_sgpr_workgroup_id_y 0
		.amdhsa_system_sgpr_workgroup_id_z 0
		.amdhsa_system_sgpr_workgroup_info 0
		.amdhsa_system_vgpr_workitem_id 0
		.amdhsa_next_free_vgpr 1
		.amdhsa_next_free_sgpr 0
		.amdhsa_accum_offset 4
		.amdhsa_reserve_vcc 0
		.amdhsa_reserve_flat_scratch 0
		.amdhsa_float_round_mode_32 0
		.amdhsa_float_round_mode_16_64 0
		.amdhsa_float_denorm_mode_32 3
		.amdhsa_float_denorm_mode_16_64 3
		.amdhsa_dx10_clamp 1
		.amdhsa_ieee_mode 1
		.amdhsa_fp16_overflow 0
		.amdhsa_tg_split 0
		.amdhsa_exception_fp_ieee_invalid_op 0
		.amdhsa_exception_fp_denorm_src 0
		.amdhsa_exception_fp_ieee_div_zero 0
		.amdhsa_exception_fp_ieee_overflow 0
		.amdhsa_exception_fp_ieee_underflow 0
		.amdhsa_exception_fp_ieee_inexact 0
		.amdhsa_exception_int_div_zero 0
	.end_amdhsa_kernel
	.section	.text._ZN7rocprim17ROCPRIM_400000_NS6detail17trampoline_kernelINS0_14default_configENS1_35radix_sort_onesweep_config_selectorIhlEEZNS1_34radix_sort_onesweep_global_offsetsIS3_Lb0EPhN6thrust23THRUST_200600_302600_NS10device_ptrIlEEjNS0_19identity_decomposerEEE10hipError_tT1_T2_PT3_SG_jT4_jjP12ihipStream_tbEUlT_E0_NS1_11comp_targetILNS1_3genE8ELNS1_11target_archE1030ELNS1_3gpuE2ELNS1_3repE0EEENS1_52radix_sort_onesweep_histogram_config_static_selectorELNS0_4arch9wavefront6targetE1EEEvSE_,"axG",@progbits,_ZN7rocprim17ROCPRIM_400000_NS6detail17trampoline_kernelINS0_14default_configENS1_35radix_sort_onesweep_config_selectorIhlEEZNS1_34radix_sort_onesweep_global_offsetsIS3_Lb0EPhN6thrust23THRUST_200600_302600_NS10device_ptrIlEEjNS0_19identity_decomposerEEE10hipError_tT1_T2_PT3_SG_jT4_jjP12ihipStream_tbEUlT_E0_NS1_11comp_targetILNS1_3genE8ELNS1_11target_archE1030ELNS1_3gpuE2ELNS1_3repE0EEENS1_52radix_sort_onesweep_histogram_config_static_selectorELNS0_4arch9wavefront6targetE1EEEvSE_,comdat
.Lfunc_end254:
	.size	_ZN7rocprim17ROCPRIM_400000_NS6detail17trampoline_kernelINS0_14default_configENS1_35radix_sort_onesweep_config_selectorIhlEEZNS1_34radix_sort_onesweep_global_offsetsIS3_Lb0EPhN6thrust23THRUST_200600_302600_NS10device_ptrIlEEjNS0_19identity_decomposerEEE10hipError_tT1_T2_PT3_SG_jT4_jjP12ihipStream_tbEUlT_E0_NS1_11comp_targetILNS1_3genE8ELNS1_11target_archE1030ELNS1_3gpuE2ELNS1_3repE0EEENS1_52radix_sort_onesweep_histogram_config_static_selectorELNS0_4arch9wavefront6targetE1EEEvSE_, .Lfunc_end254-_ZN7rocprim17ROCPRIM_400000_NS6detail17trampoline_kernelINS0_14default_configENS1_35radix_sort_onesweep_config_selectorIhlEEZNS1_34radix_sort_onesweep_global_offsetsIS3_Lb0EPhN6thrust23THRUST_200600_302600_NS10device_ptrIlEEjNS0_19identity_decomposerEEE10hipError_tT1_T2_PT3_SG_jT4_jjP12ihipStream_tbEUlT_E0_NS1_11comp_targetILNS1_3genE8ELNS1_11target_archE1030ELNS1_3gpuE2ELNS1_3repE0EEENS1_52radix_sort_onesweep_histogram_config_static_selectorELNS0_4arch9wavefront6targetE1EEEvSE_
                                        ; -- End function
	.section	.AMDGPU.csdata,"",@progbits
; Kernel info:
; codeLenInByte = 0
; NumSgprs: 4
; NumVgprs: 0
; NumAgprs: 0
; TotalNumVgprs: 0
; ScratchSize: 0
; MemoryBound: 0
; FloatMode: 240
; IeeeMode: 1
; LDSByteSize: 0 bytes/workgroup (compile time only)
; SGPRBlocks: 0
; VGPRBlocks: 0
; NumSGPRsForWavesPerEU: 4
; NumVGPRsForWavesPerEU: 1
; AccumOffset: 4
; Occupancy: 8
; WaveLimiterHint : 0
; COMPUTE_PGM_RSRC2:SCRATCH_EN: 0
; COMPUTE_PGM_RSRC2:USER_SGPR: 6
; COMPUTE_PGM_RSRC2:TRAP_HANDLER: 0
; COMPUTE_PGM_RSRC2:TGID_X_EN: 1
; COMPUTE_PGM_RSRC2:TGID_Y_EN: 0
; COMPUTE_PGM_RSRC2:TGID_Z_EN: 0
; COMPUTE_PGM_RSRC2:TIDIG_COMP_CNT: 0
; COMPUTE_PGM_RSRC3_GFX90A:ACCUM_OFFSET: 0
; COMPUTE_PGM_RSRC3_GFX90A:TG_SPLIT: 0
	.section	.text._ZN7rocprim17ROCPRIM_400000_NS6detail17trampoline_kernelINS0_14default_configENS1_25transform_config_selectorIlLb0EEEZNS1_14transform_implILb0ES3_S5_N6thrust23THRUST_200600_302600_NS10device_ptrIlEEPlNS0_8identityIlEEEE10hipError_tT2_T3_mT4_P12ihipStream_tbEUlT_E_NS1_11comp_targetILNS1_3genE0ELNS1_11target_archE4294967295ELNS1_3gpuE0ELNS1_3repE0EEENS1_30default_config_static_selectorELNS0_4arch9wavefront6targetE1EEEvT1_,"axG",@progbits,_ZN7rocprim17ROCPRIM_400000_NS6detail17trampoline_kernelINS0_14default_configENS1_25transform_config_selectorIlLb0EEEZNS1_14transform_implILb0ES3_S5_N6thrust23THRUST_200600_302600_NS10device_ptrIlEEPlNS0_8identityIlEEEE10hipError_tT2_T3_mT4_P12ihipStream_tbEUlT_E_NS1_11comp_targetILNS1_3genE0ELNS1_11target_archE4294967295ELNS1_3gpuE0ELNS1_3repE0EEENS1_30default_config_static_selectorELNS0_4arch9wavefront6targetE1EEEvT1_,comdat
	.protected	_ZN7rocprim17ROCPRIM_400000_NS6detail17trampoline_kernelINS0_14default_configENS1_25transform_config_selectorIlLb0EEEZNS1_14transform_implILb0ES3_S5_N6thrust23THRUST_200600_302600_NS10device_ptrIlEEPlNS0_8identityIlEEEE10hipError_tT2_T3_mT4_P12ihipStream_tbEUlT_E_NS1_11comp_targetILNS1_3genE0ELNS1_11target_archE4294967295ELNS1_3gpuE0ELNS1_3repE0EEENS1_30default_config_static_selectorELNS0_4arch9wavefront6targetE1EEEvT1_ ; -- Begin function _ZN7rocprim17ROCPRIM_400000_NS6detail17trampoline_kernelINS0_14default_configENS1_25transform_config_selectorIlLb0EEEZNS1_14transform_implILb0ES3_S5_N6thrust23THRUST_200600_302600_NS10device_ptrIlEEPlNS0_8identityIlEEEE10hipError_tT2_T3_mT4_P12ihipStream_tbEUlT_E_NS1_11comp_targetILNS1_3genE0ELNS1_11target_archE4294967295ELNS1_3gpuE0ELNS1_3repE0EEENS1_30default_config_static_selectorELNS0_4arch9wavefront6targetE1EEEvT1_
	.globl	_ZN7rocprim17ROCPRIM_400000_NS6detail17trampoline_kernelINS0_14default_configENS1_25transform_config_selectorIlLb0EEEZNS1_14transform_implILb0ES3_S5_N6thrust23THRUST_200600_302600_NS10device_ptrIlEEPlNS0_8identityIlEEEE10hipError_tT2_T3_mT4_P12ihipStream_tbEUlT_E_NS1_11comp_targetILNS1_3genE0ELNS1_11target_archE4294967295ELNS1_3gpuE0ELNS1_3repE0EEENS1_30default_config_static_selectorELNS0_4arch9wavefront6targetE1EEEvT1_
	.p2align	8
	.type	_ZN7rocprim17ROCPRIM_400000_NS6detail17trampoline_kernelINS0_14default_configENS1_25transform_config_selectorIlLb0EEEZNS1_14transform_implILb0ES3_S5_N6thrust23THRUST_200600_302600_NS10device_ptrIlEEPlNS0_8identityIlEEEE10hipError_tT2_T3_mT4_P12ihipStream_tbEUlT_E_NS1_11comp_targetILNS1_3genE0ELNS1_11target_archE4294967295ELNS1_3gpuE0ELNS1_3repE0EEENS1_30default_config_static_selectorELNS0_4arch9wavefront6targetE1EEEvT1_,@function
_ZN7rocprim17ROCPRIM_400000_NS6detail17trampoline_kernelINS0_14default_configENS1_25transform_config_selectorIlLb0EEEZNS1_14transform_implILb0ES3_S5_N6thrust23THRUST_200600_302600_NS10device_ptrIlEEPlNS0_8identityIlEEEE10hipError_tT2_T3_mT4_P12ihipStream_tbEUlT_E_NS1_11comp_targetILNS1_3genE0ELNS1_11target_archE4294967295ELNS1_3gpuE0ELNS1_3repE0EEENS1_30default_config_static_selectorELNS0_4arch9wavefront6targetE1EEEvT1_: ; @_ZN7rocprim17ROCPRIM_400000_NS6detail17trampoline_kernelINS0_14default_configENS1_25transform_config_selectorIlLb0EEEZNS1_14transform_implILb0ES3_S5_N6thrust23THRUST_200600_302600_NS10device_ptrIlEEPlNS0_8identityIlEEEE10hipError_tT2_T3_mT4_P12ihipStream_tbEUlT_E_NS1_11comp_targetILNS1_3genE0ELNS1_11target_archE4294967295ELNS1_3gpuE0ELNS1_3repE0EEENS1_30default_config_static_selectorELNS0_4arch9wavefront6targetE1EEEvT1_
; %bb.0:
	.section	.rodata,"a",@progbits
	.p2align	6, 0x0
	.amdhsa_kernel _ZN7rocprim17ROCPRIM_400000_NS6detail17trampoline_kernelINS0_14default_configENS1_25transform_config_selectorIlLb0EEEZNS1_14transform_implILb0ES3_S5_N6thrust23THRUST_200600_302600_NS10device_ptrIlEEPlNS0_8identityIlEEEE10hipError_tT2_T3_mT4_P12ihipStream_tbEUlT_E_NS1_11comp_targetILNS1_3genE0ELNS1_11target_archE4294967295ELNS1_3gpuE0ELNS1_3repE0EEENS1_30default_config_static_selectorELNS0_4arch9wavefront6targetE1EEEvT1_
		.amdhsa_group_segment_fixed_size 0
		.amdhsa_private_segment_fixed_size 0
		.amdhsa_kernarg_size 40
		.amdhsa_user_sgpr_count 6
		.amdhsa_user_sgpr_private_segment_buffer 1
		.amdhsa_user_sgpr_dispatch_ptr 0
		.amdhsa_user_sgpr_queue_ptr 0
		.amdhsa_user_sgpr_kernarg_segment_ptr 1
		.amdhsa_user_sgpr_dispatch_id 0
		.amdhsa_user_sgpr_flat_scratch_init 0
		.amdhsa_user_sgpr_kernarg_preload_length 0
		.amdhsa_user_sgpr_kernarg_preload_offset 0
		.amdhsa_user_sgpr_private_segment_size 0
		.amdhsa_uses_dynamic_stack 0
		.amdhsa_system_sgpr_private_segment_wavefront_offset 0
		.amdhsa_system_sgpr_workgroup_id_x 1
		.amdhsa_system_sgpr_workgroup_id_y 0
		.amdhsa_system_sgpr_workgroup_id_z 0
		.amdhsa_system_sgpr_workgroup_info 0
		.amdhsa_system_vgpr_workitem_id 0
		.amdhsa_next_free_vgpr 1
		.amdhsa_next_free_sgpr 0
		.amdhsa_accum_offset 4
		.amdhsa_reserve_vcc 0
		.amdhsa_reserve_flat_scratch 0
		.amdhsa_float_round_mode_32 0
		.amdhsa_float_round_mode_16_64 0
		.amdhsa_float_denorm_mode_32 3
		.amdhsa_float_denorm_mode_16_64 3
		.amdhsa_dx10_clamp 1
		.amdhsa_ieee_mode 1
		.amdhsa_fp16_overflow 0
		.amdhsa_tg_split 0
		.amdhsa_exception_fp_ieee_invalid_op 0
		.amdhsa_exception_fp_denorm_src 0
		.amdhsa_exception_fp_ieee_div_zero 0
		.amdhsa_exception_fp_ieee_overflow 0
		.amdhsa_exception_fp_ieee_underflow 0
		.amdhsa_exception_fp_ieee_inexact 0
		.amdhsa_exception_int_div_zero 0
	.end_amdhsa_kernel
	.section	.text._ZN7rocprim17ROCPRIM_400000_NS6detail17trampoline_kernelINS0_14default_configENS1_25transform_config_selectorIlLb0EEEZNS1_14transform_implILb0ES3_S5_N6thrust23THRUST_200600_302600_NS10device_ptrIlEEPlNS0_8identityIlEEEE10hipError_tT2_T3_mT4_P12ihipStream_tbEUlT_E_NS1_11comp_targetILNS1_3genE0ELNS1_11target_archE4294967295ELNS1_3gpuE0ELNS1_3repE0EEENS1_30default_config_static_selectorELNS0_4arch9wavefront6targetE1EEEvT1_,"axG",@progbits,_ZN7rocprim17ROCPRIM_400000_NS6detail17trampoline_kernelINS0_14default_configENS1_25transform_config_selectorIlLb0EEEZNS1_14transform_implILb0ES3_S5_N6thrust23THRUST_200600_302600_NS10device_ptrIlEEPlNS0_8identityIlEEEE10hipError_tT2_T3_mT4_P12ihipStream_tbEUlT_E_NS1_11comp_targetILNS1_3genE0ELNS1_11target_archE4294967295ELNS1_3gpuE0ELNS1_3repE0EEENS1_30default_config_static_selectorELNS0_4arch9wavefront6targetE1EEEvT1_,comdat
.Lfunc_end255:
	.size	_ZN7rocprim17ROCPRIM_400000_NS6detail17trampoline_kernelINS0_14default_configENS1_25transform_config_selectorIlLb0EEEZNS1_14transform_implILb0ES3_S5_N6thrust23THRUST_200600_302600_NS10device_ptrIlEEPlNS0_8identityIlEEEE10hipError_tT2_T3_mT4_P12ihipStream_tbEUlT_E_NS1_11comp_targetILNS1_3genE0ELNS1_11target_archE4294967295ELNS1_3gpuE0ELNS1_3repE0EEENS1_30default_config_static_selectorELNS0_4arch9wavefront6targetE1EEEvT1_, .Lfunc_end255-_ZN7rocprim17ROCPRIM_400000_NS6detail17trampoline_kernelINS0_14default_configENS1_25transform_config_selectorIlLb0EEEZNS1_14transform_implILb0ES3_S5_N6thrust23THRUST_200600_302600_NS10device_ptrIlEEPlNS0_8identityIlEEEE10hipError_tT2_T3_mT4_P12ihipStream_tbEUlT_E_NS1_11comp_targetILNS1_3genE0ELNS1_11target_archE4294967295ELNS1_3gpuE0ELNS1_3repE0EEENS1_30default_config_static_selectorELNS0_4arch9wavefront6targetE1EEEvT1_
                                        ; -- End function
	.section	.AMDGPU.csdata,"",@progbits
; Kernel info:
; codeLenInByte = 0
; NumSgprs: 4
; NumVgprs: 0
; NumAgprs: 0
; TotalNumVgprs: 0
; ScratchSize: 0
; MemoryBound: 0
; FloatMode: 240
; IeeeMode: 1
; LDSByteSize: 0 bytes/workgroup (compile time only)
; SGPRBlocks: 0
; VGPRBlocks: 0
; NumSGPRsForWavesPerEU: 4
; NumVGPRsForWavesPerEU: 1
; AccumOffset: 4
; Occupancy: 8
; WaveLimiterHint : 0
; COMPUTE_PGM_RSRC2:SCRATCH_EN: 0
; COMPUTE_PGM_RSRC2:USER_SGPR: 6
; COMPUTE_PGM_RSRC2:TRAP_HANDLER: 0
; COMPUTE_PGM_RSRC2:TGID_X_EN: 1
; COMPUTE_PGM_RSRC2:TGID_Y_EN: 0
; COMPUTE_PGM_RSRC2:TGID_Z_EN: 0
; COMPUTE_PGM_RSRC2:TIDIG_COMP_CNT: 0
; COMPUTE_PGM_RSRC3_GFX90A:ACCUM_OFFSET: 0
; COMPUTE_PGM_RSRC3_GFX90A:TG_SPLIT: 0
	.section	.text._ZN7rocprim17ROCPRIM_400000_NS6detail17trampoline_kernelINS0_14default_configENS1_25transform_config_selectorIlLb0EEEZNS1_14transform_implILb0ES3_S5_N6thrust23THRUST_200600_302600_NS10device_ptrIlEEPlNS0_8identityIlEEEE10hipError_tT2_T3_mT4_P12ihipStream_tbEUlT_E_NS1_11comp_targetILNS1_3genE5ELNS1_11target_archE942ELNS1_3gpuE9ELNS1_3repE0EEENS1_30default_config_static_selectorELNS0_4arch9wavefront6targetE1EEEvT1_,"axG",@progbits,_ZN7rocprim17ROCPRIM_400000_NS6detail17trampoline_kernelINS0_14default_configENS1_25transform_config_selectorIlLb0EEEZNS1_14transform_implILb0ES3_S5_N6thrust23THRUST_200600_302600_NS10device_ptrIlEEPlNS0_8identityIlEEEE10hipError_tT2_T3_mT4_P12ihipStream_tbEUlT_E_NS1_11comp_targetILNS1_3genE5ELNS1_11target_archE942ELNS1_3gpuE9ELNS1_3repE0EEENS1_30default_config_static_selectorELNS0_4arch9wavefront6targetE1EEEvT1_,comdat
	.protected	_ZN7rocprim17ROCPRIM_400000_NS6detail17trampoline_kernelINS0_14default_configENS1_25transform_config_selectorIlLb0EEEZNS1_14transform_implILb0ES3_S5_N6thrust23THRUST_200600_302600_NS10device_ptrIlEEPlNS0_8identityIlEEEE10hipError_tT2_T3_mT4_P12ihipStream_tbEUlT_E_NS1_11comp_targetILNS1_3genE5ELNS1_11target_archE942ELNS1_3gpuE9ELNS1_3repE0EEENS1_30default_config_static_selectorELNS0_4arch9wavefront6targetE1EEEvT1_ ; -- Begin function _ZN7rocprim17ROCPRIM_400000_NS6detail17trampoline_kernelINS0_14default_configENS1_25transform_config_selectorIlLb0EEEZNS1_14transform_implILb0ES3_S5_N6thrust23THRUST_200600_302600_NS10device_ptrIlEEPlNS0_8identityIlEEEE10hipError_tT2_T3_mT4_P12ihipStream_tbEUlT_E_NS1_11comp_targetILNS1_3genE5ELNS1_11target_archE942ELNS1_3gpuE9ELNS1_3repE0EEENS1_30default_config_static_selectorELNS0_4arch9wavefront6targetE1EEEvT1_
	.globl	_ZN7rocprim17ROCPRIM_400000_NS6detail17trampoline_kernelINS0_14default_configENS1_25transform_config_selectorIlLb0EEEZNS1_14transform_implILb0ES3_S5_N6thrust23THRUST_200600_302600_NS10device_ptrIlEEPlNS0_8identityIlEEEE10hipError_tT2_T3_mT4_P12ihipStream_tbEUlT_E_NS1_11comp_targetILNS1_3genE5ELNS1_11target_archE942ELNS1_3gpuE9ELNS1_3repE0EEENS1_30default_config_static_selectorELNS0_4arch9wavefront6targetE1EEEvT1_
	.p2align	8
	.type	_ZN7rocprim17ROCPRIM_400000_NS6detail17trampoline_kernelINS0_14default_configENS1_25transform_config_selectorIlLb0EEEZNS1_14transform_implILb0ES3_S5_N6thrust23THRUST_200600_302600_NS10device_ptrIlEEPlNS0_8identityIlEEEE10hipError_tT2_T3_mT4_P12ihipStream_tbEUlT_E_NS1_11comp_targetILNS1_3genE5ELNS1_11target_archE942ELNS1_3gpuE9ELNS1_3repE0EEENS1_30default_config_static_selectorELNS0_4arch9wavefront6targetE1EEEvT1_,@function
_ZN7rocprim17ROCPRIM_400000_NS6detail17trampoline_kernelINS0_14default_configENS1_25transform_config_selectorIlLb0EEEZNS1_14transform_implILb0ES3_S5_N6thrust23THRUST_200600_302600_NS10device_ptrIlEEPlNS0_8identityIlEEEE10hipError_tT2_T3_mT4_P12ihipStream_tbEUlT_E_NS1_11comp_targetILNS1_3genE5ELNS1_11target_archE942ELNS1_3gpuE9ELNS1_3repE0EEENS1_30default_config_static_selectorELNS0_4arch9wavefront6targetE1EEEvT1_: ; @_ZN7rocprim17ROCPRIM_400000_NS6detail17trampoline_kernelINS0_14default_configENS1_25transform_config_selectorIlLb0EEEZNS1_14transform_implILb0ES3_S5_N6thrust23THRUST_200600_302600_NS10device_ptrIlEEPlNS0_8identityIlEEEE10hipError_tT2_T3_mT4_P12ihipStream_tbEUlT_E_NS1_11comp_targetILNS1_3genE5ELNS1_11target_archE942ELNS1_3gpuE9ELNS1_3repE0EEENS1_30default_config_static_selectorELNS0_4arch9wavefront6targetE1EEEvT1_
; %bb.0:
	.section	.rodata,"a",@progbits
	.p2align	6, 0x0
	.amdhsa_kernel _ZN7rocprim17ROCPRIM_400000_NS6detail17trampoline_kernelINS0_14default_configENS1_25transform_config_selectorIlLb0EEEZNS1_14transform_implILb0ES3_S5_N6thrust23THRUST_200600_302600_NS10device_ptrIlEEPlNS0_8identityIlEEEE10hipError_tT2_T3_mT4_P12ihipStream_tbEUlT_E_NS1_11comp_targetILNS1_3genE5ELNS1_11target_archE942ELNS1_3gpuE9ELNS1_3repE0EEENS1_30default_config_static_selectorELNS0_4arch9wavefront6targetE1EEEvT1_
		.amdhsa_group_segment_fixed_size 0
		.amdhsa_private_segment_fixed_size 0
		.amdhsa_kernarg_size 40
		.amdhsa_user_sgpr_count 6
		.amdhsa_user_sgpr_private_segment_buffer 1
		.amdhsa_user_sgpr_dispatch_ptr 0
		.amdhsa_user_sgpr_queue_ptr 0
		.amdhsa_user_sgpr_kernarg_segment_ptr 1
		.amdhsa_user_sgpr_dispatch_id 0
		.amdhsa_user_sgpr_flat_scratch_init 0
		.amdhsa_user_sgpr_kernarg_preload_length 0
		.amdhsa_user_sgpr_kernarg_preload_offset 0
		.amdhsa_user_sgpr_private_segment_size 0
		.amdhsa_uses_dynamic_stack 0
		.amdhsa_system_sgpr_private_segment_wavefront_offset 0
		.amdhsa_system_sgpr_workgroup_id_x 1
		.amdhsa_system_sgpr_workgroup_id_y 0
		.amdhsa_system_sgpr_workgroup_id_z 0
		.amdhsa_system_sgpr_workgroup_info 0
		.amdhsa_system_vgpr_workitem_id 0
		.amdhsa_next_free_vgpr 1
		.amdhsa_next_free_sgpr 0
		.amdhsa_accum_offset 4
		.amdhsa_reserve_vcc 0
		.amdhsa_reserve_flat_scratch 0
		.amdhsa_float_round_mode_32 0
		.amdhsa_float_round_mode_16_64 0
		.amdhsa_float_denorm_mode_32 3
		.amdhsa_float_denorm_mode_16_64 3
		.amdhsa_dx10_clamp 1
		.amdhsa_ieee_mode 1
		.amdhsa_fp16_overflow 0
		.amdhsa_tg_split 0
		.amdhsa_exception_fp_ieee_invalid_op 0
		.amdhsa_exception_fp_denorm_src 0
		.amdhsa_exception_fp_ieee_div_zero 0
		.amdhsa_exception_fp_ieee_overflow 0
		.amdhsa_exception_fp_ieee_underflow 0
		.amdhsa_exception_fp_ieee_inexact 0
		.amdhsa_exception_int_div_zero 0
	.end_amdhsa_kernel
	.section	.text._ZN7rocprim17ROCPRIM_400000_NS6detail17trampoline_kernelINS0_14default_configENS1_25transform_config_selectorIlLb0EEEZNS1_14transform_implILb0ES3_S5_N6thrust23THRUST_200600_302600_NS10device_ptrIlEEPlNS0_8identityIlEEEE10hipError_tT2_T3_mT4_P12ihipStream_tbEUlT_E_NS1_11comp_targetILNS1_3genE5ELNS1_11target_archE942ELNS1_3gpuE9ELNS1_3repE0EEENS1_30default_config_static_selectorELNS0_4arch9wavefront6targetE1EEEvT1_,"axG",@progbits,_ZN7rocprim17ROCPRIM_400000_NS6detail17trampoline_kernelINS0_14default_configENS1_25transform_config_selectorIlLb0EEEZNS1_14transform_implILb0ES3_S5_N6thrust23THRUST_200600_302600_NS10device_ptrIlEEPlNS0_8identityIlEEEE10hipError_tT2_T3_mT4_P12ihipStream_tbEUlT_E_NS1_11comp_targetILNS1_3genE5ELNS1_11target_archE942ELNS1_3gpuE9ELNS1_3repE0EEENS1_30default_config_static_selectorELNS0_4arch9wavefront6targetE1EEEvT1_,comdat
.Lfunc_end256:
	.size	_ZN7rocprim17ROCPRIM_400000_NS6detail17trampoline_kernelINS0_14default_configENS1_25transform_config_selectorIlLb0EEEZNS1_14transform_implILb0ES3_S5_N6thrust23THRUST_200600_302600_NS10device_ptrIlEEPlNS0_8identityIlEEEE10hipError_tT2_T3_mT4_P12ihipStream_tbEUlT_E_NS1_11comp_targetILNS1_3genE5ELNS1_11target_archE942ELNS1_3gpuE9ELNS1_3repE0EEENS1_30default_config_static_selectorELNS0_4arch9wavefront6targetE1EEEvT1_, .Lfunc_end256-_ZN7rocprim17ROCPRIM_400000_NS6detail17trampoline_kernelINS0_14default_configENS1_25transform_config_selectorIlLb0EEEZNS1_14transform_implILb0ES3_S5_N6thrust23THRUST_200600_302600_NS10device_ptrIlEEPlNS0_8identityIlEEEE10hipError_tT2_T3_mT4_P12ihipStream_tbEUlT_E_NS1_11comp_targetILNS1_3genE5ELNS1_11target_archE942ELNS1_3gpuE9ELNS1_3repE0EEENS1_30default_config_static_selectorELNS0_4arch9wavefront6targetE1EEEvT1_
                                        ; -- End function
	.section	.AMDGPU.csdata,"",@progbits
; Kernel info:
; codeLenInByte = 0
; NumSgprs: 4
; NumVgprs: 0
; NumAgprs: 0
; TotalNumVgprs: 0
; ScratchSize: 0
; MemoryBound: 0
; FloatMode: 240
; IeeeMode: 1
; LDSByteSize: 0 bytes/workgroup (compile time only)
; SGPRBlocks: 0
; VGPRBlocks: 0
; NumSGPRsForWavesPerEU: 4
; NumVGPRsForWavesPerEU: 1
; AccumOffset: 4
; Occupancy: 8
; WaveLimiterHint : 0
; COMPUTE_PGM_RSRC2:SCRATCH_EN: 0
; COMPUTE_PGM_RSRC2:USER_SGPR: 6
; COMPUTE_PGM_RSRC2:TRAP_HANDLER: 0
; COMPUTE_PGM_RSRC2:TGID_X_EN: 1
; COMPUTE_PGM_RSRC2:TGID_Y_EN: 0
; COMPUTE_PGM_RSRC2:TGID_Z_EN: 0
; COMPUTE_PGM_RSRC2:TIDIG_COMP_CNT: 0
; COMPUTE_PGM_RSRC3_GFX90A:ACCUM_OFFSET: 0
; COMPUTE_PGM_RSRC3_GFX90A:TG_SPLIT: 0
	.section	.text._ZN7rocprim17ROCPRIM_400000_NS6detail17trampoline_kernelINS0_14default_configENS1_25transform_config_selectorIlLb0EEEZNS1_14transform_implILb0ES3_S5_N6thrust23THRUST_200600_302600_NS10device_ptrIlEEPlNS0_8identityIlEEEE10hipError_tT2_T3_mT4_P12ihipStream_tbEUlT_E_NS1_11comp_targetILNS1_3genE4ELNS1_11target_archE910ELNS1_3gpuE8ELNS1_3repE0EEENS1_30default_config_static_selectorELNS0_4arch9wavefront6targetE1EEEvT1_,"axG",@progbits,_ZN7rocprim17ROCPRIM_400000_NS6detail17trampoline_kernelINS0_14default_configENS1_25transform_config_selectorIlLb0EEEZNS1_14transform_implILb0ES3_S5_N6thrust23THRUST_200600_302600_NS10device_ptrIlEEPlNS0_8identityIlEEEE10hipError_tT2_T3_mT4_P12ihipStream_tbEUlT_E_NS1_11comp_targetILNS1_3genE4ELNS1_11target_archE910ELNS1_3gpuE8ELNS1_3repE0EEENS1_30default_config_static_selectorELNS0_4arch9wavefront6targetE1EEEvT1_,comdat
	.protected	_ZN7rocprim17ROCPRIM_400000_NS6detail17trampoline_kernelINS0_14default_configENS1_25transform_config_selectorIlLb0EEEZNS1_14transform_implILb0ES3_S5_N6thrust23THRUST_200600_302600_NS10device_ptrIlEEPlNS0_8identityIlEEEE10hipError_tT2_T3_mT4_P12ihipStream_tbEUlT_E_NS1_11comp_targetILNS1_3genE4ELNS1_11target_archE910ELNS1_3gpuE8ELNS1_3repE0EEENS1_30default_config_static_selectorELNS0_4arch9wavefront6targetE1EEEvT1_ ; -- Begin function _ZN7rocprim17ROCPRIM_400000_NS6detail17trampoline_kernelINS0_14default_configENS1_25transform_config_selectorIlLb0EEEZNS1_14transform_implILb0ES3_S5_N6thrust23THRUST_200600_302600_NS10device_ptrIlEEPlNS0_8identityIlEEEE10hipError_tT2_T3_mT4_P12ihipStream_tbEUlT_E_NS1_11comp_targetILNS1_3genE4ELNS1_11target_archE910ELNS1_3gpuE8ELNS1_3repE0EEENS1_30default_config_static_selectorELNS0_4arch9wavefront6targetE1EEEvT1_
	.globl	_ZN7rocprim17ROCPRIM_400000_NS6detail17trampoline_kernelINS0_14default_configENS1_25transform_config_selectorIlLb0EEEZNS1_14transform_implILb0ES3_S5_N6thrust23THRUST_200600_302600_NS10device_ptrIlEEPlNS0_8identityIlEEEE10hipError_tT2_T3_mT4_P12ihipStream_tbEUlT_E_NS1_11comp_targetILNS1_3genE4ELNS1_11target_archE910ELNS1_3gpuE8ELNS1_3repE0EEENS1_30default_config_static_selectorELNS0_4arch9wavefront6targetE1EEEvT1_
	.p2align	8
	.type	_ZN7rocprim17ROCPRIM_400000_NS6detail17trampoline_kernelINS0_14default_configENS1_25transform_config_selectorIlLb0EEEZNS1_14transform_implILb0ES3_S5_N6thrust23THRUST_200600_302600_NS10device_ptrIlEEPlNS0_8identityIlEEEE10hipError_tT2_T3_mT4_P12ihipStream_tbEUlT_E_NS1_11comp_targetILNS1_3genE4ELNS1_11target_archE910ELNS1_3gpuE8ELNS1_3repE0EEENS1_30default_config_static_selectorELNS0_4arch9wavefront6targetE1EEEvT1_,@function
_ZN7rocprim17ROCPRIM_400000_NS6detail17trampoline_kernelINS0_14default_configENS1_25transform_config_selectorIlLb0EEEZNS1_14transform_implILb0ES3_S5_N6thrust23THRUST_200600_302600_NS10device_ptrIlEEPlNS0_8identityIlEEEE10hipError_tT2_T3_mT4_P12ihipStream_tbEUlT_E_NS1_11comp_targetILNS1_3genE4ELNS1_11target_archE910ELNS1_3gpuE8ELNS1_3repE0EEENS1_30default_config_static_selectorELNS0_4arch9wavefront6targetE1EEEvT1_: ; @_ZN7rocprim17ROCPRIM_400000_NS6detail17trampoline_kernelINS0_14default_configENS1_25transform_config_selectorIlLb0EEEZNS1_14transform_implILb0ES3_S5_N6thrust23THRUST_200600_302600_NS10device_ptrIlEEPlNS0_8identityIlEEEE10hipError_tT2_T3_mT4_P12ihipStream_tbEUlT_E_NS1_11comp_targetILNS1_3genE4ELNS1_11target_archE910ELNS1_3gpuE8ELNS1_3repE0EEENS1_30default_config_static_selectorELNS0_4arch9wavefront6targetE1EEEvT1_
; %bb.0:
	s_load_dwordx8 s[8:15], s[4:5], 0x0
	s_load_dword s2, s[4:5], 0x28
	v_lshlrev_b32_e32 v8, 3, v0
	s_waitcnt lgkmcnt(0)
	s_lshl_b64 s[0:1], s[10:11], 3
	s_add_u32 s3, s8, s0
	s_addc_u32 s4, s9, s1
	s_add_u32 s10, s14, s0
	s_addc_u32 s11, s15, s1
	s_lshl_b32 s0, s6, 9
	s_mov_b32 s1, 0
	s_add_i32 s2, s2, -1
	s_lshl_b64 s[8:9], s[0:1], 3
	s_add_u32 s13, s3, s8
	s_addc_u32 s14, s4, s9
	s_cmp_lg_u32 s6, s2
	s_cbranch_scc0 .LBB257_2
; %bb.1:
	v_mov_b32_e32 v1, s14
	v_add_co_u32_e32 v2, vcc, s13, v8
	v_addc_co_u32_e32 v3, vcc, 0, v1, vcc
	flat_load_dwordx2 v[10:11], v[2:3]
	flat_load_dwordx2 v[4:5], v[2:3] offset:2048
	s_add_u32 s4, s10, s8
	s_addc_u32 s5, s11, s9
	v_mov_b32_e32 v1, s5
	v_add_co_u32_e32 v6, vcc, s4, v8
	v_addc_co_u32_e32 v7, vcc, 0, v1, vcc
	s_waitcnt vmcnt(0) lgkmcnt(0)
	global_store_dwordx2 v8, v[10:11], s[4:5]
	s_mov_b64 s[4:5], -1
	s_cbranch_execz .LBB257_3
	s_branch .LBB257_14
.LBB257_2:
	s_mov_b64 s[4:5], 0
                                        ; implicit-def: $vgpr4_vgpr5
                                        ; implicit-def: $vgpr6_vgpr7
.LBB257_3:
	s_sub_i32 s6, s12, s0
	v_cmp_gt_u32_e32 vcc, s6, v0
                                        ; implicit-def: $vgpr2_vgpr3_vgpr4_vgpr5
	s_and_saveexec_b64 s[2:3], vcc
	s_cbranch_execz .LBB257_5
; %bb.4:
	v_mov_b32_e32 v1, s14
	v_add_co_u32_e64 v2, s[0:1], s13, v8
	v_addc_co_u32_e64 v3, s[0:1], 0, v1, s[0:1]
	flat_load_dwordx2 v[2:3], v[2:3]
.LBB257_5:
	s_or_b64 exec, exec, s[2:3]
	v_or_b32_e32 v1, 0x100, v0
	v_cmp_gt_u32_e64 s[0:1], s6, v1
	v_cmp_le_u32_e64 s[2:3], s6, v1
	s_and_saveexec_b64 s[6:7], s[2:3]
	s_xor_b64 s[2:3], exec, s[6:7]
; %bb.6:
	v_mov_b32_e32 v1, 0
                                        ; implicit-def: $vgpr8
; %bb.7:
	s_andn2_saveexec_b64 s[6:7], s[2:3]
	s_cbranch_execz .LBB257_9
; %bb.8:
	v_mov_b32_e32 v1, s14
	v_add_co_u32_e64 v4, s[2:3], s13, v8
	v_addc_co_u32_e64 v5, s[2:3], 0, v1, s[2:3]
	flat_load_dwordx2 v[4:5], v[4:5] offset:2048
	v_mov_b32_e32 v1, 0
.LBB257_9:
	s_or_b64 exec, exec, s[6:7]
	s_add_u32 s2, s10, s8
	s_addc_u32 s3, s11, s9
	v_lshlrev_b64 v[0:1], 3, v[0:1]
	v_mov_b32_e32 v7, s3
	v_add_co_u32_e64 v6, s[2:3], s2, v0
	v_addc_co_u32_e64 v7, s[2:3], v7, v1, s[2:3]
	s_and_saveexec_b64 s[2:3], vcc
	s_cbranch_execz .LBB257_11
; %bb.10:
	s_waitcnt vmcnt(0) lgkmcnt(0)
	global_store_dwordx2 v[6:7], v[2:3], off
.LBB257_11:
	s_or_b64 exec, exec, s[2:3]
	s_and_saveexec_b64 s[2:3], s[0:1]
; %bb.12:
	s_or_b64 s[4:5], s[4:5], exec
; %bb.13:
	s_or_b64 exec, exec, s[2:3]
.LBB257_14:
	s_and_saveexec_b64 s[0:1], s[4:5]
	s_cbranch_execnz .LBB257_16
; %bb.15:
	s_endpgm
.LBB257_16:
	s_waitcnt vmcnt(0) lgkmcnt(0)
	global_store_dwordx2 v[6:7], v[4:5], off offset:2048
	s_endpgm
	.section	.rodata,"a",@progbits
	.p2align	6, 0x0
	.amdhsa_kernel _ZN7rocprim17ROCPRIM_400000_NS6detail17trampoline_kernelINS0_14default_configENS1_25transform_config_selectorIlLb0EEEZNS1_14transform_implILb0ES3_S5_N6thrust23THRUST_200600_302600_NS10device_ptrIlEEPlNS0_8identityIlEEEE10hipError_tT2_T3_mT4_P12ihipStream_tbEUlT_E_NS1_11comp_targetILNS1_3genE4ELNS1_11target_archE910ELNS1_3gpuE8ELNS1_3repE0EEENS1_30default_config_static_selectorELNS0_4arch9wavefront6targetE1EEEvT1_
		.amdhsa_group_segment_fixed_size 0
		.amdhsa_private_segment_fixed_size 0
		.amdhsa_kernarg_size 296
		.amdhsa_user_sgpr_count 6
		.amdhsa_user_sgpr_private_segment_buffer 1
		.amdhsa_user_sgpr_dispatch_ptr 0
		.amdhsa_user_sgpr_queue_ptr 0
		.amdhsa_user_sgpr_kernarg_segment_ptr 1
		.amdhsa_user_sgpr_dispatch_id 0
		.amdhsa_user_sgpr_flat_scratch_init 0
		.amdhsa_user_sgpr_kernarg_preload_length 0
		.amdhsa_user_sgpr_kernarg_preload_offset 0
		.amdhsa_user_sgpr_private_segment_size 0
		.amdhsa_uses_dynamic_stack 0
		.amdhsa_system_sgpr_private_segment_wavefront_offset 0
		.amdhsa_system_sgpr_workgroup_id_x 1
		.amdhsa_system_sgpr_workgroup_id_y 0
		.amdhsa_system_sgpr_workgroup_id_z 0
		.amdhsa_system_sgpr_workgroup_info 0
		.amdhsa_system_vgpr_workitem_id 0
		.amdhsa_next_free_vgpr 12
		.amdhsa_next_free_sgpr 16
		.amdhsa_accum_offset 12
		.amdhsa_reserve_vcc 1
		.amdhsa_reserve_flat_scratch 0
		.amdhsa_float_round_mode_32 0
		.amdhsa_float_round_mode_16_64 0
		.amdhsa_float_denorm_mode_32 3
		.amdhsa_float_denorm_mode_16_64 3
		.amdhsa_dx10_clamp 1
		.amdhsa_ieee_mode 1
		.amdhsa_fp16_overflow 0
		.amdhsa_tg_split 0
		.amdhsa_exception_fp_ieee_invalid_op 0
		.amdhsa_exception_fp_denorm_src 0
		.amdhsa_exception_fp_ieee_div_zero 0
		.amdhsa_exception_fp_ieee_overflow 0
		.amdhsa_exception_fp_ieee_underflow 0
		.amdhsa_exception_fp_ieee_inexact 0
		.amdhsa_exception_int_div_zero 0
	.end_amdhsa_kernel
	.section	.text._ZN7rocprim17ROCPRIM_400000_NS6detail17trampoline_kernelINS0_14default_configENS1_25transform_config_selectorIlLb0EEEZNS1_14transform_implILb0ES3_S5_N6thrust23THRUST_200600_302600_NS10device_ptrIlEEPlNS0_8identityIlEEEE10hipError_tT2_T3_mT4_P12ihipStream_tbEUlT_E_NS1_11comp_targetILNS1_3genE4ELNS1_11target_archE910ELNS1_3gpuE8ELNS1_3repE0EEENS1_30default_config_static_selectorELNS0_4arch9wavefront6targetE1EEEvT1_,"axG",@progbits,_ZN7rocprim17ROCPRIM_400000_NS6detail17trampoline_kernelINS0_14default_configENS1_25transform_config_selectorIlLb0EEEZNS1_14transform_implILb0ES3_S5_N6thrust23THRUST_200600_302600_NS10device_ptrIlEEPlNS0_8identityIlEEEE10hipError_tT2_T3_mT4_P12ihipStream_tbEUlT_E_NS1_11comp_targetILNS1_3genE4ELNS1_11target_archE910ELNS1_3gpuE8ELNS1_3repE0EEENS1_30default_config_static_selectorELNS0_4arch9wavefront6targetE1EEEvT1_,comdat
.Lfunc_end257:
	.size	_ZN7rocprim17ROCPRIM_400000_NS6detail17trampoline_kernelINS0_14default_configENS1_25transform_config_selectorIlLb0EEEZNS1_14transform_implILb0ES3_S5_N6thrust23THRUST_200600_302600_NS10device_ptrIlEEPlNS0_8identityIlEEEE10hipError_tT2_T3_mT4_P12ihipStream_tbEUlT_E_NS1_11comp_targetILNS1_3genE4ELNS1_11target_archE910ELNS1_3gpuE8ELNS1_3repE0EEENS1_30default_config_static_selectorELNS0_4arch9wavefront6targetE1EEEvT1_, .Lfunc_end257-_ZN7rocprim17ROCPRIM_400000_NS6detail17trampoline_kernelINS0_14default_configENS1_25transform_config_selectorIlLb0EEEZNS1_14transform_implILb0ES3_S5_N6thrust23THRUST_200600_302600_NS10device_ptrIlEEPlNS0_8identityIlEEEE10hipError_tT2_T3_mT4_P12ihipStream_tbEUlT_E_NS1_11comp_targetILNS1_3genE4ELNS1_11target_archE910ELNS1_3gpuE8ELNS1_3repE0EEENS1_30default_config_static_selectorELNS0_4arch9wavefront6targetE1EEEvT1_
                                        ; -- End function
	.section	.AMDGPU.csdata,"",@progbits
; Kernel info:
; codeLenInByte = 380
; NumSgprs: 20
; NumVgprs: 12
; NumAgprs: 0
; TotalNumVgprs: 12
; ScratchSize: 0
; MemoryBound: 0
; FloatMode: 240
; IeeeMode: 1
; LDSByteSize: 0 bytes/workgroup (compile time only)
; SGPRBlocks: 2
; VGPRBlocks: 1
; NumSGPRsForWavesPerEU: 20
; NumVGPRsForWavesPerEU: 12
; AccumOffset: 12
; Occupancy: 8
; WaveLimiterHint : 1
; COMPUTE_PGM_RSRC2:SCRATCH_EN: 0
; COMPUTE_PGM_RSRC2:USER_SGPR: 6
; COMPUTE_PGM_RSRC2:TRAP_HANDLER: 0
; COMPUTE_PGM_RSRC2:TGID_X_EN: 1
; COMPUTE_PGM_RSRC2:TGID_Y_EN: 0
; COMPUTE_PGM_RSRC2:TGID_Z_EN: 0
; COMPUTE_PGM_RSRC2:TIDIG_COMP_CNT: 0
; COMPUTE_PGM_RSRC3_GFX90A:ACCUM_OFFSET: 2
; COMPUTE_PGM_RSRC3_GFX90A:TG_SPLIT: 0
	.section	.text._ZN7rocprim17ROCPRIM_400000_NS6detail17trampoline_kernelINS0_14default_configENS1_25transform_config_selectorIlLb0EEEZNS1_14transform_implILb0ES3_S5_N6thrust23THRUST_200600_302600_NS10device_ptrIlEEPlNS0_8identityIlEEEE10hipError_tT2_T3_mT4_P12ihipStream_tbEUlT_E_NS1_11comp_targetILNS1_3genE3ELNS1_11target_archE908ELNS1_3gpuE7ELNS1_3repE0EEENS1_30default_config_static_selectorELNS0_4arch9wavefront6targetE1EEEvT1_,"axG",@progbits,_ZN7rocprim17ROCPRIM_400000_NS6detail17trampoline_kernelINS0_14default_configENS1_25transform_config_selectorIlLb0EEEZNS1_14transform_implILb0ES3_S5_N6thrust23THRUST_200600_302600_NS10device_ptrIlEEPlNS0_8identityIlEEEE10hipError_tT2_T3_mT4_P12ihipStream_tbEUlT_E_NS1_11comp_targetILNS1_3genE3ELNS1_11target_archE908ELNS1_3gpuE7ELNS1_3repE0EEENS1_30default_config_static_selectorELNS0_4arch9wavefront6targetE1EEEvT1_,comdat
	.protected	_ZN7rocprim17ROCPRIM_400000_NS6detail17trampoline_kernelINS0_14default_configENS1_25transform_config_selectorIlLb0EEEZNS1_14transform_implILb0ES3_S5_N6thrust23THRUST_200600_302600_NS10device_ptrIlEEPlNS0_8identityIlEEEE10hipError_tT2_T3_mT4_P12ihipStream_tbEUlT_E_NS1_11comp_targetILNS1_3genE3ELNS1_11target_archE908ELNS1_3gpuE7ELNS1_3repE0EEENS1_30default_config_static_selectorELNS0_4arch9wavefront6targetE1EEEvT1_ ; -- Begin function _ZN7rocprim17ROCPRIM_400000_NS6detail17trampoline_kernelINS0_14default_configENS1_25transform_config_selectorIlLb0EEEZNS1_14transform_implILb0ES3_S5_N6thrust23THRUST_200600_302600_NS10device_ptrIlEEPlNS0_8identityIlEEEE10hipError_tT2_T3_mT4_P12ihipStream_tbEUlT_E_NS1_11comp_targetILNS1_3genE3ELNS1_11target_archE908ELNS1_3gpuE7ELNS1_3repE0EEENS1_30default_config_static_selectorELNS0_4arch9wavefront6targetE1EEEvT1_
	.globl	_ZN7rocprim17ROCPRIM_400000_NS6detail17trampoline_kernelINS0_14default_configENS1_25transform_config_selectorIlLb0EEEZNS1_14transform_implILb0ES3_S5_N6thrust23THRUST_200600_302600_NS10device_ptrIlEEPlNS0_8identityIlEEEE10hipError_tT2_T3_mT4_P12ihipStream_tbEUlT_E_NS1_11comp_targetILNS1_3genE3ELNS1_11target_archE908ELNS1_3gpuE7ELNS1_3repE0EEENS1_30default_config_static_selectorELNS0_4arch9wavefront6targetE1EEEvT1_
	.p2align	8
	.type	_ZN7rocprim17ROCPRIM_400000_NS6detail17trampoline_kernelINS0_14default_configENS1_25transform_config_selectorIlLb0EEEZNS1_14transform_implILb0ES3_S5_N6thrust23THRUST_200600_302600_NS10device_ptrIlEEPlNS0_8identityIlEEEE10hipError_tT2_T3_mT4_P12ihipStream_tbEUlT_E_NS1_11comp_targetILNS1_3genE3ELNS1_11target_archE908ELNS1_3gpuE7ELNS1_3repE0EEENS1_30default_config_static_selectorELNS0_4arch9wavefront6targetE1EEEvT1_,@function
_ZN7rocprim17ROCPRIM_400000_NS6detail17trampoline_kernelINS0_14default_configENS1_25transform_config_selectorIlLb0EEEZNS1_14transform_implILb0ES3_S5_N6thrust23THRUST_200600_302600_NS10device_ptrIlEEPlNS0_8identityIlEEEE10hipError_tT2_T3_mT4_P12ihipStream_tbEUlT_E_NS1_11comp_targetILNS1_3genE3ELNS1_11target_archE908ELNS1_3gpuE7ELNS1_3repE0EEENS1_30default_config_static_selectorELNS0_4arch9wavefront6targetE1EEEvT1_: ; @_ZN7rocprim17ROCPRIM_400000_NS6detail17trampoline_kernelINS0_14default_configENS1_25transform_config_selectorIlLb0EEEZNS1_14transform_implILb0ES3_S5_N6thrust23THRUST_200600_302600_NS10device_ptrIlEEPlNS0_8identityIlEEEE10hipError_tT2_T3_mT4_P12ihipStream_tbEUlT_E_NS1_11comp_targetILNS1_3genE3ELNS1_11target_archE908ELNS1_3gpuE7ELNS1_3repE0EEENS1_30default_config_static_selectorELNS0_4arch9wavefront6targetE1EEEvT1_
; %bb.0:
	.section	.rodata,"a",@progbits
	.p2align	6, 0x0
	.amdhsa_kernel _ZN7rocprim17ROCPRIM_400000_NS6detail17trampoline_kernelINS0_14default_configENS1_25transform_config_selectorIlLb0EEEZNS1_14transform_implILb0ES3_S5_N6thrust23THRUST_200600_302600_NS10device_ptrIlEEPlNS0_8identityIlEEEE10hipError_tT2_T3_mT4_P12ihipStream_tbEUlT_E_NS1_11comp_targetILNS1_3genE3ELNS1_11target_archE908ELNS1_3gpuE7ELNS1_3repE0EEENS1_30default_config_static_selectorELNS0_4arch9wavefront6targetE1EEEvT1_
		.amdhsa_group_segment_fixed_size 0
		.amdhsa_private_segment_fixed_size 0
		.amdhsa_kernarg_size 40
		.amdhsa_user_sgpr_count 6
		.amdhsa_user_sgpr_private_segment_buffer 1
		.amdhsa_user_sgpr_dispatch_ptr 0
		.amdhsa_user_sgpr_queue_ptr 0
		.amdhsa_user_sgpr_kernarg_segment_ptr 1
		.amdhsa_user_sgpr_dispatch_id 0
		.amdhsa_user_sgpr_flat_scratch_init 0
		.amdhsa_user_sgpr_kernarg_preload_length 0
		.amdhsa_user_sgpr_kernarg_preload_offset 0
		.amdhsa_user_sgpr_private_segment_size 0
		.amdhsa_uses_dynamic_stack 0
		.amdhsa_system_sgpr_private_segment_wavefront_offset 0
		.amdhsa_system_sgpr_workgroup_id_x 1
		.amdhsa_system_sgpr_workgroup_id_y 0
		.amdhsa_system_sgpr_workgroup_id_z 0
		.amdhsa_system_sgpr_workgroup_info 0
		.amdhsa_system_vgpr_workitem_id 0
		.amdhsa_next_free_vgpr 1
		.amdhsa_next_free_sgpr 0
		.amdhsa_accum_offset 4
		.amdhsa_reserve_vcc 0
		.amdhsa_reserve_flat_scratch 0
		.amdhsa_float_round_mode_32 0
		.amdhsa_float_round_mode_16_64 0
		.amdhsa_float_denorm_mode_32 3
		.amdhsa_float_denorm_mode_16_64 3
		.amdhsa_dx10_clamp 1
		.amdhsa_ieee_mode 1
		.amdhsa_fp16_overflow 0
		.amdhsa_tg_split 0
		.amdhsa_exception_fp_ieee_invalid_op 0
		.amdhsa_exception_fp_denorm_src 0
		.amdhsa_exception_fp_ieee_div_zero 0
		.amdhsa_exception_fp_ieee_overflow 0
		.amdhsa_exception_fp_ieee_underflow 0
		.amdhsa_exception_fp_ieee_inexact 0
		.amdhsa_exception_int_div_zero 0
	.end_amdhsa_kernel
	.section	.text._ZN7rocprim17ROCPRIM_400000_NS6detail17trampoline_kernelINS0_14default_configENS1_25transform_config_selectorIlLb0EEEZNS1_14transform_implILb0ES3_S5_N6thrust23THRUST_200600_302600_NS10device_ptrIlEEPlNS0_8identityIlEEEE10hipError_tT2_T3_mT4_P12ihipStream_tbEUlT_E_NS1_11comp_targetILNS1_3genE3ELNS1_11target_archE908ELNS1_3gpuE7ELNS1_3repE0EEENS1_30default_config_static_selectorELNS0_4arch9wavefront6targetE1EEEvT1_,"axG",@progbits,_ZN7rocprim17ROCPRIM_400000_NS6detail17trampoline_kernelINS0_14default_configENS1_25transform_config_selectorIlLb0EEEZNS1_14transform_implILb0ES3_S5_N6thrust23THRUST_200600_302600_NS10device_ptrIlEEPlNS0_8identityIlEEEE10hipError_tT2_T3_mT4_P12ihipStream_tbEUlT_E_NS1_11comp_targetILNS1_3genE3ELNS1_11target_archE908ELNS1_3gpuE7ELNS1_3repE0EEENS1_30default_config_static_selectorELNS0_4arch9wavefront6targetE1EEEvT1_,comdat
.Lfunc_end258:
	.size	_ZN7rocprim17ROCPRIM_400000_NS6detail17trampoline_kernelINS0_14default_configENS1_25transform_config_selectorIlLb0EEEZNS1_14transform_implILb0ES3_S5_N6thrust23THRUST_200600_302600_NS10device_ptrIlEEPlNS0_8identityIlEEEE10hipError_tT2_T3_mT4_P12ihipStream_tbEUlT_E_NS1_11comp_targetILNS1_3genE3ELNS1_11target_archE908ELNS1_3gpuE7ELNS1_3repE0EEENS1_30default_config_static_selectorELNS0_4arch9wavefront6targetE1EEEvT1_, .Lfunc_end258-_ZN7rocprim17ROCPRIM_400000_NS6detail17trampoline_kernelINS0_14default_configENS1_25transform_config_selectorIlLb0EEEZNS1_14transform_implILb0ES3_S5_N6thrust23THRUST_200600_302600_NS10device_ptrIlEEPlNS0_8identityIlEEEE10hipError_tT2_T3_mT4_P12ihipStream_tbEUlT_E_NS1_11comp_targetILNS1_3genE3ELNS1_11target_archE908ELNS1_3gpuE7ELNS1_3repE0EEENS1_30default_config_static_selectorELNS0_4arch9wavefront6targetE1EEEvT1_
                                        ; -- End function
	.section	.AMDGPU.csdata,"",@progbits
; Kernel info:
; codeLenInByte = 0
; NumSgprs: 4
; NumVgprs: 0
; NumAgprs: 0
; TotalNumVgprs: 0
; ScratchSize: 0
; MemoryBound: 0
; FloatMode: 240
; IeeeMode: 1
; LDSByteSize: 0 bytes/workgroup (compile time only)
; SGPRBlocks: 0
; VGPRBlocks: 0
; NumSGPRsForWavesPerEU: 4
; NumVGPRsForWavesPerEU: 1
; AccumOffset: 4
; Occupancy: 8
; WaveLimiterHint : 0
; COMPUTE_PGM_RSRC2:SCRATCH_EN: 0
; COMPUTE_PGM_RSRC2:USER_SGPR: 6
; COMPUTE_PGM_RSRC2:TRAP_HANDLER: 0
; COMPUTE_PGM_RSRC2:TGID_X_EN: 1
; COMPUTE_PGM_RSRC2:TGID_Y_EN: 0
; COMPUTE_PGM_RSRC2:TGID_Z_EN: 0
; COMPUTE_PGM_RSRC2:TIDIG_COMP_CNT: 0
; COMPUTE_PGM_RSRC3_GFX90A:ACCUM_OFFSET: 0
; COMPUTE_PGM_RSRC3_GFX90A:TG_SPLIT: 0
	.section	.text._ZN7rocprim17ROCPRIM_400000_NS6detail17trampoline_kernelINS0_14default_configENS1_25transform_config_selectorIlLb0EEEZNS1_14transform_implILb0ES3_S5_N6thrust23THRUST_200600_302600_NS10device_ptrIlEEPlNS0_8identityIlEEEE10hipError_tT2_T3_mT4_P12ihipStream_tbEUlT_E_NS1_11comp_targetILNS1_3genE2ELNS1_11target_archE906ELNS1_3gpuE6ELNS1_3repE0EEENS1_30default_config_static_selectorELNS0_4arch9wavefront6targetE1EEEvT1_,"axG",@progbits,_ZN7rocprim17ROCPRIM_400000_NS6detail17trampoline_kernelINS0_14default_configENS1_25transform_config_selectorIlLb0EEEZNS1_14transform_implILb0ES3_S5_N6thrust23THRUST_200600_302600_NS10device_ptrIlEEPlNS0_8identityIlEEEE10hipError_tT2_T3_mT4_P12ihipStream_tbEUlT_E_NS1_11comp_targetILNS1_3genE2ELNS1_11target_archE906ELNS1_3gpuE6ELNS1_3repE0EEENS1_30default_config_static_selectorELNS0_4arch9wavefront6targetE1EEEvT1_,comdat
	.protected	_ZN7rocprim17ROCPRIM_400000_NS6detail17trampoline_kernelINS0_14default_configENS1_25transform_config_selectorIlLb0EEEZNS1_14transform_implILb0ES3_S5_N6thrust23THRUST_200600_302600_NS10device_ptrIlEEPlNS0_8identityIlEEEE10hipError_tT2_T3_mT4_P12ihipStream_tbEUlT_E_NS1_11comp_targetILNS1_3genE2ELNS1_11target_archE906ELNS1_3gpuE6ELNS1_3repE0EEENS1_30default_config_static_selectorELNS0_4arch9wavefront6targetE1EEEvT1_ ; -- Begin function _ZN7rocprim17ROCPRIM_400000_NS6detail17trampoline_kernelINS0_14default_configENS1_25transform_config_selectorIlLb0EEEZNS1_14transform_implILb0ES3_S5_N6thrust23THRUST_200600_302600_NS10device_ptrIlEEPlNS0_8identityIlEEEE10hipError_tT2_T3_mT4_P12ihipStream_tbEUlT_E_NS1_11comp_targetILNS1_3genE2ELNS1_11target_archE906ELNS1_3gpuE6ELNS1_3repE0EEENS1_30default_config_static_selectorELNS0_4arch9wavefront6targetE1EEEvT1_
	.globl	_ZN7rocprim17ROCPRIM_400000_NS6detail17trampoline_kernelINS0_14default_configENS1_25transform_config_selectorIlLb0EEEZNS1_14transform_implILb0ES3_S5_N6thrust23THRUST_200600_302600_NS10device_ptrIlEEPlNS0_8identityIlEEEE10hipError_tT2_T3_mT4_P12ihipStream_tbEUlT_E_NS1_11comp_targetILNS1_3genE2ELNS1_11target_archE906ELNS1_3gpuE6ELNS1_3repE0EEENS1_30default_config_static_selectorELNS0_4arch9wavefront6targetE1EEEvT1_
	.p2align	8
	.type	_ZN7rocprim17ROCPRIM_400000_NS6detail17trampoline_kernelINS0_14default_configENS1_25transform_config_selectorIlLb0EEEZNS1_14transform_implILb0ES3_S5_N6thrust23THRUST_200600_302600_NS10device_ptrIlEEPlNS0_8identityIlEEEE10hipError_tT2_T3_mT4_P12ihipStream_tbEUlT_E_NS1_11comp_targetILNS1_3genE2ELNS1_11target_archE906ELNS1_3gpuE6ELNS1_3repE0EEENS1_30default_config_static_selectorELNS0_4arch9wavefront6targetE1EEEvT1_,@function
_ZN7rocprim17ROCPRIM_400000_NS6detail17trampoline_kernelINS0_14default_configENS1_25transform_config_selectorIlLb0EEEZNS1_14transform_implILb0ES3_S5_N6thrust23THRUST_200600_302600_NS10device_ptrIlEEPlNS0_8identityIlEEEE10hipError_tT2_T3_mT4_P12ihipStream_tbEUlT_E_NS1_11comp_targetILNS1_3genE2ELNS1_11target_archE906ELNS1_3gpuE6ELNS1_3repE0EEENS1_30default_config_static_selectorELNS0_4arch9wavefront6targetE1EEEvT1_: ; @_ZN7rocprim17ROCPRIM_400000_NS6detail17trampoline_kernelINS0_14default_configENS1_25transform_config_selectorIlLb0EEEZNS1_14transform_implILb0ES3_S5_N6thrust23THRUST_200600_302600_NS10device_ptrIlEEPlNS0_8identityIlEEEE10hipError_tT2_T3_mT4_P12ihipStream_tbEUlT_E_NS1_11comp_targetILNS1_3genE2ELNS1_11target_archE906ELNS1_3gpuE6ELNS1_3repE0EEENS1_30default_config_static_selectorELNS0_4arch9wavefront6targetE1EEEvT1_
; %bb.0:
	.section	.rodata,"a",@progbits
	.p2align	6, 0x0
	.amdhsa_kernel _ZN7rocprim17ROCPRIM_400000_NS6detail17trampoline_kernelINS0_14default_configENS1_25transform_config_selectorIlLb0EEEZNS1_14transform_implILb0ES3_S5_N6thrust23THRUST_200600_302600_NS10device_ptrIlEEPlNS0_8identityIlEEEE10hipError_tT2_T3_mT4_P12ihipStream_tbEUlT_E_NS1_11comp_targetILNS1_3genE2ELNS1_11target_archE906ELNS1_3gpuE6ELNS1_3repE0EEENS1_30default_config_static_selectorELNS0_4arch9wavefront6targetE1EEEvT1_
		.amdhsa_group_segment_fixed_size 0
		.amdhsa_private_segment_fixed_size 0
		.amdhsa_kernarg_size 40
		.amdhsa_user_sgpr_count 6
		.amdhsa_user_sgpr_private_segment_buffer 1
		.amdhsa_user_sgpr_dispatch_ptr 0
		.amdhsa_user_sgpr_queue_ptr 0
		.amdhsa_user_sgpr_kernarg_segment_ptr 1
		.amdhsa_user_sgpr_dispatch_id 0
		.amdhsa_user_sgpr_flat_scratch_init 0
		.amdhsa_user_sgpr_kernarg_preload_length 0
		.amdhsa_user_sgpr_kernarg_preload_offset 0
		.amdhsa_user_sgpr_private_segment_size 0
		.amdhsa_uses_dynamic_stack 0
		.amdhsa_system_sgpr_private_segment_wavefront_offset 0
		.amdhsa_system_sgpr_workgroup_id_x 1
		.amdhsa_system_sgpr_workgroup_id_y 0
		.amdhsa_system_sgpr_workgroup_id_z 0
		.amdhsa_system_sgpr_workgroup_info 0
		.amdhsa_system_vgpr_workitem_id 0
		.amdhsa_next_free_vgpr 1
		.amdhsa_next_free_sgpr 0
		.amdhsa_accum_offset 4
		.amdhsa_reserve_vcc 0
		.amdhsa_reserve_flat_scratch 0
		.amdhsa_float_round_mode_32 0
		.amdhsa_float_round_mode_16_64 0
		.amdhsa_float_denorm_mode_32 3
		.amdhsa_float_denorm_mode_16_64 3
		.amdhsa_dx10_clamp 1
		.amdhsa_ieee_mode 1
		.amdhsa_fp16_overflow 0
		.amdhsa_tg_split 0
		.amdhsa_exception_fp_ieee_invalid_op 0
		.amdhsa_exception_fp_denorm_src 0
		.amdhsa_exception_fp_ieee_div_zero 0
		.amdhsa_exception_fp_ieee_overflow 0
		.amdhsa_exception_fp_ieee_underflow 0
		.amdhsa_exception_fp_ieee_inexact 0
		.amdhsa_exception_int_div_zero 0
	.end_amdhsa_kernel
	.section	.text._ZN7rocprim17ROCPRIM_400000_NS6detail17trampoline_kernelINS0_14default_configENS1_25transform_config_selectorIlLb0EEEZNS1_14transform_implILb0ES3_S5_N6thrust23THRUST_200600_302600_NS10device_ptrIlEEPlNS0_8identityIlEEEE10hipError_tT2_T3_mT4_P12ihipStream_tbEUlT_E_NS1_11comp_targetILNS1_3genE2ELNS1_11target_archE906ELNS1_3gpuE6ELNS1_3repE0EEENS1_30default_config_static_selectorELNS0_4arch9wavefront6targetE1EEEvT1_,"axG",@progbits,_ZN7rocprim17ROCPRIM_400000_NS6detail17trampoline_kernelINS0_14default_configENS1_25transform_config_selectorIlLb0EEEZNS1_14transform_implILb0ES3_S5_N6thrust23THRUST_200600_302600_NS10device_ptrIlEEPlNS0_8identityIlEEEE10hipError_tT2_T3_mT4_P12ihipStream_tbEUlT_E_NS1_11comp_targetILNS1_3genE2ELNS1_11target_archE906ELNS1_3gpuE6ELNS1_3repE0EEENS1_30default_config_static_selectorELNS0_4arch9wavefront6targetE1EEEvT1_,comdat
.Lfunc_end259:
	.size	_ZN7rocprim17ROCPRIM_400000_NS6detail17trampoline_kernelINS0_14default_configENS1_25transform_config_selectorIlLb0EEEZNS1_14transform_implILb0ES3_S5_N6thrust23THRUST_200600_302600_NS10device_ptrIlEEPlNS0_8identityIlEEEE10hipError_tT2_T3_mT4_P12ihipStream_tbEUlT_E_NS1_11comp_targetILNS1_3genE2ELNS1_11target_archE906ELNS1_3gpuE6ELNS1_3repE0EEENS1_30default_config_static_selectorELNS0_4arch9wavefront6targetE1EEEvT1_, .Lfunc_end259-_ZN7rocprim17ROCPRIM_400000_NS6detail17trampoline_kernelINS0_14default_configENS1_25transform_config_selectorIlLb0EEEZNS1_14transform_implILb0ES3_S5_N6thrust23THRUST_200600_302600_NS10device_ptrIlEEPlNS0_8identityIlEEEE10hipError_tT2_T3_mT4_P12ihipStream_tbEUlT_E_NS1_11comp_targetILNS1_3genE2ELNS1_11target_archE906ELNS1_3gpuE6ELNS1_3repE0EEENS1_30default_config_static_selectorELNS0_4arch9wavefront6targetE1EEEvT1_
                                        ; -- End function
	.section	.AMDGPU.csdata,"",@progbits
; Kernel info:
; codeLenInByte = 0
; NumSgprs: 4
; NumVgprs: 0
; NumAgprs: 0
; TotalNumVgprs: 0
; ScratchSize: 0
; MemoryBound: 0
; FloatMode: 240
; IeeeMode: 1
; LDSByteSize: 0 bytes/workgroup (compile time only)
; SGPRBlocks: 0
; VGPRBlocks: 0
; NumSGPRsForWavesPerEU: 4
; NumVGPRsForWavesPerEU: 1
; AccumOffset: 4
; Occupancy: 8
; WaveLimiterHint : 0
; COMPUTE_PGM_RSRC2:SCRATCH_EN: 0
; COMPUTE_PGM_RSRC2:USER_SGPR: 6
; COMPUTE_PGM_RSRC2:TRAP_HANDLER: 0
; COMPUTE_PGM_RSRC2:TGID_X_EN: 1
; COMPUTE_PGM_RSRC2:TGID_Y_EN: 0
; COMPUTE_PGM_RSRC2:TGID_Z_EN: 0
; COMPUTE_PGM_RSRC2:TIDIG_COMP_CNT: 0
; COMPUTE_PGM_RSRC3_GFX90A:ACCUM_OFFSET: 0
; COMPUTE_PGM_RSRC3_GFX90A:TG_SPLIT: 0
	.section	.text._ZN7rocprim17ROCPRIM_400000_NS6detail17trampoline_kernelINS0_14default_configENS1_25transform_config_selectorIlLb0EEEZNS1_14transform_implILb0ES3_S5_N6thrust23THRUST_200600_302600_NS10device_ptrIlEEPlNS0_8identityIlEEEE10hipError_tT2_T3_mT4_P12ihipStream_tbEUlT_E_NS1_11comp_targetILNS1_3genE10ELNS1_11target_archE1201ELNS1_3gpuE5ELNS1_3repE0EEENS1_30default_config_static_selectorELNS0_4arch9wavefront6targetE1EEEvT1_,"axG",@progbits,_ZN7rocprim17ROCPRIM_400000_NS6detail17trampoline_kernelINS0_14default_configENS1_25transform_config_selectorIlLb0EEEZNS1_14transform_implILb0ES3_S5_N6thrust23THRUST_200600_302600_NS10device_ptrIlEEPlNS0_8identityIlEEEE10hipError_tT2_T3_mT4_P12ihipStream_tbEUlT_E_NS1_11comp_targetILNS1_3genE10ELNS1_11target_archE1201ELNS1_3gpuE5ELNS1_3repE0EEENS1_30default_config_static_selectorELNS0_4arch9wavefront6targetE1EEEvT1_,comdat
	.protected	_ZN7rocprim17ROCPRIM_400000_NS6detail17trampoline_kernelINS0_14default_configENS1_25transform_config_selectorIlLb0EEEZNS1_14transform_implILb0ES3_S5_N6thrust23THRUST_200600_302600_NS10device_ptrIlEEPlNS0_8identityIlEEEE10hipError_tT2_T3_mT4_P12ihipStream_tbEUlT_E_NS1_11comp_targetILNS1_3genE10ELNS1_11target_archE1201ELNS1_3gpuE5ELNS1_3repE0EEENS1_30default_config_static_selectorELNS0_4arch9wavefront6targetE1EEEvT1_ ; -- Begin function _ZN7rocprim17ROCPRIM_400000_NS6detail17trampoline_kernelINS0_14default_configENS1_25transform_config_selectorIlLb0EEEZNS1_14transform_implILb0ES3_S5_N6thrust23THRUST_200600_302600_NS10device_ptrIlEEPlNS0_8identityIlEEEE10hipError_tT2_T3_mT4_P12ihipStream_tbEUlT_E_NS1_11comp_targetILNS1_3genE10ELNS1_11target_archE1201ELNS1_3gpuE5ELNS1_3repE0EEENS1_30default_config_static_selectorELNS0_4arch9wavefront6targetE1EEEvT1_
	.globl	_ZN7rocprim17ROCPRIM_400000_NS6detail17trampoline_kernelINS0_14default_configENS1_25transform_config_selectorIlLb0EEEZNS1_14transform_implILb0ES3_S5_N6thrust23THRUST_200600_302600_NS10device_ptrIlEEPlNS0_8identityIlEEEE10hipError_tT2_T3_mT4_P12ihipStream_tbEUlT_E_NS1_11comp_targetILNS1_3genE10ELNS1_11target_archE1201ELNS1_3gpuE5ELNS1_3repE0EEENS1_30default_config_static_selectorELNS0_4arch9wavefront6targetE1EEEvT1_
	.p2align	8
	.type	_ZN7rocprim17ROCPRIM_400000_NS6detail17trampoline_kernelINS0_14default_configENS1_25transform_config_selectorIlLb0EEEZNS1_14transform_implILb0ES3_S5_N6thrust23THRUST_200600_302600_NS10device_ptrIlEEPlNS0_8identityIlEEEE10hipError_tT2_T3_mT4_P12ihipStream_tbEUlT_E_NS1_11comp_targetILNS1_3genE10ELNS1_11target_archE1201ELNS1_3gpuE5ELNS1_3repE0EEENS1_30default_config_static_selectorELNS0_4arch9wavefront6targetE1EEEvT1_,@function
_ZN7rocprim17ROCPRIM_400000_NS6detail17trampoline_kernelINS0_14default_configENS1_25transform_config_selectorIlLb0EEEZNS1_14transform_implILb0ES3_S5_N6thrust23THRUST_200600_302600_NS10device_ptrIlEEPlNS0_8identityIlEEEE10hipError_tT2_T3_mT4_P12ihipStream_tbEUlT_E_NS1_11comp_targetILNS1_3genE10ELNS1_11target_archE1201ELNS1_3gpuE5ELNS1_3repE0EEENS1_30default_config_static_selectorELNS0_4arch9wavefront6targetE1EEEvT1_: ; @_ZN7rocprim17ROCPRIM_400000_NS6detail17trampoline_kernelINS0_14default_configENS1_25transform_config_selectorIlLb0EEEZNS1_14transform_implILb0ES3_S5_N6thrust23THRUST_200600_302600_NS10device_ptrIlEEPlNS0_8identityIlEEEE10hipError_tT2_T3_mT4_P12ihipStream_tbEUlT_E_NS1_11comp_targetILNS1_3genE10ELNS1_11target_archE1201ELNS1_3gpuE5ELNS1_3repE0EEENS1_30default_config_static_selectorELNS0_4arch9wavefront6targetE1EEEvT1_
; %bb.0:
	.section	.rodata,"a",@progbits
	.p2align	6, 0x0
	.amdhsa_kernel _ZN7rocprim17ROCPRIM_400000_NS6detail17trampoline_kernelINS0_14default_configENS1_25transform_config_selectorIlLb0EEEZNS1_14transform_implILb0ES3_S5_N6thrust23THRUST_200600_302600_NS10device_ptrIlEEPlNS0_8identityIlEEEE10hipError_tT2_T3_mT4_P12ihipStream_tbEUlT_E_NS1_11comp_targetILNS1_3genE10ELNS1_11target_archE1201ELNS1_3gpuE5ELNS1_3repE0EEENS1_30default_config_static_selectorELNS0_4arch9wavefront6targetE1EEEvT1_
		.amdhsa_group_segment_fixed_size 0
		.amdhsa_private_segment_fixed_size 0
		.amdhsa_kernarg_size 40
		.amdhsa_user_sgpr_count 6
		.amdhsa_user_sgpr_private_segment_buffer 1
		.amdhsa_user_sgpr_dispatch_ptr 0
		.amdhsa_user_sgpr_queue_ptr 0
		.amdhsa_user_sgpr_kernarg_segment_ptr 1
		.amdhsa_user_sgpr_dispatch_id 0
		.amdhsa_user_sgpr_flat_scratch_init 0
		.amdhsa_user_sgpr_kernarg_preload_length 0
		.amdhsa_user_sgpr_kernarg_preload_offset 0
		.amdhsa_user_sgpr_private_segment_size 0
		.amdhsa_uses_dynamic_stack 0
		.amdhsa_system_sgpr_private_segment_wavefront_offset 0
		.amdhsa_system_sgpr_workgroup_id_x 1
		.amdhsa_system_sgpr_workgroup_id_y 0
		.amdhsa_system_sgpr_workgroup_id_z 0
		.amdhsa_system_sgpr_workgroup_info 0
		.amdhsa_system_vgpr_workitem_id 0
		.amdhsa_next_free_vgpr 1
		.amdhsa_next_free_sgpr 0
		.amdhsa_accum_offset 4
		.amdhsa_reserve_vcc 0
		.amdhsa_reserve_flat_scratch 0
		.amdhsa_float_round_mode_32 0
		.amdhsa_float_round_mode_16_64 0
		.amdhsa_float_denorm_mode_32 3
		.amdhsa_float_denorm_mode_16_64 3
		.amdhsa_dx10_clamp 1
		.amdhsa_ieee_mode 1
		.amdhsa_fp16_overflow 0
		.amdhsa_tg_split 0
		.amdhsa_exception_fp_ieee_invalid_op 0
		.amdhsa_exception_fp_denorm_src 0
		.amdhsa_exception_fp_ieee_div_zero 0
		.amdhsa_exception_fp_ieee_overflow 0
		.amdhsa_exception_fp_ieee_underflow 0
		.amdhsa_exception_fp_ieee_inexact 0
		.amdhsa_exception_int_div_zero 0
	.end_amdhsa_kernel
	.section	.text._ZN7rocprim17ROCPRIM_400000_NS6detail17trampoline_kernelINS0_14default_configENS1_25transform_config_selectorIlLb0EEEZNS1_14transform_implILb0ES3_S5_N6thrust23THRUST_200600_302600_NS10device_ptrIlEEPlNS0_8identityIlEEEE10hipError_tT2_T3_mT4_P12ihipStream_tbEUlT_E_NS1_11comp_targetILNS1_3genE10ELNS1_11target_archE1201ELNS1_3gpuE5ELNS1_3repE0EEENS1_30default_config_static_selectorELNS0_4arch9wavefront6targetE1EEEvT1_,"axG",@progbits,_ZN7rocprim17ROCPRIM_400000_NS6detail17trampoline_kernelINS0_14default_configENS1_25transform_config_selectorIlLb0EEEZNS1_14transform_implILb0ES3_S5_N6thrust23THRUST_200600_302600_NS10device_ptrIlEEPlNS0_8identityIlEEEE10hipError_tT2_T3_mT4_P12ihipStream_tbEUlT_E_NS1_11comp_targetILNS1_3genE10ELNS1_11target_archE1201ELNS1_3gpuE5ELNS1_3repE0EEENS1_30default_config_static_selectorELNS0_4arch9wavefront6targetE1EEEvT1_,comdat
.Lfunc_end260:
	.size	_ZN7rocprim17ROCPRIM_400000_NS6detail17trampoline_kernelINS0_14default_configENS1_25transform_config_selectorIlLb0EEEZNS1_14transform_implILb0ES3_S5_N6thrust23THRUST_200600_302600_NS10device_ptrIlEEPlNS0_8identityIlEEEE10hipError_tT2_T3_mT4_P12ihipStream_tbEUlT_E_NS1_11comp_targetILNS1_3genE10ELNS1_11target_archE1201ELNS1_3gpuE5ELNS1_3repE0EEENS1_30default_config_static_selectorELNS0_4arch9wavefront6targetE1EEEvT1_, .Lfunc_end260-_ZN7rocprim17ROCPRIM_400000_NS6detail17trampoline_kernelINS0_14default_configENS1_25transform_config_selectorIlLb0EEEZNS1_14transform_implILb0ES3_S5_N6thrust23THRUST_200600_302600_NS10device_ptrIlEEPlNS0_8identityIlEEEE10hipError_tT2_T3_mT4_P12ihipStream_tbEUlT_E_NS1_11comp_targetILNS1_3genE10ELNS1_11target_archE1201ELNS1_3gpuE5ELNS1_3repE0EEENS1_30default_config_static_selectorELNS0_4arch9wavefront6targetE1EEEvT1_
                                        ; -- End function
	.section	.AMDGPU.csdata,"",@progbits
; Kernel info:
; codeLenInByte = 0
; NumSgprs: 4
; NumVgprs: 0
; NumAgprs: 0
; TotalNumVgprs: 0
; ScratchSize: 0
; MemoryBound: 0
; FloatMode: 240
; IeeeMode: 1
; LDSByteSize: 0 bytes/workgroup (compile time only)
; SGPRBlocks: 0
; VGPRBlocks: 0
; NumSGPRsForWavesPerEU: 4
; NumVGPRsForWavesPerEU: 1
; AccumOffset: 4
; Occupancy: 8
; WaveLimiterHint : 0
; COMPUTE_PGM_RSRC2:SCRATCH_EN: 0
; COMPUTE_PGM_RSRC2:USER_SGPR: 6
; COMPUTE_PGM_RSRC2:TRAP_HANDLER: 0
; COMPUTE_PGM_RSRC2:TGID_X_EN: 1
; COMPUTE_PGM_RSRC2:TGID_Y_EN: 0
; COMPUTE_PGM_RSRC2:TGID_Z_EN: 0
; COMPUTE_PGM_RSRC2:TIDIG_COMP_CNT: 0
; COMPUTE_PGM_RSRC3_GFX90A:ACCUM_OFFSET: 0
; COMPUTE_PGM_RSRC3_GFX90A:TG_SPLIT: 0
	.section	.text._ZN7rocprim17ROCPRIM_400000_NS6detail17trampoline_kernelINS0_14default_configENS1_25transform_config_selectorIlLb0EEEZNS1_14transform_implILb0ES3_S5_N6thrust23THRUST_200600_302600_NS10device_ptrIlEEPlNS0_8identityIlEEEE10hipError_tT2_T3_mT4_P12ihipStream_tbEUlT_E_NS1_11comp_targetILNS1_3genE10ELNS1_11target_archE1200ELNS1_3gpuE4ELNS1_3repE0EEENS1_30default_config_static_selectorELNS0_4arch9wavefront6targetE1EEEvT1_,"axG",@progbits,_ZN7rocprim17ROCPRIM_400000_NS6detail17trampoline_kernelINS0_14default_configENS1_25transform_config_selectorIlLb0EEEZNS1_14transform_implILb0ES3_S5_N6thrust23THRUST_200600_302600_NS10device_ptrIlEEPlNS0_8identityIlEEEE10hipError_tT2_T3_mT4_P12ihipStream_tbEUlT_E_NS1_11comp_targetILNS1_3genE10ELNS1_11target_archE1200ELNS1_3gpuE4ELNS1_3repE0EEENS1_30default_config_static_selectorELNS0_4arch9wavefront6targetE1EEEvT1_,comdat
	.protected	_ZN7rocprim17ROCPRIM_400000_NS6detail17trampoline_kernelINS0_14default_configENS1_25transform_config_selectorIlLb0EEEZNS1_14transform_implILb0ES3_S5_N6thrust23THRUST_200600_302600_NS10device_ptrIlEEPlNS0_8identityIlEEEE10hipError_tT2_T3_mT4_P12ihipStream_tbEUlT_E_NS1_11comp_targetILNS1_3genE10ELNS1_11target_archE1200ELNS1_3gpuE4ELNS1_3repE0EEENS1_30default_config_static_selectorELNS0_4arch9wavefront6targetE1EEEvT1_ ; -- Begin function _ZN7rocprim17ROCPRIM_400000_NS6detail17trampoline_kernelINS0_14default_configENS1_25transform_config_selectorIlLb0EEEZNS1_14transform_implILb0ES3_S5_N6thrust23THRUST_200600_302600_NS10device_ptrIlEEPlNS0_8identityIlEEEE10hipError_tT2_T3_mT4_P12ihipStream_tbEUlT_E_NS1_11comp_targetILNS1_3genE10ELNS1_11target_archE1200ELNS1_3gpuE4ELNS1_3repE0EEENS1_30default_config_static_selectorELNS0_4arch9wavefront6targetE1EEEvT1_
	.globl	_ZN7rocprim17ROCPRIM_400000_NS6detail17trampoline_kernelINS0_14default_configENS1_25transform_config_selectorIlLb0EEEZNS1_14transform_implILb0ES3_S5_N6thrust23THRUST_200600_302600_NS10device_ptrIlEEPlNS0_8identityIlEEEE10hipError_tT2_T3_mT4_P12ihipStream_tbEUlT_E_NS1_11comp_targetILNS1_3genE10ELNS1_11target_archE1200ELNS1_3gpuE4ELNS1_3repE0EEENS1_30default_config_static_selectorELNS0_4arch9wavefront6targetE1EEEvT1_
	.p2align	8
	.type	_ZN7rocprim17ROCPRIM_400000_NS6detail17trampoline_kernelINS0_14default_configENS1_25transform_config_selectorIlLb0EEEZNS1_14transform_implILb0ES3_S5_N6thrust23THRUST_200600_302600_NS10device_ptrIlEEPlNS0_8identityIlEEEE10hipError_tT2_T3_mT4_P12ihipStream_tbEUlT_E_NS1_11comp_targetILNS1_3genE10ELNS1_11target_archE1200ELNS1_3gpuE4ELNS1_3repE0EEENS1_30default_config_static_selectorELNS0_4arch9wavefront6targetE1EEEvT1_,@function
_ZN7rocprim17ROCPRIM_400000_NS6detail17trampoline_kernelINS0_14default_configENS1_25transform_config_selectorIlLb0EEEZNS1_14transform_implILb0ES3_S5_N6thrust23THRUST_200600_302600_NS10device_ptrIlEEPlNS0_8identityIlEEEE10hipError_tT2_T3_mT4_P12ihipStream_tbEUlT_E_NS1_11comp_targetILNS1_3genE10ELNS1_11target_archE1200ELNS1_3gpuE4ELNS1_3repE0EEENS1_30default_config_static_selectorELNS0_4arch9wavefront6targetE1EEEvT1_: ; @_ZN7rocprim17ROCPRIM_400000_NS6detail17trampoline_kernelINS0_14default_configENS1_25transform_config_selectorIlLb0EEEZNS1_14transform_implILb0ES3_S5_N6thrust23THRUST_200600_302600_NS10device_ptrIlEEPlNS0_8identityIlEEEE10hipError_tT2_T3_mT4_P12ihipStream_tbEUlT_E_NS1_11comp_targetILNS1_3genE10ELNS1_11target_archE1200ELNS1_3gpuE4ELNS1_3repE0EEENS1_30default_config_static_selectorELNS0_4arch9wavefront6targetE1EEEvT1_
; %bb.0:
	.section	.rodata,"a",@progbits
	.p2align	6, 0x0
	.amdhsa_kernel _ZN7rocprim17ROCPRIM_400000_NS6detail17trampoline_kernelINS0_14default_configENS1_25transform_config_selectorIlLb0EEEZNS1_14transform_implILb0ES3_S5_N6thrust23THRUST_200600_302600_NS10device_ptrIlEEPlNS0_8identityIlEEEE10hipError_tT2_T3_mT4_P12ihipStream_tbEUlT_E_NS1_11comp_targetILNS1_3genE10ELNS1_11target_archE1200ELNS1_3gpuE4ELNS1_3repE0EEENS1_30default_config_static_selectorELNS0_4arch9wavefront6targetE1EEEvT1_
		.amdhsa_group_segment_fixed_size 0
		.amdhsa_private_segment_fixed_size 0
		.amdhsa_kernarg_size 40
		.amdhsa_user_sgpr_count 6
		.amdhsa_user_sgpr_private_segment_buffer 1
		.amdhsa_user_sgpr_dispatch_ptr 0
		.amdhsa_user_sgpr_queue_ptr 0
		.amdhsa_user_sgpr_kernarg_segment_ptr 1
		.amdhsa_user_sgpr_dispatch_id 0
		.amdhsa_user_sgpr_flat_scratch_init 0
		.amdhsa_user_sgpr_kernarg_preload_length 0
		.amdhsa_user_sgpr_kernarg_preload_offset 0
		.amdhsa_user_sgpr_private_segment_size 0
		.amdhsa_uses_dynamic_stack 0
		.amdhsa_system_sgpr_private_segment_wavefront_offset 0
		.amdhsa_system_sgpr_workgroup_id_x 1
		.amdhsa_system_sgpr_workgroup_id_y 0
		.amdhsa_system_sgpr_workgroup_id_z 0
		.amdhsa_system_sgpr_workgroup_info 0
		.amdhsa_system_vgpr_workitem_id 0
		.amdhsa_next_free_vgpr 1
		.amdhsa_next_free_sgpr 0
		.amdhsa_accum_offset 4
		.amdhsa_reserve_vcc 0
		.amdhsa_reserve_flat_scratch 0
		.amdhsa_float_round_mode_32 0
		.amdhsa_float_round_mode_16_64 0
		.amdhsa_float_denorm_mode_32 3
		.amdhsa_float_denorm_mode_16_64 3
		.amdhsa_dx10_clamp 1
		.amdhsa_ieee_mode 1
		.amdhsa_fp16_overflow 0
		.amdhsa_tg_split 0
		.amdhsa_exception_fp_ieee_invalid_op 0
		.amdhsa_exception_fp_denorm_src 0
		.amdhsa_exception_fp_ieee_div_zero 0
		.amdhsa_exception_fp_ieee_overflow 0
		.amdhsa_exception_fp_ieee_underflow 0
		.amdhsa_exception_fp_ieee_inexact 0
		.amdhsa_exception_int_div_zero 0
	.end_amdhsa_kernel
	.section	.text._ZN7rocprim17ROCPRIM_400000_NS6detail17trampoline_kernelINS0_14default_configENS1_25transform_config_selectorIlLb0EEEZNS1_14transform_implILb0ES3_S5_N6thrust23THRUST_200600_302600_NS10device_ptrIlEEPlNS0_8identityIlEEEE10hipError_tT2_T3_mT4_P12ihipStream_tbEUlT_E_NS1_11comp_targetILNS1_3genE10ELNS1_11target_archE1200ELNS1_3gpuE4ELNS1_3repE0EEENS1_30default_config_static_selectorELNS0_4arch9wavefront6targetE1EEEvT1_,"axG",@progbits,_ZN7rocprim17ROCPRIM_400000_NS6detail17trampoline_kernelINS0_14default_configENS1_25transform_config_selectorIlLb0EEEZNS1_14transform_implILb0ES3_S5_N6thrust23THRUST_200600_302600_NS10device_ptrIlEEPlNS0_8identityIlEEEE10hipError_tT2_T3_mT4_P12ihipStream_tbEUlT_E_NS1_11comp_targetILNS1_3genE10ELNS1_11target_archE1200ELNS1_3gpuE4ELNS1_3repE0EEENS1_30default_config_static_selectorELNS0_4arch9wavefront6targetE1EEEvT1_,comdat
.Lfunc_end261:
	.size	_ZN7rocprim17ROCPRIM_400000_NS6detail17trampoline_kernelINS0_14default_configENS1_25transform_config_selectorIlLb0EEEZNS1_14transform_implILb0ES3_S5_N6thrust23THRUST_200600_302600_NS10device_ptrIlEEPlNS0_8identityIlEEEE10hipError_tT2_T3_mT4_P12ihipStream_tbEUlT_E_NS1_11comp_targetILNS1_3genE10ELNS1_11target_archE1200ELNS1_3gpuE4ELNS1_3repE0EEENS1_30default_config_static_selectorELNS0_4arch9wavefront6targetE1EEEvT1_, .Lfunc_end261-_ZN7rocprim17ROCPRIM_400000_NS6detail17trampoline_kernelINS0_14default_configENS1_25transform_config_selectorIlLb0EEEZNS1_14transform_implILb0ES3_S5_N6thrust23THRUST_200600_302600_NS10device_ptrIlEEPlNS0_8identityIlEEEE10hipError_tT2_T3_mT4_P12ihipStream_tbEUlT_E_NS1_11comp_targetILNS1_3genE10ELNS1_11target_archE1200ELNS1_3gpuE4ELNS1_3repE0EEENS1_30default_config_static_selectorELNS0_4arch9wavefront6targetE1EEEvT1_
                                        ; -- End function
	.section	.AMDGPU.csdata,"",@progbits
; Kernel info:
; codeLenInByte = 0
; NumSgprs: 4
; NumVgprs: 0
; NumAgprs: 0
; TotalNumVgprs: 0
; ScratchSize: 0
; MemoryBound: 0
; FloatMode: 240
; IeeeMode: 1
; LDSByteSize: 0 bytes/workgroup (compile time only)
; SGPRBlocks: 0
; VGPRBlocks: 0
; NumSGPRsForWavesPerEU: 4
; NumVGPRsForWavesPerEU: 1
; AccumOffset: 4
; Occupancy: 8
; WaveLimiterHint : 0
; COMPUTE_PGM_RSRC2:SCRATCH_EN: 0
; COMPUTE_PGM_RSRC2:USER_SGPR: 6
; COMPUTE_PGM_RSRC2:TRAP_HANDLER: 0
; COMPUTE_PGM_RSRC2:TGID_X_EN: 1
; COMPUTE_PGM_RSRC2:TGID_Y_EN: 0
; COMPUTE_PGM_RSRC2:TGID_Z_EN: 0
; COMPUTE_PGM_RSRC2:TIDIG_COMP_CNT: 0
; COMPUTE_PGM_RSRC3_GFX90A:ACCUM_OFFSET: 0
; COMPUTE_PGM_RSRC3_GFX90A:TG_SPLIT: 0
	.section	.text._ZN7rocprim17ROCPRIM_400000_NS6detail17trampoline_kernelINS0_14default_configENS1_25transform_config_selectorIlLb0EEEZNS1_14transform_implILb0ES3_S5_N6thrust23THRUST_200600_302600_NS10device_ptrIlEEPlNS0_8identityIlEEEE10hipError_tT2_T3_mT4_P12ihipStream_tbEUlT_E_NS1_11comp_targetILNS1_3genE9ELNS1_11target_archE1100ELNS1_3gpuE3ELNS1_3repE0EEENS1_30default_config_static_selectorELNS0_4arch9wavefront6targetE1EEEvT1_,"axG",@progbits,_ZN7rocprim17ROCPRIM_400000_NS6detail17trampoline_kernelINS0_14default_configENS1_25transform_config_selectorIlLb0EEEZNS1_14transform_implILb0ES3_S5_N6thrust23THRUST_200600_302600_NS10device_ptrIlEEPlNS0_8identityIlEEEE10hipError_tT2_T3_mT4_P12ihipStream_tbEUlT_E_NS1_11comp_targetILNS1_3genE9ELNS1_11target_archE1100ELNS1_3gpuE3ELNS1_3repE0EEENS1_30default_config_static_selectorELNS0_4arch9wavefront6targetE1EEEvT1_,comdat
	.protected	_ZN7rocprim17ROCPRIM_400000_NS6detail17trampoline_kernelINS0_14default_configENS1_25transform_config_selectorIlLb0EEEZNS1_14transform_implILb0ES3_S5_N6thrust23THRUST_200600_302600_NS10device_ptrIlEEPlNS0_8identityIlEEEE10hipError_tT2_T3_mT4_P12ihipStream_tbEUlT_E_NS1_11comp_targetILNS1_3genE9ELNS1_11target_archE1100ELNS1_3gpuE3ELNS1_3repE0EEENS1_30default_config_static_selectorELNS0_4arch9wavefront6targetE1EEEvT1_ ; -- Begin function _ZN7rocprim17ROCPRIM_400000_NS6detail17trampoline_kernelINS0_14default_configENS1_25transform_config_selectorIlLb0EEEZNS1_14transform_implILb0ES3_S5_N6thrust23THRUST_200600_302600_NS10device_ptrIlEEPlNS0_8identityIlEEEE10hipError_tT2_T3_mT4_P12ihipStream_tbEUlT_E_NS1_11comp_targetILNS1_3genE9ELNS1_11target_archE1100ELNS1_3gpuE3ELNS1_3repE0EEENS1_30default_config_static_selectorELNS0_4arch9wavefront6targetE1EEEvT1_
	.globl	_ZN7rocprim17ROCPRIM_400000_NS6detail17trampoline_kernelINS0_14default_configENS1_25transform_config_selectorIlLb0EEEZNS1_14transform_implILb0ES3_S5_N6thrust23THRUST_200600_302600_NS10device_ptrIlEEPlNS0_8identityIlEEEE10hipError_tT2_T3_mT4_P12ihipStream_tbEUlT_E_NS1_11comp_targetILNS1_3genE9ELNS1_11target_archE1100ELNS1_3gpuE3ELNS1_3repE0EEENS1_30default_config_static_selectorELNS0_4arch9wavefront6targetE1EEEvT1_
	.p2align	8
	.type	_ZN7rocprim17ROCPRIM_400000_NS6detail17trampoline_kernelINS0_14default_configENS1_25transform_config_selectorIlLb0EEEZNS1_14transform_implILb0ES3_S5_N6thrust23THRUST_200600_302600_NS10device_ptrIlEEPlNS0_8identityIlEEEE10hipError_tT2_T3_mT4_P12ihipStream_tbEUlT_E_NS1_11comp_targetILNS1_3genE9ELNS1_11target_archE1100ELNS1_3gpuE3ELNS1_3repE0EEENS1_30default_config_static_selectorELNS0_4arch9wavefront6targetE1EEEvT1_,@function
_ZN7rocprim17ROCPRIM_400000_NS6detail17trampoline_kernelINS0_14default_configENS1_25transform_config_selectorIlLb0EEEZNS1_14transform_implILb0ES3_S5_N6thrust23THRUST_200600_302600_NS10device_ptrIlEEPlNS0_8identityIlEEEE10hipError_tT2_T3_mT4_P12ihipStream_tbEUlT_E_NS1_11comp_targetILNS1_3genE9ELNS1_11target_archE1100ELNS1_3gpuE3ELNS1_3repE0EEENS1_30default_config_static_selectorELNS0_4arch9wavefront6targetE1EEEvT1_: ; @_ZN7rocprim17ROCPRIM_400000_NS6detail17trampoline_kernelINS0_14default_configENS1_25transform_config_selectorIlLb0EEEZNS1_14transform_implILb0ES3_S5_N6thrust23THRUST_200600_302600_NS10device_ptrIlEEPlNS0_8identityIlEEEE10hipError_tT2_T3_mT4_P12ihipStream_tbEUlT_E_NS1_11comp_targetILNS1_3genE9ELNS1_11target_archE1100ELNS1_3gpuE3ELNS1_3repE0EEENS1_30default_config_static_selectorELNS0_4arch9wavefront6targetE1EEEvT1_
; %bb.0:
	.section	.rodata,"a",@progbits
	.p2align	6, 0x0
	.amdhsa_kernel _ZN7rocprim17ROCPRIM_400000_NS6detail17trampoline_kernelINS0_14default_configENS1_25transform_config_selectorIlLb0EEEZNS1_14transform_implILb0ES3_S5_N6thrust23THRUST_200600_302600_NS10device_ptrIlEEPlNS0_8identityIlEEEE10hipError_tT2_T3_mT4_P12ihipStream_tbEUlT_E_NS1_11comp_targetILNS1_3genE9ELNS1_11target_archE1100ELNS1_3gpuE3ELNS1_3repE0EEENS1_30default_config_static_selectorELNS0_4arch9wavefront6targetE1EEEvT1_
		.amdhsa_group_segment_fixed_size 0
		.amdhsa_private_segment_fixed_size 0
		.amdhsa_kernarg_size 40
		.amdhsa_user_sgpr_count 6
		.amdhsa_user_sgpr_private_segment_buffer 1
		.amdhsa_user_sgpr_dispatch_ptr 0
		.amdhsa_user_sgpr_queue_ptr 0
		.amdhsa_user_sgpr_kernarg_segment_ptr 1
		.amdhsa_user_sgpr_dispatch_id 0
		.amdhsa_user_sgpr_flat_scratch_init 0
		.amdhsa_user_sgpr_kernarg_preload_length 0
		.amdhsa_user_sgpr_kernarg_preload_offset 0
		.amdhsa_user_sgpr_private_segment_size 0
		.amdhsa_uses_dynamic_stack 0
		.amdhsa_system_sgpr_private_segment_wavefront_offset 0
		.amdhsa_system_sgpr_workgroup_id_x 1
		.amdhsa_system_sgpr_workgroup_id_y 0
		.amdhsa_system_sgpr_workgroup_id_z 0
		.amdhsa_system_sgpr_workgroup_info 0
		.amdhsa_system_vgpr_workitem_id 0
		.amdhsa_next_free_vgpr 1
		.amdhsa_next_free_sgpr 0
		.amdhsa_accum_offset 4
		.amdhsa_reserve_vcc 0
		.amdhsa_reserve_flat_scratch 0
		.amdhsa_float_round_mode_32 0
		.amdhsa_float_round_mode_16_64 0
		.amdhsa_float_denorm_mode_32 3
		.amdhsa_float_denorm_mode_16_64 3
		.amdhsa_dx10_clamp 1
		.amdhsa_ieee_mode 1
		.amdhsa_fp16_overflow 0
		.amdhsa_tg_split 0
		.amdhsa_exception_fp_ieee_invalid_op 0
		.amdhsa_exception_fp_denorm_src 0
		.amdhsa_exception_fp_ieee_div_zero 0
		.amdhsa_exception_fp_ieee_overflow 0
		.amdhsa_exception_fp_ieee_underflow 0
		.amdhsa_exception_fp_ieee_inexact 0
		.amdhsa_exception_int_div_zero 0
	.end_amdhsa_kernel
	.section	.text._ZN7rocprim17ROCPRIM_400000_NS6detail17trampoline_kernelINS0_14default_configENS1_25transform_config_selectorIlLb0EEEZNS1_14transform_implILb0ES3_S5_N6thrust23THRUST_200600_302600_NS10device_ptrIlEEPlNS0_8identityIlEEEE10hipError_tT2_T3_mT4_P12ihipStream_tbEUlT_E_NS1_11comp_targetILNS1_3genE9ELNS1_11target_archE1100ELNS1_3gpuE3ELNS1_3repE0EEENS1_30default_config_static_selectorELNS0_4arch9wavefront6targetE1EEEvT1_,"axG",@progbits,_ZN7rocprim17ROCPRIM_400000_NS6detail17trampoline_kernelINS0_14default_configENS1_25transform_config_selectorIlLb0EEEZNS1_14transform_implILb0ES3_S5_N6thrust23THRUST_200600_302600_NS10device_ptrIlEEPlNS0_8identityIlEEEE10hipError_tT2_T3_mT4_P12ihipStream_tbEUlT_E_NS1_11comp_targetILNS1_3genE9ELNS1_11target_archE1100ELNS1_3gpuE3ELNS1_3repE0EEENS1_30default_config_static_selectorELNS0_4arch9wavefront6targetE1EEEvT1_,comdat
.Lfunc_end262:
	.size	_ZN7rocprim17ROCPRIM_400000_NS6detail17trampoline_kernelINS0_14default_configENS1_25transform_config_selectorIlLb0EEEZNS1_14transform_implILb0ES3_S5_N6thrust23THRUST_200600_302600_NS10device_ptrIlEEPlNS0_8identityIlEEEE10hipError_tT2_T3_mT4_P12ihipStream_tbEUlT_E_NS1_11comp_targetILNS1_3genE9ELNS1_11target_archE1100ELNS1_3gpuE3ELNS1_3repE0EEENS1_30default_config_static_selectorELNS0_4arch9wavefront6targetE1EEEvT1_, .Lfunc_end262-_ZN7rocprim17ROCPRIM_400000_NS6detail17trampoline_kernelINS0_14default_configENS1_25transform_config_selectorIlLb0EEEZNS1_14transform_implILb0ES3_S5_N6thrust23THRUST_200600_302600_NS10device_ptrIlEEPlNS0_8identityIlEEEE10hipError_tT2_T3_mT4_P12ihipStream_tbEUlT_E_NS1_11comp_targetILNS1_3genE9ELNS1_11target_archE1100ELNS1_3gpuE3ELNS1_3repE0EEENS1_30default_config_static_selectorELNS0_4arch9wavefront6targetE1EEEvT1_
                                        ; -- End function
	.section	.AMDGPU.csdata,"",@progbits
; Kernel info:
; codeLenInByte = 0
; NumSgprs: 4
; NumVgprs: 0
; NumAgprs: 0
; TotalNumVgprs: 0
; ScratchSize: 0
; MemoryBound: 0
; FloatMode: 240
; IeeeMode: 1
; LDSByteSize: 0 bytes/workgroup (compile time only)
; SGPRBlocks: 0
; VGPRBlocks: 0
; NumSGPRsForWavesPerEU: 4
; NumVGPRsForWavesPerEU: 1
; AccumOffset: 4
; Occupancy: 8
; WaveLimiterHint : 0
; COMPUTE_PGM_RSRC2:SCRATCH_EN: 0
; COMPUTE_PGM_RSRC2:USER_SGPR: 6
; COMPUTE_PGM_RSRC2:TRAP_HANDLER: 0
; COMPUTE_PGM_RSRC2:TGID_X_EN: 1
; COMPUTE_PGM_RSRC2:TGID_Y_EN: 0
; COMPUTE_PGM_RSRC2:TGID_Z_EN: 0
; COMPUTE_PGM_RSRC2:TIDIG_COMP_CNT: 0
; COMPUTE_PGM_RSRC3_GFX90A:ACCUM_OFFSET: 0
; COMPUTE_PGM_RSRC3_GFX90A:TG_SPLIT: 0
	.section	.text._ZN7rocprim17ROCPRIM_400000_NS6detail17trampoline_kernelINS0_14default_configENS1_25transform_config_selectorIlLb0EEEZNS1_14transform_implILb0ES3_S5_N6thrust23THRUST_200600_302600_NS10device_ptrIlEEPlNS0_8identityIlEEEE10hipError_tT2_T3_mT4_P12ihipStream_tbEUlT_E_NS1_11comp_targetILNS1_3genE8ELNS1_11target_archE1030ELNS1_3gpuE2ELNS1_3repE0EEENS1_30default_config_static_selectorELNS0_4arch9wavefront6targetE1EEEvT1_,"axG",@progbits,_ZN7rocprim17ROCPRIM_400000_NS6detail17trampoline_kernelINS0_14default_configENS1_25transform_config_selectorIlLb0EEEZNS1_14transform_implILb0ES3_S5_N6thrust23THRUST_200600_302600_NS10device_ptrIlEEPlNS0_8identityIlEEEE10hipError_tT2_T3_mT4_P12ihipStream_tbEUlT_E_NS1_11comp_targetILNS1_3genE8ELNS1_11target_archE1030ELNS1_3gpuE2ELNS1_3repE0EEENS1_30default_config_static_selectorELNS0_4arch9wavefront6targetE1EEEvT1_,comdat
	.protected	_ZN7rocprim17ROCPRIM_400000_NS6detail17trampoline_kernelINS0_14default_configENS1_25transform_config_selectorIlLb0EEEZNS1_14transform_implILb0ES3_S5_N6thrust23THRUST_200600_302600_NS10device_ptrIlEEPlNS0_8identityIlEEEE10hipError_tT2_T3_mT4_P12ihipStream_tbEUlT_E_NS1_11comp_targetILNS1_3genE8ELNS1_11target_archE1030ELNS1_3gpuE2ELNS1_3repE0EEENS1_30default_config_static_selectorELNS0_4arch9wavefront6targetE1EEEvT1_ ; -- Begin function _ZN7rocprim17ROCPRIM_400000_NS6detail17trampoline_kernelINS0_14default_configENS1_25transform_config_selectorIlLb0EEEZNS1_14transform_implILb0ES3_S5_N6thrust23THRUST_200600_302600_NS10device_ptrIlEEPlNS0_8identityIlEEEE10hipError_tT2_T3_mT4_P12ihipStream_tbEUlT_E_NS1_11comp_targetILNS1_3genE8ELNS1_11target_archE1030ELNS1_3gpuE2ELNS1_3repE0EEENS1_30default_config_static_selectorELNS0_4arch9wavefront6targetE1EEEvT1_
	.globl	_ZN7rocprim17ROCPRIM_400000_NS6detail17trampoline_kernelINS0_14default_configENS1_25transform_config_selectorIlLb0EEEZNS1_14transform_implILb0ES3_S5_N6thrust23THRUST_200600_302600_NS10device_ptrIlEEPlNS0_8identityIlEEEE10hipError_tT2_T3_mT4_P12ihipStream_tbEUlT_E_NS1_11comp_targetILNS1_3genE8ELNS1_11target_archE1030ELNS1_3gpuE2ELNS1_3repE0EEENS1_30default_config_static_selectorELNS0_4arch9wavefront6targetE1EEEvT1_
	.p2align	8
	.type	_ZN7rocprim17ROCPRIM_400000_NS6detail17trampoline_kernelINS0_14default_configENS1_25transform_config_selectorIlLb0EEEZNS1_14transform_implILb0ES3_S5_N6thrust23THRUST_200600_302600_NS10device_ptrIlEEPlNS0_8identityIlEEEE10hipError_tT2_T3_mT4_P12ihipStream_tbEUlT_E_NS1_11comp_targetILNS1_3genE8ELNS1_11target_archE1030ELNS1_3gpuE2ELNS1_3repE0EEENS1_30default_config_static_selectorELNS0_4arch9wavefront6targetE1EEEvT1_,@function
_ZN7rocprim17ROCPRIM_400000_NS6detail17trampoline_kernelINS0_14default_configENS1_25transform_config_selectorIlLb0EEEZNS1_14transform_implILb0ES3_S5_N6thrust23THRUST_200600_302600_NS10device_ptrIlEEPlNS0_8identityIlEEEE10hipError_tT2_T3_mT4_P12ihipStream_tbEUlT_E_NS1_11comp_targetILNS1_3genE8ELNS1_11target_archE1030ELNS1_3gpuE2ELNS1_3repE0EEENS1_30default_config_static_selectorELNS0_4arch9wavefront6targetE1EEEvT1_: ; @_ZN7rocprim17ROCPRIM_400000_NS6detail17trampoline_kernelINS0_14default_configENS1_25transform_config_selectorIlLb0EEEZNS1_14transform_implILb0ES3_S5_N6thrust23THRUST_200600_302600_NS10device_ptrIlEEPlNS0_8identityIlEEEE10hipError_tT2_T3_mT4_P12ihipStream_tbEUlT_E_NS1_11comp_targetILNS1_3genE8ELNS1_11target_archE1030ELNS1_3gpuE2ELNS1_3repE0EEENS1_30default_config_static_selectorELNS0_4arch9wavefront6targetE1EEEvT1_
; %bb.0:
	.section	.rodata,"a",@progbits
	.p2align	6, 0x0
	.amdhsa_kernel _ZN7rocprim17ROCPRIM_400000_NS6detail17trampoline_kernelINS0_14default_configENS1_25transform_config_selectorIlLb0EEEZNS1_14transform_implILb0ES3_S5_N6thrust23THRUST_200600_302600_NS10device_ptrIlEEPlNS0_8identityIlEEEE10hipError_tT2_T3_mT4_P12ihipStream_tbEUlT_E_NS1_11comp_targetILNS1_3genE8ELNS1_11target_archE1030ELNS1_3gpuE2ELNS1_3repE0EEENS1_30default_config_static_selectorELNS0_4arch9wavefront6targetE1EEEvT1_
		.amdhsa_group_segment_fixed_size 0
		.amdhsa_private_segment_fixed_size 0
		.amdhsa_kernarg_size 40
		.amdhsa_user_sgpr_count 6
		.amdhsa_user_sgpr_private_segment_buffer 1
		.amdhsa_user_sgpr_dispatch_ptr 0
		.amdhsa_user_sgpr_queue_ptr 0
		.amdhsa_user_sgpr_kernarg_segment_ptr 1
		.amdhsa_user_sgpr_dispatch_id 0
		.amdhsa_user_sgpr_flat_scratch_init 0
		.amdhsa_user_sgpr_kernarg_preload_length 0
		.amdhsa_user_sgpr_kernarg_preload_offset 0
		.amdhsa_user_sgpr_private_segment_size 0
		.amdhsa_uses_dynamic_stack 0
		.amdhsa_system_sgpr_private_segment_wavefront_offset 0
		.amdhsa_system_sgpr_workgroup_id_x 1
		.amdhsa_system_sgpr_workgroup_id_y 0
		.amdhsa_system_sgpr_workgroup_id_z 0
		.amdhsa_system_sgpr_workgroup_info 0
		.amdhsa_system_vgpr_workitem_id 0
		.amdhsa_next_free_vgpr 1
		.amdhsa_next_free_sgpr 0
		.amdhsa_accum_offset 4
		.amdhsa_reserve_vcc 0
		.amdhsa_reserve_flat_scratch 0
		.amdhsa_float_round_mode_32 0
		.amdhsa_float_round_mode_16_64 0
		.amdhsa_float_denorm_mode_32 3
		.amdhsa_float_denorm_mode_16_64 3
		.amdhsa_dx10_clamp 1
		.amdhsa_ieee_mode 1
		.amdhsa_fp16_overflow 0
		.amdhsa_tg_split 0
		.amdhsa_exception_fp_ieee_invalid_op 0
		.amdhsa_exception_fp_denorm_src 0
		.amdhsa_exception_fp_ieee_div_zero 0
		.amdhsa_exception_fp_ieee_overflow 0
		.amdhsa_exception_fp_ieee_underflow 0
		.amdhsa_exception_fp_ieee_inexact 0
		.amdhsa_exception_int_div_zero 0
	.end_amdhsa_kernel
	.section	.text._ZN7rocprim17ROCPRIM_400000_NS6detail17trampoline_kernelINS0_14default_configENS1_25transform_config_selectorIlLb0EEEZNS1_14transform_implILb0ES3_S5_N6thrust23THRUST_200600_302600_NS10device_ptrIlEEPlNS0_8identityIlEEEE10hipError_tT2_T3_mT4_P12ihipStream_tbEUlT_E_NS1_11comp_targetILNS1_3genE8ELNS1_11target_archE1030ELNS1_3gpuE2ELNS1_3repE0EEENS1_30default_config_static_selectorELNS0_4arch9wavefront6targetE1EEEvT1_,"axG",@progbits,_ZN7rocprim17ROCPRIM_400000_NS6detail17trampoline_kernelINS0_14default_configENS1_25transform_config_selectorIlLb0EEEZNS1_14transform_implILb0ES3_S5_N6thrust23THRUST_200600_302600_NS10device_ptrIlEEPlNS0_8identityIlEEEE10hipError_tT2_T3_mT4_P12ihipStream_tbEUlT_E_NS1_11comp_targetILNS1_3genE8ELNS1_11target_archE1030ELNS1_3gpuE2ELNS1_3repE0EEENS1_30default_config_static_selectorELNS0_4arch9wavefront6targetE1EEEvT1_,comdat
.Lfunc_end263:
	.size	_ZN7rocprim17ROCPRIM_400000_NS6detail17trampoline_kernelINS0_14default_configENS1_25transform_config_selectorIlLb0EEEZNS1_14transform_implILb0ES3_S5_N6thrust23THRUST_200600_302600_NS10device_ptrIlEEPlNS0_8identityIlEEEE10hipError_tT2_T3_mT4_P12ihipStream_tbEUlT_E_NS1_11comp_targetILNS1_3genE8ELNS1_11target_archE1030ELNS1_3gpuE2ELNS1_3repE0EEENS1_30default_config_static_selectorELNS0_4arch9wavefront6targetE1EEEvT1_, .Lfunc_end263-_ZN7rocprim17ROCPRIM_400000_NS6detail17trampoline_kernelINS0_14default_configENS1_25transform_config_selectorIlLb0EEEZNS1_14transform_implILb0ES3_S5_N6thrust23THRUST_200600_302600_NS10device_ptrIlEEPlNS0_8identityIlEEEE10hipError_tT2_T3_mT4_P12ihipStream_tbEUlT_E_NS1_11comp_targetILNS1_3genE8ELNS1_11target_archE1030ELNS1_3gpuE2ELNS1_3repE0EEENS1_30default_config_static_selectorELNS0_4arch9wavefront6targetE1EEEvT1_
                                        ; -- End function
	.section	.AMDGPU.csdata,"",@progbits
; Kernel info:
; codeLenInByte = 0
; NumSgprs: 4
; NumVgprs: 0
; NumAgprs: 0
; TotalNumVgprs: 0
; ScratchSize: 0
; MemoryBound: 0
; FloatMode: 240
; IeeeMode: 1
; LDSByteSize: 0 bytes/workgroup (compile time only)
; SGPRBlocks: 0
; VGPRBlocks: 0
; NumSGPRsForWavesPerEU: 4
; NumVGPRsForWavesPerEU: 1
; AccumOffset: 4
; Occupancy: 8
; WaveLimiterHint : 0
; COMPUTE_PGM_RSRC2:SCRATCH_EN: 0
; COMPUTE_PGM_RSRC2:USER_SGPR: 6
; COMPUTE_PGM_RSRC2:TRAP_HANDLER: 0
; COMPUTE_PGM_RSRC2:TGID_X_EN: 1
; COMPUTE_PGM_RSRC2:TGID_Y_EN: 0
; COMPUTE_PGM_RSRC2:TGID_Z_EN: 0
; COMPUTE_PGM_RSRC2:TIDIG_COMP_CNT: 0
; COMPUTE_PGM_RSRC3_GFX90A:ACCUM_OFFSET: 0
; COMPUTE_PGM_RSRC3_GFX90A:TG_SPLIT: 0
	.section	.text._ZN7rocprim17ROCPRIM_400000_NS6detail17trampoline_kernelINS0_14default_configENS1_35radix_sort_onesweep_config_selectorIhlEEZZNS1_29radix_sort_onesweep_iterationIS3_Lb0EPhS7_N6thrust23THRUST_200600_302600_NS10device_ptrIlEESB_jNS0_19identity_decomposerENS1_16block_id_wrapperIjLb1EEEEE10hipError_tT1_PNSt15iterator_traitsISG_E10value_typeET2_T3_PNSH_ISM_E10value_typeET4_T5_PSR_SS_PNS1_23onesweep_lookback_stateEbbT6_jjT7_P12ihipStream_tbENKUlT_T0_SG_SL_E_clIS7_S7_SB_SB_EEDaSZ_S10_SG_SL_EUlSZ_E_NS1_11comp_targetILNS1_3genE0ELNS1_11target_archE4294967295ELNS1_3gpuE0ELNS1_3repE0EEENS1_47radix_sort_onesweep_sort_config_static_selectorELNS0_4arch9wavefront6targetE1EEEvSG_,"axG",@progbits,_ZN7rocprim17ROCPRIM_400000_NS6detail17trampoline_kernelINS0_14default_configENS1_35radix_sort_onesweep_config_selectorIhlEEZZNS1_29radix_sort_onesweep_iterationIS3_Lb0EPhS7_N6thrust23THRUST_200600_302600_NS10device_ptrIlEESB_jNS0_19identity_decomposerENS1_16block_id_wrapperIjLb1EEEEE10hipError_tT1_PNSt15iterator_traitsISG_E10value_typeET2_T3_PNSH_ISM_E10value_typeET4_T5_PSR_SS_PNS1_23onesweep_lookback_stateEbbT6_jjT7_P12ihipStream_tbENKUlT_T0_SG_SL_E_clIS7_S7_SB_SB_EEDaSZ_S10_SG_SL_EUlSZ_E_NS1_11comp_targetILNS1_3genE0ELNS1_11target_archE4294967295ELNS1_3gpuE0ELNS1_3repE0EEENS1_47radix_sort_onesweep_sort_config_static_selectorELNS0_4arch9wavefront6targetE1EEEvSG_,comdat
	.protected	_ZN7rocprim17ROCPRIM_400000_NS6detail17trampoline_kernelINS0_14default_configENS1_35radix_sort_onesweep_config_selectorIhlEEZZNS1_29radix_sort_onesweep_iterationIS3_Lb0EPhS7_N6thrust23THRUST_200600_302600_NS10device_ptrIlEESB_jNS0_19identity_decomposerENS1_16block_id_wrapperIjLb1EEEEE10hipError_tT1_PNSt15iterator_traitsISG_E10value_typeET2_T3_PNSH_ISM_E10value_typeET4_T5_PSR_SS_PNS1_23onesweep_lookback_stateEbbT6_jjT7_P12ihipStream_tbENKUlT_T0_SG_SL_E_clIS7_S7_SB_SB_EEDaSZ_S10_SG_SL_EUlSZ_E_NS1_11comp_targetILNS1_3genE0ELNS1_11target_archE4294967295ELNS1_3gpuE0ELNS1_3repE0EEENS1_47radix_sort_onesweep_sort_config_static_selectorELNS0_4arch9wavefront6targetE1EEEvSG_ ; -- Begin function _ZN7rocprim17ROCPRIM_400000_NS6detail17trampoline_kernelINS0_14default_configENS1_35radix_sort_onesweep_config_selectorIhlEEZZNS1_29radix_sort_onesweep_iterationIS3_Lb0EPhS7_N6thrust23THRUST_200600_302600_NS10device_ptrIlEESB_jNS0_19identity_decomposerENS1_16block_id_wrapperIjLb1EEEEE10hipError_tT1_PNSt15iterator_traitsISG_E10value_typeET2_T3_PNSH_ISM_E10value_typeET4_T5_PSR_SS_PNS1_23onesweep_lookback_stateEbbT6_jjT7_P12ihipStream_tbENKUlT_T0_SG_SL_E_clIS7_S7_SB_SB_EEDaSZ_S10_SG_SL_EUlSZ_E_NS1_11comp_targetILNS1_3genE0ELNS1_11target_archE4294967295ELNS1_3gpuE0ELNS1_3repE0EEENS1_47radix_sort_onesweep_sort_config_static_selectorELNS0_4arch9wavefront6targetE1EEEvSG_
	.globl	_ZN7rocprim17ROCPRIM_400000_NS6detail17trampoline_kernelINS0_14default_configENS1_35radix_sort_onesweep_config_selectorIhlEEZZNS1_29radix_sort_onesweep_iterationIS3_Lb0EPhS7_N6thrust23THRUST_200600_302600_NS10device_ptrIlEESB_jNS0_19identity_decomposerENS1_16block_id_wrapperIjLb1EEEEE10hipError_tT1_PNSt15iterator_traitsISG_E10value_typeET2_T3_PNSH_ISM_E10value_typeET4_T5_PSR_SS_PNS1_23onesweep_lookback_stateEbbT6_jjT7_P12ihipStream_tbENKUlT_T0_SG_SL_E_clIS7_S7_SB_SB_EEDaSZ_S10_SG_SL_EUlSZ_E_NS1_11comp_targetILNS1_3genE0ELNS1_11target_archE4294967295ELNS1_3gpuE0ELNS1_3repE0EEENS1_47radix_sort_onesweep_sort_config_static_selectorELNS0_4arch9wavefront6targetE1EEEvSG_
	.p2align	8
	.type	_ZN7rocprim17ROCPRIM_400000_NS6detail17trampoline_kernelINS0_14default_configENS1_35radix_sort_onesweep_config_selectorIhlEEZZNS1_29radix_sort_onesweep_iterationIS3_Lb0EPhS7_N6thrust23THRUST_200600_302600_NS10device_ptrIlEESB_jNS0_19identity_decomposerENS1_16block_id_wrapperIjLb1EEEEE10hipError_tT1_PNSt15iterator_traitsISG_E10value_typeET2_T3_PNSH_ISM_E10value_typeET4_T5_PSR_SS_PNS1_23onesweep_lookback_stateEbbT6_jjT7_P12ihipStream_tbENKUlT_T0_SG_SL_E_clIS7_S7_SB_SB_EEDaSZ_S10_SG_SL_EUlSZ_E_NS1_11comp_targetILNS1_3genE0ELNS1_11target_archE4294967295ELNS1_3gpuE0ELNS1_3repE0EEENS1_47radix_sort_onesweep_sort_config_static_selectorELNS0_4arch9wavefront6targetE1EEEvSG_,@function
_ZN7rocprim17ROCPRIM_400000_NS6detail17trampoline_kernelINS0_14default_configENS1_35radix_sort_onesweep_config_selectorIhlEEZZNS1_29radix_sort_onesweep_iterationIS3_Lb0EPhS7_N6thrust23THRUST_200600_302600_NS10device_ptrIlEESB_jNS0_19identity_decomposerENS1_16block_id_wrapperIjLb1EEEEE10hipError_tT1_PNSt15iterator_traitsISG_E10value_typeET2_T3_PNSH_ISM_E10value_typeET4_T5_PSR_SS_PNS1_23onesweep_lookback_stateEbbT6_jjT7_P12ihipStream_tbENKUlT_T0_SG_SL_E_clIS7_S7_SB_SB_EEDaSZ_S10_SG_SL_EUlSZ_E_NS1_11comp_targetILNS1_3genE0ELNS1_11target_archE4294967295ELNS1_3gpuE0ELNS1_3repE0EEENS1_47radix_sort_onesweep_sort_config_static_selectorELNS0_4arch9wavefront6targetE1EEEvSG_: ; @_ZN7rocprim17ROCPRIM_400000_NS6detail17trampoline_kernelINS0_14default_configENS1_35radix_sort_onesweep_config_selectorIhlEEZZNS1_29radix_sort_onesweep_iterationIS3_Lb0EPhS7_N6thrust23THRUST_200600_302600_NS10device_ptrIlEESB_jNS0_19identity_decomposerENS1_16block_id_wrapperIjLb1EEEEE10hipError_tT1_PNSt15iterator_traitsISG_E10value_typeET2_T3_PNSH_ISM_E10value_typeET4_T5_PSR_SS_PNS1_23onesweep_lookback_stateEbbT6_jjT7_P12ihipStream_tbENKUlT_T0_SG_SL_E_clIS7_S7_SB_SB_EEDaSZ_S10_SG_SL_EUlSZ_E_NS1_11comp_targetILNS1_3genE0ELNS1_11target_archE4294967295ELNS1_3gpuE0ELNS1_3repE0EEENS1_47radix_sort_onesweep_sort_config_static_selectorELNS0_4arch9wavefront6targetE1EEEvSG_
; %bb.0:
	.section	.rodata,"a",@progbits
	.p2align	6, 0x0
	.amdhsa_kernel _ZN7rocprim17ROCPRIM_400000_NS6detail17trampoline_kernelINS0_14default_configENS1_35radix_sort_onesweep_config_selectorIhlEEZZNS1_29radix_sort_onesweep_iterationIS3_Lb0EPhS7_N6thrust23THRUST_200600_302600_NS10device_ptrIlEESB_jNS0_19identity_decomposerENS1_16block_id_wrapperIjLb1EEEEE10hipError_tT1_PNSt15iterator_traitsISG_E10value_typeET2_T3_PNSH_ISM_E10value_typeET4_T5_PSR_SS_PNS1_23onesweep_lookback_stateEbbT6_jjT7_P12ihipStream_tbENKUlT_T0_SG_SL_E_clIS7_S7_SB_SB_EEDaSZ_S10_SG_SL_EUlSZ_E_NS1_11comp_targetILNS1_3genE0ELNS1_11target_archE4294967295ELNS1_3gpuE0ELNS1_3repE0EEENS1_47radix_sort_onesweep_sort_config_static_selectorELNS0_4arch9wavefront6targetE1EEEvSG_
		.amdhsa_group_segment_fixed_size 0
		.amdhsa_private_segment_fixed_size 0
		.amdhsa_kernarg_size 88
		.amdhsa_user_sgpr_count 6
		.amdhsa_user_sgpr_private_segment_buffer 1
		.amdhsa_user_sgpr_dispatch_ptr 0
		.amdhsa_user_sgpr_queue_ptr 0
		.amdhsa_user_sgpr_kernarg_segment_ptr 1
		.amdhsa_user_sgpr_dispatch_id 0
		.amdhsa_user_sgpr_flat_scratch_init 0
		.amdhsa_user_sgpr_kernarg_preload_length 0
		.amdhsa_user_sgpr_kernarg_preload_offset 0
		.amdhsa_user_sgpr_private_segment_size 0
		.amdhsa_uses_dynamic_stack 0
		.amdhsa_system_sgpr_private_segment_wavefront_offset 0
		.amdhsa_system_sgpr_workgroup_id_x 1
		.amdhsa_system_sgpr_workgroup_id_y 0
		.amdhsa_system_sgpr_workgroup_id_z 0
		.amdhsa_system_sgpr_workgroup_info 0
		.amdhsa_system_vgpr_workitem_id 0
		.amdhsa_next_free_vgpr 1
		.amdhsa_next_free_sgpr 0
		.amdhsa_accum_offset 4
		.amdhsa_reserve_vcc 0
		.amdhsa_reserve_flat_scratch 0
		.amdhsa_float_round_mode_32 0
		.amdhsa_float_round_mode_16_64 0
		.amdhsa_float_denorm_mode_32 3
		.amdhsa_float_denorm_mode_16_64 3
		.amdhsa_dx10_clamp 1
		.amdhsa_ieee_mode 1
		.amdhsa_fp16_overflow 0
		.amdhsa_tg_split 0
		.amdhsa_exception_fp_ieee_invalid_op 0
		.amdhsa_exception_fp_denorm_src 0
		.amdhsa_exception_fp_ieee_div_zero 0
		.amdhsa_exception_fp_ieee_overflow 0
		.amdhsa_exception_fp_ieee_underflow 0
		.amdhsa_exception_fp_ieee_inexact 0
		.amdhsa_exception_int_div_zero 0
	.end_amdhsa_kernel
	.section	.text._ZN7rocprim17ROCPRIM_400000_NS6detail17trampoline_kernelINS0_14default_configENS1_35radix_sort_onesweep_config_selectorIhlEEZZNS1_29radix_sort_onesweep_iterationIS3_Lb0EPhS7_N6thrust23THRUST_200600_302600_NS10device_ptrIlEESB_jNS0_19identity_decomposerENS1_16block_id_wrapperIjLb1EEEEE10hipError_tT1_PNSt15iterator_traitsISG_E10value_typeET2_T3_PNSH_ISM_E10value_typeET4_T5_PSR_SS_PNS1_23onesweep_lookback_stateEbbT6_jjT7_P12ihipStream_tbENKUlT_T0_SG_SL_E_clIS7_S7_SB_SB_EEDaSZ_S10_SG_SL_EUlSZ_E_NS1_11comp_targetILNS1_3genE0ELNS1_11target_archE4294967295ELNS1_3gpuE0ELNS1_3repE0EEENS1_47radix_sort_onesweep_sort_config_static_selectorELNS0_4arch9wavefront6targetE1EEEvSG_,"axG",@progbits,_ZN7rocprim17ROCPRIM_400000_NS6detail17trampoline_kernelINS0_14default_configENS1_35radix_sort_onesweep_config_selectorIhlEEZZNS1_29radix_sort_onesweep_iterationIS3_Lb0EPhS7_N6thrust23THRUST_200600_302600_NS10device_ptrIlEESB_jNS0_19identity_decomposerENS1_16block_id_wrapperIjLb1EEEEE10hipError_tT1_PNSt15iterator_traitsISG_E10value_typeET2_T3_PNSH_ISM_E10value_typeET4_T5_PSR_SS_PNS1_23onesweep_lookback_stateEbbT6_jjT7_P12ihipStream_tbENKUlT_T0_SG_SL_E_clIS7_S7_SB_SB_EEDaSZ_S10_SG_SL_EUlSZ_E_NS1_11comp_targetILNS1_3genE0ELNS1_11target_archE4294967295ELNS1_3gpuE0ELNS1_3repE0EEENS1_47radix_sort_onesweep_sort_config_static_selectorELNS0_4arch9wavefront6targetE1EEEvSG_,comdat
.Lfunc_end264:
	.size	_ZN7rocprim17ROCPRIM_400000_NS6detail17trampoline_kernelINS0_14default_configENS1_35radix_sort_onesweep_config_selectorIhlEEZZNS1_29radix_sort_onesweep_iterationIS3_Lb0EPhS7_N6thrust23THRUST_200600_302600_NS10device_ptrIlEESB_jNS0_19identity_decomposerENS1_16block_id_wrapperIjLb1EEEEE10hipError_tT1_PNSt15iterator_traitsISG_E10value_typeET2_T3_PNSH_ISM_E10value_typeET4_T5_PSR_SS_PNS1_23onesweep_lookback_stateEbbT6_jjT7_P12ihipStream_tbENKUlT_T0_SG_SL_E_clIS7_S7_SB_SB_EEDaSZ_S10_SG_SL_EUlSZ_E_NS1_11comp_targetILNS1_3genE0ELNS1_11target_archE4294967295ELNS1_3gpuE0ELNS1_3repE0EEENS1_47radix_sort_onesweep_sort_config_static_selectorELNS0_4arch9wavefront6targetE1EEEvSG_, .Lfunc_end264-_ZN7rocprim17ROCPRIM_400000_NS6detail17trampoline_kernelINS0_14default_configENS1_35radix_sort_onesweep_config_selectorIhlEEZZNS1_29radix_sort_onesweep_iterationIS3_Lb0EPhS7_N6thrust23THRUST_200600_302600_NS10device_ptrIlEESB_jNS0_19identity_decomposerENS1_16block_id_wrapperIjLb1EEEEE10hipError_tT1_PNSt15iterator_traitsISG_E10value_typeET2_T3_PNSH_ISM_E10value_typeET4_T5_PSR_SS_PNS1_23onesweep_lookback_stateEbbT6_jjT7_P12ihipStream_tbENKUlT_T0_SG_SL_E_clIS7_S7_SB_SB_EEDaSZ_S10_SG_SL_EUlSZ_E_NS1_11comp_targetILNS1_3genE0ELNS1_11target_archE4294967295ELNS1_3gpuE0ELNS1_3repE0EEENS1_47radix_sort_onesweep_sort_config_static_selectorELNS0_4arch9wavefront6targetE1EEEvSG_
                                        ; -- End function
	.section	.AMDGPU.csdata,"",@progbits
; Kernel info:
; codeLenInByte = 0
; NumSgprs: 4
; NumVgprs: 0
; NumAgprs: 0
; TotalNumVgprs: 0
; ScratchSize: 0
; MemoryBound: 0
; FloatMode: 240
; IeeeMode: 1
; LDSByteSize: 0 bytes/workgroup (compile time only)
; SGPRBlocks: 0
; VGPRBlocks: 0
; NumSGPRsForWavesPerEU: 4
; NumVGPRsForWavesPerEU: 1
; AccumOffset: 4
; Occupancy: 8
; WaveLimiterHint : 0
; COMPUTE_PGM_RSRC2:SCRATCH_EN: 0
; COMPUTE_PGM_RSRC2:USER_SGPR: 6
; COMPUTE_PGM_RSRC2:TRAP_HANDLER: 0
; COMPUTE_PGM_RSRC2:TGID_X_EN: 1
; COMPUTE_PGM_RSRC2:TGID_Y_EN: 0
; COMPUTE_PGM_RSRC2:TGID_Z_EN: 0
; COMPUTE_PGM_RSRC2:TIDIG_COMP_CNT: 0
; COMPUTE_PGM_RSRC3_GFX90A:ACCUM_OFFSET: 0
; COMPUTE_PGM_RSRC3_GFX90A:TG_SPLIT: 0
	.section	.text._ZN7rocprim17ROCPRIM_400000_NS6detail17trampoline_kernelINS0_14default_configENS1_35radix_sort_onesweep_config_selectorIhlEEZZNS1_29radix_sort_onesweep_iterationIS3_Lb0EPhS7_N6thrust23THRUST_200600_302600_NS10device_ptrIlEESB_jNS0_19identity_decomposerENS1_16block_id_wrapperIjLb1EEEEE10hipError_tT1_PNSt15iterator_traitsISG_E10value_typeET2_T3_PNSH_ISM_E10value_typeET4_T5_PSR_SS_PNS1_23onesweep_lookback_stateEbbT6_jjT7_P12ihipStream_tbENKUlT_T0_SG_SL_E_clIS7_S7_SB_SB_EEDaSZ_S10_SG_SL_EUlSZ_E_NS1_11comp_targetILNS1_3genE6ELNS1_11target_archE950ELNS1_3gpuE13ELNS1_3repE0EEENS1_47radix_sort_onesweep_sort_config_static_selectorELNS0_4arch9wavefront6targetE1EEEvSG_,"axG",@progbits,_ZN7rocprim17ROCPRIM_400000_NS6detail17trampoline_kernelINS0_14default_configENS1_35radix_sort_onesweep_config_selectorIhlEEZZNS1_29radix_sort_onesweep_iterationIS3_Lb0EPhS7_N6thrust23THRUST_200600_302600_NS10device_ptrIlEESB_jNS0_19identity_decomposerENS1_16block_id_wrapperIjLb1EEEEE10hipError_tT1_PNSt15iterator_traitsISG_E10value_typeET2_T3_PNSH_ISM_E10value_typeET4_T5_PSR_SS_PNS1_23onesweep_lookback_stateEbbT6_jjT7_P12ihipStream_tbENKUlT_T0_SG_SL_E_clIS7_S7_SB_SB_EEDaSZ_S10_SG_SL_EUlSZ_E_NS1_11comp_targetILNS1_3genE6ELNS1_11target_archE950ELNS1_3gpuE13ELNS1_3repE0EEENS1_47radix_sort_onesweep_sort_config_static_selectorELNS0_4arch9wavefront6targetE1EEEvSG_,comdat
	.protected	_ZN7rocprim17ROCPRIM_400000_NS6detail17trampoline_kernelINS0_14default_configENS1_35radix_sort_onesweep_config_selectorIhlEEZZNS1_29radix_sort_onesweep_iterationIS3_Lb0EPhS7_N6thrust23THRUST_200600_302600_NS10device_ptrIlEESB_jNS0_19identity_decomposerENS1_16block_id_wrapperIjLb1EEEEE10hipError_tT1_PNSt15iterator_traitsISG_E10value_typeET2_T3_PNSH_ISM_E10value_typeET4_T5_PSR_SS_PNS1_23onesweep_lookback_stateEbbT6_jjT7_P12ihipStream_tbENKUlT_T0_SG_SL_E_clIS7_S7_SB_SB_EEDaSZ_S10_SG_SL_EUlSZ_E_NS1_11comp_targetILNS1_3genE6ELNS1_11target_archE950ELNS1_3gpuE13ELNS1_3repE0EEENS1_47radix_sort_onesweep_sort_config_static_selectorELNS0_4arch9wavefront6targetE1EEEvSG_ ; -- Begin function _ZN7rocprim17ROCPRIM_400000_NS6detail17trampoline_kernelINS0_14default_configENS1_35radix_sort_onesweep_config_selectorIhlEEZZNS1_29radix_sort_onesweep_iterationIS3_Lb0EPhS7_N6thrust23THRUST_200600_302600_NS10device_ptrIlEESB_jNS0_19identity_decomposerENS1_16block_id_wrapperIjLb1EEEEE10hipError_tT1_PNSt15iterator_traitsISG_E10value_typeET2_T3_PNSH_ISM_E10value_typeET4_T5_PSR_SS_PNS1_23onesweep_lookback_stateEbbT6_jjT7_P12ihipStream_tbENKUlT_T0_SG_SL_E_clIS7_S7_SB_SB_EEDaSZ_S10_SG_SL_EUlSZ_E_NS1_11comp_targetILNS1_3genE6ELNS1_11target_archE950ELNS1_3gpuE13ELNS1_3repE0EEENS1_47radix_sort_onesweep_sort_config_static_selectorELNS0_4arch9wavefront6targetE1EEEvSG_
	.globl	_ZN7rocprim17ROCPRIM_400000_NS6detail17trampoline_kernelINS0_14default_configENS1_35radix_sort_onesweep_config_selectorIhlEEZZNS1_29radix_sort_onesweep_iterationIS3_Lb0EPhS7_N6thrust23THRUST_200600_302600_NS10device_ptrIlEESB_jNS0_19identity_decomposerENS1_16block_id_wrapperIjLb1EEEEE10hipError_tT1_PNSt15iterator_traitsISG_E10value_typeET2_T3_PNSH_ISM_E10value_typeET4_T5_PSR_SS_PNS1_23onesweep_lookback_stateEbbT6_jjT7_P12ihipStream_tbENKUlT_T0_SG_SL_E_clIS7_S7_SB_SB_EEDaSZ_S10_SG_SL_EUlSZ_E_NS1_11comp_targetILNS1_3genE6ELNS1_11target_archE950ELNS1_3gpuE13ELNS1_3repE0EEENS1_47radix_sort_onesweep_sort_config_static_selectorELNS0_4arch9wavefront6targetE1EEEvSG_
	.p2align	8
	.type	_ZN7rocprim17ROCPRIM_400000_NS6detail17trampoline_kernelINS0_14default_configENS1_35radix_sort_onesweep_config_selectorIhlEEZZNS1_29radix_sort_onesweep_iterationIS3_Lb0EPhS7_N6thrust23THRUST_200600_302600_NS10device_ptrIlEESB_jNS0_19identity_decomposerENS1_16block_id_wrapperIjLb1EEEEE10hipError_tT1_PNSt15iterator_traitsISG_E10value_typeET2_T3_PNSH_ISM_E10value_typeET4_T5_PSR_SS_PNS1_23onesweep_lookback_stateEbbT6_jjT7_P12ihipStream_tbENKUlT_T0_SG_SL_E_clIS7_S7_SB_SB_EEDaSZ_S10_SG_SL_EUlSZ_E_NS1_11comp_targetILNS1_3genE6ELNS1_11target_archE950ELNS1_3gpuE13ELNS1_3repE0EEENS1_47radix_sort_onesweep_sort_config_static_selectorELNS0_4arch9wavefront6targetE1EEEvSG_,@function
_ZN7rocprim17ROCPRIM_400000_NS6detail17trampoline_kernelINS0_14default_configENS1_35radix_sort_onesweep_config_selectorIhlEEZZNS1_29radix_sort_onesweep_iterationIS3_Lb0EPhS7_N6thrust23THRUST_200600_302600_NS10device_ptrIlEESB_jNS0_19identity_decomposerENS1_16block_id_wrapperIjLb1EEEEE10hipError_tT1_PNSt15iterator_traitsISG_E10value_typeET2_T3_PNSH_ISM_E10value_typeET4_T5_PSR_SS_PNS1_23onesweep_lookback_stateEbbT6_jjT7_P12ihipStream_tbENKUlT_T0_SG_SL_E_clIS7_S7_SB_SB_EEDaSZ_S10_SG_SL_EUlSZ_E_NS1_11comp_targetILNS1_3genE6ELNS1_11target_archE950ELNS1_3gpuE13ELNS1_3repE0EEENS1_47radix_sort_onesweep_sort_config_static_selectorELNS0_4arch9wavefront6targetE1EEEvSG_: ; @_ZN7rocprim17ROCPRIM_400000_NS6detail17trampoline_kernelINS0_14default_configENS1_35radix_sort_onesweep_config_selectorIhlEEZZNS1_29radix_sort_onesweep_iterationIS3_Lb0EPhS7_N6thrust23THRUST_200600_302600_NS10device_ptrIlEESB_jNS0_19identity_decomposerENS1_16block_id_wrapperIjLb1EEEEE10hipError_tT1_PNSt15iterator_traitsISG_E10value_typeET2_T3_PNSH_ISM_E10value_typeET4_T5_PSR_SS_PNS1_23onesweep_lookback_stateEbbT6_jjT7_P12ihipStream_tbENKUlT_T0_SG_SL_E_clIS7_S7_SB_SB_EEDaSZ_S10_SG_SL_EUlSZ_E_NS1_11comp_targetILNS1_3genE6ELNS1_11target_archE950ELNS1_3gpuE13ELNS1_3repE0EEENS1_47radix_sort_onesweep_sort_config_static_selectorELNS0_4arch9wavefront6targetE1EEEvSG_
; %bb.0:
	.section	.rodata,"a",@progbits
	.p2align	6, 0x0
	.amdhsa_kernel _ZN7rocprim17ROCPRIM_400000_NS6detail17trampoline_kernelINS0_14default_configENS1_35radix_sort_onesweep_config_selectorIhlEEZZNS1_29radix_sort_onesweep_iterationIS3_Lb0EPhS7_N6thrust23THRUST_200600_302600_NS10device_ptrIlEESB_jNS0_19identity_decomposerENS1_16block_id_wrapperIjLb1EEEEE10hipError_tT1_PNSt15iterator_traitsISG_E10value_typeET2_T3_PNSH_ISM_E10value_typeET4_T5_PSR_SS_PNS1_23onesweep_lookback_stateEbbT6_jjT7_P12ihipStream_tbENKUlT_T0_SG_SL_E_clIS7_S7_SB_SB_EEDaSZ_S10_SG_SL_EUlSZ_E_NS1_11comp_targetILNS1_3genE6ELNS1_11target_archE950ELNS1_3gpuE13ELNS1_3repE0EEENS1_47radix_sort_onesweep_sort_config_static_selectorELNS0_4arch9wavefront6targetE1EEEvSG_
		.amdhsa_group_segment_fixed_size 0
		.amdhsa_private_segment_fixed_size 0
		.amdhsa_kernarg_size 88
		.amdhsa_user_sgpr_count 6
		.amdhsa_user_sgpr_private_segment_buffer 1
		.amdhsa_user_sgpr_dispatch_ptr 0
		.amdhsa_user_sgpr_queue_ptr 0
		.amdhsa_user_sgpr_kernarg_segment_ptr 1
		.amdhsa_user_sgpr_dispatch_id 0
		.amdhsa_user_sgpr_flat_scratch_init 0
		.amdhsa_user_sgpr_kernarg_preload_length 0
		.amdhsa_user_sgpr_kernarg_preload_offset 0
		.amdhsa_user_sgpr_private_segment_size 0
		.amdhsa_uses_dynamic_stack 0
		.amdhsa_system_sgpr_private_segment_wavefront_offset 0
		.amdhsa_system_sgpr_workgroup_id_x 1
		.amdhsa_system_sgpr_workgroup_id_y 0
		.amdhsa_system_sgpr_workgroup_id_z 0
		.amdhsa_system_sgpr_workgroup_info 0
		.amdhsa_system_vgpr_workitem_id 0
		.amdhsa_next_free_vgpr 1
		.amdhsa_next_free_sgpr 0
		.amdhsa_accum_offset 4
		.amdhsa_reserve_vcc 0
		.amdhsa_reserve_flat_scratch 0
		.amdhsa_float_round_mode_32 0
		.amdhsa_float_round_mode_16_64 0
		.amdhsa_float_denorm_mode_32 3
		.amdhsa_float_denorm_mode_16_64 3
		.amdhsa_dx10_clamp 1
		.amdhsa_ieee_mode 1
		.amdhsa_fp16_overflow 0
		.amdhsa_tg_split 0
		.amdhsa_exception_fp_ieee_invalid_op 0
		.amdhsa_exception_fp_denorm_src 0
		.amdhsa_exception_fp_ieee_div_zero 0
		.amdhsa_exception_fp_ieee_overflow 0
		.amdhsa_exception_fp_ieee_underflow 0
		.amdhsa_exception_fp_ieee_inexact 0
		.amdhsa_exception_int_div_zero 0
	.end_amdhsa_kernel
	.section	.text._ZN7rocprim17ROCPRIM_400000_NS6detail17trampoline_kernelINS0_14default_configENS1_35radix_sort_onesweep_config_selectorIhlEEZZNS1_29radix_sort_onesweep_iterationIS3_Lb0EPhS7_N6thrust23THRUST_200600_302600_NS10device_ptrIlEESB_jNS0_19identity_decomposerENS1_16block_id_wrapperIjLb1EEEEE10hipError_tT1_PNSt15iterator_traitsISG_E10value_typeET2_T3_PNSH_ISM_E10value_typeET4_T5_PSR_SS_PNS1_23onesweep_lookback_stateEbbT6_jjT7_P12ihipStream_tbENKUlT_T0_SG_SL_E_clIS7_S7_SB_SB_EEDaSZ_S10_SG_SL_EUlSZ_E_NS1_11comp_targetILNS1_3genE6ELNS1_11target_archE950ELNS1_3gpuE13ELNS1_3repE0EEENS1_47radix_sort_onesweep_sort_config_static_selectorELNS0_4arch9wavefront6targetE1EEEvSG_,"axG",@progbits,_ZN7rocprim17ROCPRIM_400000_NS6detail17trampoline_kernelINS0_14default_configENS1_35radix_sort_onesweep_config_selectorIhlEEZZNS1_29radix_sort_onesweep_iterationIS3_Lb0EPhS7_N6thrust23THRUST_200600_302600_NS10device_ptrIlEESB_jNS0_19identity_decomposerENS1_16block_id_wrapperIjLb1EEEEE10hipError_tT1_PNSt15iterator_traitsISG_E10value_typeET2_T3_PNSH_ISM_E10value_typeET4_T5_PSR_SS_PNS1_23onesweep_lookback_stateEbbT6_jjT7_P12ihipStream_tbENKUlT_T0_SG_SL_E_clIS7_S7_SB_SB_EEDaSZ_S10_SG_SL_EUlSZ_E_NS1_11comp_targetILNS1_3genE6ELNS1_11target_archE950ELNS1_3gpuE13ELNS1_3repE0EEENS1_47radix_sort_onesweep_sort_config_static_selectorELNS0_4arch9wavefront6targetE1EEEvSG_,comdat
.Lfunc_end265:
	.size	_ZN7rocprim17ROCPRIM_400000_NS6detail17trampoline_kernelINS0_14default_configENS1_35radix_sort_onesweep_config_selectorIhlEEZZNS1_29radix_sort_onesweep_iterationIS3_Lb0EPhS7_N6thrust23THRUST_200600_302600_NS10device_ptrIlEESB_jNS0_19identity_decomposerENS1_16block_id_wrapperIjLb1EEEEE10hipError_tT1_PNSt15iterator_traitsISG_E10value_typeET2_T3_PNSH_ISM_E10value_typeET4_T5_PSR_SS_PNS1_23onesweep_lookback_stateEbbT6_jjT7_P12ihipStream_tbENKUlT_T0_SG_SL_E_clIS7_S7_SB_SB_EEDaSZ_S10_SG_SL_EUlSZ_E_NS1_11comp_targetILNS1_3genE6ELNS1_11target_archE950ELNS1_3gpuE13ELNS1_3repE0EEENS1_47radix_sort_onesweep_sort_config_static_selectorELNS0_4arch9wavefront6targetE1EEEvSG_, .Lfunc_end265-_ZN7rocprim17ROCPRIM_400000_NS6detail17trampoline_kernelINS0_14default_configENS1_35radix_sort_onesweep_config_selectorIhlEEZZNS1_29radix_sort_onesweep_iterationIS3_Lb0EPhS7_N6thrust23THRUST_200600_302600_NS10device_ptrIlEESB_jNS0_19identity_decomposerENS1_16block_id_wrapperIjLb1EEEEE10hipError_tT1_PNSt15iterator_traitsISG_E10value_typeET2_T3_PNSH_ISM_E10value_typeET4_T5_PSR_SS_PNS1_23onesweep_lookback_stateEbbT6_jjT7_P12ihipStream_tbENKUlT_T0_SG_SL_E_clIS7_S7_SB_SB_EEDaSZ_S10_SG_SL_EUlSZ_E_NS1_11comp_targetILNS1_3genE6ELNS1_11target_archE950ELNS1_3gpuE13ELNS1_3repE0EEENS1_47radix_sort_onesweep_sort_config_static_selectorELNS0_4arch9wavefront6targetE1EEEvSG_
                                        ; -- End function
	.section	.AMDGPU.csdata,"",@progbits
; Kernel info:
; codeLenInByte = 0
; NumSgprs: 4
; NumVgprs: 0
; NumAgprs: 0
; TotalNumVgprs: 0
; ScratchSize: 0
; MemoryBound: 0
; FloatMode: 240
; IeeeMode: 1
; LDSByteSize: 0 bytes/workgroup (compile time only)
; SGPRBlocks: 0
; VGPRBlocks: 0
; NumSGPRsForWavesPerEU: 4
; NumVGPRsForWavesPerEU: 1
; AccumOffset: 4
; Occupancy: 8
; WaveLimiterHint : 0
; COMPUTE_PGM_RSRC2:SCRATCH_EN: 0
; COMPUTE_PGM_RSRC2:USER_SGPR: 6
; COMPUTE_PGM_RSRC2:TRAP_HANDLER: 0
; COMPUTE_PGM_RSRC2:TGID_X_EN: 1
; COMPUTE_PGM_RSRC2:TGID_Y_EN: 0
; COMPUTE_PGM_RSRC2:TGID_Z_EN: 0
; COMPUTE_PGM_RSRC2:TIDIG_COMP_CNT: 0
; COMPUTE_PGM_RSRC3_GFX90A:ACCUM_OFFSET: 0
; COMPUTE_PGM_RSRC3_GFX90A:TG_SPLIT: 0
	.section	.text._ZN7rocprim17ROCPRIM_400000_NS6detail17trampoline_kernelINS0_14default_configENS1_35radix_sort_onesweep_config_selectorIhlEEZZNS1_29radix_sort_onesweep_iterationIS3_Lb0EPhS7_N6thrust23THRUST_200600_302600_NS10device_ptrIlEESB_jNS0_19identity_decomposerENS1_16block_id_wrapperIjLb1EEEEE10hipError_tT1_PNSt15iterator_traitsISG_E10value_typeET2_T3_PNSH_ISM_E10value_typeET4_T5_PSR_SS_PNS1_23onesweep_lookback_stateEbbT6_jjT7_P12ihipStream_tbENKUlT_T0_SG_SL_E_clIS7_S7_SB_SB_EEDaSZ_S10_SG_SL_EUlSZ_E_NS1_11comp_targetILNS1_3genE5ELNS1_11target_archE942ELNS1_3gpuE9ELNS1_3repE0EEENS1_47radix_sort_onesweep_sort_config_static_selectorELNS0_4arch9wavefront6targetE1EEEvSG_,"axG",@progbits,_ZN7rocprim17ROCPRIM_400000_NS6detail17trampoline_kernelINS0_14default_configENS1_35radix_sort_onesweep_config_selectorIhlEEZZNS1_29radix_sort_onesweep_iterationIS3_Lb0EPhS7_N6thrust23THRUST_200600_302600_NS10device_ptrIlEESB_jNS0_19identity_decomposerENS1_16block_id_wrapperIjLb1EEEEE10hipError_tT1_PNSt15iterator_traitsISG_E10value_typeET2_T3_PNSH_ISM_E10value_typeET4_T5_PSR_SS_PNS1_23onesweep_lookback_stateEbbT6_jjT7_P12ihipStream_tbENKUlT_T0_SG_SL_E_clIS7_S7_SB_SB_EEDaSZ_S10_SG_SL_EUlSZ_E_NS1_11comp_targetILNS1_3genE5ELNS1_11target_archE942ELNS1_3gpuE9ELNS1_3repE0EEENS1_47radix_sort_onesweep_sort_config_static_selectorELNS0_4arch9wavefront6targetE1EEEvSG_,comdat
	.protected	_ZN7rocprim17ROCPRIM_400000_NS6detail17trampoline_kernelINS0_14default_configENS1_35radix_sort_onesweep_config_selectorIhlEEZZNS1_29radix_sort_onesweep_iterationIS3_Lb0EPhS7_N6thrust23THRUST_200600_302600_NS10device_ptrIlEESB_jNS0_19identity_decomposerENS1_16block_id_wrapperIjLb1EEEEE10hipError_tT1_PNSt15iterator_traitsISG_E10value_typeET2_T3_PNSH_ISM_E10value_typeET4_T5_PSR_SS_PNS1_23onesweep_lookback_stateEbbT6_jjT7_P12ihipStream_tbENKUlT_T0_SG_SL_E_clIS7_S7_SB_SB_EEDaSZ_S10_SG_SL_EUlSZ_E_NS1_11comp_targetILNS1_3genE5ELNS1_11target_archE942ELNS1_3gpuE9ELNS1_3repE0EEENS1_47radix_sort_onesweep_sort_config_static_selectorELNS0_4arch9wavefront6targetE1EEEvSG_ ; -- Begin function _ZN7rocprim17ROCPRIM_400000_NS6detail17trampoline_kernelINS0_14default_configENS1_35radix_sort_onesweep_config_selectorIhlEEZZNS1_29radix_sort_onesweep_iterationIS3_Lb0EPhS7_N6thrust23THRUST_200600_302600_NS10device_ptrIlEESB_jNS0_19identity_decomposerENS1_16block_id_wrapperIjLb1EEEEE10hipError_tT1_PNSt15iterator_traitsISG_E10value_typeET2_T3_PNSH_ISM_E10value_typeET4_T5_PSR_SS_PNS1_23onesweep_lookback_stateEbbT6_jjT7_P12ihipStream_tbENKUlT_T0_SG_SL_E_clIS7_S7_SB_SB_EEDaSZ_S10_SG_SL_EUlSZ_E_NS1_11comp_targetILNS1_3genE5ELNS1_11target_archE942ELNS1_3gpuE9ELNS1_3repE0EEENS1_47radix_sort_onesweep_sort_config_static_selectorELNS0_4arch9wavefront6targetE1EEEvSG_
	.globl	_ZN7rocprim17ROCPRIM_400000_NS6detail17trampoline_kernelINS0_14default_configENS1_35radix_sort_onesweep_config_selectorIhlEEZZNS1_29radix_sort_onesweep_iterationIS3_Lb0EPhS7_N6thrust23THRUST_200600_302600_NS10device_ptrIlEESB_jNS0_19identity_decomposerENS1_16block_id_wrapperIjLb1EEEEE10hipError_tT1_PNSt15iterator_traitsISG_E10value_typeET2_T3_PNSH_ISM_E10value_typeET4_T5_PSR_SS_PNS1_23onesweep_lookback_stateEbbT6_jjT7_P12ihipStream_tbENKUlT_T0_SG_SL_E_clIS7_S7_SB_SB_EEDaSZ_S10_SG_SL_EUlSZ_E_NS1_11comp_targetILNS1_3genE5ELNS1_11target_archE942ELNS1_3gpuE9ELNS1_3repE0EEENS1_47radix_sort_onesweep_sort_config_static_selectorELNS0_4arch9wavefront6targetE1EEEvSG_
	.p2align	8
	.type	_ZN7rocprim17ROCPRIM_400000_NS6detail17trampoline_kernelINS0_14default_configENS1_35radix_sort_onesweep_config_selectorIhlEEZZNS1_29radix_sort_onesweep_iterationIS3_Lb0EPhS7_N6thrust23THRUST_200600_302600_NS10device_ptrIlEESB_jNS0_19identity_decomposerENS1_16block_id_wrapperIjLb1EEEEE10hipError_tT1_PNSt15iterator_traitsISG_E10value_typeET2_T3_PNSH_ISM_E10value_typeET4_T5_PSR_SS_PNS1_23onesweep_lookback_stateEbbT6_jjT7_P12ihipStream_tbENKUlT_T0_SG_SL_E_clIS7_S7_SB_SB_EEDaSZ_S10_SG_SL_EUlSZ_E_NS1_11comp_targetILNS1_3genE5ELNS1_11target_archE942ELNS1_3gpuE9ELNS1_3repE0EEENS1_47radix_sort_onesweep_sort_config_static_selectorELNS0_4arch9wavefront6targetE1EEEvSG_,@function
_ZN7rocprim17ROCPRIM_400000_NS6detail17trampoline_kernelINS0_14default_configENS1_35radix_sort_onesweep_config_selectorIhlEEZZNS1_29radix_sort_onesweep_iterationIS3_Lb0EPhS7_N6thrust23THRUST_200600_302600_NS10device_ptrIlEESB_jNS0_19identity_decomposerENS1_16block_id_wrapperIjLb1EEEEE10hipError_tT1_PNSt15iterator_traitsISG_E10value_typeET2_T3_PNSH_ISM_E10value_typeET4_T5_PSR_SS_PNS1_23onesweep_lookback_stateEbbT6_jjT7_P12ihipStream_tbENKUlT_T0_SG_SL_E_clIS7_S7_SB_SB_EEDaSZ_S10_SG_SL_EUlSZ_E_NS1_11comp_targetILNS1_3genE5ELNS1_11target_archE942ELNS1_3gpuE9ELNS1_3repE0EEENS1_47radix_sort_onesweep_sort_config_static_selectorELNS0_4arch9wavefront6targetE1EEEvSG_: ; @_ZN7rocprim17ROCPRIM_400000_NS6detail17trampoline_kernelINS0_14default_configENS1_35radix_sort_onesweep_config_selectorIhlEEZZNS1_29radix_sort_onesweep_iterationIS3_Lb0EPhS7_N6thrust23THRUST_200600_302600_NS10device_ptrIlEESB_jNS0_19identity_decomposerENS1_16block_id_wrapperIjLb1EEEEE10hipError_tT1_PNSt15iterator_traitsISG_E10value_typeET2_T3_PNSH_ISM_E10value_typeET4_T5_PSR_SS_PNS1_23onesweep_lookback_stateEbbT6_jjT7_P12ihipStream_tbENKUlT_T0_SG_SL_E_clIS7_S7_SB_SB_EEDaSZ_S10_SG_SL_EUlSZ_E_NS1_11comp_targetILNS1_3genE5ELNS1_11target_archE942ELNS1_3gpuE9ELNS1_3repE0EEENS1_47radix_sort_onesweep_sort_config_static_selectorELNS0_4arch9wavefront6targetE1EEEvSG_
; %bb.0:
	.section	.rodata,"a",@progbits
	.p2align	6, 0x0
	.amdhsa_kernel _ZN7rocprim17ROCPRIM_400000_NS6detail17trampoline_kernelINS0_14default_configENS1_35radix_sort_onesweep_config_selectorIhlEEZZNS1_29radix_sort_onesweep_iterationIS3_Lb0EPhS7_N6thrust23THRUST_200600_302600_NS10device_ptrIlEESB_jNS0_19identity_decomposerENS1_16block_id_wrapperIjLb1EEEEE10hipError_tT1_PNSt15iterator_traitsISG_E10value_typeET2_T3_PNSH_ISM_E10value_typeET4_T5_PSR_SS_PNS1_23onesweep_lookback_stateEbbT6_jjT7_P12ihipStream_tbENKUlT_T0_SG_SL_E_clIS7_S7_SB_SB_EEDaSZ_S10_SG_SL_EUlSZ_E_NS1_11comp_targetILNS1_3genE5ELNS1_11target_archE942ELNS1_3gpuE9ELNS1_3repE0EEENS1_47radix_sort_onesweep_sort_config_static_selectorELNS0_4arch9wavefront6targetE1EEEvSG_
		.amdhsa_group_segment_fixed_size 0
		.amdhsa_private_segment_fixed_size 0
		.amdhsa_kernarg_size 88
		.amdhsa_user_sgpr_count 6
		.amdhsa_user_sgpr_private_segment_buffer 1
		.amdhsa_user_sgpr_dispatch_ptr 0
		.amdhsa_user_sgpr_queue_ptr 0
		.amdhsa_user_sgpr_kernarg_segment_ptr 1
		.amdhsa_user_sgpr_dispatch_id 0
		.amdhsa_user_sgpr_flat_scratch_init 0
		.amdhsa_user_sgpr_kernarg_preload_length 0
		.amdhsa_user_sgpr_kernarg_preload_offset 0
		.amdhsa_user_sgpr_private_segment_size 0
		.amdhsa_uses_dynamic_stack 0
		.amdhsa_system_sgpr_private_segment_wavefront_offset 0
		.amdhsa_system_sgpr_workgroup_id_x 1
		.amdhsa_system_sgpr_workgroup_id_y 0
		.amdhsa_system_sgpr_workgroup_id_z 0
		.amdhsa_system_sgpr_workgroup_info 0
		.amdhsa_system_vgpr_workitem_id 0
		.amdhsa_next_free_vgpr 1
		.amdhsa_next_free_sgpr 0
		.amdhsa_accum_offset 4
		.amdhsa_reserve_vcc 0
		.amdhsa_reserve_flat_scratch 0
		.amdhsa_float_round_mode_32 0
		.amdhsa_float_round_mode_16_64 0
		.amdhsa_float_denorm_mode_32 3
		.amdhsa_float_denorm_mode_16_64 3
		.amdhsa_dx10_clamp 1
		.amdhsa_ieee_mode 1
		.amdhsa_fp16_overflow 0
		.amdhsa_tg_split 0
		.amdhsa_exception_fp_ieee_invalid_op 0
		.amdhsa_exception_fp_denorm_src 0
		.amdhsa_exception_fp_ieee_div_zero 0
		.amdhsa_exception_fp_ieee_overflow 0
		.amdhsa_exception_fp_ieee_underflow 0
		.amdhsa_exception_fp_ieee_inexact 0
		.amdhsa_exception_int_div_zero 0
	.end_amdhsa_kernel
	.section	.text._ZN7rocprim17ROCPRIM_400000_NS6detail17trampoline_kernelINS0_14default_configENS1_35radix_sort_onesweep_config_selectorIhlEEZZNS1_29radix_sort_onesweep_iterationIS3_Lb0EPhS7_N6thrust23THRUST_200600_302600_NS10device_ptrIlEESB_jNS0_19identity_decomposerENS1_16block_id_wrapperIjLb1EEEEE10hipError_tT1_PNSt15iterator_traitsISG_E10value_typeET2_T3_PNSH_ISM_E10value_typeET4_T5_PSR_SS_PNS1_23onesweep_lookback_stateEbbT6_jjT7_P12ihipStream_tbENKUlT_T0_SG_SL_E_clIS7_S7_SB_SB_EEDaSZ_S10_SG_SL_EUlSZ_E_NS1_11comp_targetILNS1_3genE5ELNS1_11target_archE942ELNS1_3gpuE9ELNS1_3repE0EEENS1_47radix_sort_onesweep_sort_config_static_selectorELNS0_4arch9wavefront6targetE1EEEvSG_,"axG",@progbits,_ZN7rocprim17ROCPRIM_400000_NS6detail17trampoline_kernelINS0_14default_configENS1_35radix_sort_onesweep_config_selectorIhlEEZZNS1_29radix_sort_onesweep_iterationIS3_Lb0EPhS7_N6thrust23THRUST_200600_302600_NS10device_ptrIlEESB_jNS0_19identity_decomposerENS1_16block_id_wrapperIjLb1EEEEE10hipError_tT1_PNSt15iterator_traitsISG_E10value_typeET2_T3_PNSH_ISM_E10value_typeET4_T5_PSR_SS_PNS1_23onesweep_lookback_stateEbbT6_jjT7_P12ihipStream_tbENKUlT_T0_SG_SL_E_clIS7_S7_SB_SB_EEDaSZ_S10_SG_SL_EUlSZ_E_NS1_11comp_targetILNS1_3genE5ELNS1_11target_archE942ELNS1_3gpuE9ELNS1_3repE0EEENS1_47radix_sort_onesweep_sort_config_static_selectorELNS0_4arch9wavefront6targetE1EEEvSG_,comdat
.Lfunc_end266:
	.size	_ZN7rocprim17ROCPRIM_400000_NS6detail17trampoline_kernelINS0_14default_configENS1_35radix_sort_onesweep_config_selectorIhlEEZZNS1_29radix_sort_onesweep_iterationIS3_Lb0EPhS7_N6thrust23THRUST_200600_302600_NS10device_ptrIlEESB_jNS0_19identity_decomposerENS1_16block_id_wrapperIjLb1EEEEE10hipError_tT1_PNSt15iterator_traitsISG_E10value_typeET2_T3_PNSH_ISM_E10value_typeET4_T5_PSR_SS_PNS1_23onesweep_lookback_stateEbbT6_jjT7_P12ihipStream_tbENKUlT_T0_SG_SL_E_clIS7_S7_SB_SB_EEDaSZ_S10_SG_SL_EUlSZ_E_NS1_11comp_targetILNS1_3genE5ELNS1_11target_archE942ELNS1_3gpuE9ELNS1_3repE0EEENS1_47radix_sort_onesweep_sort_config_static_selectorELNS0_4arch9wavefront6targetE1EEEvSG_, .Lfunc_end266-_ZN7rocprim17ROCPRIM_400000_NS6detail17trampoline_kernelINS0_14default_configENS1_35radix_sort_onesweep_config_selectorIhlEEZZNS1_29radix_sort_onesweep_iterationIS3_Lb0EPhS7_N6thrust23THRUST_200600_302600_NS10device_ptrIlEESB_jNS0_19identity_decomposerENS1_16block_id_wrapperIjLb1EEEEE10hipError_tT1_PNSt15iterator_traitsISG_E10value_typeET2_T3_PNSH_ISM_E10value_typeET4_T5_PSR_SS_PNS1_23onesweep_lookback_stateEbbT6_jjT7_P12ihipStream_tbENKUlT_T0_SG_SL_E_clIS7_S7_SB_SB_EEDaSZ_S10_SG_SL_EUlSZ_E_NS1_11comp_targetILNS1_3genE5ELNS1_11target_archE942ELNS1_3gpuE9ELNS1_3repE0EEENS1_47radix_sort_onesweep_sort_config_static_selectorELNS0_4arch9wavefront6targetE1EEEvSG_
                                        ; -- End function
	.section	.AMDGPU.csdata,"",@progbits
; Kernel info:
; codeLenInByte = 0
; NumSgprs: 4
; NumVgprs: 0
; NumAgprs: 0
; TotalNumVgprs: 0
; ScratchSize: 0
; MemoryBound: 0
; FloatMode: 240
; IeeeMode: 1
; LDSByteSize: 0 bytes/workgroup (compile time only)
; SGPRBlocks: 0
; VGPRBlocks: 0
; NumSGPRsForWavesPerEU: 4
; NumVGPRsForWavesPerEU: 1
; AccumOffset: 4
; Occupancy: 8
; WaveLimiterHint : 0
; COMPUTE_PGM_RSRC2:SCRATCH_EN: 0
; COMPUTE_PGM_RSRC2:USER_SGPR: 6
; COMPUTE_PGM_RSRC2:TRAP_HANDLER: 0
; COMPUTE_PGM_RSRC2:TGID_X_EN: 1
; COMPUTE_PGM_RSRC2:TGID_Y_EN: 0
; COMPUTE_PGM_RSRC2:TGID_Z_EN: 0
; COMPUTE_PGM_RSRC2:TIDIG_COMP_CNT: 0
; COMPUTE_PGM_RSRC3_GFX90A:ACCUM_OFFSET: 0
; COMPUTE_PGM_RSRC3_GFX90A:TG_SPLIT: 0
	.section	.text._ZN7rocprim17ROCPRIM_400000_NS6detail17trampoline_kernelINS0_14default_configENS1_35radix_sort_onesweep_config_selectorIhlEEZZNS1_29radix_sort_onesweep_iterationIS3_Lb0EPhS7_N6thrust23THRUST_200600_302600_NS10device_ptrIlEESB_jNS0_19identity_decomposerENS1_16block_id_wrapperIjLb1EEEEE10hipError_tT1_PNSt15iterator_traitsISG_E10value_typeET2_T3_PNSH_ISM_E10value_typeET4_T5_PSR_SS_PNS1_23onesweep_lookback_stateEbbT6_jjT7_P12ihipStream_tbENKUlT_T0_SG_SL_E_clIS7_S7_SB_SB_EEDaSZ_S10_SG_SL_EUlSZ_E_NS1_11comp_targetILNS1_3genE2ELNS1_11target_archE906ELNS1_3gpuE6ELNS1_3repE0EEENS1_47radix_sort_onesweep_sort_config_static_selectorELNS0_4arch9wavefront6targetE1EEEvSG_,"axG",@progbits,_ZN7rocprim17ROCPRIM_400000_NS6detail17trampoline_kernelINS0_14default_configENS1_35radix_sort_onesweep_config_selectorIhlEEZZNS1_29radix_sort_onesweep_iterationIS3_Lb0EPhS7_N6thrust23THRUST_200600_302600_NS10device_ptrIlEESB_jNS0_19identity_decomposerENS1_16block_id_wrapperIjLb1EEEEE10hipError_tT1_PNSt15iterator_traitsISG_E10value_typeET2_T3_PNSH_ISM_E10value_typeET4_T5_PSR_SS_PNS1_23onesweep_lookback_stateEbbT6_jjT7_P12ihipStream_tbENKUlT_T0_SG_SL_E_clIS7_S7_SB_SB_EEDaSZ_S10_SG_SL_EUlSZ_E_NS1_11comp_targetILNS1_3genE2ELNS1_11target_archE906ELNS1_3gpuE6ELNS1_3repE0EEENS1_47radix_sort_onesweep_sort_config_static_selectorELNS0_4arch9wavefront6targetE1EEEvSG_,comdat
	.protected	_ZN7rocprim17ROCPRIM_400000_NS6detail17trampoline_kernelINS0_14default_configENS1_35radix_sort_onesweep_config_selectorIhlEEZZNS1_29radix_sort_onesweep_iterationIS3_Lb0EPhS7_N6thrust23THRUST_200600_302600_NS10device_ptrIlEESB_jNS0_19identity_decomposerENS1_16block_id_wrapperIjLb1EEEEE10hipError_tT1_PNSt15iterator_traitsISG_E10value_typeET2_T3_PNSH_ISM_E10value_typeET4_T5_PSR_SS_PNS1_23onesweep_lookback_stateEbbT6_jjT7_P12ihipStream_tbENKUlT_T0_SG_SL_E_clIS7_S7_SB_SB_EEDaSZ_S10_SG_SL_EUlSZ_E_NS1_11comp_targetILNS1_3genE2ELNS1_11target_archE906ELNS1_3gpuE6ELNS1_3repE0EEENS1_47radix_sort_onesweep_sort_config_static_selectorELNS0_4arch9wavefront6targetE1EEEvSG_ ; -- Begin function _ZN7rocprim17ROCPRIM_400000_NS6detail17trampoline_kernelINS0_14default_configENS1_35radix_sort_onesweep_config_selectorIhlEEZZNS1_29radix_sort_onesweep_iterationIS3_Lb0EPhS7_N6thrust23THRUST_200600_302600_NS10device_ptrIlEESB_jNS0_19identity_decomposerENS1_16block_id_wrapperIjLb1EEEEE10hipError_tT1_PNSt15iterator_traitsISG_E10value_typeET2_T3_PNSH_ISM_E10value_typeET4_T5_PSR_SS_PNS1_23onesweep_lookback_stateEbbT6_jjT7_P12ihipStream_tbENKUlT_T0_SG_SL_E_clIS7_S7_SB_SB_EEDaSZ_S10_SG_SL_EUlSZ_E_NS1_11comp_targetILNS1_3genE2ELNS1_11target_archE906ELNS1_3gpuE6ELNS1_3repE0EEENS1_47radix_sort_onesweep_sort_config_static_selectorELNS0_4arch9wavefront6targetE1EEEvSG_
	.globl	_ZN7rocprim17ROCPRIM_400000_NS6detail17trampoline_kernelINS0_14default_configENS1_35radix_sort_onesweep_config_selectorIhlEEZZNS1_29radix_sort_onesweep_iterationIS3_Lb0EPhS7_N6thrust23THRUST_200600_302600_NS10device_ptrIlEESB_jNS0_19identity_decomposerENS1_16block_id_wrapperIjLb1EEEEE10hipError_tT1_PNSt15iterator_traitsISG_E10value_typeET2_T3_PNSH_ISM_E10value_typeET4_T5_PSR_SS_PNS1_23onesweep_lookback_stateEbbT6_jjT7_P12ihipStream_tbENKUlT_T0_SG_SL_E_clIS7_S7_SB_SB_EEDaSZ_S10_SG_SL_EUlSZ_E_NS1_11comp_targetILNS1_3genE2ELNS1_11target_archE906ELNS1_3gpuE6ELNS1_3repE0EEENS1_47radix_sort_onesweep_sort_config_static_selectorELNS0_4arch9wavefront6targetE1EEEvSG_
	.p2align	8
	.type	_ZN7rocprim17ROCPRIM_400000_NS6detail17trampoline_kernelINS0_14default_configENS1_35radix_sort_onesweep_config_selectorIhlEEZZNS1_29radix_sort_onesweep_iterationIS3_Lb0EPhS7_N6thrust23THRUST_200600_302600_NS10device_ptrIlEESB_jNS0_19identity_decomposerENS1_16block_id_wrapperIjLb1EEEEE10hipError_tT1_PNSt15iterator_traitsISG_E10value_typeET2_T3_PNSH_ISM_E10value_typeET4_T5_PSR_SS_PNS1_23onesweep_lookback_stateEbbT6_jjT7_P12ihipStream_tbENKUlT_T0_SG_SL_E_clIS7_S7_SB_SB_EEDaSZ_S10_SG_SL_EUlSZ_E_NS1_11comp_targetILNS1_3genE2ELNS1_11target_archE906ELNS1_3gpuE6ELNS1_3repE0EEENS1_47radix_sort_onesweep_sort_config_static_selectorELNS0_4arch9wavefront6targetE1EEEvSG_,@function
_ZN7rocprim17ROCPRIM_400000_NS6detail17trampoline_kernelINS0_14default_configENS1_35radix_sort_onesweep_config_selectorIhlEEZZNS1_29radix_sort_onesweep_iterationIS3_Lb0EPhS7_N6thrust23THRUST_200600_302600_NS10device_ptrIlEESB_jNS0_19identity_decomposerENS1_16block_id_wrapperIjLb1EEEEE10hipError_tT1_PNSt15iterator_traitsISG_E10value_typeET2_T3_PNSH_ISM_E10value_typeET4_T5_PSR_SS_PNS1_23onesweep_lookback_stateEbbT6_jjT7_P12ihipStream_tbENKUlT_T0_SG_SL_E_clIS7_S7_SB_SB_EEDaSZ_S10_SG_SL_EUlSZ_E_NS1_11comp_targetILNS1_3genE2ELNS1_11target_archE906ELNS1_3gpuE6ELNS1_3repE0EEENS1_47radix_sort_onesweep_sort_config_static_selectorELNS0_4arch9wavefront6targetE1EEEvSG_: ; @_ZN7rocprim17ROCPRIM_400000_NS6detail17trampoline_kernelINS0_14default_configENS1_35radix_sort_onesweep_config_selectorIhlEEZZNS1_29radix_sort_onesweep_iterationIS3_Lb0EPhS7_N6thrust23THRUST_200600_302600_NS10device_ptrIlEESB_jNS0_19identity_decomposerENS1_16block_id_wrapperIjLb1EEEEE10hipError_tT1_PNSt15iterator_traitsISG_E10value_typeET2_T3_PNSH_ISM_E10value_typeET4_T5_PSR_SS_PNS1_23onesweep_lookback_stateEbbT6_jjT7_P12ihipStream_tbENKUlT_T0_SG_SL_E_clIS7_S7_SB_SB_EEDaSZ_S10_SG_SL_EUlSZ_E_NS1_11comp_targetILNS1_3genE2ELNS1_11target_archE906ELNS1_3gpuE6ELNS1_3repE0EEENS1_47radix_sort_onesweep_sort_config_static_selectorELNS0_4arch9wavefront6targetE1EEEvSG_
; %bb.0:
	.section	.rodata,"a",@progbits
	.p2align	6, 0x0
	.amdhsa_kernel _ZN7rocprim17ROCPRIM_400000_NS6detail17trampoline_kernelINS0_14default_configENS1_35radix_sort_onesweep_config_selectorIhlEEZZNS1_29radix_sort_onesweep_iterationIS3_Lb0EPhS7_N6thrust23THRUST_200600_302600_NS10device_ptrIlEESB_jNS0_19identity_decomposerENS1_16block_id_wrapperIjLb1EEEEE10hipError_tT1_PNSt15iterator_traitsISG_E10value_typeET2_T3_PNSH_ISM_E10value_typeET4_T5_PSR_SS_PNS1_23onesweep_lookback_stateEbbT6_jjT7_P12ihipStream_tbENKUlT_T0_SG_SL_E_clIS7_S7_SB_SB_EEDaSZ_S10_SG_SL_EUlSZ_E_NS1_11comp_targetILNS1_3genE2ELNS1_11target_archE906ELNS1_3gpuE6ELNS1_3repE0EEENS1_47radix_sort_onesweep_sort_config_static_selectorELNS0_4arch9wavefront6targetE1EEEvSG_
		.amdhsa_group_segment_fixed_size 0
		.amdhsa_private_segment_fixed_size 0
		.amdhsa_kernarg_size 88
		.amdhsa_user_sgpr_count 6
		.amdhsa_user_sgpr_private_segment_buffer 1
		.amdhsa_user_sgpr_dispatch_ptr 0
		.amdhsa_user_sgpr_queue_ptr 0
		.amdhsa_user_sgpr_kernarg_segment_ptr 1
		.amdhsa_user_sgpr_dispatch_id 0
		.amdhsa_user_sgpr_flat_scratch_init 0
		.amdhsa_user_sgpr_kernarg_preload_length 0
		.amdhsa_user_sgpr_kernarg_preload_offset 0
		.amdhsa_user_sgpr_private_segment_size 0
		.amdhsa_uses_dynamic_stack 0
		.amdhsa_system_sgpr_private_segment_wavefront_offset 0
		.amdhsa_system_sgpr_workgroup_id_x 1
		.amdhsa_system_sgpr_workgroup_id_y 0
		.amdhsa_system_sgpr_workgroup_id_z 0
		.amdhsa_system_sgpr_workgroup_info 0
		.amdhsa_system_vgpr_workitem_id 0
		.amdhsa_next_free_vgpr 1
		.amdhsa_next_free_sgpr 0
		.amdhsa_accum_offset 4
		.amdhsa_reserve_vcc 0
		.amdhsa_reserve_flat_scratch 0
		.amdhsa_float_round_mode_32 0
		.amdhsa_float_round_mode_16_64 0
		.amdhsa_float_denorm_mode_32 3
		.amdhsa_float_denorm_mode_16_64 3
		.amdhsa_dx10_clamp 1
		.amdhsa_ieee_mode 1
		.amdhsa_fp16_overflow 0
		.amdhsa_tg_split 0
		.amdhsa_exception_fp_ieee_invalid_op 0
		.amdhsa_exception_fp_denorm_src 0
		.amdhsa_exception_fp_ieee_div_zero 0
		.amdhsa_exception_fp_ieee_overflow 0
		.amdhsa_exception_fp_ieee_underflow 0
		.amdhsa_exception_fp_ieee_inexact 0
		.amdhsa_exception_int_div_zero 0
	.end_amdhsa_kernel
	.section	.text._ZN7rocprim17ROCPRIM_400000_NS6detail17trampoline_kernelINS0_14default_configENS1_35radix_sort_onesweep_config_selectorIhlEEZZNS1_29radix_sort_onesweep_iterationIS3_Lb0EPhS7_N6thrust23THRUST_200600_302600_NS10device_ptrIlEESB_jNS0_19identity_decomposerENS1_16block_id_wrapperIjLb1EEEEE10hipError_tT1_PNSt15iterator_traitsISG_E10value_typeET2_T3_PNSH_ISM_E10value_typeET4_T5_PSR_SS_PNS1_23onesweep_lookback_stateEbbT6_jjT7_P12ihipStream_tbENKUlT_T0_SG_SL_E_clIS7_S7_SB_SB_EEDaSZ_S10_SG_SL_EUlSZ_E_NS1_11comp_targetILNS1_3genE2ELNS1_11target_archE906ELNS1_3gpuE6ELNS1_3repE0EEENS1_47radix_sort_onesweep_sort_config_static_selectorELNS0_4arch9wavefront6targetE1EEEvSG_,"axG",@progbits,_ZN7rocprim17ROCPRIM_400000_NS6detail17trampoline_kernelINS0_14default_configENS1_35radix_sort_onesweep_config_selectorIhlEEZZNS1_29radix_sort_onesweep_iterationIS3_Lb0EPhS7_N6thrust23THRUST_200600_302600_NS10device_ptrIlEESB_jNS0_19identity_decomposerENS1_16block_id_wrapperIjLb1EEEEE10hipError_tT1_PNSt15iterator_traitsISG_E10value_typeET2_T3_PNSH_ISM_E10value_typeET4_T5_PSR_SS_PNS1_23onesweep_lookback_stateEbbT6_jjT7_P12ihipStream_tbENKUlT_T0_SG_SL_E_clIS7_S7_SB_SB_EEDaSZ_S10_SG_SL_EUlSZ_E_NS1_11comp_targetILNS1_3genE2ELNS1_11target_archE906ELNS1_3gpuE6ELNS1_3repE0EEENS1_47radix_sort_onesweep_sort_config_static_selectorELNS0_4arch9wavefront6targetE1EEEvSG_,comdat
.Lfunc_end267:
	.size	_ZN7rocprim17ROCPRIM_400000_NS6detail17trampoline_kernelINS0_14default_configENS1_35radix_sort_onesweep_config_selectorIhlEEZZNS1_29radix_sort_onesweep_iterationIS3_Lb0EPhS7_N6thrust23THRUST_200600_302600_NS10device_ptrIlEESB_jNS0_19identity_decomposerENS1_16block_id_wrapperIjLb1EEEEE10hipError_tT1_PNSt15iterator_traitsISG_E10value_typeET2_T3_PNSH_ISM_E10value_typeET4_T5_PSR_SS_PNS1_23onesweep_lookback_stateEbbT6_jjT7_P12ihipStream_tbENKUlT_T0_SG_SL_E_clIS7_S7_SB_SB_EEDaSZ_S10_SG_SL_EUlSZ_E_NS1_11comp_targetILNS1_3genE2ELNS1_11target_archE906ELNS1_3gpuE6ELNS1_3repE0EEENS1_47radix_sort_onesweep_sort_config_static_selectorELNS0_4arch9wavefront6targetE1EEEvSG_, .Lfunc_end267-_ZN7rocprim17ROCPRIM_400000_NS6detail17trampoline_kernelINS0_14default_configENS1_35radix_sort_onesweep_config_selectorIhlEEZZNS1_29radix_sort_onesweep_iterationIS3_Lb0EPhS7_N6thrust23THRUST_200600_302600_NS10device_ptrIlEESB_jNS0_19identity_decomposerENS1_16block_id_wrapperIjLb1EEEEE10hipError_tT1_PNSt15iterator_traitsISG_E10value_typeET2_T3_PNSH_ISM_E10value_typeET4_T5_PSR_SS_PNS1_23onesweep_lookback_stateEbbT6_jjT7_P12ihipStream_tbENKUlT_T0_SG_SL_E_clIS7_S7_SB_SB_EEDaSZ_S10_SG_SL_EUlSZ_E_NS1_11comp_targetILNS1_3genE2ELNS1_11target_archE906ELNS1_3gpuE6ELNS1_3repE0EEENS1_47radix_sort_onesweep_sort_config_static_selectorELNS0_4arch9wavefront6targetE1EEEvSG_
                                        ; -- End function
	.section	.AMDGPU.csdata,"",@progbits
; Kernel info:
; codeLenInByte = 0
; NumSgprs: 4
; NumVgprs: 0
; NumAgprs: 0
; TotalNumVgprs: 0
; ScratchSize: 0
; MemoryBound: 0
; FloatMode: 240
; IeeeMode: 1
; LDSByteSize: 0 bytes/workgroup (compile time only)
; SGPRBlocks: 0
; VGPRBlocks: 0
; NumSGPRsForWavesPerEU: 4
; NumVGPRsForWavesPerEU: 1
; AccumOffset: 4
; Occupancy: 8
; WaveLimiterHint : 0
; COMPUTE_PGM_RSRC2:SCRATCH_EN: 0
; COMPUTE_PGM_RSRC2:USER_SGPR: 6
; COMPUTE_PGM_RSRC2:TRAP_HANDLER: 0
; COMPUTE_PGM_RSRC2:TGID_X_EN: 1
; COMPUTE_PGM_RSRC2:TGID_Y_EN: 0
; COMPUTE_PGM_RSRC2:TGID_Z_EN: 0
; COMPUTE_PGM_RSRC2:TIDIG_COMP_CNT: 0
; COMPUTE_PGM_RSRC3_GFX90A:ACCUM_OFFSET: 0
; COMPUTE_PGM_RSRC3_GFX90A:TG_SPLIT: 0
	.section	.text._ZN7rocprim17ROCPRIM_400000_NS6detail17trampoline_kernelINS0_14default_configENS1_35radix_sort_onesweep_config_selectorIhlEEZZNS1_29radix_sort_onesweep_iterationIS3_Lb0EPhS7_N6thrust23THRUST_200600_302600_NS10device_ptrIlEESB_jNS0_19identity_decomposerENS1_16block_id_wrapperIjLb1EEEEE10hipError_tT1_PNSt15iterator_traitsISG_E10value_typeET2_T3_PNSH_ISM_E10value_typeET4_T5_PSR_SS_PNS1_23onesweep_lookback_stateEbbT6_jjT7_P12ihipStream_tbENKUlT_T0_SG_SL_E_clIS7_S7_SB_SB_EEDaSZ_S10_SG_SL_EUlSZ_E_NS1_11comp_targetILNS1_3genE4ELNS1_11target_archE910ELNS1_3gpuE8ELNS1_3repE0EEENS1_47radix_sort_onesweep_sort_config_static_selectorELNS0_4arch9wavefront6targetE1EEEvSG_,"axG",@progbits,_ZN7rocprim17ROCPRIM_400000_NS6detail17trampoline_kernelINS0_14default_configENS1_35radix_sort_onesweep_config_selectorIhlEEZZNS1_29radix_sort_onesweep_iterationIS3_Lb0EPhS7_N6thrust23THRUST_200600_302600_NS10device_ptrIlEESB_jNS0_19identity_decomposerENS1_16block_id_wrapperIjLb1EEEEE10hipError_tT1_PNSt15iterator_traitsISG_E10value_typeET2_T3_PNSH_ISM_E10value_typeET4_T5_PSR_SS_PNS1_23onesweep_lookback_stateEbbT6_jjT7_P12ihipStream_tbENKUlT_T0_SG_SL_E_clIS7_S7_SB_SB_EEDaSZ_S10_SG_SL_EUlSZ_E_NS1_11comp_targetILNS1_3genE4ELNS1_11target_archE910ELNS1_3gpuE8ELNS1_3repE0EEENS1_47radix_sort_onesweep_sort_config_static_selectorELNS0_4arch9wavefront6targetE1EEEvSG_,comdat
	.protected	_ZN7rocprim17ROCPRIM_400000_NS6detail17trampoline_kernelINS0_14default_configENS1_35radix_sort_onesweep_config_selectorIhlEEZZNS1_29radix_sort_onesweep_iterationIS3_Lb0EPhS7_N6thrust23THRUST_200600_302600_NS10device_ptrIlEESB_jNS0_19identity_decomposerENS1_16block_id_wrapperIjLb1EEEEE10hipError_tT1_PNSt15iterator_traitsISG_E10value_typeET2_T3_PNSH_ISM_E10value_typeET4_T5_PSR_SS_PNS1_23onesweep_lookback_stateEbbT6_jjT7_P12ihipStream_tbENKUlT_T0_SG_SL_E_clIS7_S7_SB_SB_EEDaSZ_S10_SG_SL_EUlSZ_E_NS1_11comp_targetILNS1_3genE4ELNS1_11target_archE910ELNS1_3gpuE8ELNS1_3repE0EEENS1_47radix_sort_onesweep_sort_config_static_selectorELNS0_4arch9wavefront6targetE1EEEvSG_ ; -- Begin function _ZN7rocprim17ROCPRIM_400000_NS6detail17trampoline_kernelINS0_14default_configENS1_35radix_sort_onesweep_config_selectorIhlEEZZNS1_29radix_sort_onesweep_iterationIS3_Lb0EPhS7_N6thrust23THRUST_200600_302600_NS10device_ptrIlEESB_jNS0_19identity_decomposerENS1_16block_id_wrapperIjLb1EEEEE10hipError_tT1_PNSt15iterator_traitsISG_E10value_typeET2_T3_PNSH_ISM_E10value_typeET4_T5_PSR_SS_PNS1_23onesweep_lookback_stateEbbT6_jjT7_P12ihipStream_tbENKUlT_T0_SG_SL_E_clIS7_S7_SB_SB_EEDaSZ_S10_SG_SL_EUlSZ_E_NS1_11comp_targetILNS1_3genE4ELNS1_11target_archE910ELNS1_3gpuE8ELNS1_3repE0EEENS1_47radix_sort_onesweep_sort_config_static_selectorELNS0_4arch9wavefront6targetE1EEEvSG_
	.globl	_ZN7rocprim17ROCPRIM_400000_NS6detail17trampoline_kernelINS0_14default_configENS1_35radix_sort_onesweep_config_selectorIhlEEZZNS1_29radix_sort_onesweep_iterationIS3_Lb0EPhS7_N6thrust23THRUST_200600_302600_NS10device_ptrIlEESB_jNS0_19identity_decomposerENS1_16block_id_wrapperIjLb1EEEEE10hipError_tT1_PNSt15iterator_traitsISG_E10value_typeET2_T3_PNSH_ISM_E10value_typeET4_T5_PSR_SS_PNS1_23onesweep_lookback_stateEbbT6_jjT7_P12ihipStream_tbENKUlT_T0_SG_SL_E_clIS7_S7_SB_SB_EEDaSZ_S10_SG_SL_EUlSZ_E_NS1_11comp_targetILNS1_3genE4ELNS1_11target_archE910ELNS1_3gpuE8ELNS1_3repE0EEENS1_47radix_sort_onesweep_sort_config_static_selectorELNS0_4arch9wavefront6targetE1EEEvSG_
	.p2align	8
	.type	_ZN7rocprim17ROCPRIM_400000_NS6detail17trampoline_kernelINS0_14default_configENS1_35radix_sort_onesweep_config_selectorIhlEEZZNS1_29radix_sort_onesweep_iterationIS3_Lb0EPhS7_N6thrust23THRUST_200600_302600_NS10device_ptrIlEESB_jNS0_19identity_decomposerENS1_16block_id_wrapperIjLb1EEEEE10hipError_tT1_PNSt15iterator_traitsISG_E10value_typeET2_T3_PNSH_ISM_E10value_typeET4_T5_PSR_SS_PNS1_23onesweep_lookback_stateEbbT6_jjT7_P12ihipStream_tbENKUlT_T0_SG_SL_E_clIS7_S7_SB_SB_EEDaSZ_S10_SG_SL_EUlSZ_E_NS1_11comp_targetILNS1_3genE4ELNS1_11target_archE910ELNS1_3gpuE8ELNS1_3repE0EEENS1_47radix_sort_onesweep_sort_config_static_selectorELNS0_4arch9wavefront6targetE1EEEvSG_,@function
_ZN7rocprim17ROCPRIM_400000_NS6detail17trampoline_kernelINS0_14default_configENS1_35radix_sort_onesweep_config_selectorIhlEEZZNS1_29radix_sort_onesweep_iterationIS3_Lb0EPhS7_N6thrust23THRUST_200600_302600_NS10device_ptrIlEESB_jNS0_19identity_decomposerENS1_16block_id_wrapperIjLb1EEEEE10hipError_tT1_PNSt15iterator_traitsISG_E10value_typeET2_T3_PNSH_ISM_E10value_typeET4_T5_PSR_SS_PNS1_23onesweep_lookback_stateEbbT6_jjT7_P12ihipStream_tbENKUlT_T0_SG_SL_E_clIS7_S7_SB_SB_EEDaSZ_S10_SG_SL_EUlSZ_E_NS1_11comp_targetILNS1_3genE4ELNS1_11target_archE910ELNS1_3gpuE8ELNS1_3repE0EEENS1_47radix_sort_onesweep_sort_config_static_selectorELNS0_4arch9wavefront6targetE1EEEvSG_: ; @_ZN7rocprim17ROCPRIM_400000_NS6detail17trampoline_kernelINS0_14default_configENS1_35radix_sort_onesweep_config_selectorIhlEEZZNS1_29radix_sort_onesweep_iterationIS3_Lb0EPhS7_N6thrust23THRUST_200600_302600_NS10device_ptrIlEESB_jNS0_19identity_decomposerENS1_16block_id_wrapperIjLb1EEEEE10hipError_tT1_PNSt15iterator_traitsISG_E10value_typeET2_T3_PNSH_ISM_E10value_typeET4_T5_PSR_SS_PNS1_23onesweep_lookback_stateEbbT6_jjT7_P12ihipStream_tbENKUlT_T0_SG_SL_E_clIS7_S7_SB_SB_EEDaSZ_S10_SG_SL_EUlSZ_E_NS1_11comp_targetILNS1_3genE4ELNS1_11target_archE910ELNS1_3gpuE8ELNS1_3repE0EEENS1_47radix_sort_onesweep_sort_config_static_selectorELNS0_4arch9wavefront6targetE1EEEvSG_
; %bb.0:
	s_load_dwordx4 s[44:47], s[4:5], 0x28
	s_load_dwordx2 s[30:31], s[4:5], 0x38
	s_load_dwordx4 s[48:51], s[4:5], 0x44
	v_and_b32_e32 v10, 0x3ff, v0
	v_cmp_eq_u32_e64 s[0:1], 0, v10
	s_and_saveexec_b64 s[2:3], s[0:1]
	s_cbranch_execz .LBB268_4
; %bb.1:
	s_mov_b64 s[10:11], exec
	v_mbcnt_lo_u32_b32 v1, s10, 0
	v_mbcnt_hi_u32_b32 v1, s11, v1
	v_cmp_eq_u32_e32 vcc, 0, v1
                                        ; implicit-def: $vgpr2
	s_and_saveexec_b64 s[8:9], vcc
	s_cbranch_execz .LBB268_3
; %bb.2:
	s_load_dwordx2 s[12:13], s[4:5], 0x50
	s_bcnt1_i32_b64 s7, s[10:11]
	v_mov_b32_e32 v2, 0
	v_mov_b32_e32 v3, s7
	s_waitcnt lgkmcnt(0)
	global_atomic_add v2, v2, v3, s[12:13] glc
.LBB268_3:
	s_or_b64 exec, exec, s[8:9]
	s_waitcnt vmcnt(0)
	v_readfirstlane_b32 s7, v2
	v_add_u32_e32 v1, s7, v1
	v_mov_b32_e32 v2, 0
	ds_write_b32 v2, v1 offset:20544
.LBB268_4:
	s_or_b64 exec, exec, s[2:3]
	v_mov_b32_e32 v1, 0
	s_load_dwordx8 s[36:43], s[4:5], 0x0
	s_load_dword s2, s[4:5], 0x20
	s_waitcnt lgkmcnt(0)
	s_barrier
	ds_read_b32 v1, v1 offset:20544
	v_mbcnt_lo_u32_b32 v30, -1, 0
	s_waitcnt lgkmcnt(0)
	s_barrier
	v_cmp_le_u32_e32 vcc, s50, v1
	v_readfirstlane_b32 s33, v1
	v_lshlrev_b32_e32 v1, 3, v10
	s_cbranch_vccz .LBB268_88
; %bb.5:
	s_lshl_b32 s3, s50, 13
	s_sub_i32 s7, s2, s3
	s_lshl_b32 s34, s33, 13
	s_add_u32 s2, s36, s34
	v_mbcnt_hi_u32_b32 v15, -1, v30
	s_addc_u32 s3, s37, 0
	v_and_b32_e32 v14, 63, v15
	v_mov_b32_e32 v2, s3
	v_add_co_u32_e32 v3, vcc, s2, v14
	v_and_b32_e32 v12, 0x1e00, v1
	v_addc_co_u32_e32 v4, vcc, 0, v2, vcc
	v_add_co_u32_e32 v2, vcc, v3, v12
	v_addc_co_u32_e32 v3, vcc, 0, v4, vcc
	v_or_b32_e32 v4, v14, v12
	s_mov_b32 s35, 0
	v_cmp_gt_u32_e32 vcc, s7, v4
	v_mov_b32_e32 v6, 0xff
	v_mov_b32_e32 v7, 0xff
	s_and_saveexec_b64 s[2:3], vcc
	s_cbranch_execz .LBB268_7
; %bb.6:
	global_load_ubyte v7, v[2:3], off
.LBB268_7:
	s_or_b64 exec, exec, s[2:3]
	v_or_b32_e32 v5, 64, v4
	v_cmp_gt_u32_e64 s[2:3], s7, v5
	s_and_saveexec_b64 s[8:9], s[2:3]
	s_cbranch_execz .LBB268_9
; %bb.8:
	global_load_ubyte v6, v[2:3], off offset:64
.LBB268_9:
	s_or_b64 exec, exec, s[8:9]
	v_or_b32_e32 v5, 0x80, v4
	v_cmp_gt_u32_e64 s[26:27], s7, v5
	v_mov_b32_e32 v8, 0xff
	v_mov_b32_e32 v9, 0xff
	s_and_saveexec_b64 s[8:9], s[26:27]
	s_cbranch_execz .LBB268_11
; %bb.10:
	global_load_ubyte v9, v[2:3], off offset:128
.LBB268_11:
	s_or_b64 exec, exec, s[8:9]
	v_or_b32_e32 v5, 0xc0, v4
	v_cmp_gt_u32_e64 s[8:9], s7, v5
	s_and_saveexec_b64 s[10:11], s[8:9]
	s_cbranch_execz .LBB268_13
; %bb.12:
	global_load_ubyte v8, v[2:3], off offset:192
.LBB268_13:
	s_or_b64 exec, exec, s[10:11]
	v_or_b32_e32 v5, 0x100, v4
	v_cmp_gt_u32_e64 s[10:11], s7, v5
	v_mov_b32_e32 v13, 0xff
	v_mov_b32_e32 v16, 0xff
	s_and_saveexec_b64 s[12:13], s[10:11]
	s_cbranch_execz .LBB268_15
; %bb.14:
	global_load_ubyte v16, v[2:3], off offset:256
.LBB268_15:
	;; [unrolled: 18-line block ×3, first 2 shown]
	s_or_b64 exec, exec, s[16:17]
	v_or_b32_e32 v4, 0x1c0, v4
	v_cmp_gt_u32_e64 s[16:17], s7, v4
	s_and_saveexec_b64 s[18:19], s[16:17]
	s_cbranch_execz .LBB268_21
; %bb.20:
	global_load_ubyte v17, v[2:3], off offset:448
.LBB268_21:
	s_or_b64 exec, exec, s[18:19]
	s_load_dword s18, s[4:5], 0x64
	s_load_dword s52, s[4:5], 0x58
	s_add_u32 s19, s4, 0x58
	s_addc_u32 s20, s5, 0
	v_mov_b32_e32 v2, 0
	s_waitcnt lgkmcnt(0)
	s_lshr_b32 s21, s18, 16
	s_cmp_lt_u32 s6, s52
	s_cselect_b32 s18, 12, 18
	s_add_u32 s18, s19, s18
	s_addc_u32 s19, s20, 0
	global_load_ushort v4, v2, s[18:19]
	s_lshl_b32 s18, -1, s49
	v_mul_u32_u24_e32 v11, 5, v10
	s_waitcnt vmcnt(1)
	v_lshrrev_b32_sdwa v20, s48, v7 dst_sel:DWORD dst_unused:UNUSED_PAD src0_sel:DWORD src1_sel:BYTE_0
	s_not_b32 s53, s18
	v_lshlrev_b32_e32 v19, 2, v11
	v_and_b32_e32 v11, s53, v20
	v_and_b32_e32 v21, 1, v11
	v_bfe_u32 v3, v0, 10, 10
	v_bfe_u32 v5, v0, 20, 10
	v_add_co_u32_e64 v22, s[18:19], -1, v21
	v_mad_u32_u24 v5, v5, s21, v3
	v_lshlrev_b32_e32 v3, 30, v11
	v_addc_co_u32_e64 v23, s[18:19], 0, -1, s[18:19]
	v_cmp_ne_u32_e64 s[18:19], 0, v21
	v_cmp_gt_i64_e64 s[20:21], 0, v[2:3]
	v_not_b32_e32 v21, v3
	v_lshlrev_b32_e32 v3, 29, v11
	v_xor_b32_e32 v23, s19, v23
	v_xor_b32_e32 v22, s18, v22
	v_ashrrev_i32_e32 v21, 31, v21
	v_cmp_gt_i64_e64 s[18:19], 0, v[2:3]
	v_not_b32_e32 v24, v3
	v_lshlrev_b32_e32 v3, 28, v11
	v_and_b32_e32 v23, exec_hi, v23
	v_and_b32_e32 v22, exec_lo, v22
	v_xor_b32_e32 v25, s21, v21
	v_xor_b32_e32 v21, s20, v21
	v_ashrrev_i32_e32 v24, 31, v24
	v_cmp_gt_i64_e64 s[20:21], 0, v[2:3]
	v_not_b32_e32 v26, v3
	v_lshlrev_b32_e32 v3, 27, v11
	v_and_b32_e32 v23, v23, v25
	v_and_b32_e32 v21, v22, v21
	v_xor_b32_e32 v22, s19, v24
	v_xor_b32_e32 v24, s18, v24
	v_ashrrev_i32_e32 v25, 31, v26
	v_cmp_gt_i64_e64 s[18:19], 0, v[2:3]
	v_not_b32_e32 v26, v3
	v_lshlrev_b32_e32 v3, 26, v11
	v_and_b32_e32 v22, v23, v22
	v_and_b32_e32 v21, v21, v24
	;; [unrolled: 8-line block ×3, first 2 shown]
	v_xor_b32_e32 v23, s19, v25
	v_xor_b32_e32 v24, s18, v25
	v_ashrrev_i32_e32 v25, 31, v26
	v_not_b32_e32 v26, v3
	v_mul_u32_u24_e32 v20, 17, v11
	v_cmp_gt_i64_e64 s[18:19], 0, v[2:3]
	v_lshlrev_b32_e32 v3, 24, v11
	v_and_b32_e32 v11, v22, v23
	v_and_b32_e32 v21, v21, v24
	v_xor_b32_e32 v22, s21, v25
	v_ashrrev_i32_e32 v24, 31, v26
	v_and_b32_e32 v11, v11, v22
	v_xor_b32_e32 v22, s19, v24
	v_xor_b32_e32 v23, s20, v25
	v_cmp_gt_i64_e64 s[20:21], 0, v[2:3]
	v_not_b32_e32 v3, v3
	v_and_b32_e32 v11, v11, v22
	v_and_b32_e32 v21, v21, v23
	v_xor_b32_e32 v23, s18, v24
	v_ashrrev_i32_e32 v3, 31, v3
	v_and_b32_e32 v22, v21, v23
	ds_write2_b32 v19, v2, v2 offset0:16 offset1:17
	ds_write2_b32 v19, v2, v2 offset0:18 offset1:19
	ds_write_b32 v19, v2 offset:80
	s_waitcnt lgkmcnt(0)
	s_barrier
	s_waitcnt lgkmcnt(0)
	; wave barrier
	s_waitcnt vmcnt(0)
	v_mad_u64_u32 v[4:5], s[18:19], v5, v4, v[10:11]
	v_lshrrev_b32_e32 v24, 6, v4
	v_xor_b32_e32 v4, s21, v3
	v_xor_b32_e32 v3, s20, v3
	v_and_b32_e32 v5, v11, v4
	v_and_b32_e32 v4, v22, v3
	v_mbcnt_lo_u32_b32 v3, v4, 0
	v_add_lshl_u32 v21, v24, v20, 2
	v_mbcnt_hi_u32_b32 v20, v5, v3
	v_cmp_eq_u32_e64 s[18:19], 0, v20
	v_cmp_ne_u64_e64 s[20:21], 0, v[4:5]
	s_and_b64 s[20:21], s[20:21], s[18:19]
	s_and_saveexec_b64 s[18:19], s[20:21]
	s_cbranch_execz .LBB268_23
; %bb.22:
	v_bcnt_u32_b32 v3, v4, 0
	v_bcnt_u32_b32 v3, v5, v3
	ds_write_b32 v21, v3 offset:64
.LBB268_23:
	s_or_b64 exec, exec, s[18:19]
	v_lshrrev_b32_sdwa v3, s48, v6 dst_sel:DWORD dst_unused:UNUSED_PAD src0_sel:DWORD src1_sel:BYTE_0
	v_and_b32_e32 v4, s53, v3
	v_mul_u32_u24_e32 v3, 17, v4
	v_add_lshl_u32 v22, v24, v3, 2
	v_and_b32_e32 v3, 1, v4
	v_add_co_u32_e64 v5, s[18:19], -1, v3
	v_addc_co_u32_e64 v23, s[18:19], 0, -1, s[18:19]
	v_cmp_ne_u32_e64 s[18:19], 0, v3
	v_xor_b32_e32 v3, s19, v23
	v_and_b32_e32 v23, exec_hi, v3
	v_lshlrev_b32_e32 v3, 30, v4
	v_xor_b32_e32 v5, s18, v5
	v_cmp_gt_i64_e64 s[18:19], 0, v[2:3]
	v_not_b32_e32 v3, v3
	v_ashrrev_i32_e32 v3, 31, v3
	v_and_b32_e32 v5, exec_lo, v5
	v_xor_b32_e32 v25, s19, v3
	v_xor_b32_e32 v3, s18, v3
	v_and_b32_e32 v5, v5, v3
	v_lshlrev_b32_e32 v3, 29, v4
	v_cmp_gt_i64_e64 s[18:19], 0, v[2:3]
	v_not_b32_e32 v3, v3
	v_ashrrev_i32_e32 v3, 31, v3
	v_and_b32_e32 v23, v23, v25
	v_xor_b32_e32 v25, s19, v3
	v_xor_b32_e32 v3, s18, v3
	v_and_b32_e32 v5, v5, v3
	v_lshlrev_b32_e32 v3, 28, v4
	v_cmp_gt_i64_e64 s[18:19], 0, v[2:3]
	v_not_b32_e32 v3, v3
	v_ashrrev_i32_e32 v3, 31, v3
	v_and_b32_e32 v23, v23, v25
	;; [unrolled: 8-line block ×5, first 2 shown]
	v_xor_b32_e32 v25, s19, v3
	v_xor_b32_e32 v3, s18, v3
	v_and_b32_e32 v5, v5, v3
	v_lshlrev_b32_e32 v3, 24, v4
	v_cmp_gt_i64_e64 s[18:19], 0, v[2:3]
	v_not_b32_e32 v2, v3
	v_ashrrev_i32_e32 v2, 31, v2
	v_xor_b32_e32 v3, s19, v2
	v_xor_b32_e32 v2, s18, v2
	; wave barrier
	ds_read_b32 v11, v22 offset:64
	v_and_b32_e32 v23, v23, v25
	v_and_b32_e32 v2, v5, v2
	;; [unrolled: 1-line block ×3, first 2 shown]
	v_mbcnt_lo_u32_b32 v4, v2, 0
	v_mbcnt_hi_u32_b32 v31, v3, v4
	v_cmp_eq_u32_e64 s[18:19], 0, v31
	v_cmp_ne_u64_e64 s[20:21], 0, v[2:3]
	s_and_b64 s[20:21], s[20:21], s[18:19]
	; wave barrier
	s_and_saveexec_b64 s[18:19], s[20:21]
	s_cbranch_execz .LBB268_25
; %bb.24:
	v_bcnt_u32_b32 v2, v2, 0
	v_bcnt_u32_b32 v2, v3, v2
	s_waitcnt lgkmcnt(0)
	v_add_u32_e32 v2, v11, v2
	ds_write_b32 v22, v2 offset:64
.LBB268_25:
	s_or_b64 exec, exec, s[18:19]
	v_lshrrev_b32_sdwa v2, s48, v9 dst_sel:DWORD dst_unused:UNUSED_PAD src0_sel:DWORD src1_sel:BYTE_0
	v_and_b32_e32 v4, s53, v2
	v_and_b32_e32 v3, 1, v4
	v_add_co_u32_e64 v5, s[18:19], -1, v3
	v_addc_co_u32_e64 v25, s[18:19], 0, -1, s[18:19]
	v_cmp_ne_u32_e64 s[18:19], 0, v3
	v_mul_u32_u24_e32 v2, 17, v4
	v_xor_b32_e32 v3, s19, v25
	v_add_lshl_u32 v23, v24, v2, 2
	v_mov_b32_e32 v2, 0
	v_and_b32_e32 v25, exec_hi, v3
	v_lshlrev_b32_e32 v3, 30, v4
	v_xor_b32_e32 v5, s18, v5
	v_cmp_gt_i64_e64 s[18:19], 0, v[2:3]
	v_not_b32_e32 v3, v3
	v_ashrrev_i32_e32 v3, 31, v3
	v_and_b32_e32 v5, exec_lo, v5
	v_xor_b32_e32 v26, s19, v3
	v_xor_b32_e32 v3, s18, v3
	v_and_b32_e32 v5, v5, v3
	v_lshlrev_b32_e32 v3, 29, v4
	v_cmp_gt_i64_e64 s[18:19], 0, v[2:3]
	v_not_b32_e32 v3, v3
	v_ashrrev_i32_e32 v3, 31, v3
	v_and_b32_e32 v25, v25, v26
	v_xor_b32_e32 v26, s19, v3
	v_xor_b32_e32 v3, s18, v3
	v_and_b32_e32 v5, v5, v3
	v_lshlrev_b32_e32 v3, 28, v4
	v_cmp_gt_i64_e64 s[18:19], 0, v[2:3]
	v_not_b32_e32 v3, v3
	v_ashrrev_i32_e32 v3, 31, v3
	v_and_b32_e32 v25, v25, v26
	;; [unrolled: 8-line block ×5, first 2 shown]
	v_xor_b32_e32 v26, s19, v3
	v_xor_b32_e32 v3, s18, v3
	v_and_b32_e32 v25, v25, v26
	v_and_b32_e32 v26, v5, v3
	v_lshlrev_b32_e32 v3, 24, v4
	v_cmp_gt_i64_e64 s[18:19], 0, v[2:3]
	v_not_b32_e32 v3, v3
	v_ashrrev_i32_e32 v3, 31, v3
	v_xor_b32_e32 v4, s19, v3
	v_xor_b32_e32 v3, s18, v3
	; wave barrier
	ds_read_b32 v32, v23 offset:64
	v_and_b32_e32 v5, v25, v4
	v_and_b32_e32 v4, v26, v3
	v_mbcnt_lo_u32_b32 v3, v4, 0
	v_mbcnt_hi_u32_b32 v33, v5, v3
	v_cmp_eq_u32_e64 s[18:19], 0, v33
	v_cmp_ne_u64_e64 s[20:21], 0, v[4:5]
	s_and_b64 s[20:21], s[20:21], s[18:19]
	; wave barrier
	s_and_saveexec_b64 s[18:19], s[20:21]
	s_cbranch_execz .LBB268_27
; %bb.26:
	v_bcnt_u32_b32 v3, v4, 0
	v_bcnt_u32_b32 v3, v5, v3
	s_waitcnt lgkmcnt(0)
	v_add_u32_e32 v3, v32, v3
	ds_write_b32 v23, v3 offset:64
.LBB268_27:
	s_or_b64 exec, exec, s[18:19]
	v_lshrrev_b32_sdwa v3, s48, v8 dst_sel:DWORD dst_unused:UNUSED_PAD src0_sel:DWORD src1_sel:BYTE_0
	v_and_b32_e32 v4, s53, v3
	v_mul_u32_u24_e32 v3, 17, v4
	v_add_lshl_u32 v25, v24, v3, 2
	v_and_b32_e32 v3, 1, v4
	v_add_co_u32_e64 v5, s[18:19], -1, v3
	v_addc_co_u32_e64 v26, s[18:19], 0, -1, s[18:19]
	v_cmp_ne_u32_e64 s[18:19], 0, v3
	v_xor_b32_e32 v3, s19, v26
	v_and_b32_e32 v26, exec_hi, v3
	v_lshlrev_b32_e32 v3, 30, v4
	v_xor_b32_e32 v5, s18, v5
	v_cmp_gt_i64_e64 s[18:19], 0, v[2:3]
	v_not_b32_e32 v3, v3
	v_ashrrev_i32_e32 v3, 31, v3
	v_and_b32_e32 v5, exec_lo, v5
	v_xor_b32_e32 v27, s19, v3
	v_xor_b32_e32 v3, s18, v3
	v_and_b32_e32 v5, v5, v3
	v_lshlrev_b32_e32 v3, 29, v4
	v_cmp_gt_i64_e64 s[18:19], 0, v[2:3]
	v_not_b32_e32 v3, v3
	v_ashrrev_i32_e32 v3, 31, v3
	v_and_b32_e32 v26, v26, v27
	v_xor_b32_e32 v27, s19, v3
	v_xor_b32_e32 v3, s18, v3
	v_and_b32_e32 v5, v5, v3
	v_lshlrev_b32_e32 v3, 28, v4
	v_cmp_gt_i64_e64 s[18:19], 0, v[2:3]
	v_not_b32_e32 v3, v3
	v_ashrrev_i32_e32 v3, 31, v3
	v_and_b32_e32 v26, v26, v27
	;; [unrolled: 8-line block ×5, first 2 shown]
	v_xor_b32_e32 v27, s19, v3
	v_xor_b32_e32 v3, s18, v3
	v_and_b32_e32 v5, v5, v3
	v_lshlrev_b32_e32 v3, 24, v4
	v_cmp_gt_i64_e64 s[18:19], 0, v[2:3]
	v_not_b32_e32 v2, v3
	v_ashrrev_i32_e32 v2, 31, v2
	v_xor_b32_e32 v3, s19, v2
	v_xor_b32_e32 v2, s18, v2
	; wave barrier
	ds_read_b32 v34, v25 offset:64
	v_and_b32_e32 v26, v26, v27
	v_and_b32_e32 v2, v5, v2
	;; [unrolled: 1-line block ×3, first 2 shown]
	v_mbcnt_lo_u32_b32 v4, v2, 0
	v_mbcnt_hi_u32_b32 v35, v3, v4
	v_cmp_eq_u32_e64 s[18:19], 0, v35
	v_cmp_ne_u64_e64 s[20:21], 0, v[2:3]
	s_and_b64 s[20:21], s[20:21], s[18:19]
	; wave barrier
	s_and_saveexec_b64 s[18:19], s[20:21]
	s_cbranch_execz .LBB268_29
; %bb.28:
	v_bcnt_u32_b32 v2, v2, 0
	v_bcnt_u32_b32 v2, v3, v2
	s_waitcnt lgkmcnt(0)
	v_add_u32_e32 v2, v34, v2
	ds_write_b32 v25, v2 offset:64
.LBB268_29:
	s_or_b64 exec, exec, s[18:19]
	v_lshrrev_b32_sdwa v2, s48, v16 dst_sel:DWORD dst_unused:UNUSED_PAD src0_sel:DWORD src1_sel:BYTE_0
	v_and_b32_e32 v4, s53, v2
	v_and_b32_e32 v3, 1, v4
	v_add_co_u32_e64 v5, s[18:19], -1, v3
	v_addc_co_u32_e64 v27, s[18:19], 0, -1, s[18:19]
	v_cmp_ne_u32_e64 s[18:19], 0, v3
	v_mul_u32_u24_e32 v2, 17, v4
	v_xor_b32_e32 v3, s19, v27
	v_add_lshl_u32 v26, v24, v2, 2
	v_mov_b32_e32 v2, 0
	v_and_b32_e32 v27, exec_hi, v3
	v_lshlrev_b32_e32 v3, 30, v4
	v_xor_b32_e32 v5, s18, v5
	v_cmp_gt_i64_e64 s[18:19], 0, v[2:3]
	v_not_b32_e32 v3, v3
	v_ashrrev_i32_e32 v3, 31, v3
	v_and_b32_e32 v5, exec_lo, v5
	v_xor_b32_e32 v28, s19, v3
	v_xor_b32_e32 v3, s18, v3
	v_and_b32_e32 v5, v5, v3
	v_lshlrev_b32_e32 v3, 29, v4
	v_cmp_gt_i64_e64 s[18:19], 0, v[2:3]
	v_not_b32_e32 v3, v3
	v_ashrrev_i32_e32 v3, 31, v3
	v_and_b32_e32 v27, v27, v28
	v_xor_b32_e32 v28, s19, v3
	v_xor_b32_e32 v3, s18, v3
	v_and_b32_e32 v5, v5, v3
	v_lshlrev_b32_e32 v3, 28, v4
	v_cmp_gt_i64_e64 s[18:19], 0, v[2:3]
	v_not_b32_e32 v3, v3
	v_ashrrev_i32_e32 v3, 31, v3
	v_and_b32_e32 v27, v27, v28
	;; [unrolled: 8-line block ×5, first 2 shown]
	v_xor_b32_e32 v28, s19, v3
	v_xor_b32_e32 v3, s18, v3
	v_and_b32_e32 v27, v27, v28
	v_and_b32_e32 v28, v5, v3
	v_lshlrev_b32_e32 v3, 24, v4
	v_cmp_gt_i64_e64 s[18:19], 0, v[2:3]
	v_not_b32_e32 v3, v3
	v_ashrrev_i32_e32 v3, 31, v3
	v_xor_b32_e32 v4, s19, v3
	v_xor_b32_e32 v3, s18, v3
	; wave barrier
	ds_read_b32 v36, v26 offset:64
	v_and_b32_e32 v5, v27, v4
	v_and_b32_e32 v4, v28, v3
	v_mbcnt_lo_u32_b32 v3, v4, 0
	v_mbcnt_hi_u32_b32 v37, v5, v3
	v_cmp_eq_u32_e64 s[18:19], 0, v37
	v_cmp_ne_u64_e64 s[20:21], 0, v[4:5]
	s_and_b64 s[20:21], s[20:21], s[18:19]
	; wave barrier
	s_and_saveexec_b64 s[18:19], s[20:21]
	s_cbranch_execz .LBB268_31
; %bb.30:
	v_bcnt_u32_b32 v3, v4, 0
	v_bcnt_u32_b32 v3, v5, v3
	s_waitcnt lgkmcnt(0)
	v_add_u32_e32 v3, v36, v3
	ds_write_b32 v26, v3 offset:64
.LBB268_31:
	s_or_b64 exec, exec, s[18:19]
	v_lshrrev_b32_sdwa v3, s48, v13 dst_sel:DWORD dst_unused:UNUSED_PAD src0_sel:DWORD src1_sel:BYTE_0
	v_and_b32_e32 v4, s53, v3
	v_mul_u32_u24_e32 v3, 17, v4
	v_add_lshl_u32 v27, v24, v3, 2
	v_and_b32_e32 v3, 1, v4
	v_add_co_u32_e64 v5, s[18:19], -1, v3
	v_addc_co_u32_e64 v28, s[18:19], 0, -1, s[18:19]
	v_cmp_ne_u32_e64 s[18:19], 0, v3
	v_xor_b32_e32 v3, s19, v28
	v_and_b32_e32 v28, exec_hi, v3
	v_lshlrev_b32_e32 v3, 30, v4
	v_xor_b32_e32 v5, s18, v5
	v_cmp_gt_i64_e64 s[18:19], 0, v[2:3]
	v_not_b32_e32 v3, v3
	v_ashrrev_i32_e32 v3, 31, v3
	v_and_b32_e32 v5, exec_lo, v5
	v_xor_b32_e32 v29, s19, v3
	v_xor_b32_e32 v3, s18, v3
	v_and_b32_e32 v5, v5, v3
	v_lshlrev_b32_e32 v3, 29, v4
	v_cmp_gt_i64_e64 s[18:19], 0, v[2:3]
	v_not_b32_e32 v3, v3
	v_ashrrev_i32_e32 v3, 31, v3
	v_and_b32_e32 v28, v28, v29
	v_xor_b32_e32 v29, s19, v3
	v_xor_b32_e32 v3, s18, v3
	v_and_b32_e32 v5, v5, v3
	v_lshlrev_b32_e32 v3, 28, v4
	v_cmp_gt_i64_e64 s[18:19], 0, v[2:3]
	v_not_b32_e32 v3, v3
	v_ashrrev_i32_e32 v3, 31, v3
	v_and_b32_e32 v28, v28, v29
	;; [unrolled: 8-line block ×5, first 2 shown]
	v_xor_b32_e32 v29, s19, v3
	v_xor_b32_e32 v3, s18, v3
	v_and_b32_e32 v5, v5, v3
	v_lshlrev_b32_e32 v3, 24, v4
	v_cmp_gt_i64_e64 s[18:19], 0, v[2:3]
	v_not_b32_e32 v2, v3
	v_ashrrev_i32_e32 v2, 31, v2
	v_xor_b32_e32 v3, s19, v2
	v_xor_b32_e32 v2, s18, v2
	; wave barrier
	ds_read_b32 v38, v27 offset:64
	v_and_b32_e32 v28, v28, v29
	v_and_b32_e32 v2, v5, v2
	;; [unrolled: 1-line block ×3, first 2 shown]
	v_mbcnt_lo_u32_b32 v4, v2, 0
	v_mbcnt_hi_u32_b32 v39, v3, v4
	v_cmp_eq_u32_e64 s[18:19], 0, v39
	v_cmp_ne_u64_e64 s[20:21], 0, v[2:3]
	s_and_b64 s[20:21], s[20:21], s[18:19]
	; wave barrier
	s_and_saveexec_b64 s[18:19], s[20:21]
	s_cbranch_execz .LBB268_33
; %bb.32:
	v_bcnt_u32_b32 v2, v2, 0
	v_bcnt_u32_b32 v2, v3, v2
	s_waitcnt lgkmcnt(0)
	v_add_u32_e32 v2, v38, v2
	ds_write_b32 v27, v2 offset:64
.LBB268_33:
	s_or_b64 exec, exec, s[18:19]
	v_lshrrev_b32_sdwa v2, s48, v18 dst_sel:DWORD dst_unused:UNUSED_PAD src0_sel:DWORD src1_sel:BYTE_0
	v_and_b32_e32 v4, s53, v2
	v_and_b32_e32 v3, 1, v4
	v_add_co_u32_e64 v5, s[18:19], -1, v3
	v_addc_co_u32_e64 v29, s[18:19], 0, -1, s[18:19]
	v_cmp_ne_u32_e64 s[18:19], 0, v3
	v_mul_u32_u24_e32 v2, 17, v4
	v_xor_b32_e32 v3, s19, v29
	v_add_lshl_u32 v28, v24, v2, 2
	v_mov_b32_e32 v2, 0
	v_and_b32_e32 v29, exec_hi, v3
	v_lshlrev_b32_e32 v3, 30, v4
	v_xor_b32_e32 v5, s18, v5
	v_cmp_gt_i64_e64 s[18:19], 0, v[2:3]
	v_not_b32_e32 v3, v3
	v_ashrrev_i32_e32 v3, 31, v3
	v_and_b32_e32 v5, exec_lo, v5
	v_xor_b32_e32 v41, s19, v3
	v_xor_b32_e32 v3, s18, v3
	v_and_b32_e32 v5, v5, v3
	v_lshlrev_b32_e32 v3, 29, v4
	v_cmp_gt_i64_e64 s[18:19], 0, v[2:3]
	v_not_b32_e32 v3, v3
	v_ashrrev_i32_e32 v3, 31, v3
	v_and_b32_e32 v29, v29, v41
	v_xor_b32_e32 v41, s19, v3
	v_xor_b32_e32 v3, s18, v3
	v_and_b32_e32 v5, v5, v3
	v_lshlrev_b32_e32 v3, 28, v4
	v_cmp_gt_i64_e64 s[18:19], 0, v[2:3]
	v_not_b32_e32 v3, v3
	v_ashrrev_i32_e32 v3, 31, v3
	v_and_b32_e32 v29, v29, v41
	;; [unrolled: 8-line block ×5, first 2 shown]
	v_xor_b32_e32 v41, s19, v3
	v_xor_b32_e32 v3, s18, v3
	v_and_b32_e32 v29, v29, v41
	v_and_b32_e32 v41, v5, v3
	v_lshlrev_b32_e32 v3, 24, v4
	v_cmp_gt_i64_e64 s[18:19], 0, v[2:3]
	v_not_b32_e32 v3, v3
	v_ashrrev_i32_e32 v3, 31, v3
	v_xor_b32_e32 v4, s19, v3
	v_xor_b32_e32 v3, s18, v3
	; wave barrier
	ds_read_b32 v40, v28 offset:64
	v_and_b32_e32 v5, v29, v4
	v_and_b32_e32 v4, v41, v3
	v_mbcnt_lo_u32_b32 v3, v4, 0
	v_mbcnt_hi_u32_b32 v41, v5, v3
	v_cmp_eq_u32_e64 s[18:19], 0, v41
	v_cmp_ne_u64_e64 s[20:21], 0, v[4:5]
	s_and_b64 s[20:21], s[20:21], s[18:19]
	; wave barrier
	s_and_saveexec_b64 s[18:19], s[20:21]
	s_cbranch_execz .LBB268_35
; %bb.34:
	v_bcnt_u32_b32 v3, v4, 0
	v_bcnt_u32_b32 v3, v5, v3
	s_waitcnt lgkmcnt(0)
	v_add_u32_e32 v3, v40, v3
	ds_write_b32 v28, v3 offset:64
.LBB268_35:
	s_or_b64 exec, exec, s[18:19]
	v_lshrrev_b32_sdwa v3, s48, v17 dst_sel:DWORD dst_unused:UNUSED_PAD src0_sel:DWORD src1_sel:BYTE_0
	v_and_b32_e32 v4, s53, v3
	v_mul_u32_u24_e32 v3, 17, v4
	v_add_lshl_u32 v24, v24, v3, 2
	v_and_b32_e32 v3, 1, v4
	v_add_co_u32_e64 v5, s[18:19], -1, v3
	v_addc_co_u32_e64 v43, s[18:19], 0, -1, s[18:19]
	v_cmp_ne_u32_e64 s[18:19], 0, v3
	v_xor_b32_e32 v3, s19, v43
	v_and_b32_e32 v43, exec_hi, v3
	v_lshlrev_b32_e32 v3, 30, v4
	v_xor_b32_e32 v5, s18, v5
	v_cmp_gt_i64_e64 s[18:19], 0, v[2:3]
	v_not_b32_e32 v3, v3
	v_ashrrev_i32_e32 v3, 31, v3
	v_and_b32_e32 v5, exec_lo, v5
	v_xor_b32_e32 v44, s19, v3
	v_xor_b32_e32 v3, s18, v3
	v_and_b32_e32 v5, v5, v3
	v_lshlrev_b32_e32 v3, 29, v4
	v_cmp_gt_i64_e64 s[18:19], 0, v[2:3]
	v_not_b32_e32 v3, v3
	v_ashrrev_i32_e32 v3, 31, v3
	v_and_b32_e32 v43, v43, v44
	v_xor_b32_e32 v44, s19, v3
	v_xor_b32_e32 v3, s18, v3
	v_and_b32_e32 v5, v5, v3
	v_lshlrev_b32_e32 v3, 28, v4
	v_cmp_gt_i64_e64 s[18:19], 0, v[2:3]
	v_not_b32_e32 v3, v3
	v_ashrrev_i32_e32 v3, 31, v3
	v_and_b32_e32 v43, v43, v44
	;; [unrolled: 8-line block ×5, first 2 shown]
	v_xor_b32_e32 v44, s19, v3
	v_xor_b32_e32 v3, s18, v3
	v_and_b32_e32 v5, v5, v3
	v_lshlrev_b32_e32 v3, 24, v4
	v_cmp_gt_i64_e64 s[18:19], 0, v[2:3]
	v_not_b32_e32 v2, v3
	v_ashrrev_i32_e32 v2, 31, v2
	v_xor_b32_e32 v3, s19, v2
	v_xor_b32_e32 v2, s18, v2
	; wave barrier
	ds_read_b32 v42, v24 offset:64
	v_and_b32_e32 v43, v43, v44
	v_and_b32_e32 v2, v5, v2
	;; [unrolled: 1-line block ×3, first 2 shown]
	v_mbcnt_lo_u32_b32 v4, v2, 0
	v_mbcnt_hi_u32_b32 v45, v3, v4
	v_cmp_eq_u32_e64 s[18:19], 0, v45
	v_cmp_ne_u64_e64 s[20:21], 0, v[2:3]
	v_add_u32_e32 v29, 64, v19
	s_and_b64 s[20:21], s[20:21], s[18:19]
	; wave barrier
	s_and_saveexec_b64 s[18:19], s[20:21]
	s_cbranch_execz .LBB268_37
; %bb.36:
	v_bcnt_u32_b32 v2, v2, 0
	v_bcnt_u32_b32 v2, v3, v2
	s_waitcnt lgkmcnt(0)
	v_add_u32_e32 v2, v42, v2
	ds_write_b32 v24, v2 offset:64
.LBB268_37:
	s_or_b64 exec, exec, s[18:19]
	; wave barrier
	s_waitcnt lgkmcnt(0)
	s_barrier
	ds_read2_b32 v[4:5], v19 offset0:16 offset1:17
	ds_read2_b32 v[2:3], v29 offset0:2 offset1:3
	ds_read_b32 v43, v29 offset:16
	v_cmp_lt_u32_e64 s[28:29], 31, v15
	s_waitcnt lgkmcnt(1)
	v_add3_u32 v44, v5, v4, v2
	s_waitcnt lgkmcnt(0)
	v_add3_u32 v43, v44, v3, v43
	v_and_b32_e32 v44, 15, v15
	v_cmp_eq_u32_e64 s[18:19], 0, v44
	v_mov_b32_dpp v46, v43 row_shr:1 row_mask:0xf bank_mask:0xf
	v_cndmask_b32_e64 v46, v46, 0, s[18:19]
	v_add_u32_e32 v43, v46, v43
	v_cmp_lt_u32_e64 s[20:21], 1, v44
	v_cmp_lt_u32_e64 s[22:23], 3, v44
	v_mov_b32_dpp v46, v43 row_shr:2 row_mask:0xf bank_mask:0xf
	v_cndmask_b32_e64 v46, 0, v46, s[20:21]
	v_add_u32_e32 v43, v43, v46
	v_cmp_lt_u32_e64 s[24:25], 7, v44
	s_nop 0
	v_mov_b32_dpp v46, v43 row_shr:4 row_mask:0xf bank_mask:0xf
	v_cndmask_b32_e64 v46, 0, v46, s[22:23]
	v_add_u32_e32 v43, v43, v46
	s_nop 1
	v_mov_b32_dpp v46, v43 row_shr:8 row_mask:0xf bank_mask:0xf
	v_cndmask_b32_e64 v44, 0, v46, s[24:25]
	v_add_u32_e32 v43, v43, v44
	v_bfe_i32 v46, v15, 4, 1
	s_nop 0
	v_mov_b32_dpp v44, v43 row_bcast:15 row_mask:0xf bank_mask:0xf
	v_and_b32_e32 v44, v46, v44
	v_add_u32_e32 v43, v43, v44
	v_and_b32_e32 v46, 63, v10
	s_nop 0
	v_mov_b32_dpp v44, v43 row_bcast:31 row_mask:0xf bank_mask:0xf
	v_cndmask_b32_e64 v44, 0, v44, s[28:29]
	v_add_u32_e32 v43, v43, v44
	v_lshrrev_b32_e32 v44, 6, v10
	v_cmp_eq_u32_e64 s[28:29], 63, v46
	s_and_saveexec_b64 s[50:51], s[28:29]
	s_cbranch_execz .LBB268_39
; %bb.38:
	v_lshlrev_b32_e32 v46, 2, v44
	ds_write_b32 v46, v43
.LBB268_39:
	s_or_b64 exec, exec, s[50:51]
	v_cmp_gt_u32_e64 s[28:29], 16, v10
	s_waitcnt lgkmcnt(0)
	s_barrier
	s_and_saveexec_b64 s[50:51], s[28:29]
	s_cbranch_execz .LBB268_41
; %bb.40:
	v_lshlrev_b32_e32 v46, 2, v10
	ds_read_b32 v47, v46
	s_waitcnt lgkmcnt(0)
	s_nop 0
	v_mov_b32_dpp v48, v47 row_shr:1 row_mask:0xf bank_mask:0xf
	v_cndmask_b32_e64 v48, v48, 0, s[18:19]
	v_add_u32_e32 v47, v48, v47
	s_nop 1
	v_mov_b32_dpp v48, v47 row_shr:2 row_mask:0xf bank_mask:0xf
	v_cndmask_b32_e64 v48, 0, v48, s[20:21]
	v_add_u32_e32 v47, v47, v48
	;; [unrolled: 4-line block ×4, first 2 shown]
	ds_write_b32 v46, v47
.LBB268_41:
	s_or_b64 exec, exec, s[50:51]
	v_cmp_lt_u32_e64 s[18:19], 63, v10
	v_mov_b32_e32 v46, 0
	s_waitcnt lgkmcnt(0)
	s_barrier
	s_and_saveexec_b64 s[20:21], s[18:19]
	s_cbranch_execz .LBB268_43
; %bb.42:
	v_lshl_add_u32 v44, v44, 2, -4
	ds_read_b32 v46, v44
.LBB268_43:
	s_or_b64 exec, exec, s[20:21]
	v_add_u32_e32 v44, -1, v15
	v_and_b32_e32 v47, 64, v15
	v_cmp_lt_i32_e64 s[18:19], v44, v47
	v_cndmask_b32_e64 v44, v44, v15, s[18:19]
	s_waitcnt lgkmcnt(0)
	v_add_u32_e32 v43, v46, v43
	v_lshlrev_b32_e32 v44, 2, v44
	ds_bpermute_b32 v43, v44, v43
	v_cmp_eq_u32_e64 s[18:19], 0, v15
                                        ; implicit-def: $vgpr44
	s_waitcnt lgkmcnt(0)
	v_cndmask_b32_e64 v15, v43, v46, s[18:19]
	v_cndmask_b32_e64 v15, v15, 0, s[0:1]
	v_add_u32_e32 v4, v15, v4
	v_add_u32_e32 v5, v4, v5
	;; [unrolled: 1-line block ×4, first 2 shown]
	ds_write2_b32 v19, v15, v4 offset0:16 offset1:17
	ds_write2_b32 v29, v5, v2 offset0:2 offset1:3
	ds_write_b32 v29, v3 offset:16
	s_waitcnt lgkmcnt(0)
	s_barrier
	ds_read_b32 v2, v21 offset:64
	ds_read_b32 v47, v22 offset:64
	;; [unrolled: 1-line block ×8, first 2 shown]
	s_movk_i32 s18, 0x100
	v_cmp_gt_u32_e64 s[18:19], s18, v10
                                        ; implicit-def: $vgpr43
	s_and_saveexec_b64 s[22:23], s[18:19]
	s_cbranch_execz .LBB268_47
; %bb.44:
	v_mul_u32_u24_e32 v3, 17, v10
	v_lshlrev_b32_e32 v4, 2, v3
	ds_read_b32 v43, v4 offset:64
	s_movk_i32 s20, 0xff
	v_cmp_ne_u32_e64 s[20:21], s20, v10
	v_mov_b32_e32 v3, 0x2000
	s_and_saveexec_b64 s[24:25], s[20:21]
	s_cbranch_execz .LBB268_46
; %bb.45:
	ds_read_b32 v3, v4 offset:132
.LBB268_46:
	s_or_b64 exec, exec, s[24:25]
	s_waitcnt lgkmcnt(0)
	v_sub_u32_e32 v44, v3, v43
.LBB268_47:
	s_or_b64 exec, exec, s[22:23]
	s_waitcnt lgkmcnt(7)
	v_add_u32_e32 v46, v2, v20
	s_waitcnt lgkmcnt(6)
	v_add3_u32 v2, v31, v11, v47
	s_waitcnt lgkmcnt(5)
	v_add3_u32 v3, v33, v32, v48
	;; [unrolled: 2-line block ×7, first 2 shown]
	s_barrier
	ds_write_b8 v46, v7 offset:1024
	ds_write_b8 v2, v6 offset:1024
	;; [unrolled: 1-line block ×8, first 2 shown]
	s_and_saveexec_b64 s[22:23], s[18:19]
	s_cbranch_execz .LBB268_57
; %bb.48:
	v_lshl_or_b32 v2, s33, 8, v10
	v_mov_b32_e32 v3, 0
	v_lshlrev_b64 v[4:5], 2, v[2:3]
	v_mov_b32_e32 v8, s31
	v_add_co_u32_e64 v4, s[20:21], s30, v4
	v_addc_co_u32_e64 v5, s[20:21], v8, v5, s[20:21]
	v_or_b32_e32 v2, 2.0, v44
	s_mov_b64 s[24:25], 0
	s_brev_b32 s54, 1
	s_mov_b32 s55, s33
	v_mov_b32_e32 v9, 0
	global_store_dword v[4:5], v2, off
                                        ; implicit-def: $sgpr20_sgpr21
	s_branch .LBB268_50
.LBB268_49:                             ;   in Loop: Header=BB268_50 Depth=1
	s_or_b64 exec, exec, s[28:29]
	v_and_b32_e32 v6, 0x3fffffff, v13
	v_add_u32_e32 v9, v6, v9
	v_cmp_eq_u32_e64 s[20:21], s54, v2
	s_and_b64 s[28:29], exec, s[20:21]
	s_or_b64 s[24:25], s[28:29], s[24:25]
	s_andn2_b64 exec, exec, s[24:25]
	s_cbranch_execz .LBB268_56
.LBB268_50:                             ; =>This Loop Header: Depth=1
                                        ;     Child Loop BB268_53 Depth 2
	s_or_b64 s[20:21], s[20:21], exec
	s_cmp_eq_u32 s55, 0
	s_cbranch_scc1 .LBB268_55
; %bb.51:                               ;   in Loop: Header=BB268_50 Depth=1
	s_add_i32 s55, s55, -1
	v_lshl_or_b32 v2, s55, 8, v10
	v_lshlrev_b64 v[6:7], 2, v[2:3]
	v_add_co_u32_e64 v6, s[20:21], s30, v6
	v_addc_co_u32_e64 v7, s[20:21], v8, v7, s[20:21]
	global_load_dword v13, v[6:7], off glc
	s_waitcnt vmcnt(0)
	v_and_b32_e32 v2, -2.0, v13
	v_cmp_eq_u32_e64 s[20:21], 0, v2
	s_and_saveexec_b64 s[28:29], s[20:21]
	s_cbranch_execz .LBB268_49
; %bb.52:                               ;   in Loop: Header=BB268_50 Depth=1
	s_mov_b64 s[50:51], 0
.LBB268_53:                             ;   Parent Loop BB268_50 Depth=1
                                        ; =>  This Inner Loop Header: Depth=2
	global_load_dword v13, v[6:7], off glc
	s_waitcnt vmcnt(0)
	v_and_b32_e32 v2, -2.0, v13
	v_cmp_ne_u32_e64 s[20:21], 0, v2
	s_or_b64 s[50:51], s[20:21], s[50:51]
	s_andn2_b64 exec, exec, s[50:51]
	s_cbranch_execnz .LBB268_53
; %bb.54:                               ;   in Loop: Header=BB268_50 Depth=1
	s_or_b64 exec, exec, s[50:51]
	s_branch .LBB268_49
.LBB268_55:                             ;   in Loop: Header=BB268_50 Depth=1
                                        ; implicit-def: $sgpr55
	s_and_b64 s[28:29], exec, s[20:21]
	s_or_b64 s[24:25], s[28:29], s[24:25]
	s_andn2_b64 exec, exec, s[24:25]
	s_cbranch_execnz .LBB268_50
.LBB268_56:
	s_or_b64 exec, exec, s[24:25]
	v_add_u32_e32 v2, v9, v44
	v_or_b32_e32 v2, 0x80000000, v2
	global_store_dword v[4:5], v2, off
	v_lshlrev_b32_e32 v2, 2, v10
	global_load_dword v3, v2, s[44:45]
	v_sub_u32_e32 v4, v9, v43
	s_waitcnt vmcnt(0)
	v_add_u32_e32 v3, v4, v3
	ds_write_b32 v2, v3
.LBB268_57:
	s_or_b64 exec, exec, s[22:23]
	v_cmp_gt_u32_e64 s[20:21], s7, v10
	s_waitcnt lgkmcnt(0)
	s_barrier
	s_waitcnt lgkmcnt(0)
                                        ; implicit-def: $vgpr2_vgpr3_vgpr4_vgpr5_vgpr6_vgpr7_vgpr8_vgpr9
	s_and_saveexec_b64 s[22:23], s[20:21]
	s_cbranch_execz .LBB268_59
; %bb.58:
	ds_read_u8 v3, v10 offset:1024
	s_waitcnt lgkmcnt(0)
	v_lshrrev_b32_sdwa v2, s48, v3 dst_sel:DWORD dst_unused:UNUSED_PAD src0_sel:DWORD src1_sel:BYTE_0
	v_and_b32_e32 v2, s53, v2
	v_lshlrev_b32_e32 v4, 2, v2
	ds_read_b32 v4, v4
	s_waitcnt lgkmcnt(0)
	v_add_u32_e32 v4, v4, v10
	global_store_byte v4, v3, s[38:39]
.LBB268_59:
	s_or_b64 exec, exec, s[22:23]
	v_or_b32_e32 v13, 0x400, v10
	v_cmp_gt_u32_e64 s[20:21], s7, v13
	s_and_saveexec_b64 s[22:23], s[20:21]
	s_cbranch_execz .LBB268_61
; %bb.60:
	ds_read_u8 v15, v10 offset:2048
	s_waitcnt lgkmcnt(0)
	v_lshrrev_b32_sdwa v3, s48, v15 dst_sel:DWORD dst_unused:UNUSED_PAD src0_sel:DWORD src1_sel:BYTE_0
	v_and_b32_e32 v3, s53, v3
	v_lshlrev_b32_e32 v16, 2, v3
	ds_read_b32 v16, v16
	s_waitcnt lgkmcnt(0)
	v_add_u32_e32 v13, v16, v13
	global_store_byte v13, v15, s[38:39]
.LBB268_61:
	s_or_b64 exec, exec, s[22:23]
	v_or_b32_e32 v13, 0x800, v10
	v_cmp_gt_u32_e64 s[20:21], s7, v13
	;; [unrolled: 16-line block ×7, first 2 shown]
	s_and_saveexec_b64 s[22:23], s[20:21]
	s_cbranch_execz .LBB268_73
; %bb.72:
	ds_read_u8 v15, v10 offset:8192
	s_waitcnt lgkmcnt(0)
	v_lshrrev_b32_sdwa v9, s48, v15 dst_sel:DWORD dst_unused:UNUSED_PAD src0_sel:DWORD src1_sel:BYTE_0
	v_and_b32_e32 v9, s53, v9
	v_lshlrev_b32_e32 v16, 2, v9
	ds_read_b32 v16, v16
	s_waitcnt lgkmcnt(0)
	v_add_u32_e32 v13, v16, v13
	global_store_byte v13, v15, s[38:39]
.LBB268_73:
	s_or_b64 exec, exec, s[22:23]
	s_lshl_b64 s[20:21], s[34:35], 3
	s_add_u32 s20, s40, s20
	s_addc_u32 s21, s41, s21
	v_lshlrev_b32_e32 v13, 3, v14
	v_mov_b32_e32 v14, s21
	v_add_co_u32_e64 v13, s[20:21], s20, v13
	v_addc_co_u32_e64 v14, s[20:21], 0, v14, s[20:21]
	v_lshlrev_b32_e32 v12, 3, v12
	v_add_co_u32_e64 v28, s[20:21], v13, v12
	v_addc_co_u32_e64 v29, s[20:21], 0, v14, s[20:21]
                                        ; implicit-def: $vgpr12_vgpr13
	s_and_saveexec_b64 s[20:21], vcc
	s_xor_b64 s[20:21], exec, s[20:21]
	s_cbranch_execnz .LBB268_138
; %bb.74:
	s_or_b64 exec, exec, s[20:21]
                                        ; implicit-def: $vgpr14_vgpr15
	s_and_saveexec_b64 s[20:21], s[2:3]
	s_cbranch_execnz .LBB268_139
.LBB268_75:
	s_or_b64 exec, exec, s[20:21]
                                        ; implicit-def: $vgpr16_vgpr17
	s_and_saveexec_b64 s[2:3], s[26:27]
	s_cbranch_execnz .LBB268_140
.LBB268_76:
	s_or_b64 exec, exec, s[2:3]
                                        ; implicit-def: $vgpr18_vgpr19
	s_and_saveexec_b64 s[2:3], s[8:9]
	s_cbranch_execnz .LBB268_141
.LBB268_77:
	s_or_b64 exec, exec, s[2:3]
                                        ; implicit-def: $vgpr20_vgpr21
	s_and_saveexec_b64 s[2:3], s[10:11]
	s_cbranch_execnz .LBB268_142
.LBB268_78:
	s_or_b64 exec, exec, s[2:3]
                                        ; implicit-def: $vgpr22_vgpr23
	s_and_saveexec_b64 s[2:3], s[12:13]
	s_cbranch_execnz .LBB268_143
.LBB268_79:
	s_or_b64 exec, exec, s[2:3]
                                        ; implicit-def: $vgpr24_vgpr25
	s_and_saveexec_b64 s[2:3], s[14:15]
	s_cbranch_execnz .LBB268_144
.LBB268_80:
	s_or_b64 exec, exec, s[2:3]
                                        ; implicit-def: $vgpr26_vgpr27
	s_and_saveexec_b64 s[2:3], s[16:17]
	s_cbranch_execz .LBB268_82
.LBB268_81:
	global_load_dwordx2 v[26:27], v[28:29], off offset:3584
.LBB268_82:
	s_or_b64 exec, exec, s[2:3]
	s_movk_i32 s8, 0x400
	v_add_u32_e32 v54, 0x400, v1
	v_add3_u32 v42, v45, v53, v42
	v_add3_u32 v40, v41, v52, v40
	;; [unrolled: 1-line block ×7, first 2 shown]
	s_mov_b32 s9, 0
	v_mov_b32_e32 v29, 0
	s_mov_b32 s10, 0
	v_mov_b32_e32 v31, v10
	s_barrier
	s_waitcnt vmcnt(0)
	s_branch .LBB268_84
.LBB268_83:                             ;   in Loop: Header=BB268_84 Depth=1
	s_or_b64 exec, exec, s[2:3]
	s_addk_i32 s10, 0xf800
	s_add_i32 s9, s9, 2
	s_cmpk_eq_i32 s10, 0xe000
	v_add_u32_e32 v31, 0x800, v31
	s_barrier
	s_cbranch_scc1 .LBB268_89
.LBB268_84:                             ; =>This Inner Loop Header: Depth=1
	v_add_u32_e32 v28, s10, v46
	v_min_u32_e32 v28, 0x800, v28
	v_lshlrev_b32_e32 v28, 3, v28
	ds_write_b64 v28, v[12:13] offset:1024
	v_add_u32_e32 v28, s10, v11
	v_min_u32_e32 v28, 0x800, v28
	v_lshlrev_b32_e32 v28, 3, v28
	ds_write_b64 v28, v[14:15] offset:1024
	;; [unrolled: 4-line block ×7, first 2 shown]
	v_add_u32_e32 v28, s10, v42
	v_min_u32_e32 v28, 0x800, v28
	v_lshlrev_b32_e32 v28, 3, v28
	v_cmp_gt_u32_e32 vcc, s7, v31
	ds_write_b64 v28, v[26:27] offset:1024
	s_waitcnt lgkmcnt(0)
	s_barrier
	s_and_saveexec_b64 s[2:3], vcc
	s_cbranch_execz .LBB268_86
; %bb.85:                               ;   in Loop: Header=BB268_84 Depth=1
	s_cmp_eq_u32 s9, 1
	s_cselect_b64 vcc, -1, 0
	s_cmp_eq_u32 s9, 2
	v_cndmask_b32_e32 v28, v2, v3, vcc
	s_cselect_b64 vcc, -1, 0
	s_cmp_eq_u32 s9, 3
	v_cndmask_b32_e32 v28, v28, v4, vcc
	;; [unrolled: 3-line block ×6, first 2 shown]
	s_cselect_b64 vcc, -1, 0
	v_cndmask_b32_e32 v28, v28, v9, vcc
	v_lshlrev_b32_e32 v28, 2, v28
	ds_read_b32 v28, v28
	ds_read_b64 v[48:49], v1 offset:1024
	s_waitcnt lgkmcnt(1)
	v_add_u32_e32 v28, v31, v28
	v_lshlrev_b64 v[50:51], 3, v[28:29]
	v_mov_b32_e32 v28, s43
	v_add_co_u32_e32 v50, vcc, s42, v50
	v_addc_co_u32_e32 v51, vcc, v28, v51, vcc
	s_waitcnt lgkmcnt(0)
	global_store_dwordx2 v[50:51], v[48:49], off
.LBB268_86:                             ;   in Loop: Header=BB268_84 Depth=1
	s_or_b64 exec, exec, s[2:3]
	v_add_u32_e32 v28, 0x400, v31
	v_cmp_gt_u32_e32 vcc, s7, v28
	s_and_saveexec_b64 s[2:3], vcc
	s_cbranch_execz .LBB268_83
; %bb.87:                               ;   in Loop: Header=BB268_84 Depth=1
	s_add_i32 s11, s9, 1
	s_cmp_eq_u32 s11, 1
	s_cselect_b64 vcc, -1, 0
	s_cmp_eq_u32 s11, 2
	v_cndmask_b32_e32 v28, v2, v3, vcc
	s_cselect_b64 vcc, -1, 0
	s_cmp_eq_u32 s11, 3
	v_cndmask_b32_e32 v28, v28, v4, vcc
	;; [unrolled: 3-line block ×6, first 2 shown]
	s_cselect_b64 vcc, -1, 0
	v_cndmask_b32_e32 v28, v28, v9, vcc
	v_lshlrev_b32_e32 v28, 2, v28
	ds_read_b32 v28, v28
	ds_read_b64 v[48:49], v54 offset:8192
	s_waitcnt lgkmcnt(1)
	v_add3_u32 v28, v31, v28, s8
	v_lshlrev_b64 v[50:51], 3, v[28:29]
	v_mov_b32_e32 v28, s43
	v_add_co_u32_e32 v50, vcc, s42, v50
	v_addc_co_u32_e32 v51, vcc, v28, v51, vcc
	s_waitcnt lgkmcnt(0)
	global_store_dwordx2 v[50:51], v[48:49], off
	s_branch .LBB268_83
.LBB268_88:
	s_mov_b64 s[10:11], 0
                                        ; implicit-def: $vgpr2
                                        ; implicit-def: $vgpr14_vgpr15
	s_cbranch_execnz .LBB268_92
	s_branch .LBB268_135
.LBB268_89:
	s_add_i32 s52, s52, -1
	s_cmp_eq_u32 s52, s33
	s_cselect_b64 s[2:3], -1, 0
	s_and_b64 s[8:9], s[18:19], s[2:3]
	s_mov_b64 s[2:3], 0
	s_mov_b64 s[10:11], 0
                                        ; implicit-def: $vgpr2
                                        ; implicit-def: $vgpr14_vgpr15
	s_and_saveexec_b64 s[12:13], s[8:9]
	s_xor_b64 s[8:9], exec, s[12:13]
; %bb.90:
	v_mov_b32_e32 v11, 0
	s_mov_b64 s[10:11], exec
	v_add_u32_e32 v2, v43, v44
	v_pk_mov_b32 v[14:15], v[10:11], v[10:11] op_sel:[0,1]
; %bb.91:
	s_or_b64 exec, exec, s[8:9]
	s_and_b64 vcc, exec, s[2:3]
	s_cbranch_vccz .LBB268_135
.LBB268_92:
	s_lshl_b32 s12, s33, 13
	s_add_u32 s2, s36, s12
	v_mbcnt_hi_u32_b32 v18, -1, v30
	s_addc_u32 s3, s37, 0
	v_and_b32_e32 v12, 63, v18
	v_and_b32_e32 v8, 0x1e00, v1
	v_mov_b32_e32 v1, s3
	v_add_co_u32_e32 v2, vcc, s2, v12
	v_addc_co_u32_e32 v1, vcc, 0, v1, vcc
	v_add_co_u32_e32 v22, vcc, v2, v8
	v_addc_co_u32_e32 v23, vcc, 0, v1, vcc
	global_load_ubyte v4, v[22:23], off
	s_load_dword s2, s[4:5], 0x64
	s_load_dword s16, s[4:5], 0x58
	s_add_u32 s3, s4, 0x58
	s_addc_u32 s4, s5, 0
	v_mov_b32_e32 v2, 0
	s_waitcnt lgkmcnt(0)
	s_lshr_b32 s5, s2, 16
	s_cmp_lt_u32 s6, s16
	s_cselect_b32 s2, 12, 18
	s_add_u32 s2, s3, s2
	s_addc_u32 s3, s4, 0
	global_load_ushort v1, v2, s[2:3]
	v_mul_u32_u24_e32 v5, 5, v10
	v_lshlrev_b32_e32 v20, 2, v5
	ds_write2_b32 v20, v2, v2 offset0:16 offset1:17
	ds_write2_b32 v20, v2, v2 offset0:18 offset1:19
	ds_write_b32 v20, v2 offset:80
	global_load_ubyte v5, v[22:23], off offset:64
	global_load_ubyte v6, v[22:23], off offset:128
	;; [unrolled: 1-line block ×7, first 2 shown]
	v_bfe_u32 v3, v0, 10, 10
	v_bfe_u32 v0, v0, 20, 10
	s_lshl_b32 s2, -1, s49
	v_mad_u32_u24 v0, v0, s5, v3
	s_not_b32 s17, s2
	s_mov_b32 s13, 0
	s_waitcnt lgkmcnt(0)
	s_barrier
	s_waitcnt lgkmcnt(0)
	; wave barrier
	s_waitcnt vmcnt(8)
	v_lshrrev_b32_sdwa v3, s48, v4 dst_sel:DWORD dst_unused:UNUSED_PAD src0_sel:DWORD src1_sel:BYTE_0
	v_and_b32_e32 v9, s17, v3
	v_and_b32_e32 v16, 1, v9
	v_add_co_u32_e32 v19, vcc, -1, v16
	v_lshlrev_b32_e32 v3, 30, v9
	v_addc_co_u32_e64 v21, s[2:3], 0, -1, vcc
	v_cmp_ne_u32_e32 vcc, 0, v16
	v_cmp_gt_i64_e64 s[2:3], 0, v[2:3]
	v_not_b32_e32 v16, v3
	v_lshlrev_b32_e32 v3, 29, v9
	s_waitcnt vmcnt(3)
	v_mad_u64_u32 v[0:1], s[4:5], v0, v1, v[10:11]
	v_xor_b32_e32 v1, vcc_hi, v21
	v_xor_b32_e32 v19, vcc_lo, v19
	v_ashrrev_i32_e32 v16, 31, v16
	v_cmp_gt_i64_e32 vcc, 0, v[2:3]
	v_not_b32_e32 v21, v3
	v_lshlrev_b32_e32 v3, 28, v9
	v_mul_u32_u24_e32 v13, 17, v9
	v_lshrrev_b32_e32 v30, 6, v0
	v_and_b32_e32 v0, exec_hi, v1
	v_and_b32_e32 v1, exec_lo, v19
	v_xor_b32_e32 v19, s3, v16
	v_xor_b32_e32 v16, s2, v16
	v_ashrrev_i32_e32 v21, 31, v21
	v_cmp_gt_i64_e64 s[2:3], 0, v[2:3]
	v_not_b32_e32 v23, v3
	v_lshlrev_b32_e32 v3, 27, v9
	v_add_lshl_u32 v22, v30, v13, 2
	v_and_b32_e32 v0, v0, v19
	v_and_b32_e32 v1, v1, v16
	v_xor_b32_e32 v13, vcc_hi, v21
	v_xor_b32_e32 v16, vcc_lo, v21
	v_ashrrev_i32_e32 v19, 31, v23
	v_cmp_gt_i64_e32 vcc, 0, v[2:3]
	v_not_b32_e32 v3, v3
	v_and_b32_e32 v0, v0, v13
	v_and_b32_e32 v1, v1, v16
	v_xor_b32_e32 v13, s3, v19
	v_xor_b32_e32 v16, s2, v19
	v_ashrrev_i32_e32 v3, 31, v3
	v_and_b32_e32 v0, v0, v13
	v_and_b32_e32 v1, v1, v16
	v_xor_b32_e32 v13, vcc_hi, v3
	v_xor_b32_e32 v3, vcc_lo, v3
	v_and_b32_e32 v1, v1, v3
	v_lshlrev_b32_e32 v3, 26, v9
	v_cmp_gt_i64_e32 vcc, 0, v[2:3]
	v_not_b32_e32 v3, v3
	v_ashrrev_i32_e32 v3, 31, v3
	v_and_b32_e32 v0, v0, v13
	v_xor_b32_e32 v13, vcc_hi, v3
	v_xor_b32_e32 v3, vcc_lo, v3
	v_and_b32_e32 v1, v1, v3
	v_lshlrev_b32_e32 v3, 25, v9
	v_cmp_gt_i64_e32 vcc, 0, v[2:3]
	v_not_b32_e32 v3, v3
	v_ashrrev_i32_e32 v3, 31, v3
	v_and_b32_e32 v0, v0, v13
	v_xor_b32_e32 v13, vcc_hi, v3
	v_xor_b32_e32 v3, vcc_lo, v3
	v_and_b32_e32 v0, v0, v13
	v_and_b32_e32 v13, v1, v3
	v_lshlrev_b32_e32 v3, 24, v9
	v_not_b32_e32 v1, v3
	v_cmp_gt_i64_e32 vcc, 0, v[2:3]
	v_ashrrev_i32_e32 v1, 31, v1
	v_xor_b32_e32 v3, vcc_hi, v1
	v_xor_b32_e32 v9, vcc_lo, v1
	v_and_b32_e32 v1, v0, v3
	v_and_b32_e32 v0, v13, v9
	v_mbcnt_lo_u32_b32 v3, v0, 0
	v_mbcnt_hi_u32_b32 v23, v1, v3
	v_cmp_eq_u32_e32 vcc, 0, v23
	v_cmp_ne_u64_e64 s[2:3], 0, v[0:1]
	s_and_b64 s[4:5], s[2:3], vcc
	s_and_saveexec_b64 s[2:3], s[4:5]
	s_cbranch_execz .LBB268_94
; %bb.93:
	v_bcnt_u32_b32 v0, v0, 0
	v_bcnt_u32_b32 v0, v1, v0
	ds_write_b32 v22, v0 offset:64
.LBB268_94:
	s_or_b64 exec, exec, s[2:3]
	v_lshrrev_b32_sdwa v0, s48, v5 dst_sel:DWORD dst_unused:UNUSED_PAD src0_sel:DWORD src1_sel:BYTE_0
	v_and_b32_e32 v0, s17, v0
	v_mul_u32_u24_e32 v1, 17, v0
	v_add_lshl_u32 v26, v30, v1, 2
	v_and_b32_e32 v1, 1, v0
	v_add_co_u32_e32 v3, vcc, -1, v1
	v_addc_co_u32_e64 v13, s[2:3], 0, -1, vcc
	v_cmp_ne_u32_e32 vcc, 0, v1
	v_xor_b32_e32 v3, vcc_lo, v3
	v_xor_b32_e32 v1, vcc_hi, v13
	v_and_b32_e32 v13, exec_lo, v3
	v_lshlrev_b32_e32 v3, 30, v0
	v_cmp_gt_i64_e32 vcc, 0, v[2:3]
	v_not_b32_e32 v3, v3
	v_ashrrev_i32_e32 v3, 31, v3
	v_xor_b32_e32 v16, vcc_hi, v3
	v_xor_b32_e32 v3, vcc_lo, v3
	v_and_b32_e32 v13, v13, v3
	v_lshlrev_b32_e32 v3, 29, v0
	v_cmp_gt_i64_e32 vcc, 0, v[2:3]
	v_not_b32_e32 v3, v3
	v_and_b32_e32 v1, exec_hi, v1
	v_ashrrev_i32_e32 v3, 31, v3
	v_and_b32_e32 v1, v1, v16
	v_xor_b32_e32 v16, vcc_hi, v3
	v_xor_b32_e32 v3, vcc_lo, v3
	v_and_b32_e32 v13, v13, v3
	v_lshlrev_b32_e32 v3, 28, v0
	v_cmp_gt_i64_e32 vcc, 0, v[2:3]
	v_not_b32_e32 v3, v3
	v_ashrrev_i32_e32 v3, 31, v3
	v_and_b32_e32 v1, v1, v16
	v_xor_b32_e32 v16, vcc_hi, v3
	v_xor_b32_e32 v3, vcc_lo, v3
	v_and_b32_e32 v13, v13, v3
	v_lshlrev_b32_e32 v3, 27, v0
	v_cmp_gt_i64_e32 vcc, 0, v[2:3]
	v_not_b32_e32 v3, v3
	;; [unrolled: 8-line block ×4, first 2 shown]
	v_ashrrev_i32_e32 v3, 31, v3
	v_and_b32_e32 v1, v1, v16
	v_xor_b32_e32 v16, vcc_hi, v3
	v_xor_b32_e32 v3, vcc_lo, v3
	v_and_b32_e32 v13, v13, v3
	v_lshlrev_b32_e32 v3, 24, v0
	v_not_b32_e32 v0, v3
	v_cmp_gt_i64_e32 vcc, 0, v[2:3]
	v_ashrrev_i32_e32 v0, 31, v0
	v_xor_b32_e32 v2, vcc_hi, v0
	v_xor_b32_e32 v0, vcc_lo, v0
	; wave barrier
	ds_read_b32 v9, v26 offset:64
	v_and_b32_e32 v1, v1, v16
	v_and_b32_e32 v0, v13, v0
	;; [unrolled: 1-line block ×3, first 2 shown]
	v_mbcnt_lo_u32_b32 v2, v0, 0
	v_mbcnt_hi_u32_b32 v13, v1, v2
	v_cmp_eq_u32_e32 vcc, 0, v13
	v_cmp_ne_u64_e64 s[2:3], 0, v[0:1]
	s_and_b64 s[4:5], s[2:3], vcc
	; wave barrier
	s_and_saveexec_b64 s[2:3], s[4:5]
	s_cbranch_execz .LBB268_96
; %bb.95:
	v_bcnt_u32_b32 v0, v0, 0
	v_bcnt_u32_b32 v0, v1, v0
	s_waitcnt lgkmcnt(0)
	v_add_u32_e32 v0, v9, v0
	ds_write_b32 v26, v0 offset:64
.LBB268_96:
	s_or_b64 exec, exec, s[2:3]
	v_lshrrev_b32_sdwa v0, s48, v6 dst_sel:DWORD dst_unused:UNUSED_PAD src0_sel:DWORD src1_sel:BYTE_0
	v_and_b32_e32 v2, s17, v0
	v_and_b32_e32 v1, 1, v2
	v_add_co_u32_e32 v3, vcc, -1, v1
	v_addc_co_u32_e64 v19, s[2:3], 0, -1, vcc
	v_cmp_ne_u32_e32 vcc, 0, v1
	v_mul_u32_u24_e32 v0, 17, v2
	v_xor_b32_e32 v1, vcc_hi, v19
	v_add_lshl_u32 v29, v30, v0, 2
	v_mov_b32_e32 v0, 0
	v_and_b32_e32 v19, exec_hi, v1
	v_lshlrev_b32_e32 v1, 30, v2
	v_xor_b32_e32 v3, vcc_lo, v3
	v_cmp_gt_i64_e32 vcc, 0, v[0:1]
	v_not_b32_e32 v1, v1
	v_ashrrev_i32_e32 v1, 31, v1
	v_and_b32_e32 v3, exec_lo, v3
	v_xor_b32_e32 v21, vcc_hi, v1
	v_xor_b32_e32 v1, vcc_lo, v1
	v_and_b32_e32 v3, v3, v1
	v_lshlrev_b32_e32 v1, 29, v2
	v_cmp_gt_i64_e32 vcc, 0, v[0:1]
	v_not_b32_e32 v1, v1
	v_ashrrev_i32_e32 v1, 31, v1
	v_and_b32_e32 v19, v19, v21
	v_xor_b32_e32 v21, vcc_hi, v1
	v_xor_b32_e32 v1, vcc_lo, v1
	v_and_b32_e32 v3, v3, v1
	v_lshlrev_b32_e32 v1, 28, v2
	v_cmp_gt_i64_e32 vcc, 0, v[0:1]
	v_not_b32_e32 v1, v1
	v_ashrrev_i32_e32 v1, 31, v1
	v_and_b32_e32 v19, v19, v21
	;; [unrolled: 8-line block ×5, first 2 shown]
	v_xor_b32_e32 v21, vcc_hi, v1
	v_xor_b32_e32 v1, vcc_lo, v1
	v_and_b32_e32 v19, v19, v21
	v_and_b32_e32 v21, v3, v1
	v_lshlrev_b32_e32 v1, 24, v2
	v_cmp_gt_i64_e32 vcc, 0, v[0:1]
	v_not_b32_e32 v1, v1
	v_ashrrev_i32_e32 v1, 31, v1
	v_xor_b32_e32 v2, vcc_hi, v1
	v_xor_b32_e32 v1, vcc_lo, v1
	; wave barrier
	ds_read_b32 v16, v29 offset:64
	v_and_b32_e32 v3, v19, v2
	v_and_b32_e32 v2, v21, v1
	v_mbcnt_lo_u32_b32 v1, v2, 0
	v_mbcnt_hi_u32_b32 v19, v3, v1
	v_cmp_eq_u32_e32 vcc, 0, v19
	v_cmp_ne_u64_e64 s[2:3], 0, v[2:3]
	s_and_b64 s[4:5], s[2:3], vcc
	; wave barrier
	s_and_saveexec_b64 s[2:3], s[4:5]
	s_cbranch_execz .LBB268_98
; %bb.97:
	v_bcnt_u32_b32 v1, v2, 0
	v_bcnt_u32_b32 v1, v3, v1
	s_waitcnt lgkmcnt(0)
	v_add_u32_e32 v1, v16, v1
	ds_write_b32 v29, v1 offset:64
.LBB268_98:
	s_or_b64 exec, exec, s[2:3]
	v_lshrrev_b32_sdwa v1, s48, v7 dst_sel:DWORD dst_unused:UNUSED_PAD src0_sel:DWORD src1_sel:BYTE_0
	v_and_b32_e32 v2, s17, v1
	v_mul_u32_u24_e32 v1, 17, v2
	v_add_lshl_u32 v33, v30, v1, 2
	v_and_b32_e32 v1, 1, v2
	v_add_co_u32_e32 v3, vcc, -1, v1
	v_addc_co_u32_e64 v24, s[2:3], 0, -1, vcc
	v_cmp_ne_u32_e32 vcc, 0, v1
	v_xor_b32_e32 v1, vcc_hi, v24
	v_and_b32_e32 v24, exec_hi, v1
	v_lshlrev_b32_e32 v1, 30, v2
	v_xor_b32_e32 v3, vcc_lo, v3
	v_cmp_gt_i64_e32 vcc, 0, v[0:1]
	v_not_b32_e32 v1, v1
	v_ashrrev_i32_e32 v1, 31, v1
	v_and_b32_e32 v3, exec_lo, v3
	v_xor_b32_e32 v25, vcc_hi, v1
	v_xor_b32_e32 v1, vcc_lo, v1
	v_and_b32_e32 v3, v3, v1
	v_lshlrev_b32_e32 v1, 29, v2
	v_cmp_gt_i64_e32 vcc, 0, v[0:1]
	v_not_b32_e32 v1, v1
	v_ashrrev_i32_e32 v1, 31, v1
	v_and_b32_e32 v24, v24, v25
	v_xor_b32_e32 v25, vcc_hi, v1
	v_xor_b32_e32 v1, vcc_lo, v1
	v_and_b32_e32 v3, v3, v1
	v_lshlrev_b32_e32 v1, 28, v2
	v_cmp_gt_i64_e32 vcc, 0, v[0:1]
	v_not_b32_e32 v1, v1
	v_ashrrev_i32_e32 v1, 31, v1
	v_and_b32_e32 v24, v24, v25
	;; [unrolled: 8-line block ×5, first 2 shown]
	v_xor_b32_e32 v25, vcc_hi, v1
	v_xor_b32_e32 v1, vcc_lo, v1
	v_and_b32_e32 v3, v3, v1
	v_lshlrev_b32_e32 v1, 24, v2
	v_cmp_gt_i64_e32 vcc, 0, v[0:1]
	v_not_b32_e32 v0, v1
	v_ashrrev_i32_e32 v0, 31, v0
	v_xor_b32_e32 v1, vcc_hi, v0
	v_xor_b32_e32 v0, vcc_lo, v0
	; wave barrier
	ds_read_b32 v21, v33 offset:64
	v_and_b32_e32 v24, v24, v25
	v_and_b32_e32 v0, v3, v0
	;; [unrolled: 1-line block ×3, first 2 shown]
	v_mbcnt_lo_u32_b32 v2, v0, 0
	v_mbcnt_hi_u32_b32 v24, v1, v2
	v_cmp_eq_u32_e32 vcc, 0, v24
	v_cmp_ne_u64_e64 s[2:3], 0, v[0:1]
	s_and_b64 s[4:5], s[2:3], vcc
	; wave barrier
	s_and_saveexec_b64 s[2:3], s[4:5]
	s_cbranch_execz .LBB268_100
; %bb.99:
	v_bcnt_u32_b32 v0, v0, 0
	v_bcnt_u32_b32 v0, v1, v0
	s_waitcnt lgkmcnt(0)
	v_add_u32_e32 v0, v21, v0
	ds_write_b32 v33, v0 offset:64
.LBB268_100:
	s_or_b64 exec, exec, s[2:3]
	v_lshrrev_b32_sdwa v0, s48, v11 dst_sel:DWORD dst_unused:UNUSED_PAD src0_sel:DWORD src1_sel:BYTE_0
	v_and_b32_e32 v2, s17, v0
	v_and_b32_e32 v1, 1, v2
	v_add_co_u32_e32 v3, vcc, -1, v1
	v_addc_co_u32_e64 v27, s[2:3], 0, -1, vcc
	v_cmp_ne_u32_e32 vcc, 0, v1
	v_mul_u32_u24_e32 v0, 17, v2
	v_xor_b32_e32 v1, vcc_hi, v27
	v_add_lshl_u32 v35, v30, v0, 2
	v_mov_b32_e32 v0, 0
	v_and_b32_e32 v27, exec_hi, v1
	v_lshlrev_b32_e32 v1, 30, v2
	v_xor_b32_e32 v3, vcc_lo, v3
	v_cmp_gt_i64_e32 vcc, 0, v[0:1]
	v_not_b32_e32 v1, v1
	v_ashrrev_i32_e32 v1, 31, v1
	v_and_b32_e32 v3, exec_lo, v3
	v_xor_b32_e32 v28, vcc_hi, v1
	v_xor_b32_e32 v1, vcc_lo, v1
	v_and_b32_e32 v3, v3, v1
	v_lshlrev_b32_e32 v1, 29, v2
	v_cmp_gt_i64_e32 vcc, 0, v[0:1]
	v_not_b32_e32 v1, v1
	v_ashrrev_i32_e32 v1, 31, v1
	v_and_b32_e32 v27, v27, v28
	v_xor_b32_e32 v28, vcc_hi, v1
	v_xor_b32_e32 v1, vcc_lo, v1
	v_and_b32_e32 v3, v3, v1
	v_lshlrev_b32_e32 v1, 28, v2
	v_cmp_gt_i64_e32 vcc, 0, v[0:1]
	v_not_b32_e32 v1, v1
	v_ashrrev_i32_e32 v1, 31, v1
	v_and_b32_e32 v27, v27, v28
	;; [unrolled: 8-line block ×5, first 2 shown]
	v_xor_b32_e32 v28, vcc_hi, v1
	v_xor_b32_e32 v1, vcc_lo, v1
	v_and_b32_e32 v27, v27, v28
	v_and_b32_e32 v28, v3, v1
	v_lshlrev_b32_e32 v1, 24, v2
	v_cmp_gt_i64_e32 vcc, 0, v[0:1]
	v_not_b32_e32 v1, v1
	v_ashrrev_i32_e32 v1, 31, v1
	v_xor_b32_e32 v2, vcc_hi, v1
	v_xor_b32_e32 v1, vcc_lo, v1
	; wave barrier
	ds_read_b32 v25, v35 offset:64
	v_and_b32_e32 v3, v27, v2
	v_and_b32_e32 v2, v28, v1
	v_mbcnt_lo_u32_b32 v1, v2, 0
	v_mbcnt_hi_u32_b32 v27, v3, v1
	v_cmp_eq_u32_e32 vcc, 0, v27
	v_cmp_ne_u64_e64 s[2:3], 0, v[2:3]
	s_and_b64 s[4:5], s[2:3], vcc
	; wave barrier
	s_and_saveexec_b64 s[2:3], s[4:5]
	s_cbranch_execz .LBB268_102
; %bb.101:
	v_bcnt_u32_b32 v1, v2, 0
	v_bcnt_u32_b32 v1, v3, v1
	s_waitcnt lgkmcnt(0)
	v_add_u32_e32 v1, v25, v1
	ds_write_b32 v35, v1 offset:64
.LBB268_102:
	s_or_b64 exec, exec, s[2:3]
	s_waitcnt vmcnt(2)
	v_lshrrev_b32_sdwa v1, s48, v14 dst_sel:DWORD dst_unused:UNUSED_PAD src0_sel:DWORD src1_sel:BYTE_0
	v_and_b32_e32 v2, s17, v1
	v_mul_u32_u24_e32 v1, 17, v2
	v_add_lshl_u32 v37, v30, v1, 2
	v_and_b32_e32 v1, 1, v2
	v_add_co_u32_e32 v3, vcc, -1, v1
	v_addc_co_u32_e64 v31, s[2:3], 0, -1, vcc
	v_cmp_ne_u32_e32 vcc, 0, v1
	v_xor_b32_e32 v1, vcc_hi, v31
	v_and_b32_e32 v31, exec_hi, v1
	v_lshlrev_b32_e32 v1, 30, v2
	v_xor_b32_e32 v3, vcc_lo, v3
	v_cmp_gt_i64_e32 vcc, 0, v[0:1]
	v_not_b32_e32 v1, v1
	v_ashrrev_i32_e32 v1, 31, v1
	v_and_b32_e32 v3, exec_lo, v3
	v_xor_b32_e32 v32, vcc_hi, v1
	v_xor_b32_e32 v1, vcc_lo, v1
	v_and_b32_e32 v3, v3, v1
	v_lshlrev_b32_e32 v1, 29, v2
	v_cmp_gt_i64_e32 vcc, 0, v[0:1]
	v_not_b32_e32 v1, v1
	v_ashrrev_i32_e32 v1, 31, v1
	v_and_b32_e32 v31, v31, v32
	v_xor_b32_e32 v32, vcc_hi, v1
	v_xor_b32_e32 v1, vcc_lo, v1
	v_and_b32_e32 v3, v3, v1
	v_lshlrev_b32_e32 v1, 28, v2
	v_cmp_gt_i64_e32 vcc, 0, v[0:1]
	v_not_b32_e32 v1, v1
	v_ashrrev_i32_e32 v1, 31, v1
	v_and_b32_e32 v31, v31, v32
	;; [unrolled: 8-line block ×5, first 2 shown]
	v_xor_b32_e32 v32, vcc_hi, v1
	v_xor_b32_e32 v1, vcc_lo, v1
	v_and_b32_e32 v3, v3, v1
	v_lshlrev_b32_e32 v1, 24, v2
	v_cmp_gt_i64_e32 vcc, 0, v[0:1]
	v_not_b32_e32 v0, v1
	v_ashrrev_i32_e32 v0, 31, v0
	v_xor_b32_e32 v1, vcc_hi, v0
	v_xor_b32_e32 v0, vcc_lo, v0
	; wave barrier
	ds_read_b32 v28, v37 offset:64
	v_and_b32_e32 v31, v31, v32
	v_and_b32_e32 v0, v3, v0
	;; [unrolled: 1-line block ×3, first 2 shown]
	v_mbcnt_lo_u32_b32 v2, v0, 0
	v_mbcnt_hi_u32_b32 v31, v1, v2
	v_cmp_eq_u32_e32 vcc, 0, v31
	v_cmp_ne_u64_e64 s[2:3], 0, v[0:1]
	s_and_b64 s[4:5], s[2:3], vcc
	; wave barrier
	s_and_saveexec_b64 s[2:3], s[4:5]
	s_cbranch_execz .LBB268_104
; %bb.103:
	v_bcnt_u32_b32 v0, v0, 0
	v_bcnt_u32_b32 v0, v1, v0
	s_waitcnt lgkmcnt(0)
	v_add_u32_e32 v0, v28, v0
	ds_write_b32 v37, v0 offset:64
.LBB268_104:
	s_or_b64 exec, exec, s[2:3]
	s_waitcnt vmcnt(1)
	v_lshrrev_b32_sdwa v0, s48, v15 dst_sel:DWORD dst_unused:UNUSED_PAD src0_sel:DWORD src1_sel:BYTE_0
	v_and_b32_e32 v2, s17, v0
	v_and_b32_e32 v1, 1, v2
	v_add_co_u32_e32 v3, vcc, -1, v1
	v_addc_co_u32_e64 v34, s[2:3], 0, -1, vcc
	v_cmp_ne_u32_e32 vcc, 0, v1
	v_mul_u32_u24_e32 v0, 17, v2
	v_xor_b32_e32 v1, vcc_hi, v34
	v_add_lshl_u32 v38, v30, v0, 2
	v_mov_b32_e32 v0, 0
	v_and_b32_e32 v34, exec_hi, v1
	v_lshlrev_b32_e32 v1, 30, v2
	v_xor_b32_e32 v3, vcc_lo, v3
	v_cmp_gt_i64_e32 vcc, 0, v[0:1]
	v_not_b32_e32 v1, v1
	v_ashrrev_i32_e32 v1, 31, v1
	v_and_b32_e32 v3, exec_lo, v3
	v_xor_b32_e32 v36, vcc_hi, v1
	v_xor_b32_e32 v1, vcc_lo, v1
	v_and_b32_e32 v3, v3, v1
	v_lshlrev_b32_e32 v1, 29, v2
	v_cmp_gt_i64_e32 vcc, 0, v[0:1]
	v_not_b32_e32 v1, v1
	v_ashrrev_i32_e32 v1, 31, v1
	v_and_b32_e32 v34, v34, v36
	v_xor_b32_e32 v36, vcc_hi, v1
	v_xor_b32_e32 v1, vcc_lo, v1
	v_and_b32_e32 v3, v3, v1
	v_lshlrev_b32_e32 v1, 28, v2
	v_cmp_gt_i64_e32 vcc, 0, v[0:1]
	v_not_b32_e32 v1, v1
	v_ashrrev_i32_e32 v1, 31, v1
	v_and_b32_e32 v34, v34, v36
	;; [unrolled: 8-line block ×5, first 2 shown]
	v_xor_b32_e32 v36, vcc_hi, v1
	v_xor_b32_e32 v1, vcc_lo, v1
	v_and_b32_e32 v34, v34, v36
	v_and_b32_e32 v36, v3, v1
	v_lshlrev_b32_e32 v1, 24, v2
	v_cmp_gt_i64_e32 vcc, 0, v[0:1]
	v_not_b32_e32 v1, v1
	v_ashrrev_i32_e32 v1, 31, v1
	v_xor_b32_e32 v2, vcc_hi, v1
	v_xor_b32_e32 v1, vcc_lo, v1
	; wave barrier
	ds_read_b32 v32, v38 offset:64
	v_and_b32_e32 v3, v34, v2
	v_and_b32_e32 v2, v36, v1
	v_mbcnt_lo_u32_b32 v1, v2, 0
	v_mbcnt_hi_u32_b32 v34, v3, v1
	v_cmp_eq_u32_e32 vcc, 0, v34
	v_cmp_ne_u64_e64 s[2:3], 0, v[2:3]
	s_and_b64 s[4:5], s[2:3], vcc
	; wave barrier
	s_and_saveexec_b64 s[2:3], s[4:5]
	s_cbranch_execz .LBB268_106
; %bb.105:
	v_bcnt_u32_b32 v1, v2, 0
	v_bcnt_u32_b32 v1, v3, v1
	s_waitcnt lgkmcnt(0)
	v_add_u32_e32 v1, v32, v1
	ds_write_b32 v38, v1 offset:64
.LBB268_106:
	s_or_b64 exec, exec, s[2:3]
	s_waitcnt vmcnt(0)
	v_lshrrev_b32_sdwa v1, s48, v17 dst_sel:DWORD dst_unused:UNUSED_PAD src0_sel:DWORD src1_sel:BYTE_0
	v_and_b32_e32 v2, s17, v1
	v_mul_u32_u24_e32 v1, 17, v2
	v_add_lshl_u32 v39, v30, v1, 2
	v_and_b32_e32 v1, 1, v2
	v_add_co_u32_e32 v3, vcc, -1, v1
	v_addc_co_u32_e64 v36, s[2:3], 0, -1, vcc
	v_cmp_ne_u32_e32 vcc, 0, v1
	v_xor_b32_e32 v1, vcc_hi, v36
	v_and_b32_e32 v36, exec_hi, v1
	v_lshlrev_b32_e32 v1, 30, v2
	v_xor_b32_e32 v3, vcc_lo, v3
	v_cmp_gt_i64_e32 vcc, 0, v[0:1]
	v_not_b32_e32 v1, v1
	v_ashrrev_i32_e32 v1, 31, v1
	v_and_b32_e32 v3, exec_lo, v3
	v_xor_b32_e32 v40, vcc_hi, v1
	v_xor_b32_e32 v1, vcc_lo, v1
	v_and_b32_e32 v3, v3, v1
	v_lshlrev_b32_e32 v1, 29, v2
	v_cmp_gt_i64_e32 vcc, 0, v[0:1]
	v_not_b32_e32 v1, v1
	v_ashrrev_i32_e32 v1, 31, v1
	v_and_b32_e32 v36, v36, v40
	v_xor_b32_e32 v40, vcc_hi, v1
	v_xor_b32_e32 v1, vcc_lo, v1
	v_and_b32_e32 v3, v3, v1
	v_lshlrev_b32_e32 v1, 28, v2
	v_cmp_gt_i64_e32 vcc, 0, v[0:1]
	v_not_b32_e32 v1, v1
	v_ashrrev_i32_e32 v1, 31, v1
	v_and_b32_e32 v36, v36, v40
	;; [unrolled: 8-line block ×5, first 2 shown]
	v_xor_b32_e32 v40, vcc_hi, v1
	v_xor_b32_e32 v1, vcc_lo, v1
	v_and_b32_e32 v3, v3, v1
	v_lshlrev_b32_e32 v1, 24, v2
	v_cmp_gt_i64_e32 vcc, 0, v[0:1]
	v_not_b32_e32 v0, v1
	v_ashrrev_i32_e32 v0, 31, v0
	v_xor_b32_e32 v1, vcc_hi, v0
	v_xor_b32_e32 v0, vcc_lo, v0
	; wave barrier
	ds_read_b32 v30, v39 offset:64
	v_and_b32_e32 v36, v36, v40
	v_and_b32_e32 v0, v3, v0
	;; [unrolled: 1-line block ×3, first 2 shown]
	v_mbcnt_lo_u32_b32 v2, v0, 0
	v_mbcnt_hi_u32_b32 v36, v1, v2
	v_cmp_eq_u32_e32 vcc, 0, v36
	v_cmp_ne_u64_e64 s[2:3], 0, v[0:1]
	v_add_u32_e32 v41, 64, v20
	s_and_b64 s[4:5], s[2:3], vcc
	; wave barrier
	s_and_saveexec_b64 s[2:3], s[4:5]
	s_cbranch_execz .LBB268_108
; %bb.107:
	v_bcnt_u32_b32 v0, v0, 0
	v_bcnt_u32_b32 v0, v1, v0
	s_waitcnt lgkmcnt(0)
	v_add_u32_e32 v0, v30, v0
	ds_write_b32 v39, v0 offset:64
.LBB268_108:
	s_or_b64 exec, exec, s[2:3]
	; wave barrier
	s_waitcnt lgkmcnt(0)
	s_barrier
	ds_read2_b32 v[2:3], v20 offset0:16 offset1:17
	ds_read2_b32 v[0:1], v41 offset0:2 offset1:3
	ds_read_b32 v40, v41 offset:16
	v_cmp_lt_u32_e64 s[8:9], 31, v18
	s_waitcnt lgkmcnt(1)
	v_add3_u32 v42, v3, v2, v0
	s_waitcnt lgkmcnt(0)
	v_add3_u32 v40, v42, v1, v40
	v_and_b32_e32 v42, 15, v18
	v_cmp_eq_u32_e32 vcc, 0, v42
	v_mov_b32_dpp v43, v40 row_shr:1 row_mask:0xf bank_mask:0xf
	v_cndmask_b32_e64 v43, v43, 0, vcc
	v_add_u32_e32 v40, v43, v40
	v_cmp_lt_u32_e64 s[2:3], 1, v42
	v_cmp_lt_u32_e64 s[4:5], 3, v42
	v_mov_b32_dpp v43, v40 row_shr:2 row_mask:0xf bank_mask:0xf
	v_cndmask_b32_e64 v43, 0, v43, s[2:3]
	v_add_u32_e32 v40, v40, v43
	v_cmp_lt_u32_e64 s[6:7], 7, v42
	s_nop 0
	v_mov_b32_dpp v43, v40 row_shr:4 row_mask:0xf bank_mask:0xf
	v_cndmask_b32_e64 v43, 0, v43, s[4:5]
	v_add_u32_e32 v40, v40, v43
	s_nop 1
	v_mov_b32_dpp v43, v40 row_shr:8 row_mask:0xf bank_mask:0xf
	v_cndmask_b32_e64 v42, 0, v43, s[6:7]
	v_add_u32_e32 v40, v40, v42
	v_bfe_i32 v43, v18, 4, 1
	s_nop 0
	v_mov_b32_dpp v42, v40 row_bcast:15 row_mask:0xf bank_mask:0xf
	v_and_b32_e32 v42, v43, v42
	v_add_u32_e32 v40, v40, v42
	v_lshrrev_b32_e32 v43, 6, v10
	s_nop 0
	v_mov_b32_dpp v42, v40 row_bcast:31 row_mask:0xf bank_mask:0xf
	v_cndmask_b32_e64 v42, 0, v42, s[8:9]
	v_add_u32_e32 v42, v40, v42
	v_and_b32_e32 v40, 63, v10
	v_cmp_eq_u32_e64 s[8:9], 63, v40
	s_and_saveexec_b64 s[14:15], s[8:9]
	s_cbranch_execz .LBB268_110
; %bb.109:
	v_lshlrev_b32_e32 v40, 2, v43
	ds_write_b32 v40, v42
.LBB268_110:
	s_or_b64 exec, exec, s[14:15]
	v_cmp_gt_u32_e64 s[8:9], 16, v10
	v_lshlrev_b32_e32 v40, 2, v10
	s_waitcnt lgkmcnt(0)
	s_barrier
	s_and_saveexec_b64 s[14:15], s[8:9]
	s_cbranch_execz .LBB268_112
; %bb.111:
	ds_read_b32 v44, v40
	s_waitcnt lgkmcnt(0)
	s_nop 0
	v_mov_b32_dpp v45, v44 row_shr:1 row_mask:0xf bank_mask:0xf
	v_cndmask_b32_e64 v45, v45, 0, vcc
	v_add_u32_e32 v44, v45, v44
	s_nop 1
	v_mov_b32_dpp v45, v44 row_shr:2 row_mask:0xf bank_mask:0xf
	v_cndmask_b32_e64 v45, 0, v45, s[2:3]
	v_add_u32_e32 v44, v44, v45
	s_nop 1
	v_mov_b32_dpp v45, v44 row_shr:4 row_mask:0xf bank_mask:0xf
	v_cndmask_b32_e64 v45, 0, v45, s[4:5]
	;; [unrolled: 4-line block ×3, first 2 shown]
	v_add_u32_e32 v44, v44, v45
	ds_write_b32 v40, v44
.LBB268_112:
	s_or_b64 exec, exec, s[14:15]
	v_cmp_lt_u32_e32 vcc, 63, v10
	v_mov_b32_e32 v44, 0
	s_waitcnt lgkmcnt(0)
	s_barrier
	s_and_saveexec_b64 s[2:3], vcc
	s_cbranch_execz .LBB268_114
; %bb.113:
	v_lshl_add_u32 v43, v43, 2, -4
	ds_read_b32 v44, v43
.LBB268_114:
	s_or_b64 exec, exec, s[2:3]
	v_add_u32_e32 v43, -1, v18
	v_and_b32_e32 v45, 64, v18
	v_cmp_lt_i32_e32 vcc, v43, v45
	v_cndmask_b32_e32 v43, v43, v18, vcc
	s_waitcnt lgkmcnt(0)
	v_add_u32_e32 v42, v44, v42
	v_lshlrev_b32_e32 v43, 2, v43
	ds_bpermute_b32 v42, v43, v42
	v_cmp_eq_u32_e32 vcc, 0, v18
	s_movk_i32 s2, 0xff
	s_movk_i32 s3, 0x100
	s_waitcnt lgkmcnt(0)
	v_cndmask_b32_e32 v18, v42, v44, vcc
	v_cndmask_b32_e64 v18, v18, 0, s[0:1]
	v_add_u32_e32 v2, v18, v2
	v_add_u32_e32 v3, v2, v3
	;; [unrolled: 1-line block ×4, first 2 shown]
	ds_write2_b32 v20, v18, v2 offset0:16 offset1:17
	ds_write2_b32 v41, v3, v0 offset0:2 offset1:3
	ds_write_b32 v41, v1 offset:16
	s_waitcnt lgkmcnt(0)
	s_barrier
	ds_read_b32 v0, v22 offset:64
	ds_read_b32 v18, v26 offset:64
	;; [unrolled: 1-line block ×8, first 2 shown]
	v_cmp_lt_u32_e64 s[0:1], s2, v10
	v_cmp_gt_u32_e32 vcc, s3, v10
                                        ; implicit-def: $vgpr33
                                        ; implicit-def: $vgpr35
	s_and_saveexec_b64 s[4:5], vcc
	s_cbranch_execz .LBB268_118
; %bb.115:
	v_mul_u32_u24_e32 v1, 17, v10
	v_lshlrev_b32_e32 v2, 2, v1
	ds_read_b32 v33, v2 offset:64
	v_cmp_ne_u32_e64 s[2:3], s2, v10
	v_mov_b32_e32 v1, 0x2000
	s_and_saveexec_b64 s[6:7], s[2:3]
	s_cbranch_execz .LBB268_117
; %bb.116:
	ds_read_b32 v1, v2 offset:132
.LBB268_117:
	s_or_b64 exec, exec, s[6:7]
	s_waitcnt lgkmcnt(0)
	v_sub_u32_e32 v35, v1, v33
.LBB268_118:
	s_or_b64 exec, exec, s[4:5]
	s_waitcnt lgkmcnt(7)
	v_add_u32_e32 v37, v0, v23
	s_waitcnt lgkmcnt(6)
	v_add3_u32 v0, v13, v9, v18
	s_waitcnt lgkmcnt(5)
	v_add3_u32 v1, v19, v16, v20
	;; [unrolled: 2-line block ×7, first 2 shown]
	s_barrier
	ds_write_b8 v37, v4 offset:1024
	ds_write_b8 v0, v5 offset:1024
	ds_write_b8 v1, v6 offset:1024
	ds_write_b8 v2, v7 offset:1024
	ds_write_b8 v3, v11 offset:1024
	ds_write_b8 v23, v14 offset:1024
	ds_write_b8 v41, v15 offset:1024
	ds_write_b8 v42, v17 offset:1024
                                        ; implicit-def: $vgpr14_vgpr15
	s_and_saveexec_b64 s[2:3], s[0:1]
	s_xor_b64 s[0:1], exec, s[2:3]
; %bb.119:
	v_mov_b32_e32 v11, 0
	v_pk_mov_b32 v[14:15], v[10:11], v[10:11] op_sel:[0,1]
                                        ; implicit-def: $vgpr40
; %bb.120:
	s_andn2_saveexec_b64 s[2:3], s[0:1]
	s_cbranch_execz .LBB268_130
; %bb.121:
	v_lshl_or_b32 v0, s33, 8, v10
	v_mov_b32_e32 v1, 0
	v_lshlrev_b64 v[2:3], 2, v[0:1]
	v_mov_b32_e32 v6, s31
	v_add_co_u32_e64 v2, s[0:1], s30, v2
	v_addc_co_u32_e64 v3, s[0:1], v6, v3, s[0:1]
	v_or_b32_e32 v0, 2.0, v35
	s_mov_b64 s[4:5], 0
	s_brev_b32 s14, 1
	s_mov_b32 s15, s33
	v_mov_b32_e32 v7, 0
	global_store_dword v[2:3], v0, off
                                        ; implicit-def: $sgpr0_sgpr1
	s_branch .LBB268_124
.LBB268_122:                            ;   in Loop: Header=BB268_124 Depth=1
	s_or_b64 exec, exec, s[8:9]
.LBB268_123:                            ;   in Loop: Header=BB268_124 Depth=1
	s_or_b64 exec, exec, s[6:7]
	v_and_b32_e32 v4, 0x3fffffff, v11
	v_add_u32_e32 v7, v4, v7
	v_cmp_eq_u32_e64 s[0:1], s14, v0
	s_and_b64 s[6:7], exec, s[0:1]
	s_or_b64 s[4:5], s[6:7], s[4:5]
	s_andn2_b64 exec, exec, s[4:5]
	s_cbranch_execz .LBB268_129
.LBB268_124:                            ; =>This Loop Header: Depth=1
                                        ;     Child Loop BB268_127 Depth 2
	s_or_b64 s[0:1], s[0:1], exec
	s_cmp_eq_u32 s15, 0
	s_cbranch_scc1 .LBB268_128
; %bb.125:                              ;   in Loop: Header=BB268_124 Depth=1
	s_add_i32 s15, s15, -1
	v_lshl_or_b32 v0, s15, 8, v10
	v_lshlrev_b64 v[4:5], 2, v[0:1]
	v_add_co_u32_e64 v4, s[0:1], s30, v4
	v_addc_co_u32_e64 v5, s[0:1], v6, v5, s[0:1]
	global_load_dword v11, v[4:5], off glc
	s_waitcnt vmcnt(0)
	v_and_b32_e32 v0, -2.0, v11
	v_cmp_eq_u32_e64 s[0:1], 0, v0
	s_and_saveexec_b64 s[6:7], s[0:1]
	s_cbranch_execz .LBB268_123
; %bb.126:                              ;   in Loop: Header=BB268_124 Depth=1
	s_mov_b64 s[8:9], 0
.LBB268_127:                            ;   Parent Loop BB268_124 Depth=1
                                        ; =>  This Inner Loop Header: Depth=2
	global_load_dword v11, v[4:5], off glc
	s_waitcnt vmcnt(0)
	v_and_b32_e32 v0, -2.0, v11
	v_cmp_ne_u32_e64 s[0:1], 0, v0
	s_or_b64 s[8:9], s[0:1], s[8:9]
	s_andn2_b64 exec, exec, s[8:9]
	s_cbranch_execnz .LBB268_127
	s_branch .LBB268_122
.LBB268_128:                            ;   in Loop: Header=BB268_124 Depth=1
                                        ; implicit-def: $sgpr15
	s_and_b64 s[6:7], exec, s[0:1]
	s_or_b64 s[4:5], s[6:7], s[4:5]
	s_andn2_b64 exec, exec, s[4:5]
	s_cbranch_execnz .LBB268_124
.LBB268_129:
	s_or_b64 exec, exec, s[4:5]
	v_add_u32_e32 v0, v7, v35
	v_or_b32_e32 v0, 0x80000000, v0
	global_store_dword v[2:3], v0, off
	global_load_dword v0, v40, s[44:45]
	v_mov_b32_e32 v11, 0
	v_sub_u32_e32 v1, v7, v33
	v_pk_mov_b32 v[14:15], v[10:11], v[10:11] op_sel:[0,1]
	s_waitcnt vmcnt(0)
	v_add_u32_e32 v0, v1, v0
	ds_write_b32 v40, v0
.LBB268_130:
	s_or_b64 exec, exec, s[2:3]
	s_waitcnt lgkmcnt(0)
	s_barrier
	ds_read_u8 v11, v14 offset:1024
	ds_read_u8 v17, v10 offset:2048
	;; [unrolled: 1-line block ×8, first 2 shown]
	s_waitcnt lgkmcnt(7)
	v_lshrrev_b32_sdwa v0, s48, v11 dst_sel:DWORD dst_unused:UNUSED_PAD src0_sel:DWORD src1_sel:BYTE_0
	v_and_b32_e32 v0, s17, v0
	s_waitcnt lgkmcnt(6)
	v_lshrrev_b32_sdwa v1, s48, v17 dst_sel:DWORD dst_unused:UNUSED_PAD src0_sel:DWORD src1_sel:BYTE_0
	v_lshlrev_b32_e32 v2, 2, v0
	v_and_b32_e32 v1, s17, v1
	s_waitcnt lgkmcnt(5)
	v_lshrrev_b32_sdwa v4, s48, v23 dst_sel:DWORD dst_unused:UNUSED_PAD src0_sel:DWORD src1_sel:BYTE_0
	v_lshlrev_b32_e32 v3, 2, v1
	ds_read_b32 v45, v2
	ds_read_b32 v46, v3
	v_and_b32_e32 v2, s17, v4
	v_lshlrev_b32_e32 v3, 2, v2
	ds_read_b32 v47, v3
	s_waitcnt lgkmcnt(7)
	v_lshrrev_b32_sdwa v3, s48, v40 dst_sel:DWORD dst_unused:UNUSED_PAD src0_sel:DWORD src1_sel:BYTE_0
	v_and_b32_e32 v3, s17, v3
	v_lshlrev_b32_e32 v4, 2, v3
	ds_read_b32 v48, v4
	s_waitcnt lgkmcnt(7)
	v_lshrrev_b32_sdwa v4, s48, v41 dst_sel:DWORD dst_unused:UNUSED_PAD src0_sel:DWORD src1_sel:BYTE_0
	;; [unrolled: 5-line block ×5, first 2 shown]
	v_and_b32_e32 v7, s17, v7
	s_waitcnt lgkmcnt(6)
	v_add_u32_e32 v45, v45, v10
	s_movk_i32 s2, 0x400
	v_lshlrev_b32_e32 v52, 2, v7
	global_store_byte v45, v11, s[38:39]
	s_waitcnt lgkmcnt(5)
	v_add3_u32 v11, v46, v10, s2
	s_movk_i32 s0, 0x800
	ds_read_b32 v52, v52
	global_store_byte v11, v17, s[38:39]
	s_waitcnt lgkmcnt(5)
	v_add3_u32 v11, v47, v10, s0
	s_movk_i32 s0, 0xc00
	global_store_byte v11, v23, s[38:39]
	s_waitcnt lgkmcnt(4)
	v_add3_u32 v11, v48, v10, s0
	s_movk_i32 s0, 0x1000
	;; [unrolled: 4-line block ×5, first 2 shown]
	global_store_byte v11, v43, s[38:39]
	s_waitcnt lgkmcnt(0)
	v_add3_u32 v11, v52, v10, s0
	s_lshl_b64 s[0:1], s[12:13], 3
	s_add_u32 s0, s40, s0
	global_store_byte v11, v44, s[38:39]
	v_add3_u32 v11, v36, v39, v30
	v_add3_u32 v30, v34, v38, v32
	;; [unrolled: 1-line block ×3, first 2 shown]
	v_lshlrev_b32_e32 v9, 3, v12
	s_addc_u32 s1, s41, s1
	v_mov_b32_e32 v12, s1
	v_add_co_u32_e64 v9, s[0:1], s0, v9
	v_lshlrev_b32_e32 v8, 3, v8
	v_addc_co_u32_e64 v12, s[0:1], 0, v12, s[0:1]
	v_add3_u32 v31, v31, v29, v28
	v_add_co_u32_e64 v28, s[0:1], v9, v8
	v_addc_co_u32_e64 v29, s[0:1], 0, v12, s[0:1]
	v_or_b32_e32 v8, 0x400, v10
	v_mul_u32_u24_e32 v9, 7, v10
	v_add3_u32 v32, v27, v26, v25
	v_add3_u32 v34, v24, v22, v21
	;; [unrolled: 1-line block ×3, first 2 shown]
	v_add_u32_e32 v39, v8, v9
	global_load_dwordx2 v[8:9], v[28:29], off
	global_load_dwordx2 v[12:13], v[28:29], off offset:512
	global_load_dwordx2 v[16:17], v[28:29], off offset:1024
	global_load_dwordx2 v[18:19], v[28:29], off offset:1536
	global_load_dwordx2 v[20:21], v[28:29], off offset:2048
	global_load_dwordx2 v[22:23], v[28:29], off offset:2560
	global_load_dwordx2 v[24:25], v[28:29], off offset:3072
	global_load_dwordx2 v[26:27], v[28:29], off offset:3584
	s_mov_b32 s3, 0
	s_mov_b32 s4, 1
	v_lshlrev_b32_e32 v40, 3, v14
	v_mov_b32_e32 v29, 0
	s_barrier
	s_waitcnt vmcnt(0)
.LBB268_131:                            ; =>This Inner Loop Header: Depth=1
	v_add_u32_e32 v28, s3, v37
	v_min_u32_e32 v28, 0x800, v28
	v_lshlrev_b32_e32 v28, 3, v28
	ds_write_b64 v28, v[8:9] offset:1024
	v_add_u32_e32 v28, s3, v38
	v_min_u32_e32 v28, 0x800, v28
	v_lshlrev_b32_e32 v28, 3, v28
	ds_write_b64 v28, v[12:13] offset:1024
	;; [unrolled: 4-line block ×7, first 2 shown]
	v_add_u32_e32 v28, s3, v11
	s_add_i32 s5, s4, -1
	v_min_u32_e32 v28, 0x800, v28
	s_cmp_eq_u32 s5, 1
	v_lshlrev_b32_e32 v28, 3, v28
	s_cselect_b64 s[0:1], -1, 0
	s_cmp_eq_u32 s5, 2
	ds_write_b64 v28, v[26:27] offset:1024
	v_cndmask_b32_e64 v28, v0, v1, s[0:1]
	s_cselect_b64 s[0:1], -1, 0
	s_cmp_eq_u32 s5, 3
	v_cndmask_b32_e64 v28, v28, v2, s[0:1]
	s_cselect_b64 s[0:1], -1, 0
	s_cmp_eq_u32 s5, 4
	;; [unrolled: 3-line block ×10, first 2 shown]
	v_lshlrev_b32_e32 v28, 2, v28
	v_cndmask_b32_e64 v41, v41, v4, s[0:1]
	s_cselect_b64 s[0:1], -1, 0
	s_cmp_eq_u32 s4, 6
	s_waitcnt lgkmcnt(0)
	s_barrier
	ds_read_b32 v28, v28
	v_cndmask_b32_e64 v41, v41, v5, s[0:1]
	s_cselect_b64 s[0:1], -1, 0
	s_cmp_eq_u32 s4, 7
	v_cndmask_b32_e64 v41, v41, v6, s[0:1]
	s_cselect_b64 s[0:1], -1, 0
	v_cndmask_b32_e64 v41, v41, v7, s[0:1]
	v_lshlrev_b32_e32 v41, 2, v41
	ds_read_b32 v41, v41
	ds_read_b64 v[42:43], v39 offset:8192
	ds_read_b64 v[46:47], v40 offset:1024
	s_waitcnt lgkmcnt(3)
	v_add_u32_e32 v28, v10, v28
	v_lshlrev_b64 v[44:45], 3, v[28:29]
	v_mov_b32_e32 v48, s43
	v_add_co_u32_e64 v44, s[0:1], s42, v44
	v_addc_co_u32_e64 v45, s[0:1], v48, v45, s[0:1]
	s_waitcnt lgkmcnt(2)
	v_add3_u32 v28, v10, v41, s2
	s_waitcnt lgkmcnt(0)
	global_store_dwordx2 v[44:45], v[46:47], off
	v_lshlrev_b64 v[44:45], 3, v[28:29]
	v_add_co_u32_e64 v44, s[0:1], s42, v44
	s_addk_i32 s3, 0xf800
	s_add_i32 s4, s4, 2
	v_addc_co_u32_e64 v45, s[0:1], v48, v45, s[0:1]
	s_cmpk_lg_i32 s3, 0xe000
	v_add_u32_e32 v10, 0x800, v10
	global_store_dwordx2 v[44:45], v[42:43], off
	s_barrier
	s_cbranch_scc1 .LBB268_131
; %bb.132:
	s_add_i32 s16, s16, -1
	s_cmp_eq_u32 s16, s33
	s_cselect_b64 s[0:1], -1, 0
	s_and_b64 s[2:3], vcc, s[0:1]
                                        ; implicit-def: $vgpr2
	s_and_saveexec_b64 s[0:1], s[2:3]
; %bb.133:
	v_add_u32_e32 v2, v33, v35
	s_or_b64 s[10:11], s[10:11], exec
; %bb.134:
	s_or_b64 exec, exec, s[0:1]
	v_mov_b32_e32 v10, v14
.LBB268_135:
	s_and_saveexec_b64 s[0:1], s[10:11]
	s_cbranch_execnz .LBB268_137
; %bb.136:
	s_endpgm
.LBB268_137:
	v_lshlrev_b32_e32 v3, 2, v10
	ds_read_b32 v3, v3
	v_lshlrev_b64 v[0:1], 2, v[14:15]
	v_mov_b32_e32 v4, s47
	v_add_co_u32_e32 v0, vcc, s46, v0
	v_addc_co_u32_e32 v1, vcc, v4, v1, vcc
	s_waitcnt lgkmcnt(0)
	v_add_u32_e32 v2, v3, v2
	global_store_dword v[0:1], v2, off
	s_endpgm
.LBB268_138:
	global_load_dwordx2 v[12:13], v[28:29], off
	s_or_b64 exec, exec, s[20:21]
                                        ; implicit-def: $vgpr14_vgpr15
	s_and_saveexec_b64 s[20:21], s[2:3]
	s_cbranch_execz .LBB268_75
.LBB268_139:
	global_load_dwordx2 v[14:15], v[28:29], off offset:512
	s_or_b64 exec, exec, s[20:21]
                                        ; implicit-def: $vgpr16_vgpr17
	s_and_saveexec_b64 s[2:3], s[26:27]
	s_cbranch_execz .LBB268_76
.LBB268_140:
	global_load_dwordx2 v[16:17], v[28:29], off offset:1024
	s_or_b64 exec, exec, s[2:3]
                                        ; implicit-def: $vgpr18_vgpr19
	s_and_saveexec_b64 s[2:3], s[8:9]
	s_cbranch_execz .LBB268_77
.LBB268_141:
	global_load_dwordx2 v[18:19], v[28:29], off offset:1536
	s_or_b64 exec, exec, s[2:3]
                                        ; implicit-def: $vgpr20_vgpr21
	s_and_saveexec_b64 s[2:3], s[10:11]
	s_cbranch_execz .LBB268_78
.LBB268_142:
	global_load_dwordx2 v[20:21], v[28:29], off offset:2048
	s_or_b64 exec, exec, s[2:3]
                                        ; implicit-def: $vgpr22_vgpr23
	s_and_saveexec_b64 s[2:3], s[12:13]
	s_cbranch_execz .LBB268_79
.LBB268_143:
	global_load_dwordx2 v[22:23], v[28:29], off offset:2560
	s_or_b64 exec, exec, s[2:3]
                                        ; implicit-def: $vgpr24_vgpr25
	s_and_saveexec_b64 s[2:3], s[14:15]
	s_cbranch_execz .LBB268_80
.LBB268_144:
	global_load_dwordx2 v[24:25], v[28:29], off offset:3072
	s_or_b64 exec, exec, s[2:3]
                                        ; implicit-def: $vgpr26_vgpr27
	s_and_saveexec_b64 s[2:3], s[16:17]
	s_cbranch_execnz .LBB268_81
	s_branch .LBB268_82
	.section	.rodata,"a",@progbits
	.p2align	6, 0x0
	.amdhsa_kernel _ZN7rocprim17ROCPRIM_400000_NS6detail17trampoline_kernelINS0_14default_configENS1_35radix_sort_onesweep_config_selectorIhlEEZZNS1_29radix_sort_onesweep_iterationIS3_Lb0EPhS7_N6thrust23THRUST_200600_302600_NS10device_ptrIlEESB_jNS0_19identity_decomposerENS1_16block_id_wrapperIjLb1EEEEE10hipError_tT1_PNSt15iterator_traitsISG_E10value_typeET2_T3_PNSH_ISM_E10value_typeET4_T5_PSR_SS_PNS1_23onesweep_lookback_stateEbbT6_jjT7_P12ihipStream_tbENKUlT_T0_SG_SL_E_clIS7_S7_SB_SB_EEDaSZ_S10_SG_SL_EUlSZ_E_NS1_11comp_targetILNS1_3genE4ELNS1_11target_archE910ELNS1_3gpuE8ELNS1_3repE0EEENS1_47radix_sort_onesweep_sort_config_static_selectorELNS0_4arch9wavefront6targetE1EEEvSG_
		.amdhsa_group_segment_fixed_size 20552
		.amdhsa_private_segment_fixed_size 0
		.amdhsa_kernarg_size 344
		.amdhsa_user_sgpr_count 6
		.amdhsa_user_sgpr_private_segment_buffer 1
		.amdhsa_user_sgpr_dispatch_ptr 0
		.amdhsa_user_sgpr_queue_ptr 0
		.amdhsa_user_sgpr_kernarg_segment_ptr 1
		.amdhsa_user_sgpr_dispatch_id 0
		.amdhsa_user_sgpr_flat_scratch_init 0
		.amdhsa_user_sgpr_kernarg_preload_length 0
		.amdhsa_user_sgpr_kernarg_preload_offset 0
		.amdhsa_user_sgpr_private_segment_size 0
		.amdhsa_uses_dynamic_stack 0
		.amdhsa_system_sgpr_private_segment_wavefront_offset 0
		.amdhsa_system_sgpr_workgroup_id_x 1
		.amdhsa_system_sgpr_workgroup_id_y 0
		.amdhsa_system_sgpr_workgroup_id_z 0
		.amdhsa_system_sgpr_workgroup_info 0
		.amdhsa_system_vgpr_workitem_id 2
		.amdhsa_next_free_vgpr 55
		.amdhsa_next_free_sgpr 56
		.amdhsa_accum_offset 56
		.amdhsa_reserve_vcc 1
		.amdhsa_reserve_flat_scratch 0
		.amdhsa_float_round_mode_32 0
		.amdhsa_float_round_mode_16_64 0
		.amdhsa_float_denorm_mode_32 3
		.amdhsa_float_denorm_mode_16_64 3
		.amdhsa_dx10_clamp 1
		.amdhsa_ieee_mode 1
		.amdhsa_fp16_overflow 0
		.amdhsa_tg_split 0
		.amdhsa_exception_fp_ieee_invalid_op 0
		.amdhsa_exception_fp_denorm_src 0
		.amdhsa_exception_fp_ieee_div_zero 0
		.amdhsa_exception_fp_ieee_overflow 0
		.amdhsa_exception_fp_ieee_underflow 0
		.amdhsa_exception_fp_ieee_inexact 0
		.amdhsa_exception_int_div_zero 0
	.end_amdhsa_kernel
	.section	.text._ZN7rocprim17ROCPRIM_400000_NS6detail17trampoline_kernelINS0_14default_configENS1_35radix_sort_onesweep_config_selectorIhlEEZZNS1_29radix_sort_onesweep_iterationIS3_Lb0EPhS7_N6thrust23THRUST_200600_302600_NS10device_ptrIlEESB_jNS0_19identity_decomposerENS1_16block_id_wrapperIjLb1EEEEE10hipError_tT1_PNSt15iterator_traitsISG_E10value_typeET2_T3_PNSH_ISM_E10value_typeET4_T5_PSR_SS_PNS1_23onesweep_lookback_stateEbbT6_jjT7_P12ihipStream_tbENKUlT_T0_SG_SL_E_clIS7_S7_SB_SB_EEDaSZ_S10_SG_SL_EUlSZ_E_NS1_11comp_targetILNS1_3genE4ELNS1_11target_archE910ELNS1_3gpuE8ELNS1_3repE0EEENS1_47radix_sort_onesweep_sort_config_static_selectorELNS0_4arch9wavefront6targetE1EEEvSG_,"axG",@progbits,_ZN7rocprim17ROCPRIM_400000_NS6detail17trampoline_kernelINS0_14default_configENS1_35radix_sort_onesweep_config_selectorIhlEEZZNS1_29radix_sort_onesweep_iterationIS3_Lb0EPhS7_N6thrust23THRUST_200600_302600_NS10device_ptrIlEESB_jNS0_19identity_decomposerENS1_16block_id_wrapperIjLb1EEEEE10hipError_tT1_PNSt15iterator_traitsISG_E10value_typeET2_T3_PNSH_ISM_E10value_typeET4_T5_PSR_SS_PNS1_23onesweep_lookback_stateEbbT6_jjT7_P12ihipStream_tbENKUlT_T0_SG_SL_E_clIS7_S7_SB_SB_EEDaSZ_S10_SG_SL_EUlSZ_E_NS1_11comp_targetILNS1_3genE4ELNS1_11target_archE910ELNS1_3gpuE8ELNS1_3repE0EEENS1_47radix_sort_onesweep_sort_config_static_selectorELNS0_4arch9wavefront6targetE1EEEvSG_,comdat
.Lfunc_end268:
	.size	_ZN7rocprim17ROCPRIM_400000_NS6detail17trampoline_kernelINS0_14default_configENS1_35radix_sort_onesweep_config_selectorIhlEEZZNS1_29radix_sort_onesweep_iterationIS3_Lb0EPhS7_N6thrust23THRUST_200600_302600_NS10device_ptrIlEESB_jNS0_19identity_decomposerENS1_16block_id_wrapperIjLb1EEEEE10hipError_tT1_PNSt15iterator_traitsISG_E10value_typeET2_T3_PNSH_ISM_E10value_typeET4_T5_PSR_SS_PNS1_23onesweep_lookback_stateEbbT6_jjT7_P12ihipStream_tbENKUlT_T0_SG_SL_E_clIS7_S7_SB_SB_EEDaSZ_S10_SG_SL_EUlSZ_E_NS1_11comp_targetILNS1_3genE4ELNS1_11target_archE910ELNS1_3gpuE8ELNS1_3repE0EEENS1_47radix_sort_onesweep_sort_config_static_selectorELNS0_4arch9wavefront6targetE1EEEvSG_, .Lfunc_end268-_ZN7rocprim17ROCPRIM_400000_NS6detail17trampoline_kernelINS0_14default_configENS1_35radix_sort_onesweep_config_selectorIhlEEZZNS1_29radix_sort_onesweep_iterationIS3_Lb0EPhS7_N6thrust23THRUST_200600_302600_NS10device_ptrIlEESB_jNS0_19identity_decomposerENS1_16block_id_wrapperIjLb1EEEEE10hipError_tT1_PNSt15iterator_traitsISG_E10value_typeET2_T3_PNSH_ISM_E10value_typeET4_T5_PSR_SS_PNS1_23onesweep_lookback_stateEbbT6_jjT7_P12ihipStream_tbENKUlT_T0_SG_SL_E_clIS7_S7_SB_SB_EEDaSZ_S10_SG_SL_EUlSZ_E_NS1_11comp_targetILNS1_3genE4ELNS1_11target_archE910ELNS1_3gpuE8ELNS1_3repE0EEENS1_47radix_sort_onesweep_sort_config_static_selectorELNS0_4arch9wavefront6targetE1EEEvSG_
                                        ; -- End function
	.section	.AMDGPU.csdata,"",@progbits
; Kernel info:
; codeLenInByte = 12832
; NumSgprs: 60
; NumVgprs: 55
; NumAgprs: 0
; TotalNumVgprs: 55
; ScratchSize: 0
; MemoryBound: 0
; FloatMode: 240
; IeeeMode: 1
; LDSByteSize: 20552 bytes/workgroup (compile time only)
; SGPRBlocks: 7
; VGPRBlocks: 6
; NumSGPRsForWavesPerEU: 60
; NumVGPRsForWavesPerEU: 55
; AccumOffset: 56
; Occupancy: 8
; WaveLimiterHint : 1
; COMPUTE_PGM_RSRC2:SCRATCH_EN: 0
; COMPUTE_PGM_RSRC2:USER_SGPR: 6
; COMPUTE_PGM_RSRC2:TRAP_HANDLER: 0
; COMPUTE_PGM_RSRC2:TGID_X_EN: 1
; COMPUTE_PGM_RSRC2:TGID_Y_EN: 0
; COMPUTE_PGM_RSRC2:TGID_Z_EN: 0
; COMPUTE_PGM_RSRC2:TIDIG_COMP_CNT: 2
; COMPUTE_PGM_RSRC3_GFX90A:ACCUM_OFFSET: 13
; COMPUTE_PGM_RSRC3_GFX90A:TG_SPLIT: 0
	.section	.text._ZN7rocprim17ROCPRIM_400000_NS6detail17trampoline_kernelINS0_14default_configENS1_35radix_sort_onesweep_config_selectorIhlEEZZNS1_29radix_sort_onesweep_iterationIS3_Lb0EPhS7_N6thrust23THRUST_200600_302600_NS10device_ptrIlEESB_jNS0_19identity_decomposerENS1_16block_id_wrapperIjLb1EEEEE10hipError_tT1_PNSt15iterator_traitsISG_E10value_typeET2_T3_PNSH_ISM_E10value_typeET4_T5_PSR_SS_PNS1_23onesweep_lookback_stateEbbT6_jjT7_P12ihipStream_tbENKUlT_T0_SG_SL_E_clIS7_S7_SB_SB_EEDaSZ_S10_SG_SL_EUlSZ_E_NS1_11comp_targetILNS1_3genE3ELNS1_11target_archE908ELNS1_3gpuE7ELNS1_3repE0EEENS1_47radix_sort_onesweep_sort_config_static_selectorELNS0_4arch9wavefront6targetE1EEEvSG_,"axG",@progbits,_ZN7rocprim17ROCPRIM_400000_NS6detail17trampoline_kernelINS0_14default_configENS1_35radix_sort_onesweep_config_selectorIhlEEZZNS1_29radix_sort_onesweep_iterationIS3_Lb0EPhS7_N6thrust23THRUST_200600_302600_NS10device_ptrIlEESB_jNS0_19identity_decomposerENS1_16block_id_wrapperIjLb1EEEEE10hipError_tT1_PNSt15iterator_traitsISG_E10value_typeET2_T3_PNSH_ISM_E10value_typeET4_T5_PSR_SS_PNS1_23onesweep_lookback_stateEbbT6_jjT7_P12ihipStream_tbENKUlT_T0_SG_SL_E_clIS7_S7_SB_SB_EEDaSZ_S10_SG_SL_EUlSZ_E_NS1_11comp_targetILNS1_3genE3ELNS1_11target_archE908ELNS1_3gpuE7ELNS1_3repE0EEENS1_47radix_sort_onesweep_sort_config_static_selectorELNS0_4arch9wavefront6targetE1EEEvSG_,comdat
	.protected	_ZN7rocprim17ROCPRIM_400000_NS6detail17trampoline_kernelINS0_14default_configENS1_35radix_sort_onesweep_config_selectorIhlEEZZNS1_29radix_sort_onesweep_iterationIS3_Lb0EPhS7_N6thrust23THRUST_200600_302600_NS10device_ptrIlEESB_jNS0_19identity_decomposerENS1_16block_id_wrapperIjLb1EEEEE10hipError_tT1_PNSt15iterator_traitsISG_E10value_typeET2_T3_PNSH_ISM_E10value_typeET4_T5_PSR_SS_PNS1_23onesweep_lookback_stateEbbT6_jjT7_P12ihipStream_tbENKUlT_T0_SG_SL_E_clIS7_S7_SB_SB_EEDaSZ_S10_SG_SL_EUlSZ_E_NS1_11comp_targetILNS1_3genE3ELNS1_11target_archE908ELNS1_3gpuE7ELNS1_3repE0EEENS1_47radix_sort_onesweep_sort_config_static_selectorELNS0_4arch9wavefront6targetE1EEEvSG_ ; -- Begin function _ZN7rocprim17ROCPRIM_400000_NS6detail17trampoline_kernelINS0_14default_configENS1_35radix_sort_onesweep_config_selectorIhlEEZZNS1_29radix_sort_onesweep_iterationIS3_Lb0EPhS7_N6thrust23THRUST_200600_302600_NS10device_ptrIlEESB_jNS0_19identity_decomposerENS1_16block_id_wrapperIjLb1EEEEE10hipError_tT1_PNSt15iterator_traitsISG_E10value_typeET2_T3_PNSH_ISM_E10value_typeET4_T5_PSR_SS_PNS1_23onesweep_lookback_stateEbbT6_jjT7_P12ihipStream_tbENKUlT_T0_SG_SL_E_clIS7_S7_SB_SB_EEDaSZ_S10_SG_SL_EUlSZ_E_NS1_11comp_targetILNS1_3genE3ELNS1_11target_archE908ELNS1_3gpuE7ELNS1_3repE0EEENS1_47radix_sort_onesweep_sort_config_static_selectorELNS0_4arch9wavefront6targetE1EEEvSG_
	.globl	_ZN7rocprim17ROCPRIM_400000_NS6detail17trampoline_kernelINS0_14default_configENS1_35radix_sort_onesweep_config_selectorIhlEEZZNS1_29radix_sort_onesweep_iterationIS3_Lb0EPhS7_N6thrust23THRUST_200600_302600_NS10device_ptrIlEESB_jNS0_19identity_decomposerENS1_16block_id_wrapperIjLb1EEEEE10hipError_tT1_PNSt15iterator_traitsISG_E10value_typeET2_T3_PNSH_ISM_E10value_typeET4_T5_PSR_SS_PNS1_23onesweep_lookback_stateEbbT6_jjT7_P12ihipStream_tbENKUlT_T0_SG_SL_E_clIS7_S7_SB_SB_EEDaSZ_S10_SG_SL_EUlSZ_E_NS1_11comp_targetILNS1_3genE3ELNS1_11target_archE908ELNS1_3gpuE7ELNS1_3repE0EEENS1_47radix_sort_onesweep_sort_config_static_selectorELNS0_4arch9wavefront6targetE1EEEvSG_
	.p2align	8
	.type	_ZN7rocprim17ROCPRIM_400000_NS6detail17trampoline_kernelINS0_14default_configENS1_35radix_sort_onesweep_config_selectorIhlEEZZNS1_29radix_sort_onesweep_iterationIS3_Lb0EPhS7_N6thrust23THRUST_200600_302600_NS10device_ptrIlEESB_jNS0_19identity_decomposerENS1_16block_id_wrapperIjLb1EEEEE10hipError_tT1_PNSt15iterator_traitsISG_E10value_typeET2_T3_PNSH_ISM_E10value_typeET4_T5_PSR_SS_PNS1_23onesweep_lookback_stateEbbT6_jjT7_P12ihipStream_tbENKUlT_T0_SG_SL_E_clIS7_S7_SB_SB_EEDaSZ_S10_SG_SL_EUlSZ_E_NS1_11comp_targetILNS1_3genE3ELNS1_11target_archE908ELNS1_3gpuE7ELNS1_3repE0EEENS1_47radix_sort_onesweep_sort_config_static_selectorELNS0_4arch9wavefront6targetE1EEEvSG_,@function
_ZN7rocprim17ROCPRIM_400000_NS6detail17trampoline_kernelINS0_14default_configENS1_35radix_sort_onesweep_config_selectorIhlEEZZNS1_29radix_sort_onesweep_iterationIS3_Lb0EPhS7_N6thrust23THRUST_200600_302600_NS10device_ptrIlEESB_jNS0_19identity_decomposerENS1_16block_id_wrapperIjLb1EEEEE10hipError_tT1_PNSt15iterator_traitsISG_E10value_typeET2_T3_PNSH_ISM_E10value_typeET4_T5_PSR_SS_PNS1_23onesweep_lookback_stateEbbT6_jjT7_P12ihipStream_tbENKUlT_T0_SG_SL_E_clIS7_S7_SB_SB_EEDaSZ_S10_SG_SL_EUlSZ_E_NS1_11comp_targetILNS1_3genE3ELNS1_11target_archE908ELNS1_3gpuE7ELNS1_3repE0EEENS1_47radix_sort_onesweep_sort_config_static_selectorELNS0_4arch9wavefront6targetE1EEEvSG_: ; @_ZN7rocprim17ROCPRIM_400000_NS6detail17trampoline_kernelINS0_14default_configENS1_35radix_sort_onesweep_config_selectorIhlEEZZNS1_29radix_sort_onesweep_iterationIS3_Lb0EPhS7_N6thrust23THRUST_200600_302600_NS10device_ptrIlEESB_jNS0_19identity_decomposerENS1_16block_id_wrapperIjLb1EEEEE10hipError_tT1_PNSt15iterator_traitsISG_E10value_typeET2_T3_PNSH_ISM_E10value_typeET4_T5_PSR_SS_PNS1_23onesweep_lookback_stateEbbT6_jjT7_P12ihipStream_tbENKUlT_T0_SG_SL_E_clIS7_S7_SB_SB_EEDaSZ_S10_SG_SL_EUlSZ_E_NS1_11comp_targetILNS1_3genE3ELNS1_11target_archE908ELNS1_3gpuE7ELNS1_3repE0EEENS1_47radix_sort_onesweep_sort_config_static_selectorELNS0_4arch9wavefront6targetE1EEEvSG_
; %bb.0:
	.section	.rodata,"a",@progbits
	.p2align	6, 0x0
	.amdhsa_kernel _ZN7rocprim17ROCPRIM_400000_NS6detail17trampoline_kernelINS0_14default_configENS1_35radix_sort_onesweep_config_selectorIhlEEZZNS1_29radix_sort_onesweep_iterationIS3_Lb0EPhS7_N6thrust23THRUST_200600_302600_NS10device_ptrIlEESB_jNS0_19identity_decomposerENS1_16block_id_wrapperIjLb1EEEEE10hipError_tT1_PNSt15iterator_traitsISG_E10value_typeET2_T3_PNSH_ISM_E10value_typeET4_T5_PSR_SS_PNS1_23onesweep_lookback_stateEbbT6_jjT7_P12ihipStream_tbENKUlT_T0_SG_SL_E_clIS7_S7_SB_SB_EEDaSZ_S10_SG_SL_EUlSZ_E_NS1_11comp_targetILNS1_3genE3ELNS1_11target_archE908ELNS1_3gpuE7ELNS1_3repE0EEENS1_47radix_sort_onesweep_sort_config_static_selectorELNS0_4arch9wavefront6targetE1EEEvSG_
		.amdhsa_group_segment_fixed_size 0
		.amdhsa_private_segment_fixed_size 0
		.amdhsa_kernarg_size 88
		.amdhsa_user_sgpr_count 6
		.amdhsa_user_sgpr_private_segment_buffer 1
		.amdhsa_user_sgpr_dispatch_ptr 0
		.amdhsa_user_sgpr_queue_ptr 0
		.amdhsa_user_sgpr_kernarg_segment_ptr 1
		.amdhsa_user_sgpr_dispatch_id 0
		.amdhsa_user_sgpr_flat_scratch_init 0
		.amdhsa_user_sgpr_kernarg_preload_length 0
		.amdhsa_user_sgpr_kernarg_preload_offset 0
		.amdhsa_user_sgpr_private_segment_size 0
		.amdhsa_uses_dynamic_stack 0
		.amdhsa_system_sgpr_private_segment_wavefront_offset 0
		.amdhsa_system_sgpr_workgroup_id_x 1
		.amdhsa_system_sgpr_workgroup_id_y 0
		.amdhsa_system_sgpr_workgroup_id_z 0
		.amdhsa_system_sgpr_workgroup_info 0
		.amdhsa_system_vgpr_workitem_id 0
		.amdhsa_next_free_vgpr 1
		.amdhsa_next_free_sgpr 0
		.amdhsa_accum_offset 4
		.amdhsa_reserve_vcc 0
		.amdhsa_reserve_flat_scratch 0
		.amdhsa_float_round_mode_32 0
		.amdhsa_float_round_mode_16_64 0
		.amdhsa_float_denorm_mode_32 3
		.amdhsa_float_denorm_mode_16_64 3
		.amdhsa_dx10_clamp 1
		.amdhsa_ieee_mode 1
		.amdhsa_fp16_overflow 0
		.amdhsa_tg_split 0
		.amdhsa_exception_fp_ieee_invalid_op 0
		.amdhsa_exception_fp_denorm_src 0
		.amdhsa_exception_fp_ieee_div_zero 0
		.amdhsa_exception_fp_ieee_overflow 0
		.amdhsa_exception_fp_ieee_underflow 0
		.amdhsa_exception_fp_ieee_inexact 0
		.amdhsa_exception_int_div_zero 0
	.end_amdhsa_kernel
	.section	.text._ZN7rocprim17ROCPRIM_400000_NS6detail17trampoline_kernelINS0_14default_configENS1_35radix_sort_onesweep_config_selectorIhlEEZZNS1_29radix_sort_onesweep_iterationIS3_Lb0EPhS7_N6thrust23THRUST_200600_302600_NS10device_ptrIlEESB_jNS0_19identity_decomposerENS1_16block_id_wrapperIjLb1EEEEE10hipError_tT1_PNSt15iterator_traitsISG_E10value_typeET2_T3_PNSH_ISM_E10value_typeET4_T5_PSR_SS_PNS1_23onesweep_lookback_stateEbbT6_jjT7_P12ihipStream_tbENKUlT_T0_SG_SL_E_clIS7_S7_SB_SB_EEDaSZ_S10_SG_SL_EUlSZ_E_NS1_11comp_targetILNS1_3genE3ELNS1_11target_archE908ELNS1_3gpuE7ELNS1_3repE0EEENS1_47radix_sort_onesweep_sort_config_static_selectorELNS0_4arch9wavefront6targetE1EEEvSG_,"axG",@progbits,_ZN7rocprim17ROCPRIM_400000_NS6detail17trampoline_kernelINS0_14default_configENS1_35radix_sort_onesweep_config_selectorIhlEEZZNS1_29radix_sort_onesweep_iterationIS3_Lb0EPhS7_N6thrust23THRUST_200600_302600_NS10device_ptrIlEESB_jNS0_19identity_decomposerENS1_16block_id_wrapperIjLb1EEEEE10hipError_tT1_PNSt15iterator_traitsISG_E10value_typeET2_T3_PNSH_ISM_E10value_typeET4_T5_PSR_SS_PNS1_23onesweep_lookback_stateEbbT6_jjT7_P12ihipStream_tbENKUlT_T0_SG_SL_E_clIS7_S7_SB_SB_EEDaSZ_S10_SG_SL_EUlSZ_E_NS1_11comp_targetILNS1_3genE3ELNS1_11target_archE908ELNS1_3gpuE7ELNS1_3repE0EEENS1_47radix_sort_onesweep_sort_config_static_selectorELNS0_4arch9wavefront6targetE1EEEvSG_,comdat
.Lfunc_end269:
	.size	_ZN7rocprim17ROCPRIM_400000_NS6detail17trampoline_kernelINS0_14default_configENS1_35radix_sort_onesweep_config_selectorIhlEEZZNS1_29radix_sort_onesweep_iterationIS3_Lb0EPhS7_N6thrust23THRUST_200600_302600_NS10device_ptrIlEESB_jNS0_19identity_decomposerENS1_16block_id_wrapperIjLb1EEEEE10hipError_tT1_PNSt15iterator_traitsISG_E10value_typeET2_T3_PNSH_ISM_E10value_typeET4_T5_PSR_SS_PNS1_23onesweep_lookback_stateEbbT6_jjT7_P12ihipStream_tbENKUlT_T0_SG_SL_E_clIS7_S7_SB_SB_EEDaSZ_S10_SG_SL_EUlSZ_E_NS1_11comp_targetILNS1_3genE3ELNS1_11target_archE908ELNS1_3gpuE7ELNS1_3repE0EEENS1_47radix_sort_onesweep_sort_config_static_selectorELNS0_4arch9wavefront6targetE1EEEvSG_, .Lfunc_end269-_ZN7rocprim17ROCPRIM_400000_NS6detail17trampoline_kernelINS0_14default_configENS1_35radix_sort_onesweep_config_selectorIhlEEZZNS1_29radix_sort_onesweep_iterationIS3_Lb0EPhS7_N6thrust23THRUST_200600_302600_NS10device_ptrIlEESB_jNS0_19identity_decomposerENS1_16block_id_wrapperIjLb1EEEEE10hipError_tT1_PNSt15iterator_traitsISG_E10value_typeET2_T3_PNSH_ISM_E10value_typeET4_T5_PSR_SS_PNS1_23onesweep_lookback_stateEbbT6_jjT7_P12ihipStream_tbENKUlT_T0_SG_SL_E_clIS7_S7_SB_SB_EEDaSZ_S10_SG_SL_EUlSZ_E_NS1_11comp_targetILNS1_3genE3ELNS1_11target_archE908ELNS1_3gpuE7ELNS1_3repE0EEENS1_47radix_sort_onesweep_sort_config_static_selectorELNS0_4arch9wavefront6targetE1EEEvSG_
                                        ; -- End function
	.section	.AMDGPU.csdata,"",@progbits
; Kernel info:
; codeLenInByte = 0
; NumSgprs: 4
; NumVgprs: 0
; NumAgprs: 0
; TotalNumVgprs: 0
; ScratchSize: 0
; MemoryBound: 0
; FloatMode: 240
; IeeeMode: 1
; LDSByteSize: 0 bytes/workgroup (compile time only)
; SGPRBlocks: 0
; VGPRBlocks: 0
; NumSGPRsForWavesPerEU: 4
; NumVGPRsForWavesPerEU: 1
; AccumOffset: 4
; Occupancy: 8
; WaveLimiterHint : 0
; COMPUTE_PGM_RSRC2:SCRATCH_EN: 0
; COMPUTE_PGM_RSRC2:USER_SGPR: 6
; COMPUTE_PGM_RSRC2:TRAP_HANDLER: 0
; COMPUTE_PGM_RSRC2:TGID_X_EN: 1
; COMPUTE_PGM_RSRC2:TGID_Y_EN: 0
; COMPUTE_PGM_RSRC2:TGID_Z_EN: 0
; COMPUTE_PGM_RSRC2:TIDIG_COMP_CNT: 0
; COMPUTE_PGM_RSRC3_GFX90A:ACCUM_OFFSET: 0
; COMPUTE_PGM_RSRC3_GFX90A:TG_SPLIT: 0
	.section	.text._ZN7rocprim17ROCPRIM_400000_NS6detail17trampoline_kernelINS0_14default_configENS1_35radix_sort_onesweep_config_selectorIhlEEZZNS1_29radix_sort_onesweep_iterationIS3_Lb0EPhS7_N6thrust23THRUST_200600_302600_NS10device_ptrIlEESB_jNS0_19identity_decomposerENS1_16block_id_wrapperIjLb1EEEEE10hipError_tT1_PNSt15iterator_traitsISG_E10value_typeET2_T3_PNSH_ISM_E10value_typeET4_T5_PSR_SS_PNS1_23onesweep_lookback_stateEbbT6_jjT7_P12ihipStream_tbENKUlT_T0_SG_SL_E_clIS7_S7_SB_SB_EEDaSZ_S10_SG_SL_EUlSZ_E_NS1_11comp_targetILNS1_3genE10ELNS1_11target_archE1201ELNS1_3gpuE5ELNS1_3repE0EEENS1_47radix_sort_onesweep_sort_config_static_selectorELNS0_4arch9wavefront6targetE1EEEvSG_,"axG",@progbits,_ZN7rocprim17ROCPRIM_400000_NS6detail17trampoline_kernelINS0_14default_configENS1_35radix_sort_onesweep_config_selectorIhlEEZZNS1_29radix_sort_onesweep_iterationIS3_Lb0EPhS7_N6thrust23THRUST_200600_302600_NS10device_ptrIlEESB_jNS0_19identity_decomposerENS1_16block_id_wrapperIjLb1EEEEE10hipError_tT1_PNSt15iterator_traitsISG_E10value_typeET2_T3_PNSH_ISM_E10value_typeET4_T5_PSR_SS_PNS1_23onesweep_lookback_stateEbbT6_jjT7_P12ihipStream_tbENKUlT_T0_SG_SL_E_clIS7_S7_SB_SB_EEDaSZ_S10_SG_SL_EUlSZ_E_NS1_11comp_targetILNS1_3genE10ELNS1_11target_archE1201ELNS1_3gpuE5ELNS1_3repE0EEENS1_47radix_sort_onesweep_sort_config_static_selectorELNS0_4arch9wavefront6targetE1EEEvSG_,comdat
	.protected	_ZN7rocprim17ROCPRIM_400000_NS6detail17trampoline_kernelINS0_14default_configENS1_35radix_sort_onesweep_config_selectorIhlEEZZNS1_29radix_sort_onesweep_iterationIS3_Lb0EPhS7_N6thrust23THRUST_200600_302600_NS10device_ptrIlEESB_jNS0_19identity_decomposerENS1_16block_id_wrapperIjLb1EEEEE10hipError_tT1_PNSt15iterator_traitsISG_E10value_typeET2_T3_PNSH_ISM_E10value_typeET4_T5_PSR_SS_PNS1_23onesweep_lookback_stateEbbT6_jjT7_P12ihipStream_tbENKUlT_T0_SG_SL_E_clIS7_S7_SB_SB_EEDaSZ_S10_SG_SL_EUlSZ_E_NS1_11comp_targetILNS1_3genE10ELNS1_11target_archE1201ELNS1_3gpuE5ELNS1_3repE0EEENS1_47radix_sort_onesweep_sort_config_static_selectorELNS0_4arch9wavefront6targetE1EEEvSG_ ; -- Begin function _ZN7rocprim17ROCPRIM_400000_NS6detail17trampoline_kernelINS0_14default_configENS1_35radix_sort_onesweep_config_selectorIhlEEZZNS1_29radix_sort_onesweep_iterationIS3_Lb0EPhS7_N6thrust23THRUST_200600_302600_NS10device_ptrIlEESB_jNS0_19identity_decomposerENS1_16block_id_wrapperIjLb1EEEEE10hipError_tT1_PNSt15iterator_traitsISG_E10value_typeET2_T3_PNSH_ISM_E10value_typeET4_T5_PSR_SS_PNS1_23onesweep_lookback_stateEbbT6_jjT7_P12ihipStream_tbENKUlT_T0_SG_SL_E_clIS7_S7_SB_SB_EEDaSZ_S10_SG_SL_EUlSZ_E_NS1_11comp_targetILNS1_3genE10ELNS1_11target_archE1201ELNS1_3gpuE5ELNS1_3repE0EEENS1_47radix_sort_onesweep_sort_config_static_selectorELNS0_4arch9wavefront6targetE1EEEvSG_
	.globl	_ZN7rocprim17ROCPRIM_400000_NS6detail17trampoline_kernelINS0_14default_configENS1_35radix_sort_onesweep_config_selectorIhlEEZZNS1_29radix_sort_onesweep_iterationIS3_Lb0EPhS7_N6thrust23THRUST_200600_302600_NS10device_ptrIlEESB_jNS0_19identity_decomposerENS1_16block_id_wrapperIjLb1EEEEE10hipError_tT1_PNSt15iterator_traitsISG_E10value_typeET2_T3_PNSH_ISM_E10value_typeET4_T5_PSR_SS_PNS1_23onesweep_lookback_stateEbbT6_jjT7_P12ihipStream_tbENKUlT_T0_SG_SL_E_clIS7_S7_SB_SB_EEDaSZ_S10_SG_SL_EUlSZ_E_NS1_11comp_targetILNS1_3genE10ELNS1_11target_archE1201ELNS1_3gpuE5ELNS1_3repE0EEENS1_47radix_sort_onesweep_sort_config_static_selectorELNS0_4arch9wavefront6targetE1EEEvSG_
	.p2align	8
	.type	_ZN7rocprim17ROCPRIM_400000_NS6detail17trampoline_kernelINS0_14default_configENS1_35radix_sort_onesweep_config_selectorIhlEEZZNS1_29radix_sort_onesweep_iterationIS3_Lb0EPhS7_N6thrust23THRUST_200600_302600_NS10device_ptrIlEESB_jNS0_19identity_decomposerENS1_16block_id_wrapperIjLb1EEEEE10hipError_tT1_PNSt15iterator_traitsISG_E10value_typeET2_T3_PNSH_ISM_E10value_typeET4_T5_PSR_SS_PNS1_23onesweep_lookback_stateEbbT6_jjT7_P12ihipStream_tbENKUlT_T0_SG_SL_E_clIS7_S7_SB_SB_EEDaSZ_S10_SG_SL_EUlSZ_E_NS1_11comp_targetILNS1_3genE10ELNS1_11target_archE1201ELNS1_3gpuE5ELNS1_3repE0EEENS1_47radix_sort_onesweep_sort_config_static_selectorELNS0_4arch9wavefront6targetE1EEEvSG_,@function
_ZN7rocprim17ROCPRIM_400000_NS6detail17trampoline_kernelINS0_14default_configENS1_35radix_sort_onesweep_config_selectorIhlEEZZNS1_29radix_sort_onesweep_iterationIS3_Lb0EPhS7_N6thrust23THRUST_200600_302600_NS10device_ptrIlEESB_jNS0_19identity_decomposerENS1_16block_id_wrapperIjLb1EEEEE10hipError_tT1_PNSt15iterator_traitsISG_E10value_typeET2_T3_PNSH_ISM_E10value_typeET4_T5_PSR_SS_PNS1_23onesweep_lookback_stateEbbT6_jjT7_P12ihipStream_tbENKUlT_T0_SG_SL_E_clIS7_S7_SB_SB_EEDaSZ_S10_SG_SL_EUlSZ_E_NS1_11comp_targetILNS1_3genE10ELNS1_11target_archE1201ELNS1_3gpuE5ELNS1_3repE0EEENS1_47radix_sort_onesweep_sort_config_static_selectorELNS0_4arch9wavefront6targetE1EEEvSG_: ; @_ZN7rocprim17ROCPRIM_400000_NS6detail17trampoline_kernelINS0_14default_configENS1_35radix_sort_onesweep_config_selectorIhlEEZZNS1_29radix_sort_onesweep_iterationIS3_Lb0EPhS7_N6thrust23THRUST_200600_302600_NS10device_ptrIlEESB_jNS0_19identity_decomposerENS1_16block_id_wrapperIjLb1EEEEE10hipError_tT1_PNSt15iterator_traitsISG_E10value_typeET2_T3_PNSH_ISM_E10value_typeET4_T5_PSR_SS_PNS1_23onesweep_lookback_stateEbbT6_jjT7_P12ihipStream_tbENKUlT_T0_SG_SL_E_clIS7_S7_SB_SB_EEDaSZ_S10_SG_SL_EUlSZ_E_NS1_11comp_targetILNS1_3genE10ELNS1_11target_archE1201ELNS1_3gpuE5ELNS1_3repE0EEENS1_47radix_sort_onesweep_sort_config_static_selectorELNS0_4arch9wavefront6targetE1EEEvSG_
; %bb.0:
	.section	.rodata,"a",@progbits
	.p2align	6, 0x0
	.amdhsa_kernel _ZN7rocprim17ROCPRIM_400000_NS6detail17trampoline_kernelINS0_14default_configENS1_35radix_sort_onesweep_config_selectorIhlEEZZNS1_29radix_sort_onesweep_iterationIS3_Lb0EPhS7_N6thrust23THRUST_200600_302600_NS10device_ptrIlEESB_jNS0_19identity_decomposerENS1_16block_id_wrapperIjLb1EEEEE10hipError_tT1_PNSt15iterator_traitsISG_E10value_typeET2_T3_PNSH_ISM_E10value_typeET4_T5_PSR_SS_PNS1_23onesweep_lookback_stateEbbT6_jjT7_P12ihipStream_tbENKUlT_T0_SG_SL_E_clIS7_S7_SB_SB_EEDaSZ_S10_SG_SL_EUlSZ_E_NS1_11comp_targetILNS1_3genE10ELNS1_11target_archE1201ELNS1_3gpuE5ELNS1_3repE0EEENS1_47radix_sort_onesweep_sort_config_static_selectorELNS0_4arch9wavefront6targetE1EEEvSG_
		.amdhsa_group_segment_fixed_size 0
		.amdhsa_private_segment_fixed_size 0
		.amdhsa_kernarg_size 88
		.amdhsa_user_sgpr_count 6
		.amdhsa_user_sgpr_private_segment_buffer 1
		.amdhsa_user_sgpr_dispatch_ptr 0
		.amdhsa_user_sgpr_queue_ptr 0
		.amdhsa_user_sgpr_kernarg_segment_ptr 1
		.amdhsa_user_sgpr_dispatch_id 0
		.amdhsa_user_sgpr_flat_scratch_init 0
		.amdhsa_user_sgpr_kernarg_preload_length 0
		.amdhsa_user_sgpr_kernarg_preload_offset 0
		.amdhsa_user_sgpr_private_segment_size 0
		.amdhsa_uses_dynamic_stack 0
		.amdhsa_system_sgpr_private_segment_wavefront_offset 0
		.amdhsa_system_sgpr_workgroup_id_x 1
		.amdhsa_system_sgpr_workgroup_id_y 0
		.amdhsa_system_sgpr_workgroup_id_z 0
		.amdhsa_system_sgpr_workgroup_info 0
		.amdhsa_system_vgpr_workitem_id 0
		.amdhsa_next_free_vgpr 1
		.amdhsa_next_free_sgpr 0
		.amdhsa_accum_offset 4
		.amdhsa_reserve_vcc 0
		.amdhsa_reserve_flat_scratch 0
		.amdhsa_float_round_mode_32 0
		.amdhsa_float_round_mode_16_64 0
		.amdhsa_float_denorm_mode_32 3
		.amdhsa_float_denorm_mode_16_64 3
		.amdhsa_dx10_clamp 1
		.amdhsa_ieee_mode 1
		.amdhsa_fp16_overflow 0
		.amdhsa_tg_split 0
		.amdhsa_exception_fp_ieee_invalid_op 0
		.amdhsa_exception_fp_denorm_src 0
		.amdhsa_exception_fp_ieee_div_zero 0
		.amdhsa_exception_fp_ieee_overflow 0
		.amdhsa_exception_fp_ieee_underflow 0
		.amdhsa_exception_fp_ieee_inexact 0
		.amdhsa_exception_int_div_zero 0
	.end_amdhsa_kernel
	.section	.text._ZN7rocprim17ROCPRIM_400000_NS6detail17trampoline_kernelINS0_14default_configENS1_35radix_sort_onesweep_config_selectorIhlEEZZNS1_29radix_sort_onesweep_iterationIS3_Lb0EPhS7_N6thrust23THRUST_200600_302600_NS10device_ptrIlEESB_jNS0_19identity_decomposerENS1_16block_id_wrapperIjLb1EEEEE10hipError_tT1_PNSt15iterator_traitsISG_E10value_typeET2_T3_PNSH_ISM_E10value_typeET4_T5_PSR_SS_PNS1_23onesweep_lookback_stateEbbT6_jjT7_P12ihipStream_tbENKUlT_T0_SG_SL_E_clIS7_S7_SB_SB_EEDaSZ_S10_SG_SL_EUlSZ_E_NS1_11comp_targetILNS1_3genE10ELNS1_11target_archE1201ELNS1_3gpuE5ELNS1_3repE0EEENS1_47radix_sort_onesweep_sort_config_static_selectorELNS0_4arch9wavefront6targetE1EEEvSG_,"axG",@progbits,_ZN7rocprim17ROCPRIM_400000_NS6detail17trampoline_kernelINS0_14default_configENS1_35radix_sort_onesweep_config_selectorIhlEEZZNS1_29radix_sort_onesweep_iterationIS3_Lb0EPhS7_N6thrust23THRUST_200600_302600_NS10device_ptrIlEESB_jNS0_19identity_decomposerENS1_16block_id_wrapperIjLb1EEEEE10hipError_tT1_PNSt15iterator_traitsISG_E10value_typeET2_T3_PNSH_ISM_E10value_typeET4_T5_PSR_SS_PNS1_23onesweep_lookback_stateEbbT6_jjT7_P12ihipStream_tbENKUlT_T0_SG_SL_E_clIS7_S7_SB_SB_EEDaSZ_S10_SG_SL_EUlSZ_E_NS1_11comp_targetILNS1_3genE10ELNS1_11target_archE1201ELNS1_3gpuE5ELNS1_3repE0EEENS1_47radix_sort_onesweep_sort_config_static_selectorELNS0_4arch9wavefront6targetE1EEEvSG_,comdat
.Lfunc_end270:
	.size	_ZN7rocprim17ROCPRIM_400000_NS6detail17trampoline_kernelINS0_14default_configENS1_35radix_sort_onesweep_config_selectorIhlEEZZNS1_29radix_sort_onesweep_iterationIS3_Lb0EPhS7_N6thrust23THRUST_200600_302600_NS10device_ptrIlEESB_jNS0_19identity_decomposerENS1_16block_id_wrapperIjLb1EEEEE10hipError_tT1_PNSt15iterator_traitsISG_E10value_typeET2_T3_PNSH_ISM_E10value_typeET4_T5_PSR_SS_PNS1_23onesweep_lookback_stateEbbT6_jjT7_P12ihipStream_tbENKUlT_T0_SG_SL_E_clIS7_S7_SB_SB_EEDaSZ_S10_SG_SL_EUlSZ_E_NS1_11comp_targetILNS1_3genE10ELNS1_11target_archE1201ELNS1_3gpuE5ELNS1_3repE0EEENS1_47radix_sort_onesweep_sort_config_static_selectorELNS0_4arch9wavefront6targetE1EEEvSG_, .Lfunc_end270-_ZN7rocprim17ROCPRIM_400000_NS6detail17trampoline_kernelINS0_14default_configENS1_35radix_sort_onesweep_config_selectorIhlEEZZNS1_29radix_sort_onesweep_iterationIS3_Lb0EPhS7_N6thrust23THRUST_200600_302600_NS10device_ptrIlEESB_jNS0_19identity_decomposerENS1_16block_id_wrapperIjLb1EEEEE10hipError_tT1_PNSt15iterator_traitsISG_E10value_typeET2_T3_PNSH_ISM_E10value_typeET4_T5_PSR_SS_PNS1_23onesweep_lookback_stateEbbT6_jjT7_P12ihipStream_tbENKUlT_T0_SG_SL_E_clIS7_S7_SB_SB_EEDaSZ_S10_SG_SL_EUlSZ_E_NS1_11comp_targetILNS1_3genE10ELNS1_11target_archE1201ELNS1_3gpuE5ELNS1_3repE0EEENS1_47radix_sort_onesweep_sort_config_static_selectorELNS0_4arch9wavefront6targetE1EEEvSG_
                                        ; -- End function
	.section	.AMDGPU.csdata,"",@progbits
; Kernel info:
; codeLenInByte = 0
; NumSgprs: 4
; NumVgprs: 0
; NumAgprs: 0
; TotalNumVgprs: 0
; ScratchSize: 0
; MemoryBound: 0
; FloatMode: 240
; IeeeMode: 1
; LDSByteSize: 0 bytes/workgroup (compile time only)
; SGPRBlocks: 0
; VGPRBlocks: 0
; NumSGPRsForWavesPerEU: 4
; NumVGPRsForWavesPerEU: 1
; AccumOffset: 4
; Occupancy: 8
; WaveLimiterHint : 0
; COMPUTE_PGM_RSRC2:SCRATCH_EN: 0
; COMPUTE_PGM_RSRC2:USER_SGPR: 6
; COMPUTE_PGM_RSRC2:TRAP_HANDLER: 0
; COMPUTE_PGM_RSRC2:TGID_X_EN: 1
; COMPUTE_PGM_RSRC2:TGID_Y_EN: 0
; COMPUTE_PGM_RSRC2:TGID_Z_EN: 0
; COMPUTE_PGM_RSRC2:TIDIG_COMP_CNT: 0
; COMPUTE_PGM_RSRC3_GFX90A:ACCUM_OFFSET: 0
; COMPUTE_PGM_RSRC3_GFX90A:TG_SPLIT: 0
	.section	.text._ZN7rocprim17ROCPRIM_400000_NS6detail17trampoline_kernelINS0_14default_configENS1_35radix_sort_onesweep_config_selectorIhlEEZZNS1_29radix_sort_onesweep_iterationIS3_Lb0EPhS7_N6thrust23THRUST_200600_302600_NS10device_ptrIlEESB_jNS0_19identity_decomposerENS1_16block_id_wrapperIjLb1EEEEE10hipError_tT1_PNSt15iterator_traitsISG_E10value_typeET2_T3_PNSH_ISM_E10value_typeET4_T5_PSR_SS_PNS1_23onesweep_lookback_stateEbbT6_jjT7_P12ihipStream_tbENKUlT_T0_SG_SL_E_clIS7_S7_SB_SB_EEDaSZ_S10_SG_SL_EUlSZ_E_NS1_11comp_targetILNS1_3genE9ELNS1_11target_archE1100ELNS1_3gpuE3ELNS1_3repE0EEENS1_47radix_sort_onesweep_sort_config_static_selectorELNS0_4arch9wavefront6targetE1EEEvSG_,"axG",@progbits,_ZN7rocprim17ROCPRIM_400000_NS6detail17trampoline_kernelINS0_14default_configENS1_35radix_sort_onesweep_config_selectorIhlEEZZNS1_29radix_sort_onesweep_iterationIS3_Lb0EPhS7_N6thrust23THRUST_200600_302600_NS10device_ptrIlEESB_jNS0_19identity_decomposerENS1_16block_id_wrapperIjLb1EEEEE10hipError_tT1_PNSt15iterator_traitsISG_E10value_typeET2_T3_PNSH_ISM_E10value_typeET4_T5_PSR_SS_PNS1_23onesweep_lookback_stateEbbT6_jjT7_P12ihipStream_tbENKUlT_T0_SG_SL_E_clIS7_S7_SB_SB_EEDaSZ_S10_SG_SL_EUlSZ_E_NS1_11comp_targetILNS1_3genE9ELNS1_11target_archE1100ELNS1_3gpuE3ELNS1_3repE0EEENS1_47radix_sort_onesweep_sort_config_static_selectorELNS0_4arch9wavefront6targetE1EEEvSG_,comdat
	.protected	_ZN7rocprim17ROCPRIM_400000_NS6detail17trampoline_kernelINS0_14default_configENS1_35radix_sort_onesweep_config_selectorIhlEEZZNS1_29radix_sort_onesweep_iterationIS3_Lb0EPhS7_N6thrust23THRUST_200600_302600_NS10device_ptrIlEESB_jNS0_19identity_decomposerENS1_16block_id_wrapperIjLb1EEEEE10hipError_tT1_PNSt15iterator_traitsISG_E10value_typeET2_T3_PNSH_ISM_E10value_typeET4_T5_PSR_SS_PNS1_23onesweep_lookback_stateEbbT6_jjT7_P12ihipStream_tbENKUlT_T0_SG_SL_E_clIS7_S7_SB_SB_EEDaSZ_S10_SG_SL_EUlSZ_E_NS1_11comp_targetILNS1_3genE9ELNS1_11target_archE1100ELNS1_3gpuE3ELNS1_3repE0EEENS1_47radix_sort_onesweep_sort_config_static_selectorELNS0_4arch9wavefront6targetE1EEEvSG_ ; -- Begin function _ZN7rocprim17ROCPRIM_400000_NS6detail17trampoline_kernelINS0_14default_configENS1_35radix_sort_onesweep_config_selectorIhlEEZZNS1_29radix_sort_onesweep_iterationIS3_Lb0EPhS7_N6thrust23THRUST_200600_302600_NS10device_ptrIlEESB_jNS0_19identity_decomposerENS1_16block_id_wrapperIjLb1EEEEE10hipError_tT1_PNSt15iterator_traitsISG_E10value_typeET2_T3_PNSH_ISM_E10value_typeET4_T5_PSR_SS_PNS1_23onesweep_lookback_stateEbbT6_jjT7_P12ihipStream_tbENKUlT_T0_SG_SL_E_clIS7_S7_SB_SB_EEDaSZ_S10_SG_SL_EUlSZ_E_NS1_11comp_targetILNS1_3genE9ELNS1_11target_archE1100ELNS1_3gpuE3ELNS1_3repE0EEENS1_47radix_sort_onesweep_sort_config_static_selectorELNS0_4arch9wavefront6targetE1EEEvSG_
	.globl	_ZN7rocprim17ROCPRIM_400000_NS6detail17trampoline_kernelINS0_14default_configENS1_35radix_sort_onesweep_config_selectorIhlEEZZNS1_29radix_sort_onesweep_iterationIS3_Lb0EPhS7_N6thrust23THRUST_200600_302600_NS10device_ptrIlEESB_jNS0_19identity_decomposerENS1_16block_id_wrapperIjLb1EEEEE10hipError_tT1_PNSt15iterator_traitsISG_E10value_typeET2_T3_PNSH_ISM_E10value_typeET4_T5_PSR_SS_PNS1_23onesweep_lookback_stateEbbT6_jjT7_P12ihipStream_tbENKUlT_T0_SG_SL_E_clIS7_S7_SB_SB_EEDaSZ_S10_SG_SL_EUlSZ_E_NS1_11comp_targetILNS1_3genE9ELNS1_11target_archE1100ELNS1_3gpuE3ELNS1_3repE0EEENS1_47radix_sort_onesweep_sort_config_static_selectorELNS0_4arch9wavefront6targetE1EEEvSG_
	.p2align	8
	.type	_ZN7rocprim17ROCPRIM_400000_NS6detail17trampoline_kernelINS0_14default_configENS1_35radix_sort_onesweep_config_selectorIhlEEZZNS1_29radix_sort_onesweep_iterationIS3_Lb0EPhS7_N6thrust23THRUST_200600_302600_NS10device_ptrIlEESB_jNS0_19identity_decomposerENS1_16block_id_wrapperIjLb1EEEEE10hipError_tT1_PNSt15iterator_traitsISG_E10value_typeET2_T3_PNSH_ISM_E10value_typeET4_T5_PSR_SS_PNS1_23onesweep_lookback_stateEbbT6_jjT7_P12ihipStream_tbENKUlT_T0_SG_SL_E_clIS7_S7_SB_SB_EEDaSZ_S10_SG_SL_EUlSZ_E_NS1_11comp_targetILNS1_3genE9ELNS1_11target_archE1100ELNS1_3gpuE3ELNS1_3repE0EEENS1_47radix_sort_onesweep_sort_config_static_selectorELNS0_4arch9wavefront6targetE1EEEvSG_,@function
_ZN7rocprim17ROCPRIM_400000_NS6detail17trampoline_kernelINS0_14default_configENS1_35radix_sort_onesweep_config_selectorIhlEEZZNS1_29radix_sort_onesweep_iterationIS3_Lb0EPhS7_N6thrust23THRUST_200600_302600_NS10device_ptrIlEESB_jNS0_19identity_decomposerENS1_16block_id_wrapperIjLb1EEEEE10hipError_tT1_PNSt15iterator_traitsISG_E10value_typeET2_T3_PNSH_ISM_E10value_typeET4_T5_PSR_SS_PNS1_23onesweep_lookback_stateEbbT6_jjT7_P12ihipStream_tbENKUlT_T0_SG_SL_E_clIS7_S7_SB_SB_EEDaSZ_S10_SG_SL_EUlSZ_E_NS1_11comp_targetILNS1_3genE9ELNS1_11target_archE1100ELNS1_3gpuE3ELNS1_3repE0EEENS1_47radix_sort_onesweep_sort_config_static_selectorELNS0_4arch9wavefront6targetE1EEEvSG_: ; @_ZN7rocprim17ROCPRIM_400000_NS6detail17trampoline_kernelINS0_14default_configENS1_35radix_sort_onesweep_config_selectorIhlEEZZNS1_29radix_sort_onesweep_iterationIS3_Lb0EPhS7_N6thrust23THRUST_200600_302600_NS10device_ptrIlEESB_jNS0_19identity_decomposerENS1_16block_id_wrapperIjLb1EEEEE10hipError_tT1_PNSt15iterator_traitsISG_E10value_typeET2_T3_PNSH_ISM_E10value_typeET4_T5_PSR_SS_PNS1_23onesweep_lookback_stateEbbT6_jjT7_P12ihipStream_tbENKUlT_T0_SG_SL_E_clIS7_S7_SB_SB_EEDaSZ_S10_SG_SL_EUlSZ_E_NS1_11comp_targetILNS1_3genE9ELNS1_11target_archE1100ELNS1_3gpuE3ELNS1_3repE0EEENS1_47radix_sort_onesweep_sort_config_static_selectorELNS0_4arch9wavefront6targetE1EEEvSG_
; %bb.0:
	.section	.rodata,"a",@progbits
	.p2align	6, 0x0
	.amdhsa_kernel _ZN7rocprim17ROCPRIM_400000_NS6detail17trampoline_kernelINS0_14default_configENS1_35radix_sort_onesweep_config_selectorIhlEEZZNS1_29radix_sort_onesweep_iterationIS3_Lb0EPhS7_N6thrust23THRUST_200600_302600_NS10device_ptrIlEESB_jNS0_19identity_decomposerENS1_16block_id_wrapperIjLb1EEEEE10hipError_tT1_PNSt15iterator_traitsISG_E10value_typeET2_T3_PNSH_ISM_E10value_typeET4_T5_PSR_SS_PNS1_23onesweep_lookback_stateEbbT6_jjT7_P12ihipStream_tbENKUlT_T0_SG_SL_E_clIS7_S7_SB_SB_EEDaSZ_S10_SG_SL_EUlSZ_E_NS1_11comp_targetILNS1_3genE9ELNS1_11target_archE1100ELNS1_3gpuE3ELNS1_3repE0EEENS1_47radix_sort_onesweep_sort_config_static_selectorELNS0_4arch9wavefront6targetE1EEEvSG_
		.amdhsa_group_segment_fixed_size 0
		.amdhsa_private_segment_fixed_size 0
		.amdhsa_kernarg_size 88
		.amdhsa_user_sgpr_count 6
		.amdhsa_user_sgpr_private_segment_buffer 1
		.amdhsa_user_sgpr_dispatch_ptr 0
		.amdhsa_user_sgpr_queue_ptr 0
		.amdhsa_user_sgpr_kernarg_segment_ptr 1
		.amdhsa_user_sgpr_dispatch_id 0
		.amdhsa_user_sgpr_flat_scratch_init 0
		.amdhsa_user_sgpr_kernarg_preload_length 0
		.amdhsa_user_sgpr_kernarg_preload_offset 0
		.amdhsa_user_sgpr_private_segment_size 0
		.amdhsa_uses_dynamic_stack 0
		.amdhsa_system_sgpr_private_segment_wavefront_offset 0
		.amdhsa_system_sgpr_workgroup_id_x 1
		.amdhsa_system_sgpr_workgroup_id_y 0
		.amdhsa_system_sgpr_workgroup_id_z 0
		.amdhsa_system_sgpr_workgroup_info 0
		.amdhsa_system_vgpr_workitem_id 0
		.amdhsa_next_free_vgpr 1
		.amdhsa_next_free_sgpr 0
		.amdhsa_accum_offset 4
		.amdhsa_reserve_vcc 0
		.amdhsa_reserve_flat_scratch 0
		.amdhsa_float_round_mode_32 0
		.amdhsa_float_round_mode_16_64 0
		.amdhsa_float_denorm_mode_32 3
		.amdhsa_float_denorm_mode_16_64 3
		.amdhsa_dx10_clamp 1
		.amdhsa_ieee_mode 1
		.amdhsa_fp16_overflow 0
		.amdhsa_tg_split 0
		.amdhsa_exception_fp_ieee_invalid_op 0
		.amdhsa_exception_fp_denorm_src 0
		.amdhsa_exception_fp_ieee_div_zero 0
		.amdhsa_exception_fp_ieee_overflow 0
		.amdhsa_exception_fp_ieee_underflow 0
		.amdhsa_exception_fp_ieee_inexact 0
		.amdhsa_exception_int_div_zero 0
	.end_amdhsa_kernel
	.section	.text._ZN7rocprim17ROCPRIM_400000_NS6detail17trampoline_kernelINS0_14default_configENS1_35radix_sort_onesweep_config_selectorIhlEEZZNS1_29radix_sort_onesweep_iterationIS3_Lb0EPhS7_N6thrust23THRUST_200600_302600_NS10device_ptrIlEESB_jNS0_19identity_decomposerENS1_16block_id_wrapperIjLb1EEEEE10hipError_tT1_PNSt15iterator_traitsISG_E10value_typeET2_T3_PNSH_ISM_E10value_typeET4_T5_PSR_SS_PNS1_23onesweep_lookback_stateEbbT6_jjT7_P12ihipStream_tbENKUlT_T0_SG_SL_E_clIS7_S7_SB_SB_EEDaSZ_S10_SG_SL_EUlSZ_E_NS1_11comp_targetILNS1_3genE9ELNS1_11target_archE1100ELNS1_3gpuE3ELNS1_3repE0EEENS1_47radix_sort_onesweep_sort_config_static_selectorELNS0_4arch9wavefront6targetE1EEEvSG_,"axG",@progbits,_ZN7rocprim17ROCPRIM_400000_NS6detail17trampoline_kernelINS0_14default_configENS1_35radix_sort_onesweep_config_selectorIhlEEZZNS1_29radix_sort_onesweep_iterationIS3_Lb0EPhS7_N6thrust23THRUST_200600_302600_NS10device_ptrIlEESB_jNS0_19identity_decomposerENS1_16block_id_wrapperIjLb1EEEEE10hipError_tT1_PNSt15iterator_traitsISG_E10value_typeET2_T3_PNSH_ISM_E10value_typeET4_T5_PSR_SS_PNS1_23onesweep_lookback_stateEbbT6_jjT7_P12ihipStream_tbENKUlT_T0_SG_SL_E_clIS7_S7_SB_SB_EEDaSZ_S10_SG_SL_EUlSZ_E_NS1_11comp_targetILNS1_3genE9ELNS1_11target_archE1100ELNS1_3gpuE3ELNS1_3repE0EEENS1_47radix_sort_onesweep_sort_config_static_selectorELNS0_4arch9wavefront6targetE1EEEvSG_,comdat
.Lfunc_end271:
	.size	_ZN7rocprim17ROCPRIM_400000_NS6detail17trampoline_kernelINS0_14default_configENS1_35radix_sort_onesweep_config_selectorIhlEEZZNS1_29radix_sort_onesweep_iterationIS3_Lb0EPhS7_N6thrust23THRUST_200600_302600_NS10device_ptrIlEESB_jNS0_19identity_decomposerENS1_16block_id_wrapperIjLb1EEEEE10hipError_tT1_PNSt15iterator_traitsISG_E10value_typeET2_T3_PNSH_ISM_E10value_typeET4_T5_PSR_SS_PNS1_23onesweep_lookback_stateEbbT6_jjT7_P12ihipStream_tbENKUlT_T0_SG_SL_E_clIS7_S7_SB_SB_EEDaSZ_S10_SG_SL_EUlSZ_E_NS1_11comp_targetILNS1_3genE9ELNS1_11target_archE1100ELNS1_3gpuE3ELNS1_3repE0EEENS1_47radix_sort_onesweep_sort_config_static_selectorELNS0_4arch9wavefront6targetE1EEEvSG_, .Lfunc_end271-_ZN7rocprim17ROCPRIM_400000_NS6detail17trampoline_kernelINS0_14default_configENS1_35radix_sort_onesweep_config_selectorIhlEEZZNS1_29radix_sort_onesweep_iterationIS3_Lb0EPhS7_N6thrust23THRUST_200600_302600_NS10device_ptrIlEESB_jNS0_19identity_decomposerENS1_16block_id_wrapperIjLb1EEEEE10hipError_tT1_PNSt15iterator_traitsISG_E10value_typeET2_T3_PNSH_ISM_E10value_typeET4_T5_PSR_SS_PNS1_23onesweep_lookback_stateEbbT6_jjT7_P12ihipStream_tbENKUlT_T0_SG_SL_E_clIS7_S7_SB_SB_EEDaSZ_S10_SG_SL_EUlSZ_E_NS1_11comp_targetILNS1_3genE9ELNS1_11target_archE1100ELNS1_3gpuE3ELNS1_3repE0EEENS1_47radix_sort_onesweep_sort_config_static_selectorELNS0_4arch9wavefront6targetE1EEEvSG_
                                        ; -- End function
	.section	.AMDGPU.csdata,"",@progbits
; Kernel info:
; codeLenInByte = 0
; NumSgprs: 4
; NumVgprs: 0
; NumAgprs: 0
; TotalNumVgprs: 0
; ScratchSize: 0
; MemoryBound: 0
; FloatMode: 240
; IeeeMode: 1
; LDSByteSize: 0 bytes/workgroup (compile time only)
; SGPRBlocks: 0
; VGPRBlocks: 0
; NumSGPRsForWavesPerEU: 4
; NumVGPRsForWavesPerEU: 1
; AccumOffset: 4
; Occupancy: 8
; WaveLimiterHint : 0
; COMPUTE_PGM_RSRC2:SCRATCH_EN: 0
; COMPUTE_PGM_RSRC2:USER_SGPR: 6
; COMPUTE_PGM_RSRC2:TRAP_HANDLER: 0
; COMPUTE_PGM_RSRC2:TGID_X_EN: 1
; COMPUTE_PGM_RSRC2:TGID_Y_EN: 0
; COMPUTE_PGM_RSRC2:TGID_Z_EN: 0
; COMPUTE_PGM_RSRC2:TIDIG_COMP_CNT: 0
; COMPUTE_PGM_RSRC3_GFX90A:ACCUM_OFFSET: 0
; COMPUTE_PGM_RSRC3_GFX90A:TG_SPLIT: 0
	.section	.text._ZN7rocprim17ROCPRIM_400000_NS6detail17trampoline_kernelINS0_14default_configENS1_35radix_sort_onesweep_config_selectorIhlEEZZNS1_29radix_sort_onesweep_iterationIS3_Lb0EPhS7_N6thrust23THRUST_200600_302600_NS10device_ptrIlEESB_jNS0_19identity_decomposerENS1_16block_id_wrapperIjLb1EEEEE10hipError_tT1_PNSt15iterator_traitsISG_E10value_typeET2_T3_PNSH_ISM_E10value_typeET4_T5_PSR_SS_PNS1_23onesweep_lookback_stateEbbT6_jjT7_P12ihipStream_tbENKUlT_T0_SG_SL_E_clIS7_S7_SB_SB_EEDaSZ_S10_SG_SL_EUlSZ_E_NS1_11comp_targetILNS1_3genE8ELNS1_11target_archE1030ELNS1_3gpuE2ELNS1_3repE0EEENS1_47radix_sort_onesweep_sort_config_static_selectorELNS0_4arch9wavefront6targetE1EEEvSG_,"axG",@progbits,_ZN7rocprim17ROCPRIM_400000_NS6detail17trampoline_kernelINS0_14default_configENS1_35radix_sort_onesweep_config_selectorIhlEEZZNS1_29radix_sort_onesweep_iterationIS3_Lb0EPhS7_N6thrust23THRUST_200600_302600_NS10device_ptrIlEESB_jNS0_19identity_decomposerENS1_16block_id_wrapperIjLb1EEEEE10hipError_tT1_PNSt15iterator_traitsISG_E10value_typeET2_T3_PNSH_ISM_E10value_typeET4_T5_PSR_SS_PNS1_23onesweep_lookback_stateEbbT6_jjT7_P12ihipStream_tbENKUlT_T0_SG_SL_E_clIS7_S7_SB_SB_EEDaSZ_S10_SG_SL_EUlSZ_E_NS1_11comp_targetILNS1_3genE8ELNS1_11target_archE1030ELNS1_3gpuE2ELNS1_3repE0EEENS1_47radix_sort_onesweep_sort_config_static_selectorELNS0_4arch9wavefront6targetE1EEEvSG_,comdat
	.protected	_ZN7rocprim17ROCPRIM_400000_NS6detail17trampoline_kernelINS0_14default_configENS1_35radix_sort_onesweep_config_selectorIhlEEZZNS1_29radix_sort_onesweep_iterationIS3_Lb0EPhS7_N6thrust23THRUST_200600_302600_NS10device_ptrIlEESB_jNS0_19identity_decomposerENS1_16block_id_wrapperIjLb1EEEEE10hipError_tT1_PNSt15iterator_traitsISG_E10value_typeET2_T3_PNSH_ISM_E10value_typeET4_T5_PSR_SS_PNS1_23onesweep_lookback_stateEbbT6_jjT7_P12ihipStream_tbENKUlT_T0_SG_SL_E_clIS7_S7_SB_SB_EEDaSZ_S10_SG_SL_EUlSZ_E_NS1_11comp_targetILNS1_3genE8ELNS1_11target_archE1030ELNS1_3gpuE2ELNS1_3repE0EEENS1_47radix_sort_onesweep_sort_config_static_selectorELNS0_4arch9wavefront6targetE1EEEvSG_ ; -- Begin function _ZN7rocprim17ROCPRIM_400000_NS6detail17trampoline_kernelINS0_14default_configENS1_35radix_sort_onesweep_config_selectorIhlEEZZNS1_29radix_sort_onesweep_iterationIS3_Lb0EPhS7_N6thrust23THRUST_200600_302600_NS10device_ptrIlEESB_jNS0_19identity_decomposerENS1_16block_id_wrapperIjLb1EEEEE10hipError_tT1_PNSt15iterator_traitsISG_E10value_typeET2_T3_PNSH_ISM_E10value_typeET4_T5_PSR_SS_PNS1_23onesweep_lookback_stateEbbT6_jjT7_P12ihipStream_tbENKUlT_T0_SG_SL_E_clIS7_S7_SB_SB_EEDaSZ_S10_SG_SL_EUlSZ_E_NS1_11comp_targetILNS1_3genE8ELNS1_11target_archE1030ELNS1_3gpuE2ELNS1_3repE0EEENS1_47radix_sort_onesweep_sort_config_static_selectorELNS0_4arch9wavefront6targetE1EEEvSG_
	.globl	_ZN7rocprim17ROCPRIM_400000_NS6detail17trampoline_kernelINS0_14default_configENS1_35radix_sort_onesweep_config_selectorIhlEEZZNS1_29radix_sort_onesweep_iterationIS3_Lb0EPhS7_N6thrust23THRUST_200600_302600_NS10device_ptrIlEESB_jNS0_19identity_decomposerENS1_16block_id_wrapperIjLb1EEEEE10hipError_tT1_PNSt15iterator_traitsISG_E10value_typeET2_T3_PNSH_ISM_E10value_typeET4_T5_PSR_SS_PNS1_23onesweep_lookback_stateEbbT6_jjT7_P12ihipStream_tbENKUlT_T0_SG_SL_E_clIS7_S7_SB_SB_EEDaSZ_S10_SG_SL_EUlSZ_E_NS1_11comp_targetILNS1_3genE8ELNS1_11target_archE1030ELNS1_3gpuE2ELNS1_3repE0EEENS1_47radix_sort_onesweep_sort_config_static_selectorELNS0_4arch9wavefront6targetE1EEEvSG_
	.p2align	8
	.type	_ZN7rocprim17ROCPRIM_400000_NS6detail17trampoline_kernelINS0_14default_configENS1_35radix_sort_onesweep_config_selectorIhlEEZZNS1_29radix_sort_onesweep_iterationIS3_Lb0EPhS7_N6thrust23THRUST_200600_302600_NS10device_ptrIlEESB_jNS0_19identity_decomposerENS1_16block_id_wrapperIjLb1EEEEE10hipError_tT1_PNSt15iterator_traitsISG_E10value_typeET2_T3_PNSH_ISM_E10value_typeET4_T5_PSR_SS_PNS1_23onesweep_lookback_stateEbbT6_jjT7_P12ihipStream_tbENKUlT_T0_SG_SL_E_clIS7_S7_SB_SB_EEDaSZ_S10_SG_SL_EUlSZ_E_NS1_11comp_targetILNS1_3genE8ELNS1_11target_archE1030ELNS1_3gpuE2ELNS1_3repE0EEENS1_47radix_sort_onesweep_sort_config_static_selectorELNS0_4arch9wavefront6targetE1EEEvSG_,@function
_ZN7rocprim17ROCPRIM_400000_NS6detail17trampoline_kernelINS0_14default_configENS1_35radix_sort_onesweep_config_selectorIhlEEZZNS1_29radix_sort_onesweep_iterationIS3_Lb0EPhS7_N6thrust23THRUST_200600_302600_NS10device_ptrIlEESB_jNS0_19identity_decomposerENS1_16block_id_wrapperIjLb1EEEEE10hipError_tT1_PNSt15iterator_traitsISG_E10value_typeET2_T3_PNSH_ISM_E10value_typeET4_T5_PSR_SS_PNS1_23onesweep_lookback_stateEbbT6_jjT7_P12ihipStream_tbENKUlT_T0_SG_SL_E_clIS7_S7_SB_SB_EEDaSZ_S10_SG_SL_EUlSZ_E_NS1_11comp_targetILNS1_3genE8ELNS1_11target_archE1030ELNS1_3gpuE2ELNS1_3repE0EEENS1_47radix_sort_onesweep_sort_config_static_selectorELNS0_4arch9wavefront6targetE1EEEvSG_: ; @_ZN7rocprim17ROCPRIM_400000_NS6detail17trampoline_kernelINS0_14default_configENS1_35radix_sort_onesweep_config_selectorIhlEEZZNS1_29radix_sort_onesweep_iterationIS3_Lb0EPhS7_N6thrust23THRUST_200600_302600_NS10device_ptrIlEESB_jNS0_19identity_decomposerENS1_16block_id_wrapperIjLb1EEEEE10hipError_tT1_PNSt15iterator_traitsISG_E10value_typeET2_T3_PNSH_ISM_E10value_typeET4_T5_PSR_SS_PNS1_23onesweep_lookback_stateEbbT6_jjT7_P12ihipStream_tbENKUlT_T0_SG_SL_E_clIS7_S7_SB_SB_EEDaSZ_S10_SG_SL_EUlSZ_E_NS1_11comp_targetILNS1_3genE8ELNS1_11target_archE1030ELNS1_3gpuE2ELNS1_3repE0EEENS1_47radix_sort_onesweep_sort_config_static_selectorELNS0_4arch9wavefront6targetE1EEEvSG_
; %bb.0:
	.section	.rodata,"a",@progbits
	.p2align	6, 0x0
	.amdhsa_kernel _ZN7rocprim17ROCPRIM_400000_NS6detail17trampoline_kernelINS0_14default_configENS1_35radix_sort_onesweep_config_selectorIhlEEZZNS1_29radix_sort_onesweep_iterationIS3_Lb0EPhS7_N6thrust23THRUST_200600_302600_NS10device_ptrIlEESB_jNS0_19identity_decomposerENS1_16block_id_wrapperIjLb1EEEEE10hipError_tT1_PNSt15iterator_traitsISG_E10value_typeET2_T3_PNSH_ISM_E10value_typeET4_T5_PSR_SS_PNS1_23onesweep_lookback_stateEbbT6_jjT7_P12ihipStream_tbENKUlT_T0_SG_SL_E_clIS7_S7_SB_SB_EEDaSZ_S10_SG_SL_EUlSZ_E_NS1_11comp_targetILNS1_3genE8ELNS1_11target_archE1030ELNS1_3gpuE2ELNS1_3repE0EEENS1_47radix_sort_onesweep_sort_config_static_selectorELNS0_4arch9wavefront6targetE1EEEvSG_
		.amdhsa_group_segment_fixed_size 0
		.amdhsa_private_segment_fixed_size 0
		.amdhsa_kernarg_size 88
		.amdhsa_user_sgpr_count 6
		.amdhsa_user_sgpr_private_segment_buffer 1
		.amdhsa_user_sgpr_dispatch_ptr 0
		.amdhsa_user_sgpr_queue_ptr 0
		.amdhsa_user_sgpr_kernarg_segment_ptr 1
		.amdhsa_user_sgpr_dispatch_id 0
		.amdhsa_user_sgpr_flat_scratch_init 0
		.amdhsa_user_sgpr_kernarg_preload_length 0
		.amdhsa_user_sgpr_kernarg_preload_offset 0
		.amdhsa_user_sgpr_private_segment_size 0
		.amdhsa_uses_dynamic_stack 0
		.amdhsa_system_sgpr_private_segment_wavefront_offset 0
		.amdhsa_system_sgpr_workgroup_id_x 1
		.amdhsa_system_sgpr_workgroup_id_y 0
		.amdhsa_system_sgpr_workgroup_id_z 0
		.amdhsa_system_sgpr_workgroup_info 0
		.amdhsa_system_vgpr_workitem_id 0
		.amdhsa_next_free_vgpr 1
		.amdhsa_next_free_sgpr 0
		.amdhsa_accum_offset 4
		.amdhsa_reserve_vcc 0
		.amdhsa_reserve_flat_scratch 0
		.amdhsa_float_round_mode_32 0
		.amdhsa_float_round_mode_16_64 0
		.amdhsa_float_denorm_mode_32 3
		.amdhsa_float_denorm_mode_16_64 3
		.amdhsa_dx10_clamp 1
		.amdhsa_ieee_mode 1
		.amdhsa_fp16_overflow 0
		.amdhsa_tg_split 0
		.amdhsa_exception_fp_ieee_invalid_op 0
		.amdhsa_exception_fp_denorm_src 0
		.amdhsa_exception_fp_ieee_div_zero 0
		.amdhsa_exception_fp_ieee_overflow 0
		.amdhsa_exception_fp_ieee_underflow 0
		.amdhsa_exception_fp_ieee_inexact 0
		.amdhsa_exception_int_div_zero 0
	.end_amdhsa_kernel
	.section	.text._ZN7rocprim17ROCPRIM_400000_NS6detail17trampoline_kernelINS0_14default_configENS1_35radix_sort_onesweep_config_selectorIhlEEZZNS1_29radix_sort_onesweep_iterationIS3_Lb0EPhS7_N6thrust23THRUST_200600_302600_NS10device_ptrIlEESB_jNS0_19identity_decomposerENS1_16block_id_wrapperIjLb1EEEEE10hipError_tT1_PNSt15iterator_traitsISG_E10value_typeET2_T3_PNSH_ISM_E10value_typeET4_T5_PSR_SS_PNS1_23onesweep_lookback_stateEbbT6_jjT7_P12ihipStream_tbENKUlT_T0_SG_SL_E_clIS7_S7_SB_SB_EEDaSZ_S10_SG_SL_EUlSZ_E_NS1_11comp_targetILNS1_3genE8ELNS1_11target_archE1030ELNS1_3gpuE2ELNS1_3repE0EEENS1_47radix_sort_onesweep_sort_config_static_selectorELNS0_4arch9wavefront6targetE1EEEvSG_,"axG",@progbits,_ZN7rocprim17ROCPRIM_400000_NS6detail17trampoline_kernelINS0_14default_configENS1_35radix_sort_onesweep_config_selectorIhlEEZZNS1_29radix_sort_onesweep_iterationIS3_Lb0EPhS7_N6thrust23THRUST_200600_302600_NS10device_ptrIlEESB_jNS0_19identity_decomposerENS1_16block_id_wrapperIjLb1EEEEE10hipError_tT1_PNSt15iterator_traitsISG_E10value_typeET2_T3_PNSH_ISM_E10value_typeET4_T5_PSR_SS_PNS1_23onesweep_lookback_stateEbbT6_jjT7_P12ihipStream_tbENKUlT_T0_SG_SL_E_clIS7_S7_SB_SB_EEDaSZ_S10_SG_SL_EUlSZ_E_NS1_11comp_targetILNS1_3genE8ELNS1_11target_archE1030ELNS1_3gpuE2ELNS1_3repE0EEENS1_47radix_sort_onesweep_sort_config_static_selectorELNS0_4arch9wavefront6targetE1EEEvSG_,comdat
.Lfunc_end272:
	.size	_ZN7rocprim17ROCPRIM_400000_NS6detail17trampoline_kernelINS0_14default_configENS1_35radix_sort_onesweep_config_selectorIhlEEZZNS1_29radix_sort_onesweep_iterationIS3_Lb0EPhS7_N6thrust23THRUST_200600_302600_NS10device_ptrIlEESB_jNS0_19identity_decomposerENS1_16block_id_wrapperIjLb1EEEEE10hipError_tT1_PNSt15iterator_traitsISG_E10value_typeET2_T3_PNSH_ISM_E10value_typeET4_T5_PSR_SS_PNS1_23onesweep_lookback_stateEbbT6_jjT7_P12ihipStream_tbENKUlT_T0_SG_SL_E_clIS7_S7_SB_SB_EEDaSZ_S10_SG_SL_EUlSZ_E_NS1_11comp_targetILNS1_3genE8ELNS1_11target_archE1030ELNS1_3gpuE2ELNS1_3repE0EEENS1_47radix_sort_onesweep_sort_config_static_selectorELNS0_4arch9wavefront6targetE1EEEvSG_, .Lfunc_end272-_ZN7rocprim17ROCPRIM_400000_NS6detail17trampoline_kernelINS0_14default_configENS1_35radix_sort_onesweep_config_selectorIhlEEZZNS1_29radix_sort_onesweep_iterationIS3_Lb0EPhS7_N6thrust23THRUST_200600_302600_NS10device_ptrIlEESB_jNS0_19identity_decomposerENS1_16block_id_wrapperIjLb1EEEEE10hipError_tT1_PNSt15iterator_traitsISG_E10value_typeET2_T3_PNSH_ISM_E10value_typeET4_T5_PSR_SS_PNS1_23onesweep_lookback_stateEbbT6_jjT7_P12ihipStream_tbENKUlT_T0_SG_SL_E_clIS7_S7_SB_SB_EEDaSZ_S10_SG_SL_EUlSZ_E_NS1_11comp_targetILNS1_3genE8ELNS1_11target_archE1030ELNS1_3gpuE2ELNS1_3repE0EEENS1_47radix_sort_onesweep_sort_config_static_selectorELNS0_4arch9wavefront6targetE1EEEvSG_
                                        ; -- End function
	.section	.AMDGPU.csdata,"",@progbits
; Kernel info:
; codeLenInByte = 0
; NumSgprs: 4
; NumVgprs: 0
; NumAgprs: 0
; TotalNumVgprs: 0
; ScratchSize: 0
; MemoryBound: 0
; FloatMode: 240
; IeeeMode: 1
; LDSByteSize: 0 bytes/workgroup (compile time only)
; SGPRBlocks: 0
; VGPRBlocks: 0
; NumSGPRsForWavesPerEU: 4
; NumVGPRsForWavesPerEU: 1
; AccumOffset: 4
; Occupancy: 8
; WaveLimiterHint : 0
; COMPUTE_PGM_RSRC2:SCRATCH_EN: 0
; COMPUTE_PGM_RSRC2:USER_SGPR: 6
; COMPUTE_PGM_RSRC2:TRAP_HANDLER: 0
; COMPUTE_PGM_RSRC2:TGID_X_EN: 1
; COMPUTE_PGM_RSRC2:TGID_Y_EN: 0
; COMPUTE_PGM_RSRC2:TGID_Z_EN: 0
; COMPUTE_PGM_RSRC2:TIDIG_COMP_CNT: 0
; COMPUTE_PGM_RSRC3_GFX90A:ACCUM_OFFSET: 0
; COMPUTE_PGM_RSRC3_GFX90A:TG_SPLIT: 0
	.section	.text._ZN7rocprim17ROCPRIM_400000_NS6detail17trampoline_kernelINS0_14default_configENS1_35radix_sort_onesweep_config_selectorIhlEEZZNS1_29radix_sort_onesweep_iterationIS3_Lb0EPhS7_N6thrust23THRUST_200600_302600_NS10device_ptrIlEESB_jNS0_19identity_decomposerENS1_16block_id_wrapperIjLb1EEEEE10hipError_tT1_PNSt15iterator_traitsISG_E10value_typeET2_T3_PNSH_ISM_E10value_typeET4_T5_PSR_SS_PNS1_23onesweep_lookback_stateEbbT6_jjT7_P12ihipStream_tbENKUlT_T0_SG_SL_E_clIS7_S7_SB_PlEEDaSZ_S10_SG_SL_EUlSZ_E_NS1_11comp_targetILNS1_3genE0ELNS1_11target_archE4294967295ELNS1_3gpuE0ELNS1_3repE0EEENS1_47radix_sort_onesweep_sort_config_static_selectorELNS0_4arch9wavefront6targetE1EEEvSG_,"axG",@progbits,_ZN7rocprim17ROCPRIM_400000_NS6detail17trampoline_kernelINS0_14default_configENS1_35radix_sort_onesweep_config_selectorIhlEEZZNS1_29radix_sort_onesweep_iterationIS3_Lb0EPhS7_N6thrust23THRUST_200600_302600_NS10device_ptrIlEESB_jNS0_19identity_decomposerENS1_16block_id_wrapperIjLb1EEEEE10hipError_tT1_PNSt15iterator_traitsISG_E10value_typeET2_T3_PNSH_ISM_E10value_typeET4_T5_PSR_SS_PNS1_23onesweep_lookback_stateEbbT6_jjT7_P12ihipStream_tbENKUlT_T0_SG_SL_E_clIS7_S7_SB_PlEEDaSZ_S10_SG_SL_EUlSZ_E_NS1_11comp_targetILNS1_3genE0ELNS1_11target_archE4294967295ELNS1_3gpuE0ELNS1_3repE0EEENS1_47radix_sort_onesweep_sort_config_static_selectorELNS0_4arch9wavefront6targetE1EEEvSG_,comdat
	.protected	_ZN7rocprim17ROCPRIM_400000_NS6detail17trampoline_kernelINS0_14default_configENS1_35radix_sort_onesweep_config_selectorIhlEEZZNS1_29radix_sort_onesweep_iterationIS3_Lb0EPhS7_N6thrust23THRUST_200600_302600_NS10device_ptrIlEESB_jNS0_19identity_decomposerENS1_16block_id_wrapperIjLb1EEEEE10hipError_tT1_PNSt15iterator_traitsISG_E10value_typeET2_T3_PNSH_ISM_E10value_typeET4_T5_PSR_SS_PNS1_23onesweep_lookback_stateEbbT6_jjT7_P12ihipStream_tbENKUlT_T0_SG_SL_E_clIS7_S7_SB_PlEEDaSZ_S10_SG_SL_EUlSZ_E_NS1_11comp_targetILNS1_3genE0ELNS1_11target_archE4294967295ELNS1_3gpuE0ELNS1_3repE0EEENS1_47radix_sort_onesweep_sort_config_static_selectorELNS0_4arch9wavefront6targetE1EEEvSG_ ; -- Begin function _ZN7rocprim17ROCPRIM_400000_NS6detail17trampoline_kernelINS0_14default_configENS1_35radix_sort_onesweep_config_selectorIhlEEZZNS1_29radix_sort_onesweep_iterationIS3_Lb0EPhS7_N6thrust23THRUST_200600_302600_NS10device_ptrIlEESB_jNS0_19identity_decomposerENS1_16block_id_wrapperIjLb1EEEEE10hipError_tT1_PNSt15iterator_traitsISG_E10value_typeET2_T3_PNSH_ISM_E10value_typeET4_T5_PSR_SS_PNS1_23onesweep_lookback_stateEbbT6_jjT7_P12ihipStream_tbENKUlT_T0_SG_SL_E_clIS7_S7_SB_PlEEDaSZ_S10_SG_SL_EUlSZ_E_NS1_11comp_targetILNS1_3genE0ELNS1_11target_archE4294967295ELNS1_3gpuE0ELNS1_3repE0EEENS1_47radix_sort_onesweep_sort_config_static_selectorELNS0_4arch9wavefront6targetE1EEEvSG_
	.globl	_ZN7rocprim17ROCPRIM_400000_NS6detail17trampoline_kernelINS0_14default_configENS1_35radix_sort_onesweep_config_selectorIhlEEZZNS1_29radix_sort_onesweep_iterationIS3_Lb0EPhS7_N6thrust23THRUST_200600_302600_NS10device_ptrIlEESB_jNS0_19identity_decomposerENS1_16block_id_wrapperIjLb1EEEEE10hipError_tT1_PNSt15iterator_traitsISG_E10value_typeET2_T3_PNSH_ISM_E10value_typeET4_T5_PSR_SS_PNS1_23onesweep_lookback_stateEbbT6_jjT7_P12ihipStream_tbENKUlT_T0_SG_SL_E_clIS7_S7_SB_PlEEDaSZ_S10_SG_SL_EUlSZ_E_NS1_11comp_targetILNS1_3genE0ELNS1_11target_archE4294967295ELNS1_3gpuE0ELNS1_3repE0EEENS1_47radix_sort_onesweep_sort_config_static_selectorELNS0_4arch9wavefront6targetE1EEEvSG_
	.p2align	8
	.type	_ZN7rocprim17ROCPRIM_400000_NS6detail17trampoline_kernelINS0_14default_configENS1_35radix_sort_onesweep_config_selectorIhlEEZZNS1_29radix_sort_onesweep_iterationIS3_Lb0EPhS7_N6thrust23THRUST_200600_302600_NS10device_ptrIlEESB_jNS0_19identity_decomposerENS1_16block_id_wrapperIjLb1EEEEE10hipError_tT1_PNSt15iterator_traitsISG_E10value_typeET2_T3_PNSH_ISM_E10value_typeET4_T5_PSR_SS_PNS1_23onesweep_lookback_stateEbbT6_jjT7_P12ihipStream_tbENKUlT_T0_SG_SL_E_clIS7_S7_SB_PlEEDaSZ_S10_SG_SL_EUlSZ_E_NS1_11comp_targetILNS1_3genE0ELNS1_11target_archE4294967295ELNS1_3gpuE0ELNS1_3repE0EEENS1_47radix_sort_onesweep_sort_config_static_selectorELNS0_4arch9wavefront6targetE1EEEvSG_,@function
_ZN7rocprim17ROCPRIM_400000_NS6detail17trampoline_kernelINS0_14default_configENS1_35radix_sort_onesweep_config_selectorIhlEEZZNS1_29radix_sort_onesweep_iterationIS3_Lb0EPhS7_N6thrust23THRUST_200600_302600_NS10device_ptrIlEESB_jNS0_19identity_decomposerENS1_16block_id_wrapperIjLb1EEEEE10hipError_tT1_PNSt15iterator_traitsISG_E10value_typeET2_T3_PNSH_ISM_E10value_typeET4_T5_PSR_SS_PNS1_23onesweep_lookback_stateEbbT6_jjT7_P12ihipStream_tbENKUlT_T0_SG_SL_E_clIS7_S7_SB_PlEEDaSZ_S10_SG_SL_EUlSZ_E_NS1_11comp_targetILNS1_3genE0ELNS1_11target_archE4294967295ELNS1_3gpuE0ELNS1_3repE0EEENS1_47radix_sort_onesweep_sort_config_static_selectorELNS0_4arch9wavefront6targetE1EEEvSG_: ; @_ZN7rocprim17ROCPRIM_400000_NS6detail17trampoline_kernelINS0_14default_configENS1_35radix_sort_onesweep_config_selectorIhlEEZZNS1_29radix_sort_onesweep_iterationIS3_Lb0EPhS7_N6thrust23THRUST_200600_302600_NS10device_ptrIlEESB_jNS0_19identity_decomposerENS1_16block_id_wrapperIjLb1EEEEE10hipError_tT1_PNSt15iterator_traitsISG_E10value_typeET2_T3_PNSH_ISM_E10value_typeET4_T5_PSR_SS_PNS1_23onesweep_lookback_stateEbbT6_jjT7_P12ihipStream_tbENKUlT_T0_SG_SL_E_clIS7_S7_SB_PlEEDaSZ_S10_SG_SL_EUlSZ_E_NS1_11comp_targetILNS1_3genE0ELNS1_11target_archE4294967295ELNS1_3gpuE0ELNS1_3repE0EEENS1_47radix_sort_onesweep_sort_config_static_selectorELNS0_4arch9wavefront6targetE1EEEvSG_
; %bb.0:
	.section	.rodata,"a",@progbits
	.p2align	6, 0x0
	.amdhsa_kernel _ZN7rocprim17ROCPRIM_400000_NS6detail17trampoline_kernelINS0_14default_configENS1_35radix_sort_onesweep_config_selectorIhlEEZZNS1_29radix_sort_onesweep_iterationIS3_Lb0EPhS7_N6thrust23THRUST_200600_302600_NS10device_ptrIlEESB_jNS0_19identity_decomposerENS1_16block_id_wrapperIjLb1EEEEE10hipError_tT1_PNSt15iterator_traitsISG_E10value_typeET2_T3_PNSH_ISM_E10value_typeET4_T5_PSR_SS_PNS1_23onesweep_lookback_stateEbbT6_jjT7_P12ihipStream_tbENKUlT_T0_SG_SL_E_clIS7_S7_SB_PlEEDaSZ_S10_SG_SL_EUlSZ_E_NS1_11comp_targetILNS1_3genE0ELNS1_11target_archE4294967295ELNS1_3gpuE0ELNS1_3repE0EEENS1_47radix_sort_onesweep_sort_config_static_selectorELNS0_4arch9wavefront6targetE1EEEvSG_
		.amdhsa_group_segment_fixed_size 0
		.amdhsa_private_segment_fixed_size 0
		.amdhsa_kernarg_size 88
		.amdhsa_user_sgpr_count 6
		.amdhsa_user_sgpr_private_segment_buffer 1
		.amdhsa_user_sgpr_dispatch_ptr 0
		.amdhsa_user_sgpr_queue_ptr 0
		.amdhsa_user_sgpr_kernarg_segment_ptr 1
		.amdhsa_user_sgpr_dispatch_id 0
		.amdhsa_user_sgpr_flat_scratch_init 0
		.amdhsa_user_sgpr_kernarg_preload_length 0
		.amdhsa_user_sgpr_kernarg_preload_offset 0
		.amdhsa_user_sgpr_private_segment_size 0
		.amdhsa_uses_dynamic_stack 0
		.amdhsa_system_sgpr_private_segment_wavefront_offset 0
		.amdhsa_system_sgpr_workgroup_id_x 1
		.amdhsa_system_sgpr_workgroup_id_y 0
		.amdhsa_system_sgpr_workgroup_id_z 0
		.amdhsa_system_sgpr_workgroup_info 0
		.amdhsa_system_vgpr_workitem_id 0
		.amdhsa_next_free_vgpr 1
		.amdhsa_next_free_sgpr 0
		.amdhsa_accum_offset 4
		.amdhsa_reserve_vcc 0
		.amdhsa_reserve_flat_scratch 0
		.amdhsa_float_round_mode_32 0
		.amdhsa_float_round_mode_16_64 0
		.amdhsa_float_denorm_mode_32 3
		.amdhsa_float_denorm_mode_16_64 3
		.amdhsa_dx10_clamp 1
		.amdhsa_ieee_mode 1
		.amdhsa_fp16_overflow 0
		.amdhsa_tg_split 0
		.amdhsa_exception_fp_ieee_invalid_op 0
		.amdhsa_exception_fp_denorm_src 0
		.amdhsa_exception_fp_ieee_div_zero 0
		.amdhsa_exception_fp_ieee_overflow 0
		.amdhsa_exception_fp_ieee_underflow 0
		.amdhsa_exception_fp_ieee_inexact 0
		.amdhsa_exception_int_div_zero 0
	.end_amdhsa_kernel
	.section	.text._ZN7rocprim17ROCPRIM_400000_NS6detail17trampoline_kernelINS0_14default_configENS1_35radix_sort_onesweep_config_selectorIhlEEZZNS1_29radix_sort_onesweep_iterationIS3_Lb0EPhS7_N6thrust23THRUST_200600_302600_NS10device_ptrIlEESB_jNS0_19identity_decomposerENS1_16block_id_wrapperIjLb1EEEEE10hipError_tT1_PNSt15iterator_traitsISG_E10value_typeET2_T3_PNSH_ISM_E10value_typeET4_T5_PSR_SS_PNS1_23onesweep_lookback_stateEbbT6_jjT7_P12ihipStream_tbENKUlT_T0_SG_SL_E_clIS7_S7_SB_PlEEDaSZ_S10_SG_SL_EUlSZ_E_NS1_11comp_targetILNS1_3genE0ELNS1_11target_archE4294967295ELNS1_3gpuE0ELNS1_3repE0EEENS1_47radix_sort_onesweep_sort_config_static_selectorELNS0_4arch9wavefront6targetE1EEEvSG_,"axG",@progbits,_ZN7rocprim17ROCPRIM_400000_NS6detail17trampoline_kernelINS0_14default_configENS1_35radix_sort_onesweep_config_selectorIhlEEZZNS1_29radix_sort_onesweep_iterationIS3_Lb0EPhS7_N6thrust23THRUST_200600_302600_NS10device_ptrIlEESB_jNS0_19identity_decomposerENS1_16block_id_wrapperIjLb1EEEEE10hipError_tT1_PNSt15iterator_traitsISG_E10value_typeET2_T3_PNSH_ISM_E10value_typeET4_T5_PSR_SS_PNS1_23onesweep_lookback_stateEbbT6_jjT7_P12ihipStream_tbENKUlT_T0_SG_SL_E_clIS7_S7_SB_PlEEDaSZ_S10_SG_SL_EUlSZ_E_NS1_11comp_targetILNS1_3genE0ELNS1_11target_archE4294967295ELNS1_3gpuE0ELNS1_3repE0EEENS1_47radix_sort_onesweep_sort_config_static_selectorELNS0_4arch9wavefront6targetE1EEEvSG_,comdat
.Lfunc_end273:
	.size	_ZN7rocprim17ROCPRIM_400000_NS6detail17trampoline_kernelINS0_14default_configENS1_35radix_sort_onesweep_config_selectorIhlEEZZNS1_29radix_sort_onesweep_iterationIS3_Lb0EPhS7_N6thrust23THRUST_200600_302600_NS10device_ptrIlEESB_jNS0_19identity_decomposerENS1_16block_id_wrapperIjLb1EEEEE10hipError_tT1_PNSt15iterator_traitsISG_E10value_typeET2_T3_PNSH_ISM_E10value_typeET4_T5_PSR_SS_PNS1_23onesweep_lookback_stateEbbT6_jjT7_P12ihipStream_tbENKUlT_T0_SG_SL_E_clIS7_S7_SB_PlEEDaSZ_S10_SG_SL_EUlSZ_E_NS1_11comp_targetILNS1_3genE0ELNS1_11target_archE4294967295ELNS1_3gpuE0ELNS1_3repE0EEENS1_47radix_sort_onesweep_sort_config_static_selectorELNS0_4arch9wavefront6targetE1EEEvSG_, .Lfunc_end273-_ZN7rocprim17ROCPRIM_400000_NS6detail17trampoline_kernelINS0_14default_configENS1_35radix_sort_onesweep_config_selectorIhlEEZZNS1_29radix_sort_onesweep_iterationIS3_Lb0EPhS7_N6thrust23THRUST_200600_302600_NS10device_ptrIlEESB_jNS0_19identity_decomposerENS1_16block_id_wrapperIjLb1EEEEE10hipError_tT1_PNSt15iterator_traitsISG_E10value_typeET2_T3_PNSH_ISM_E10value_typeET4_T5_PSR_SS_PNS1_23onesweep_lookback_stateEbbT6_jjT7_P12ihipStream_tbENKUlT_T0_SG_SL_E_clIS7_S7_SB_PlEEDaSZ_S10_SG_SL_EUlSZ_E_NS1_11comp_targetILNS1_3genE0ELNS1_11target_archE4294967295ELNS1_3gpuE0ELNS1_3repE0EEENS1_47radix_sort_onesweep_sort_config_static_selectorELNS0_4arch9wavefront6targetE1EEEvSG_
                                        ; -- End function
	.section	.AMDGPU.csdata,"",@progbits
; Kernel info:
; codeLenInByte = 0
; NumSgprs: 4
; NumVgprs: 0
; NumAgprs: 0
; TotalNumVgprs: 0
; ScratchSize: 0
; MemoryBound: 0
; FloatMode: 240
; IeeeMode: 1
; LDSByteSize: 0 bytes/workgroup (compile time only)
; SGPRBlocks: 0
; VGPRBlocks: 0
; NumSGPRsForWavesPerEU: 4
; NumVGPRsForWavesPerEU: 1
; AccumOffset: 4
; Occupancy: 8
; WaveLimiterHint : 0
; COMPUTE_PGM_RSRC2:SCRATCH_EN: 0
; COMPUTE_PGM_RSRC2:USER_SGPR: 6
; COMPUTE_PGM_RSRC2:TRAP_HANDLER: 0
; COMPUTE_PGM_RSRC2:TGID_X_EN: 1
; COMPUTE_PGM_RSRC2:TGID_Y_EN: 0
; COMPUTE_PGM_RSRC2:TGID_Z_EN: 0
; COMPUTE_PGM_RSRC2:TIDIG_COMP_CNT: 0
; COMPUTE_PGM_RSRC3_GFX90A:ACCUM_OFFSET: 0
; COMPUTE_PGM_RSRC3_GFX90A:TG_SPLIT: 0
	.section	.text._ZN7rocprim17ROCPRIM_400000_NS6detail17trampoline_kernelINS0_14default_configENS1_35radix_sort_onesweep_config_selectorIhlEEZZNS1_29radix_sort_onesweep_iterationIS3_Lb0EPhS7_N6thrust23THRUST_200600_302600_NS10device_ptrIlEESB_jNS0_19identity_decomposerENS1_16block_id_wrapperIjLb1EEEEE10hipError_tT1_PNSt15iterator_traitsISG_E10value_typeET2_T3_PNSH_ISM_E10value_typeET4_T5_PSR_SS_PNS1_23onesweep_lookback_stateEbbT6_jjT7_P12ihipStream_tbENKUlT_T0_SG_SL_E_clIS7_S7_SB_PlEEDaSZ_S10_SG_SL_EUlSZ_E_NS1_11comp_targetILNS1_3genE6ELNS1_11target_archE950ELNS1_3gpuE13ELNS1_3repE0EEENS1_47radix_sort_onesweep_sort_config_static_selectorELNS0_4arch9wavefront6targetE1EEEvSG_,"axG",@progbits,_ZN7rocprim17ROCPRIM_400000_NS6detail17trampoline_kernelINS0_14default_configENS1_35radix_sort_onesweep_config_selectorIhlEEZZNS1_29radix_sort_onesweep_iterationIS3_Lb0EPhS7_N6thrust23THRUST_200600_302600_NS10device_ptrIlEESB_jNS0_19identity_decomposerENS1_16block_id_wrapperIjLb1EEEEE10hipError_tT1_PNSt15iterator_traitsISG_E10value_typeET2_T3_PNSH_ISM_E10value_typeET4_T5_PSR_SS_PNS1_23onesweep_lookback_stateEbbT6_jjT7_P12ihipStream_tbENKUlT_T0_SG_SL_E_clIS7_S7_SB_PlEEDaSZ_S10_SG_SL_EUlSZ_E_NS1_11comp_targetILNS1_3genE6ELNS1_11target_archE950ELNS1_3gpuE13ELNS1_3repE0EEENS1_47radix_sort_onesweep_sort_config_static_selectorELNS0_4arch9wavefront6targetE1EEEvSG_,comdat
	.protected	_ZN7rocprim17ROCPRIM_400000_NS6detail17trampoline_kernelINS0_14default_configENS1_35radix_sort_onesweep_config_selectorIhlEEZZNS1_29radix_sort_onesweep_iterationIS3_Lb0EPhS7_N6thrust23THRUST_200600_302600_NS10device_ptrIlEESB_jNS0_19identity_decomposerENS1_16block_id_wrapperIjLb1EEEEE10hipError_tT1_PNSt15iterator_traitsISG_E10value_typeET2_T3_PNSH_ISM_E10value_typeET4_T5_PSR_SS_PNS1_23onesweep_lookback_stateEbbT6_jjT7_P12ihipStream_tbENKUlT_T0_SG_SL_E_clIS7_S7_SB_PlEEDaSZ_S10_SG_SL_EUlSZ_E_NS1_11comp_targetILNS1_3genE6ELNS1_11target_archE950ELNS1_3gpuE13ELNS1_3repE0EEENS1_47radix_sort_onesweep_sort_config_static_selectorELNS0_4arch9wavefront6targetE1EEEvSG_ ; -- Begin function _ZN7rocprim17ROCPRIM_400000_NS6detail17trampoline_kernelINS0_14default_configENS1_35radix_sort_onesweep_config_selectorIhlEEZZNS1_29radix_sort_onesweep_iterationIS3_Lb0EPhS7_N6thrust23THRUST_200600_302600_NS10device_ptrIlEESB_jNS0_19identity_decomposerENS1_16block_id_wrapperIjLb1EEEEE10hipError_tT1_PNSt15iterator_traitsISG_E10value_typeET2_T3_PNSH_ISM_E10value_typeET4_T5_PSR_SS_PNS1_23onesweep_lookback_stateEbbT6_jjT7_P12ihipStream_tbENKUlT_T0_SG_SL_E_clIS7_S7_SB_PlEEDaSZ_S10_SG_SL_EUlSZ_E_NS1_11comp_targetILNS1_3genE6ELNS1_11target_archE950ELNS1_3gpuE13ELNS1_3repE0EEENS1_47radix_sort_onesweep_sort_config_static_selectorELNS0_4arch9wavefront6targetE1EEEvSG_
	.globl	_ZN7rocprim17ROCPRIM_400000_NS6detail17trampoline_kernelINS0_14default_configENS1_35radix_sort_onesweep_config_selectorIhlEEZZNS1_29radix_sort_onesweep_iterationIS3_Lb0EPhS7_N6thrust23THRUST_200600_302600_NS10device_ptrIlEESB_jNS0_19identity_decomposerENS1_16block_id_wrapperIjLb1EEEEE10hipError_tT1_PNSt15iterator_traitsISG_E10value_typeET2_T3_PNSH_ISM_E10value_typeET4_T5_PSR_SS_PNS1_23onesweep_lookback_stateEbbT6_jjT7_P12ihipStream_tbENKUlT_T0_SG_SL_E_clIS7_S7_SB_PlEEDaSZ_S10_SG_SL_EUlSZ_E_NS1_11comp_targetILNS1_3genE6ELNS1_11target_archE950ELNS1_3gpuE13ELNS1_3repE0EEENS1_47radix_sort_onesweep_sort_config_static_selectorELNS0_4arch9wavefront6targetE1EEEvSG_
	.p2align	8
	.type	_ZN7rocprim17ROCPRIM_400000_NS6detail17trampoline_kernelINS0_14default_configENS1_35radix_sort_onesweep_config_selectorIhlEEZZNS1_29radix_sort_onesweep_iterationIS3_Lb0EPhS7_N6thrust23THRUST_200600_302600_NS10device_ptrIlEESB_jNS0_19identity_decomposerENS1_16block_id_wrapperIjLb1EEEEE10hipError_tT1_PNSt15iterator_traitsISG_E10value_typeET2_T3_PNSH_ISM_E10value_typeET4_T5_PSR_SS_PNS1_23onesweep_lookback_stateEbbT6_jjT7_P12ihipStream_tbENKUlT_T0_SG_SL_E_clIS7_S7_SB_PlEEDaSZ_S10_SG_SL_EUlSZ_E_NS1_11comp_targetILNS1_3genE6ELNS1_11target_archE950ELNS1_3gpuE13ELNS1_3repE0EEENS1_47radix_sort_onesweep_sort_config_static_selectorELNS0_4arch9wavefront6targetE1EEEvSG_,@function
_ZN7rocprim17ROCPRIM_400000_NS6detail17trampoline_kernelINS0_14default_configENS1_35radix_sort_onesweep_config_selectorIhlEEZZNS1_29radix_sort_onesweep_iterationIS3_Lb0EPhS7_N6thrust23THRUST_200600_302600_NS10device_ptrIlEESB_jNS0_19identity_decomposerENS1_16block_id_wrapperIjLb1EEEEE10hipError_tT1_PNSt15iterator_traitsISG_E10value_typeET2_T3_PNSH_ISM_E10value_typeET4_T5_PSR_SS_PNS1_23onesweep_lookback_stateEbbT6_jjT7_P12ihipStream_tbENKUlT_T0_SG_SL_E_clIS7_S7_SB_PlEEDaSZ_S10_SG_SL_EUlSZ_E_NS1_11comp_targetILNS1_3genE6ELNS1_11target_archE950ELNS1_3gpuE13ELNS1_3repE0EEENS1_47radix_sort_onesweep_sort_config_static_selectorELNS0_4arch9wavefront6targetE1EEEvSG_: ; @_ZN7rocprim17ROCPRIM_400000_NS6detail17trampoline_kernelINS0_14default_configENS1_35radix_sort_onesweep_config_selectorIhlEEZZNS1_29radix_sort_onesweep_iterationIS3_Lb0EPhS7_N6thrust23THRUST_200600_302600_NS10device_ptrIlEESB_jNS0_19identity_decomposerENS1_16block_id_wrapperIjLb1EEEEE10hipError_tT1_PNSt15iterator_traitsISG_E10value_typeET2_T3_PNSH_ISM_E10value_typeET4_T5_PSR_SS_PNS1_23onesweep_lookback_stateEbbT6_jjT7_P12ihipStream_tbENKUlT_T0_SG_SL_E_clIS7_S7_SB_PlEEDaSZ_S10_SG_SL_EUlSZ_E_NS1_11comp_targetILNS1_3genE6ELNS1_11target_archE950ELNS1_3gpuE13ELNS1_3repE0EEENS1_47radix_sort_onesweep_sort_config_static_selectorELNS0_4arch9wavefront6targetE1EEEvSG_
; %bb.0:
	.section	.rodata,"a",@progbits
	.p2align	6, 0x0
	.amdhsa_kernel _ZN7rocprim17ROCPRIM_400000_NS6detail17trampoline_kernelINS0_14default_configENS1_35radix_sort_onesweep_config_selectorIhlEEZZNS1_29radix_sort_onesweep_iterationIS3_Lb0EPhS7_N6thrust23THRUST_200600_302600_NS10device_ptrIlEESB_jNS0_19identity_decomposerENS1_16block_id_wrapperIjLb1EEEEE10hipError_tT1_PNSt15iterator_traitsISG_E10value_typeET2_T3_PNSH_ISM_E10value_typeET4_T5_PSR_SS_PNS1_23onesweep_lookback_stateEbbT6_jjT7_P12ihipStream_tbENKUlT_T0_SG_SL_E_clIS7_S7_SB_PlEEDaSZ_S10_SG_SL_EUlSZ_E_NS1_11comp_targetILNS1_3genE6ELNS1_11target_archE950ELNS1_3gpuE13ELNS1_3repE0EEENS1_47radix_sort_onesweep_sort_config_static_selectorELNS0_4arch9wavefront6targetE1EEEvSG_
		.amdhsa_group_segment_fixed_size 0
		.amdhsa_private_segment_fixed_size 0
		.amdhsa_kernarg_size 88
		.amdhsa_user_sgpr_count 6
		.amdhsa_user_sgpr_private_segment_buffer 1
		.amdhsa_user_sgpr_dispatch_ptr 0
		.amdhsa_user_sgpr_queue_ptr 0
		.amdhsa_user_sgpr_kernarg_segment_ptr 1
		.amdhsa_user_sgpr_dispatch_id 0
		.amdhsa_user_sgpr_flat_scratch_init 0
		.amdhsa_user_sgpr_kernarg_preload_length 0
		.amdhsa_user_sgpr_kernarg_preload_offset 0
		.amdhsa_user_sgpr_private_segment_size 0
		.amdhsa_uses_dynamic_stack 0
		.amdhsa_system_sgpr_private_segment_wavefront_offset 0
		.amdhsa_system_sgpr_workgroup_id_x 1
		.amdhsa_system_sgpr_workgroup_id_y 0
		.amdhsa_system_sgpr_workgroup_id_z 0
		.amdhsa_system_sgpr_workgroup_info 0
		.amdhsa_system_vgpr_workitem_id 0
		.amdhsa_next_free_vgpr 1
		.amdhsa_next_free_sgpr 0
		.amdhsa_accum_offset 4
		.amdhsa_reserve_vcc 0
		.amdhsa_reserve_flat_scratch 0
		.amdhsa_float_round_mode_32 0
		.amdhsa_float_round_mode_16_64 0
		.amdhsa_float_denorm_mode_32 3
		.amdhsa_float_denorm_mode_16_64 3
		.amdhsa_dx10_clamp 1
		.amdhsa_ieee_mode 1
		.amdhsa_fp16_overflow 0
		.amdhsa_tg_split 0
		.amdhsa_exception_fp_ieee_invalid_op 0
		.amdhsa_exception_fp_denorm_src 0
		.amdhsa_exception_fp_ieee_div_zero 0
		.amdhsa_exception_fp_ieee_overflow 0
		.amdhsa_exception_fp_ieee_underflow 0
		.amdhsa_exception_fp_ieee_inexact 0
		.amdhsa_exception_int_div_zero 0
	.end_amdhsa_kernel
	.section	.text._ZN7rocprim17ROCPRIM_400000_NS6detail17trampoline_kernelINS0_14default_configENS1_35radix_sort_onesweep_config_selectorIhlEEZZNS1_29radix_sort_onesweep_iterationIS3_Lb0EPhS7_N6thrust23THRUST_200600_302600_NS10device_ptrIlEESB_jNS0_19identity_decomposerENS1_16block_id_wrapperIjLb1EEEEE10hipError_tT1_PNSt15iterator_traitsISG_E10value_typeET2_T3_PNSH_ISM_E10value_typeET4_T5_PSR_SS_PNS1_23onesweep_lookback_stateEbbT6_jjT7_P12ihipStream_tbENKUlT_T0_SG_SL_E_clIS7_S7_SB_PlEEDaSZ_S10_SG_SL_EUlSZ_E_NS1_11comp_targetILNS1_3genE6ELNS1_11target_archE950ELNS1_3gpuE13ELNS1_3repE0EEENS1_47radix_sort_onesweep_sort_config_static_selectorELNS0_4arch9wavefront6targetE1EEEvSG_,"axG",@progbits,_ZN7rocprim17ROCPRIM_400000_NS6detail17trampoline_kernelINS0_14default_configENS1_35radix_sort_onesweep_config_selectorIhlEEZZNS1_29radix_sort_onesweep_iterationIS3_Lb0EPhS7_N6thrust23THRUST_200600_302600_NS10device_ptrIlEESB_jNS0_19identity_decomposerENS1_16block_id_wrapperIjLb1EEEEE10hipError_tT1_PNSt15iterator_traitsISG_E10value_typeET2_T3_PNSH_ISM_E10value_typeET4_T5_PSR_SS_PNS1_23onesweep_lookback_stateEbbT6_jjT7_P12ihipStream_tbENKUlT_T0_SG_SL_E_clIS7_S7_SB_PlEEDaSZ_S10_SG_SL_EUlSZ_E_NS1_11comp_targetILNS1_3genE6ELNS1_11target_archE950ELNS1_3gpuE13ELNS1_3repE0EEENS1_47radix_sort_onesweep_sort_config_static_selectorELNS0_4arch9wavefront6targetE1EEEvSG_,comdat
.Lfunc_end274:
	.size	_ZN7rocprim17ROCPRIM_400000_NS6detail17trampoline_kernelINS0_14default_configENS1_35radix_sort_onesweep_config_selectorIhlEEZZNS1_29radix_sort_onesweep_iterationIS3_Lb0EPhS7_N6thrust23THRUST_200600_302600_NS10device_ptrIlEESB_jNS0_19identity_decomposerENS1_16block_id_wrapperIjLb1EEEEE10hipError_tT1_PNSt15iterator_traitsISG_E10value_typeET2_T3_PNSH_ISM_E10value_typeET4_T5_PSR_SS_PNS1_23onesweep_lookback_stateEbbT6_jjT7_P12ihipStream_tbENKUlT_T0_SG_SL_E_clIS7_S7_SB_PlEEDaSZ_S10_SG_SL_EUlSZ_E_NS1_11comp_targetILNS1_3genE6ELNS1_11target_archE950ELNS1_3gpuE13ELNS1_3repE0EEENS1_47radix_sort_onesweep_sort_config_static_selectorELNS0_4arch9wavefront6targetE1EEEvSG_, .Lfunc_end274-_ZN7rocprim17ROCPRIM_400000_NS6detail17trampoline_kernelINS0_14default_configENS1_35radix_sort_onesweep_config_selectorIhlEEZZNS1_29radix_sort_onesweep_iterationIS3_Lb0EPhS7_N6thrust23THRUST_200600_302600_NS10device_ptrIlEESB_jNS0_19identity_decomposerENS1_16block_id_wrapperIjLb1EEEEE10hipError_tT1_PNSt15iterator_traitsISG_E10value_typeET2_T3_PNSH_ISM_E10value_typeET4_T5_PSR_SS_PNS1_23onesweep_lookback_stateEbbT6_jjT7_P12ihipStream_tbENKUlT_T0_SG_SL_E_clIS7_S7_SB_PlEEDaSZ_S10_SG_SL_EUlSZ_E_NS1_11comp_targetILNS1_3genE6ELNS1_11target_archE950ELNS1_3gpuE13ELNS1_3repE0EEENS1_47radix_sort_onesweep_sort_config_static_selectorELNS0_4arch9wavefront6targetE1EEEvSG_
                                        ; -- End function
	.section	.AMDGPU.csdata,"",@progbits
; Kernel info:
; codeLenInByte = 0
; NumSgprs: 4
; NumVgprs: 0
; NumAgprs: 0
; TotalNumVgprs: 0
; ScratchSize: 0
; MemoryBound: 0
; FloatMode: 240
; IeeeMode: 1
; LDSByteSize: 0 bytes/workgroup (compile time only)
; SGPRBlocks: 0
; VGPRBlocks: 0
; NumSGPRsForWavesPerEU: 4
; NumVGPRsForWavesPerEU: 1
; AccumOffset: 4
; Occupancy: 8
; WaveLimiterHint : 0
; COMPUTE_PGM_RSRC2:SCRATCH_EN: 0
; COMPUTE_PGM_RSRC2:USER_SGPR: 6
; COMPUTE_PGM_RSRC2:TRAP_HANDLER: 0
; COMPUTE_PGM_RSRC2:TGID_X_EN: 1
; COMPUTE_PGM_RSRC2:TGID_Y_EN: 0
; COMPUTE_PGM_RSRC2:TGID_Z_EN: 0
; COMPUTE_PGM_RSRC2:TIDIG_COMP_CNT: 0
; COMPUTE_PGM_RSRC3_GFX90A:ACCUM_OFFSET: 0
; COMPUTE_PGM_RSRC3_GFX90A:TG_SPLIT: 0
	.section	.text._ZN7rocprim17ROCPRIM_400000_NS6detail17trampoline_kernelINS0_14default_configENS1_35radix_sort_onesweep_config_selectorIhlEEZZNS1_29radix_sort_onesweep_iterationIS3_Lb0EPhS7_N6thrust23THRUST_200600_302600_NS10device_ptrIlEESB_jNS0_19identity_decomposerENS1_16block_id_wrapperIjLb1EEEEE10hipError_tT1_PNSt15iterator_traitsISG_E10value_typeET2_T3_PNSH_ISM_E10value_typeET4_T5_PSR_SS_PNS1_23onesweep_lookback_stateEbbT6_jjT7_P12ihipStream_tbENKUlT_T0_SG_SL_E_clIS7_S7_SB_PlEEDaSZ_S10_SG_SL_EUlSZ_E_NS1_11comp_targetILNS1_3genE5ELNS1_11target_archE942ELNS1_3gpuE9ELNS1_3repE0EEENS1_47radix_sort_onesweep_sort_config_static_selectorELNS0_4arch9wavefront6targetE1EEEvSG_,"axG",@progbits,_ZN7rocprim17ROCPRIM_400000_NS6detail17trampoline_kernelINS0_14default_configENS1_35radix_sort_onesweep_config_selectorIhlEEZZNS1_29radix_sort_onesweep_iterationIS3_Lb0EPhS7_N6thrust23THRUST_200600_302600_NS10device_ptrIlEESB_jNS0_19identity_decomposerENS1_16block_id_wrapperIjLb1EEEEE10hipError_tT1_PNSt15iterator_traitsISG_E10value_typeET2_T3_PNSH_ISM_E10value_typeET4_T5_PSR_SS_PNS1_23onesweep_lookback_stateEbbT6_jjT7_P12ihipStream_tbENKUlT_T0_SG_SL_E_clIS7_S7_SB_PlEEDaSZ_S10_SG_SL_EUlSZ_E_NS1_11comp_targetILNS1_3genE5ELNS1_11target_archE942ELNS1_3gpuE9ELNS1_3repE0EEENS1_47radix_sort_onesweep_sort_config_static_selectorELNS0_4arch9wavefront6targetE1EEEvSG_,comdat
	.protected	_ZN7rocprim17ROCPRIM_400000_NS6detail17trampoline_kernelINS0_14default_configENS1_35radix_sort_onesweep_config_selectorIhlEEZZNS1_29radix_sort_onesweep_iterationIS3_Lb0EPhS7_N6thrust23THRUST_200600_302600_NS10device_ptrIlEESB_jNS0_19identity_decomposerENS1_16block_id_wrapperIjLb1EEEEE10hipError_tT1_PNSt15iterator_traitsISG_E10value_typeET2_T3_PNSH_ISM_E10value_typeET4_T5_PSR_SS_PNS1_23onesweep_lookback_stateEbbT6_jjT7_P12ihipStream_tbENKUlT_T0_SG_SL_E_clIS7_S7_SB_PlEEDaSZ_S10_SG_SL_EUlSZ_E_NS1_11comp_targetILNS1_3genE5ELNS1_11target_archE942ELNS1_3gpuE9ELNS1_3repE0EEENS1_47radix_sort_onesweep_sort_config_static_selectorELNS0_4arch9wavefront6targetE1EEEvSG_ ; -- Begin function _ZN7rocprim17ROCPRIM_400000_NS6detail17trampoline_kernelINS0_14default_configENS1_35radix_sort_onesweep_config_selectorIhlEEZZNS1_29radix_sort_onesweep_iterationIS3_Lb0EPhS7_N6thrust23THRUST_200600_302600_NS10device_ptrIlEESB_jNS0_19identity_decomposerENS1_16block_id_wrapperIjLb1EEEEE10hipError_tT1_PNSt15iterator_traitsISG_E10value_typeET2_T3_PNSH_ISM_E10value_typeET4_T5_PSR_SS_PNS1_23onesweep_lookback_stateEbbT6_jjT7_P12ihipStream_tbENKUlT_T0_SG_SL_E_clIS7_S7_SB_PlEEDaSZ_S10_SG_SL_EUlSZ_E_NS1_11comp_targetILNS1_3genE5ELNS1_11target_archE942ELNS1_3gpuE9ELNS1_3repE0EEENS1_47radix_sort_onesweep_sort_config_static_selectorELNS0_4arch9wavefront6targetE1EEEvSG_
	.globl	_ZN7rocprim17ROCPRIM_400000_NS6detail17trampoline_kernelINS0_14default_configENS1_35radix_sort_onesweep_config_selectorIhlEEZZNS1_29radix_sort_onesweep_iterationIS3_Lb0EPhS7_N6thrust23THRUST_200600_302600_NS10device_ptrIlEESB_jNS0_19identity_decomposerENS1_16block_id_wrapperIjLb1EEEEE10hipError_tT1_PNSt15iterator_traitsISG_E10value_typeET2_T3_PNSH_ISM_E10value_typeET4_T5_PSR_SS_PNS1_23onesweep_lookback_stateEbbT6_jjT7_P12ihipStream_tbENKUlT_T0_SG_SL_E_clIS7_S7_SB_PlEEDaSZ_S10_SG_SL_EUlSZ_E_NS1_11comp_targetILNS1_3genE5ELNS1_11target_archE942ELNS1_3gpuE9ELNS1_3repE0EEENS1_47radix_sort_onesweep_sort_config_static_selectorELNS0_4arch9wavefront6targetE1EEEvSG_
	.p2align	8
	.type	_ZN7rocprim17ROCPRIM_400000_NS6detail17trampoline_kernelINS0_14default_configENS1_35radix_sort_onesweep_config_selectorIhlEEZZNS1_29radix_sort_onesweep_iterationIS3_Lb0EPhS7_N6thrust23THRUST_200600_302600_NS10device_ptrIlEESB_jNS0_19identity_decomposerENS1_16block_id_wrapperIjLb1EEEEE10hipError_tT1_PNSt15iterator_traitsISG_E10value_typeET2_T3_PNSH_ISM_E10value_typeET4_T5_PSR_SS_PNS1_23onesweep_lookback_stateEbbT6_jjT7_P12ihipStream_tbENKUlT_T0_SG_SL_E_clIS7_S7_SB_PlEEDaSZ_S10_SG_SL_EUlSZ_E_NS1_11comp_targetILNS1_3genE5ELNS1_11target_archE942ELNS1_3gpuE9ELNS1_3repE0EEENS1_47radix_sort_onesweep_sort_config_static_selectorELNS0_4arch9wavefront6targetE1EEEvSG_,@function
_ZN7rocprim17ROCPRIM_400000_NS6detail17trampoline_kernelINS0_14default_configENS1_35radix_sort_onesweep_config_selectorIhlEEZZNS1_29radix_sort_onesweep_iterationIS3_Lb0EPhS7_N6thrust23THRUST_200600_302600_NS10device_ptrIlEESB_jNS0_19identity_decomposerENS1_16block_id_wrapperIjLb1EEEEE10hipError_tT1_PNSt15iterator_traitsISG_E10value_typeET2_T3_PNSH_ISM_E10value_typeET4_T5_PSR_SS_PNS1_23onesweep_lookback_stateEbbT6_jjT7_P12ihipStream_tbENKUlT_T0_SG_SL_E_clIS7_S7_SB_PlEEDaSZ_S10_SG_SL_EUlSZ_E_NS1_11comp_targetILNS1_3genE5ELNS1_11target_archE942ELNS1_3gpuE9ELNS1_3repE0EEENS1_47radix_sort_onesweep_sort_config_static_selectorELNS0_4arch9wavefront6targetE1EEEvSG_: ; @_ZN7rocprim17ROCPRIM_400000_NS6detail17trampoline_kernelINS0_14default_configENS1_35radix_sort_onesweep_config_selectorIhlEEZZNS1_29radix_sort_onesweep_iterationIS3_Lb0EPhS7_N6thrust23THRUST_200600_302600_NS10device_ptrIlEESB_jNS0_19identity_decomposerENS1_16block_id_wrapperIjLb1EEEEE10hipError_tT1_PNSt15iterator_traitsISG_E10value_typeET2_T3_PNSH_ISM_E10value_typeET4_T5_PSR_SS_PNS1_23onesweep_lookback_stateEbbT6_jjT7_P12ihipStream_tbENKUlT_T0_SG_SL_E_clIS7_S7_SB_PlEEDaSZ_S10_SG_SL_EUlSZ_E_NS1_11comp_targetILNS1_3genE5ELNS1_11target_archE942ELNS1_3gpuE9ELNS1_3repE0EEENS1_47radix_sort_onesweep_sort_config_static_selectorELNS0_4arch9wavefront6targetE1EEEvSG_
; %bb.0:
	.section	.rodata,"a",@progbits
	.p2align	6, 0x0
	.amdhsa_kernel _ZN7rocprim17ROCPRIM_400000_NS6detail17trampoline_kernelINS0_14default_configENS1_35radix_sort_onesweep_config_selectorIhlEEZZNS1_29radix_sort_onesweep_iterationIS3_Lb0EPhS7_N6thrust23THRUST_200600_302600_NS10device_ptrIlEESB_jNS0_19identity_decomposerENS1_16block_id_wrapperIjLb1EEEEE10hipError_tT1_PNSt15iterator_traitsISG_E10value_typeET2_T3_PNSH_ISM_E10value_typeET4_T5_PSR_SS_PNS1_23onesweep_lookback_stateEbbT6_jjT7_P12ihipStream_tbENKUlT_T0_SG_SL_E_clIS7_S7_SB_PlEEDaSZ_S10_SG_SL_EUlSZ_E_NS1_11comp_targetILNS1_3genE5ELNS1_11target_archE942ELNS1_3gpuE9ELNS1_3repE0EEENS1_47radix_sort_onesweep_sort_config_static_selectorELNS0_4arch9wavefront6targetE1EEEvSG_
		.amdhsa_group_segment_fixed_size 0
		.amdhsa_private_segment_fixed_size 0
		.amdhsa_kernarg_size 88
		.amdhsa_user_sgpr_count 6
		.amdhsa_user_sgpr_private_segment_buffer 1
		.amdhsa_user_sgpr_dispatch_ptr 0
		.amdhsa_user_sgpr_queue_ptr 0
		.amdhsa_user_sgpr_kernarg_segment_ptr 1
		.amdhsa_user_sgpr_dispatch_id 0
		.amdhsa_user_sgpr_flat_scratch_init 0
		.amdhsa_user_sgpr_kernarg_preload_length 0
		.amdhsa_user_sgpr_kernarg_preload_offset 0
		.amdhsa_user_sgpr_private_segment_size 0
		.amdhsa_uses_dynamic_stack 0
		.amdhsa_system_sgpr_private_segment_wavefront_offset 0
		.amdhsa_system_sgpr_workgroup_id_x 1
		.amdhsa_system_sgpr_workgroup_id_y 0
		.amdhsa_system_sgpr_workgroup_id_z 0
		.amdhsa_system_sgpr_workgroup_info 0
		.amdhsa_system_vgpr_workitem_id 0
		.amdhsa_next_free_vgpr 1
		.amdhsa_next_free_sgpr 0
		.amdhsa_accum_offset 4
		.amdhsa_reserve_vcc 0
		.amdhsa_reserve_flat_scratch 0
		.amdhsa_float_round_mode_32 0
		.amdhsa_float_round_mode_16_64 0
		.amdhsa_float_denorm_mode_32 3
		.amdhsa_float_denorm_mode_16_64 3
		.amdhsa_dx10_clamp 1
		.amdhsa_ieee_mode 1
		.amdhsa_fp16_overflow 0
		.amdhsa_tg_split 0
		.amdhsa_exception_fp_ieee_invalid_op 0
		.amdhsa_exception_fp_denorm_src 0
		.amdhsa_exception_fp_ieee_div_zero 0
		.amdhsa_exception_fp_ieee_overflow 0
		.amdhsa_exception_fp_ieee_underflow 0
		.amdhsa_exception_fp_ieee_inexact 0
		.amdhsa_exception_int_div_zero 0
	.end_amdhsa_kernel
	.section	.text._ZN7rocprim17ROCPRIM_400000_NS6detail17trampoline_kernelINS0_14default_configENS1_35radix_sort_onesweep_config_selectorIhlEEZZNS1_29radix_sort_onesweep_iterationIS3_Lb0EPhS7_N6thrust23THRUST_200600_302600_NS10device_ptrIlEESB_jNS0_19identity_decomposerENS1_16block_id_wrapperIjLb1EEEEE10hipError_tT1_PNSt15iterator_traitsISG_E10value_typeET2_T3_PNSH_ISM_E10value_typeET4_T5_PSR_SS_PNS1_23onesweep_lookback_stateEbbT6_jjT7_P12ihipStream_tbENKUlT_T0_SG_SL_E_clIS7_S7_SB_PlEEDaSZ_S10_SG_SL_EUlSZ_E_NS1_11comp_targetILNS1_3genE5ELNS1_11target_archE942ELNS1_3gpuE9ELNS1_3repE0EEENS1_47radix_sort_onesweep_sort_config_static_selectorELNS0_4arch9wavefront6targetE1EEEvSG_,"axG",@progbits,_ZN7rocprim17ROCPRIM_400000_NS6detail17trampoline_kernelINS0_14default_configENS1_35radix_sort_onesweep_config_selectorIhlEEZZNS1_29radix_sort_onesweep_iterationIS3_Lb0EPhS7_N6thrust23THRUST_200600_302600_NS10device_ptrIlEESB_jNS0_19identity_decomposerENS1_16block_id_wrapperIjLb1EEEEE10hipError_tT1_PNSt15iterator_traitsISG_E10value_typeET2_T3_PNSH_ISM_E10value_typeET4_T5_PSR_SS_PNS1_23onesweep_lookback_stateEbbT6_jjT7_P12ihipStream_tbENKUlT_T0_SG_SL_E_clIS7_S7_SB_PlEEDaSZ_S10_SG_SL_EUlSZ_E_NS1_11comp_targetILNS1_3genE5ELNS1_11target_archE942ELNS1_3gpuE9ELNS1_3repE0EEENS1_47radix_sort_onesweep_sort_config_static_selectorELNS0_4arch9wavefront6targetE1EEEvSG_,comdat
.Lfunc_end275:
	.size	_ZN7rocprim17ROCPRIM_400000_NS6detail17trampoline_kernelINS0_14default_configENS1_35radix_sort_onesweep_config_selectorIhlEEZZNS1_29radix_sort_onesweep_iterationIS3_Lb0EPhS7_N6thrust23THRUST_200600_302600_NS10device_ptrIlEESB_jNS0_19identity_decomposerENS1_16block_id_wrapperIjLb1EEEEE10hipError_tT1_PNSt15iterator_traitsISG_E10value_typeET2_T3_PNSH_ISM_E10value_typeET4_T5_PSR_SS_PNS1_23onesweep_lookback_stateEbbT6_jjT7_P12ihipStream_tbENKUlT_T0_SG_SL_E_clIS7_S7_SB_PlEEDaSZ_S10_SG_SL_EUlSZ_E_NS1_11comp_targetILNS1_3genE5ELNS1_11target_archE942ELNS1_3gpuE9ELNS1_3repE0EEENS1_47radix_sort_onesweep_sort_config_static_selectorELNS0_4arch9wavefront6targetE1EEEvSG_, .Lfunc_end275-_ZN7rocprim17ROCPRIM_400000_NS6detail17trampoline_kernelINS0_14default_configENS1_35radix_sort_onesweep_config_selectorIhlEEZZNS1_29radix_sort_onesweep_iterationIS3_Lb0EPhS7_N6thrust23THRUST_200600_302600_NS10device_ptrIlEESB_jNS0_19identity_decomposerENS1_16block_id_wrapperIjLb1EEEEE10hipError_tT1_PNSt15iterator_traitsISG_E10value_typeET2_T3_PNSH_ISM_E10value_typeET4_T5_PSR_SS_PNS1_23onesweep_lookback_stateEbbT6_jjT7_P12ihipStream_tbENKUlT_T0_SG_SL_E_clIS7_S7_SB_PlEEDaSZ_S10_SG_SL_EUlSZ_E_NS1_11comp_targetILNS1_3genE5ELNS1_11target_archE942ELNS1_3gpuE9ELNS1_3repE0EEENS1_47radix_sort_onesweep_sort_config_static_selectorELNS0_4arch9wavefront6targetE1EEEvSG_
                                        ; -- End function
	.section	.AMDGPU.csdata,"",@progbits
; Kernel info:
; codeLenInByte = 0
; NumSgprs: 4
; NumVgprs: 0
; NumAgprs: 0
; TotalNumVgprs: 0
; ScratchSize: 0
; MemoryBound: 0
; FloatMode: 240
; IeeeMode: 1
; LDSByteSize: 0 bytes/workgroup (compile time only)
; SGPRBlocks: 0
; VGPRBlocks: 0
; NumSGPRsForWavesPerEU: 4
; NumVGPRsForWavesPerEU: 1
; AccumOffset: 4
; Occupancy: 8
; WaveLimiterHint : 0
; COMPUTE_PGM_RSRC2:SCRATCH_EN: 0
; COMPUTE_PGM_RSRC2:USER_SGPR: 6
; COMPUTE_PGM_RSRC2:TRAP_HANDLER: 0
; COMPUTE_PGM_RSRC2:TGID_X_EN: 1
; COMPUTE_PGM_RSRC2:TGID_Y_EN: 0
; COMPUTE_PGM_RSRC2:TGID_Z_EN: 0
; COMPUTE_PGM_RSRC2:TIDIG_COMP_CNT: 0
; COMPUTE_PGM_RSRC3_GFX90A:ACCUM_OFFSET: 0
; COMPUTE_PGM_RSRC3_GFX90A:TG_SPLIT: 0
	.section	.text._ZN7rocprim17ROCPRIM_400000_NS6detail17trampoline_kernelINS0_14default_configENS1_35radix_sort_onesweep_config_selectorIhlEEZZNS1_29radix_sort_onesweep_iterationIS3_Lb0EPhS7_N6thrust23THRUST_200600_302600_NS10device_ptrIlEESB_jNS0_19identity_decomposerENS1_16block_id_wrapperIjLb1EEEEE10hipError_tT1_PNSt15iterator_traitsISG_E10value_typeET2_T3_PNSH_ISM_E10value_typeET4_T5_PSR_SS_PNS1_23onesweep_lookback_stateEbbT6_jjT7_P12ihipStream_tbENKUlT_T0_SG_SL_E_clIS7_S7_SB_PlEEDaSZ_S10_SG_SL_EUlSZ_E_NS1_11comp_targetILNS1_3genE2ELNS1_11target_archE906ELNS1_3gpuE6ELNS1_3repE0EEENS1_47radix_sort_onesweep_sort_config_static_selectorELNS0_4arch9wavefront6targetE1EEEvSG_,"axG",@progbits,_ZN7rocprim17ROCPRIM_400000_NS6detail17trampoline_kernelINS0_14default_configENS1_35radix_sort_onesweep_config_selectorIhlEEZZNS1_29radix_sort_onesweep_iterationIS3_Lb0EPhS7_N6thrust23THRUST_200600_302600_NS10device_ptrIlEESB_jNS0_19identity_decomposerENS1_16block_id_wrapperIjLb1EEEEE10hipError_tT1_PNSt15iterator_traitsISG_E10value_typeET2_T3_PNSH_ISM_E10value_typeET4_T5_PSR_SS_PNS1_23onesweep_lookback_stateEbbT6_jjT7_P12ihipStream_tbENKUlT_T0_SG_SL_E_clIS7_S7_SB_PlEEDaSZ_S10_SG_SL_EUlSZ_E_NS1_11comp_targetILNS1_3genE2ELNS1_11target_archE906ELNS1_3gpuE6ELNS1_3repE0EEENS1_47radix_sort_onesweep_sort_config_static_selectorELNS0_4arch9wavefront6targetE1EEEvSG_,comdat
	.protected	_ZN7rocprim17ROCPRIM_400000_NS6detail17trampoline_kernelINS0_14default_configENS1_35radix_sort_onesweep_config_selectorIhlEEZZNS1_29radix_sort_onesweep_iterationIS3_Lb0EPhS7_N6thrust23THRUST_200600_302600_NS10device_ptrIlEESB_jNS0_19identity_decomposerENS1_16block_id_wrapperIjLb1EEEEE10hipError_tT1_PNSt15iterator_traitsISG_E10value_typeET2_T3_PNSH_ISM_E10value_typeET4_T5_PSR_SS_PNS1_23onesweep_lookback_stateEbbT6_jjT7_P12ihipStream_tbENKUlT_T0_SG_SL_E_clIS7_S7_SB_PlEEDaSZ_S10_SG_SL_EUlSZ_E_NS1_11comp_targetILNS1_3genE2ELNS1_11target_archE906ELNS1_3gpuE6ELNS1_3repE0EEENS1_47radix_sort_onesweep_sort_config_static_selectorELNS0_4arch9wavefront6targetE1EEEvSG_ ; -- Begin function _ZN7rocprim17ROCPRIM_400000_NS6detail17trampoline_kernelINS0_14default_configENS1_35radix_sort_onesweep_config_selectorIhlEEZZNS1_29radix_sort_onesweep_iterationIS3_Lb0EPhS7_N6thrust23THRUST_200600_302600_NS10device_ptrIlEESB_jNS0_19identity_decomposerENS1_16block_id_wrapperIjLb1EEEEE10hipError_tT1_PNSt15iterator_traitsISG_E10value_typeET2_T3_PNSH_ISM_E10value_typeET4_T5_PSR_SS_PNS1_23onesweep_lookback_stateEbbT6_jjT7_P12ihipStream_tbENKUlT_T0_SG_SL_E_clIS7_S7_SB_PlEEDaSZ_S10_SG_SL_EUlSZ_E_NS1_11comp_targetILNS1_3genE2ELNS1_11target_archE906ELNS1_3gpuE6ELNS1_3repE0EEENS1_47radix_sort_onesweep_sort_config_static_selectorELNS0_4arch9wavefront6targetE1EEEvSG_
	.globl	_ZN7rocprim17ROCPRIM_400000_NS6detail17trampoline_kernelINS0_14default_configENS1_35radix_sort_onesweep_config_selectorIhlEEZZNS1_29radix_sort_onesweep_iterationIS3_Lb0EPhS7_N6thrust23THRUST_200600_302600_NS10device_ptrIlEESB_jNS0_19identity_decomposerENS1_16block_id_wrapperIjLb1EEEEE10hipError_tT1_PNSt15iterator_traitsISG_E10value_typeET2_T3_PNSH_ISM_E10value_typeET4_T5_PSR_SS_PNS1_23onesweep_lookback_stateEbbT6_jjT7_P12ihipStream_tbENKUlT_T0_SG_SL_E_clIS7_S7_SB_PlEEDaSZ_S10_SG_SL_EUlSZ_E_NS1_11comp_targetILNS1_3genE2ELNS1_11target_archE906ELNS1_3gpuE6ELNS1_3repE0EEENS1_47radix_sort_onesweep_sort_config_static_selectorELNS0_4arch9wavefront6targetE1EEEvSG_
	.p2align	8
	.type	_ZN7rocprim17ROCPRIM_400000_NS6detail17trampoline_kernelINS0_14default_configENS1_35radix_sort_onesweep_config_selectorIhlEEZZNS1_29radix_sort_onesweep_iterationIS3_Lb0EPhS7_N6thrust23THRUST_200600_302600_NS10device_ptrIlEESB_jNS0_19identity_decomposerENS1_16block_id_wrapperIjLb1EEEEE10hipError_tT1_PNSt15iterator_traitsISG_E10value_typeET2_T3_PNSH_ISM_E10value_typeET4_T5_PSR_SS_PNS1_23onesweep_lookback_stateEbbT6_jjT7_P12ihipStream_tbENKUlT_T0_SG_SL_E_clIS7_S7_SB_PlEEDaSZ_S10_SG_SL_EUlSZ_E_NS1_11comp_targetILNS1_3genE2ELNS1_11target_archE906ELNS1_3gpuE6ELNS1_3repE0EEENS1_47radix_sort_onesweep_sort_config_static_selectorELNS0_4arch9wavefront6targetE1EEEvSG_,@function
_ZN7rocprim17ROCPRIM_400000_NS6detail17trampoline_kernelINS0_14default_configENS1_35radix_sort_onesweep_config_selectorIhlEEZZNS1_29radix_sort_onesweep_iterationIS3_Lb0EPhS7_N6thrust23THRUST_200600_302600_NS10device_ptrIlEESB_jNS0_19identity_decomposerENS1_16block_id_wrapperIjLb1EEEEE10hipError_tT1_PNSt15iterator_traitsISG_E10value_typeET2_T3_PNSH_ISM_E10value_typeET4_T5_PSR_SS_PNS1_23onesweep_lookback_stateEbbT6_jjT7_P12ihipStream_tbENKUlT_T0_SG_SL_E_clIS7_S7_SB_PlEEDaSZ_S10_SG_SL_EUlSZ_E_NS1_11comp_targetILNS1_3genE2ELNS1_11target_archE906ELNS1_3gpuE6ELNS1_3repE0EEENS1_47radix_sort_onesweep_sort_config_static_selectorELNS0_4arch9wavefront6targetE1EEEvSG_: ; @_ZN7rocprim17ROCPRIM_400000_NS6detail17trampoline_kernelINS0_14default_configENS1_35radix_sort_onesweep_config_selectorIhlEEZZNS1_29radix_sort_onesweep_iterationIS3_Lb0EPhS7_N6thrust23THRUST_200600_302600_NS10device_ptrIlEESB_jNS0_19identity_decomposerENS1_16block_id_wrapperIjLb1EEEEE10hipError_tT1_PNSt15iterator_traitsISG_E10value_typeET2_T3_PNSH_ISM_E10value_typeET4_T5_PSR_SS_PNS1_23onesweep_lookback_stateEbbT6_jjT7_P12ihipStream_tbENKUlT_T0_SG_SL_E_clIS7_S7_SB_PlEEDaSZ_S10_SG_SL_EUlSZ_E_NS1_11comp_targetILNS1_3genE2ELNS1_11target_archE906ELNS1_3gpuE6ELNS1_3repE0EEENS1_47radix_sort_onesweep_sort_config_static_selectorELNS0_4arch9wavefront6targetE1EEEvSG_
; %bb.0:
	.section	.rodata,"a",@progbits
	.p2align	6, 0x0
	.amdhsa_kernel _ZN7rocprim17ROCPRIM_400000_NS6detail17trampoline_kernelINS0_14default_configENS1_35radix_sort_onesweep_config_selectorIhlEEZZNS1_29radix_sort_onesweep_iterationIS3_Lb0EPhS7_N6thrust23THRUST_200600_302600_NS10device_ptrIlEESB_jNS0_19identity_decomposerENS1_16block_id_wrapperIjLb1EEEEE10hipError_tT1_PNSt15iterator_traitsISG_E10value_typeET2_T3_PNSH_ISM_E10value_typeET4_T5_PSR_SS_PNS1_23onesweep_lookback_stateEbbT6_jjT7_P12ihipStream_tbENKUlT_T0_SG_SL_E_clIS7_S7_SB_PlEEDaSZ_S10_SG_SL_EUlSZ_E_NS1_11comp_targetILNS1_3genE2ELNS1_11target_archE906ELNS1_3gpuE6ELNS1_3repE0EEENS1_47radix_sort_onesweep_sort_config_static_selectorELNS0_4arch9wavefront6targetE1EEEvSG_
		.amdhsa_group_segment_fixed_size 0
		.amdhsa_private_segment_fixed_size 0
		.amdhsa_kernarg_size 88
		.amdhsa_user_sgpr_count 6
		.amdhsa_user_sgpr_private_segment_buffer 1
		.amdhsa_user_sgpr_dispatch_ptr 0
		.amdhsa_user_sgpr_queue_ptr 0
		.amdhsa_user_sgpr_kernarg_segment_ptr 1
		.amdhsa_user_sgpr_dispatch_id 0
		.amdhsa_user_sgpr_flat_scratch_init 0
		.amdhsa_user_sgpr_kernarg_preload_length 0
		.amdhsa_user_sgpr_kernarg_preload_offset 0
		.amdhsa_user_sgpr_private_segment_size 0
		.amdhsa_uses_dynamic_stack 0
		.amdhsa_system_sgpr_private_segment_wavefront_offset 0
		.amdhsa_system_sgpr_workgroup_id_x 1
		.amdhsa_system_sgpr_workgroup_id_y 0
		.amdhsa_system_sgpr_workgroup_id_z 0
		.amdhsa_system_sgpr_workgroup_info 0
		.amdhsa_system_vgpr_workitem_id 0
		.amdhsa_next_free_vgpr 1
		.amdhsa_next_free_sgpr 0
		.amdhsa_accum_offset 4
		.amdhsa_reserve_vcc 0
		.amdhsa_reserve_flat_scratch 0
		.amdhsa_float_round_mode_32 0
		.amdhsa_float_round_mode_16_64 0
		.amdhsa_float_denorm_mode_32 3
		.amdhsa_float_denorm_mode_16_64 3
		.amdhsa_dx10_clamp 1
		.amdhsa_ieee_mode 1
		.amdhsa_fp16_overflow 0
		.amdhsa_tg_split 0
		.amdhsa_exception_fp_ieee_invalid_op 0
		.amdhsa_exception_fp_denorm_src 0
		.amdhsa_exception_fp_ieee_div_zero 0
		.amdhsa_exception_fp_ieee_overflow 0
		.amdhsa_exception_fp_ieee_underflow 0
		.amdhsa_exception_fp_ieee_inexact 0
		.amdhsa_exception_int_div_zero 0
	.end_amdhsa_kernel
	.section	.text._ZN7rocprim17ROCPRIM_400000_NS6detail17trampoline_kernelINS0_14default_configENS1_35radix_sort_onesweep_config_selectorIhlEEZZNS1_29radix_sort_onesweep_iterationIS3_Lb0EPhS7_N6thrust23THRUST_200600_302600_NS10device_ptrIlEESB_jNS0_19identity_decomposerENS1_16block_id_wrapperIjLb1EEEEE10hipError_tT1_PNSt15iterator_traitsISG_E10value_typeET2_T3_PNSH_ISM_E10value_typeET4_T5_PSR_SS_PNS1_23onesweep_lookback_stateEbbT6_jjT7_P12ihipStream_tbENKUlT_T0_SG_SL_E_clIS7_S7_SB_PlEEDaSZ_S10_SG_SL_EUlSZ_E_NS1_11comp_targetILNS1_3genE2ELNS1_11target_archE906ELNS1_3gpuE6ELNS1_3repE0EEENS1_47radix_sort_onesweep_sort_config_static_selectorELNS0_4arch9wavefront6targetE1EEEvSG_,"axG",@progbits,_ZN7rocprim17ROCPRIM_400000_NS6detail17trampoline_kernelINS0_14default_configENS1_35radix_sort_onesweep_config_selectorIhlEEZZNS1_29radix_sort_onesweep_iterationIS3_Lb0EPhS7_N6thrust23THRUST_200600_302600_NS10device_ptrIlEESB_jNS0_19identity_decomposerENS1_16block_id_wrapperIjLb1EEEEE10hipError_tT1_PNSt15iterator_traitsISG_E10value_typeET2_T3_PNSH_ISM_E10value_typeET4_T5_PSR_SS_PNS1_23onesweep_lookback_stateEbbT6_jjT7_P12ihipStream_tbENKUlT_T0_SG_SL_E_clIS7_S7_SB_PlEEDaSZ_S10_SG_SL_EUlSZ_E_NS1_11comp_targetILNS1_3genE2ELNS1_11target_archE906ELNS1_3gpuE6ELNS1_3repE0EEENS1_47radix_sort_onesweep_sort_config_static_selectorELNS0_4arch9wavefront6targetE1EEEvSG_,comdat
.Lfunc_end276:
	.size	_ZN7rocprim17ROCPRIM_400000_NS6detail17trampoline_kernelINS0_14default_configENS1_35radix_sort_onesweep_config_selectorIhlEEZZNS1_29radix_sort_onesweep_iterationIS3_Lb0EPhS7_N6thrust23THRUST_200600_302600_NS10device_ptrIlEESB_jNS0_19identity_decomposerENS1_16block_id_wrapperIjLb1EEEEE10hipError_tT1_PNSt15iterator_traitsISG_E10value_typeET2_T3_PNSH_ISM_E10value_typeET4_T5_PSR_SS_PNS1_23onesweep_lookback_stateEbbT6_jjT7_P12ihipStream_tbENKUlT_T0_SG_SL_E_clIS7_S7_SB_PlEEDaSZ_S10_SG_SL_EUlSZ_E_NS1_11comp_targetILNS1_3genE2ELNS1_11target_archE906ELNS1_3gpuE6ELNS1_3repE0EEENS1_47radix_sort_onesweep_sort_config_static_selectorELNS0_4arch9wavefront6targetE1EEEvSG_, .Lfunc_end276-_ZN7rocprim17ROCPRIM_400000_NS6detail17trampoline_kernelINS0_14default_configENS1_35radix_sort_onesweep_config_selectorIhlEEZZNS1_29radix_sort_onesweep_iterationIS3_Lb0EPhS7_N6thrust23THRUST_200600_302600_NS10device_ptrIlEESB_jNS0_19identity_decomposerENS1_16block_id_wrapperIjLb1EEEEE10hipError_tT1_PNSt15iterator_traitsISG_E10value_typeET2_T3_PNSH_ISM_E10value_typeET4_T5_PSR_SS_PNS1_23onesweep_lookback_stateEbbT6_jjT7_P12ihipStream_tbENKUlT_T0_SG_SL_E_clIS7_S7_SB_PlEEDaSZ_S10_SG_SL_EUlSZ_E_NS1_11comp_targetILNS1_3genE2ELNS1_11target_archE906ELNS1_3gpuE6ELNS1_3repE0EEENS1_47radix_sort_onesweep_sort_config_static_selectorELNS0_4arch9wavefront6targetE1EEEvSG_
                                        ; -- End function
	.section	.AMDGPU.csdata,"",@progbits
; Kernel info:
; codeLenInByte = 0
; NumSgprs: 4
; NumVgprs: 0
; NumAgprs: 0
; TotalNumVgprs: 0
; ScratchSize: 0
; MemoryBound: 0
; FloatMode: 240
; IeeeMode: 1
; LDSByteSize: 0 bytes/workgroup (compile time only)
; SGPRBlocks: 0
; VGPRBlocks: 0
; NumSGPRsForWavesPerEU: 4
; NumVGPRsForWavesPerEU: 1
; AccumOffset: 4
; Occupancy: 8
; WaveLimiterHint : 0
; COMPUTE_PGM_RSRC2:SCRATCH_EN: 0
; COMPUTE_PGM_RSRC2:USER_SGPR: 6
; COMPUTE_PGM_RSRC2:TRAP_HANDLER: 0
; COMPUTE_PGM_RSRC2:TGID_X_EN: 1
; COMPUTE_PGM_RSRC2:TGID_Y_EN: 0
; COMPUTE_PGM_RSRC2:TGID_Z_EN: 0
; COMPUTE_PGM_RSRC2:TIDIG_COMP_CNT: 0
; COMPUTE_PGM_RSRC3_GFX90A:ACCUM_OFFSET: 0
; COMPUTE_PGM_RSRC3_GFX90A:TG_SPLIT: 0
	.section	.text._ZN7rocprim17ROCPRIM_400000_NS6detail17trampoline_kernelINS0_14default_configENS1_35radix_sort_onesweep_config_selectorIhlEEZZNS1_29radix_sort_onesweep_iterationIS3_Lb0EPhS7_N6thrust23THRUST_200600_302600_NS10device_ptrIlEESB_jNS0_19identity_decomposerENS1_16block_id_wrapperIjLb1EEEEE10hipError_tT1_PNSt15iterator_traitsISG_E10value_typeET2_T3_PNSH_ISM_E10value_typeET4_T5_PSR_SS_PNS1_23onesweep_lookback_stateEbbT6_jjT7_P12ihipStream_tbENKUlT_T0_SG_SL_E_clIS7_S7_SB_PlEEDaSZ_S10_SG_SL_EUlSZ_E_NS1_11comp_targetILNS1_3genE4ELNS1_11target_archE910ELNS1_3gpuE8ELNS1_3repE0EEENS1_47radix_sort_onesweep_sort_config_static_selectorELNS0_4arch9wavefront6targetE1EEEvSG_,"axG",@progbits,_ZN7rocprim17ROCPRIM_400000_NS6detail17trampoline_kernelINS0_14default_configENS1_35radix_sort_onesweep_config_selectorIhlEEZZNS1_29radix_sort_onesweep_iterationIS3_Lb0EPhS7_N6thrust23THRUST_200600_302600_NS10device_ptrIlEESB_jNS0_19identity_decomposerENS1_16block_id_wrapperIjLb1EEEEE10hipError_tT1_PNSt15iterator_traitsISG_E10value_typeET2_T3_PNSH_ISM_E10value_typeET4_T5_PSR_SS_PNS1_23onesweep_lookback_stateEbbT6_jjT7_P12ihipStream_tbENKUlT_T0_SG_SL_E_clIS7_S7_SB_PlEEDaSZ_S10_SG_SL_EUlSZ_E_NS1_11comp_targetILNS1_3genE4ELNS1_11target_archE910ELNS1_3gpuE8ELNS1_3repE0EEENS1_47radix_sort_onesweep_sort_config_static_selectorELNS0_4arch9wavefront6targetE1EEEvSG_,comdat
	.protected	_ZN7rocprim17ROCPRIM_400000_NS6detail17trampoline_kernelINS0_14default_configENS1_35radix_sort_onesweep_config_selectorIhlEEZZNS1_29radix_sort_onesweep_iterationIS3_Lb0EPhS7_N6thrust23THRUST_200600_302600_NS10device_ptrIlEESB_jNS0_19identity_decomposerENS1_16block_id_wrapperIjLb1EEEEE10hipError_tT1_PNSt15iterator_traitsISG_E10value_typeET2_T3_PNSH_ISM_E10value_typeET4_T5_PSR_SS_PNS1_23onesweep_lookback_stateEbbT6_jjT7_P12ihipStream_tbENKUlT_T0_SG_SL_E_clIS7_S7_SB_PlEEDaSZ_S10_SG_SL_EUlSZ_E_NS1_11comp_targetILNS1_3genE4ELNS1_11target_archE910ELNS1_3gpuE8ELNS1_3repE0EEENS1_47radix_sort_onesweep_sort_config_static_selectorELNS0_4arch9wavefront6targetE1EEEvSG_ ; -- Begin function _ZN7rocprim17ROCPRIM_400000_NS6detail17trampoline_kernelINS0_14default_configENS1_35radix_sort_onesweep_config_selectorIhlEEZZNS1_29radix_sort_onesweep_iterationIS3_Lb0EPhS7_N6thrust23THRUST_200600_302600_NS10device_ptrIlEESB_jNS0_19identity_decomposerENS1_16block_id_wrapperIjLb1EEEEE10hipError_tT1_PNSt15iterator_traitsISG_E10value_typeET2_T3_PNSH_ISM_E10value_typeET4_T5_PSR_SS_PNS1_23onesweep_lookback_stateEbbT6_jjT7_P12ihipStream_tbENKUlT_T0_SG_SL_E_clIS7_S7_SB_PlEEDaSZ_S10_SG_SL_EUlSZ_E_NS1_11comp_targetILNS1_3genE4ELNS1_11target_archE910ELNS1_3gpuE8ELNS1_3repE0EEENS1_47radix_sort_onesweep_sort_config_static_selectorELNS0_4arch9wavefront6targetE1EEEvSG_
	.globl	_ZN7rocprim17ROCPRIM_400000_NS6detail17trampoline_kernelINS0_14default_configENS1_35radix_sort_onesweep_config_selectorIhlEEZZNS1_29radix_sort_onesweep_iterationIS3_Lb0EPhS7_N6thrust23THRUST_200600_302600_NS10device_ptrIlEESB_jNS0_19identity_decomposerENS1_16block_id_wrapperIjLb1EEEEE10hipError_tT1_PNSt15iterator_traitsISG_E10value_typeET2_T3_PNSH_ISM_E10value_typeET4_T5_PSR_SS_PNS1_23onesweep_lookback_stateEbbT6_jjT7_P12ihipStream_tbENKUlT_T0_SG_SL_E_clIS7_S7_SB_PlEEDaSZ_S10_SG_SL_EUlSZ_E_NS1_11comp_targetILNS1_3genE4ELNS1_11target_archE910ELNS1_3gpuE8ELNS1_3repE0EEENS1_47radix_sort_onesweep_sort_config_static_selectorELNS0_4arch9wavefront6targetE1EEEvSG_
	.p2align	8
	.type	_ZN7rocprim17ROCPRIM_400000_NS6detail17trampoline_kernelINS0_14default_configENS1_35radix_sort_onesweep_config_selectorIhlEEZZNS1_29radix_sort_onesweep_iterationIS3_Lb0EPhS7_N6thrust23THRUST_200600_302600_NS10device_ptrIlEESB_jNS0_19identity_decomposerENS1_16block_id_wrapperIjLb1EEEEE10hipError_tT1_PNSt15iterator_traitsISG_E10value_typeET2_T3_PNSH_ISM_E10value_typeET4_T5_PSR_SS_PNS1_23onesweep_lookback_stateEbbT6_jjT7_P12ihipStream_tbENKUlT_T0_SG_SL_E_clIS7_S7_SB_PlEEDaSZ_S10_SG_SL_EUlSZ_E_NS1_11comp_targetILNS1_3genE4ELNS1_11target_archE910ELNS1_3gpuE8ELNS1_3repE0EEENS1_47radix_sort_onesweep_sort_config_static_selectorELNS0_4arch9wavefront6targetE1EEEvSG_,@function
_ZN7rocprim17ROCPRIM_400000_NS6detail17trampoline_kernelINS0_14default_configENS1_35radix_sort_onesweep_config_selectorIhlEEZZNS1_29radix_sort_onesweep_iterationIS3_Lb0EPhS7_N6thrust23THRUST_200600_302600_NS10device_ptrIlEESB_jNS0_19identity_decomposerENS1_16block_id_wrapperIjLb1EEEEE10hipError_tT1_PNSt15iterator_traitsISG_E10value_typeET2_T3_PNSH_ISM_E10value_typeET4_T5_PSR_SS_PNS1_23onesweep_lookback_stateEbbT6_jjT7_P12ihipStream_tbENKUlT_T0_SG_SL_E_clIS7_S7_SB_PlEEDaSZ_S10_SG_SL_EUlSZ_E_NS1_11comp_targetILNS1_3genE4ELNS1_11target_archE910ELNS1_3gpuE8ELNS1_3repE0EEENS1_47radix_sort_onesweep_sort_config_static_selectorELNS0_4arch9wavefront6targetE1EEEvSG_: ; @_ZN7rocprim17ROCPRIM_400000_NS6detail17trampoline_kernelINS0_14default_configENS1_35radix_sort_onesweep_config_selectorIhlEEZZNS1_29radix_sort_onesweep_iterationIS3_Lb0EPhS7_N6thrust23THRUST_200600_302600_NS10device_ptrIlEESB_jNS0_19identity_decomposerENS1_16block_id_wrapperIjLb1EEEEE10hipError_tT1_PNSt15iterator_traitsISG_E10value_typeET2_T3_PNSH_ISM_E10value_typeET4_T5_PSR_SS_PNS1_23onesweep_lookback_stateEbbT6_jjT7_P12ihipStream_tbENKUlT_T0_SG_SL_E_clIS7_S7_SB_PlEEDaSZ_S10_SG_SL_EUlSZ_E_NS1_11comp_targetILNS1_3genE4ELNS1_11target_archE910ELNS1_3gpuE8ELNS1_3repE0EEENS1_47radix_sort_onesweep_sort_config_static_selectorELNS0_4arch9wavefront6targetE1EEEvSG_
; %bb.0:
	s_load_dwordx4 s[44:47], s[4:5], 0x28
	s_load_dwordx2 s[30:31], s[4:5], 0x38
	s_load_dwordx4 s[48:51], s[4:5], 0x44
	v_and_b32_e32 v10, 0x3ff, v0
	v_cmp_eq_u32_e64 s[0:1], 0, v10
	s_and_saveexec_b64 s[2:3], s[0:1]
	s_cbranch_execz .LBB277_4
; %bb.1:
	s_mov_b64 s[10:11], exec
	v_mbcnt_lo_u32_b32 v1, s10, 0
	v_mbcnt_hi_u32_b32 v1, s11, v1
	v_cmp_eq_u32_e32 vcc, 0, v1
                                        ; implicit-def: $vgpr2
	s_and_saveexec_b64 s[8:9], vcc
	s_cbranch_execz .LBB277_3
; %bb.2:
	s_load_dwordx2 s[12:13], s[4:5], 0x50
	s_bcnt1_i32_b64 s7, s[10:11]
	v_mov_b32_e32 v2, 0
	v_mov_b32_e32 v3, s7
	s_waitcnt lgkmcnt(0)
	global_atomic_add v2, v2, v3, s[12:13] glc
.LBB277_3:
	s_or_b64 exec, exec, s[8:9]
	s_waitcnt vmcnt(0)
	v_readfirstlane_b32 s7, v2
	v_add_u32_e32 v1, s7, v1
	v_mov_b32_e32 v2, 0
	ds_write_b32 v2, v1 offset:20544
.LBB277_4:
	s_or_b64 exec, exec, s[2:3]
	v_mov_b32_e32 v1, 0
	s_load_dwordx8 s[36:43], s[4:5], 0x0
	s_load_dword s2, s[4:5], 0x20
	s_waitcnt lgkmcnt(0)
	s_barrier
	ds_read_b32 v1, v1 offset:20544
	v_mbcnt_lo_u32_b32 v30, -1, 0
	s_waitcnt lgkmcnt(0)
	s_barrier
	v_cmp_le_u32_e32 vcc, s50, v1
	v_readfirstlane_b32 s33, v1
	v_lshlrev_b32_e32 v1, 3, v10
	s_cbranch_vccz .LBB277_88
; %bb.5:
	s_lshl_b32 s3, s50, 13
	s_sub_i32 s7, s2, s3
	s_lshl_b32 s34, s33, 13
	s_add_u32 s2, s36, s34
	v_mbcnt_hi_u32_b32 v15, -1, v30
	s_addc_u32 s3, s37, 0
	v_and_b32_e32 v14, 63, v15
	v_mov_b32_e32 v2, s3
	v_add_co_u32_e32 v3, vcc, s2, v14
	v_and_b32_e32 v12, 0x1e00, v1
	v_addc_co_u32_e32 v4, vcc, 0, v2, vcc
	v_add_co_u32_e32 v2, vcc, v3, v12
	v_addc_co_u32_e32 v3, vcc, 0, v4, vcc
	v_or_b32_e32 v4, v14, v12
	s_mov_b32 s35, 0
	v_cmp_gt_u32_e32 vcc, s7, v4
	v_mov_b32_e32 v6, 0xff
	v_mov_b32_e32 v7, 0xff
	s_and_saveexec_b64 s[2:3], vcc
	s_cbranch_execz .LBB277_7
; %bb.6:
	global_load_ubyte v7, v[2:3], off
.LBB277_7:
	s_or_b64 exec, exec, s[2:3]
	v_or_b32_e32 v5, 64, v4
	v_cmp_gt_u32_e64 s[2:3], s7, v5
	s_and_saveexec_b64 s[8:9], s[2:3]
	s_cbranch_execz .LBB277_9
; %bb.8:
	global_load_ubyte v6, v[2:3], off offset:64
.LBB277_9:
	s_or_b64 exec, exec, s[8:9]
	v_or_b32_e32 v5, 0x80, v4
	v_cmp_gt_u32_e64 s[26:27], s7, v5
	v_mov_b32_e32 v8, 0xff
	v_mov_b32_e32 v9, 0xff
	s_and_saveexec_b64 s[8:9], s[26:27]
	s_cbranch_execz .LBB277_11
; %bb.10:
	global_load_ubyte v9, v[2:3], off offset:128
.LBB277_11:
	s_or_b64 exec, exec, s[8:9]
	v_or_b32_e32 v5, 0xc0, v4
	v_cmp_gt_u32_e64 s[8:9], s7, v5
	s_and_saveexec_b64 s[10:11], s[8:9]
	s_cbranch_execz .LBB277_13
; %bb.12:
	global_load_ubyte v8, v[2:3], off offset:192
.LBB277_13:
	s_or_b64 exec, exec, s[10:11]
	v_or_b32_e32 v5, 0x100, v4
	v_cmp_gt_u32_e64 s[10:11], s7, v5
	v_mov_b32_e32 v13, 0xff
	v_mov_b32_e32 v16, 0xff
	s_and_saveexec_b64 s[12:13], s[10:11]
	s_cbranch_execz .LBB277_15
; %bb.14:
	global_load_ubyte v16, v[2:3], off offset:256
.LBB277_15:
	;; [unrolled: 18-line block ×3, first 2 shown]
	s_or_b64 exec, exec, s[16:17]
	v_or_b32_e32 v4, 0x1c0, v4
	v_cmp_gt_u32_e64 s[16:17], s7, v4
	s_and_saveexec_b64 s[18:19], s[16:17]
	s_cbranch_execz .LBB277_21
; %bb.20:
	global_load_ubyte v17, v[2:3], off offset:448
.LBB277_21:
	s_or_b64 exec, exec, s[18:19]
	s_load_dword s18, s[4:5], 0x64
	s_load_dword s52, s[4:5], 0x58
	s_add_u32 s19, s4, 0x58
	s_addc_u32 s20, s5, 0
	v_mov_b32_e32 v2, 0
	s_waitcnt lgkmcnt(0)
	s_lshr_b32 s21, s18, 16
	s_cmp_lt_u32 s6, s52
	s_cselect_b32 s18, 12, 18
	s_add_u32 s18, s19, s18
	s_addc_u32 s19, s20, 0
	global_load_ushort v4, v2, s[18:19]
	s_lshl_b32 s18, -1, s49
	v_mul_u32_u24_e32 v11, 5, v10
	s_waitcnt vmcnt(1)
	v_lshrrev_b32_sdwa v20, s48, v7 dst_sel:DWORD dst_unused:UNUSED_PAD src0_sel:DWORD src1_sel:BYTE_0
	s_not_b32 s53, s18
	v_lshlrev_b32_e32 v19, 2, v11
	v_and_b32_e32 v11, s53, v20
	v_and_b32_e32 v21, 1, v11
	v_bfe_u32 v3, v0, 10, 10
	v_bfe_u32 v5, v0, 20, 10
	v_add_co_u32_e64 v22, s[18:19], -1, v21
	v_mad_u32_u24 v5, v5, s21, v3
	v_lshlrev_b32_e32 v3, 30, v11
	v_addc_co_u32_e64 v23, s[18:19], 0, -1, s[18:19]
	v_cmp_ne_u32_e64 s[18:19], 0, v21
	v_cmp_gt_i64_e64 s[20:21], 0, v[2:3]
	v_not_b32_e32 v21, v3
	v_lshlrev_b32_e32 v3, 29, v11
	v_xor_b32_e32 v23, s19, v23
	v_xor_b32_e32 v22, s18, v22
	v_ashrrev_i32_e32 v21, 31, v21
	v_cmp_gt_i64_e64 s[18:19], 0, v[2:3]
	v_not_b32_e32 v24, v3
	v_lshlrev_b32_e32 v3, 28, v11
	v_and_b32_e32 v23, exec_hi, v23
	v_and_b32_e32 v22, exec_lo, v22
	v_xor_b32_e32 v25, s21, v21
	v_xor_b32_e32 v21, s20, v21
	v_ashrrev_i32_e32 v24, 31, v24
	v_cmp_gt_i64_e64 s[20:21], 0, v[2:3]
	v_not_b32_e32 v26, v3
	v_lshlrev_b32_e32 v3, 27, v11
	v_and_b32_e32 v23, v23, v25
	v_and_b32_e32 v21, v22, v21
	v_xor_b32_e32 v22, s19, v24
	v_xor_b32_e32 v24, s18, v24
	v_ashrrev_i32_e32 v25, 31, v26
	v_cmp_gt_i64_e64 s[18:19], 0, v[2:3]
	v_not_b32_e32 v26, v3
	v_lshlrev_b32_e32 v3, 26, v11
	v_and_b32_e32 v22, v23, v22
	v_and_b32_e32 v21, v21, v24
	;; [unrolled: 8-line block ×3, first 2 shown]
	v_xor_b32_e32 v23, s19, v25
	v_xor_b32_e32 v24, s18, v25
	v_ashrrev_i32_e32 v25, 31, v26
	v_not_b32_e32 v26, v3
	v_mul_u32_u24_e32 v20, 17, v11
	v_cmp_gt_i64_e64 s[18:19], 0, v[2:3]
	v_lshlrev_b32_e32 v3, 24, v11
	v_and_b32_e32 v11, v22, v23
	v_and_b32_e32 v21, v21, v24
	v_xor_b32_e32 v22, s21, v25
	v_ashrrev_i32_e32 v24, 31, v26
	v_and_b32_e32 v11, v11, v22
	v_xor_b32_e32 v22, s19, v24
	v_xor_b32_e32 v23, s20, v25
	v_cmp_gt_i64_e64 s[20:21], 0, v[2:3]
	v_not_b32_e32 v3, v3
	v_and_b32_e32 v11, v11, v22
	v_and_b32_e32 v21, v21, v23
	v_xor_b32_e32 v23, s18, v24
	v_ashrrev_i32_e32 v3, 31, v3
	v_and_b32_e32 v22, v21, v23
	ds_write2_b32 v19, v2, v2 offset0:16 offset1:17
	ds_write2_b32 v19, v2, v2 offset0:18 offset1:19
	ds_write_b32 v19, v2 offset:80
	s_waitcnt lgkmcnt(0)
	s_barrier
	s_waitcnt lgkmcnt(0)
	; wave barrier
	s_waitcnt vmcnt(0)
	v_mad_u64_u32 v[4:5], s[18:19], v5, v4, v[10:11]
	v_lshrrev_b32_e32 v24, 6, v4
	v_xor_b32_e32 v4, s21, v3
	v_xor_b32_e32 v3, s20, v3
	v_and_b32_e32 v5, v11, v4
	v_and_b32_e32 v4, v22, v3
	v_mbcnt_lo_u32_b32 v3, v4, 0
	v_add_lshl_u32 v21, v24, v20, 2
	v_mbcnt_hi_u32_b32 v20, v5, v3
	v_cmp_eq_u32_e64 s[18:19], 0, v20
	v_cmp_ne_u64_e64 s[20:21], 0, v[4:5]
	s_and_b64 s[20:21], s[20:21], s[18:19]
	s_and_saveexec_b64 s[18:19], s[20:21]
	s_cbranch_execz .LBB277_23
; %bb.22:
	v_bcnt_u32_b32 v3, v4, 0
	v_bcnt_u32_b32 v3, v5, v3
	ds_write_b32 v21, v3 offset:64
.LBB277_23:
	s_or_b64 exec, exec, s[18:19]
	v_lshrrev_b32_sdwa v3, s48, v6 dst_sel:DWORD dst_unused:UNUSED_PAD src0_sel:DWORD src1_sel:BYTE_0
	v_and_b32_e32 v4, s53, v3
	v_mul_u32_u24_e32 v3, 17, v4
	v_add_lshl_u32 v22, v24, v3, 2
	v_and_b32_e32 v3, 1, v4
	v_add_co_u32_e64 v5, s[18:19], -1, v3
	v_addc_co_u32_e64 v23, s[18:19], 0, -1, s[18:19]
	v_cmp_ne_u32_e64 s[18:19], 0, v3
	v_xor_b32_e32 v3, s19, v23
	v_and_b32_e32 v23, exec_hi, v3
	v_lshlrev_b32_e32 v3, 30, v4
	v_xor_b32_e32 v5, s18, v5
	v_cmp_gt_i64_e64 s[18:19], 0, v[2:3]
	v_not_b32_e32 v3, v3
	v_ashrrev_i32_e32 v3, 31, v3
	v_and_b32_e32 v5, exec_lo, v5
	v_xor_b32_e32 v25, s19, v3
	v_xor_b32_e32 v3, s18, v3
	v_and_b32_e32 v5, v5, v3
	v_lshlrev_b32_e32 v3, 29, v4
	v_cmp_gt_i64_e64 s[18:19], 0, v[2:3]
	v_not_b32_e32 v3, v3
	v_ashrrev_i32_e32 v3, 31, v3
	v_and_b32_e32 v23, v23, v25
	v_xor_b32_e32 v25, s19, v3
	v_xor_b32_e32 v3, s18, v3
	v_and_b32_e32 v5, v5, v3
	v_lshlrev_b32_e32 v3, 28, v4
	v_cmp_gt_i64_e64 s[18:19], 0, v[2:3]
	v_not_b32_e32 v3, v3
	v_ashrrev_i32_e32 v3, 31, v3
	v_and_b32_e32 v23, v23, v25
	;; [unrolled: 8-line block ×5, first 2 shown]
	v_xor_b32_e32 v25, s19, v3
	v_xor_b32_e32 v3, s18, v3
	v_and_b32_e32 v5, v5, v3
	v_lshlrev_b32_e32 v3, 24, v4
	v_cmp_gt_i64_e64 s[18:19], 0, v[2:3]
	v_not_b32_e32 v2, v3
	v_ashrrev_i32_e32 v2, 31, v2
	v_xor_b32_e32 v3, s19, v2
	v_xor_b32_e32 v2, s18, v2
	; wave barrier
	ds_read_b32 v11, v22 offset:64
	v_and_b32_e32 v23, v23, v25
	v_and_b32_e32 v2, v5, v2
	;; [unrolled: 1-line block ×3, first 2 shown]
	v_mbcnt_lo_u32_b32 v4, v2, 0
	v_mbcnt_hi_u32_b32 v31, v3, v4
	v_cmp_eq_u32_e64 s[18:19], 0, v31
	v_cmp_ne_u64_e64 s[20:21], 0, v[2:3]
	s_and_b64 s[20:21], s[20:21], s[18:19]
	; wave barrier
	s_and_saveexec_b64 s[18:19], s[20:21]
	s_cbranch_execz .LBB277_25
; %bb.24:
	v_bcnt_u32_b32 v2, v2, 0
	v_bcnt_u32_b32 v2, v3, v2
	s_waitcnt lgkmcnt(0)
	v_add_u32_e32 v2, v11, v2
	ds_write_b32 v22, v2 offset:64
.LBB277_25:
	s_or_b64 exec, exec, s[18:19]
	v_lshrrev_b32_sdwa v2, s48, v9 dst_sel:DWORD dst_unused:UNUSED_PAD src0_sel:DWORD src1_sel:BYTE_0
	v_and_b32_e32 v4, s53, v2
	v_and_b32_e32 v3, 1, v4
	v_add_co_u32_e64 v5, s[18:19], -1, v3
	v_addc_co_u32_e64 v25, s[18:19], 0, -1, s[18:19]
	v_cmp_ne_u32_e64 s[18:19], 0, v3
	v_mul_u32_u24_e32 v2, 17, v4
	v_xor_b32_e32 v3, s19, v25
	v_add_lshl_u32 v23, v24, v2, 2
	v_mov_b32_e32 v2, 0
	v_and_b32_e32 v25, exec_hi, v3
	v_lshlrev_b32_e32 v3, 30, v4
	v_xor_b32_e32 v5, s18, v5
	v_cmp_gt_i64_e64 s[18:19], 0, v[2:3]
	v_not_b32_e32 v3, v3
	v_ashrrev_i32_e32 v3, 31, v3
	v_and_b32_e32 v5, exec_lo, v5
	v_xor_b32_e32 v26, s19, v3
	v_xor_b32_e32 v3, s18, v3
	v_and_b32_e32 v5, v5, v3
	v_lshlrev_b32_e32 v3, 29, v4
	v_cmp_gt_i64_e64 s[18:19], 0, v[2:3]
	v_not_b32_e32 v3, v3
	v_ashrrev_i32_e32 v3, 31, v3
	v_and_b32_e32 v25, v25, v26
	v_xor_b32_e32 v26, s19, v3
	v_xor_b32_e32 v3, s18, v3
	v_and_b32_e32 v5, v5, v3
	v_lshlrev_b32_e32 v3, 28, v4
	v_cmp_gt_i64_e64 s[18:19], 0, v[2:3]
	v_not_b32_e32 v3, v3
	v_ashrrev_i32_e32 v3, 31, v3
	v_and_b32_e32 v25, v25, v26
	;; [unrolled: 8-line block ×5, first 2 shown]
	v_xor_b32_e32 v26, s19, v3
	v_xor_b32_e32 v3, s18, v3
	v_and_b32_e32 v25, v25, v26
	v_and_b32_e32 v26, v5, v3
	v_lshlrev_b32_e32 v3, 24, v4
	v_cmp_gt_i64_e64 s[18:19], 0, v[2:3]
	v_not_b32_e32 v3, v3
	v_ashrrev_i32_e32 v3, 31, v3
	v_xor_b32_e32 v4, s19, v3
	v_xor_b32_e32 v3, s18, v3
	; wave barrier
	ds_read_b32 v32, v23 offset:64
	v_and_b32_e32 v5, v25, v4
	v_and_b32_e32 v4, v26, v3
	v_mbcnt_lo_u32_b32 v3, v4, 0
	v_mbcnt_hi_u32_b32 v33, v5, v3
	v_cmp_eq_u32_e64 s[18:19], 0, v33
	v_cmp_ne_u64_e64 s[20:21], 0, v[4:5]
	s_and_b64 s[20:21], s[20:21], s[18:19]
	; wave barrier
	s_and_saveexec_b64 s[18:19], s[20:21]
	s_cbranch_execz .LBB277_27
; %bb.26:
	v_bcnt_u32_b32 v3, v4, 0
	v_bcnt_u32_b32 v3, v5, v3
	s_waitcnt lgkmcnt(0)
	v_add_u32_e32 v3, v32, v3
	ds_write_b32 v23, v3 offset:64
.LBB277_27:
	s_or_b64 exec, exec, s[18:19]
	v_lshrrev_b32_sdwa v3, s48, v8 dst_sel:DWORD dst_unused:UNUSED_PAD src0_sel:DWORD src1_sel:BYTE_0
	v_and_b32_e32 v4, s53, v3
	v_mul_u32_u24_e32 v3, 17, v4
	v_add_lshl_u32 v25, v24, v3, 2
	v_and_b32_e32 v3, 1, v4
	v_add_co_u32_e64 v5, s[18:19], -1, v3
	v_addc_co_u32_e64 v26, s[18:19], 0, -1, s[18:19]
	v_cmp_ne_u32_e64 s[18:19], 0, v3
	v_xor_b32_e32 v3, s19, v26
	v_and_b32_e32 v26, exec_hi, v3
	v_lshlrev_b32_e32 v3, 30, v4
	v_xor_b32_e32 v5, s18, v5
	v_cmp_gt_i64_e64 s[18:19], 0, v[2:3]
	v_not_b32_e32 v3, v3
	v_ashrrev_i32_e32 v3, 31, v3
	v_and_b32_e32 v5, exec_lo, v5
	v_xor_b32_e32 v27, s19, v3
	v_xor_b32_e32 v3, s18, v3
	v_and_b32_e32 v5, v5, v3
	v_lshlrev_b32_e32 v3, 29, v4
	v_cmp_gt_i64_e64 s[18:19], 0, v[2:3]
	v_not_b32_e32 v3, v3
	v_ashrrev_i32_e32 v3, 31, v3
	v_and_b32_e32 v26, v26, v27
	v_xor_b32_e32 v27, s19, v3
	v_xor_b32_e32 v3, s18, v3
	v_and_b32_e32 v5, v5, v3
	v_lshlrev_b32_e32 v3, 28, v4
	v_cmp_gt_i64_e64 s[18:19], 0, v[2:3]
	v_not_b32_e32 v3, v3
	v_ashrrev_i32_e32 v3, 31, v3
	v_and_b32_e32 v26, v26, v27
	v_xor_b32_e32 v27, s19, v3
	v_xor_b32_e32 v3, s18, v3
	v_and_b32_e32 v5, v5, v3
	v_lshlrev_b32_e32 v3, 27, v4
	v_cmp_gt_i64_e64 s[18:19], 0, v[2:3]
	v_not_b32_e32 v3, v3
	v_ashrrev_i32_e32 v3, 31, v3
	v_and_b32_e32 v26, v26, v27
	v_xor_b32_e32 v27, s19, v3
	v_xor_b32_e32 v3, s18, v3
	v_and_b32_e32 v5, v5, v3
	v_lshlrev_b32_e32 v3, 26, v4
	v_cmp_gt_i64_e64 s[18:19], 0, v[2:3]
	v_not_b32_e32 v3, v3
	v_ashrrev_i32_e32 v3, 31, v3
	v_and_b32_e32 v26, v26, v27
	v_xor_b32_e32 v27, s19, v3
	v_xor_b32_e32 v3, s18, v3
	v_and_b32_e32 v5, v5, v3
	v_lshlrev_b32_e32 v3, 25, v4
	v_cmp_gt_i64_e64 s[18:19], 0, v[2:3]
	v_not_b32_e32 v3, v3
	v_ashrrev_i32_e32 v3, 31, v3
	v_and_b32_e32 v26, v26, v27
	v_xor_b32_e32 v27, s19, v3
	v_xor_b32_e32 v3, s18, v3
	v_and_b32_e32 v5, v5, v3
	v_lshlrev_b32_e32 v3, 24, v4
	v_cmp_gt_i64_e64 s[18:19], 0, v[2:3]
	v_not_b32_e32 v2, v3
	v_ashrrev_i32_e32 v2, 31, v2
	v_xor_b32_e32 v3, s19, v2
	v_xor_b32_e32 v2, s18, v2
	; wave barrier
	ds_read_b32 v34, v25 offset:64
	v_and_b32_e32 v26, v26, v27
	v_and_b32_e32 v2, v5, v2
	;; [unrolled: 1-line block ×3, first 2 shown]
	v_mbcnt_lo_u32_b32 v4, v2, 0
	v_mbcnt_hi_u32_b32 v35, v3, v4
	v_cmp_eq_u32_e64 s[18:19], 0, v35
	v_cmp_ne_u64_e64 s[20:21], 0, v[2:3]
	s_and_b64 s[20:21], s[20:21], s[18:19]
	; wave barrier
	s_and_saveexec_b64 s[18:19], s[20:21]
	s_cbranch_execz .LBB277_29
; %bb.28:
	v_bcnt_u32_b32 v2, v2, 0
	v_bcnt_u32_b32 v2, v3, v2
	s_waitcnt lgkmcnt(0)
	v_add_u32_e32 v2, v34, v2
	ds_write_b32 v25, v2 offset:64
.LBB277_29:
	s_or_b64 exec, exec, s[18:19]
	v_lshrrev_b32_sdwa v2, s48, v16 dst_sel:DWORD dst_unused:UNUSED_PAD src0_sel:DWORD src1_sel:BYTE_0
	v_and_b32_e32 v4, s53, v2
	v_and_b32_e32 v3, 1, v4
	v_add_co_u32_e64 v5, s[18:19], -1, v3
	v_addc_co_u32_e64 v27, s[18:19], 0, -1, s[18:19]
	v_cmp_ne_u32_e64 s[18:19], 0, v3
	v_mul_u32_u24_e32 v2, 17, v4
	v_xor_b32_e32 v3, s19, v27
	v_add_lshl_u32 v26, v24, v2, 2
	v_mov_b32_e32 v2, 0
	v_and_b32_e32 v27, exec_hi, v3
	v_lshlrev_b32_e32 v3, 30, v4
	v_xor_b32_e32 v5, s18, v5
	v_cmp_gt_i64_e64 s[18:19], 0, v[2:3]
	v_not_b32_e32 v3, v3
	v_ashrrev_i32_e32 v3, 31, v3
	v_and_b32_e32 v5, exec_lo, v5
	v_xor_b32_e32 v28, s19, v3
	v_xor_b32_e32 v3, s18, v3
	v_and_b32_e32 v5, v5, v3
	v_lshlrev_b32_e32 v3, 29, v4
	v_cmp_gt_i64_e64 s[18:19], 0, v[2:3]
	v_not_b32_e32 v3, v3
	v_ashrrev_i32_e32 v3, 31, v3
	v_and_b32_e32 v27, v27, v28
	v_xor_b32_e32 v28, s19, v3
	v_xor_b32_e32 v3, s18, v3
	v_and_b32_e32 v5, v5, v3
	v_lshlrev_b32_e32 v3, 28, v4
	v_cmp_gt_i64_e64 s[18:19], 0, v[2:3]
	v_not_b32_e32 v3, v3
	v_ashrrev_i32_e32 v3, 31, v3
	v_and_b32_e32 v27, v27, v28
	;; [unrolled: 8-line block ×5, first 2 shown]
	v_xor_b32_e32 v28, s19, v3
	v_xor_b32_e32 v3, s18, v3
	v_and_b32_e32 v27, v27, v28
	v_and_b32_e32 v28, v5, v3
	v_lshlrev_b32_e32 v3, 24, v4
	v_cmp_gt_i64_e64 s[18:19], 0, v[2:3]
	v_not_b32_e32 v3, v3
	v_ashrrev_i32_e32 v3, 31, v3
	v_xor_b32_e32 v4, s19, v3
	v_xor_b32_e32 v3, s18, v3
	; wave barrier
	ds_read_b32 v36, v26 offset:64
	v_and_b32_e32 v5, v27, v4
	v_and_b32_e32 v4, v28, v3
	v_mbcnt_lo_u32_b32 v3, v4, 0
	v_mbcnt_hi_u32_b32 v37, v5, v3
	v_cmp_eq_u32_e64 s[18:19], 0, v37
	v_cmp_ne_u64_e64 s[20:21], 0, v[4:5]
	s_and_b64 s[20:21], s[20:21], s[18:19]
	; wave barrier
	s_and_saveexec_b64 s[18:19], s[20:21]
	s_cbranch_execz .LBB277_31
; %bb.30:
	v_bcnt_u32_b32 v3, v4, 0
	v_bcnt_u32_b32 v3, v5, v3
	s_waitcnt lgkmcnt(0)
	v_add_u32_e32 v3, v36, v3
	ds_write_b32 v26, v3 offset:64
.LBB277_31:
	s_or_b64 exec, exec, s[18:19]
	v_lshrrev_b32_sdwa v3, s48, v13 dst_sel:DWORD dst_unused:UNUSED_PAD src0_sel:DWORD src1_sel:BYTE_0
	v_and_b32_e32 v4, s53, v3
	v_mul_u32_u24_e32 v3, 17, v4
	v_add_lshl_u32 v27, v24, v3, 2
	v_and_b32_e32 v3, 1, v4
	v_add_co_u32_e64 v5, s[18:19], -1, v3
	v_addc_co_u32_e64 v28, s[18:19], 0, -1, s[18:19]
	v_cmp_ne_u32_e64 s[18:19], 0, v3
	v_xor_b32_e32 v3, s19, v28
	v_and_b32_e32 v28, exec_hi, v3
	v_lshlrev_b32_e32 v3, 30, v4
	v_xor_b32_e32 v5, s18, v5
	v_cmp_gt_i64_e64 s[18:19], 0, v[2:3]
	v_not_b32_e32 v3, v3
	v_ashrrev_i32_e32 v3, 31, v3
	v_and_b32_e32 v5, exec_lo, v5
	v_xor_b32_e32 v29, s19, v3
	v_xor_b32_e32 v3, s18, v3
	v_and_b32_e32 v5, v5, v3
	v_lshlrev_b32_e32 v3, 29, v4
	v_cmp_gt_i64_e64 s[18:19], 0, v[2:3]
	v_not_b32_e32 v3, v3
	v_ashrrev_i32_e32 v3, 31, v3
	v_and_b32_e32 v28, v28, v29
	v_xor_b32_e32 v29, s19, v3
	v_xor_b32_e32 v3, s18, v3
	v_and_b32_e32 v5, v5, v3
	v_lshlrev_b32_e32 v3, 28, v4
	v_cmp_gt_i64_e64 s[18:19], 0, v[2:3]
	v_not_b32_e32 v3, v3
	v_ashrrev_i32_e32 v3, 31, v3
	v_and_b32_e32 v28, v28, v29
	;; [unrolled: 8-line block ×5, first 2 shown]
	v_xor_b32_e32 v29, s19, v3
	v_xor_b32_e32 v3, s18, v3
	v_and_b32_e32 v5, v5, v3
	v_lshlrev_b32_e32 v3, 24, v4
	v_cmp_gt_i64_e64 s[18:19], 0, v[2:3]
	v_not_b32_e32 v2, v3
	v_ashrrev_i32_e32 v2, 31, v2
	v_xor_b32_e32 v3, s19, v2
	v_xor_b32_e32 v2, s18, v2
	; wave barrier
	ds_read_b32 v38, v27 offset:64
	v_and_b32_e32 v28, v28, v29
	v_and_b32_e32 v2, v5, v2
	;; [unrolled: 1-line block ×3, first 2 shown]
	v_mbcnt_lo_u32_b32 v4, v2, 0
	v_mbcnt_hi_u32_b32 v39, v3, v4
	v_cmp_eq_u32_e64 s[18:19], 0, v39
	v_cmp_ne_u64_e64 s[20:21], 0, v[2:3]
	s_and_b64 s[20:21], s[20:21], s[18:19]
	; wave barrier
	s_and_saveexec_b64 s[18:19], s[20:21]
	s_cbranch_execz .LBB277_33
; %bb.32:
	v_bcnt_u32_b32 v2, v2, 0
	v_bcnt_u32_b32 v2, v3, v2
	s_waitcnt lgkmcnt(0)
	v_add_u32_e32 v2, v38, v2
	ds_write_b32 v27, v2 offset:64
.LBB277_33:
	s_or_b64 exec, exec, s[18:19]
	v_lshrrev_b32_sdwa v2, s48, v18 dst_sel:DWORD dst_unused:UNUSED_PAD src0_sel:DWORD src1_sel:BYTE_0
	v_and_b32_e32 v4, s53, v2
	v_and_b32_e32 v3, 1, v4
	v_add_co_u32_e64 v5, s[18:19], -1, v3
	v_addc_co_u32_e64 v29, s[18:19], 0, -1, s[18:19]
	v_cmp_ne_u32_e64 s[18:19], 0, v3
	v_mul_u32_u24_e32 v2, 17, v4
	v_xor_b32_e32 v3, s19, v29
	v_add_lshl_u32 v28, v24, v2, 2
	v_mov_b32_e32 v2, 0
	v_and_b32_e32 v29, exec_hi, v3
	v_lshlrev_b32_e32 v3, 30, v4
	v_xor_b32_e32 v5, s18, v5
	v_cmp_gt_i64_e64 s[18:19], 0, v[2:3]
	v_not_b32_e32 v3, v3
	v_ashrrev_i32_e32 v3, 31, v3
	v_and_b32_e32 v5, exec_lo, v5
	v_xor_b32_e32 v41, s19, v3
	v_xor_b32_e32 v3, s18, v3
	v_and_b32_e32 v5, v5, v3
	v_lshlrev_b32_e32 v3, 29, v4
	v_cmp_gt_i64_e64 s[18:19], 0, v[2:3]
	v_not_b32_e32 v3, v3
	v_ashrrev_i32_e32 v3, 31, v3
	v_and_b32_e32 v29, v29, v41
	v_xor_b32_e32 v41, s19, v3
	v_xor_b32_e32 v3, s18, v3
	v_and_b32_e32 v5, v5, v3
	v_lshlrev_b32_e32 v3, 28, v4
	v_cmp_gt_i64_e64 s[18:19], 0, v[2:3]
	v_not_b32_e32 v3, v3
	v_ashrrev_i32_e32 v3, 31, v3
	v_and_b32_e32 v29, v29, v41
	;; [unrolled: 8-line block ×5, first 2 shown]
	v_xor_b32_e32 v41, s19, v3
	v_xor_b32_e32 v3, s18, v3
	v_and_b32_e32 v29, v29, v41
	v_and_b32_e32 v41, v5, v3
	v_lshlrev_b32_e32 v3, 24, v4
	v_cmp_gt_i64_e64 s[18:19], 0, v[2:3]
	v_not_b32_e32 v3, v3
	v_ashrrev_i32_e32 v3, 31, v3
	v_xor_b32_e32 v4, s19, v3
	v_xor_b32_e32 v3, s18, v3
	; wave barrier
	ds_read_b32 v40, v28 offset:64
	v_and_b32_e32 v5, v29, v4
	v_and_b32_e32 v4, v41, v3
	v_mbcnt_lo_u32_b32 v3, v4, 0
	v_mbcnt_hi_u32_b32 v41, v5, v3
	v_cmp_eq_u32_e64 s[18:19], 0, v41
	v_cmp_ne_u64_e64 s[20:21], 0, v[4:5]
	s_and_b64 s[20:21], s[20:21], s[18:19]
	; wave barrier
	s_and_saveexec_b64 s[18:19], s[20:21]
	s_cbranch_execz .LBB277_35
; %bb.34:
	v_bcnt_u32_b32 v3, v4, 0
	v_bcnt_u32_b32 v3, v5, v3
	s_waitcnt lgkmcnt(0)
	v_add_u32_e32 v3, v40, v3
	ds_write_b32 v28, v3 offset:64
.LBB277_35:
	s_or_b64 exec, exec, s[18:19]
	v_lshrrev_b32_sdwa v3, s48, v17 dst_sel:DWORD dst_unused:UNUSED_PAD src0_sel:DWORD src1_sel:BYTE_0
	v_and_b32_e32 v4, s53, v3
	v_mul_u32_u24_e32 v3, 17, v4
	v_add_lshl_u32 v24, v24, v3, 2
	v_and_b32_e32 v3, 1, v4
	v_add_co_u32_e64 v5, s[18:19], -1, v3
	v_addc_co_u32_e64 v43, s[18:19], 0, -1, s[18:19]
	v_cmp_ne_u32_e64 s[18:19], 0, v3
	v_xor_b32_e32 v3, s19, v43
	v_and_b32_e32 v43, exec_hi, v3
	v_lshlrev_b32_e32 v3, 30, v4
	v_xor_b32_e32 v5, s18, v5
	v_cmp_gt_i64_e64 s[18:19], 0, v[2:3]
	v_not_b32_e32 v3, v3
	v_ashrrev_i32_e32 v3, 31, v3
	v_and_b32_e32 v5, exec_lo, v5
	v_xor_b32_e32 v44, s19, v3
	v_xor_b32_e32 v3, s18, v3
	v_and_b32_e32 v5, v5, v3
	v_lshlrev_b32_e32 v3, 29, v4
	v_cmp_gt_i64_e64 s[18:19], 0, v[2:3]
	v_not_b32_e32 v3, v3
	v_ashrrev_i32_e32 v3, 31, v3
	v_and_b32_e32 v43, v43, v44
	v_xor_b32_e32 v44, s19, v3
	v_xor_b32_e32 v3, s18, v3
	v_and_b32_e32 v5, v5, v3
	v_lshlrev_b32_e32 v3, 28, v4
	v_cmp_gt_i64_e64 s[18:19], 0, v[2:3]
	v_not_b32_e32 v3, v3
	v_ashrrev_i32_e32 v3, 31, v3
	v_and_b32_e32 v43, v43, v44
	;; [unrolled: 8-line block ×5, first 2 shown]
	v_xor_b32_e32 v44, s19, v3
	v_xor_b32_e32 v3, s18, v3
	v_and_b32_e32 v5, v5, v3
	v_lshlrev_b32_e32 v3, 24, v4
	v_cmp_gt_i64_e64 s[18:19], 0, v[2:3]
	v_not_b32_e32 v2, v3
	v_ashrrev_i32_e32 v2, 31, v2
	v_xor_b32_e32 v3, s19, v2
	v_xor_b32_e32 v2, s18, v2
	; wave barrier
	ds_read_b32 v42, v24 offset:64
	v_and_b32_e32 v43, v43, v44
	v_and_b32_e32 v2, v5, v2
	;; [unrolled: 1-line block ×3, first 2 shown]
	v_mbcnt_lo_u32_b32 v4, v2, 0
	v_mbcnt_hi_u32_b32 v45, v3, v4
	v_cmp_eq_u32_e64 s[18:19], 0, v45
	v_cmp_ne_u64_e64 s[20:21], 0, v[2:3]
	v_add_u32_e32 v29, 64, v19
	s_and_b64 s[20:21], s[20:21], s[18:19]
	; wave barrier
	s_and_saveexec_b64 s[18:19], s[20:21]
	s_cbranch_execz .LBB277_37
; %bb.36:
	v_bcnt_u32_b32 v2, v2, 0
	v_bcnt_u32_b32 v2, v3, v2
	s_waitcnt lgkmcnt(0)
	v_add_u32_e32 v2, v42, v2
	ds_write_b32 v24, v2 offset:64
.LBB277_37:
	s_or_b64 exec, exec, s[18:19]
	; wave barrier
	s_waitcnt lgkmcnt(0)
	s_barrier
	ds_read2_b32 v[4:5], v19 offset0:16 offset1:17
	ds_read2_b32 v[2:3], v29 offset0:2 offset1:3
	ds_read_b32 v43, v29 offset:16
	v_cmp_lt_u32_e64 s[28:29], 31, v15
	s_waitcnt lgkmcnt(1)
	v_add3_u32 v44, v5, v4, v2
	s_waitcnt lgkmcnt(0)
	v_add3_u32 v43, v44, v3, v43
	v_and_b32_e32 v44, 15, v15
	v_cmp_eq_u32_e64 s[18:19], 0, v44
	v_mov_b32_dpp v46, v43 row_shr:1 row_mask:0xf bank_mask:0xf
	v_cndmask_b32_e64 v46, v46, 0, s[18:19]
	v_add_u32_e32 v43, v46, v43
	v_cmp_lt_u32_e64 s[20:21], 1, v44
	v_cmp_lt_u32_e64 s[22:23], 3, v44
	v_mov_b32_dpp v46, v43 row_shr:2 row_mask:0xf bank_mask:0xf
	v_cndmask_b32_e64 v46, 0, v46, s[20:21]
	v_add_u32_e32 v43, v43, v46
	v_cmp_lt_u32_e64 s[24:25], 7, v44
	s_nop 0
	v_mov_b32_dpp v46, v43 row_shr:4 row_mask:0xf bank_mask:0xf
	v_cndmask_b32_e64 v46, 0, v46, s[22:23]
	v_add_u32_e32 v43, v43, v46
	s_nop 1
	v_mov_b32_dpp v46, v43 row_shr:8 row_mask:0xf bank_mask:0xf
	v_cndmask_b32_e64 v44, 0, v46, s[24:25]
	v_add_u32_e32 v43, v43, v44
	v_bfe_i32 v46, v15, 4, 1
	s_nop 0
	v_mov_b32_dpp v44, v43 row_bcast:15 row_mask:0xf bank_mask:0xf
	v_and_b32_e32 v44, v46, v44
	v_add_u32_e32 v43, v43, v44
	v_and_b32_e32 v46, 63, v10
	s_nop 0
	v_mov_b32_dpp v44, v43 row_bcast:31 row_mask:0xf bank_mask:0xf
	v_cndmask_b32_e64 v44, 0, v44, s[28:29]
	v_add_u32_e32 v43, v43, v44
	v_lshrrev_b32_e32 v44, 6, v10
	v_cmp_eq_u32_e64 s[28:29], 63, v46
	s_and_saveexec_b64 s[50:51], s[28:29]
	s_cbranch_execz .LBB277_39
; %bb.38:
	v_lshlrev_b32_e32 v46, 2, v44
	ds_write_b32 v46, v43
.LBB277_39:
	s_or_b64 exec, exec, s[50:51]
	v_cmp_gt_u32_e64 s[28:29], 16, v10
	s_waitcnt lgkmcnt(0)
	s_barrier
	s_and_saveexec_b64 s[50:51], s[28:29]
	s_cbranch_execz .LBB277_41
; %bb.40:
	v_lshlrev_b32_e32 v46, 2, v10
	ds_read_b32 v47, v46
	s_waitcnt lgkmcnt(0)
	s_nop 0
	v_mov_b32_dpp v48, v47 row_shr:1 row_mask:0xf bank_mask:0xf
	v_cndmask_b32_e64 v48, v48, 0, s[18:19]
	v_add_u32_e32 v47, v48, v47
	s_nop 1
	v_mov_b32_dpp v48, v47 row_shr:2 row_mask:0xf bank_mask:0xf
	v_cndmask_b32_e64 v48, 0, v48, s[20:21]
	v_add_u32_e32 v47, v47, v48
	;; [unrolled: 4-line block ×4, first 2 shown]
	ds_write_b32 v46, v47
.LBB277_41:
	s_or_b64 exec, exec, s[50:51]
	v_cmp_lt_u32_e64 s[18:19], 63, v10
	v_mov_b32_e32 v46, 0
	s_waitcnt lgkmcnt(0)
	s_barrier
	s_and_saveexec_b64 s[20:21], s[18:19]
	s_cbranch_execz .LBB277_43
; %bb.42:
	v_lshl_add_u32 v44, v44, 2, -4
	ds_read_b32 v46, v44
.LBB277_43:
	s_or_b64 exec, exec, s[20:21]
	v_add_u32_e32 v44, -1, v15
	v_and_b32_e32 v47, 64, v15
	v_cmp_lt_i32_e64 s[18:19], v44, v47
	v_cndmask_b32_e64 v44, v44, v15, s[18:19]
	s_waitcnt lgkmcnt(0)
	v_add_u32_e32 v43, v46, v43
	v_lshlrev_b32_e32 v44, 2, v44
	ds_bpermute_b32 v43, v44, v43
	v_cmp_eq_u32_e64 s[18:19], 0, v15
                                        ; implicit-def: $vgpr44
	s_waitcnt lgkmcnt(0)
	v_cndmask_b32_e64 v15, v43, v46, s[18:19]
	v_cndmask_b32_e64 v15, v15, 0, s[0:1]
	v_add_u32_e32 v4, v15, v4
	v_add_u32_e32 v5, v4, v5
	;; [unrolled: 1-line block ×4, first 2 shown]
	ds_write2_b32 v19, v15, v4 offset0:16 offset1:17
	ds_write2_b32 v29, v5, v2 offset0:2 offset1:3
	ds_write_b32 v29, v3 offset:16
	s_waitcnt lgkmcnt(0)
	s_barrier
	ds_read_b32 v2, v21 offset:64
	ds_read_b32 v47, v22 offset:64
	;; [unrolled: 1-line block ×8, first 2 shown]
	s_movk_i32 s18, 0x100
	v_cmp_gt_u32_e64 s[18:19], s18, v10
                                        ; implicit-def: $vgpr43
	s_and_saveexec_b64 s[22:23], s[18:19]
	s_cbranch_execz .LBB277_47
; %bb.44:
	v_mul_u32_u24_e32 v3, 17, v10
	v_lshlrev_b32_e32 v4, 2, v3
	ds_read_b32 v43, v4 offset:64
	s_movk_i32 s20, 0xff
	v_cmp_ne_u32_e64 s[20:21], s20, v10
	v_mov_b32_e32 v3, 0x2000
	s_and_saveexec_b64 s[24:25], s[20:21]
	s_cbranch_execz .LBB277_46
; %bb.45:
	ds_read_b32 v3, v4 offset:132
.LBB277_46:
	s_or_b64 exec, exec, s[24:25]
	s_waitcnt lgkmcnt(0)
	v_sub_u32_e32 v44, v3, v43
.LBB277_47:
	s_or_b64 exec, exec, s[22:23]
	s_waitcnt lgkmcnt(7)
	v_add_u32_e32 v46, v2, v20
	s_waitcnt lgkmcnt(6)
	v_add3_u32 v2, v31, v11, v47
	s_waitcnt lgkmcnt(5)
	v_add3_u32 v3, v33, v32, v48
	;; [unrolled: 2-line block ×7, first 2 shown]
	s_barrier
	ds_write_b8 v46, v7 offset:1024
	ds_write_b8 v2, v6 offset:1024
	;; [unrolled: 1-line block ×8, first 2 shown]
	s_and_saveexec_b64 s[22:23], s[18:19]
	s_cbranch_execz .LBB277_57
; %bb.48:
	v_lshl_or_b32 v2, s33, 8, v10
	v_mov_b32_e32 v3, 0
	v_lshlrev_b64 v[4:5], 2, v[2:3]
	v_mov_b32_e32 v8, s31
	v_add_co_u32_e64 v4, s[20:21], s30, v4
	v_addc_co_u32_e64 v5, s[20:21], v8, v5, s[20:21]
	v_or_b32_e32 v2, 2.0, v44
	s_mov_b64 s[24:25], 0
	s_brev_b32 s54, 1
	s_mov_b32 s55, s33
	v_mov_b32_e32 v9, 0
	global_store_dword v[4:5], v2, off
                                        ; implicit-def: $sgpr20_sgpr21
	s_branch .LBB277_50
.LBB277_49:                             ;   in Loop: Header=BB277_50 Depth=1
	s_or_b64 exec, exec, s[28:29]
	v_and_b32_e32 v6, 0x3fffffff, v13
	v_add_u32_e32 v9, v6, v9
	v_cmp_eq_u32_e64 s[20:21], s54, v2
	s_and_b64 s[28:29], exec, s[20:21]
	s_or_b64 s[24:25], s[28:29], s[24:25]
	s_andn2_b64 exec, exec, s[24:25]
	s_cbranch_execz .LBB277_56
.LBB277_50:                             ; =>This Loop Header: Depth=1
                                        ;     Child Loop BB277_53 Depth 2
	s_or_b64 s[20:21], s[20:21], exec
	s_cmp_eq_u32 s55, 0
	s_cbranch_scc1 .LBB277_55
; %bb.51:                               ;   in Loop: Header=BB277_50 Depth=1
	s_add_i32 s55, s55, -1
	v_lshl_or_b32 v2, s55, 8, v10
	v_lshlrev_b64 v[6:7], 2, v[2:3]
	v_add_co_u32_e64 v6, s[20:21], s30, v6
	v_addc_co_u32_e64 v7, s[20:21], v8, v7, s[20:21]
	global_load_dword v13, v[6:7], off glc
	s_waitcnt vmcnt(0)
	v_and_b32_e32 v2, -2.0, v13
	v_cmp_eq_u32_e64 s[20:21], 0, v2
	s_and_saveexec_b64 s[28:29], s[20:21]
	s_cbranch_execz .LBB277_49
; %bb.52:                               ;   in Loop: Header=BB277_50 Depth=1
	s_mov_b64 s[50:51], 0
.LBB277_53:                             ;   Parent Loop BB277_50 Depth=1
                                        ; =>  This Inner Loop Header: Depth=2
	global_load_dword v13, v[6:7], off glc
	s_waitcnt vmcnt(0)
	v_and_b32_e32 v2, -2.0, v13
	v_cmp_ne_u32_e64 s[20:21], 0, v2
	s_or_b64 s[50:51], s[20:21], s[50:51]
	s_andn2_b64 exec, exec, s[50:51]
	s_cbranch_execnz .LBB277_53
; %bb.54:                               ;   in Loop: Header=BB277_50 Depth=1
	s_or_b64 exec, exec, s[50:51]
	s_branch .LBB277_49
.LBB277_55:                             ;   in Loop: Header=BB277_50 Depth=1
                                        ; implicit-def: $sgpr55
	s_and_b64 s[28:29], exec, s[20:21]
	s_or_b64 s[24:25], s[28:29], s[24:25]
	s_andn2_b64 exec, exec, s[24:25]
	s_cbranch_execnz .LBB277_50
.LBB277_56:
	s_or_b64 exec, exec, s[24:25]
	v_add_u32_e32 v2, v9, v44
	v_or_b32_e32 v2, 0x80000000, v2
	global_store_dword v[4:5], v2, off
	v_lshlrev_b32_e32 v2, 2, v10
	global_load_dword v3, v2, s[44:45]
	v_sub_u32_e32 v4, v9, v43
	s_waitcnt vmcnt(0)
	v_add_u32_e32 v3, v4, v3
	ds_write_b32 v2, v3
.LBB277_57:
	s_or_b64 exec, exec, s[22:23]
	v_cmp_gt_u32_e64 s[20:21], s7, v10
	s_waitcnt lgkmcnt(0)
	s_barrier
	s_waitcnt lgkmcnt(0)
                                        ; implicit-def: $vgpr2_vgpr3_vgpr4_vgpr5_vgpr6_vgpr7_vgpr8_vgpr9
	s_and_saveexec_b64 s[22:23], s[20:21]
	s_cbranch_execz .LBB277_59
; %bb.58:
	ds_read_u8 v3, v10 offset:1024
	s_waitcnt lgkmcnt(0)
	v_lshrrev_b32_sdwa v2, s48, v3 dst_sel:DWORD dst_unused:UNUSED_PAD src0_sel:DWORD src1_sel:BYTE_0
	v_and_b32_e32 v2, s53, v2
	v_lshlrev_b32_e32 v4, 2, v2
	ds_read_b32 v4, v4
	s_waitcnt lgkmcnt(0)
	v_add_u32_e32 v4, v4, v10
	global_store_byte v4, v3, s[38:39]
.LBB277_59:
	s_or_b64 exec, exec, s[22:23]
	v_or_b32_e32 v13, 0x400, v10
	v_cmp_gt_u32_e64 s[20:21], s7, v13
	s_and_saveexec_b64 s[22:23], s[20:21]
	s_cbranch_execz .LBB277_61
; %bb.60:
	ds_read_u8 v15, v10 offset:2048
	s_waitcnt lgkmcnt(0)
	v_lshrrev_b32_sdwa v3, s48, v15 dst_sel:DWORD dst_unused:UNUSED_PAD src0_sel:DWORD src1_sel:BYTE_0
	v_and_b32_e32 v3, s53, v3
	v_lshlrev_b32_e32 v16, 2, v3
	ds_read_b32 v16, v16
	s_waitcnt lgkmcnt(0)
	v_add_u32_e32 v13, v16, v13
	global_store_byte v13, v15, s[38:39]
.LBB277_61:
	s_or_b64 exec, exec, s[22:23]
	v_or_b32_e32 v13, 0x800, v10
	v_cmp_gt_u32_e64 s[20:21], s7, v13
	;; [unrolled: 16-line block ×7, first 2 shown]
	s_and_saveexec_b64 s[22:23], s[20:21]
	s_cbranch_execz .LBB277_73
; %bb.72:
	ds_read_u8 v15, v10 offset:8192
	s_waitcnt lgkmcnt(0)
	v_lshrrev_b32_sdwa v9, s48, v15 dst_sel:DWORD dst_unused:UNUSED_PAD src0_sel:DWORD src1_sel:BYTE_0
	v_and_b32_e32 v9, s53, v9
	v_lshlrev_b32_e32 v16, 2, v9
	ds_read_b32 v16, v16
	s_waitcnt lgkmcnt(0)
	v_add_u32_e32 v13, v16, v13
	global_store_byte v13, v15, s[38:39]
.LBB277_73:
	s_or_b64 exec, exec, s[22:23]
	s_lshl_b64 s[20:21], s[34:35], 3
	s_add_u32 s20, s40, s20
	s_addc_u32 s21, s41, s21
	v_lshlrev_b32_e32 v13, 3, v14
	v_mov_b32_e32 v14, s21
	v_add_co_u32_e64 v13, s[20:21], s20, v13
	v_addc_co_u32_e64 v14, s[20:21], 0, v14, s[20:21]
	v_lshlrev_b32_e32 v12, 3, v12
	v_add_co_u32_e64 v28, s[20:21], v13, v12
	v_addc_co_u32_e64 v29, s[20:21], 0, v14, s[20:21]
                                        ; implicit-def: $vgpr12_vgpr13
	s_and_saveexec_b64 s[20:21], vcc
	s_xor_b64 s[20:21], exec, s[20:21]
	s_cbranch_execnz .LBB277_138
; %bb.74:
	s_or_b64 exec, exec, s[20:21]
                                        ; implicit-def: $vgpr14_vgpr15
	s_and_saveexec_b64 s[20:21], s[2:3]
	s_cbranch_execnz .LBB277_139
.LBB277_75:
	s_or_b64 exec, exec, s[20:21]
                                        ; implicit-def: $vgpr16_vgpr17
	s_and_saveexec_b64 s[2:3], s[26:27]
	s_cbranch_execnz .LBB277_140
.LBB277_76:
	s_or_b64 exec, exec, s[2:3]
                                        ; implicit-def: $vgpr18_vgpr19
	s_and_saveexec_b64 s[2:3], s[8:9]
	s_cbranch_execnz .LBB277_141
.LBB277_77:
	s_or_b64 exec, exec, s[2:3]
                                        ; implicit-def: $vgpr20_vgpr21
	s_and_saveexec_b64 s[2:3], s[10:11]
	s_cbranch_execnz .LBB277_142
.LBB277_78:
	s_or_b64 exec, exec, s[2:3]
                                        ; implicit-def: $vgpr22_vgpr23
	s_and_saveexec_b64 s[2:3], s[12:13]
	s_cbranch_execnz .LBB277_143
.LBB277_79:
	s_or_b64 exec, exec, s[2:3]
                                        ; implicit-def: $vgpr24_vgpr25
	s_and_saveexec_b64 s[2:3], s[14:15]
	s_cbranch_execnz .LBB277_144
.LBB277_80:
	s_or_b64 exec, exec, s[2:3]
                                        ; implicit-def: $vgpr26_vgpr27
	s_and_saveexec_b64 s[2:3], s[16:17]
	s_cbranch_execz .LBB277_82
.LBB277_81:
	global_load_dwordx2 v[26:27], v[28:29], off offset:3584
.LBB277_82:
	s_or_b64 exec, exec, s[2:3]
	s_movk_i32 s8, 0x400
	v_add_u32_e32 v54, 0x400, v1
	v_add3_u32 v42, v45, v53, v42
	v_add3_u32 v40, v41, v52, v40
	;; [unrolled: 1-line block ×7, first 2 shown]
	s_mov_b32 s9, 0
	v_mov_b32_e32 v29, 0
	s_mov_b32 s10, 0
	v_mov_b32_e32 v31, v10
	s_barrier
	s_waitcnt vmcnt(0)
	s_branch .LBB277_84
.LBB277_83:                             ;   in Loop: Header=BB277_84 Depth=1
	s_or_b64 exec, exec, s[2:3]
	s_addk_i32 s10, 0xf800
	s_add_i32 s9, s9, 2
	s_cmpk_eq_i32 s10, 0xe000
	v_add_u32_e32 v31, 0x800, v31
	s_barrier
	s_cbranch_scc1 .LBB277_89
.LBB277_84:                             ; =>This Inner Loop Header: Depth=1
	v_add_u32_e32 v28, s10, v46
	v_min_u32_e32 v28, 0x800, v28
	v_lshlrev_b32_e32 v28, 3, v28
	ds_write_b64 v28, v[12:13] offset:1024
	v_add_u32_e32 v28, s10, v11
	v_min_u32_e32 v28, 0x800, v28
	v_lshlrev_b32_e32 v28, 3, v28
	ds_write_b64 v28, v[14:15] offset:1024
	;; [unrolled: 4-line block ×7, first 2 shown]
	v_add_u32_e32 v28, s10, v42
	v_min_u32_e32 v28, 0x800, v28
	v_lshlrev_b32_e32 v28, 3, v28
	v_cmp_gt_u32_e32 vcc, s7, v31
	ds_write_b64 v28, v[26:27] offset:1024
	s_waitcnt lgkmcnt(0)
	s_barrier
	s_and_saveexec_b64 s[2:3], vcc
	s_cbranch_execz .LBB277_86
; %bb.85:                               ;   in Loop: Header=BB277_84 Depth=1
	s_cmp_eq_u32 s9, 1
	s_cselect_b64 vcc, -1, 0
	s_cmp_eq_u32 s9, 2
	v_cndmask_b32_e32 v28, v2, v3, vcc
	s_cselect_b64 vcc, -1, 0
	s_cmp_eq_u32 s9, 3
	v_cndmask_b32_e32 v28, v28, v4, vcc
	;; [unrolled: 3-line block ×6, first 2 shown]
	s_cselect_b64 vcc, -1, 0
	v_cndmask_b32_e32 v28, v28, v9, vcc
	v_lshlrev_b32_e32 v28, 2, v28
	ds_read_b32 v28, v28
	ds_read_b64 v[48:49], v1 offset:1024
	s_waitcnt lgkmcnt(1)
	v_add_u32_e32 v28, v31, v28
	v_lshlrev_b64 v[50:51], 3, v[28:29]
	v_mov_b32_e32 v28, s43
	v_add_co_u32_e32 v50, vcc, s42, v50
	v_addc_co_u32_e32 v51, vcc, v28, v51, vcc
	s_waitcnt lgkmcnt(0)
	global_store_dwordx2 v[50:51], v[48:49], off
.LBB277_86:                             ;   in Loop: Header=BB277_84 Depth=1
	s_or_b64 exec, exec, s[2:3]
	v_add_u32_e32 v28, 0x400, v31
	v_cmp_gt_u32_e32 vcc, s7, v28
	s_and_saveexec_b64 s[2:3], vcc
	s_cbranch_execz .LBB277_83
; %bb.87:                               ;   in Loop: Header=BB277_84 Depth=1
	s_add_i32 s11, s9, 1
	s_cmp_eq_u32 s11, 1
	s_cselect_b64 vcc, -1, 0
	s_cmp_eq_u32 s11, 2
	v_cndmask_b32_e32 v28, v2, v3, vcc
	s_cselect_b64 vcc, -1, 0
	s_cmp_eq_u32 s11, 3
	v_cndmask_b32_e32 v28, v28, v4, vcc
	s_cselect_b64 vcc, -1, 0
	s_cmp_eq_u32 s11, 4
	v_cndmask_b32_e32 v28, v28, v5, vcc
	s_cselect_b64 vcc, -1, 0
	s_cmp_eq_u32 s11, 5
	v_cndmask_b32_e32 v28, v28, v6, vcc
	s_cselect_b64 vcc, -1, 0
	s_cmp_eq_u32 s11, 6
	v_cndmask_b32_e32 v28, v28, v7, vcc
	s_cselect_b64 vcc, -1, 0
	s_cmp_eq_u32 s11, 7
	v_cndmask_b32_e32 v28, v28, v8, vcc
	s_cselect_b64 vcc, -1, 0
	v_cndmask_b32_e32 v28, v28, v9, vcc
	v_lshlrev_b32_e32 v28, 2, v28
	ds_read_b32 v28, v28
	ds_read_b64 v[48:49], v54 offset:8192
	s_waitcnt lgkmcnt(1)
	v_add3_u32 v28, v31, v28, s8
	v_lshlrev_b64 v[50:51], 3, v[28:29]
	v_mov_b32_e32 v28, s43
	v_add_co_u32_e32 v50, vcc, s42, v50
	v_addc_co_u32_e32 v51, vcc, v28, v51, vcc
	s_waitcnt lgkmcnt(0)
	global_store_dwordx2 v[50:51], v[48:49], off
	s_branch .LBB277_83
.LBB277_88:
	s_mov_b64 s[10:11], 0
                                        ; implicit-def: $vgpr2
                                        ; implicit-def: $vgpr14_vgpr15
	s_cbranch_execnz .LBB277_92
	s_branch .LBB277_135
.LBB277_89:
	s_add_i32 s52, s52, -1
	s_cmp_eq_u32 s52, s33
	s_cselect_b64 s[2:3], -1, 0
	s_and_b64 s[8:9], s[18:19], s[2:3]
	s_mov_b64 s[2:3], 0
	s_mov_b64 s[10:11], 0
                                        ; implicit-def: $vgpr2
                                        ; implicit-def: $vgpr14_vgpr15
	s_and_saveexec_b64 s[12:13], s[8:9]
	s_xor_b64 s[8:9], exec, s[12:13]
; %bb.90:
	v_mov_b32_e32 v11, 0
	s_mov_b64 s[10:11], exec
	v_add_u32_e32 v2, v43, v44
	v_pk_mov_b32 v[14:15], v[10:11], v[10:11] op_sel:[0,1]
; %bb.91:
	s_or_b64 exec, exec, s[8:9]
	s_and_b64 vcc, exec, s[2:3]
	s_cbranch_vccz .LBB277_135
.LBB277_92:
	s_lshl_b32 s12, s33, 13
	s_add_u32 s2, s36, s12
	v_mbcnt_hi_u32_b32 v18, -1, v30
	s_addc_u32 s3, s37, 0
	v_and_b32_e32 v12, 63, v18
	v_and_b32_e32 v8, 0x1e00, v1
	v_mov_b32_e32 v1, s3
	v_add_co_u32_e32 v2, vcc, s2, v12
	v_addc_co_u32_e32 v1, vcc, 0, v1, vcc
	v_add_co_u32_e32 v22, vcc, v2, v8
	v_addc_co_u32_e32 v23, vcc, 0, v1, vcc
	global_load_ubyte v4, v[22:23], off
	s_load_dword s2, s[4:5], 0x64
	s_load_dword s16, s[4:5], 0x58
	s_add_u32 s3, s4, 0x58
	s_addc_u32 s4, s5, 0
	v_mov_b32_e32 v2, 0
	s_waitcnt lgkmcnt(0)
	s_lshr_b32 s5, s2, 16
	s_cmp_lt_u32 s6, s16
	s_cselect_b32 s2, 12, 18
	s_add_u32 s2, s3, s2
	s_addc_u32 s3, s4, 0
	global_load_ushort v1, v2, s[2:3]
	v_mul_u32_u24_e32 v5, 5, v10
	v_lshlrev_b32_e32 v20, 2, v5
	ds_write2_b32 v20, v2, v2 offset0:16 offset1:17
	ds_write2_b32 v20, v2, v2 offset0:18 offset1:19
	ds_write_b32 v20, v2 offset:80
	global_load_ubyte v5, v[22:23], off offset:64
	global_load_ubyte v6, v[22:23], off offset:128
	;; [unrolled: 1-line block ×7, first 2 shown]
	v_bfe_u32 v3, v0, 10, 10
	v_bfe_u32 v0, v0, 20, 10
	s_lshl_b32 s2, -1, s49
	v_mad_u32_u24 v0, v0, s5, v3
	s_not_b32 s17, s2
	s_mov_b32 s13, 0
	s_waitcnt lgkmcnt(0)
	s_barrier
	s_waitcnt lgkmcnt(0)
	; wave barrier
	s_waitcnt vmcnt(8)
	v_lshrrev_b32_sdwa v3, s48, v4 dst_sel:DWORD dst_unused:UNUSED_PAD src0_sel:DWORD src1_sel:BYTE_0
	v_and_b32_e32 v9, s17, v3
	v_and_b32_e32 v16, 1, v9
	v_add_co_u32_e32 v19, vcc, -1, v16
	v_lshlrev_b32_e32 v3, 30, v9
	v_addc_co_u32_e64 v21, s[2:3], 0, -1, vcc
	v_cmp_ne_u32_e32 vcc, 0, v16
	v_cmp_gt_i64_e64 s[2:3], 0, v[2:3]
	v_not_b32_e32 v16, v3
	v_lshlrev_b32_e32 v3, 29, v9
	s_waitcnt vmcnt(3)
	v_mad_u64_u32 v[0:1], s[4:5], v0, v1, v[10:11]
	v_xor_b32_e32 v1, vcc_hi, v21
	v_xor_b32_e32 v19, vcc_lo, v19
	v_ashrrev_i32_e32 v16, 31, v16
	v_cmp_gt_i64_e32 vcc, 0, v[2:3]
	v_not_b32_e32 v21, v3
	v_lshlrev_b32_e32 v3, 28, v9
	v_mul_u32_u24_e32 v13, 17, v9
	v_lshrrev_b32_e32 v30, 6, v0
	v_and_b32_e32 v0, exec_hi, v1
	v_and_b32_e32 v1, exec_lo, v19
	v_xor_b32_e32 v19, s3, v16
	v_xor_b32_e32 v16, s2, v16
	v_ashrrev_i32_e32 v21, 31, v21
	v_cmp_gt_i64_e64 s[2:3], 0, v[2:3]
	v_not_b32_e32 v23, v3
	v_lshlrev_b32_e32 v3, 27, v9
	v_add_lshl_u32 v22, v30, v13, 2
	v_and_b32_e32 v0, v0, v19
	v_and_b32_e32 v1, v1, v16
	v_xor_b32_e32 v13, vcc_hi, v21
	v_xor_b32_e32 v16, vcc_lo, v21
	v_ashrrev_i32_e32 v19, 31, v23
	v_cmp_gt_i64_e32 vcc, 0, v[2:3]
	v_not_b32_e32 v3, v3
	v_and_b32_e32 v0, v0, v13
	v_and_b32_e32 v1, v1, v16
	v_xor_b32_e32 v13, s3, v19
	v_xor_b32_e32 v16, s2, v19
	v_ashrrev_i32_e32 v3, 31, v3
	v_and_b32_e32 v0, v0, v13
	v_and_b32_e32 v1, v1, v16
	v_xor_b32_e32 v13, vcc_hi, v3
	v_xor_b32_e32 v3, vcc_lo, v3
	v_and_b32_e32 v1, v1, v3
	v_lshlrev_b32_e32 v3, 26, v9
	v_cmp_gt_i64_e32 vcc, 0, v[2:3]
	v_not_b32_e32 v3, v3
	v_ashrrev_i32_e32 v3, 31, v3
	v_and_b32_e32 v0, v0, v13
	v_xor_b32_e32 v13, vcc_hi, v3
	v_xor_b32_e32 v3, vcc_lo, v3
	v_and_b32_e32 v1, v1, v3
	v_lshlrev_b32_e32 v3, 25, v9
	v_cmp_gt_i64_e32 vcc, 0, v[2:3]
	v_not_b32_e32 v3, v3
	v_ashrrev_i32_e32 v3, 31, v3
	v_and_b32_e32 v0, v0, v13
	v_xor_b32_e32 v13, vcc_hi, v3
	v_xor_b32_e32 v3, vcc_lo, v3
	v_and_b32_e32 v0, v0, v13
	v_and_b32_e32 v13, v1, v3
	v_lshlrev_b32_e32 v3, 24, v9
	v_not_b32_e32 v1, v3
	v_cmp_gt_i64_e32 vcc, 0, v[2:3]
	v_ashrrev_i32_e32 v1, 31, v1
	v_xor_b32_e32 v3, vcc_hi, v1
	v_xor_b32_e32 v9, vcc_lo, v1
	v_and_b32_e32 v1, v0, v3
	v_and_b32_e32 v0, v13, v9
	v_mbcnt_lo_u32_b32 v3, v0, 0
	v_mbcnt_hi_u32_b32 v23, v1, v3
	v_cmp_eq_u32_e32 vcc, 0, v23
	v_cmp_ne_u64_e64 s[2:3], 0, v[0:1]
	s_and_b64 s[4:5], s[2:3], vcc
	s_and_saveexec_b64 s[2:3], s[4:5]
	s_cbranch_execz .LBB277_94
; %bb.93:
	v_bcnt_u32_b32 v0, v0, 0
	v_bcnt_u32_b32 v0, v1, v0
	ds_write_b32 v22, v0 offset:64
.LBB277_94:
	s_or_b64 exec, exec, s[2:3]
	v_lshrrev_b32_sdwa v0, s48, v5 dst_sel:DWORD dst_unused:UNUSED_PAD src0_sel:DWORD src1_sel:BYTE_0
	v_and_b32_e32 v0, s17, v0
	v_mul_u32_u24_e32 v1, 17, v0
	v_add_lshl_u32 v26, v30, v1, 2
	v_and_b32_e32 v1, 1, v0
	v_add_co_u32_e32 v3, vcc, -1, v1
	v_addc_co_u32_e64 v13, s[2:3], 0, -1, vcc
	v_cmp_ne_u32_e32 vcc, 0, v1
	v_xor_b32_e32 v3, vcc_lo, v3
	v_xor_b32_e32 v1, vcc_hi, v13
	v_and_b32_e32 v13, exec_lo, v3
	v_lshlrev_b32_e32 v3, 30, v0
	v_cmp_gt_i64_e32 vcc, 0, v[2:3]
	v_not_b32_e32 v3, v3
	v_ashrrev_i32_e32 v3, 31, v3
	v_xor_b32_e32 v16, vcc_hi, v3
	v_xor_b32_e32 v3, vcc_lo, v3
	v_and_b32_e32 v13, v13, v3
	v_lshlrev_b32_e32 v3, 29, v0
	v_cmp_gt_i64_e32 vcc, 0, v[2:3]
	v_not_b32_e32 v3, v3
	v_and_b32_e32 v1, exec_hi, v1
	v_ashrrev_i32_e32 v3, 31, v3
	v_and_b32_e32 v1, v1, v16
	v_xor_b32_e32 v16, vcc_hi, v3
	v_xor_b32_e32 v3, vcc_lo, v3
	v_and_b32_e32 v13, v13, v3
	v_lshlrev_b32_e32 v3, 28, v0
	v_cmp_gt_i64_e32 vcc, 0, v[2:3]
	v_not_b32_e32 v3, v3
	v_ashrrev_i32_e32 v3, 31, v3
	v_and_b32_e32 v1, v1, v16
	v_xor_b32_e32 v16, vcc_hi, v3
	v_xor_b32_e32 v3, vcc_lo, v3
	v_and_b32_e32 v13, v13, v3
	v_lshlrev_b32_e32 v3, 27, v0
	v_cmp_gt_i64_e32 vcc, 0, v[2:3]
	v_not_b32_e32 v3, v3
	;; [unrolled: 8-line block ×4, first 2 shown]
	v_ashrrev_i32_e32 v3, 31, v3
	v_and_b32_e32 v1, v1, v16
	v_xor_b32_e32 v16, vcc_hi, v3
	v_xor_b32_e32 v3, vcc_lo, v3
	v_and_b32_e32 v13, v13, v3
	v_lshlrev_b32_e32 v3, 24, v0
	v_not_b32_e32 v0, v3
	v_cmp_gt_i64_e32 vcc, 0, v[2:3]
	v_ashrrev_i32_e32 v0, 31, v0
	v_xor_b32_e32 v2, vcc_hi, v0
	v_xor_b32_e32 v0, vcc_lo, v0
	; wave barrier
	ds_read_b32 v9, v26 offset:64
	v_and_b32_e32 v1, v1, v16
	v_and_b32_e32 v0, v13, v0
	;; [unrolled: 1-line block ×3, first 2 shown]
	v_mbcnt_lo_u32_b32 v2, v0, 0
	v_mbcnt_hi_u32_b32 v13, v1, v2
	v_cmp_eq_u32_e32 vcc, 0, v13
	v_cmp_ne_u64_e64 s[2:3], 0, v[0:1]
	s_and_b64 s[4:5], s[2:3], vcc
	; wave barrier
	s_and_saveexec_b64 s[2:3], s[4:5]
	s_cbranch_execz .LBB277_96
; %bb.95:
	v_bcnt_u32_b32 v0, v0, 0
	v_bcnt_u32_b32 v0, v1, v0
	s_waitcnt lgkmcnt(0)
	v_add_u32_e32 v0, v9, v0
	ds_write_b32 v26, v0 offset:64
.LBB277_96:
	s_or_b64 exec, exec, s[2:3]
	v_lshrrev_b32_sdwa v0, s48, v6 dst_sel:DWORD dst_unused:UNUSED_PAD src0_sel:DWORD src1_sel:BYTE_0
	v_and_b32_e32 v2, s17, v0
	v_and_b32_e32 v1, 1, v2
	v_add_co_u32_e32 v3, vcc, -1, v1
	v_addc_co_u32_e64 v19, s[2:3], 0, -1, vcc
	v_cmp_ne_u32_e32 vcc, 0, v1
	v_mul_u32_u24_e32 v0, 17, v2
	v_xor_b32_e32 v1, vcc_hi, v19
	v_add_lshl_u32 v29, v30, v0, 2
	v_mov_b32_e32 v0, 0
	v_and_b32_e32 v19, exec_hi, v1
	v_lshlrev_b32_e32 v1, 30, v2
	v_xor_b32_e32 v3, vcc_lo, v3
	v_cmp_gt_i64_e32 vcc, 0, v[0:1]
	v_not_b32_e32 v1, v1
	v_ashrrev_i32_e32 v1, 31, v1
	v_and_b32_e32 v3, exec_lo, v3
	v_xor_b32_e32 v21, vcc_hi, v1
	v_xor_b32_e32 v1, vcc_lo, v1
	v_and_b32_e32 v3, v3, v1
	v_lshlrev_b32_e32 v1, 29, v2
	v_cmp_gt_i64_e32 vcc, 0, v[0:1]
	v_not_b32_e32 v1, v1
	v_ashrrev_i32_e32 v1, 31, v1
	v_and_b32_e32 v19, v19, v21
	v_xor_b32_e32 v21, vcc_hi, v1
	v_xor_b32_e32 v1, vcc_lo, v1
	v_and_b32_e32 v3, v3, v1
	v_lshlrev_b32_e32 v1, 28, v2
	v_cmp_gt_i64_e32 vcc, 0, v[0:1]
	v_not_b32_e32 v1, v1
	v_ashrrev_i32_e32 v1, 31, v1
	v_and_b32_e32 v19, v19, v21
	;; [unrolled: 8-line block ×5, first 2 shown]
	v_xor_b32_e32 v21, vcc_hi, v1
	v_xor_b32_e32 v1, vcc_lo, v1
	v_and_b32_e32 v19, v19, v21
	v_and_b32_e32 v21, v3, v1
	v_lshlrev_b32_e32 v1, 24, v2
	v_cmp_gt_i64_e32 vcc, 0, v[0:1]
	v_not_b32_e32 v1, v1
	v_ashrrev_i32_e32 v1, 31, v1
	v_xor_b32_e32 v2, vcc_hi, v1
	v_xor_b32_e32 v1, vcc_lo, v1
	; wave barrier
	ds_read_b32 v16, v29 offset:64
	v_and_b32_e32 v3, v19, v2
	v_and_b32_e32 v2, v21, v1
	v_mbcnt_lo_u32_b32 v1, v2, 0
	v_mbcnt_hi_u32_b32 v19, v3, v1
	v_cmp_eq_u32_e32 vcc, 0, v19
	v_cmp_ne_u64_e64 s[2:3], 0, v[2:3]
	s_and_b64 s[4:5], s[2:3], vcc
	; wave barrier
	s_and_saveexec_b64 s[2:3], s[4:5]
	s_cbranch_execz .LBB277_98
; %bb.97:
	v_bcnt_u32_b32 v1, v2, 0
	v_bcnt_u32_b32 v1, v3, v1
	s_waitcnt lgkmcnt(0)
	v_add_u32_e32 v1, v16, v1
	ds_write_b32 v29, v1 offset:64
.LBB277_98:
	s_or_b64 exec, exec, s[2:3]
	v_lshrrev_b32_sdwa v1, s48, v7 dst_sel:DWORD dst_unused:UNUSED_PAD src0_sel:DWORD src1_sel:BYTE_0
	v_and_b32_e32 v2, s17, v1
	v_mul_u32_u24_e32 v1, 17, v2
	v_add_lshl_u32 v33, v30, v1, 2
	v_and_b32_e32 v1, 1, v2
	v_add_co_u32_e32 v3, vcc, -1, v1
	v_addc_co_u32_e64 v24, s[2:3], 0, -1, vcc
	v_cmp_ne_u32_e32 vcc, 0, v1
	v_xor_b32_e32 v1, vcc_hi, v24
	v_and_b32_e32 v24, exec_hi, v1
	v_lshlrev_b32_e32 v1, 30, v2
	v_xor_b32_e32 v3, vcc_lo, v3
	v_cmp_gt_i64_e32 vcc, 0, v[0:1]
	v_not_b32_e32 v1, v1
	v_ashrrev_i32_e32 v1, 31, v1
	v_and_b32_e32 v3, exec_lo, v3
	v_xor_b32_e32 v25, vcc_hi, v1
	v_xor_b32_e32 v1, vcc_lo, v1
	v_and_b32_e32 v3, v3, v1
	v_lshlrev_b32_e32 v1, 29, v2
	v_cmp_gt_i64_e32 vcc, 0, v[0:1]
	v_not_b32_e32 v1, v1
	v_ashrrev_i32_e32 v1, 31, v1
	v_and_b32_e32 v24, v24, v25
	v_xor_b32_e32 v25, vcc_hi, v1
	v_xor_b32_e32 v1, vcc_lo, v1
	v_and_b32_e32 v3, v3, v1
	v_lshlrev_b32_e32 v1, 28, v2
	v_cmp_gt_i64_e32 vcc, 0, v[0:1]
	v_not_b32_e32 v1, v1
	v_ashrrev_i32_e32 v1, 31, v1
	v_and_b32_e32 v24, v24, v25
	;; [unrolled: 8-line block ×5, first 2 shown]
	v_xor_b32_e32 v25, vcc_hi, v1
	v_xor_b32_e32 v1, vcc_lo, v1
	v_and_b32_e32 v3, v3, v1
	v_lshlrev_b32_e32 v1, 24, v2
	v_cmp_gt_i64_e32 vcc, 0, v[0:1]
	v_not_b32_e32 v0, v1
	v_ashrrev_i32_e32 v0, 31, v0
	v_xor_b32_e32 v1, vcc_hi, v0
	v_xor_b32_e32 v0, vcc_lo, v0
	; wave barrier
	ds_read_b32 v21, v33 offset:64
	v_and_b32_e32 v24, v24, v25
	v_and_b32_e32 v0, v3, v0
	;; [unrolled: 1-line block ×3, first 2 shown]
	v_mbcnt_lo_u32_b32 v2, v0, 0
	v_mbcnt_hi_u32_b32 v24, v1, v2
	v_cmp_eq_u32_e32 vcc, 0, v24
	v_cmp_ne_u64_e64 s[2:3], 0, v[0:1]
	s_and_b64 s[4:5], s[2:3], vcc
	; wave barrier
	s_and_saveexec_b64 s[2:3], s[4:5]
	s_cbranch_execz .LBB277_100
; %bb.99:
	v_bcnt_u32_b32 v0, v0, 0
	v_bcnt_u32_b32 v0, v1, v0
	s_waitcnt lgkmcnt(0)
	v_add_u32_e32 v0, v21, v0
	ds_write_b32 v33, v0 offset:64
.LBB277_100:
	s_or_b64 exec, exec, s[2:3]
	v_lshrrev_b32_sdwa v0, s48, v11 dst_sel:DWORD dst_unused:UNUSED_PAD src0_sel:DWORD src1_sel:BYTE_0
	v_and_b32_e32 v2, s17, v0
	v_and_b32_e32 v1, 1, v2
	v_add_co_u32_e32 v3, vcc, -1, v1
	v_addc_co_u32_e64 v27, s[2:3], 0, -1, vcc
	v_cmp_ne_u32_e32 vcc, 0, v1
	v_mul_u32_u24_e32 v0, 17, v2
	v_xor_b32_e32 v1, vcc_hi, v27
	v_add_lshl_u32 v35, v30, v0, 2
	v_mov_b32_e32 v0, 0
	v_and_b32_e32 v27, exec_hi, v1
	v_lshlrev_b32_e32 v1, 30, v2
	v_xor_b32_e32 v3, vcc_lo, v3
	v_cmp_gt_i64_e32 vcc, 0, v[0:1]
	v_not_b32_e32 v1, v1
	v_ashrrev_i32_e32 v1, 31, v1
	v_and_b32_e32 v3, exec_lo, v3
	v_xor_b32_e32 v28, vcc_hi, v1
	v_xor_b32_e32 v1, vcc_lo, v1
	v_and_b32_e32 v3, v3, v1
	v_lshlrev_b32_e32 v1, 29, v2
	v_cmp_gt_i64_e32 vcc, 0, v[0:1]
	v_not_b32_e32 v1, v1
	v_ashrrev_i32_e32 v1, 31, v1
	v_and_b32_e32 v27, v27, v28
	v_xor_b32_e32 v28, vcc_hi, v1
	v_xor_b32_e32 v1, vcc_lo, v1
	v_and_b32_e32 v3, v3, v1
	v_lshlrev_b32_e32 v1, 28, v2
	v_cmp_gt_i64_e32 vcc, 0, v[0:1]
	v_not_b32_e32 v1, v1
	v_ashrrev_i32_e32 v1, 31, v1
	v_and_b32_e32 v27, v27, v28
	;; [unrolled: 8-line block ×5, first 2 shown]
	v_xor_b32_e32 v28, vcc_hi, v1
	v_xor_b32_e32 v1, vcc_lo, v1
	v_and_b32_e32 v27, v27, v28
	v_and_b32_e32 v28, v3, v1
	v_lshlrev_b32_e32 v1, 24, v2
	v_cmp_gt_i64_e32 vcc, 0, v[0:1]
	v_not_b32_e32 v1, v1
	v_ashrrev_i32_e32 v1, 31, v1
	v_xor_b32_e32 v2, vcc_hi, v1
	v_xor_b32_e32 v1, vcc_lo, v1
	; wave barrier
	ds_read_b32 v25, v35 offset:64
	v_and_b32_e32 v3, v27, v2
	v_and_b32_e32 v2, v28, v1
	v_mbcnt_lo_u32_b32 v1, v2, 0
	v_mbcnt_hi_u32_b32 v27, v3, v1
	v_cmp_eq_u32_e32 vcc, 0, v27
	v_cmp_ne_u64_e64 s[2:3], 0, v[2:3]
	s_and_b64 s[4:5], s[2:3], vcc
	; wave barrier
	s_and_saveexec_b64 s[2:3], s[4:5]
	s_cbranch_execz .LBB277_102
; %bb.101:
	v_bcnt_u32_b32 v1, v2, 0
	v_bcnt_u32_b32 v1, v3, v1
	s_waitcnt lgkmcnt(0)
	v_add_u32_e32 v1, v25, v1
	ds_write_b32 v35, v1 offset:64
.LBB277_102:
	s_or_b64 exec, exec, s[2:3]
	s_waitcnt vmcnt(2)
	v_lshrrev_b32_sdwa v1, s48, v14 dst_sel:DWORD dst_unused:UNUSED_PAD src0_sel:DWORD src1_sel:BYTE_0
	v_and_b32_e32 v2, s17, v1
	v_mul_u32_u24_e32 v1, 17, v2
	v_add_lshl_u32 v37, v30, v1, 2
	v_and_b32_e32 v1, 1, v2
	v_add_co_u32_e32 v3, vcc, -1, v1
	v_addc_co_u32_e64 v31, s[2:3], 0, -1, vcc
	v_cmp_ne_u32_e32 vcc, 0, v1
	v_xor_b32_e32 v1, vcc_hi, v31
	v_and_b32_e32 v31, exec_hi, v1
	v_lshlrev_b32_e32 v1, 30, v2
	v_xor_b32_e32 v3, vcc_lo, v3
	v_cmp_gt_i64_e32 vcc, 0, v[0:1]
	v_not_b32_e32 v1, v1
	v_ashrrev_i32_e32 v1, 31, v1
	v_and_b32_e32 v3, exec_lo, v3
	v_xor_b32_e32 v32, vcc_hi, v1
	v_xor_b32_e32 v1, vcc_lo, v1
	v_and_b32_e32 v3, v3, v1
	v_lshlrev_b32_e32 v1, 29, v2
	v_cmp_gt_i64_e32 vcc, 0, v[0:1]
	v_not_b32_e32 v1, v1
	v_ashrrev_i32_e32 v1, 31, v1
	v_and_b32_e32 v31, v31, v32
	v_xor_b32_e32 v32, vcc_hi, v1
	v_xor_b32_e32 v1, vcc_lo, v1
	v_and_b32_e32 v3, v3, v1
	v_lshlrev_b32_e32 v1, 28, v2
	v_cmp_gt_i64_e32 vcc, 0, v[0:1]
	v_not_b32_e32 v1, v1
	v_ashrrev_i32_e32 v1, 31, v1
	v_and_b32_e32 v31, v31, v32
	;; [unrolled: 8-line block ×5, first 2 shown]
	v_xor_b32_e32 v32, vcc_hi, v1
	v_xor_b32_e32 v1, vcc_lo, v1
	v_and_b32_e32 v3, v3, v1
	v_lshlrev_b32_e32 v1, 24, v2
	v_cmp_gt_i64_e32 vcc, 0, v[0:1]
	v_not_b32_e32 v0, v1
	v_ashrrev_i32_e32 v0, 31, v0
	v_xor_b32_e32 v1, vcc_hi, v0
	v_xor_b32_e32 v0, vcc_lo, v0
	; wave barrier
	ds_read_b32 v28, v37 offset:64
	v_and_b32_e32 v31, v31, v32
	v_and_b32_e32 v0, v3, v0
	;; [unrolled: 1-line block ×3, first 2 shown]
	v_mbcnt_lo_u32_b32 v2, v0, 0
	v_mbcnt_hi_u32_b32 v31, v1, v2
	v_cmp_eq_u32_e32 vcc, 0, v31
	v_cmp_ne_u64_e64 s[2:3], 0, v[0:1]
	s_and_b64 s[4:5], s[2:3], vcc
	; wave barrier
	s_and_saveexec_b64 s[2:3], s[4:5]
	s_cbranch_execz .LBB277_104
; %bb.103:
	v_bcnt_u32_b32 v0, v0, 0
	v_bcnt_u32_b32 v0, v1, v0
	s_waitcnt lgkmcnt(0)
	v_add_u32_e32 v0, v28, v0
	ds_write_b32 v37, v0 offset:64
.LBB277_104:
	s_or_b64 exec, exec, s[2:3]
	s_waitcnt vmcnt(1)
	v_lshrrev_b32_sdwa v0, s48, v15 dst_sel:DWORD dst_unused:UNUSED_PAD src0_sel:DWORD src1_sel:BYTE_0
	v_and_b32_e32 v2, s17, v0
	v_and_b32_e32 v1, 1, v2
	v_add_co_u32_e32 v3, vcc, -1, v1
	v_addc_co_u32_e64 v34, s[2:3], 0, -1, vcc
	v_cmp_ne_u32_e32 vcc, 0, v1
	v_mul_u32_u24_e32 v0, 17, v2
	v_xor_b32_e32 v1, vcc_hi, v34
	v_add_lshl_u32 v38, v30, v0, 2
	v_mov_b32_e32 v0, 0
	v_and_b32_e32 v34, exec_hi, v1
	v_lshlrev_b32_e32 v1, 30, v2
	v_xor_b32_e32 v3, vcc_lo, v3
	v_cmp_gt_i64_e32 vcc, 0, v[0:1]
	v_not_b32_e32 v1, v1
	v_ashrrev_i32_e32 v1, 31, v1
	v_and_b32_e32 v3, exec_lo, v3
	v_xor_b32_e32 v36, vcc_hi, v1
	v_xor_b32_e32 v1, vcc_lo, v1
	v_and_b32_e32 v3, v3, v1
	v_lshlrev_b32_e32 v1, 29, v2
	v_cmp_gt_i64_e32 vcc, 0, v[0:1]
	v_not_b32_e32 v1, v1
	v_ashrrev_i32_e32 v1, 31, v1
	v_and_b32_e32 v34, v34, v36
	v_xor_b32_e32 v36, vcc_hi, v1
	v_xor_b32_e32 v1, vcc_lo, v1
	v_and_b32_e32 v3, v3, v1
	v_lshlrev_b32_e32 v1, 28, v2
	v_cmp_gt_i64_e32 vcc, 0, v[0:1]
	v_not_b32_e32 v1, v1
	v_ashrrev_i32_e32 v1, 31, v1
	v_and_b32_e32 v34, v34, v36
	;; [unrolled: 8-line block ×5, first 2 shown]
	v_xor_b32_e32 v36, vcc_hi, v1
	v_xor_b32_e32 v1, vcc_lo, v1
	v_and_b32_e32 v34, v34, v36
	v_and_b32_e32 v36, v3, v1
	v_lshlrev_b32_e32 v1, 24, v2
	v_cmp_gt_i64_e32 vcc, 0, v[0:1]
	v_not_b32_e32 v1, v1
	v_ashrrev_i32_e32 v1, 31, v1
	v_xor_b32_e32 v2, vcc_hi, v1
	v_xor_b32_e32 v1, vcc_lo, v1
	; wave barrier
	ds_read_b32 v32, v38 offset:64
	v_and_b32_e32 v3, v34, v2
	v_and_b32_e32 v2, v36, v1
	v_mbcnt_lo_u32_b32 v1, v2, 0
	v_mbcnt_hi_u32_b32 v34, v3, v1
	v_cmp_eq_u32_e32 vcc, 0, v34
	v_cmp_ne_u64_e64 s[2:3], 0, v[2:3]
	s_and_b64 s[4:5], s[2:3], vcc
	; wave barrier
	s_and_saveexec_b64 s[2:3], s[4:5]
	s_cbranch_execz .LBB277_106
; %bb.105:
	v_bcnt_u32_b32 v1, v2, 0
	v_bcnt_u32_b32 v1, v3, v1
	s_waitcnt lgkmcnt(0)
	v_add_u32_e32 v1, v32, v1
	ds_write_b32 v38, v1 offset:64
.LBB277_106:
	s_or_b64 exec, exec, s[2:3]
	s_waitcnt vmcnt(0)
	v_lshrrev_b32_sdwa v1, s48, v17 dst_sel:DWORD dst_unused:UNUSED_PAD src0_sel:DWORD src1_sel:BYTE_0
	v_and_b32_e32 v2, s17, v1
	v_mul_u32_u24_e32 v1, 17, v2
	v_add_lshl_u32 v39, v30, v1, 2
	v_and_b32_e32 v1, 1, v2
	v_add_co_u32_e32 v3, vcc, -1, v1
	v_addc_co_u32_e64 v36, s[2:3], 0, -1, vcc
	v_cmp_ne_u32_e32 vcc, 0, v1
	v_xor_b32_e32 v1, vcc_hi, v36
	v_and_b32_e32 v36, exec_hi, v1
	v_lshlrev_b32_e32 v1, 30, v2
	v_xor_b32_e32 v3, vcc_lo, v3
	v_cmp_gt_i64_e32 vcc, 0, v[0:1]
	v_not_b32_e32 v1, v1
	v_ashrrev_i32_e32 v1, 31, v1
	v_and_b32_e32 v3, exec_lo, v3
	v_xor_b32_e32 v40, vcc_hi, v1
	v_xor_b32_e32 v1, vcc_lo, v1
	v_and_b32_e32 v3, v3, v1
	v_lshlrev_b32_e32 v1, 29, v2
	v_cmp_gt_i64_e32 vcc, 0, v[0:1]
	v_not_b32_e32 v1, v1
	v_ashrrev_i32_e32 v1, 31, v1
	v_and_b32_e32 v36, v36, v40
	v_xor_b32_e32 v40, vcc_hi, v1
	v_xor_b32_e32 v1, vcc_lo, v1
	v_and_b32_e32 v3, v3, v1
	v_lshlrev_b32_e32 v1, 28, v2
	v_cmp_gt_i64_e32 vcc, 0, v[0:1]
	v_not_b32_e32 v1, v1
	v_ashrrev_i32_e32 v1, 31, v1
	v_and_b32_e32 v36, v36, v40
	;; [unrolled: 8-line block ×5, first 2 shown]
	v_xor_b32_e32 v40, vcc_hi, v1
	v_xor_b32_e32 v1, vcc_lo, v1
	v_and_b32_e32 v3, v3, v1
	v_lshlrev_b32_e32 v1, 24, v2
	v_cmp_gt_i64_e32 vcc, 0, v[0:1]
	v_not_b32_e32 v0, v1
	v_ashrrev_i32_e32 v0, 31, v0
	v_xor_b32_e32 v1, vcc_hi, v0
	v_xor_b32_e32 v0, vcc_lo, v0
	; wave barrier
	ds_read_b32 v30, v39 offset:64
	v_and_b32_e32 v36, v36, v40
	v_and_b32_e32 v0, v3, v0
	;; [unrolled: 1-line block ×3, first 2 shown]
	v_mbcnt_lo_u32_b32 v2, v0, 0
	v_mbcnt_hi_u32_b32 v36, v1, v2
	v_cmp_eq_u32_e32 vcc, 0, v36
	v_cmp_ne_u64_e64 s[2:3], 0, v[0:1]
	v_add_u32_e32 v41, 64, v20
	s_and_b64 s[4:5], s[2:3], vcc
	; wave barrier
	s_and_saveexec_b64 s[2:3], s[4:5]
	s_cbranch_execz .LBB277_108
; %bb.107:
	v_bcnt_u32_b32 v0, v0, 0
	v_bcnt_u32_b32 v0, v1, v0
	s_waitcnt lgkmcnt(0)
	v_add_u32_e32 v0, v30, v0
	ds_write_b32 v39, v0 offset:64
.LBB277_108:
	s_or_b64 exec, exec, s[2:3]
	; wave barrier
	s_waitcnt lgkmcnt(0)
	s_barrier
	ds_read2_b32 v[2:3], v20 offset0:16 offset1:17
	ds_read2_b32 v[0:1], v41 offset0:2 offset1:3
	ds_read_b32 v40, v41 offset:16
	v_cmp_lt_u32_e64 s[8:9], 31, v18
	s_waitcnt lgkmcnt(1)
	v_add3_u32 v42, v3, v2, v0
	s_waitcnt lgkmcnt(0)
	v_add3_u32 v40, v42, v1, v40
	v_and_b32_e32 v42, 15, v18
	v_cmp_eq_u32_e32 vcc, 0, v42
	v_mov_b32_dpp v43, v40 row_shr:1 row_mask:0xf bank_mask:0xf
	v_cndmask_b32_e64 v43, v43, 0, vcc
	v_add_u32_e32 v40, v43, v40
	v_cmp_lt_u32_e64 s[2:3], 1, v42
	v_cmp_lt_u32_e64 s[4:5], 3, v42
	v_mov_b32_dpp v43, v40 row_shr:2 row_mask:0xf bank_mask:0xf
	v_cndmask_b32_e64 v43, 0, v43, s[2:3]
	v_add_u32_e32 v40, v40, v43
	v_cmp_lt_u32_e64 s[6:7], 7, v42
	s_nop 0
	v_mov_b32_dpp v43, v40 row_shr:4 row_mask:0xf bank_mask:0xf
	v_cndmask_b32_e64 v43, 0, v43, s[4:5]
	v_add_u32_e32 v40, v40, v43
	s_nop 1
	v_mov_b32_dpp v43, v40 row_shr:8 row_mask:0xf bank_mask:0xf
	v_cndmask_b32_e64 v42, 0, v43, s[6:7]
	v_add_u32_e32 v40, v40, v42
	v_bfe_i32 v43, v18, 4, 1
	s_nop 0
	v_mov_b32_dpp v42, v40 row_bcast:15 row_mask:0xf bank_mask:0xf
	v_and_b32_e32 v42, v43, v42
	v_add_u32_e32 v40, v40, v42
	v_lshrrev_b32_e32 v43, 6, v10
	s_nop 0
	v_mov_b32_dpp v42, v40 row_bcast:31 row_mask:0xf bank_mask:0xf
	v_cndmask_b32_e64 v42, 0, v42, s[8:9]
	v_add_u32_e32 v42, v40, v42
	v_and_b32_e32 v40, 63, v10
	v_cmp_eq_u32_e64 s[8:9], 63, v40
	s_and_saveexec_b64 s[14:15], s[8:9]
	s_cbranch_execz .LBB277_110
; %bb.109:
	v_lshlrev_b32_e32 v40, 2, v43
	ds_write_b32 v40, v42
.LBB277_110:
	s_or_b64 exec, exec, s[14:15]
	v_cmp_gt_u32_e64 s[8:9], 16, v10
	v_lshlrev_b32_e32 v40, 2, v10
	s_waitcnt lgkmcnt(0)
	s_barrier
	s_and_saveexec_b64 s[14:15], s[8:9]
	s_cbranch_execz .LBB277_112
; %bb.111:
	ds_read_b32 v44, v40
	s_waitcnt lgkmcnt(0)
	s_nop 0
	v_mov_b32_dpp v45, v44 row_shr:1 row_mask:0xf bank_mask:0xf
	v_cndmask_b32_e64 v45, v45, 0, vcc
	v_add_u32_e32 v44, v45, v44
	s_nop 1
	v_mov_b32_dpp v45, v44 row_shr:2 row_mask:0xf bank_mask:0xf
	v_cndmask_b32_e64 v45, 0, v45, s[2:3]
	v_add_u32_e32 v44, v44, v45
	s_nop 1
	v_mov_b32_dpp v45, v44 row_shr:4 row_mask:0xf bank_mask:0xf
	v_cndmask_b32_e64 v45, 0, v45, s[4:5]
	;; [unrolled: 4-line block ×3, first 2 shown]
	v_add_u32_e32 v44, v44, v45
	ds_write_b32 v40, v44
.LBB277_112:
	s_or_b64 exec, exec, s[14:15]
	v_cmp_lt_u32_e32 vcc, 63, v10
	v_mov_b32_e32 v44, 0
	s_waitcnt lgkmcnt(0)
	s_barrier
	s_and_saveexec_b64 s[2:3], vcc
	s_cbranch_execz .LBB277_114
; %bb.113:
	v_lshl_add_u32 v43, v43, 2, -4
	ds_read_b32 v44, v43
.LBB277_114:
	s_or_b64 exec, exec, s[2:3]
	v_add_u32_e32 v43, -1, v18
	v_and_b32_e32 v45, 64, v18
	v_cmp_lt_i32_e32 vcc, v43, v45
	v_cndmask_b32_e32 v43, v43, v18, vcc
	s_waitcnt lgkmcnt(0)
	v_add_u32_e32 v42, v44, v42
	v_lshlrev_b32_e32 v43, 2, v43
	ds_bpermute_b32 v42, v43, v42
	v_cmp_eq_u32_e32 vcc, 0, v18
	s_movk_i32 s2, 0xff
	s_movk_i32 s3, 0x100
	s_waitcnt lgkmcnt(0)
	v_cndmask_b32_e32 v18, v42, v44, vcc
	v_cndmask_b32_e64 v18, v18, 0, s[0:1]
	v_add_u32_e32 v2, v18, v2
	v_add_u32_e32 v3, v2, v3
	;; [unrolled: 1-line block ×4, first 2 shown]
	ds_write2_b32 v20, v18, v2 offset0:16 offset1:17
	ds_write2_b32 v41, v3, v0 offset0:2 offset1:3
	ds_write_b32 v41, v1 offset:16
	s_waitcnt lgkmcnt(0)
	s_barrier
	ds_read_b32 v0, v22 offset:64
	ds_read_b32 v18, v26 offset:64
	;; [unrolled: 1-line block ×8, first 2 shown]
	v_cmp_lt_u32_e64 s[0:1], s2, v10
	v_cmp_gt_u32_e32 vcc, s3, v10
                                        ; implicit-def: $vgpr33
                                        ; implicit-def: $vgpr35
	s_and_saveexec_b64 s[4:5], vcc
	s_cbranch_execz .LBB277_118
; %bb.115:
	v_mul_u32_u24_e32 v1, 17, v10
	v_lshlrev_b32_e32 v2, 2, v1
	ds_read_b32 v33, v2 offset:64
	v_cmp_ne_u32_e64 s[2:3], s2, v10
	v_mov_b32_e32 v1, 0x2000
	s_and_saveexec_b64 s[6:7], s[2:3]
	s_cbranch_execz .LBB277_117
; %bb.116:
	ds_read_b32 v1, v2 offset:132
.LBB277_117:
	s_or_b64 exec, exec, s[6:7]
	s_waitcnt lgkmcnt(0)
	v_sub_u32_e32 v35, v1, v33
.LBB277_118:
	s_or_b64 exec, exec, s[4:5]
	s_waitcnt lgkmcnt(7)
	v_add_u32_e32 v37, v0, v23
	s_waitcnt lgkmcnt(6)
	v_add3_u32 v0, v13, v9, v18
	s_waitcnt lgkmcnt(5)
	v_add3_u32 v1, v19, v16, v20
	;; [unrolled: 2-line block ×7, first 2 shown]
	s_barrier
	ds_write_b8 v37, v4 offset:1024
	ds_write_b8 v0, v5 offset:1024
	;; [unrolled: 1-line block ×8, first 2 shown]
                                        ; implicit-def: $vgpr14_vgpr15
	s_and_saveexec_b64 s[2:3], s[0:1]
	s_xor_b64 s[0:1], exec, s[2:3]
; %bb.119:
	v_mov_b32_e32 v11, 0
	v_pk_mov_b32 v[14:15], v[10:11], v[10:11] op_sel:[0,1]
                                        ; implicit-def: $vgpr40
; %bb.120:
	s_andn2_saveexec_b64 s[2:3], s[0:1]
	s_cbranch_execz .LBB277_130
; %bb.121:
	v_lshl_or_b32 v0, s33, 8, v10
	v_mov_b32_e32 v1, 0
	v_lshlrev_b64 v[2:3], 2, v[0:1]
	v_mov_b32_e32 v6, s31
	v_add_co_u32_e64 v2, s[0:1], s30, v2
	v_addc_co_u32_e64 v3, s[0:1], v6, v3, s[0:1]
	v_or_b32_e32 v0, 2.0, v35
	s_mov_b64 s[4:5], 0
	s_brev_b32 s14, 1
	s_mov_b32 s15, s33
	v_mov_b32_e32 v7, 0
	global_store_dword v[2:3], v0, off
                                        ; implicit-def: $sgpr0_sgpr1
	s_branch .LBB277_124
.LBB277_122:                            ;   in Loop: Header=BB277_124 Depth=1
	s_or_b64 exec, exec, s[8:9]
.LBB277_123:                            ;   in Loop: Header=BB277_124 Depth=1
	s_or_b64 exec, exec, s[6:7]
	v_and_b32_e32 v4, 0x3fffffff, v11
	v_add_u32_e32 v7, v4, v7
	v_cmp_eq_u32_e64 s[0:1], s14, v0
	s_and_b64 s[6:7], exec, s[0:1]
	s_or_b64 s[4:5], s[6:7], s[4:5]
	s_andn2_b64 exec, exec, s[4:5]
	s_cbranch_execz .LBB277_129
.LBB277_124:                            ; =>This Loop Header: Depth=1
                                        ;     Child Loop BB277_127 Depth 2
	s_or_b64 s[0:1], s[0:1], exec
	s_cmp_eq_u32 s15, 0
	s_cbranch_scc1 .LBB277_128
; %bb.125:                              ;   in Loop: Header=BB277_124 Depth=1
	s_add_i32 s15, s15, -1
	v_lshl_or_b32 v0, s15, 8, v10
	v_lshlrev_b64 v[4:5], 2, v[0:1]
	v_add_co_u32_e64 v4, s[0:1], s30, v4
	v_addc_co_u32_e64 v5, s[0:1], v6, v5, s[0:1]
	global_load_dword v11, v[4:5], off glc
	s_waitcnt vmcnt(0)
	v_and_b32_e32 v0, -2.0, v11
	v_cmp_eq_u32_e64 s[0:1], 0, v0
	s_and_saveexec_b64 s[6:7], s[0:1]
	s_cbranch_execz .LBB277_123
; %bb.126:                              ;   in Loop: Header=BB277_124 Depth=1
	s_mov_b64 s[8:9], 0
.LBB277_127:                            ;   Parent Loop BB277_124 Depth=1
                                        ; =>  This Inner Loop Header: Depth=2
	global_load_dword v11, v[4:5], off glc
	s_waitcnt vmcnt(0)
	v_and_b32_e32 v0, -2.0, v11
	v_cmp_ne_u32_e64 s[0:1], 0, v0
	s_or_b64 s[8:9], s[0:1], s[8:9]
	s_andn2_b64 exec, exec, s[8:9]
	s_cbranch_execnz .LBB277_127
	s_branch .LBB277_122
.LBB277_128:                            ;   in Loop: Header=BB277_124 Depth=1
                                        ; implicit-def: $sgpr15
	s_and_b64 s[6:7], exec, s[0:1]
	s_or_b64 s[4:5], s[6:7], s[4:5]
	s_andn2_b64 exec, exec, s[4:5]
	s_cbranch_execnz .LBB277_124
.LBB277_129:
	s_or_b64 exec, exec, s[4:5]
	v_add_u32_e32 v0, v7, v35
	v_or_b32_e32 v0, 0x80000000, v0
	global_store_dword v[2:3], v0, off
	global_load_dword v0, v40, s[44:45]
	v_mov_b32_e32 v11, 0
	v_sub_u32_e32 v1, v7, v33
	v_pk_mov_b32 v[14:15], v[10:11], v[10:11] op_sel:[0,1]
	s_waitcnt vmcnt(0)
	v_add_u32_e32 v0, v1, v0
	ds_write_b32 v40, v0
.LBB277_130:
	s_or_b64 exec, exec, s[2:3]
	s_waitcnt lgkmcnt(0)
	s_barrier
	ds_read_u8 v11, v14 offset:1024
	ds_read_u8 v17, v10 offset:2048
	;; [unrolled: 1-line block ×8, first 2 shown]
	s_waitcnt lgkmcnt(7)
	v_lshrrev_b32_sdwa v0, s48, v11 dst_sel:DWORD dst_unused:UNUSED_PAD src0_sel:DWORD src1_sel:BYTE_0
	v_and_b32_e32 v0, s17, v0
	s_waitcnt lgkmcnt(6)
	v_lshrrev_b32_sdwa v1, s48, v17 dst_sel:DWORD dst_unused:UNUSED_PAD src0_sel:DWORD src1_sel:BYTE_0
	v_lshlrev_b32_e32 v2, 2, v0
	v_and_b32_e32 v1, s17, v1
	s_waitcnt lgkmcnt(5)
	v_lshrrev_b32_sdwa v4, s48, v23 dst_sel:DWORD dst_unused:UNUSED_PAD src0_sel:DWORD src1_sel:BYTE_0
	v_lshlrev_b32_e32 v3, 2, v1
	ds_read_b32 v45, v2
	ds_read_b32 v46, v3
	v_and_b32_e32 v2, s17, v4
	v_lshlrev_b32_e32 v3, 2, v2
	ds_read_b32 v47, v3
	s_waitcnt lgkmcnt(7)
	v_lshrrev_b32_sdwa v3, s48, v40 dst_sel:DWORD dst_unused:UNUSED_PAD src0_sel:DWORD src1_sel:BYTE_0
	v_and_b32_e32 v3, s17, v3
	v_lshlrev_b32_e32 v4, 2, v3
	ds_read_b32 v48, v4
	s_waitcnt lgkmcnt(7)
	v_lshrrev_b32_sdwa v4, s48, v41 dst_sel:DWORD dst_unused:UNUSED_PAD src0_sel:DWORD src1_sel:BYTE_0
	;; [unrolled: 5-line block ×5, first 2 shown]
	v_and_b32_e32 v7, s17, v7
	s_waitcnt lgkmcnt(6)
	v_add_u32_e32 v45, v45, v10
	s_movk_i32 s2, 0x400
	v_lshlrev_b32_e32 v52, 2, v7
	global_store_byte v45, v11, s[38:39]
	s_waitcnt lgkmcnt(5)
	v_add3_u32 v11, v46, v10, s2
	s_movk_i32 s0, 0x800
	ds_read_b32 v52, v52
	global_store_byte v11, v17, s[38:39]
	s_waitcnt lgkmcnt(5)
	v_add3_u32 v11, v47, v10, s0
	s_movk_i32 s0, 0xc00
	global_store_byte v11, v23, s[38:39]
	s_waitcnt lgkmcnt(4)
	v_add3_u32 v11, v48, v10, s0
	s_movk_i32 s0, 0x1000
	;; [unrolled: 4-line block ×5, first 2 shown]
	global_store_byte v11, v43, s[38:39]
	s_waitcnt lgkmcnt(0)
	v_add3_u32 v11, v52, v10, s0
	s_lshl_b64 s[0:1], s[12:13], 3
	s_add_u32 s0, s40, s0
	global_store_byte v11, v44, s[38:39]
	v_add3_u32 v11, v36, v39, v30
	v_add3_u32 v30, v34, v38, v32
	;; [unrolled: 1-line block ×3, first 2 shown]
	v_lshlrev_b32_e32 v9, 3, v12
	s_addc_u32 s1, s41, s1
	v_mov_b32_e32 v12, s1
	v_add_co_u32_e64 v9, s[0:1], s0, v9
	v_lshlrev_b32_e32 v8, 3, v8
	v_addc_co_u32_e64 v12, s[0:1], 0, v12, s[0:1]
	v_add3_u32 v31, v31, v29, v28
	v_add_co_u32_e64 v28, s[0:1], v9, v8
	v_addc_co_u32_e64 v29, s[0:1], 0, v12, s[0:1]
	v_or_b32_e32 v8, 0x400, v10
	v_mul_u32_u24_e32 v9, 7, v10
	v_add3_u32 v32, v27, v26, v25
	v_add3_u32 v34, v24, v22, v21
	;; [unrolled: 1-line block ×3, first 2 shown]
	v_add_u32_e32 v39, v8, v9
	global_load_dwordx2 v[8:9], v[28:29], off
	global_load_dwordx2 v[12:13], v[28:29], off offset:512
	global_load_dwordx2 v[16:17], v[28:29], off offset:1024
	;; [unrolled: 1-line block ×7, first 2 shown]
	s_mov_b32 s3, 0
	s_mov_b32 s4, 1
	v_lshlrev_b32_e32 v40, 3, v14
	v_mov_b32_e32 v29, 0
	s_barrier
	s_waitcnt vmcnt(0)
.LBB277_131:                            ; =>This Inner Loop Header: Depth=1
	v_add_u32_e32 v28, s3, v37
	v_min_u32_e32 v28, 0x800, v28
	v_lshlrev_b32_e32 v28, 3, v28
	ds_write_b64 v28, v[8:9] offset:1024
	v_add_u32_e32 v28, s3, v38
	v_min_u32_e32 v28, 0x800, v28
	v_lshlrev_b32_e32 v28, 3, v28
	ds_write_b64 v28, v[12:13] offset:1024
	v_add_u32_e32 v28, s3, v36
	v_min_u32_e32 v28, 0x800, v28
	v_lshlrev_b32_e32 v28, 3, v28
	ds_write_b64 v28, v[16:17] offset:1024
	v_add_u32_e32 v28, s3, v34
	v_min_u32_e32 v28, 0x800, v28
	v_lshlrev_b32_e32 v28, 3, v28
	ds_write_b64 v28, v[18:19] offset:1024
	v_add_u32_e32 v28, s3, v32
	v_min_u32_e32 v28, 0x800, v28
	v_lshlrev_b32_e32 v28, 3, v28
	ds_write_b64 v28, v[20:21] offset:1024
	v_add_u32_e32 v28, s3, v31
	v_min_u32_e32 v28, 0x800, v28
	v_lshlrev_b32_e32 v28, 3, v28
	ds_write_b64 v28, v[22:23] offset:1024
	v_add_u32_e32 v28, s3, v30
	v_min_u32_e32 v28, 0x800, v28
	v_lshlrev_b32_e32 v28, 3, v28
	ds_write_b64 v28, v[24:25] offset:1024
	v_add_u32_e32 v28, s3, v11
	s_add_i32 s5, s4, -1
	v_min_u32_e32 v28, 0x800, v28
	s_cmp_eq_u32 s5, 1
	v_lshlrev_b32_e32 v28, 3, v28
	s_cselect_b64 s[0:1], -1, 0
	s_cmp_eq_u32 s5, 2
	ds_write_b64 v28, v[26:27] offset:1024
	v_cndmask_b32_e64 v28, v0, v1, s[0:1]
	s_cselect_b64 s[0:1], -1, 0
	s_cmp_eq_u32 s5, 3
	v_cndmask_b32_e64 v28, v28, v2, s[0:1]
	s_cselect_b64 s[0:1], -1, 0
	s_cmp_eq_u32 s5, 4
	;; [unrolled: 3-line block ×10, first 2 shown]
	v_lshlrev_b32_e32 v28, 2, v28
	v_cndmask_b32_e64 v41, v41, v4, s[0:1]
	s_cselect_b64 s[0:1], -1, 0
	s_cmp_eq_u32 s4, 6
	s_waitcnt lgkmcnt(0)
	s_barrier
	ds_read_b32 v28, v28
	v_cndmask_b32_e64 v41, v41, v5, s[0:1]
	s_cselect_b64 s[0:1], -1, 0
	s_cmp_eq_u32 s4, 7
	v_cndmask_b32_e64 v41, v41, v6, s[0:1]
	s_cselect_b64 s[0:1], -1, 0
	v_cndmask_b32_e64 v41, v41, v7, s[0:1]
	v_lshlrev_b32_e32 v41, 2, v41
	ds_read_b32 v41, v41
	ds_read_b64 v[42:43], v39 offset:8192
	ds_read_b64 v[46:47], v40 offset:1024
	s_waitcnt lgkmcnt(3)
	v_add_u32_e32 v28, v10, v28
	v_lshlrev_b64 v[44:45], 3, v[28:29]
	v_mov_b32_e32 v48, s43
	v_add_co_u32_e64 v44, s[0:1], s42, v44
	v_addc_co_u32_e64 v45, s[0:1], v48, v45, s[0:1]
	s_waitcnt lgkmcnt(2)
	v_add3_u32 v28, v10, v41, s2
	s_waitcnt lgkmcnt(0)
	global_store_dwordx2 v[44:45], v[46:47], off
	v_lshlrev_b64 v[44:45], 3, v[28:29]
	v_add_co_u32_e64 v44, s[0:1], s42, v44
	s_addk_i32 s3, 0xf800
	s_add_i32 s4, s4, 2
	v_addc_co_u32_e64 v45, s[0:1], v48, v45, s[0:1]
	s_cmpk_lg_i32 s3, 0xe000
	v_add_u32_e32 v10, 0x800, v10
	global_store_dwordx2 v[44:45], v[42:43], off
	s_barrier
	s_cbranch_scc1 .LBB277_131
; %bb.132:
	s_add_i32 s16, s16, -1
	s_cmp_eq_u32 s16, s33
	s_cselect_b64 s[0:1], -1, 0
	s_and_b64 s[2:3], vcc, s[0:1]
                                        ; implicit-def: $vgpr2
	s_and_saveexec_b64 s[0:1], s[2:3]
; %bb.133:
	v_add_u32_e32 v2, v33, v35
	s_or_b64 s[10:11], s[10:11], exec
; %bb.134:
	s_or_b64 exec, exec, s[0:1]
	v_mov_b32_e32 v10, v14
.LBB277_135:
	s_and_saveexec_b64 s[0:1], s[10:11]
	s_cbranch_execnz .LBB277_137
; %bb.136:
	s_endpgm
.LBB277_137:
	v_lshlrev_b32_e32 v3, 2, v10
	ds_read_b32 v3, v3
	v_lshlrev_b64 v[0:1], 2, v[14:15]
	v_mov_b32_e32 v4, s47
	v_add_co_u32_e32 v0, vcc, s46, v0
	v_addc_co_u32_e32 v1, vcc, v4, v1, vcc
	s_waitcnt lgkmcnt(0)
	v_add_u32_e32 v2, v3, v2
	global_store_dword v[0:1], v2, off
	s_endpgm
.LBB277_138:
	global_load_dwordx2 v[12:13], v[28:29], off
	s_or_b64 exec, exec, s[20:21]
                                        ; implicit-def: $vgpr14_vgpr15
	s_and_saveexec_b64 s[20:21], s[2:3]
	s_cbranch_execz .LBB277_75
.LBB277_139:
	global_load_dwordx2 v[14:15], v[28:29], off offset:512
	s_or_b64 exec, exec, s[20:21]
                                        ; implicit-def: $vgpr16_vgpr17
	s_and_saveexec_b64 s[2:3], s[26:27]
	s_cbranch_execz .LBB277_76
.LBB277_140:
	global_load_dwordx2 v[16:17], v[28:29], off offset:1024
	s_or_b64 exec, exec, s[2:3]
                                        ; implicit-def: $vgpr18_vgpr19
	s_and_saveexec_b64 s[2:3], s[8:9]
	s_cbranch_execz .LBB277_77
.LBB277_141:
	global_load_dwordx2 v[18:19], v[28:29], off offset:1536
	s_or_b64 exec, exec, s[2:3]
                                        ; implicit-def: $vgpr20_vgpr21
	s_and_saveexec_b64 s[2:3], s[10:11]
	s_cbranch_execz .LBB277_78
.LBB277_142:
	global_load_dwordx2 v[20:21], v[28:29], off offset:2048
	s_or_b64 exec, exec, s[2:3]
                                        ; implicit-def: $vgpr22_vgpr23
	s_and_saveexec_b64 s[2:3], s[12:13]
	s_cbranch_execz .LBB277_79
.LBB277_143:
	global_load_dwordx2 v[22:23], v[28:29], off offset:2560
	s_or_b64 exec, exec, s[2:3]
                                        ; implicit-def: $vgpr24_vgpr25
	s_and_saveexec_b64 s[2:3], s[14:15]
	s_cbranch_execz .LBB277_80
.LBB277_144:
	global_load_dwordx2 v[24:25], v[28:29], off offset:3072
	s_or_b64 exec, exec, s[2:3]
                                        ; implicit-def: $vgpr26_vgpr27
	s_and_saveexec_b64 s[2:3], s[16:17]
	s_cbranch_execnz .LBB277_81
	s_branch .LBB277_82
	.section	.rodata,"a",@progbits
	.p2align	6, 0x0
	.amdhsa_kernel _ZN7rocprim17ROCPRIM_400000_NS6detail17trampoline_kernelINS0_14default_configENS1_35radix_sort_onesweep_config_selectorIhlEEZZNS1_29radix_sort_onesweep_iterationIS3_Lb0EPhS7_N6thrust23THRUST_200600_302600_NS10device_ptrIlEESB_jNS0_19identity_decomposerENS1_16block_id_wrapperIjLb1EEEEE10hipError_tT1_PNSt15iterator_traitsISG_E10value_typeET2_T3_PNSH_ISM_E10value_typeET4_T5_PSR_SS_PNS1_23onesweep_lookback_stateEbbT6_jjT7_P12ihipStream_tbENKUlT_T0_SG_SL_E_clIS7_S7_SB_PlEEDaSZ_S10_SG_SL_EUlSZ_E_NS1_11comp_targetILNS1_3genE4ELNS1_11target_archE910ELNS1_3gpuE8ELNS1_3repE0EEENS1_47radix_sort_onesweep_sort_config_static_selectorELNS0_4arch9wavefront6targetE1EEEvSG_
		.amdhsa_group_segment_fixed_size 20552
		.amdhsa_private_segment_fixed_size 0
		.amdhsa_kernarg_size 344
		.amdhsa_user_sgpr_count 6
		.amdhsa_user_sgpr_private_segment_buffer 1
		.amdhsa_user_sgpr_dispatch_ptr 0
		.amdhsa_user_sgpr_queue_ptr 0
		.amdhsa_user_sgpr_kernarg_segment_ptr 1
		.amdhsa_user_sgpr_dispatch_id 0
		.amdhsa_user_sgpr_flat_scratch_init 0
		.amdhsa_user_sgpr_kernarg_preload_length 0
		.amdhsa_user_sgpr_kernarg_preload_offset 0
		.amdhsa_user_sgpr_private_segment_size 0
		.amdhsa_uses_dynamic_stack 0
		.amdhsa_system_sgpr_private_segment_wavefront_offset 0
		.amdhsa_system_sgpr_workgroup_id_x 1
		.amdhsa_system_sgpr_workgroup_id_y 0
		.amdhsa_system_sgpr_workgroup_id_z 0
		.amdhsa_system_sgpr_workgroup_info 0
		.amdhsa_system_vgpr_workitem_id 2
		.amdhsa_next_free_vgpr 55
		.amdhsa_next_free_sgpr 56
		.amdhsa_accum_offset 56
		.amdhsa_reserve_vcc 1
		.amdhsa_reserve_flat_scratch 0
		.amdhsa_float_round_mode_32 0
		.amdhsa_float_round_mode_16_64 0
		.amdhsa_float_denorm_mode_32 3
		.amdhsa_float_denorm_mode_16_64 3
		.amdhsa_dx10_clamp 1
		.amdhsa_ieee_mode 1
		.amdhsa_fp16_overflow 0
		.amdhsa_tg_split 0
		.amdhsa_exception_fp_ieee_invalid_op 0
		.amdhsa_exception_fp_denorm_src 0
		.amdhsa_exception_fp_ieee_div_zero 0
		.amdhsa_exception_fp_ieee_overflow 0
		.amdhsa_exception_fp_ieee_underflow 0
		.amdhsa_exception_fp_ieee_inexact 0
		.amdhsa_exception_int_div_zero 0
	.end_amdhsa_kernel
	.section	.text._ZN7rocprim17ROCPRIM_400000_NS6detail17trampoline_kernelINS0_14default_configENS1_35radix_sort_onesweep_config_selectorIhlEEZZNS1_29radix_sort_onesweep_iterationIS3_Lb0EPhS7_N6thrust23THRUST_200600_302600_NS10device_ptrIlEESB_jNS0_19identity_decomposerENS1_16block_id_wrapperIjLb1EEEEE10hipError_tT1_PNSt15iterator_traitsISG_E10value_typeET2_T3_PNSH_ISM_E10value_typeET4_T5_PSR_SS_PNS1_23onesweep_lookback_stateEbbT6_jjT7_P12ihipStream_tbENKUlT_T0_SG_SL_E_clIS7_S7_SB_PlEEDaSZ_S10_SG_SL_EUlSZ_E_NS1_11comp_targetILNS1_3genE4ELNS1_11target_archE910ELNS1_3gpuE8ELNS1_3repE0EEENS1_47radix_sort_onesweep_sort_config_static_selectorELNS0_4arch9wavefront6targetE1EEEvSG_,"axG",@progbits,_ZN7rocprim17ROCPRIM_400000_NS6detail17trampoline_kernelINS0_14default_configENS1_35radix_sort_onesweep_config_selectorIhlEEZZNS1_29radix_sort_onesweep_iterationIS3_Lb0EPhS7_N6thrust23THRUST_200600_302600_NS10device_ptrIlEESB_jNS0_19identity_decomposerENS1_16block_id_wrapperIjLb1EEEEE10hipError_tT1_PNSt15iterator_traitsISG_E10value_typeET2_T3_PNSH_ISM_E10value_typeET4_T5_PSR_SS_PNS1_23onesweep_lookback_stateEbbT6_jjT7_P12ihipStream_tbENKUlT_T0_SG_SL_E_clIS7_S7_SB_PlEEDaSZ_S10_SG_SL_EUlSZ_E_NS1_11comp_targetILNS1_3genE4ELNS1_11target_archE910ELNS1_3gpuE8ELNS1_3repE0EEENS1_47radix_sort_onesweep_sort_config_static_selectorELNS0_4arch9wavefront6targetE1EEEvSG_,comdat
.Lfunc_end277:
	.size	_ZN7rocprim17ROCPRIM_400000_NS6detail17trampoline_kernelINS0_14default_configENS1_35radix_sort_onesweep_config_selectorIhlEEZZNS1_29radix_sort_onesweep_iterationIS3_Lb0EPhS7_N6thrust23THRUST_200600_302600_NS10device_ptrIlEESB_jNS0_19identity_decomposerENS1_16block_id_wrapperIjLb1EEEEE10hipError_tT1_PNSt15iterator_traitsISG_E10value_typeET2_T3_PNSH_ISM_E10value_typeET4_T5_PSR_SS_PNS1_23onesweep_lookback_stateEbbT6_jjT7_P12ihipStream_tbENKUlT_T0_SG_SL_E_clIS7_S7_SB_PlEEDaSZ_S10_SG_SL_EUlSZ_E_NS1_11comp_targetILNS1_3genE4ELNS1_11target_archE910ELNS1_3gpuE8ELNS1_3repE0EEENS1_47radix_sort_onesweep_sort_config_static_selectorELNS0_4arch9wavefront6targetE1EEEvSG_, .Lfunc_end277-_ZN7rocprim17ROCPRIM_400000_NS6detail17trampoline_kernelINS0_14default_configENS1_35radix_sort_onesweep_config_selectorIhlEEZZNS1_29radix_sort_onesweep_iterationIS3_Lb0EPhS7_N6thrust23THRUST_200600_302600_NS10device_ptrIlEESB_jNS0_19identity_decomposerENS1_16block_id_wrapperIjLb1EEEEE10hipError_tT1_PNSt15iterator_traitsISG_E10value_typeET2_T3_PNSH_ISM_E10value_typeET4_T5_PSR_SS_PNS1_23onesweep_lookback_stateEbbT6_jjT7_P12ihipStream_tbENKUlT_T0_SG_SL_E_clIS7_S7_SB_PlEEDaSZ_S10_SG_SL_EUlSZ_E_NS1_11comp_targetILNS1_3genE4ELNS1_11target_archE910ELNS1_3gpuE8ELNS1_3repE0EEENS1_47radix_sort_onesweep_sort_config_static_selectorELNS0_4arch9wavefront6targetE1EEEvSG_
                                        ; -- End function
	.section	.AMDGPU.csdata,"",@progbits
; Kernel info:
; codeLenInByte = 12832
; NumSgprs: 60
; NumVgprs: 55
; NumAgprs: 0
; TotalNumVgprs: 55
; ScratchSize: 0
; MemoryBound: 0
; FloatMode: 240
; IeeeMode: 1
; LDSByteSize: 20552 bytes/workgroup (compile time only)
; SGPRBlocks: 7
; VGPRBlocks: 6
; NumSGPRsForWavesPerEU: 60
; NumVGPRsForWavesPerEU: 55
; AccumOffset: 56
; Occupancy: 8
; WaveLimiterHint : 1
; COMPUTE_PGM_RSRC2:SCRATCH_EN: 0
; COMPUTE_PGM_RSRC2:USER_SGPR: 6
; COMPUTE_PGM_RSRC2:TRAP_HANDLER: 0
; COMPUTE_PGM_RSRC2:TGID_X_EN: 1
; COMPUTE_PGM_RSRC2:TGID_Y_EN: 0
; COMPUTE_PGM_RSRC2:TGID_Z_EN: 0
; COMPUTE_PGM_RSRC2:TIDIG_COMP_CNT: 2
; COMPUTE_PGM_RSRC3_GFX90A:ACCUM_OFFSET: 13
; COMPUTE_PGM_RSRC3_GFX90A:TG_SPLIT: 0
	.section	.text._ZN7rocprim17ROCPRIM_400000_NS6detail17trampoline_kernelINS0_14default_configENS1_35radix_sort_onesweep_config_selectorIhlEEZZNS1_29radix_sort_onesweep_iterationIS3_Lb0EPhS7_N6thrust23THRUST_200600_302600_NS10device_ptrIlEESB_jNS0_19identity_decomposerENS1_16block_id_wrapperIjLb1EEEEE10hipError_tT1_PNSt15iterator_traitsISG_E10value_typeET2_T3_PNSH_ISM_E10value_typeET4_T5_PSR_SS_PNS1_23onesweep_lookback_stateEbbT6_jjT7_P12ihipStream_tbENKUlT_T0_SG_SL_E_clIS7_S7_SB_PlEEDaSZ_S10_SG_SL_EUlSZ_E_NS1_11comp_targetILNS1_3genE3ELNS1_11target_archE908ELNS1_3gpuE7ELNS1_3repE0EEENS1_47radix_sort_onesweep_sort_config_static_selectorELNS0_4arch9wavefront6targetE1EEEvSG_,"axG",@progbits,_ZN7rocprim17ROCPRIM_400000_NS6detail17trampoline_kernelINS0_14default_configENS1_35radix_sort_onesweep_config_selectorIhlEEZZNS1_29radix_sort_onesweep_iterationIS3_Lb0EPhS7_N6thrust23THRUST_200600_302600_NS10device_ptrIlEESB_jNS0_19identity_decomposerENS1_16block_id_wrapperIjLb1EEEEE10hipError_tT1_PNSt15iterator_traitsISG_E10value_typeET2_T3_PNSH_ISM_E10value_typeET4_T5_PSR_SS_PNS1_23onesweep_lookback_stateEbbT6_jjT7_P12ihipStream_tbENKUlT_T0_SG_SL_E_clIS7_S7_SB_PlEEDaSZ_S10_SG_SL_EUlSZ_E_NS1_11comp_targetILNS1_3genE3ELNS1_11target_archE908ELNS1_3gpuE7ELNS1_3repE0EEENS1_47radix_sort_onesweep_sort_config_static_selectorELNS0_4arch9wavefront6targetE1EEEvSG_,comdat
	.protected	_ZN7rocprim17ROCPRIM_400000_NS6detail17trampoline_kernelINS0_14default_configENS1_35radix_sort_onesweep_config_selectorIhlEEZZNS1_29radix_sort_onesweep_iterationIS3_Lb0EPhS7_N6thrust23THRUST_200600_302600_NS10device_ptrIlEESB_jNS0_19identity_decomposerENS1_16block_id_wrapperIjLb1EEEEE10hipError_tT1_PNSt15iterator_traitsISG_E10value_typeET2_T3_PNSH_ISM_E10value_typeET4_T5_PSR_SS_PNS1_23onesweep_lookback_stateEbbT6_jjT7_P12ihipStream_tbENKUlT_T0_SG_SL_E_clIS7_S7_SB_PlEEDaSZ_S10_SG_SL_EUlSZ_E_NS1_11comp_targetILNS1_3genE3ELNS1_11target_archE908ELNS1_3gpuE7ELNS1_3repE0EEENS1_47radix_sort_onesweep_sort_config_static_selectorELNS0_4arch9wavefront6targetE1EEEvSG_ ; -- Begin function _ZN7rocprim17ROCPRIM_400000_NS6detail17trampoline_kernelINS0_14default_configENS1_35radix_sort_onesweep_config_selectorIhlEEZZNS1_29radix_sort_onesweep_iterationIS3_Lb0EPhS7_N6thrust23THRUST_200600_302600_NS10device_ptrIlEESB_jNS0_19identity_decomposerENS1_16block_id_wrapperIjLb1EEEEE10hipError_tT1_PNSt15iterator_traitsISG_E10value_typeET2_T3_PNSH_ISM_E10value_typeET4_T5_PSR_SS_PNS1_23onesweep_lookback_stateEbbT6_jjT7_P12ihipStream_tbENKUlT_T0_SG_SL_E_clIS7_S7_SB_PlEEDaSZ_S10_SG_SL_EUlSZ_E_NS1_11comp_targetILNS1_3genE3ELNS1_11target_archE908ELNS1_3gpuE7ELNS1_3repE0EEENS1_47radix_sort_onesweep_sort_config_static_selectorELNS0_4arch9wavefront6targetE1EEEvSG_
	.globl	_ZN7rocprim17ROCPRIM_400000_NS6detail17trampoline_kernelINS0_14default_configENS1_35radix_sort_onesweep_config_selectorIhlEEZZNS1_29radix_sort_onesweep_iterationIS3_Lb0EPhS7_N6thrust23THRUST_200600_302600_NS10device_ptrIlEESB_jNS0_19identity_decomposerENS1_16block_id_wrapperIjLb1EEEEE10hipError_tT1_PNSt15iterator_traitsISG_E10value_typeET2_T3_PNSH_ISM_E10value_typeET4_T5_PSR_SS_PNS1_23onesweep_lookback_stateEbbT6_jjT7_P12ihipStream_tbENKUlT_T0_SG_SL_E_clIS7_S7_SB_PlEEDaSZ_S10_SG_SL_EUlSZ_E_NS1_11comp_targetILNS1_3genE3ELNS1_11target_archE908ELNS1_3gpuE7ELNS1_3repE0EEENS1_47radix_sort_onesweep_sort_config_static_selectorELNS0_4arch9wavefront6targetE1EEEvSG_
	.p2align	8
	.type	_ZN7rocprim17ROCPRIM_400000_NS6detail17trampoline_kernelINS0_14default_configENS1_35radix_sort_onesweep_config_selectorIhlEEZZNS1_29radix_sort_onesweep_iterationIS3_Lb0EPhS7_N6thrust23THRUST_200600_302600_NS10device_ptrIlEESB_jNS0_19identity_decomposerENS1_16block_id_wrapperIjLb1EEEEE10hipError_tT1_PNSt15iterator_traitsISG_E10value_typeET2_T3_PNSH_ISM_E10value_typeET4_T5_PSR_SS_PNS1_23onesweep_lookback_stateEbbT6_jjT7_P12ihipStream_tbENKUlT_T0_SG_SL_E_clIS7_S7_SB_PlEEDaSZ_S10_SG_SL_EUlSZ_E_NS1_11comp_targetILNS1_3genE3ELNS1_11target_archE908ELNS1_3gpuE7ELNS1_3repE0EEENS1_47radix_sort_onesweep_sort_config_static_selectorELNS0_4arch9wavefront6targetE1EEEvSG_,@function
_ZN7rocprim17ROCPRIM_400000_NS6detail17trampoline_kernelINS0_14default_configENS1_35radix_sort_onesweep_config_selectorIhlEEZZNS1_29radix_sort_onesweep_iterationIS3_Lb0EPhS7_N6thrust23THRUST_200600_302600_NS10device_ptrIlEESB_jNS0_19identity_decomposerENS1_16block_id_wrapperIjLb1EEEEE10hipError_tT1_PNSt15iterator_traitsISG_E10value_typeET2_T3_PNSH_ISM_E10value_typeET4_T5_PSR_SS_PNS1_23onesweep_lookback_stateEbbT6_jjT7_P12ihipStream_tbENKUlT_T0_SG_SL_E_clIS7_S7_SB_PlEEDaSZ_S10_SG_SL_EUlSZ_E_NS1_11comp_targetILNS1_3genE3ELNS1_11target_archE908ELNS1_3gpuE7ELNS1_3repE0EEENS1_47radix_sort_onesweep_sort_config_static_selectorELNS0_4arch9wavefront6targetE1EEEvSG_: ; @_ZN7rocprim17ROCPRIM_400000_NS6detail17trampoline_kernelINS0_14default_configENS1_35radix_sort_onesweep_config_selectorIhlEEZZNS1_29radix_sort_onesweep_iterationIS3_Lb0EPhS7_N6thrust23THRUST_200600_302600_NS10device_ptrIlEESB_jNS0_19identity_decomposerENS1_16block_id_wrapperIjLb1EEEEE10hipError_tT1_PNSt15iterator_traitsISG_E10value_typeET2_T3_PNSH_ISM_E10value_typeET4_T5_PSR_SS_PNS1_23onesweep_lookback_stateEbbT6_jjT7_P12ihipStream_tbENKUlT_T0_SG_SL_E_clIS7_S7_SB_PlEEDaSZ_S10_SG_SL_EUlSZ_E_NS1_11comp_targetILNS1_3genE3ELNS1_11target_archE908ELNS1_3gpuE7ELNS1_3repE0EEENS1_47radix_sort_onesweep_sort_config_static_selectorELNS0_4arch9wavefront6targetE1EEEvSG_
; %bb.0:
	.section	.rodata,"a",@progbits
	.p2align	6, 0x0
	.amdhsa_kernel _ZN7rocprim17ROCPRIM_400000_NS6detail17trampoline_kernelINS0_14default_configENS1_35radix_sort_onesweep_config_selectorIhlEEZZNS1_29radix_sort_onesweep_iterationIS3_Lb0EPhS7_N6thrust23THRUST_200600_302600_NS10device_ptrIlEESB_jNS0_19identity_decomposerENS1_16block_id_wrapperIjLb1EEEEE10hipError_tT1_PNSt15iterator_traitsISG_E10value_typeET2_T3_PNSH_ISM_E10value_typeET4_T5_PSR_SS_PNS1_23onesweep_lookback_stateEbbT6_jjT7_P12ihipStream_tbENKUlT_T0_SG_SL_E_clIS7_S7_SB_PlEEDaSZ_S10_SG_SL_EUlSZ_E_NS1_11comp_targetILNS1_3genE3ELNS1_11target_archE908ELNS1_3gpuE7ELNS1_3repE0EEENS1_47radix_sort_onesweep_sort_config_static_selectorELNS0_4arch9wavefront6targetE1EEEvSG_
		.amdhsa_group_segment_fixed_size 0
		.amdhsa_private_segment_fixed_size 0
		.amdhsa_kernarg_size 88
		.amdhsa_user_sgpr_count 6
		.amdhsa_user_sgpr_private_segment_buffer 1
		.amdhsa_user_sgpr_dispatch_ptr 0
		.amdhsa_user_sgpr_queue_ptr 0
		.amdhsa_user_sgpr_kernarg_segment_ptr 1
		.amdhsa_user_sgpr_dispatch_id 0
		.amdhsa_user_sgpr_flat_scratch_init 0
		.amdhsa_user_sgpr_kernarg_preload_length 0
		.amdhsa_user_sgpr_kernarg_preload_offset 0
		.amdhsa_user_sgpr_private_segment_size 0
		.amdhsa_uses_dynamic_stack 0
		.amdhsa_system_sgpr_private_segment_wavefront_offset 0
		.amdhsa_system_sgpr_workgroup_id_x 1
		.amdhsa_system_sgpr_workgroup_id_y 0
		.amdhsa_system_sgpr_workgroup_id_z 0
		.amdhsa_system_sgpr_workgroup_info 0
		.amdhsa_system_vgpr_workitem_id 0
		.amdhsa_next_free_vgpr 1
		.amdhsa_next_free_sgpr 0
		.amdhsa_accum_offset 4
		.amdhsa_reserve_vcc 0
		.amdhsa_reserve_flat_scratch 0
		.amdhsa_float_round_mode_32 0
		.amdhsa_float_round_mode_16_64 0
		.amdhsa_float_denorm_mode_32 3
		.amdhsa_float_denorm_mode_16_64 3
		.amdhsa_dx10_clamp 1
		.amdhsa_ieee_mode 1
		.amdhsa_fp16_overflow 0
		.amdhsa_tg_split 0
		.amdhsa_exception_fp_ieee_invalid_op 0
		.amdhsa_exception_fp_denorm_src 0
		.amdhsa_exception_fp_ieee_div_zero 0
		.amdhsa_exception_fp_ieee_overflow 0
		.amdhsa_exception_fp_ieee_underflow 0
		.amdhsa_exception_fp_ieee_inexact 0
		.amdhsa_exception_int_div_zero 0
	.end_amdhsa_kernel
	.section	.text._ZN7rocprim17ROCPRIM_400000_NS6detail17trampoline_kernelINS0_14default_configENS1_35radix_sort_onesweep_config_selectorIhlEEZZNS1_29radix_sort_onesweep_iterationIS3_Lb0EPhS7_N6thrust23THRUST_200600_302600_NS10device_ptrIlEESB_jNS0_19identity_decomposerENS1_16block_id_wrapperIjLb1EEEEE10hipError_tT1_PNSt15iterator_traitsISG_E10value_typeET2_T3_PNSH_ISM_E10value_typeET4_T5_PSR_SS_PNS1_23onesweep_lookback_stateEbbT6_jjT7_P12ihipStream_tbENKUlT_T0_SG_SL_E_clIS7_S7_SB_PlEEDaSZ_S10_SG_SL_EUlSZ_E_NS1_11comp_targetILNS1_3genE3ELNS1_11target_archE908ELNS1_3gpuE7ELNS1_3repE0EEENS1_47radix_sort_onesweep_sort_config_static_selectorELNS0_4arch9wavefront6targetE1EEEvSG_,"axG",@progbits,_ZN7rocprim17ROCPRIM_400000_NS6detail17trampoline_kernelINS0_14default_configENS1_35radix_sort_onesweep_config_selectorIhlEEZZNS1_29radix_sort_onesweep_iterationIS3_Lb0EPhS7_N6thrust23THRUST_200600_302600_NS10device_ptrIlEESB_jNS0_19identity_decomposerENS1_16block_id_wrapperIjLb1EEEEE10hipError_tT1_PNSt15iterator_traitsISG_E10value_typeET2_T3_PNSH_ISM_E10value_typeET4_T5_PSR_SS_PNS1_23onesweep_lookback_stateEbbT6_jjT7_P12ihipStream_tbENKUlT_T0_SG_SL_E_clIS7_S7_SB_PlEEDaSZ_S10_SG_SL_EUlSZ_E_NS1_11comp_targetILNS1_3genE3ELNS1_11target_archE908ELNS1_3gpuE7ELNS1_3repE0EEENS1_47radix_sort_onesweep_sort_config_static_selectorELNS0_4arch9wavefront6targetE1EEEvSG_,comdat
.Lfunc_end278:
	.size	_ZN7rocprim17ROCPRIM_400000_NS6detail17trampoline_kernelINS0_14default_configENS1_35radix_sort_onesweep_config_selectorIhlEEZZNS1_29radix_sort_onesweep_iterationIS3_Lb0EPhS7_N6thrust23THRUST_200600_302600_NS10device_ptrIlEESB_jNS0_19identity_decomposerENS1_16block_id_wrapperIjLb1EEEEE10hipError_tT1_PNSt15iterator_traitsISG_E10value_typeET2_T3_PNSH_ISM_E10value_typeET4_T5_PSR_SS_PNS1_23onesweep_lookback_stateEbbT6_jjT7_P12ihipStream_tbENKUlT_T0_SG_SL_E_clIS7_S7_SB_PlEEDaSZ_S10_SG_SL_EUlSZ_E_NS1_11comp_targetILNS1_3genE3ELNS1_11target_archE908ELNS1_3gpuE7ELNS1_3repE0EEENS1_47radix_sort_onesweep_sort_config_static_selectorELNS0_4arch9wavefront6targetE1EEEvSG_, .Lfunc_end278-_ZN7rocprim17ROCPRIM_400000_NS6detail17trampoline_kernelINS0_14default_configENS1_35radix_sort_onesweep_config_selectorIhlEEZZNS1_29radix_sort_onesweep_iterationIS3_Lb0EPhS7_N6thrust23THRUST_200600_302600_NS10device_ptrIlEESB_jNS0_19identity_decomposerENS1_16block_id_wrapperIjLb1EEEEE10hipError_tT1_PNSt15iterator_traitsISG_E10value_typeET2_T3_PNSH_ISM_E10value_typeET4_T5_PSR_SS_PNS1_23onesweep_lookback_stateEbbT6_jjT7_P12ihipStream_tbENKUlT_T0_SG_SL_E_clIS7_S7_SB_PlEEDaSZ_S10_SG_SL_EUlSZ_E_NS1_11comp_targetILNS1_3genE3ELNS1_11target_archE908ELNS1_3gpuE7ELNS1_3repE0EEENS1_47radix_sort_onesweep_sort_config_static_selectorELNS0_4arch9wavefront6targetE1EEEvSG_
                                        ; -- End function
	.section	.AMDGPU.csdata,"",@progbits
; Kernel info:
; codeLenInByte = 0
; NumSgprs: 4
; NumVgprs: 0
; NumAgprs: 0
; TotalNumVgprs: 0
; ScratchSize: 0
; MemoryBound: 0
; FloatMode: 240
; IeeeMode: 1
; LDSByteSize: 0 bytes/workgroup (compile time only)
; SGPRBlocks: 0
; VGPRBlocks: 0
; NumSGPRsForWavesPerEU: 4
; NumVGPRsForWavesPerEU: 1
; AccumOffset: 4
; Occupancy: 8
; WaveLimiterHint : 0
; COMPUTE_PGM_RSRC2:SCRATCH_EN: 0
; COMPUTE_PGM_RSRC2:USER_SGPR: 6
; COMPUTE_PGM_RSRC2:TRAP_HANDLER: 0
; COMPUTE_PGM_RSRC2:TGID_X_EN: 1
; COMPUTE_PGM_RSRC2:TGID_Y_EN: 0
; COMPUTE_PGM_RSRC2:TGID_Z_EN: 0
; COMPUTE_PGM_RSRC2:TIDIG_COMP_CNT: 0
; COMPUTE_PGM_RSRC3_GFX90A:ACCUM_OFFSET: 0
; COMPUTE_PGM_RSRC3_GFX90A:TG_SPLIT: 0
	.section	.text._ZN7rocprim17ROCPRIM_400000_NS6detail17trampoline_kernelINS0_14default_configENS1_35radix_sort_onesweep_config_selectorIhlEEZZNS1_29radix_sort_onesweep_iterationIS3_Lb0EPhS7_N6thrust23THRUST_200600_302600_NS10device_ptrIlEESB_jNS0_19identity_decomposerENS1_16block_id_wrapperIjLb1EEEEE10hipError_tT1_PNSt15iterator_traitsISG_E10value_typeET2_T3_PNSH_ISM_E10value_typeET4_T5_PSR_SS_PNS1_23onesweep_lookback_stateEbbT6_jjT7_P12ihipStream_tbENKUlT_T0_SG_SL_E_clIS7_S7_SB_PlEEDaSZ_S10_SG_SL_EUlSZ_E_NS1_11comp_targetILNS1_3genE10ELNS1_11target_archE1201ELNS1_3gpuE5ELNS1_3repE0EEENS1_47radix_sort_onesweep_sort_config_static_selectorELNS0_4arch9wavefront6targetE1EEEvSG_,"axG",@progbits,_ZN7rocprim17ROCPRIM_400000_NS6detail17trampoline_kernelINS0_14default_configENS1_35radix_sort_onesweep_config_selectorIhlEEZZNS1_29radix_sort_onesweep_iterationIS3_Lb0EPhS7_N6thrust23THRUST_200600_302600_NS10device_ptrIlEESB_jNS0_19identity_decomposerENS1_16block_id_wrapperIjLb1EEEEE10hipError_tT1_PNSt15iterator_traitsISG_E10value_typeET2_T3_PNSH_ISM_E10value_typeET4_T5_PSR_SS_PNS1_23onesweep_lookback_stateEbbT6_jjT7_P12ihipStream_tbENKUlT_T0_SG_SL_E_clIS7_S7_SB_PlEEDaSZ_S10_SG_SL_EUlSZ_E_NS1_11comp_targetILNS1_3genE10ELNS1_11target_archE1201ELNS1_3gpuE5ELNS1_3repE0EEENS1_47radix_sort_onesweep_sort_config_static_selectorELNS0_4arch9wavefront6targetE1EEEvSG_,comdat
	.protected	_ZN7rocprim17ROCPRIM_400000_NS6detail17trampoline_kernelINS0_14default_configENS1_35radix_sort_onesweep_config_selectorIhlEEZZNS1_29radix_sort_onesweep_iterationIS3_Lb0EPhS7_N6thrust23THRUST_200600_302600_NS10device_ptrIlEESB_jNS0_19identity_decomposerENS1_16block_id_wrapperIjLb1EEEEE10hipError_tT1_PNSt15iterator_traitsISG_E10value_typeET2_T3_PNSH_ISM_E10value_typeET4_T5_PSR_SS_PNS1_23onesweep_lookback_stateEbbT6_jjT7_P12ihipStream_tbENKUlT_T0_SG_SL_E_clIS7_S7_SB_PlEEDaSZ_S10_SG_SL_EUlSZ_E_NS1_11comp_targetILNS1_3genE10ELNS1_11target_archE1201ELNS1_3gpuE5ELNS1_3repE0EEENS1_47radix_sort_onesweep_sort_config_static_selectorELNS0_4arch9wavefront6targetE1EEEvSG_ ; -- Begin function _ZN7rocprim17ROCPRIM_400000_NS6detail17trampoline_kernelINS0_14default_configENS1_35radix_sort_onesweep_config_selectorIhlEEZZNS1_29radix_sort_onesweep_iterationIS3_Lb0EPhS7_N6thrust23THRUST_200600_302600_NS10device_ptrIlEESB_jNS0_19identity_decomposerENS1_16block_id_wrapperIjLb1EEEEE10hipError_tT1_PNSt15iterator_traitsISG_E10value_typeET2_T3_PNSH_ISM_E10value_typeET4_T5_PSR_SS_PNS1_23onesweep_lookback_stateEbbT6_jjT7_P12ihipStream_tbENKUlT_T0_SG_SL_E_clIS7_S7_SB_PlEEDaSZ_S10_SG_SL_EUlSZ_E_NS1_11comp_targetILNS1_3genE10ELNS1_11target_archE1201ELNS1_3gpuE5ELNS1_3repE0EEENS1_47radix_sort_onesweep_sort_config_static_selectorELNS0_4arch9wavefront6targetE1EEEvSG_
	.globl	_ZN7rocprim17ROCPRIM_400000_NS6detail17trampoline_kernelINS0_14default_configENS1_35radix_sort_onesweep_config_selectorIhlEEZZNS1_29radix_sort_onesweep_iterationIS3_Lb0EPhS7_N6thrust23THRUST_200600_302600_NS10device_ptrIlEESB_jNS0_19identity_decomposerENS1_16block_id_wrapperIjLb1EEEEE10hipError_tT1_PNSt15iterator_traitsISG_E10value_typeET2_T3_PNSH_ISM_E10value_typeET4_T5_PSR_SS_PNS1_23onesweep_lookback_stateEbbT6_jjT7_P12ihipStream_tbENKUlT_T0_SG_SL_E_clIS7_S7_SB_PlEEDaSZ_S10_SG_SL_EUlSZ_E_NS1_11comp_targetILNS1_3genE10ELNS1_11target_archE1201ELNS1_3gpuE5ELNS1_3repE0EEENS1_47radix_sort_onesweep_sort_config_static_selectorELNS0_4arch9wavefront6targetE1EEEvSG_
	.p2align	8
	.type	_ZN7rocprim17ROCPRIM_400000_NS6detail17trampoline_kernelINS0_14default_configENS1_35radix_sort_onesweep_config_selectorIhlEEZZNS1_29radix_sort_onesweep_iterationIS3_Lb0EPhS7_N6thrust23THRUST_200600_302600_NS10device_ptrIlEESB_jNS0_19identity_decomposerENS1_16block_id_wrapperIjLb1EEEEE10hipError_tT1_PNSt15iterator_traitsISG_E10value_typeET2_T3_PNSH_ISM_E10value_typeET4_T5_PSR_SS_PNS1_23onesweep_lookback_stateEbbT6_jjT7_P12ihipStream_tbENKUlT_T0_SG_SL_E_clIS7_S7_SB_PlEEDaSZ_S10_SG_SL_EUlSZ_E_NS1_11comp_targetILNS1_3genE10ELNS1_11target_archE1201ELNS1_3gpuE5ELNS1_3repE0EEENS1_47radix_sort_onesweep_sort_config_static_selectorELNS0_4arch9wavefront6targetE1EEEvSG_,@function
_ZN7rocprim17ROCPRIM_400000_NS6detail17trampoline_kernelINS0_14default_configENS1_35radix_sort_onesweep_config_selectorIhlEEZZNS1_29radix_sort_onesweep_iterationIS3_Lb0EPhS7_N6thrust23THRUST_200600_302600_NS10device_ptrIlEESB_jNS0_19identity_decomposerENS1_16block_id_wrapperIjLb1EEEEE10hipError_tT1_PNSt15iterator_traitsISG_E10value_typeET2_T3_PNSH_ISM_E10value_typeET4_T5_PSR_SS_PNS1_23onesweep_lookback_stateEbbT6_jjT7_P12ihipStream_tbENKUlT_T0_SG_SL_E_clIS7_S7_SB_PlEEDaSZ_S10_SG_SL_EUlSZ_E_NS1_11comp_targetILNS1_3genE10ELNS1_11target_archE1201ELNS1_3gpuE5ELNS1_3repE0EEENS1_47radix_sort_onesweep_sort_config_static_selectorELNS0_4arch9wavefront6targetE1EEEvSG_: ; @_ZN7rocprim17ROCPRIM_400000_NS6detail17trampoline_kernelINS0_14default_configENS1_35radix_sort_onesweep_config_selectorIhlEEZZNS1_29radix_sort_onesweep_iterationIS3_Lb0EPhS7_N6thrust23THRUST_200600_302600_NS10device_ptrIlEESB_jNS0_19identity_decomposerENS1_16block_id_wrapperIjLb1EEEEE10hipError_tT1_PNSt15iterator_traitsISG_E10value_typeET2_T3_PNSH_ISM_E10value_typeET4_T5_PSR_SS_PNS1_23onesweep_lookback_stateEbbT6_jjT7_P12ihipStream_tbENKUlT_T0_SG_SL_E_clIS7_S7_SB_PlEEDaSZ_S10_SG_SL_EUlSZ_E_NS1_11comp_targetILNS1_3genE10ELNS1_11target_archE1201ELNS1_3gpuE5ELNS1_3repE0EEENS1_47radix_sort_onesweep_sort_config_static_selectorELNS0_4arch9wavefront6targetE1EEEvSG_
; %bb.0:
	.section	.rodata,"a",@progbits
	.p2align	6, 0x0
	.amdhsa_kernel _ZN7rocprim17ROCPRIM_400000_NS6detail17trampoline_kernelINS0_14default_configENS1_35radix_sort_onesweep_config_selectorIhlEEZZNS1_29radix_sort_onesweep_iterationIS3_Lb0EPhS7_N6thrust23THRUST_200600_302600_NS10device_ptrIlEESB_jNS0_19identity_decomposerENS1_16block_id_wrapperIjLb1EEEEE10hipError_tT1_PNSt15iterator_traitsISG_E10value_typeET2_T3_PNSH_ISM_E10value_typeET4_T5_PSR_SS_PNS1_23onesweep_lookback_stateEbbT6_jjT7_P12ihipStream_tbENKUlT_T0_SG_SL_E_clIS7_S7_SB_PlEEDaSZ_S10_SG_SL_EUlSZ_E_NS1_11comp_targetILNS1_3genE10ELNS1_11target_archE1201ELNS1_3gpuE5ELNS1_3repE0EEENS1_47radix_sort_onesweep_sort_config_static_selectorELNS0_4arch9wavefront6targetE1EEEvSG_
		.amdhsa_group_segment_fixed_size 0
		.amdhsa_private_segment_fixed_size 0
		.amdhsa_kernarg_size 88
		.amdhsa_user_sgpr_count 6
		.amdhsa_user_sgpr_private_segment_buffer 1
		.amdhsa_user_sgpr_dispatch_ptr 0
		.amdhsa_user_sgpr_queue_ptr 0
		.amdhsa_user_sgpr_kernarg_segment_ptr 1
		.amdhsa_user_sgpr_dispatch_id 0
		.amdhsa_user_sgpr_flat_scratch_init 0
		.amdhsa_user_sgpr_kernarg_preload_length 0
		.amdhsa_user_sgpr_kernarg_preload_offset 0
		.amdhsa_user_sgpr_private_segment_size 0
		.amdhsa_uses_dynamic_stack 0
		.amdhsa_system_sgpr_private_segment_wavefront_offset 0
		.amdhsa_system_sgpr_workgroup_id_x 1
		.amdhsa_system_sgpr_workgroup_id_y 0
		.amdhsa_system_sgpr_workgroup_id_z 0
		.amdhsa_system_sgpr_workgroup_info 0
		.amdhsa_system_vgpr_workitem_id 0
		.amdhsa_next_free_vgpr 1
		.amdhsa_next_free_sgpr 0
		.amdhsa_accum_offset 4
		.amdhsa_reserve_vcc 0
		.amdhsa_reserve_flat_scratch 0
		.amdhsa_float_round_mode_32 0
		.amdhsa_float_round_mode_16_64 0
		.amdhsa_float_denorm_mode_32 3
		.amdhsa_float_denorm_mode_16_64 3
		.amdhsa_dx10_clamp 1
		.amdhsa_ieee_mode 1
		.amdhsa_fp16_overflow 0
		.amdhsa_tg_split 0
		.amdhsa_exception_fp_ieee_invalid_op 0
		.amdhsa_exception_fp_denorm_src 0
		.amdhsa_exception_fp_ieee_div_zero 0
		.amdhsa_exception_fp_ieee_overflow 0
		.amdhsa_exception_fp_ieee_underflow 0
		.amdhsa_exception_fp_ieee_inexact 0
		.amdhsa_exception_int_div_zero 0
	.end_amdhsa_kernel
	.section	.text._ZN7rocprim17ROCPRIM_400000_NS6detail17trampoline_kernelINS0_14default_configENS1_35radix_sort_onesweep_config_selectorIhlEEZZNS1_29radix_sort_onesweep_iterationIS3_Lb0EPhS7_N6thrust23THRUST_200600_302600_NS10device_ptrIlEESB_jNS0_19identity_decomposerENS1_16block_id_wrapperIjLb1EEEEE10hipError_tT1_PNSt15iterator_traitsISG_E10value_typeET2_T3_PNSH_ISM_E10value_typeET4_T5_PSR_SS_PNS1_23onesweep_lookback_stateEbbT6_jjT7_P12ihipStream_tbENKUlT_T0_SG_SL_E_clIS7_S7_SB_PlEEDaSZ_S10_SG_SL_EUlSZ_E_NS1_11comp_targetILNS1_3genE10ELNS1_11target_archE1201ELNS1_3gpuE5ELNS1_3repE0EEENS1_47radix_sort_onesweep_sort_config_static_selectorELNS0_4arch9wavefront6targetE1EEEvSG_,"axG",@progbits,_ZN7rocprim17ROCPRIM_400000_NS6detail17trampoline_kernelINS0_14default_configENS1_35radix_sort_onesweep_config_selectorIhlEEZZNS1_29radix_sort_onesweep_iterationIS3_Lb0EPhS7_N6thrust23THRUST_200600_302600_NS10device_ptrIlEESB_jNS0_19identity_decomposerENS1_16block_id_wrapperIjLb1EEEEE10hipError_tT1_PNSt15iterator_traitsISG_E10value_typeET2_T3_PNSH_ISM_E10value_typeET4_T5_PSR_SS_PNS1_23onesweep_lookback_stateEbbT6_jjT7_P12ihipStream_tbENKUlT_T0_SG_SL_E_clIS7_S7_SB_PlEEDaSZ_S10_SG_SL_EUlSZ_E_NS1_11comp_targetILNS1_3genE10ELNS1_11target_archE1201ELNS1_3gpuE5ELNS1_3repE0EEENS1_47radix_sort_onesweep_sort_config_static_selectorELNS0_4arch9wavefront6targetE1EEEvSG_,comdat
.Lfunc_end279:
	.size	_ZN7rocprim17ROCPRIM_400000_NS6detail17trampoline_kernelINS0_14default_configENS1_35radix_sort_onesweep_config_selectorIhlEEZZNS1_29radix_sort_onesweep_iterationIS3_Lb0EPhS7_N6thrust23THRUST_200600_302600_NS10device_ptrIlEESB_jNS0_19identity_decomposerENS1_16block_id_wrapperIjLb1EEEEE10hipError_tT1_PNSt15iterator_traitsISG_E10value_typeET2_T3_PNSH_ISM_E10value_typeET4_T5_PSR_SS_PNS1_23onesweep_lookback_stateEbbT6_jjT7_P12ihipStream_tbENKUlT_T0_SG_SL_E_clIS7_S7_SB_PlEEDaSZ_S10_SG_SL_EUlSZ_E_NS1_11comp_targetILNS1_3genE10ELNS1_11target_archE1201ELNS1_3gpuE5ELNS1_3repE0EEENS1_47radix_sort_onesweep_sort_config_static_selectorELNS0_4arch9wavefront6targetE1EEEvSG_, .Lfunc_end279-_ZN7rocprim17ROCPRIM_400000_NS6detail17trampoline_kernelINS0_14default_configENS1_35radix_sort_onesweep_config_selectorIhlEEZZNS1_29radix_sort_onesweep_iterationIS3_Lb0EPhS7_N6thrust23THRUST_200600_302600_NS10device_ptrIlEESB_jNS0_19identity_decomposerENS1_16block_id_wrapperIjLb1EEEEE10hipError_tT1_PNSt15iterator_traitsISG_E10value_typeET2_T3_PNSH_ISM_E10value_typeET4_T5_PSR_SS_PNS1_23onesweep_lookback_stateEbbT6_jjT7_P12ihipStream_tbENKUlT_T0_SG_SL_E_clIS7_S7_SB_PlEEDaSZ_S10_SG_SL_EUlSZ_E_NS1_11comp_targetILNS1_3genE10ELNS1_11target_archE1201ELNS1_3gpuE5ELNS1_3repE0EEENS1_47radix_sort_onesweep_sort_config_static_selectorELNS0_4arch9wavefront6targetE1EEEvSG_
                                        ; -- End function
	.section	.AMDGPU.csdata,"",@progbits
; Kernel info:
; codeLenInByte = 0
; NumSgprs: 4
; NumVgprs: 0
; NumAgprs: 0
; TotalNumVgprs: 0
; ScratchSize: 0
; MemoryBound: 0
; FloatMode: 240
; IeeeMode: 1
; LDSByteSize: 0 bytes/workgroup (compile time only)
; SGPRBlocks: 0
; VGPRBlocks: 0
; NumSGPRsForWavesPerEU: 4
; NumVGPRsForWavesPerEU: 1
; AccumOffset: 4
; Occupancy: 8
; WaveLimiterHint : 0
; COMPUTE_PGM_RSRC2:SCRATCH_EN: 0
; COMPUTE_PGM_RSRC2:USER_SGPR: 6
; COMPUTE_PGM_RSRC2:TRAP_HANDLER: 0
; COMPUTE_PGM_RSRC2:TGID_X_EN: 1
; COMPUTE_PGM_RSRC2:TGID_Y_EN: 0
; COMPUTE_PGM_RSRC2:TGID_Z_EN: 0
; COMPUTE_PGM_RSRC2:TIDIG_COMP_CNT: 0
; COMPUTE_PGM_RSRC3_GFX90A:ACCUM_OFFSET: 0
; COMPUTE_PGM_RSRC3_GFX90A:TG_SPLIT: 0
	.section	.text._ZN7rocprim17ROCPRIM_400000_NS6detail17trampoline_kernelINS0_14default_configENS1_35radix_sort_onesweep_config_selectorIhlEEZZNS1_29radix_sort_onesweep_iterationIS3_Lb0EPhS7_N6thrust23THRUST_200600_302600_NS10device_ptrIlEESB_jNS0_19identity_decomposerENS1_16block_id_wrapperIjLb1EEEEE10hipError_tT1_PNSt15iterator_traitsISG_E10value_typeET2_T3_PNSH_ISM_E10value_typeET4_T5_PSR_SS_PNS1_23onesweep_lookback_stateEbbT6_jjT7_P12ihipStream_tbENKUlT_T0_SG_SL_E_clIS7_S7_SB_PlEEDaSZ_S10_SG_SL_EUlSZ_E_NS1_11comp_targetILNS1_3genE9ELNS1_11target_archE1100ELNS1_3gpuE3ELNS1_3repE0EEENS1_47radix_sort_onesweep_sort_config_static_selectorELNS0_4arch9wavefront6targetE1EEEvSG_,"axG",@progbits,_ZN7rocprim17ROCPRIM_400000_NS6detail17trampoline_kernelINS0_14default_configENS1_35radix_sort_onesweep_config_selectorIhlEEZZNS1_29radix_sort_onesweep_iterationIS3_Lb0EPhS7_N6thrust23THRUST_200600_302600_NS10device_ptrIlEESB_jNS0_19identity_decomposerENS1_16block_id_wrapperIjLb1EEEEE10hipError_tT1_PNSt15iterator_traitsISG_E10value_typeET2_T3_PNSH_ISM_E10value_typeET4_T5_PSR_SS_PNS1_23onesweep_lookback_stateEbbT6_jjT7_P12ihipStream_tbENKUlT_T0_SG_SL_E_clIS7_S7_SB_PlEEDaSZ_S10_SG_SL_EUlSZ_E_NS1_11comp_targetILNS1_3genE9ELNS1_11target_archE1100ELNS1_3gpuE3ELNS1_3repE0EEENS1_47radix_sort_onesweep_sort_config_static_selectorELNS0_4arch9wavefront6targetE1EEEvSG_,comdat
	.protected	_ZN7rocprim17ROCPRIM_400000_NS6detail17trampoline_kernelINS0_14default_configENS1_35radix_sort_onesweep_config_selectorIhlEEZZNS1_29radix_sort_onesweep_iterationIS3_Lb0EPhS7_N6thrust23THRUST_200600_302600_NS10device_ptrIlEESB_jNS0_19identity_decomposerENS1_16block_id_wrapperIjLb1EEEEE10hipError_tT1_PNSt15iterator_traitsISG_E10value_typeET2_T3_PNSH_ISM_E10value_typeET4_T5_PSR_SS_PNS1_23onesweep_lookback_stateEbbT6_jjT7_P12ihipStream_tbENKUlT_T0_SG_SL_E_clIS7_S7_SB_PlEEDaSZ_S10_SG_SL_EUlSZ_E_NS1_11comp_targetILNS1_3genE9ELNS1_11target_archE1100ELNS1_3gpuE3ELNS1_3repE0EEENS1_47radix_sort_onesweep_sort_config_static_selectorELNS0_4arch9wavefront6targetE1EEEvSG_ ; -- Begin function _ZN7rocprim17ROCPRIM_400000_NS6detail17trampoline_kernelINS0_14default_configENS1_35radix_sort_onesweep_config_selectorIhlEEZZNS1_29radix_sort_onesweep_iterationIS3_Lb0EPhS7_N6thrust23THRUST_200600_302600_NS10device_ptrIlEESB_jNS0_19identity_decomposerENS1_16block_id_wrapperIjLb1EEEEE10hipError_tT1_PNSt15iterator_traitsISG_E10value_typeET2_T3_PNSH_ISM_E10value_typeET4_T5_PSR_SS_PNS1_23onesweep_lookback_stateEbbT6_jjT7_P12ihipStream_tbENKUlT_T0_SG_SL_E_clIS7_S7_SB_PlEEDaSZ_S10_SG_SL_EUlSZ_E_NS1_11comp_targetILNS1_3genE9ELNS1_11target_archE1100ELNS1_3gpuE3ELNS1_3repE0EEENS1_47radix_sort_onesweep_sort_config_static_selectorELNS0_4arch9wavefront6targetE1EEEvSG_
	.globl	_ZN7rocprim17ROCPRIM_400000_NS6detail17trampoline_kernelINS0_14default_configENS1_35radix_sort_onesweep_config_selectorIhlEEZZNS1_29radix_sort_onesweep_iterationIS3_Lb0EPhS7_N6thrust23THRUST_200600_302600_NS10device_ptrIlEESB_jNS0_19identity_decomposerENS1_16block_id_wrapperIjLb1EEEEE10hipError_tT1_PNSt15iterator_traitsISG_E10value_typeET2_T3_PNSH_ISM_E10value_typeET4_T5_PSR_SS_PNS1_23onesweep_lookback_stateEbbT6_jjT7_P12ihipStream_tbENKUlT_T0_SG_SL_E_clIS7_S7_SB_PlEEDaSZ_S10_SG_SL_EUlSZ_E_NS1_11comp_targetILNS1_3genE9ELNS1_11target_archE1100ELNS1_3gpuE3ELNS1_3repE0EEENS1_47radix_sort_onesweep_sort_config_static_selectorELNS0_4arch9wavefront6targetE1EEEvSG_
	.p2align	8
	.type	_ZN7rocprim17ROCPRIM_400000_NS6detail17trampoline_kernelINS0_14default_configENS1_35radix_sort_onesweep_config_selectorIhlEEZZNS1_29radix_sort_onesweep_iterationIS3_Lb0EPhS7_N6thrust23THRUST_200600_302600_NS10device_ptrIlEESB_jNS0_19identity_decomposerENS1_16block_id_wrapperIjLb1EEEEE10hipError_tT1_PNSt15iterator_traitsISG_E10value_typeET2_T3_PNSH_ISM_E10value_typeET4_T5_PSR_SS_PNS1_23onesweep_lookback_stateEbbT6_jjT7_P12ihipStream_tbENKUlT_T0_SG_SL_E_clIS7_S7_SB_PlEEDaSZ_S10_SG_SL_EUlSZ_E_NS1_11comp_targetILNS1_3genE9ELNS1_11target_archE1100ELNS1_3gpuE3ELNS1_3repE0EEENS1_47radix_sort_onesweep_sort_config_static_selectorELNS0_4arch9wavefront6targetE1EEEvSG_,@function
_ZN7rocprim17ROCPRIM_400000_NS6detail17trampoline_kernelINS0_14default_configENS1_35radix_sort_onesweep_config_selectorIhlEEZZNS1_29radix_sort_onesweep_iterationIS3_Lb0EPhS7_N6thrust23THRUST_200600_302600_NS10device_ptrIlEESB_jNS0_19identity_decomposerENS1_16block_id_wrapperIjLb1EEEEE10hipError_tT1_PNSt15iterator_traitsISG_E10value_typeET2_T3_PNSH_ISM_E10value_typeET4_T5_PSR_SS_PNS1_23onesweep_lookback_stateEbbT6_jjT7_P12ihipStream_tbENKUlT_T0_SG_SL_E_clIS7_S7_SB_PlEEDaSZ_S10_SG_SL_EUlSZ_E_NS1_11comp_targetILNS1_3genE9ELNS1_11target_archE1100ELNS1_3gpuE3ELNS1_3repE0EEENS1_47radix_sort_onesweep_sort_config_static_selectorELNS0_4arch9wavefront6targetE1EEEvSG_: ; @_ZN7rocprim17ROCPRIM_400000_NS6detail17trampoline_kernelINS0_14default_configENS1_35radix_sort_onesweep_config_selectorIhlEEZZNS1_29radix_sort_onesweep_iterationIS3_Lb0EPhS7_N6thrust23THRUST_200600_302600_NS10device_ptrIlEESB_jNS0_19identity_decomposerENS1_16block_id_wrapperIjLb1EEEEE10hipError_tT1_PNSt15iterator_traitsISG_E10value_typeET2_T3_PNSH_ISM_E10value_typeET4_T5_PSR_SS_PNS1_23onesweep_lookback_stateEbbT6_jjT7_P12ihipStream_tbENKUlT_T0_SG_SL_E_clIS7_S7_SB_PlEEDaSZ_S10_SG_SL_EUlSZ_E_NS1_11comp_targetILNS1_3genE9ELNS1_11target_archE1100ELNS1_3gpuE3ELNS1_3repE0EEENS1_47radix_sort_onesweep_sort_config_static_selectorELNS0_4arch9wavefront6targetE1EEEvSG_
; %bb.0:
	.section	.rodata,"a",@progbits
	.p2align	6, 0x0
	.amdhsa_kernel _ZN7rocprim17ROCPRIM_400000_NS6detail17trampoline_kernelINS0_14default_configENS1_35radix_sort_onesweep_config_selectorIhlEEZZNS1_29radix_sort_onesweep_iterationIS3_Lb0EPhS7_N6thrust23THRUST_200600_302600_NS10device_ptrIlEESB_jNS0_19identity_decomposerENS1_16block_id_wrapperIjLb1EEEEE10hipError_tT1_PNSt15iterator_traitsISG_E10value_typeET2_T3_PNSH_ISM_E10value_typeET4_T5_PSR_SS_PNS1_23onesweep_lookback_stateEbbT6_jjT7_P12ihipStream_tbENKUlT_T0_SG_SL_E_clIS7_S7_SB_PlEEDaSZ_S10_SG_SL_EUlSZ_E_NS1_11comp_targetILNS1_3genE9ELNS1_11target_archE1100ELNS1_3gpuE3ELNS1_3repE0EEENS1_47radix_sort_onesweep_sort_config_static_selectorELNS0_4arch9wavefront6targetE1EEEvSG_
		.amdhsa_group_segment_fixed_size 0
		.amdhsa_private_segment_fixed_size 0
		.amdhsa_kernarg_size 88
		.amdhsa_user_sgpr_count 6
		.amdhsa_user_sgpr_private_segment_buffer 1
		.amdhsa_user_sgpr_dispatch_ptr 0
		.amdhsa_user_sgpr_queue_ptr 0
		.amdhsa_user_sgpr_kernarg_segment_ptr 1
		.amdhsa_user_sgpr_dispatch_id 0
		.amdhsa_user_sgpr_flat_scratch_init 0
		.amdhsa_user_sgpr_kernarg_preload_length 0
		.amdhsa_user_sgpr_kernarg_preload_offset 0
		.amdhsa_user_sgpr_private_segment_size 0
		.amdhsa_uses_dynamic_stack 0
		.amdhsa_system_sgpr_private_segment_wavefront_offset 0
		.amdhsa_system_sgpr_workgroup_id_x 1
		.amdhsa_system_sgpr_workgroup_id_y 0
		.amdhsa_system_sgpr_workgroup_id_z 0
		.amdhsa_system_sgpr_workgroup_info 0
		.amdhsa_system_vgpr_workitem_id 0
		.amdhsa_next_free_vgpr 1
		.amdhsa_next_free_sgpr 0
		.amdhsa_accum_offset 4
		.amdhsa_reserve_vcc 0
		.amdhsa_reserve_flat_scratch 0
		.amdhsa_float_round_mode_32 0
		.amdhsa_float_round_mode_16_64 0
		.amdhsa_float_denorm_mode_32 3
		.amdhsa_float_denorm_mode_16_64 3
		.amdhsa_dx10_clamp 1
		.amdhsa_ieee_mode 1
		.amdhsa_fp16_overflow 0
		.amdhsa_tg_split 0
		.amdhsa_exception_fp_ieee_invalid_op 0
		.amdhsa_exception_fp_denorm_src 0
		.amdhsa_exception_fp_ieee_div_zero 0
		.amdhsa_exception_fp_ieee_overflow 0
		.amdhsa_exception_fp_ieee_underflow 0
		.amdhsa_exception_fp_ieee_inexact 0
		.amdhsa_exception_int_div_zero 0
	.end_amdhsa_kernel
	.section	.text._ZN7rocprim17ROCPRIM_400000_NS6detail17trampoline_kernelINS0_14default_configENS1_35radix_sort_onesweep_config_selectorIhlEEZZNS1_29radix_sort_onesweep_iterationIS3_Lb0EPhS7_N6thrust23THRUST_200600_302600_NS10device_ptrIlEESB_jNS0_19identity_decomposerENS1_16block_id_wrapperIjLb1EEEEE10hipError_tT1_PNSt15iterator_traitsISG_E10value_typeET2_T3_PNSH_ISM_E10value_typeET4_T5_PSR_SS_PNS1_23onesweep_lookback_stateEbbT6_jjT7_P12ihipStream_tbENKUlT_T0_SG_SL_E_clIS7_S7_SB_PlEEDaSZ_S10_SG_SL_EUlSZ_E_NS1_11comp_targetILNS1_3genE9ELNS1_11target_archE1100ELNS1_3gpuE3ELNS1_3repE0EEENS1_47radix_sort_onesweep_sort_config_static_selectorELNS0_4arch9wavefront6targetE1EEEvSG_,"axG",@progbits,_ZN7rocprim17ROCPRIM_400000_NS6detail17trampoline_kernelINS0_14default_configENS1_35radix_sort_onesweep_config_selectorIhlEEZZNS1_29radix_sort_onesweep_iterationIS3_Lb0EPhS7_N6thrust23THRUST_200600_302600_NS10device_ptrIlEESB_jNS0_19identity_decomposerENS1_16block_id_wrapperIjLb1EEEEE10hipError_tT1_PNSt15iterator_traitsISG_E10value_typeET2_T3_PNSH_ISM_E10value_typeET4_T5_PSR_SS_PNS1_23onesweep_lookback_stateEbbT6_jjT7_P12ihipStream_tbENKUlT_T0_SG_SL_E_clIS7_S7_SB_PlEEDaSZ_S10_SG_SL_EUlSZ_E_NS1_11comp_targetILNS1_3genE9ELNS1_11target_archE1100ELNS1_3gpuE3ELNS1_3repE0EEENS1_47radix_sort_onesweep_sort_config_static_selectorELNS0_4arch9wavefront6targetE1EEEvSG_,comdat
.Lfunc_end280:
	.size	_ZN7rocprim17ROCPRIM_400000_NS6detail17trampoline_kernelINS0_14default_configENS1_35radix_sort_onesweep_config_selectorIhlEEZZNS1_29radix_sort_onesweep_iterationIS3_Lb0EPhS7_N6thrust23THRUST_200600_302600_NS10device_ptrIlEESB_jNS0_19identity_decomposerENS1_16block_id_wrapperIjLb1EEEEE10hipError_tT1_PNSt15iterator_traitsISG_E10value_typeET2_T3_PNSH_ISM_E10value_typeET4_T5_PSR_SS_PNS1_23onesweep_lookback_stateEbbT6_jjT7_P12ihipStream_tbENKUlT_T0_SG_SL_E_clIS7_S7_SB_PlEEDaSZ_S10_SG_SL_EUlSZ_E_NS1_11comp_targetILNS1_3genE9ELNS1_11target_archE1100ELNS1_3gpuE3ELNS1_3repE0EEENS1_47radix_sort_onesweep_sort_config_static_selectorELNS0_4arch9wavefront6targetE1EEEvSG_, .Lfunc_end280-_ZN7rocprim17ROCPRIM_400000_NS6detail17trampoline_kernelINS0_14default_configENS1_35radix_sort_onesweep_config_selectorIhlEEZZNS1_29radix_sort_onesweep_iterationIS3_Lb0EPhS7_N6thrust23THRUST_200600_302600_NS10device_ptrIlEESB_jNS0_19identity_decomposerENS1_16block_id_wrapperIjLb1EEEEE10hipError_tT1_PNSt15iterator_traitsISG_E10value_typeET2_T3_PNSH_ISM_E10value_typeET4_T5_PSR_SS_PNS1_23onesweep_lookback_stateEbbT6_jjT7_P12ihipStream_tbENKUlT_T0_SG_SL_E_clIS7_S7_SB_PlEEDaSZ_S10_SG_SL_EUlSZ_E_NS1_11comp_targetILNS1_3genE9ELNS1_11target_archE1100ELNS1_3gpuE3ELNS1_3repE0EEENS1_47radix_sort_onesweep_sort_config_static_selectorELNS0_4arch9wavefront6targetE1EEEvSG_
                                        ; -- End function
	.section	.AMDGPU.csdata,"",@progbits
; Kernel info:
; codeLenInByte = 0
; NumSgprs: 4
; NumVgprs: 0
; NumAgprs: 0
; TotalNumVgprs: 0
; ScratchSize: 0
; MemoryBound: 0
; FloatMode: 240
; IeeeMode: 1
; LDSByteSize: 0 bytes/workgroup (compile time only)
; SGPRBlocks: 0
; VGPRBlocks: 0
; NumSGPRsForWavesPerEU: 4
; NumVGPRsForWavesPerEU: 1
; AccumOffset: 4
; Occupancy: 8
; WaveLimiterHint : 0
; COMPUTE_PGM_RSRC2:SCRATCH_EN: 0
; COMPUTE_PGM_RSRC2:USER_SGPR: 6
; COMPUTE_PGM_RSRC2:TRAP_HANDLER: 0
; COMPUTE_PGM_RSRC2:TGID_X_EN: 1
; COMPUTE_PGM_RSRC2:TGID_Y_EN: 0
; COMPUTE_PGM_RSRC2:TGID_Z_EN: 0
; COMPUTE_PGM_RSRC2:TIDIG_COMP_CNT: 0
; COMPUTE_PGM_RSRC3_GFX90A:ACCUM_OFFSET: 0
; COMPUTE_PGM_RSRC3_GFX90A:TG_SPLIT: 0
	.section	.text._ZN7rocprim17ROCPRIM_400000_NS6detail17trampoline_kernelINS0_14default_configENS1_35radix_sort_onesweep_config_selectorIhlEEZZNS1_29radix_sort_onesweep_iterationIS3_Lb0EPhS7_N6thrust23THRUST_200600_302600_NS10device_ptrIlEESB_jNS0_19identity_decomposerENS1_16block_id_wrapperIjLb1EEEEE10hipError_tT1_PNSt15iterator_traitsISG_E10value_typeET2_T3_PNSH_ISM_E10value_typeET4_T5_PSR_SS_PNS1_23onesweep_lookback_stateEbbT6_jjT7_P12ihipStream_tbENKUlT_T0_SG_SL_E_clIS7_S7_SB_PlEEDaSZ_S10_SG_SL_EUlSZ_E_NS1_11comp_targetILNS1_3genE8ELNS1_11target_archE1030ELNS1_3gpuE2ELNS1_3repE0EEENS1_47radix_sort_onesweep_sort_config_static_selectorELNS0_4arch9wavefront6targetE1EEEvSG_,"axG",@progbits,_ZN7rocprim17ROCPRIM_400000_NS6detail17trampoline_kernelINS0_14default_configENS1_35radix_sort_onesweep_config_selectorIhlEEZZNS1_29radix_sort_onesweep_iterationIS3_Lb0EPhS7_N6thrust23THRUST_200600_302600_NS10device_ptrIlEESB_jNS0_19identity_decomposerENS1_16block_id_wrapperIjLb1EEEEE10hipError_tT1_PNSt15iterator_traitsISG_E10value_typeET2_T3_PNSH_ISM_E10value_typeET4_T5_PSR_SS_PNS1_23onesweep_lookback_stateEbbT6_jjT7_P12ihipStream_tbENKUlT_T0_SG_SL_E_clIS7_S7_SB_PlEEDaSZ_S10_SG_SL_EUlSZ_E_NS1_11comp_targetILNS1_3genE8ELNS1_11target_archE1030ELNS1_3gpuE2ELNS1_3repE0EEENS1_47radix_sort_onesweep_sort_config_static_selectorELNS0_4arch9wavefront6targetE1EEEvSG_,comdat
	.protected	_ZN7rocprim17ROCPRIM_400000_NS6detail17trampoline_kernelINS0_14default_configENS1_35radix_sort_onesweep_config_selectorIhlEEZZNS1_29radix_sort_onesweep_iterationIS3_Lb0EPhS7_N6thrust23THRUST_200600_302600_NS10device_ptrIlEESB_jNS0_19identity_decomposerENS1_16block_id_wrapperIjLb1EEEEE10hipError_tT1_PNSt15iterator_traitsISG_E10value_typeET2_T3_PNSH_ISM_E10value_typeET4_T5_PSR_SS_PNS1_23onesweep_lookback_stateEbbT6_jjT7_P12ihipStream_tbENKUlT_T0_SG_SL_E_clIS7_S7_SB_PlEEDaSZ_S10_SG_SL_EUlSZ_E_NS1_11comp_targetILNS1_3genE8ELNS1_11target_archE1030ELNS1_3gpuE2ELNS1_3repE0EEENS1_47radix_sort_onesweep_sort_config_static_selectorELNS0_4arch9wavefront6targetE1EEEvSG_ ; -- Begin function _ZN7rocprim17ROCPRIM_400000_NS6detail17trampoline_kernelINS0_14default_configENS1_35radix_sort_onesweep_config_selectorIhlEEZZNS1_29radix_sort_onesweep_iterationIS3_Lb0EPhS7_N6thrust23THRUST_200600_302600_NS10device_ptrIlEESB_jNS0_19identity_decomposerENS1_16block_id_wrapperIjLb1EEEEE10hipError_tT1_PNSt15iterator_traitsISG_E10value_typeET2_T3_PNSH_ISM_E10value_typeET4_T5_PSR_SS_PNS1_23onesweep_lookback_stateEbbT6_jjT7_P12ihipStream_tbENKUlT_T0_SG_SL_E_clIS7_S7_SB_PlEEDaSZ_S10_SG_SL_EUlSZ_E_NS1_11comp_targetILNS1_3genE8ELNS1_11target_archE1030ELNS1_3gpuE2ELNS1_3repE0EEENS1_47radix_sort_onesweep_sort_config_static_selectorELNS0_4arch9wavefront6targetE1EEEvSG_
	.globl	_ZN7rocprim17ROCPRIM_400000_NS6detail17trampoline_kernelINS0_14default_configENS1_35radix_sort_onesweep_config_selectorIhlEEZZNS1_29radix_sort_onesweep_iterationIS3_Lb0EPhS7_N6thrust23THRUST_200600_302600_NS10device_ptrIlEESB_jNS0_19identity_decomposerENS1_16block_id_wrapperIjLb1EEEEE10hipError_tT1_PNSt15iterator_traitsISG_E10value_typeET2_T3_PNSH_ISM_E10value_typeET4_T5_PSR_SS_PNS1_23onesweep_lookback_stateEbbT6_jjT7_P12ihipStream_tbENKUlT_T0_SG_SL_E_clIS7_S7_SB_PlEEDaSZ_S10_SG_SL_EUlSZ_E_NS1_11comp_targetILNS1_3genE8ELNS1_11target_archE1030ELNS1_3gpuE2ELNS1_3repE0EEENS1_47radix_sort_onesweep_sort_config_static_selectorELNS0_4arch9wavefront6targetE1EEEvSG_
	.p2align	8
	.type	_ZN7rocprim17ROCPRIM_400000_NS6detail17trampoline_kernelINS0_14default_configENS1_35radix_sort_onesweep_config_selectorIhlEEZZNS1_29radix_sort_onesweep_iterationIS3_Lb0EPhS7_N6thrust23THRUST_200600_302600_NS10device_ptrIlEESB_jNS0_19identity_decomposerENS1_16block_id_wrapperIjLb1EEEEE10hipError_tT1_PNSt15iterator_traitsISG_E10value_typeET2_T3_PNSH_ISM_E10value_typeET4_T5_PSR_SS_PNS1_23onesweep_lookback_stateEbbT6_jjT7_P12ihipStream_tbENKUlT_T0_SG_SL_E_clIS7_S7_SB_PlEEDaSZ_S10_SG_SL_EUlSZ_E_NS1_11comp_targetILNS1_3genE8ELNS1_11target_archE1030ELNS1_3gpuE2ELNS1_3repE0EEENS1_47radix_sort_onesweep_sort_config_static_selectorELNS0_4arch9wavefront6targetE1EEEvSG_,@function
_ZN7rocprim17ROCPRIM_400000_NS6detail17trampoline_kernelINS0_14default_configENS1_35radix_sort_onesweep_config_selectorIhlEEZZNS1_29radix_sort_onesweep_iterationIS3_Lb0EPhS7_N6thrust23THRUST_200600_302600_NS10device_ptrIlEESB_jNS0_19identity_decomposerENS1_16block_id_wrapperIjLb1EEEEE10hipError_tT1_PNSt15iterator_traitsISG_E10value_typeET2_T3_PNSH_ISM_E10value_typeET4_T5_PSR_SS_PNS1_23onesweep_lookback_stateEbbT6_jjT7_P12ihipStream_tbENKUlT_T0_SG_SL_E_clIS7_S7_SB_PlEEDaSZ_S10_SG_SL_EUlSZ_E_NS1_11comp_targetILNS1_3genE8ELNS1_11target_archE1030ELNS1_3gpuE2ELNS1_3repE0EEENS1_47radix_sort_onesweep_sort_config_static_selectorELNS0_4arch9wavefront6targetE1EEEvSG_: ; @_ZN7rocprim17ROCPRIM_400000_NS6detail17trampoline_kernelINS0_14default_configENS1_35radix_sort_onesweep_config_selectorIhlEEZZNS1_29radix_sort_onesweep_iterationIS3_Lb0EPhS7_N6thrust23THRUST_200600_302600_NS10device_ptrIlEESB_jNS0_19identity_decomposerENS1_16block_id_wrapperIjLb1EEEEE10hipError_tT1_PNSt15iterator_traitsISG_E10value_typeET2_T3_PNSH_ISM_E10value_typeET4_T5_PSR_SS_PNS1_23onesweep_lookback_stateEbbT6_jjT7_P12ihipStream_tbENKUlT_T0_SG_SL_E_clIS7_S7_SB_PlEEDaSZ_S10_SG_SL_EUlSZ_E_NS1_11comp_targetILNS1_3genE8ELNS1_11target_archE1030ELNS1_3gpuE2ELNS1_3repE0EEENS1_47radix_sort_onesweep_sort_config_static_selectorELNS0_4arch9wavefront6targetE1EEEvSG_
; %bb.0:
	.section	.rodata,"a",@progbits
	.p2align	6, 0x0
	.amdhsa_kernel _ZN7rocprim17ROCPRIM_400000_NS6detail17trampoline_kernelINS0_14default_configENS1_35radix_sort_onesweep_config_selectorIhlEEZZNS1_29radix_sort_onesweep_iterationIS3_Lb0EPhS7_N6thrust23THRUST_200600_302600_NS10device_ptrIlEESB_jNS0_19identity_decomposerENS1_16block_id_wrapperIjLb1EEEEE10hipError_tT1_PNSt15iterator_traitsISG_E10value_typeET2_T3_PNSH_ISM_E10value_typeET4_T5_PSR_SS_PNS1_23onesweep_lookback_stateEbbT6_jjT7_P12ihipStream_tbENKUlT_T0_SG_SL_E_clIS7_S7_SB_PlEEDaSZ_S10_SG_SL_EUlSZ_E_NS1_11comp_targetILNS1_3genE8ELNS1_11target_archE1030ELNS1_3gpuE2ELNS1_3repE0EEENS1_47radix_sort_onesweep_sort_config_static_selectorELNS0_4arch9wavefront6targetE1EEEvSG_
		.amdhsa_group_segment_fixed_size 0
		.amdhsa_private_segment_fixed_size 0
		.amdhsa_kernarg_size 88
		.amdhsa_user_sgpr_count 6
		.amdhsa_user_sgpr_private_segment_buffer 1
		.amdhsa_user_sgpr_dispatch_ptr 0
		.amdhsa_user_sgpr_queue_ptr 0
		.amdhsa_user_sgpr_kernarg_segment_ptr 1
		.amdhsa_user_sgpr_dispatch_id 0
		.amdhsa_user_sgpr_flat_scratch_init 0
		.amdhsa_user_sgpr_kernarg_preload_length 0
		.amdhsa_user_sgpr_kernarg_preload_offset 0
		.amdhsa_user_sgpr_private_segment_size 0
		.amdhsa_uses_dynamic_stack 0
		.amdhsa_system_sgpr_private_segment_wavefront_offset 0
		.amdhsa_system_sgpr_workgroup_id_x 1
		.amdhsa_system_sgpr_workgroup_id_y 0
		.amdhsa_system_sgpr_workgroup_id_z 0
		.amdhsa_system_sgpr_workgroup_info 0
		.amdhsa_system_vgpr_workitem_id 0
		.amdhsa_next_free_vgpr 1
		.amdhsa_next_free_sgpr 0
		.amdhsa_accum_offset 4
		.amdhsa_reserve_vcc 0
		.amdhsa_reserve_flat_scratch 0
		.amdhsa_float_round_mode_32 0
		.amdhsa_float_round_mode_16_64 0
		.amdhsa_float_denorm_mode_32 3
		.amdhsa_float_denorm_mode_16_64 3
		.amdhsa_dx10_clamp 1
		.amdhsa_ieee_mode 1
		.amdhsa_fp16_overflow 0
		.amdhsa_tg_split 0
		.amdhsa_exception_fp_ieee_invalid_op 0
		.amdhsa_exception_fp_denorm_src 0
		.amdhsa_exception_fp_ieee_div_zero 0
		.amdhsa_exception_fp_ieee_overflow 0
		.amdhsa_exception_fp_ieee_underflow 0
		.amdhsa_exception_fp_ieee_inexact 0
		.amdhsa_exception_int_div_zero 0
	.end_amdhsa_kernel
	.section	.text._ZN7rocprim17ROCPRIM_400000_NS6detail17trampoline_kernelINS0_14default_configENS1_35radix_sort_onesweep_config_selectorIhlEEZZNS1_29radix_sort_onesweep_iterationIS3_Lb0EPhS7_N6thrust23THRUST_200600_302600_NS10device_ptrIlEESB_jNS0_19identity_decomposerENS1_16block_id_wrapperIjLb1EEEEE10hipError_tT1_PNSt15iterator_traitsISG_E10value_typeET2_T3_PNSH_ISM_E10value_typeET4_T5_PSR_SS_PNS1_23onesweep_lookback_stateEbbT6_jjT7_P12ihipStream_tbENKUlT_T0_SG_SL_E_clIS7_S7_SB_PlEEDaSZ_S10_SG_SL_EUlSZ_E_NS1_11comp_targetILNS1_3genE8ELNS1_11target_archE1030ELNS1_3gpuE2ELNS1_3repE0EEENS1_47radix_sort_onesweep_sort_config_static_selectorELNS0_4arch9wavefront6targetE1EEEvSG_,"axG",@progbits,_ZN7rocprim17ROCPRIM_400000_NS6detail17trampoline_kernelINS0_14default_configENS1_35radix_sort_onesweep_config_selectorIhlEEZZNS1_29radix_sort_onesweep_iterationIS3_Lb0EPhS7_N6thrust23THRUST_200600_302600_NS10device_ptrIlEESB_jNS0_19identity_decomposerENS1_16block_id_wrapperIjLb1EEEEE10hipError_tT1_PNSt15iterator_traitsISG_E10value_typeET2_T3_PNSH_ISM_E10value_typeET4_T5_PSR_SS_PNS1_23onesweep_lookback_stateEbbT6_jjT7_P12ihipStream_tbENKUlT_T0_SG_SL_E_clIS7_S7_SB_PlEEDaSZ_S10_SG_SL_EUlSZ_E_NS1_11comp_targetILNS1_3genE8ELNS1_11target_archE1030ELNS1_3gpuE2ELNS1_3repE0EEENS1_47radix_sort_onesweep_sort_config_static_selectorELNS0_4arch9wavefront6targetE1EEEvSG_,comdat
.Lfunc_end281:
	.size	_ZN7rocprim17ROCPRIM_400000_NS6detail17trampoline_kernelINS0_14default_configENS1_35radix_sort_onesweep_config_selectorIhlEEZZNS1_29radix_sort_onesweep_iterationIS3_Lb0EPhS7_N6thrust23THRUST_200600_302600_NS10device_ptrIlEESB_jNS0_19identity_decomposerENS1_16block_id_wrapperIjLb1EEEEE10hipError_tT1_PNSt15iterator_traitsISG_E10value_typeET2_T3_PNSH_ISM_E10value_typeET4_T5_PSR_SS_PNS1_23onesweep_lookback_stateEbbT6_jjT7_P12ihipStream_tbENKUlT_T0_SG_SL_E_clIS7_S7_SB_PlEEDaSZ_S10_SG_SL_EUlSZ_E_NS1_11comp_targetILNS1_3genE8ELNS1_11target_archE1030ELNS1_3gpuE2ELNS1_3repE0EEENS1_47radix_sort_onesweep_sort_config_static_selectorELNS0_4arch9wavefront6targetE1EEEvSG_, .Lfunc_end281-_ZN7rocprim17ROCPRIM_400000_NS6detail17trampoline_kernelINS0_14default_configENS1_35radix_sort_onesweep_config_selectorIhlEEZZNS1_29radix_sort_onesweep_iterationIS3_Lb0EPhS7_N6thrust23THRUST_200600_302600_NS10device_ptrIlEESB_jNS0_19identity_decomposerENS1_16block_id_wrapperIjLb1EEEEE10hipError_tT1_PNSt15iterator_traitsISG_E10value_typeET2_T3_PNSH_ISM_E10value_typeET4_T5_PSR_SS_PNS1_23onesweep_lookback_stateEbbT6_jjT7_P12ihipStream_tbENKUlT_T0_SG_SL_E_clIS7_S7_SB_PlEEDaSZ_S10_SG_SL_EUlSZ_E_NS1_11comp_targetILNS1_3genE8ELNS1_11target_archE1030ELNS1_3gpuE2ELNS1_3repE0EEENS1_47radix_sort_onesweep_sort_config_static_selectorELNS0_4arch9wavefront6targetE1EEEvSG_
                                        ; -- End function
	.section	.AMDGPU.csdata,"",@progbits
; Kernel info:
; codeLenInByte = 0
; NumSgprs: 4
; NumVgprs: 0
; NumAgprs: 0
; TotalNumVgprs: 0
; ScratchSize: 0
; MemoryBound: 0
; FloatMode: 240
; IeeeMode: 1
; LDSByteSize: 0 bytes/workgroup (compile time only)
; SGPRBlocks: 0
; VGPRBlocks: 0
; NumSGPRsForWavesPerEU: 4
; NumVGPRsForWavesPerEU: 1
; AccumOffset: 4
; Occupancy: 8
; WaveLimiterHint : 0
; COMPUTE_PGM_RSRC2:SCRATCH_EN: 0
; COMPUTE_PGM_RSRC2:USER_SGPR: 6
; COMPUTE_PGM_RSRC2:TRAP_HANDLER: 0
; COMPUTE_PGM_RSRC2:TGID_X_EN: 1
; COMPUTE_PGM_RSRC2:TGID_Y_EN: 0
; COMPUTE_PGM_RSRC2:TGID_Z_EN: 0
; COMPUTE_PGM_RSRC2:TIDIG_COMP_CNT: 0
; COMPUTE_PGM_RSRC3_GFX90A:ACCUM_OFFSET: 0
; COMPUTE_PGM_RSRC3_GFX90A:TG_SPLIT: 0
	.section	.text._ZN7rocprim17ROCPRIM_400000_NS6detail17trampoline_kernelINS0_14default_configENS1_35radix_sort_onesweep_config_selectorIhlEEZZNS1_29radix_sort_onesweep_iterationIS3_Lb0EPhS7_N6thrust23THRUST_200600_302600_NS10device_ptrIlEESB_jNS0_19identity_decomposerENS1_16block_id_wrapperIjLb1EEEEE10hipError_tT1_PNSt15iterator_traitsISG_E10value_typeET2_T3_PNSH_ISM_E10value_typeET4_T5_PSR_SS_PNS1_23onesweep_lookback_stateEbbT6_jjT7_P12ihipStream_tbENKUlT_T0_SG_SL_E_clIS7_S7_PlSB_EEDaSZ_S10_SG_SL_EUlSZ_E_NS1_11comp_targetILNS1_3genE0ELNS1_11target_archE4294967295ELNS1_3gpuE0ELNS1_3repE0EEENS1_47radix_sort_onesweep_sort_config_static_selectorELNS0_4arch9wavefront6targetE1EEEvSG_,"axG",@progbits,_ZN7rocprim17ROCPRIM_400000_NS6detail17trampoline_kernelINS0_14default_configENS1_35radix_sort_onesweep_config_selectorIhlEEZZNS1_29radix_sort_onesweep_iterationIS3_Lb0EPhS7_N6thrust23THRUST_200600_302600_NS10device_ptrIlEESB_jNS0_19identity_decomposerENS1_16block_id_wrapperIjLb1EEEEE10hipError_tT1_PNSt15iterator_traitsISG_E10value_typeET2_T3_PNSH_ISM_E10value_typeET4_T5_PSR_SS_PNS1_23onesweep_lookback_stateEbbT6_jjT7_P12ihipStream_tbENKUlT_T0_SG_SL_E_clIS7_S7_PlSB_EEDaSZ_S10_SG_SL_EUlSZ_E_NS1_11comp_targetILNS1_3genE0ELNS1_11target_archE4294967295ELNS1_3gpuE0ELNS1_3repE0EEENS1_47radix_sort_onesweep_sort_config_static_selectorELNS0_4arch9wavefront6targetE1EEEvSG_,comdat
	.protected	_ZN7rocprim17ROCPRIM_400000_NS6detail17trampoline_kernelINS0_14default_configENS1_35radix_sort_onesweep_config_selectorIhlEEZZNS1_29radix_sort_onesweep_iterationIS3_Lb0EPhS7_N6thrust23THRUST_200600_302600_NS10device_ptrIlEESB_jNS0_19identity_decomposerENS1_16block_id_wrapperIjLb1EEEEE10hipError_tT1_PNSt15iterator_traitsISG_E10value_typeET2_T3_PNSH_ISM_E10value_typeET4_T5_PSR_SS_PNS1_23onesweep_lookback_stateEbbT6_jjT7_P12ihipStream_tbENKUlT_T0_SG_SL_E_clIS7_S7_PlSB_EEDaSZ_S10_SG_SL_EUlSZ_E_NS1_11comp_targetILNS1_3genE0ELNS1_11target_archE4294967295ELNS1_3gpuE0ELNS1_3repE0EEENS1_47radix_sort_onesweep_sort_config_static_selectorELNS0_4arch9wavefront6targetE1EEEvSG_ ; -- Begin function _ZN7rocprim17ROCPRIM_400000_NS6detail17trampoline_kernelINS0_14default_configENS1_35radix_sort_onesweep_config_selectorIhlEEZZNS1_29radix_sort_onesweep_iterationIS3_Lb0EPhS7_N6thrust23THRUST_200600_302600_NS10device_ptrIlEESB_jNS0_19identity_decomposerENS1_16block_id_wrapperIjLb1EEEEE10hipError_tT1_PNSt15iterator_traitsISG_E10value_typeET2_T3_PNSH_ISM_E10value_typeET4_T5_PSR_SS_PNS1_23onesweep_lookback_stateEbbT6_jjT7_P12ihipStream_tbENKUlT_T0_SG_SL_E_clIS7_S7_PlSB_EEDaSZ_S10_SG_SL_EUlSZ_E_NS1_11comp_targetILNS1_3genE0ELNS1_11target_archE4294967295ELNS1_3gpuE0ELNS1_3repE0EEENS1_47radix_sort_onesweep_sort_config_static_selectorELNS0_4arch9wavefront6targetE1EEEvSG_
	.globl	_ZN7rocprim17ROCPRIM_400000_NS6detail17trampoline_kernelINS0_14default_configENS1_35radix_sort_onesweep_config_selectorIhlEEZZNS1_29radix_sort_onesweep_iterationIS3_Lb0EPhS7_N6thrust23THRUST_200600_302600_NS10device_ptrIlEESB_jNS0_19identity_decomposerENS1_16block_id_wrapperIjLb1EEEEE10hipError_tT1_PNSt15iterator_traitsISG_E10value_typeET2_T3_PNSH_ISM_E10value_typeET4_T5_PSR_SS_PNS1_23onesweep_lookback_stateEbbT6_jjT7_P12ihipStream_tbENKUlT_T0_SG_SL_E_clIS7_S7_PlSB_EEDaSZ_S10_SG_SL_EUlSZ_E_NS1_11comp_targetILNS1_3genE0ELNS1_11target_archE4294967295ELNS1_3gpuE0ELNS1_3repE0EEENS1_47radix_sort_onesweep_sort_config_static_selectorELNS0_4arch9wavefront6targetE1EEEvSG_
	.p2align	8
	.type	_ZN7rocprim17ROCPRIM_400000_NS6detail17trampoline_kernelINS0_14default_configENS1_35radix_sort_onesweep_config_selectorIhlEEZZNS1_29radix_sort_onesweep_iterationIS3_Lb0EPhS7_N6thrust23THRUST_200600_302600_NS10device_ptrIlEESB_jNS0_19identity_decomposerENS1_16block_id_wrapperIjLb1EEEEE10hipError_tT1_PNSt15iterator_traitsISG_E10value_typeET2_T3_PNSH_ISM_E10value_typeET4_T5_PSR_SS_PNS1_23onesweep_lookback_stateEbbT6_jjT7_P12ihipStream_tbENKUlT_T0_SG_SL_E_clIS7_S7_PlSB_EEDaSZ_S10_SG_SL_EUlSZ_E_NS1_11comp_targetILNS1_3genE0ELNS1_11target_archE4294967295ELNS1_3gpuE0ELNS1_3repE0EEENS1_47radix_sort_onesweep_sort_config_static_selectorELNS0_4arch9wavefront6targetE1EEEvSG_,@function
_ZN7rocprim17ROCPRIM_400000_NS6detail17trampoline_kernelINS0_14default_configENS1_35radix_sort_onesweep_config_selectorIhlEEZZNS1_29radix_sort_onesweep_iterationIS3_Lb0EPhS7_N6thrust23THRUST_200600_302600_NS10device_ptrIlEESB_jNS0_19identity_decomposerENS1_16block_id_wrapperIjLb1EEEEE10hipError_tT1_PNSt15iterator_traitsISG_E10value_typeET2_T3_PNSH_ISM_E10value_typeET4_T5_PSR_SS_PNS1_23onesweep_lookback_stateEbbT6_jjT7_P12ihipStream_tbENKUlT_T0_SG_SL_E_clIS7_S7_PlSB_EEDaSZ_S10_SG_SL_EUlSZ_E_NS1_11comp_targetILNS1_3genE0ELNS1_11target_archE4294967295ELNS1_3gpuE0ELNS1_3repE0EEENS1_47radix_sort_onesweep_sort_config_static_selectorELNS0_4arch9wavefront6targetE1EEEvSG_: ; @_ZN7rocprim17ROCPRIM_400000_NS6detail17trampoline_kernelINS0_14default_configENS1_35radix_sort_onesweep_config_selectorIhlEEZZNS1_29radix_sort_onesweep_iterationIS3_Lb0EPhS7_N6thrust23THRUST_200600_302600_NS10device_ptrIlEESB_jNS0_19identity_decomposerENS1_16block_id_wrapperIjLb1EEEEE10hipError_tT1_PNSt15iterator_traitsISG_E10value_typeET2_T3_PNSH_ISM_E10value_typeET4_T5_PSR_SS_PNS1_23onesweep_lookback_stateEbbT6_jjT7_P12ihipStream_tbENKUlT_T0_SG_SL_E_clIS7_S7_PlSB_EEDaSZ_S10_SG_SL_EUlSZ_E_NS1_11comp_targetILNS1_3genE0ELNS1_11target_archE4294967295ELNS1_3gpuE0ELNS1_3repE0EEENS1_47radix_sort_onesweep_sort_config_static_selectorELNS0_4arch9wavefront6targetE1EEEvSG_
; %bb.0:
	.section	.rodata,"a",@progbits
	.p2align	6, 0x0
	.amdhsa_kernel _ZN7rocprim17ROCPRIM_400000_NS6detail17trampoline_kernelINS0_14default_configENS1_35radix_sort_onesweep_config_selectorIhlEEZZNS1_29radix_sort_onesweep_iterationIS3_Lb0EPhS7_N6thrust23THRUST_200600_302600_NS10device_ptrIlEESB_jNS0_19identity_decomposerENS1_16block_id_wrapperIjLb1EEEEE10hipError_tT1_PNSt15iterator_traitsISG_E10value_typeET2_T3_PNSH_ISM_E10value_typeET4_T5_PSR_SS_PNS1_23onesweep_lookback_stateEbbT6_jjT7_P12ihipStream_tbENKUlT_T0_SG_SL_E_clIS7_S7_PlSB_EEDaSZ_S10_SG_SL_EUlSZ_E_NS1_11comp_targetILNS1_3genE0ELNS1_11target_archE4294967295ELNS1_3gpuE0ELNS1_3repE0EEENS1_47radix_sort_onesweep_sort_config_static_selectorELNS0_4arch9wavefront6targetE1EEEvSG_
		.amdhsa_group_segment_fixed_size 0
		.amdhsa_private_segment_fixed_size 0
		.amdhsa_kernarg_size 88
		.amdhsa_user_sgpr_count 6
		.amdhsa_user_sgpr_private_segment_buffer 1
		.amdhsa_user_sgpr_dispatch_ptr 0
		.amdhsa_user_sgpr_queue_ptr 0
		.amdhsa_user_sgpr_kernarg_segment_ptr 1
		.amdhsa_user_sgpr_dispatch_id 0
		.amdhsa_user_sgpr_flat_scratch_init 0
		.amdhsa_user_sgpr_kernarg_preload_length 0
		.amdhsa_user_sgpr_kernarg_preload_offset 0
		.amdhsa_user_sgpr_private_segment_size 0
		.amdhsa_uses_dynamic_stack 0
		.amdhsa_system_sgpr_private_segment_wavefront_offset 0
		.amdhsa_system_sgpr_workgroup_id_x 1
		.amdhsa_system_sgpr_workgroup_id_y 0
		.amdhsa_system_sgpr_workgroup_id_z 0
		.amdhsa_system_sgpr_workgroup_info 0
		.amdhsa_system_vgpr_workitem_id 0
		.amdhsa_next_free_vgpr 1
		.amdhsa_next_free_sgpr 0
		.amdhsa_accum_offset 4
		.amdhsa_reserve_vcc 0
		.amdhsa_reserve_flat_scratch 0
		.amdhsa_float_round_mode_32 0
		.amdhsa_float_round_mode_16_64 0
		.amdhsa_float_denorm_mode_32 3
		.amdhsa_float_denorm_mode_16_64 3
		.amdhsa_dx10_clamp 1
		.amdhsa_ieee_mode 1
		.amdhsa_fp16_overflow 0
		.amdhsa_tg_split 0
		.amdhsa_exception_fp_ieee_invalid_op 0
		.amdhsa_exception_fp_denorm_src 0
		.amdhsa_exception_fp_ieee_div_zero 0
		.amdhsa_exception_fp_ieee_overflow 0
		.amdhsa_exception_fp_ieee_underflow 0
		.amdhsa_exception_fp_ieee_inexact 0
		.amdhsa_exception_int_div_zero 0
	.end_amdhsa_kernel
	.section	.text._ZN7rocprim17ROCPRIM_400000_NS6detail17trampoline_kernelINS0_14default_configENS1_35radix_sort_onesweep_config_selectorIhlEEZZNS1_29radix_sort_onesweep_iterationIS3_Lb0EPhS7_N6thrust23THRUST_200600_302600_NS10device_ptrIlEESB_jNS0_19identity_decomposerENS1_16block_id_wrapperIjLb1EEEEE10hipError_tT1_PNSt15iterator_traitsISG_E10value_typeET2_T3_PNSH_ISM_E10value_typeET4_T5_PSR_SS_PNS1_23onesweep_lookback_stateEbbT6_jjT7_P12ihipStream_tbENKUlT_T0_SG_SL_E_clIS7_S7_PlSB_EEDaSZ_S10_SG_SL_EUlSZ_E_NS1_11comp_targetILNS1_3genE0ELNS1_11target_archE4294967295ELNS1_3gpuE0ELNS1_3repE0EEENS1_47radix_sort_onesweep_sort_config_static_selectorELNS0_4arch9wavefront6targetE1EEEvSG_,"axG",@progbits,_ZN7rocprim17ROCPRIM_400000_NS6detail17trampoline_kernelINS0_14default_configENS1_35radix_sort_onesweep_config_selectorIhlEEZZNS1_29radix_sort_onesweep_iterationIS3_Lb0EPhS7_N6thrust23THRUST_200600_302600_NS10device_ptrIlEESB_jNS0_19identity_decomposerENS1_16block_id_wrapperIjLb1EEEEE10hipError_tT1_PNSt15iterator_traitsISG_E10value_typeET2_T3_PNSH_ISM_E10value_typeET4_T5_PSR_SS_PNS1_23onesweep_lookback_stateEbbT6_jjT7_P12ihipStream_tbENKUlT_T0_SG_SL_E_clIS7_S7_PlSB_EEDaSZ_S10_SG_SL_EUlSZ_E_NS1_11comp_targetILNS1_3genE0ELNS1_11target_archE4294967295ELNS1_3gpuE0ELNS1_3repE0EEENS1_47radix_sort_onesweep_sort_config_static_selectorELNS0_4arch9wavefront6targetE1EEEvSG_,comdat
.Lfunc_end282:
	.size	_ZN7rocprim17ROCPRIM_400000_NS6detail17trampoline_kernelINS0_14default_configENS1_35radix_sort_onesweep_config_selectorIhlEEZZNS1_29radix_sort_onesweep_iterationIS3_Lb0EPhS7_N6thrust23THRUST_200600_302600_NS10device_ptrIlEESB_jNS0_19identity_decomposerENS1_16block_id_wrapperIjLb1EEEEE10hipError_tT1_PNSt15iterator_traitsISG_E10value_typeET2_T3_PNSH_ISM_E10value_typeET4_T5_PSR_SS_PNS1_23onesweep_lookback_stateEbbT6_jjT7_P12ihipStream_tbENKUlT_T0_SG_SL_E_clIS7_S7_PlSB_EEDaSZ_S10_SG_SL_EUlSZ_E_NS1_11comp_targetILNS1_3genE0ELNS1_11target_archE4294967295ELNS1_3gpuE0ELNS1_3repE0EEENS1_47radix_sort_onesweep_sort_config_static_selectorELNS0_4arch9wavefront6targetE1EEEvSG_, .Lfunc_end282-_ZN7rocprim17ROCPRIM_400000_NS6detail17trampoline_kernelINS0_14default_configENS1_35radix_sort_onesweep_config_selectorIhlEEZZNS1_29radix_sort_onesweep_iterationIS3_Lb0EPhS7_N6thrust23THRUST_200600_302600_NS10device_ptrIlEESB_jNS0_19identity_decomposerENS1_16block_id_wrapperIjLb1EEEEE10hipError_tT1_PNSt15iterator_traitsISG_E10value_typeET2_T3_PNSH_ISM_E10value_typeET4_T5_PSR_SS_PNS1_23onesweep_lookback_stateEbbT6_jjT7_P12ihipStream_tbENKUlT_T0_SG_SL_E_clIS7_S7_PlSB_EEDaSZ_S10_SG_SL_EUlSZ_E_NS1_11comp_targetILNS1_3genE0ELNS1_11target_archE4294967295ELNS1_3gpuE0ELNS1_3repE0EEENS1_47radix_sort_onesweep_sort_config_static_selectorELNS0_4arch9wavefront6targetE1EEEvSG_
                                        ; -- End function
	.section	.AMDGPU.csdata,"",@progbits
; Kernel info:
; codeLenInByte = 0
; NumSgprs: 4
; NumVgprs: 0
; NumAgprs: 0
; TotalNumVgprs: 0
; ScratchSize: 0
; MemoryBound: 0
; FloatMode: 240
; IeeeMode: 1
; LDSByteSize: 0 bytes/workgroup (compile time only)
; SGPRBlocks: 0
; VGPRBlocks: 0
; NumSGPRsForWavesPerEU: 4
; NumVGPRsForWavesPerEU: 1
; AccumOffset: 4
; Occupancy: 8
; WaveLimiterHint : 0
; COMPUTE_PGM_RSRC2:SCRATCH_EN: 0
; COMPUTE_PGM_RSRC2:USER_SGPR: 6
; COMPUTE_PGM_RSRC2:TRAP_HANDLER: 0
; COMPUTE_PGM_RSRC2:TGID_X_EN: 1
; COMPUTE_PGM_RSRC2:TGID_Y_EN: 0
; COMPUTE_PGM_RSRC2:TGID_Z_EN: 0
; COMPUTE_PGM_RSRC2:TIDIG_COMP_CNT: 0
; COMPUTE_PGM_RSRC3_GFX90A:ACCUM_OFFSET: 0
; COMPUTE_PGM_RSRC3_GFX90A:TG_SPLIT: 0
	.section	.text._ZN7rocprim17ROCPRIM_400000_NS6detail17trampoline_kernelINS0_14default_configENS1_35radix_sort_onesweep_config_selectorIhlEEZZNS1_29radix_sort_onesweep_iterationIS3_Lb0EPhS7_N6thrust23THRUST_200600_302600_NS10device_ptrIlEESB_jNS0_19identity_decomposerENS1_16block_id_wrapperIjLb1EEEEE10hipError_tT1_PNSt15iterator_traitsISG_E10value_typeET2_T3_PNSH_ISM_E10value_typeET4_T5_PSR_SS_PNS1_23onesweep_lookback_stateEbbT6_jjT7_P12ihipStream_tbENKUlT_T0_SG_SL_E_clIS7_S7_PlSB_EEDaSZ_S10_SG_SL_EUlSZ_E_NS1_11comp_targetILNS1_3genE6ELNS1_11target_archE950ELNS1_3gpuE13ELNS1_3repE0EEENS1_47radix_sort_onesweep_sort_config_static_selectorELNS0_4arch9wavefront6targetE1EEEvSG_,"axG",@progbits,_ZN7rocprim17ROCPRIM_400000_NS6detail17trampoline_kernelINS0_14default_configENS1_35radix_sort_onesweep_config_selectorIhlEEZZNS1_29radix_sort_onesweep_iterationIS3_Lb0EPhS7_N6thrust23THRUST_200600_302600_NS10device_ptrIlEESB_jNS0_19identity_decomposerENS1_16block_id_wrapperIjLb1EEEEE10hipError_tT1_PNSt15iterator_traitsISG_E10value_typeET2_T3_PNSH_ISM_E10value_typeET4_T5_PSR_SS_PNS1_23onesweep_lookback_stateEbbT6_jjT7_P12ihipStream_tbENKUlT_T0_SG_SL_E_clIS7_S7_PlSB_EEDaSZ_S10_SG_SL_EUlSZ_E_NS1_11comp_targetILNS1_3genE6ELNS1_11target_archE950ELNS1_3gpuE13ELNS1_3repE0EEENS1_47radix_sort_onesweep_sort_config_static_selectorELNS0_4arch9wavefront6targetE1EEEvSG_,comdat
	.protected	_ZN7rocprim17ROCPRIM_400000_NS6detail17trampoline_kernelINS0_14default_configENS1_35radix_sort_onesweep_config_selectorIhlEEZZNS1_29radix_sort_onesweep_iterationIS3_Lb0EPhS7_N6thrust23THRUST_200600_302600_NS10device_ptrIlEESB_jNS0_19identity_decomposerENS1_16block_id_wrapperIjLb1EEEEE10hipError_tT1_PNSt15iterator_traitsISG_E10value_typeET2_T3_PNSH_ISM_E10value_typeET4_T5_PSR_SS_PNS1_23onesweep_lookback_stateEbbT6_jjT7_P12ihipStream_tbENKUlT_T0_SG_SL_E_clIS7_S7_PlSB_EEDaSZ_S10_SG_SL_EUlSZ_E_NS1_11comp_targetILNS1_3genE6ELNS1_11target_archE950ELNS1_3gpuE13ELNS1_3repE0EEENS1_47radix_sort_onesweep_sort_config_static_selectorELNS0_4arch9wavefront6targetE1EEEvSG_ ; -- Begin function _ZN7rocprim17ROCPRIM_400000_NS6detail17trampoline_kernelINS0_14default_configENS1_35radix_sort_onesweep_config_selectorIhlEEZZNS1_29radix_sort_onesweep_iterationIS3_Lb0EPhS7_N6thrust23THRUST_200600_302600_NS10device_ptrIlEESB_jNS0_19identity_decomposerENS1_16block_id_wrapperIjLb1EEEEE10hipError_tT1_PNSt15iterator_traitsISG_E10value_typeET2_T3_PNSH_ISM_E10value_typeET4_T5_PSR_SS_PNS1_23onesweep_lookback_stateEbbT6_jjT7_P12ihipStream_tbENKUlT_T0_SG_SL_E_clIS7_S7_PlSB_EEDaSZ_S10_SG_SL_EUlSZ_E_NS1_11comp_targetILNS1_3genE6ELNS1_11target_archE950ELNS1_3gpuE13ELNS1_3repE0EEENS1_47radix_sort_onesweep_sort_config_static_selectorELNS0_4arch9wavefront6targetE1EEEvSG_
	.globl	_ZN7rocprim17ROCPRIM_400000_NS6detail17trampoline_kernelINS0_14default_configENS1_35radix_sort_onesweep_config_selectorIhlEEZZNS1_29radix_sort_onesweep_iterationIS3_Lb0EPhS7_N6thrust23THRUST_200600_302600_NS10device_ptrIlEESB_jNS0_19identity_decomposerENS1_16block_id_wrapperIjLb1EEEEE10hipError_tT1_PNSt15iterator_traitsISG_E10value_typeET2_T3_PNSH_ISM_E10value_typeET4_T5_PSR_SS_PNS1_23onesweep_lookback_stateEbbT6_jjT7_P12ihipStream_tbENKUlT_T0_SG_SL_E_clIS7_S7_PlSB_EEDaSZ_S10_SG_SL_EUlSZ_E_NS1_11comp_targetILNS1_3genE6ELNS1_11target_archE950ELNS1_3gpuE13ELNS1_3repE0EEENS1_47radix_sort_onesweep_sort_config_static_selectorELNS0_4arch9wavefront6targetE1EEEvSG_
	.p2align	8
	.type	_ZN7rocprim17ROCPRIM_400000_NS6detail17trampoline_kernelINS0_14default_configENS1_35radix_sort_onesweep_config_selectorIhlEEZZNS1_29radix_sort_onesweep_iterationIS3_Lb0EPhS7_N6thrust23THRUST_200600_302600_NS10device_ptrIlEESB_jNS0_19identity_decomposerENS1_16block_id_wrapperIjLb1EEEEE10hipError_tT1_PNSt15iterator_traitsISG_E10value_typeET2_T3_PNSH_ISM_E10value_typeET4_T5_PSR_SS_PNS1_23onesweep_lookback_stateEbbT6_jjT7_P12ihipStream_tbENKUlT_T0_SG_SL_E_clIS7_S7_PlSB_EEDaSZ_S10_SG_SL_EUlSZ_E_NS1_11comp_targetILNS1_3genE6ELNS1_11target_archE950ELNS1_3gpuE13ELNS1_3repE0EEENS1_47radix_sort_onesweep_sort_config_static_selectorELNS0_4arch9wavefront6targetE1EEEvSG_,@function
_ZN7rocprim17ROCPRIM_400000_NS6detail17trampoline_kernelINS0_14default_configENS1_35radix_sort_onesweep_config_selectorIhlEEZZNS1_29radix_sort_onesweep_iterationIS3_Lb0EPhS7_N6thrust23THRUST_200600_302600_NS10device_ptrIlEESB_jNS0_19identity_decomposerENS1_16block_id_wrapperIjLb1EEEEE10hipError_tT1_PNSt15iterator_traitsISG_E10value_typeET2_T3_PNSH_ISM_E10value_typeET4_T5_PSR_SS_PNS1_23onesweep_lookback_stateEbbT6_jjT7_P12ihipStream_tbENKUlT_T0_SG_SL_E_clIS7_S7_PlSB_EEDaSZ_S10_SG_SL_EUlSZ_E_NS1_11comp_targetILNS1_3genE6ELNS1_11target_archE950ELNS1_3gpuE13ELNS1_3repE0EEENS1_47radix_sort_onesweep_sort_config_static_selectorELNS0_4arch9wavefront6targetE1EEEvSG_: ; @_ZN7rocprim17ROCPRIM_400000_NS6detail17trampoline_kernelINS0_14default_configENS1_35radix_sort_onesweep_config_selectorIhlEEZZNS1_29radix_sort_onesweep_iterationIS3_Lb0EPhS7_N6thrust23THRUST_200600_302600_NS10device_ptrIlEESB_jNS0_19identity_decomposerENS1_16block_id_wrapperIjLb1EEEEE10hipError_tT1_PNSt15iterator_traitsISG_E10value_typeET2_T3_PNSH_ISM_E10value_typeET4_T5_PSR_SS_PNS1_23onesweep_lookback_stateEbbT6_jjT7_P12ihipStream_tbENKUlT_T0_SG_SL_E_clIS7_S7_PlSB_EEDaSZ_S10_SG_SL_EUlSZ_E_NS1_11comp_targetILNS1_3genE6ELNS1_11target_archE950ELNS1_3gpuE13ELNS1_3repE0EEENS1_47radix_sort_onesweep_sort_config_static_selectorELNS0_4arch9wavefront6targetE1EEEvSG_
; %bb.0:
	.section	.rodata,"a",@progbits
	.p2align	6, 0x0
	.amdhsa_kernel _ZN7rocprim17ROCPRIM_400000_NS6detail17trampoline_kernelINS0_14default_configENS1_35radix_sort_onesweep_config_selectorIhlEEZZNS1_29radix_sort_onesweep_iterationIS3_Lb0EPhS7_N6thrust23THRUST_200600_302600_NS10device_ptrIlEESB_jNS0_19identity_decomposerENS1_16block_id_wrapperIjLb1EEEEE10hipError_tT1_PNSt15iterator_traitsISG_E10value_typeET2_T3_PNSH_ISM_E10value_typeET4_T5_PSR_SS_PNS1_23onesweep_lookback_stateEbbT6_jjT7_P12ihipStream_tbENKUlT_T0_SG_SL_E_clIS7_S7_PlSB_EEDaSZ_S10_SG_SL_EUlSZ_E_NS1_11comp_targetILNS1_3genE6ELNS1_11target_archE950ELNS1_3gpuE13ELNS1_3repE0EEENS1_47radix_sort_onesweep_sort_config_static_selectorELNS0_4arch9wavefront6targetE1EEEvSG_
		.amdhsa_group_segment_fixed_size 0
		.amdhsa_private_segment_fixed_size 0
		.amdhsa_kernarg_size 88
		.amdhsa_user_sgpr_count 6
		.amdhsa_user_sgpr_private_segment_buffer 1
		.amdhsa_user_sgpr_dispatch_ptr 0
		.amdhsa_user_sgpr_queue_ptr 0
		.amdhsa_user_sgpr_kernarg_segment_ptr 1
		.amdhsa_user_sgpr_dispatch_id 0
		.amdhsa_user_sgpr_flat_scratch_init 0
		.amdhsa_user_sgpr_kernarg_preload_length 0
		.amdhsa_user_sgpr_kernarg_preload_offset 0
		.amdhsa_user_sgpr_private_segment_size 0
		.amdhsa_uses_dynamic_stack 0
		.amdhsa_system_sgpr_private_segment_wavefront_offset 0
		.amdhsa_system_sgpr_workgroup_id_x 1
		.amdhsa_system_sgpr_workgroup_id_y 0
		.amdhsa_system_sgpr_workgroup_id_z 0
		.amdhsa_system_sgpr_workgroup_info 0
		.amdhsa_system_vgpr_workitem_id 0
		.amdhsa_next_free_vgpr 1
		.amdhsa_next_free_sgpr 0
		.amdhsa_accum_offset 4
		.amdhsa_reserve_vcc 0
		.amdhsa_reserve_flat_scratch 0
		.amdhsa_float_round_mode_32 0
		.amdhsa_float_round_mode_16_64 0
		.amdhsa_float_denorm_mode_32 3
		.amdhsa_float_denorm_mode_16_64 3
		.amdhsa_dx10_clamp 1
		.amdhsa_ieee_mode 1
		.amdhsa_fp16_overflow 0
		.amdhsa_tg_split 0
		.amdhsa_exception_fp_ieee_invalid_op 0
		.amdhsa_exception_fp_denorm_src 0
		.amdhsa_exception_fp_ieee_div_zero 0
		.amdhsa_exception_fp_ieee_overflow 0
		.amdhsa_exception_fp_ieee_underflow 0
		.amdhsa_exception_fp_ieee_inexact 0
		.amdhsa_exception_int_div_zero 0
	.end_amdhsa_kernel
	.section	.text._ZN7rocprim17ROCPRIM_400000_NS6detail17trampoline_kernelINS0_14default_configENS1_35radix_sort_onesweep_config_selectorIhlEEZZNS1_29radix_sort_onesweep_iterationIS3_Lb0EPhS7_N6thrust23THRUST_200600_302600_NS10device_ptrIlEESB_jNS0_19identity_decomposerENS1_16block_id_wrapperIjLb1EEEEE10hipError_tT1_PNSt15iterator_traitsISG_E10value_typeET2_T3_PNSH_ISM_E10value_typeET4_T5_PSR_SS_PNS1_23onesweep_lookback_stateEbbT6_jjT7_P12ihipStream_tbENKUlT_T0_SG_SL_E_clIS7_S7_PlSB_EEDaSZ_S10_SG_SL_EUlSZ_E_NS1_11comp_targetILNS1_3genE6ELNS1_11target_archE950ELNS1_3gpuE13ELNS1_3repE0EEENS1_47radix_sort_onesweep_sort_config_static_selectorELNS0_4arch9wavefront6targetE1EEEvSG_,"axG",@progbits,_ZN7rocprim17ROCPRIM_400000_NS6detail17trampoline_kernelINS0_14default_configENS1_35radix_sort_onesweep_config_selectorIhlEEZZNS1_29radix_sort_onesweep_iterationIS3_Lb0EPhS7_N6thrust23THRUST_200600_302600_NS10device_ptrIlEESB_jNS0_19identity_decomposerENS1_16block_id_wrapperIjLb1EEEEE10hipError_tT1_PNSt15iterator_traitsISG_E10value_typeET2_T3_PNSH_ISM_E10value_typeET4_T5_PSR_SS_PNS1_23onesweep_lookback_stateEbbT6_jjT7_P12ihipStream_tbENKUlT_T0_SG_SL_E_clIS7_S7_PlSB_EEDaSZ_S10_SG_SL_EUlSZ_E_NS1_11comp_targetILNS1_3genE6ELNS1_11target_archE950ELNS1_3gpuE13ELNS1_3repE0EEENS1_47radix_sort_onesweep_sort_config_static_selectorELNS0_4arch9wavefront6targetE1EEEvSG_,comdat
.Lfunc_end283:
	.size	_ZN7rocprim17ROCPRIM_400000_NS6detail17trampoline_kernelINS0_14default_configENS1_35radix_sort_onesweep_config_selectorIhlEEZZNS1_29radix_sort_onesweep_iterationIS3_Lb0EPhS7_N6thrust23THRUST_200600_302600_NS10device_ptrIlEESB_jNS0_19identity_decomposerENS1_16block_id_wrapperIjLb1EEEEE10hipError_tT1_PNSt15iterator_traitsISG_E10value_typeET2_T3_PNSH_ISM_E10value_typeET4_T5_PSR_SS_PNS1_23onesweep_lookback_stateEbbT6_jjT7_P12ihipStream_tbENKUlT_T0_SG_SL_E_clIS7_S7_PlSB_EEDaSZ_S10_SG_SL_EUlSZ_E_NS1_11comp_targetILNS1_3genE6ELNS1_11target_archE950ELNS1_3gpuE13ELNS1_3repE0EEENS1_47radix_sort_onesweep_sort_config_static_selectorELNS0_4arch9wavefront6targetE1EEEvSG_, .Lfunc_end283-_ZN7rocprim17ROCPRIM_400000_NS6detail17trampoline_kernelINS0_14default_configENS1_35radix_sort_onesweep_config_selectorIhlEEZZNS1_29radix_sort_onesweep_iterationIS3_Lb0EPhS7_N6thrust23THRUST_200600_302600_NS10device_ptrIlEESB_jNS0_19identity_decomposerENS1_16block_id_wrapperIjLb1EEEEE10hipError_tT1_PNSt15iterator_traitsISG_E10value_typeET2_T3_PNSH_ISM_E10value_typeET4_T5_PSR_SS_PNS1_23onesweep_lookback_stateEbbT6_jjT7_P12ihipStream_tbENKUlT_T0_SG_SL_E_clIS7_S7_PlSB_EEDaSZ_S10_SG_SL_EUlSZ_E_NS1_11comp_targetILNS1_3genE6ELNS1_11target_archE950ELNS1_3gpuE13ELNS1_3repE0EEENS1_47radix_sort_onesweep_sort_config_static_selectorELNS0_4arch9wavefront6targetE1EEEvSG_
                                        ; -- End function
	.section	.AMDGPU.csdata,"",@progbits
; Kernel info:
; codeLenInByte = 0
; NumSgprs: 4
; NumVgprs: 0
; NumAgprs: 0
; TotalNumVgprs: 0
; ScratchSize: 0
; MemoryBound: 0
; FloatMode: 240
; IeeeMode: 1
; LDSByteSize: 0 bytes/workgroup (compile time only)
; SGPRBlocks: 0
; VGPRBlocks: 0
; NumSGPRsForWavesPerEU: 4
; NumVGPRsForWavesPerEU: 1
; AccumOffset: 4
; Occupancy: 8
; WaveLimiterHint : 0
; COMPUTE_PGM_RSRC2:SCRATCH_EN: 0
; COMPUTE_PGM_RSRC2:USER_SGPR: 6
; COMPUTE_PGM_RSRC2:TRAP_HANDLER: 0
; COMPUTE_PGM_RSRC2:TGID_X_EN: 1
; COMPUTE_PGM_RSRC2:TGID_Y_EN: 0
; COMPUTE_PGM_RSRC2:TGID_Z_EN: 0
; COMPUTE_PGM_RSRC2:TIDIG_COMP_CNT: 0
; COMPUTE_PGM_RSRC3_GFX90A:ACCUM_OFFSET: 0
; COMPUTE_PGM_RSRC3_GFX90A:TG_SPLIT: 0
	.section	.text._ZN7rocprim17ROCPRIM_400000_NS6detail17trampoline_kernelINS0_14default_configENS1_35radix_sort_onesweep_config_selectorIhlEEZZNS1_29radix_sort_onesweep_iterationIS3_Lb0EPhS7_N6thrust23THRUST_200600_302600_NS10device_ptrIlEESB_jNS0_19identity_decomposerENS1_16block_id_wrapperIjLb1EEEEE10hipError_tT1_PNSt15iterator_traitsISG_E10value_typeET2_T3_PNSH_ISM_E10value_typeET4_T5_PSR_SS_PNS1_23onesweep_lookback_stateEbbT6_jjT7_P12ihipStream_tbENKUlT_T0_SG_SL_E_clIS7_S7_PlSB_EEDaSZ_S10_SG_SL_EUlSZ_E_NS1_11comp_targetILNS1_3genE5ELNS1_11target_archE942ELNS1_3gpuE9ELNS1_3repE0EEENS1_47radix_sort_onesweep_sort_config_static_selectorELNS0_4arch9wavefront6targetE1EEEvSG_,"axG",@progbits,_ZN7rocprim17ROCPRIM_400000_NS6detail17trampoline_kernelINS0_14default_configENS1_35radix_sort_onesweep_config_selectorIhlEEZZNS1_29radix_sort_onesweep_iterationIS3_Lb0EPhS7_N6thrust23THRUST_200600_302600_NS10device_ptrIlEESB_jNS0_19identity_decomposerENS1_16block_id_wrapperIjLb1EEEEE10hipError_tT1_PNSt15iterator_traitsISG_E10value_typeET2_T3_PNSH_ISM_E10value_typeET4_T5_PSR_SS_PNS1_23onesweep_lookback_stateEbbT6_jjT7_P12ihipStream_tbENKUlT_T0_SG_SL_E_clIS7_S7_PlSB_EEDaSZ_S10_SG_SL_EUlSZ_E_NS1_11comp_targetILNS1_3genE5ELNS1_11target_archE942ELNS1_3gpuE9ELNS1_3repE0EEENS1_47radix_sort_onesweep_sort_config_static_selectorELNS0_4arch9wavefront6targetE1EEEvSG_,comdat
	.protected	_ZN7rocprim17ROCPRIM_400000_NS6detail17trampoline_kernelINS0_14default_configENS1_35radix_sort_onesweep_config_selectorIhlEEZZNS1_29radix_sort_onesweep_iterationIS3_Lb0EPhS7_N6thrust23THRUST_200600_302600_NS10device_ptrIlEESB_jNS0_19identity_decomposerENS1_16block_id_wrapperIjLb1EEEEE10hipError_tT1_PNSt15iterator_traitsISG_E10value_typeET2_T3_PNSH_ISM_E10value_typeET4_T5_PSR_SS_PNS1_23onesweep_lookback_stateEbbT6_jjT7_P12ihipStream_tbENKUlT_T0_SG_SL_E_clIS7_S7_PlSB_EEDaSZ_S10_SG_SL_EUlSZ_E_NS1_11comp_targetILNS1_3genE5ELNS1_11target_archE942ELNS1_3gpuE9ELNS1_3repE0EEENS1_47radix_sort_onesweep_sort_config_static_selectorELNS0_4arch9wavefront6targetE1EEEvSG_ ; -- Begin function _ZN7rocprim17ROCPRIM_400000_NS6detail17trampoline_kernelINS0_14default_configENS1_35radix_sort_onesweep_config_selectorIhlEEZZNS1_29radix_sort_onesweep_iterationIS3_Lb0EPhS7_N6thrust23THRUST_200600_302600_NS10device_ptrIlEESB_jNS0_19identity_decomposerENS1_16block_id_wrapperIjLb1EEEEE10hipError_tT1_PNSt15iterator_traitsISG_E10value_typeET2_T3_PNSH_ISM_E10value_typeET4_T5_PSR_SS_PNS1_23onesweep_lookback_stateEbbT6_jjT7_P12ihipStream_tbENKUlT_T0_SG_SL_E_clIS7_S7_PlSB_EEDaSZ_S10_SG_SL_EUlSZ_E_NS1_11comp_targetILNS1_3genE5ELNS1_11target_archE942ELNS1_3gpuE9ELNS1_3repE0EEENS1_47radix_sort_onesweep_sort_config_static_selectorELNS0_4arch9wavefront6targetE1EEEvSG_
	.globl	_ZN7rocprim17ROCPRIM_400000_NS6detail17trampoline_kernelINS0_14default_configENS1_35radix_sort_onesweep_config_selectorIhlEEZZNS1_29radix_sort_onesweep_iterationIS3_Lb0EPhS7_N6thrust23THRUST_200600_302600_NS10device_ptrIlEESB_jNS0_19identity_decomposerENS1_16block_id_wrapperIjLb1EEEEE10hipError_tT1_PNSt15iterator_traitsISG_E10value_typeET2_T3_PNSH_ISM_E10value_typeET4_T5_PSR_SS_PNS1_23onesweep_lookback_stateEbbT6_jjT7_P12ihipStream_tbENKUlT_T0_SG_SL_E_clIS7_S7_PlSB_EEDaSZ_S10_SG_SL_EUlSZ_E_NS1_11comp_targetILNS1_3genE5ELNS1_11target_archE942ELNS1_3gpuE9ELNS1_3repE0EEENS1_47radix_sort_onesweep_sort_config_static_selectorELNS0_4arch9wavefront6targetE1EEEvSG_
	.p2align	8
	.type	_ZN7rocprim17ROCPRIM_400000_NS6detail17trampoline_kernelINS0_14default_configENS1_35radix_sort_onesweep_config_selectorIhlEEZZNS1_29radix_sort_onesweep_iterationIS3_Lb0EPhS7_N6thrust23THRUST_200600_302600_NS10device_ptrIlEESB_jNS0_19identity_decomposerENS1_16block_id_wrapperIjLb1EEEEE10hipError_tT1_PNSt15iterator_traitsISG_E10value_typeET2_T3_PNSH_ISM_E10value_typeET4_T5_PSR_SS_PNS1_23onesweep_lookback_stateEbbT6_jjT7_P12ihipStream_tbENKUlT_T0_SG_SL_E_clIS7_S7_PlSB_EEDaSZ_S10_SG_SL_EUlSZ_E_NS1_11comp_targetILNS1_3genE5ELNS1_11target_archE942ELNS1_3gpuE9ELNS1_3repE0EEENS1_47radix_sort_onesweep_sort_config_static_selectorELNS0_4arch9wavefront6targetE1EEEvSG_,@function
_ZN7rocprim17ROCPRIM_400000_NS6detail17trampoline_kernelINS0_14default_configENS1_35radix_sort_onesweep_config_selectorIhlEEZZNS1_29radix_sort_onesweep_iterationIS3_Lb0EPhS7_N6thrust23THRUST_200600_302600_NS10device_ptrIlEESB_jNS0_19identity_decomposerENS1_16block_id_wrapperIjLb1EEEEE10hipError_tT1_PNSt15iterator_traitsISG_E10value_typeET2_T3_PNSH_ISM_E10value_typeET4_T5_PSR_SS_PNS1_23onesweep_lookback_stateEbbT6_jjT7_P12ihipStream_tbENKUlT_T0_SG_SL_E_clIS7_S7_PlSB_EEDaSZ_S10_SG_SL_EUlSZ_E_NS1_11comp_targetILNS1_3genE5ELNS1_11target_archE942ELNS1_3gpuE9ELNS1_3repE0EEENS1_47radix_sort_onesweep_sort_config_static_selectorELNS0_4arch9wavefront6targetE1EEEvSG_: ; @_ZN7rocprim17ROCPRIM_400000_NS6detail17trampoline_kernelINS0_14default_configENS1_35radix_sort_onesweep_config_selectorIhlEEZZNS1_29radix_sort_onesweep_iterationIS3_Lb0EPhS7_N6thrust23THRUST_200600_302600_NS10device_ptrIlEESB_jNS0_19identity_decomposerENS1_16block_id_wrapperIjLb1EEEEE10hipError_tT1_PNSt15iterator_traitsISG_E10value_typeET2_T3_PNSH_ISM_E10value_typeET4_T5_PSR_SS_PNS1_23onesweep_lookback_stateEbbT6_jjT7_P12ihipStream_tbENKUlT_T0_SG_SL_E_clIS7_S7_PlSB_EEDaSZ_S10_SG_SL_EUlSZ_E_NS1_11comp_targetILNS1_3genE5ELNS1_11target_archE942ELNS1_3gpuE9ELNS1_3repE0EEENS1_47radix_sort_onesweep_sort_config_static_selectorELNS0_4arch9wavefront6targetE1EEEvSG_
; %bb.0:
	.section	.rodata,"a",@progbits
	.p2align	6, 0x0
	.amdhsa_kernel _ZN7rocprim17ROCPRIM_400000_NS6detail17trampoline_kernelINS0_14default_configENS1_35radix_sort_onesweep_config_selectorIhlEEZZNS1_29radix_sort_onesweep_iterationIS3_Lb0EPhS7_N6thrust23THRUST_200600_302600_NS10device_ptrIlEESB_jNS0_19identity_decomposerENS1_16block_id_wrapperIjLb1EEEEE10hipError_tT1_PNSt15iterator_traitsISG_E10value_typeET2_T3_PNSH_ISM_E10value_typeET4_T5_PSR_SS_PNS1_23onesweep_lookback_stateEbbT6_jjT7_P12ihipStream_tbENKUlT_T0_SG_SL_E_clIS7_S7_PlSB_EEDaSZ_S10_SG_SL_EUlSZ_E_NS1_11comp_targetILNS1_3genE5ELNS1_11target_archE942ELNS1_3gpuE9ELNS1_3repE0EEENS1_47radix_sort_onesweep_sort_config_static_selectorELNS0_4arch9wavefront6targetE1EEEvSG_
		.amdhsa_group_segment_fixed_size 0
		.amdhsa_private_segment_fixed_size 0
		.amdhsa_kernarg_size 88
		.amdhsa_user_sgpr_count 6
		.amdhsa_user_sgpr_private_segment_buffer 1
		.amdhsa_user_sgpr_dispatch_ptr 0
		.amdhsa_user_sgpr_queue_ptr 0
		.amdhsa_user_sgpr_kernarg_segment_ptr 1
		.amdhsa_user_sgpr_dispatch_id 0
		.amdhsa_user_sgpr_flat_scratch_init 0
		.amdhsa_user_sgpr_kernarg_preload_length 0
		.amdhsa_user_sgpr_kernarg_preload_offset 0
		.amdhsa_user_sgpr_private_segment_size 0
		.amdhsa_uses_dynamic_stack 0
		.amdhsa_system_sgpr_private_segment_wavefront_offset 0
		.amdhsa_system_sgpr_workgroup_id_x 1
		.amdhsa_system_sgpr_workgroup_id_y 0
		.amdhsa_system_sgpr_workgroup_id_z 0
		.amdhsa_system_sgpr_workgroup_info 0
		.amdhsa_system_vgpr_workitem_id 0
		.amdhsa_next_free_vgpr 1
		.amdhsa_next_free_sgpr 0
		.amdhsa_accum_offset 4
		.amdhsa_reserve_vcc 0
		.amdhsa_reserve_flat_scratch 0
		.amdhsa_float_round_mode_32 0
		.amdhsa_float_round_mode_16_64 0
		.amdhsa_float_denorm_mode_32 3
		.amdhsa_float_denorm_mode_16_64 3
		.amdhsa_dx10_clamp 1
		.amdhsa_ieee_mode 1
		.amdhsa_fp16_overflow 0
		.amdhsa_tg_split 0
		.amdhsa_exception_fp_ieee_invalid_op 0
		.amdhsa_exception_fp_denorm_src 0
		.amdhsa_exception_fp_ieee_div_zero 0
		.amdhsa_exception_fp_ieee_overflow 0
		.amdhsa_exception_fp_ieee_underflow 0
		.amdhsa_exception_fp_ieee_inexact 0
		.amdhsa_exception_int_div_zero 0
	.end_amdhsa_kernel
	.section	.text._ZN7rocprim17ROCPRIM_400000_NS6detail17trampoline_kernelINS0_14default_configENS1_35radix_sort_onesweep_config_selectorIhlEEZZNS1_29radix_sort_onesweep_iterationIS3_Lb0EPhS7_N6thrust23THRUST_200600_302600_NS10device_ptrIlEESB_jNS0_19identity_decomposerENS1_16block_id_wrapperIjLb1EEEEE10hipError_tT1_PNSt15iterator_traitsISG_E10value_typeET2_T3_PNSH_ISM_E10value_typeET4_T5_PSR_SS_PNS1_23onesweep_lookback_stateEbbT6_jjT7_P12ihipStream_tbENKUlT_T0_SG_SL_E_clIS7_S7_PlSB_EEDaSZ_S10_SG_SL_EUlSZ_E_NS1_11comp_targetILNS1_3genE5ELNS1_11target_archE942ELNS1_3gpuE9ELNS1_3repE0EEENS1_47radix_sort_onesweep_sort_config_static_selectorELNS0_4arch9wavefront6targetE1EEEvSG_,"axG",@progbits,_ZN7rocprim17ROCPRIM_400000_NS6detail17trampoline_kernelINS0_14default_configENS1_35radix_sort_onesweep_config_selectorIhlEEZZNS1_29radix_sort_onesweep_iterationIS3_Lb0EPhS7_N6thrust23THRUST_200600_302600_NS10device_ptrIlEESB_jNS0_19identity_decomposerENS1_16block_id_wrapperIjLb1EEEEE10hipError_tT1_PNSt15iterator_traitsISG_E10value_typeET2_T3_PNSH_ISM_E10value_typeET4_T5_PSR_SS_PNS1_23onesweep_lookback_stateEbbT6_jjT7_P12ihipStream_tbENKUlT_T0_SG_SL_E_clIS7_S7_PlSB_EEDaSZ_S10_SG_SL_EUlSZ_E_NS1_11comp_targetILNS1_3genE5ELNS1_11target_archE942ELNS1_3gpuE9ELNS1_3repE0EEENS1_47radix_sort_onesweep_sort_config_static_selectorELNS0_4arch9wavefront6targetE1EEEvSG_,comdat
.Lfunc_end284:
	.size	_ZN7rocprim17ROCPRIM_400000_NS6detail17trampoline_kernelINS0_14default_configENS1_35radix_sort_onesweep_config_selectorIhlEEZZNS1_29radix_sort_onesweep_iterationIS3_Lb0EPhS7_N6thrust23THRUST_200600_302600_NS10device_ptrIlEESB_jNS0_19identity_decomposerENS1_16block_id_wrapperIjLb1EEEEE10hipError_tT1_PNSt15iterator_traitsISG_E10value_typeET2_T3_PNSH_ISM_E10value_typeET4_T5_PSR_SS_PNS1_23onesweep_lookback_stateEbbT6_jjT7_P12ihipStream_tbENKUlT_T0_SG_SL_E_clIS7_S7_PlSB_EEDaSZ_S10_SG_SL_EUlSZ_E_NS1_11comp_targetILNS1_3genE5ELNS1_11target_archE942ELNS1_3gpuE9ELNS1_3repE0EEENS1_47radix_sort_onesweep_sort_config_static_selectorELNS0_4arch9wavefront6targetE1EEEvSG_, .Lfunc_end284-_ZN7rocprim17ROCPRIM_400000_NS6detail17trampoline_kernelINS0_14default_configENS1_35radix_sort_onesweep_config_selectorIhlEEZZNS1_29radix_sort_onesweep_iterationIS3_Lb0EPhS7_N6thrust23THRUST_200600_302600_NS10device_ptrIlEESB_jNS0_19identity_decomposerENS1_16block_id_wrapperIjLb1EEEEE10hipError_tT1_PNSt15iterator_traitsISG_E10value_typeET2_T3_PNSH_ISM_E10value_typeET4_T5_PSR_SS_PNS1_23onesweep_lookback_stateEbbT6_jjT7_P12ihipStream_tbENKUlT_T0_SG_SL_E_clIS7_S7_PlSB_EEDaSZ_S10_SG_SL_EUlSZ_E_NS1_11comp_targetILNS1_3genE5ELNS1_11target_archE942ELNS1_3gpuE9ELNS1_3repE0EEENS1_47radix_sort_onesweep_sort_config_static_selectorELNS0_4arch9wavefront6targetE1EEEvSG_
                                        ; -- End function
	.section	.AMDGPU.csdata,"",@progbits
; Kernel info:
; codeLenInByte = 0
; NumSgprs: 4
; NumVgprs: 0
; NumAgprs: 0
; TotalNumVgprs: 0
; ScratchSize: 0
; MemoryBound: 0
; FloatMode: 240
; IeeeMode: 1
; LDSByteSize: 0 bytes/workgroup (compile time only)
; SGPRBlocks: 0
; VGPRBlocks: 0
; NumSGPRsForWavesPerEU: 4
; NumVGPRsForWavesPerEU: 1
; AccumOffset: 4
; Occupancy: 8
; WaveLimiterHint : 0
; COMPUTE_PGM_RSRC2:SCRATCH_EN: 0
; COMPUTE_PGM_RSRC2:USER_SGPR: 6
; COMPUTE_PGM_RSRC2:TRAP_HANDLER: 0
; COMPUTE_PGM_RSRC2:TGID_X_EN: 1
; COMPUTE_PGM_RSRC2:TGID_Y_EN: 0
; COMPUTE_PGM_RSRC2:TGID_Z_EN: 0
; COMPUTE_PGM_RSRC2:TIDIG_COMP_CNT: 0
; COMPUTE_PGM_RSRC3_GFX90A:ACCUM_OFFSET: 0
; COMPUTE_PGM_RSRC3_GFX90A:TG_SPLIT: 0
	.section	.text._ZN7rocprim17ROCPRIM_400000_NS6detail17trampoline_kernelINS0_14default_configENS1_35radix_sort_onesweep_config_selectorIhlEEZZNS1_29radix_sort_onesweep_iterationIS3_Lb0EPhS7_N6thrust23THRUST_200600_302600_NS10device_ptrIlEESB_jNS0_19identity_decomposerENS1_16block_id_wrapperIjLb1EEEEE10hipError_tT1_PNSt15iterator_traitsISG_E10value_typeET2_T3_PNSH_ISM_E10value_typeET4_T5_PSR_SS_PNS1_23onesweep_lookback_stateEbbT6_jjT7_P12ihipStream_tbENKUlT_T0_SG_SL_E_clIS7_S7_PlSB_EEDaSZ_S10_SG_SL_EUlSZ_E_NS1_11comp_targetILNS1_3genE2ELNS1_11target_archE906ELNS1_3gpuE6ELNS1_3repE0EEENS1_47radix_sort_onesweep_sort_config_static_selectorELNS0_4arch9wavefront6targetE1EEEvSG_,"axG",@progbits,_ZN7rocprim17ROCPRIM_400000_NS6detail17trampoline_kernelINS0_14default_configENS1_35radix_sort_onesweep_config_selectorIhlEEZZNS1_29radix_sort_onesweep_iterationIS3_Lb0EPhS7_N6thrust23THRUST_200600_302600_NS10device_ptrIlEESB_jNS0_19identity_decomposerENS1_16block_id_wrapperIjLb1EEEEE10hipError_tT1_PNSt15iterator_traitsISG_E10value_typeET2_T3_PNSH_ISM_E10value_typeET4_T5_PSR_SS_PNS1_23onesweep_lookback_stateEbbT6_jjT7_P12ihipStream_tbENKUlT_T0_SG_SL_E_clIS7_S7_PlSB_EEDaSZ_S10_SG_SL_EUlSZ_E_NS1_11comp_targetILNS1_3genE2ELNS1_11target_archE906ELNS1_3gpuE6ELNS1_3repE0EEENS1_47radix_sort_onesweep_sort_config_static_selectorELNS0_4arch9wavefront6targetE1EEEvSG_,comdat
	.protected	_ZN7rocprim17ROCPRIM_400000_NS6detail17trampoline_kernelINS0_14default_configENS1_35radix_sort_onesweep_config_selectorIhlEEZZNS1_29radix_sort_onesweep_iterationIS3_Lb0EPhS7_N6thrust23THRUST_200600_302600_NS10device_ptrIlEESB_jNS0_19identity_decomposerENS1_16block_id_wrapperIjLb1EEEEE10hipError_tT1_PNSt15iterator_traitsISG_E10value_typeET2_T3_PNSH_ISM_E10value_typeET4_T5_PSR_SS_PNS1_23onesweep_lookback_stateEbbT6_jjT7_P12ihipStream_tbENKUlT_T0_SG_SL_E_clIS7_S7_PlSB_EEDaSZ_S10_SG_SL_EUlSZ_E_NS1_11comp_targetILNS1_3genE2ELNS1_11target_archE906ELNS1_3gpuE6ELNS1_3repE0EEENS1_47radix_sort_onesweep_sort_config_static_selectorELNS0_4arch9wavefront6targetE1EEEvSG_ ; -- Begin function _ZN7rocprim17ROCPRIM_400000_NS6detail17trampoline_kernelINS0_14default_configENS1_35radix_sort_onesweep_config_selectorIhlEEZZNS1_29radix_sort_onesweep_iterationIS3_Lb0EPhS7_N6thrust23THRUST_200600_302600_NS10device_ptrIlEESB_jNS0_19identity_decomposerENS1_16block_id_wrapperIjLb1EEEEE10hipError_tT1_PNSt15iterator_traitsISG_E10value_typeET2_T3_PNSH_ISM_E10value_typeET4_T5_PSR_SS_PNS1_23onesweep_lookback_stateEbbT6_jjT7_P12ihipStream_tbENKUlT_T0_SG_SL_E_clIS7_S7_PlSB_EEDaSZ_S10_SG_SL_EUlSZ_E_NS1_11comp_targetILNS1_3genE2ELNS1_11target_archE906ELNS1_3gpuE6ELNS1_3repE0EEENS1_47radix_sort_onesweep_sort_config_static_selectorELNS0_4arch9wavefront6targetE1EEEvSG_
	.globl	_ZN7rocprim17ROCPRIM_400000_NS6detail17trampoline_kernelINS0_14default_configENS1_35radix_sort_onesweep_config_selectorIhlEEZZNS1_29radix_sort_onesweep_iterationIS3_Lb0EPhS7_N6thrust23THRUST_200600_302600_NS10device_ptrIlEESB_jNS0_19identity_decomposerENS1_16block_id_wrapperIjLb1EEEEE10hipError_tT1_PNSt15iterator_traitsISG_E10value_typeET2_T3_PNSH_ISM_E10value_typeET4_T5_PSR_SS_PNS1_23onesweep_lookback_stateEbbT6_jjT7_P12ihipStream_tbENKUlT_T0_SG_SL_E_clIS7_S7_PlSB_EEDaSZ_S10_SG_SL_EUlSZ_E_NS1_11comp_targetILNS1_3genE2ELNS1_11target_archE906ELNS1_3gpuE6ELNS1_3repE0EEENS1_47radix_sort_onesweep_sort_config_static_selectorELNS0_4arch9wavefront6targetE1EEEvSG_
	.p2align	8
	.type	_ZN7rocprim17ROCPRIM_400000_NS6detail17trampoline_kernelINS0_14default_configENS1_35radix_sort_onesweep_config_selectorIhlEEZZNS1_29radix_sort_onesweep_iterationIS3_Lb0EPhS7_N6thrust23THRUST_200600_302600_NS10device_ptrIlEESB_jNS0_19identity_decomposerENS1_16block_id_wrapperIjLb1EEEEE10hipError_tT1_PNSt15iterator_traitsISG_E10value_typeET2_T3_PNSH_ISM_E10value_typeET4_T5_PSR_SS_PNS1_23onesweep_lookback_stateEbbT6_jjT7_P12ihipStream_tbENKUlT_T0_SG_SL_E_clIS7_S7_PlSB_EEDaSZ_S10_SG_SL_EUlSZ_E_NS1_11comp_targetILNS1_3genE2ELNS1_11target_archE906ELNS1_3gpuE6ELNS1_3repE0EEENS1_47radix_sort_onesweep_sort_config_static_selectorELNS0_4arch9wavefront6targetE1EEEvSG_,@function
_ZN7rocprim17ROCPRIM_400000_NS6detail17trampoline_kernelINS0_14default_configENS1_35radix_sort_onesweep_config_selectorIhlEEZZNS1_29radix_sort_onesweep_iterationIS3_Lb0EPhS7_N6thrust23THRUST_200600_302600_NS10device_ptrIlEESB_jNS0_19identity_decomposerENS1_16block_id_wrapperIjLb1EEEEE10hipError_tT1_PNSt15iterator_traitsISG_E10value_typeET2_T3_PNSH_ISM_E10value_typeET4_T5_PSR_SS_PNS1_23onesweep_lookback_stateEbbT6_jjT7_P12ihipStream_tbENKUlT_T0_SG_SL_E_clIS7_S7_PlSB_EEDaSZ_S10_SG_SL_EUlSZ_E_NS1_11comp_targetILNS1_3genE2ELNS1_11target_archE906ELNS1_3gpuE6ELNS1_3repE0EEENS1_47radix_sort_onesweep_sort_config_static_selectorELNS0_4arch9wavefront6targetE1EEEvSG_: ; @_ZN7rocprim17ROCPRIM_400000_NS6detail17trampoline_kernelINS0_14default_configENS1_35radix_sort_onesweep_config_selectorIhlEEZZNS1_29radix_sort_onesweep_iterationIS3_Lb0EPhS7_N6thrust23THRUST_200600_302600_NS10device_ptrIlEESB_jNS0_19identity_decomposerENS1_16block_id_wrapperIjLb1EEEEE10hipError_tT1_PNSt15iterator_traitsISG_E10value_typeET2_T3_PNSH_ISM_E10value_typeET4_T5_PSR_SS_PNS1_23onesweep_lookback_stateEbbT6_jjT7_P12ihipStream_tbENKUlT_T0_SG_SL_E_clIS7_S7_PlSB_EEDaSZ_S10_SG_SL_EUlSZ_E_NS1_11comp_targetILNS1_3genE2ELNS1_11target_archE906ELNS1_3gpuE6ELNS1_3repE0EEENS1_47radix_sort_onesweep_sort_config_static_selectorELNS0_4arch9wavefront6targetE1EEEvSG_
; %bb.0:
	.section	.rodata,"a",@progbits
	.p2align	6, 0x0
	.amdhsa_kernel _ZN7rocprim17ROCPRIM_400000_NS6detail17trampoline_kernelINS0_14default_configENS1_35radix_sort_onesweep_config_selectorIhlEEZZNS1_29radix_sort_onesweep_iterationIS3_Lb0EPhS7_N6thrust23THRUST_200600_302600_NS10device_ptrIlEESB_jNS0_19identity_decomposerENS1_16block_id_wrapperIjLb1EEEEE10hipError_tT1_PNSt15iterator_traitsISG_E10value_typeET2_T3_PNSH_ISM_E10value_typeET4_T5_PSR_SS_PNS1_23onesweep_lookback_stateEbbT6_jjT7_P12ihipStream_tbENKUlT_T0_SG_SL_E_clIS7_S7_PlSB_EEDaSZ_S10_SG_SL_EUlSZ_E_NS1_11comp_targetILNS1_3genE2ELNS1_11target_archE906ELNS1_3gpuE6ELNS1_3repE0EEENS1_47radix_sort_onesweep_sort_config_static_selectorELNS0_4arch9wavefront6targetE1EEEvSG_
		.amdhsa_group_segment_fixed_size 0
		.amdhsa_private_segment_fixed_size 0
		.amdhsa_kernarg_size 88
		.amdhsa_user_sgpr_count 6
		.amdhsa_user_sgpr_private_segment_buffer 1
		.amdhsa_user_sgpr_dispatch_ptr 0
		.amdhsa_user_sgpr_queue_ptr 0
		.amdhsa_user_sgpr_kernarg_segment_ptr 1
		.amdhsa_user_sgpr_dispatch_id 0
		.amdhsa_user_sgpr_flat_scratch_init 0
		.amdhsa_user_sgpr_kernarg_preload_length 0
		.amdhsa_user_sgpr_kernarg_preload_offset 0
		.amdhsa_user_sgpr_private_segment_size 0
		.amdhsa_uses_dynamic_stack 0
		.amdhsa_system_sgpr_private_segment_wavefront_offset 0
		.amdhsa_system_sgpr_workgroup_id_x 1
		.amdhsa_system_sgpr_workgroup_id_y 0
		.amdhsa_system_sgpr_workgroup_id_z 0
		.amdhsa_system_sgpr_workgroup_info 0
		.amdhsa_system_vgpr_workitem_id 0
		.amdhsa_next_free_vgpr 1
		.amdhsa_next_free_sgpr 0
		.amdhsa_accum_offset 4
		.amdhsa_reserve_vcc 0
		.amdhsa_reserve_flat_scratch 0
		.amdhsa_float_round_mode_32 0
		.amdhsa_float_round_mode_16_64 0
		.amdhsa_float_denorm_mode_32 3
		.amdhsa_float_denorm_mode_16_64 3
		.amdhsa_dx10_clamp 1
		.amdhsa_ieee_mode 1
		.amdhsa_fp16_overflow 0
		.amdhsa_tg_split 0
		.amdhsa_exception_fp_ieee_invalid_op 0
		.amdhsa_exception_fp_denorm_src 0
		.amdhsa_exception_fp_ieee_div_zero 0
		.amdhsa_exception_fp_ieee_overflow 0
		.amdhsa_exception_fp_ieee_underflow 0
		.amdhsa_exception_fp_ieee_inexact 0
		.amdhsa_exception_int_div_zero 0
	.end_amdhsa_kernel
	.section	.text._ZN7rocprim17ROCPRIM_400000_NS6detail17trampoline_kernelINS0_14default_configENS1_35radix_sort_onesweep_config_selectorIhlEEZZNS1_29radix_sort_onesweep_iterationIS3_Lb0EPhS7_N6thrust23THRUST_200600_302600_NS10device_ptrIlEESB_jNS0_19identity_decomposerENS1_16block_id_wrapperIjLb1EEEEE10hipError_tT1_PNSt15iterator_traitsISG_E10value_typeET2_T3_PNSH_ISM_E10value_typeET4_T5_PSR_SS_PNS1_23onesweep_lookback_stateEbbT6_jjT7_P12ihipStream_tbENKUlT_T0_SG_SL_E_clIS7_S7_PlSB_EEDaSZ_S10_SG_SL_EUlSZ_E_NS1_11comp_targetILNS1_3genE2ELNS1_11target_archE906ELNS1_3gpuE6ELNS1_3repE0EEENS1_47radix_sort_onesweep_sort_config_static_selectorELNS0_4arch9wavefront6targetE1EEEvSG_,"axG",@progbits,_ZN7rocprim17ROCPRIM_400000_NS6detail17trampoline_kernelINS0_14default_configENS1_35radix_sort_onesweep_config_selectorIhlEEZZNS1_29radix_sort_onesweep_iterationIS3_Lb0EPhS7_N6thrust23THRUST_200600_302600_NS10device_ptrIlEESB_jNS0_19identity_decomposerENS1_16block_id_wrapperIjLb1EEEEE10hipError_tT1_PNSt15iterator_traitsISG_E10value_typeET2_T3_PNSH_ISM_E10value_typeET4_T5_PSR_SS_PNS1_23onesweep_lookback_stateEbbT6_jjT7_P12ihipStream_tbENKUlT_T0_SG_SL_E_clIS7_S7_PlSB_EEDaSZ_S10_SG_SL_EUlSZ_E_NS1_11comp_targetILNS1_3genE2ELNS1_11target_archE906ELNS1_3gpuE6ELNS1_3repE0EEENS1_47radix_sort_onesweep_sort_config_static_selectorELNS0_4arch9wavefront6targetE1EEEvSG_,comdat
.Lfunc_end285:
	.size	_ZN7rocprim17ROCPRIM_400000_NS6detail17trampoline_kernelINS0_14default_configENS1_35radix_sort_onesweep_config_selectorIhlEEZZNS1_29radix_sort_onesweep_iterationIS3_Lb0EPhS7_N6thrust23THRUST_200600_302600_NS10device_ptrIlEESB_jNS0_19identity_decomposerENS1_16block_id_wrapperIjLb1EEEEE10hipError_tT1_PNSt15iterator_traitsISG_E10value_typeET2_T3_PNSH_ISM_E10value_typeET4_T5_PSR_SS_PNS1_23onesweep_lookback_stateEbbT6_jjT7_P12ihipStream_tbENKUlT_T0_SG_SL_E_clIS7_S7_PlSB_EEDaSZ_S10_SG_SL_EUlSZ_E_NS1_11comp_targetILNS1_3genE2ELNS1_11target_archE906ELNS1_3gpuE6ELNS1_3repE0EEENS1_47radix_sort_onesweep_sort_config_static_selectorELNS0_4arch9wavefront6targetE1EEEvSG_, .Lfunc_end285-_ZN7rocprim17ROCPRIM_400000_NS6detail17trampoline_kernelINS0_14default_configENS1_35radix_sort_onesweep_config_selectorIhlEEZZNS1_29radix_sort_onesweep_iterationIS3_Lb0EPhS7_N6thrust23THRUST_200600_302600_NS10device_ptrIlEESB_jNS0_19identity_decomposerENS1_16block_id_wrapperIjLb1EEEEE10hipError_tT1_PNSt15iterator_traitsISG_E10value_typeET2_T3_PNSH_ISM_E10value_typeET4_T5_PSR_SS_PNS1_23onesweep_lookback_stateEbbT6_jjT7_P12ihipStream_tbENKUlT_T0_SG_SL_E_clIS7_S7_PlSB_EEDaSZ_S10_SG_SL_EUlSZ_E_NS1_11comp_targetILNS1_3genE2ELNS1_11target_archE906ELNS1_3gpuE6ELNS1_3repE0EEENS1_47radix_sort_onesweep_sort_config_static_selectorELNS0_4arch9wavefront6targetE1EEEvSG_
                                        ; -- End function
	.section	.AMDGPU.csdata,"",@progbits
; Kernel info:
; codeLenInByte = 0
; NumSgprs: 4
; NumVgprs: 0
; NumAgprs: 0
; TotalNumVgprs: 0
; ScratchSize: 0
; MemoryBound: 0
; FloatMode: 240
; IeeeMode: 1
; LDSByteSize: 0 bytes/workgroup (compile time only)
; SGPRBlocks: 0
; VGPRBlocks: 0
; NumSGPRsForWavesPerEU: 4
; NumVGPRsForWavesPerEU: 1
; AccumOffset: 4
; Occupancy: 8
; WaveLimiterHint : 0
; COMPUTE_PGM_RSRC2:SCRATCH_EN: 0
; COMPUTE_PGM_RSRC2:USER_SGPR: 6
; COMPUTE_PGM_RSRC2:TRAP_HANDLER: 0
; COMPUTE_PGM_RSRC2:TGID_X_EN: 1
; COMPUTE_PGM_RSRC2:TGID_Y_EN: 0
; COMPUTE_PGM_RSRC2:TGID_Z_EN: 0
; COMPUTE_PGM_RSRC2:TIDIG_COMP_CNT: 0
; COMPUTE_PGM_RSRC3_GFX90A:ACCUM_OFFSET: 0
; COMPUTE_PGM_RSRC3_GFX90A:TG_SPLIT: 0
	.section	.text._ZN7rocprim17ROCPRIM_400000_NS6detail17trampoline_kernelINS0_14default_configENS1_35radix_sort_onesweep_config_selectorIhlEEZZNS1_29radix_sort_onesweep_iterationIS3_Lb0EPhS7_N6thrust23THRUST_200600_302600_NS10device_ptrIlEESB_jNS0_19identity_decomposerENS1_16block_id_wrapperIjLb1EEEEE10hipError_tT1_PNSt15iterator_traitsISG_E10value_typeET2_T3_PNSH_ISM_E10value_typeET4_T5_PSR_SS_PNS1_23onesweep_lookback_stateEbbT6_jjT7_P12ihipStream_tbENKUlT_T0_SG_SL_E_clIS7_S7_PlSB_EEDaSZ_S10_SG_SL_EUlSZ_E_NS1_11comp_targetILNS1_3genE4ELNS1_11target_archE910ELNS1_3gpuE8ELNS1_3repE0EEENS1_47radix_sort_onesweep_sort_config_static_selectorELNS0_4arch9wavefront6targetE1EEEvSG_,"axG",@progbits,_ZN7rocprim17ROCPRIM_400000_NS6detail17trampoline_kernelINS0_14default_configENS1_35radix_sort_onesweep_config_selectorIhlEEZZNS1_29radix_sort_onesweep_iterationIS3_Lb0EPhS7_N6thrust23THRUST_200600_302600_NS10device_ptrIlEESB_jNS0_19identity_decomposerENS1_16block_id_wrapperIjLb1EEEEE10hipError_tT1_PNSt15iterator_traitsISG_E10value_typeET2_T3_PNSH_ISM_E10value_typeET4_T5_PSR_SS_PNS1_23onesweep_lookback_stateEbbT6_jjT7_P12ihipStream_tbENKUlT_T0_SG_SL_E_clIS7_S7_PlSB_EEDaSZ_S10_SG_SL_EUlSZ_E_NS1_11comp_targetILNS1_3genE4ELNS1_11target_archE910ELNS1_3gpuE8ELNS1_3repE0EEENS1_47radix_sort_onesweep_sort_config_static_selectorELNS0_4arch9wavefront6targetE1EEEvSG_,comdat
	.protected	_ZN7rocprim17ROCPRIM_400000_NS6detail17trampoline_kernelINS0_14default_configENS1_35radix_sort_onesweep_config_selectorIhlEEZZNS1_29radix_sort_onesweep_iterationIS3_Lb0EPhS7_N6thrust23THRUST_200600_302600_NS10device_ptrIlEESB_jNS0_19identity_decomposerENS1_16block_id_wrapperIjLb1EEEEE10hipError_tT1_PNSt15iterator_traitsISG_E10value_typeET2_T3_PNSH_ISM_E10value_typeET4_T5_PSR_SS_PNS1_23onesweep_lookback_stateEbbT6_jjT7_P12ihipStream_tbENKUlT_T0_SG_SL_E_clIS7_S7_PlSB_EEDaSZ_S10_SG_SL_EUlSZ_E_NS1_11comp_targetILNS1_3genE4ELNS1_11target_archE910ELNS1_3gpuE8ELNS1_3repE0EEENS1_47radix_sort_onesweep_sort_config_static_selectorELNS0_4arch9wavefront6targetE1EEEvSG_ ; -- Begin function _ZN7rocprim17ROCPRIM_400000_NS6detail17trampoline_kernelINS0_14default_configENS1_35radix_sort_onesweep_config_selectorIhlEEZZNS1_29radix_sort_onesweep_iterationIS3_Lb0EPhS7_N6thrust23THRUST_200600_302600_NS10device_ptrIlEESB_jNS0_19identity_decomposerENS1_16block_id_wrapperIjLb1EEEEE10hipError_tT1_PNSt15iterator_traitsISG_E10value_typeET2_T3_PNSH_ISM_E10value_typeET4_T5_PSR_SS_PNS1_23onesweep_lookback_stateEbbT6_jjT7_P12ihipStream_tbENKUlT_T0_SG_SL_E_clIS7_S7_PlSB_EEDaSZ_S10_SG_SL_EUlSZ_E_NS1_11comp_targetILNS1_3genE4ELNS1_11target_archE910ELNS1_3gpuE8ELNS1_3repE0EEENS1_47radix_sort_onesweep_sort_config_static_selectorELNS0_4arch9wavefront6targetE1EEEvSG_
	.globl	_ZN7rocprim17ROCPRIM_400000_NS6detail17trampoline_kernelINS0_14default_configENS1_35radix_sort_onesweep_config_selectorIhlEEZZNS1_29radix_sort_onesweep_iterationIS3_Lb0EPhS7_N6thrust23THRUST_200600_302600_NS10device_ptrIlEESB_jNS0_19identity_decomposerENS1_16block_id_wrapperIjLb1EEEEE10hipError_tT1_PNSt15iterator_traitsISG_E10value_typeET2_T3_PNSH_ISM_E10value_typeET4_T5_PSR_SS_PNS1_23onesweep_lookback_stateEbbT6_jjT7_P12ihipStream_tbENKUlT_T0_SG_SL_E_clIS7_S7_PlSB_EEDaSZ_S10_SG_SL_EUlSZ_E_NS1_11comp_targetILNS1_3genE4ELNS1_11target_archE910ELNS1_3gpuE8ELNS1_3repE0EEENS1_47radix_sort_onesweep_sort_config_static_selectorELNS0_4arch9wavefront6targetE1EEEvSG_
	.p2align	8
	.type	_ZN7rocprim17ROCPRIM_400000_NS6detail17trampoline_kernelINS0_14default_configENS1_35radix_sort_onesweep_config_selectorIhlEEZZNS1_29radix_sort_onesweep_iterationIS3_Lb0EPhS7_N6thrust23THRUST_200600_302600_NS10device_ptrIlEESB_jNS0_19identity_decomposerENS1_16block_id_wrapperIjLb1EEEEE10hipError_tT1_PNSt15iterator_traitsISG_E10value_typeET2_T3_PNSH_ISM_E10value_typeET4_T5_PSR_SS_PNS1_23onesweep_lookback_stateEbbT6_jjT7_P12ihipStream_tbENKUlT_T0_SG_SL_E_clIS7_S7_PlSB_EEDaSZ_S10_SG_SL_EUlSZ_E_NS1_11comp_targetILNS1_3genE4ELNS1_11target_archE910ELNS1_3gpuE8ELNS1_3repE0EEENS1_47radix_sort_onesweep_sort_config_static_selectorELNS0_4arch9wavefront6targetE1EEEvSG_,@function
_ZN7rocprim17ROCPRIM_400000_NS6detail17trampoline_kernelINS0_14default_configENS1_35radix_sort_onesweep_config_selectorIhlEEZZNS1_29radix_sort_onesweep_iterationIS3_Lb0EPhS7_N6thrust23THRUST_200600_302600_NS10device_ptrIlEESB_jNS0_19identity_decomposerENS1_16block_id_wrapperIjLb1EEEEE10hipError_tT1_PNSt15iterator_traitsISG_E10value_typeET2_T3_PNSH_ISM_E10value_typeET4_T5_PSR_SS_PNS1_23onesweep_lookback_stateEbbT6_jjT7_P12ihipStream_tbENKUlT_T0_SG_SL_E_clIS7_S7_PlSB_EEDaSZ_S10_SG_SL_EUlSZ_E_NS1_11comp_targetILNS1_3genE4ELNS1_11target_archE910ELNS1_3gpuE8ELNS1_3repE0EEENS1_47radix_sort_onesweep_sort_config_static_selectorELNS0_4arch9wavefront6targetE1EEEvSG_: ; @_ZN7rocprim17ROCPRIM_400000_NS6detail17trampoline_kernelINS0_14default_configENS1_35radix_sort_onesweep_config_selectorIhlEEZZNS1_29radix_sort_onesweep_iterationIS3_Lb0EPhS7_N6thrust23THRUST_200600_302600_NS10device_ptrIlEESB_jNS0_19identity_decomposerENS1_16block_id_wrapperIjLb1EEEEE10hipError_tT1_PNSt15iterator_traitsISG_E10value_typeET2_T3_PNSH_ISM_E10value_typeET4_T5_PSR_SS_PNS1_23onesweep_lookback_stateEbbT6_jjT7_P12ihipStream_tbENKUlT_T0_SG_SL_E_clIS7_S7_PlSB_EEDaSZ_S10_SG_SL_EUlSZ_E_NS1_11comp_targetILNS1_3genE4ELNS1_11target_archE910ELNS1_3gpuE8ELNS1_3repE0EEENS1_47radix_sort_onesweep_sort_config_static_selectorELNS0_4arch9wavefront6targetE1EEEvSG_
; %bb.0:
	s_load_dwordx4 s[44:47], s[4:5], 0x28
	s_load_dwordx2 s[30:31], s[4:5], 0x38
	s_load_dwordx4 s[48:51], s[4:5], 0x44
	v_and_b32_e32 v10, 0x3ff, v0
	v_cmp_eq_u32_e64 s[0:1], 0, v10
	s_and_saveexec_b64 s[2:3], s[0:1]
	s_cbranch_execz .LBB286_4
; %bb.1:
	s_mov_b64 s[10:11], exec
	v_mbcnt_lo_u32_b32 v1, s10, 0
	v_mbcnt_hi_u32_b32 v1, s11, v1
	v_cmp_eq_u32_e32 vcc, 0, v1
                                        ; implicit-def: $vgpr2
	s_and_saveexec_b64 s[8:9], vcc
	s_cbranch_execz .LBB286_3
; %bb.2:
	s_load_dwordx2 s[12:13], s[4:5], 0x50
	s_bcnt1_i32_b64 s7, s[10:11]
	v_mov_b32_e32 v2, 0
	v_mov_b32_e32 v3, s7
	s_waitcnt lgkmcnt(0)
	global_atomic_add v2, v2, v3, s[12:13] glc
.LBB286_3:
	s_or_b64 exec, exec, s[8:9]
	s_waitcnt vmcnt(0)
	v_readfirstlane_b32 s7, v2
	v_add_u32_e32 v1, s7, v1
	v_mov_b32_e32 v2, 0
	ds_write_b32 v2, v1 offset:20544
.LBB286_4:
	s_or_b64 exec, exec, s[2:3]
	v_mov_b32_e32 v1, 0
	s_load_dwordx8 s[36:43], s[4:5], 0x0
	s_load_dword s2, s[4:5], 0x20
	s_waitcnt lgkmcnt(0)
	s_barrier
	ds_read_b32 v1, v1 offset:20544
	v_mbcnt_lo_u32_b32 v30, -1, 0
	s_waitcnt lgkmcnt(0)
	s_barrier
	v_cmp_le_u32_e32 vcc, s50, v1
	v_readfirstlane_b32 s33, v1
	v_lshlrev_b32_e32 v1, 3, v10
	s_cbranch_vccz .LBB286_88
; %bb.5:
	s_lshl_b32 s3, s50, 13
	s_sub_i32 s7, s2, s3
	s_lshl_b32 s34, s33, 13
	s_add_u32 s2, s36, s34
	v_mbcnt_hi_u32_b32 v15, -1, v30
	s_addc_u32 s3, s37, 0
	v_and_b32_e32 v14, 63, v15
	v_mov_b32_e32 v2, s3
	v_add_co_u32_e32 v3, vcc, s2, v14
	v_and_b32_e32 v12, 0x1e00, v1
	v_addc_co_u32_e32 v4, vcc, 0, v2, vcc
	v_add_co_u32_e32 v2, vcc, v3, v12
	v_addc_co_u32_e32 v3, vcc, 0, v4, vcc
	v_or_b32_e32 v4, v14, v12
	s_mov_b32 s35, 0
	v_cmp_gt_u32_e32 vcc, s7, v4
	v_mov_b32_e32 v6, 0xff
	v_mov_b32_e32 v7, 0xff
	s_and_saveexec_b64 s[2:3], vcc
	s_cbranch_execz .LBB286_7
; %bb.6:
	global_load_ubyte v7, v[2:3], off
.LBB286_7:
	s_or_b64 exec, exec, s[2:3]
	v_or_b32_e32 v5, 64, v4
	v_cmp_gt_u32_e64 s[2:3], s7, v5
	s_and_saveexec_b64 s[8:9], s[2:3]
	s_cbranch_execz .LBB286_9
; %bb.8:
	global_load_ubyte v6, v[2:3], off offset:64
.LBB286_9:
	s_or_b64 exec, exec, s[8:9]
	v_or_b32_e32 v5, 0x80, v4
	v_cmp_gt_u32_e64 s[26:27], s7, v5
	v_mov_b32_e32 v8, 0xff
	v_mov_b32_e32 v9, 0xff
	s_and_saveexec_b64 s[8:9], s[26:27]
	s_cbranch_execz .LBB286_11
; %bb.10:
	global_load_ubyte v9, v[2:3], off offset:128
.LBB286_11:
	s_or_b64 exec, exec, s[8:9]
	v_or_b32_e32 v5, 0xc0, v4
	v_cmp_gt_u32_e64 s[8:9], s7, v5
	s_and_saveexec_b64 s[10:11], s[8:9]
	s_cbranch_execz .LBB286_13
; %bb.12:
	global_load_ubyte v8, v[2:3], off offset:192
.LBB286_13:
	s_or_b64 exec, exec, s[10:11]
	v_or_b32_e32 v5, 0x100, v4
	v_cmp_gt_u32_e64 s[10:11], s7, v5
	v_mov_b32_e32 v13, 0xff
	v_mov_b32_e32 v16, 0xff
	s_and_saveexec_b64 s[12:13], s[10:11]
	s_cbranch_execz .LBB286_15
; %bb.14:
	global_load_ubyte v16, v[2:3], off offset:256
.LBB286_15:
	;; [unrolled: 18-line block ×3, first 2 shown]
	s_or_b64 exec, exec, s[16:17]
	v_or_b32_e32 v4, 0x1c0, v4
	v_cmp_gt_u32_e64 s[16:17], s7, v4
	s_and_saveexec_b64 s[18:19], s[16:17]
	s_cbranch_execz .LBB286_21
; %bb.20:
	global_load_ubyte v17, v[2:3], off offset:448
.LBB286_21:
	s_or_b64 exec, exec, s[18:19]
	s_load_dword s18, s[4:5], 0x64
	s_load_dword s52, s[4:5], 0x58
	s_add_u32 s19, s4, 0x58
	s_addc_u32 s20, s5, 0
	v_mov_b32_e32 v2, 0
	s_waitcnt lgkmcnt(0)
	s_lshr_b32 s21, s18, 16
	s_cmp_lt_u32 s6, s52
	s_cselect_b32 s18, 12, 18
	s_add_u32 s18, s19, s18
	s_addc_u32 s19, s20, 0
	global_load_ushort v4, v2, s[18:19]
	s_lshl_b32 s18, -1, s49
	v_mul_u32_u24_e32 v11, 5, v10
	s_waitcnt vmcnt(1)
	v_lshrrev_b32_sdwa v20, s48, v7 dst_sel:DWORD dst_unused:UNUSED_PAD src0_sel:DWORD src1_sel:BYTE_0
	s_not_b32 s53, s18
	v_lshlrev_b32_e32 v19, 2, v11
	v_and_b32_e32 v11, s53, v20
	v_and_b32_e32 v21, 1, v11
	v_bfe_u32 v3, v0, 10, 10
	v_bfe_u32 v5, v0, 20, 10
	v_add_co_u32_e64 v22, s[18:19], -1, v21
	v_mad_u32_u24 v5, v5, s21, v3
	v_lshlrev_b32_e32 v3, 30, v11
	v_addc_co_u32_e64 v23, s[18:19], 0, -1, s[18:19]
	v_cmp_ne_u32_e64 s[18:19], 0, v21
	v_cmp_gt_i64_e64 s[20:21], 0, v[2:3]
	v_not_b32_e32 v21, v3
	v_lshlrev_b32_e32 v3, 29, v11
	v_xor_b32_e32 v23, s19, v23
	v_xor_b32_e32 v22, s18, v22
	v_ashrrev_i32_e32 v21, 31, v21
	v_cmp_gt_i64_e64 s[18:19], 0, v[2:3]
	v_not_b32_e32 v24, v3
	v_lshlrev_b32_e32 v3, 28, v11
	v_and_b32_e32 v23, exec_hi, v23
	v_and_b32_e32 v22, exec_lo, v22
	v_xor_b32_e32 v25, s21, v21
	v_xor_b32_e32 v21, s20, v21
	v_ashrrev_i32_e32 v24, 31, v24
	v_cmp_gt_i64_e64 s[20:21], 0, v[2:3]
	v_not_b32_e32 v26, v3
	v_lshlrev_b32_e32 v3, 27, v11
	v_and_b32_e32 v23, v23, v25
	v_and_b32_e32 v21, v22, v21
	v_xor_b32_e32 v22, s19, v24
	v_xor_b32_e32 v24, s18, v24
	v_ashrrev_i32_e32 v25, 31, v26
	v_cmp_gt_i64_e64 s[18:19], 0, v[2:3]
	v_not_b32_e32 v26, v3
	v_lshlrev_b32_e32 v3, 26, v11
	v_and_b32_e32 v22, v23, v22
	v_and_b32_e32 v21, v21, v24
	;; [unrolled: 8-line block ×3, first 2 shown]
	v_xor_b32_e32 v23, s19, v25
	v_xor_b32_e32 v24, s18, v25
	v_ashrrev_i32_e32 v25, 31, v26
	v_not_b32_e32 v26, v3
	v_mul_u32_u24_e32 v20, 17, v11
	v_cmp_gt_i64_e64 s[18:19], 0, v[2:3]
	v_lshlrev_b32_e32 v3, 24, v11
	v_and_b32_e32 v11, v22, v23
	v_and_b32_e32 v21, v21, v24
	v_xor_b32_e32 v22, s21, v25
	v_ashrrev_i32_e32 v24, 31, v26
	v_and_b32_e32 v11, v11, v22
	v_xor_b32_e32 v22, s19, v24
	v_xor_b32_e32 v23, s20, v25
	v_cmp_gt_i64_e64 s[20:21], 0, v[2:3]
	v_not_b32_e32 v3, v3
	v_and_b32_e32 v11, v11, v22
	v_and_b32_e32 v21, v21, v23
	v_xor_b32_e32 v23, s18, v24
	v_ashrrev_i32_e32 v3, 31, v3
	v_and_b32_e32 v22, v21, v23
	ds_write2_b32 v19, v2, v2 offset0:16 offset1:17
	ds_write2_b32 v19, v2, v2 offset0:18 offset1:19
	ds_write_b32 v19, v2 offset:80
	s_waitcnt lgkmcnt(0)
	s_barrier
	s_waitcnt lgkmcnt(0)
	; wave barrier
	s_waitcnt vmcnt(0)
	v_mad_u64_u32 v[4:5], s[18:19], v5, v4, v[10:11]
	v_lshrrev_b32_e32 v24, 6, v4
	v_xor_b32_e32 v4, s21, v3
	v_xor_b32_e32 v3, s20, v3
	v_and_b32_e32 v5, v11, v4
	v_and_b32_e32 v4, v22, v3
	v_mbcnt_lo_u32_b32 v3, v4, 0
	v_add_lshl_u32 v21, v24, v20, 2
	v_mbcnt_hi_u32_b32 v20, v5, v3
	v_cmp_eq_u32_e64 s[18:19], 0, v20
	v_cmp_ne_u64_e64 s[20:21], 0, v[4:5]
	s_and_b64 s[20:21], s[20:21], s[18:19]
	s_and_saveexec_b64 s[18:19], s[20:21]
	s_cbranch_execz .LBB286_23
; %bb.22:
	v_bcnt_u32_b32 v3, v4, 0
	v_bcnt_u32_b32 v3, v5, v3
	ds_write_b32 v21, v3 offset:64
.LBB286_23:
	s_or_b64 exec, exec, s[18:19]
	v_lshrrev_b32_sdwa v3, s48, v6 dst_sel:DWORD dst_unused:UNUSED_PAD src0_sel:DWORD src1_sel:BYTE_0
	v_and_b32_e32 v4, s53, v3
	v_mul_u32_u24_e32 v3, 17, v4
	v_add_lshl_u32 v22, v24, v3, 2
	v_and_b32_e32 v3, 1, v4
	v_add_co_u32_e64 v5, s[18:19], -1, v3
	v_addc_co_u32_e64 v23, s[18:19], 0, -1, s[18:19]
	v_cmp_ne_u32_e64 s[18:19], 0, v3
	v_xor_b32_e32 v3, s19, v23
	v_and_b32_e32 v23, exec_hi, v3
	v_lshlrev_b32_e32 v3, 30, v4
	v_xor_b32_e32 v5, s18, v5
	v_cmp_gt_i64_e64 s[18:19], 0, v[2:3]
	v_not_b32_e32 v3, v3
	v_ashrrev_i32_e32 v3, 31, v3
	v_and_b32_e32 v5, exec_lo, v5
	v_xor_b32_e32 v25, s19, v3
	v_xor_b32_e32 v3, s18, v3
	v_and_b32_e32 v5, v5, v3
	v_lshlrev_b32_e32 v3, 29, v4
	v_cmp_gt_i64_e64 s[18:19], 0, v[2:3]
	v_not_b32_e32 v3, v3
	v_ashrrev_i32_e32 v3, 31, v3
	v_and_b32_e32 v23, v23, v25
	v_xor_b32_e32 v25, s19, v3
	v_xor_b32_e32 v3, s18, v3
	v_and_b32_e32 v5, v5, v3
	v_lshlrev_b32_e32 v3, 28, v4
	v_cmp_gt_i64_e64 s[18:19], 0, v[2:3]
	v_not_b32_e32 v3, v3
	v_ashrrev_i32_e32 v3, 31, v3
	v_and_b32_e32 v23, v23, v25
	;; [unrolled: 8-line block ×5, first 2 shown]
	v_xor_b32_e32 v25, s19, v3
	v_xor_b32_e32 v3, s18, v3
	v_and_b32_e32 v5, v5, v3
	v_lshlrev_b32_e32 v3, 24, v4
	v_cmp_gt_i64_e64 s[18:19], 0, v[2:3]
	v_not_b32_e32 v2, v3
	v_ashrrev_i32_e32 v2, 31, v2
	v_xor_b32_e32 v3, s19, v2
	v_xor_b32_e32 v2, s18, v2
	; wave barrier
	ds_read_b32 v11, v22 offset:64
	v_and_b32_e32 v23, v23, v25
	v_and_b32_e32 v2, v5, v2
	;; [unrolled: 1-line block ×3, first 2 shown]
	v_mbcnt_lo_u32_b32 v4, v2, 0
	v_mbcnt_hi_u32_b32 v31, v3, v4
	v_cmp_eq_u32_e64 s[18:19], 0, v31
	v_cmp_ne_u64_e64 s[20:21], 0, v[2:3]
	s_and_b64 s[20:21], s[20:21], s[18:19]
	; wave barrier
	s_and_saveexec_b64 s[18:19], s[20:21]
	s_cbranch_execz .LBB286_25
; %bb.24:
	v_bcnt_u32_b32 v2, v2, 0
	v_bcnt_u32_b32 v2, v3, v2
	s_waitcnt lgkmcnt(0)
	v_add_u32_e32 v2, v11, v2
	ds_write_b32 v22, v2 offset:64
.LBB286_25:
	s_or_b64 exec, exec, s[18:19]
	v_lshrrev_b32_sdwa v2, s48, v9 dst_sel:DWORD dst_unused:UNUSED_PAD src0_sel:DWORD src1_sel:BYTE_0
	v_and_b32_e32 v4, s53, v2
	v_and_b32_e32 v3, 1, v4
	v_add_co_u32_e64 v5, s[18:19], -1, v3
	v_addc_co_u32_e64 v25, s[18:19], 0, -1, s[18:19]
	v_cmp_ne_u32_e64 s[18:19], 0, v3
	v_mul_u32_u24_e32 v2, 17, v4
	v_xor_b32_e32 v3, s19, v25
	v_add_lshl_u32 v23, v24, v2, 2
	v_mov_b32_e32 v2, 0
	v_and_b32_e32 v25, exec_hi, v3
	v_lshlrev_b32_e32 v3, 30, v4
	v_xor_b32_e32 v5, s18, v5
	v_cmp_gt_i64_e64 s[18:19], 0, v[2:3]
	v_not_b32_e32 v3, v3
	v_ashrrev_i32_e32 v3, 31, v3
	v_and_b32_e32 v5, exec_lo, v5
	v_xor_b32_e32 v26, s19, v3
	v_xor_b32_e32 v3, s18, v3
	v_and_b32_e32 v5, v5, v3
	v_lshlrev_b32_e32 v3, 29, v4
	v_cmp_gt_i64_e64 s[18:19], 0, v[2:3]
	v_not_b32_e32 v3, v3
	v_ashrrev_i32_e32 v3, 31, v3
	v_and_b32_e32 v25, v25, v26
	v_xor_b32_e32 v26, s19, v3
	v_xor_b32_e32 v3, s18, v3
	v_and_b32_e32 v5, v5, v3
	v_lshlrev_b32_e32 v3, 28, v4
	v_cmp_gt_i64_e64 s[18:19], 0, v[2:3]
	v_not_b32_e32 v3, v3
	v_ashrrev_i32_e32 v3, 31, v3
	v_and_b32_e32 v25, v25, v26
	;; [unrolled: 8-line block ×5, first 2 shown]
	v_xor_b32_e32 v26, s19, v3
	v_xor_b32_e32 v3, s18, v3
	v_and_b32_e32 v25, v25, v26
	v_and_b32_e32 v26, v5, v3
	v_lshlrev_b32_e32 v3, 24, v4
	v_cmp_gt_i64_e64 s[18:19], 0, v[2:3]
	v_not_b32_e32 v3, v3
	v_ashrrev_i32_e32 v3, 31, v3
	v_xor_b32_e32 v4, s19, v3
	v_xor_b32_e32 v3, s18, v3
	; wave barrier
	ds_read_b32 v32, v23 offset:64
	v_and_b32_e32 v5, v25, v4
	v_and_b32_e32 v4, v26, v3
	v_mbcnt_lo_u32_b32 v3, v4, 0
	v_mbcnt_hi_u32_b32 v33, v5, v3
	v_cmp_eq_u32_e64 s[18:19], 0, v33
	v_cmp_ne_u64_e64 s[20:21], 0, v[4:5]
	s_and_b64 s[20:21], s[20:21], s[18:19]
	; wave barrier
	s_and_saveexec_b64 s[18:19], s[20:21]
	s_cbranch_execz .LBB286_27
; %bb.26:
	v_bcnt_u32_b32 v3, v4, 0
	v_bcnt_u32_b32 v3, v5, v3
	s_waitcnt lgkmcnt(0)
	v_add_u32_e32 v3, v32, v3
	ds_write_b32 v23, v3 offset:64
.LBB286_27:
	s_or_b64 exec, exec, s[18:19]
	v_lshrrev_b32_sdwa v3, s48, v8 dst_sel:DWORD dst_unused:UNUSED_PAD src0_sel:DWORD src1_sel:BYTE_0
	v_and_b32_e32 v4, s53, v3
	v_mul_u32_u24_e32 v3, 17, v4
	v_add_lshl_u32 v25, v24, v3, 2
	v_and_b32_e32 v3, 1, v4
	v_add_co_u32_e64 v5, s[18:19], -1, v3
	v_addc_co_u32_e64 v26, s[18:19], 0, -1, s[18:19]
	v_cmp_ne_u32_e64 s[18:19], 0, v3
	v_xor_b32_e32 v3, s19, v26
	v_and_b32_e32 v26, exec_hi, v3
	v_lshlrev_b32_e32 v3, 30, v4
	v_xor_b32_e32 v5, s18, v5
	v_cmp_gt_i64_e64 s[18:19], 0, v[2:3]
	v_not_b32_e32 v3, v3
	v_ashrrev_i32_e32 v3, 31, v3
	v_and_b32_e32 v5, exec_lo, v5
	v_xor_b32_e32 v27, s19, v3
	v_xor_b32_e32 v3, s18, v3
	v_and_b32_e32 v5, v5, v3
	v_lshlrev_b32_e32 v3, 29, v4
	v_cmp_gt_i64_e64 s[18:19], 0, v[2:3]
	v_not_b32_e32 v3, v3
	v_ashrrev_i32_e32 v3, 31, v3
	v_and_b32_e32 v26, v26, v27
	v_xor_b32_e32 v27, s19, v3
	v_xor_b32_e32 v3, s18, v3
	v_and_b32_e32 v5, v5, v3
	v_lshlrev_b32_e32 v3, 28, v4
	v_cmp_gt_i64_e64 s[18:19], 0, v[2:3]
	v_not_b32_e32 v3, v3
	v_ashrrev_i32_e32 v3, 31, v3
	v_and_b32_e32 v26, v26, v27
	;; [unrolled: 8-line block ×5, first 2 shown]
	v_xor_b32_e32 v27, s19, v3
	v_xor_b32_e32 v3, s18, v3
	v_and_b32_e32 v5, v5, v3
	v_lshlrev_b32_e32 v3, 24, v4
	v_cmp_gt_i64_e64 s[18:19], 0, v[2:3]
	v_not_b32_e32 v2, v3
	v_ashrrev_i32_e32 v2, 31, v2
	v_xor_b32_e32 v3, s19, v2
	v_xor_b32_e32 v2, s18, v2
	; wave barrier
	ds_read_b32 v34, v25 offset:64
	v_and_b32_e32 v26, v26, v27
	v_and_b32_e32 v2, v5, v2
	;; [unrolled: 1-line block ×3, first 2 shown]
	v_mbcnt_lo_u32_b32 v4, v2, 0
	v_mbcnt_hi_u32_b32 v35, v3, v4
	v_cmp_eq_u32_e64 s[18:19], 0, v35
	v_cmp_ne_u64_e64 s[20:21], 0, v[2:3]
	s_and_b64 s[20:21], s[20:21], s[18:19]
	; wave barrier
	s_and_saveexec_b64 s[18:19], s[20:21]
	s_cbranch_execz .LBB286_29
; %bb.28:
	v_bcnt_u32_b32 v2, v2, 0
	v_bcnt_u32_b32 v2, v3, v2
	s_waitcnt lgkmcnt(0)
	v_add_u32_e32 v2, v34, v2
	ds_write_b32 v25, v2 offset:64
.LBB286_29:
	s_or_b64 exec, exec, s[18:19]
	v_lshrrev_b32_sdwa v2, s48, v16 dst_sel:DWORD dst_unused:UNUSED_PAD src0_sel:DWORD src1_sel:BYTE_0
	v_and_b32_e32 v4, s53, v2
	v_and_b32_e32 v3, 1, v4
	v_add_co_u32_e64 v5, s[18:19], -1, v3
	v_addc_co_u32_e64 v27, s[18:19], 0, -1, s[18:19]
	v_cmp_ne_u32_e64 s[18:19], 0, v3
	v_mul_u32_u24_e32 v2, 17, v4
	v_xor_b32_e32 v3, s19, v27
	v_add_lshl_u32 v26, v24, v2, 2
	v_mov_b32_e32 v2, 0
	v_and_b32_e32 v27, exec_hi, v3
	v_lshlrev_b32_e32 v3, 30, v4
	v_xor_b32_e32 v5, s18, v5
	v_cmp_gt_i64_e64 s[18:19], 0, v[2:3]
	v_not_b32_e32 v3, v3
	v_ashrrev_i32_e32 v3, 31, v3
	v_and_b32_e32 v5, exec_lo, v5
	v_xor_b32_e32 v28, s19, v3
	v_xor_b32_e32 v3, s18, v3
	v_and_b32_e32 v5, v5, v3
	v_lshlrev_b32_e32 v3, 29, v4
	v_cmp_gt_i64_e64 s[18:19], 0, v[2:3]
	v_not_b32_e32 v3, v3
	v_ashrrev_i32_e32 v3, 31, v3
	v_and_b32_e32 v27, v27, v28
	v_xor_b32_e32 v28, s19, v3
	v_xor_b32_e32 v3, s18, v3
	v_and_b32_e32 v5, v5, v3
	v_lshlrev_b32_e32 v3, 28, v4
	v_cmp_gt_i64_e64 s[18:19], 0, v[2:3]
	v_not_b32_e32 v3, v3
	v_ashrrev_i32_e32 v3, 31, v3
	v_and_b32_e32 v27, v27, v28
	;; [unrolled: 8-line block ×5, first 2 shown]
	v_xor_b32_e32 v28, s19, v3
	v_xor_b32_e32 v3, s18, v3
	v_and_b32_e32 v27, v27, v28
	v_and_b32_e32 v28, v5, v3
	v_lshlrev_b32_e32 v3, 24, v4
	v_cmp_gt_i64_e64 s[18:19], 0, v[2:3]
	v_not_b32_e32 v3, v3
	v_ashrrev_i32_e32 v3, 31, v3
	v_xor_b32_e32 v4, s19, v3
	v_xor_b32_e32 v3, s18, v3
	; wave barrier
	ds_read_b32 v36, v26 offset:64
	v_and_b32_e32 v5, v27, v4
	v_and_b32_e32 v4, v28, v3
	v_mbcnt_lo_u32_b32 v3, v4, 0
	v_mbcnt_hi_u32_b32 v37, v5, v3
	v_cmp_eq_u32_e64 s[18:19], 0, v37
	v_cmp_ne_u64_e64 s[20:21], 0, v[4:5]
	s_and_b64 s[20:21], s[20:21], s[18:19]
	; wave barrier
	s_and_saveexec_b64 s[18:19], s[20:21]
	s_cbranch_execz .LBB286_31
; %bb.30:
	v_bcnt_u32_b32 v3, v4, 0
	v_bcnt_u32_b32 v3, v5, v3
	s_waitcnt lgkmcnt(0)
	v_add_u32_e32 v3, v36, v3
	ds_write_b32 v26, v3 offset:64
.LBB286_31:
	s_or_b64 exec, exec, s[18:19]
	v_lshrrev_b32_sdwa v3, s48, v13 dst_sel:DWORD dst_unused:UNUSED_PAD src0_sel:DWORD src1_sel:BYTE_0
	v_and_b32_e32 v4, s53, v3
	v_mul_u32_u24_e32 v3, 17, v4
	v_add_lshl_u32 v27, v24, v3, 2
	v_and_b32_e32 v3, 1, v4
	v_add_co_u32_e64 v5, s[18:19], -1, v3
	v_addc_co_u32_e64 v28, s[18:19], 0, -1, s[18:19]
	v_cmp_ne_u32_e64 s[18:19], 0, v3
	v_xor_b32_e32 v3, s19, v28
	v_and_b32_e32 v28, exec_hi, v3
	v_lshlrev_b32_e32 v3, 30, v4
	v_xor_b32_e32 v5, s18, v5
	v_cmp_gt_i64_e64 s[18:19], 0, v[2:3]
	v_not_b32_e32 v3, v3
	v_ashrrev_i32_e32 v3, 31, v3
	v_and_b32_e32 v5, exec_lo, v5
	v_xor_b32_e32 v29, s19, v3
	v_xor_b32_e32 v3, s18, v3
	v_and_b32_e32 v5, v5, v3
	v_lshlrev_b32_e32 v3, 29, v4
	v_cmp_gt_i64_e64 s[18:19], 0, v[2:3]
	v_not_b32_e32 v3, v3
	v_ashrrev_i32_e32 v3, 31, v3
	v_and_b32_e32 v28, v28, v29
	v_xor_b32_e32 v29, s19, v3
	v_xor_b32_e32 v3, s18, v3
	v_and_b32_e32 v5, v5, v3
	v_lshlrev_b32_e32 v3, 28, v4
	v_cmp_gt_i64_e64 s[18:19], 0, v[2:3]
	v_not_b32_e32 v3, v3
	v_ashrrev_i32_e32 v3, 31, v3
	v_and_b32_e32 v28, v28, v29
	;; [unrolled: 8-line block ×5, first 2 shown]
	v_xor_b32_e32 v29, s19, v3
	v_xor_b32_e32 v3, s18, v3
	v_and_b32_e32 v5, v5, v3
	v_lshlrev_b32_e32 v3, 24, v4
	v_cmp_gt_i64_e64 s[18:19], 0, v[2:3]
	v_not_b32_e32 v2, v3
	v_ashrrev_i32_e32 v2, 31, v2
	v_xor_b32_e32 v3, s19, v2
	v_xor_b32_e32 v2, s18, v2
	; wave barrier
	ds_read_b32 v38, v27 offset:64
	v_and_b32_e32 v28, v28, v29
	v_and_b32_e32 v2, v5, v2
	v_and_b32_e32 v3, v28, v3
	v_mbcnt_lo_u32_b32 v4, v2, 0
	v_mbcnt_hi_u32_b32 v39, v3, v4
	v_cmp_eq_u32_e64 s[18:19], 0, v39
	v_cmp_ne_u64_e64 s[20:21], 0, v[2:3]
	s_and_b64 s[20:21], s[20:21], s[18:19]
	; wave barrier
	s_and_saveexec_b64 s[18:19], s[20:21]
	s_cbranch_execz .LBB286_33
; %bb.32:
	v_bcnt_u32_b32 v2, v2, 0
	v_bcnt_u32_b32 v2, v3, v2
	s_waitcnt lgkmcnt(0)
	v_add_u32_e32 v2, v38, v2
	ds_write_b32 v27, v2 offset:64
.LBB286_33:
	s_or_b64 exec, exec, s[18:19]
	v_lshrrev_b32_sdwa v2, s48, v18 dst_sel:DWORD dst_unused:UNUSED_PAD src0_sel:DWORD src1_sel:BYTE_0
	v_and_b32_e32 v4, s53, v2
	v_and_b32_e32 v3, 1, v4
	v_add_co_u32_e64 v5, s[18:19], -1, v3
	v_addc_co_u32_e64 v29, s[18:19], 0, -1, s[18:19]
	v_cmp_ne_u32_e64 s[18:19], 0, v3
	v_mul_u32_u24_e32 v2, 17, v4
	v_xor_b32_e32 v3, s19, v29
	v_add_lshl_u32 v28, v24, v2, 2
	v_mov_b32_e32 v2, 0
	v_and_b32_e32 v29, exec_hi, v3
	v_lshlrev_b32_e32 v3, 30, v4
	v_xor_b32_e32 v5, s18, v5
	v_cmp_gt_i64_e64 s[18:19], 0, v[2:3]
	v_not_b32_e32 v3, v3
	v_ashrrev_i32_e32 v3, 31, v3
	v_and_b32_e32 v5, exec_lo, v5
	v_xor_b32_e32 v41, s19, v3
	v_xor_b32_e32 v3, s18, v3
	v_and_b32_e32 v5, v5, v3
	v_lshlrev_b32_e32 v3, 29, v4
	v_cmp_gt_i64_e64 s[18:19], 0, v[2:3]
	v_not_b32_e32 v3, v3
	v_ashrrev_i32_e32 v3, 31, v3
	v_and_b32_e32 v29, v29, v41
	v_xor_b32_e32 v41, s19, v3
	v_xor_b32_e32 v3, s18, v3
	v_and_b32_e32 v5, v5, v3
	v_lshlrev_b32_e32 v3, 28, v4
	v_cmp_gt_i64_e64 s[18:19], 0, v[2:3]
	v_not_b32_e32 v3, v3
	v_ashrrev_i32_e32 v3, 31, v3
	v_and_b32_e32 v29, v29, v41
	;; [unrolled: 8-line block ×5, first 2 shown]
	v_xor_b32_e32 v41, s19, v3
	v_xor_b32_e32 v3, s18, v3
	v_and_b32_e32 v29, v29, v41
	v_and_b32_e32 v41, v5, v3
	v_lshlrev_b32_e32 v3, 24, v4
	v_cmp_gt_i64_e64 s[18:19], 0, v[2:3]
	v_not_b32_e32 v3, v3
	v_ashrrev_i32_e32 v3, 31, v3
	v_xor_b32_e32 v4, s19, v3
	v_xor_b32_e32 v3, s18, v3
	; wave barrier
	ds_read_b32 v40, v28 offset:64
	v_and_b32_e32 v5, v29, v4
	v_and_b32_e32 v4, v41, v3
	v_mbcnt_lo_u32_b32 v3, v4, 0
	v_mbcnt_hi_u32_b32 v41, v5, v3
	v_cmp_eq_u32_e64 s[18:19], 0, v41
	v_cmp_ne_u64_e64 s[20:21], 0, v[4:5]
	s_and_b64 s[20:21], s[20:21], s[18:19]
	; wave barrier
	s_and_saveexec_b64 s[18:19], s[20:21]
	s_cbranch_execz .LBB286_35
; %bb.34:
	v_bcnt_u32_b32 v3, v4, 0
	v_bcnt_u32_b32 v3, v5, v3
	s_waitcnt lgkmcnt(0)
	v_add_u32_e32 v3, v40, v3
	ds_write_b32 v28, v3 offset:64
.LBB286_35:
	s_or_b64 exec, exec, s[18:19]
	v_lshrrev_b32_sdwa v3, s48, v17 dst_sel:DWORD dst_unused:UNUSED_PAD src0_sel:DWORD src1_sel:BYTE_0
	v_and_b32_e32 v4, s53, v3
	v_mul_u32_u24_e32 v3, 17, v4
	v_add_lshl_u32 v24, v24, v3, 2
	v_and_b32_e32 v3, 1, v4
	v_add_co_u32_e64 v5, s[18:19], -1, v3
	v_addc_co_u32_e64 v43, s[18:19], 0, -1, s[18:19]
	v_cmp_ne_u32_e64 s[18:19], 0, v3
	v_xor_b32_e32 v3, s19, v43
	v_and_b32_e32 v43, exec_hi, v3
	v_lshlrev_b32_e32 v3, 30, v4
	v_xor_b32_e32 v5, s18, v5
	v_cmp_gt_i64_e64 s[18:19], 0, v[2:3]
	v_not_b32_e32 v3, v3
	v_ashrrev_i32_e32 v3, 31, v3
	v_and_b32_e32 v5, exec_lo, v5
	v_xor_b32_e32 v44, s19, v3
	v_xor_b32_e32 v3, s18, v3
	v_and_b32_e32 v5, v5, v3
	v_lshlrev_b32_e32 v3, 29, v4
	v_cmp_gt_i64_e64 s[18:19], 0, v[2:3]
	v_not_b32_e32 v3, v3
	v_ashrrev_i32_e32 v3, 31, v3
	v_and_b32_e32 v43, v43, v44
	v_xor_b32_e32 v44, s19, v3
	v_xor_b32_e32 v3, s18, v3
	v_and_b32_e32 v5, v5, v3
	v_lshlrev_b32_e32 v3, 28, v4
	v_cmp_gt_i64_e64 s[18:19], 0, v[2:3]
	v_not_b32_e32 v3, v3
	v_ashrrev_i32_e32 v3, 31, v3
	v_and_b32_e32 v43, v43, v44
	;; [unrolled: 8-line block ×5, first 2 shown]
	v_xor_b32_e32 v44, s19, v3
	v_xor_b32_e32 v3, s18, v3
	v_and_b32_e32 v5, v5, v3
	v_lshlrev_b32_e32 v3, 24, v4
	v_cmp_gt_i64_e64 s[18:19], 0, v[2:3]
	v_not_b32_e32 v2, v3
	v_ashrrev_i32_e32 v2, 31, v2
	v_xor_b32_e32 v3, s19, v2
	v_xor_b32_e32 v2, s18, v2
	; wave barrier
	ds_read_b32 v42, v24 offset:64
	v_and_b32_e32 v43, v43, v44
	v_and_b32_e32 v2, v5, v2
	;; [unrolled: 1-line block ×3, first 2 shown]
	v_mbcnt_lo_u32_b32 v4, v2, 0
	v_mbcnt_hi_u32_b32 v45, v3, v4
	v_cmp_eq_u32_e64 s[18:19], 0, v45
	v_cmp_ne_u64_e64 s[20:21], 0, v[2:3]
	v_add_u32_e32 v29, 64, v19
	s_and_b64 s[20:21], s[20:21], s[18:19]
	; wave barrier
	s_and_saveexec_b64 s[18:19], s[20:21]
	s_cbranch_execz .LBB286_37
; %bb.36:
	v_bcnt_u32_b32 v2, v2, 0
	v_bcnt_u32_b32 v2, v3, v2
	s_waitcnt lgkmcnt(0)
	v_add_u32_e32 v2, v42, v2
	ds_write_b32 v24, v2 offset:64
.LBB286_37:
	s_or_b64 exec, exec, s[18:19]
	; wave barrier
	s_waitcnt lgkmcnt(0)
	s_barrier
	ds_read2_b32 v[4:5], v19 offset0:16 offset1:17
	ds_read2_b32 v[2:3], v29 offset0:2 offset1:3
	ds_read_b32 v43, v29 offset:16
	v_cmp_lt_u32_e64 s[28:29], 31, v15
	s_waitcnt lgkmcnt(1)
	v_add3_u32 v44, v5, v4, v2
	s_waitcnt lgkmcnt(0)
	v_add3_u32 v43, v44, v3, v43
	v_and_b32_e32 v44, 15, v15
	v_cmp_eq_u32_e64 s[18:19], 0, v44
	v_mov_b32_dpp v46, v43 row_shr:1 row_mask:0xf bank_mask:0xf
	v_cndmask_b32_e64 v46, v46, 0, s[18:19]
	v_add_u32_e32 v43, v46, v43
	v_cmp_lt_u32_e64 s[20:21], 1, v44
	v_cmp_lt_u32_e64 s[22:23], 3, v44
	v_mov_b32_dpp v46, v43 row_shr:2 row_mask:0xf bank_mask:0xf
	v_cndmask_b32_e64 v46, 0, v46, s[20:21]
	v_add_u32_e32 v43, v43, v46
	v_cmp_lt_u32_e64 s[24:25], 7, v44
	s_nop 0
	v_mov_b32_dpp v46, v43 row_shr:4 row_mask:0xf bank_mask:0xf
	v_cndmask_b32_e64 v46, 0, v46, s[22:23]
	v_add_u32_e32 v43, v43, v46
	s_nop 1
	v_mov_b32_dpp v46, v43 row_shr:8 row_mask:0xf bank_mask:0xf
	v_cndmask_b32_e64 v44, 0, v46, s[24:25]
	v_add_u32_e32 v43, v43, v44
	v_bfe_i32 v46, v15, 4, 1
	s_nop 0
	v_mov_b32_dpp v44, v43 row_bcast:15 row_mask:0xf bank_mask:0xf
	v_and_b32_e32 v44, v46, v44
	v_add_u32_e32 v43, v43, v44
	v_and_b32_e32 v46, 63, v10
	s_nop 0
	v_mov_b32_dpp v44, v43 row_bcast:31 row_mask:0xf bank_mask:0xf
	v_cndmask_b32_e64 v44, 0, v44, s[28:29]
	v_add_u32_e32 v43, v43, v44
	v_lshrrev_b32_e32 v44, 6, v10
	v_cmp_eq_u32_e64 s[28:29], 63, v46
	s_and_saveexec_b64 s[50:51], s[28:29]
	s_cbranch_execz .LBB286_39
; %bb.38:
	v_lshlrev_b32_e32 v46, 2, v44
	ds_write_b32 v46, v43
.LBB286_39:
	s_or_b64 exec, exec, s[50:51]
	v_cmp_gt_u32_e64 s[28:29], 16, v10
	s_waitcnt lgkmcnt(0)
	s_barrier
	s_and_saveexec_b64 s[50:51], s[28:29]
	s_cbranch_execz .LBB286_41
; %bb.40:
	v_lshlrev_b32_e32 v46, 2, v10
	ds_read_b32 v47, v46
	s_waitcnt lgkmcnt(0)
	s_nop 0
	v_mov_b32_dpp v48, v47 row_shr:1 row_mask:0xf bank_mask:0xf
	v_cndmask_b32_e64 v48, v48, 0, s[18:19]
	v_add_u32_e32 v47, v48, v47
	s_nop 1
	v_mov_b32_dpp v48, v47 row_shr:2 row_mask:0xf bank_mask:0xf
	v_cndmask_b32_e64 v48, 0, v48, s[20:21]
	v_add_u32_e32 v47, v47, v48
	;; [unrolled: 4-line block ×4, first 2 shown]
	ds_write_b32 v46, v47
.LBB286_41:
	s_or_b64 exec, exec, s[50:51]
	v_cmp_lt_u32_e64 s[18:19], 63, v10
	v_mov_b32_e32 v46, 0
	s_waitcnt lgkmcnt(0)
	s_barrier
	s_and_saveexec_b64 s[20:21], s[18:19]
	s_cbranch_execz .LBB286_43
; %bb.42:
	v_lshl_add_u32 v44, v44, 2, -4
	ds_read_b32 v46, v44
.LBB286_43:
	s_or_b64 exec, exec, s[20:21]
	v_add_u32_e32 v44, -1, v15
	v_and_b32_e32 v47, 64, v15
	v_cmp_lt_i32_e64 s[18:19], v44, v47
	v_cndmask_b32_e64 v44, v44, v15, s[18:19]
	s_waitcnt lgkmcnt(0)
	v_add_u32_e32 v43, v46, v43
	v_lshlrev_b32_e32 v44, 2, v44
	ds_bpermute_b32 v43, v44, v43
	v_cmp_eq_u32_e64 s[18:19], 0, v15
                                        ; implicit-def: $vgpr44
	s_waitcnt lgkmcnt(0)
	v_cndmask_b32_e64 v15, v43, v46, s[18:19]
	v_cndmask_b32_e64 v15, v15, 0, s[0:1]
	v_add_u32_e32 v4, v15, v4
	v_add_u32_e32 v5, v4, v5
	;; [unrolled: 1-line block ×4, first 2 shown]
	ds_write2_b32 v19, v15, v4 offset0:16 offset1:17
	ds_write2_b32 v29, v5, v2 offset0:2 offset1:3
	ds_write_b32 v29, v3 offset:16
	s_waitcnt lgkmcnt(0)
	s_barrier
	ds_read_b32 v2, v21 offset:64
	ds_read_b32 v47, v22 offset:64
	;; [unrolled: 1-line block ×8, first 2 shown]
	s_movk_i32 s18, 0x100
	v_cmp_gt_u32_e64 s[18:19], s18, v10
                                        ; implicit-def: $vgpr43
	s_and_saveexec_b64 s[22:23], s[18:19]
	s_cbranch_execz .LBB286_47
; %bb.44:
	v_mul_u32_u24_e32 v3, 17, v10
	v_lshlrev_b32_e32 v4, 2, v3
	ds_read_b32 v43, v4 offset:64
	s_movk_i32 s20, 0xff
	v_cmp_ne_u32_e64 s[20:21], s20, v10
	v_mov_b32_e32 v3, 0x2000
	s_and_saveexec_b64 s[24:25], s[20:21]
	s_cbranch_execz .LBB286_46
; %bb.45:
	ds_read_b32 v3, v4 offset:132
.LBB286_46:
	s_or_b64 exec, exec, s[24:25]
	s_waitcnt lgkmcnt(0)
	v_sub_u32_e32 v44, v3, v43
.LBB286_47:
	s_or_b64 exec, exec, s[22:23]
	s_waitcnt lgkmcnt(7)
	v_add_u32_e32 v46, v2, v20
	s_waitcnt lgkmcnt(6)
	v_add3_u32 v2, v31, v11, v47
	s_waitcnt lgkmcnt(5)
	v_add3_u32 v3, v33, v32, v48
	;; [unrolled: 2-line block ×7, first 2 shown]
	s_barrier
	ds_write_b8 v46, v7 offset:1024
	ds_write_b8 v2, v6 offset:1024
	;; [unrolled: 1-line block ×8, first 2 shown]
	s_and_saveexec_b64 s[22:23], s[18:19]
	s_cbranch_execz .LBB286_57
; %bb.48:
	v_lshl_or_b32 v2, s33, 8, v10
	v_mov_b32_e32 v3, 0
	v_lshlrev_b64 v[4:5], 2, v[2:3]
	v_mov_b32_e32 v8, s31
	v_add_co_u32_e64 v4, s[20:21], s30, v4
	v_addc_co_u32_e64 v5, s[20:21], v8, v5, s[20:21]
	v_or_b32_e32 v2, 2.0, v44
	s_mov_b64 s[24:25], 0
	s_brev_b32 s54, 1
	s_mov_b32 s55, s33
	v_mov_b32_e32 v9, 0
	global_store_dword v[4:5], v2, off
                                        ; implicit-def: $sgpr20_sgpr21
	s_branch .LBB286_50
.LBB286_49:                             ;   in Loop: Header=BB286_50 Depth=1
	s_or_b64 exec, exec, s[28:29]
	v_and_b32_e32 v6, 0x3fffffff, v13
	v_add_u32_e32 v9, v6, v9
	v_cmp_eq_u32_e64 s[20:21], s54, v2
	s_and_b64 s[28:29], exec, s[20:21]
	s_or_b64 s[24:25], s[28:29], s[24:25]
	s_andn2_b64 exec, exec, s[24:25]
	s_cbranch_execz .LBB286_56
.LBB286_50:                             ; =>This Loop Header: Depth=1
                                        ;     Child Loop BB286_53 Depth 2
	s_or_b64 s[20:21], s[20:21], exec
	s_cmp_eq_u32 s55, 0
	s_cbranch_scc1 .LBB286_55
; %bb.51:                               ;   in Loop: Header=BB286_50 Depth=1
	s_add_i32 s55, s55, -1
	v_lshl_or_b32 v2, s55, 8, v10
	v_lshlrev_b64 v[6:7], 2, v[2:3]
	v_add_co_u32_e64 v6, s[20:21], s30, v6
	v_addc_co_u32_e64 v7, s[20:21], v8, v7, s[20:21]
	global_load_dword v13, v[6:7], off glc
	s_waitcnt vmcnt(0)
	v_and_b32_e32 v2, -2.0, v13
	v_cmp_eq_u32_e64 s[20:21], 0, v2
	s_and_saveexec_b64 s[28:29], s[20:21]
	s_cbranch_execz .LBB286_49
; %bb.52:                               ;   in Loop: Header=BB286_50 Depth=1
	s_mov_b64 s[50:51], 0
.LBB286_53:                             ;   Parent Loop BB286_50 Depth=1
                                        ; =>  This Inner Loop Header: Depth=2
	global_load_dword v13, v[6:7], off glc
	s_waitcnt vmcnt(0)
	v_and_b32_e32 v2, -2.0, v13
	v_cmp_ne_u32_e64 s[20:21], 0, v2
	s_or_b64 s[50:51], s[20:21], s[50:51]
	s_andn2_b64 exec, exec, s[50:51]
	s_cbranch_execnz .LBB286_53
; %bb.54:                               ;   in Loop: Header=BB286_50 Depth=1
	s_or_b64 exec, exec, s[50:51]
	s_branch .LBB286_49
.LBB286_55:                             ;   in Loop: Header=BB286_50 Depth=1
                                        ; implicit-def: $sgpr55
	s_and_b64 s[28:29], exec, s[20:21]
	s_or_b64 s[24:25], s[28:29], s[24:25]
	s_andn2_b64 exec, exec, s[24:25]
	s_cbranch_execnz .LBB286_50
.LBB286_56:
	s_or_b64 exec, exec, s[24:25]
	v_add_u32_e32 v2, v9, v44
	v_or_b32_e32 v2, 0x80000000, v2
	global_store_dword v[4:5], v2, off
	v_lshlrev_b32_e32 v2, 2, v10
	global_load_dword v3, v2, s[44:45]
	v_sub_u32_e32 v4, v9, v43
	s_waitcnt vmcnt(0)
	v_add_u32_e32 v3, v4, v3
	ds_write_b32 v2, v3
.LBB286_57:
	s_or_b64 exec, exec, s[22:23]
	v_cmp_gt_u32_e64 s[20:21], s7, v10
	s_waitcnt lgkmcnt(0)
	s_barrier
	s_waitcnt lgkmcnt(0)
                                        ; implicit-def: $vgpr2_vgpr3_vgpr4_vgpr5_vgpr6_vgpr7_vgpr8_vgpr9
	s_and_saveexec_b64 s[22:23], s[20:21]
	s_cbranch_execz .LBB286_59
; %bb.58:
	ds_read_u8 v3, v10 offset:1024
	s_waitcnt lgkmcnt(0)
	v_lshrrev_b32_sdwa v2, s48, v3 dst_sel:DWORD dst_unused:UNUSED_PAD src0_sel:DWORD src1_sel:BYTE_0
	v_and_b32_e32 v2, s53, v2
	v_lshlrev_b32_e32 v4, 2, v2
	ds_read_b32 v4, v4
	s_waitcnt lgkmcnt(0)
	v_add_u32_e32 v4, v4, v10
	global_store_byte v4, v3, s[38:39]
.LBB286_59:
	s_or_b64 exec, exec, s[22:23]
	v_or_b32_e32 v13, 0x400, v10
	v_cmp_gt_u32_e64 s[20:21], s7, v13
	s_and_saveexec_b64 s[22:23], s[20:21]
	s_cbranch_execz .LBB286_61
; %bb.60:
	ds_read_u8 v15, v10 offset:2048
	s_waitcnt lgkmcnt(0)
	v_lshrrev_b32_sdwa v3, s48, v15 dst_sel:DWORD dst_unused:UNUSED_PAD src0_sel:DWORD src1_sel:BYTE_0
	v_and_b32_e32 v3, s53, v3
	v_lshlrev_b32_e32 v16, 2, v3
	ds_read_b32 v16, v16
	s_waitcnt lgkmcnt(0)
	v_add_u32_e32 v13, v16, v13
	global_store_byte v13, v15, s[38:39]
.LBB286_61:
	s_or_b64 exec, exec, s[22:23]
	v_or_b32_e32 v13, 0x800, v10
	v_cmp_gt_u32_e64 s[20:21], s7, v13
	;; [unrolled: 16-line block ×7, first 2 shown]
	s_and_saveexec_b64 s[22:23], s[20:21]
	s_cbranch_execz .LBB286_73
; %bb.72:
	ds_read_u8 v15, v10 offset:8192
	s_waitcnt lgkmcnt(0)
	v_lshrrev_b32_sdwa v9, s48, v15 dst_sel:DWORD dst_unused:UNUSED_PAD src0_sel:DWORD src1_sel:BYTE_0
	v_and_b32_e32 v9, s53, v9
	v_lshlrev_b32_e32 v16, 2, v9
	ds_read_b32 v16, v16
	s_waitcnt lgkmcnt(0)
	v_add_u32_e32 v13, v16, v13
	global_store_byte v13, v15, s[38:39]
.LBB286_73:
	s_or_b64 exec, exec, s[22:23]
	s_lshl_b64 s[20:21], s[34:35], 3
	s_add_u32 s20, s40, s20
	s_addc_u32 s21, s41, s21
	v_lshlrev_b32_e32 v13, 3, v14
	v_mov_b32_e32 v14, s21
	v_add_co_u32_e64 v13, s[20:21], s20, v13
	v_addc_co_u32_e64 v14, s[20:21], 0, v14, s[20:21]
	v_lshlrev_b32_e32 v12, 3, v12
	v_add_co_u32_e64 v28, s[20:21], v13, v12
	v_addc_co_u32_e64 v29, s[20:21], 0, v14, s[20:21]
                                        ; implicit-def: $vgpr12_vgpr13
	s_and_saveexec_b64 s[20:21], vcc
	s_xor_b64 s[20:21], exec, s[20:21]
	s_cbranch_execnz .LBB286_138
; %bb.74:
	s_or_b64 exec, exec, s[20:21]
                                        ; implicit-def: $vgpr14_vgpr15
	s_and_saveexec_b64 s[20:21], s[2:3]
	s_cbranch_execnz .LBB286_139
.LBB286_75:
	s_or_b64 exec, exec, s[20:21]
                                        ; implicit-def: $vgpr16_vgpr17
	s_and_saveexec_b64 s[2:3], s[26:27]
	s_cbranch_execnz .LBB286_140
.LBB286_76:
	s_or_b64 exec, exec, s[2:3]
                                        ; implicit-def: $vgpr18_vgpr19
	s_and_saveexec_b64 s[2:3], s[8:9]
	s_cbranch_execnz .LBB286_141
.LBB286_77:
	s_or_b64 exec, exec, s[2:3]
                                        ; implicit-def: $vgpr20_vgpr21
	s_and_saveexec_b64 s[2:3], s[10:11]
	s_cbranch_execnz .LBB286_142
.LBB286_78:
	s_or_b64 exec, exec, s[2:3]
                                        ; implicit-def: $vgpr22_vgpr23
	s_and_saveexec_b64 s[2:3], s[12:13]
	s_cbranch_execnz .LBB286_143
.LBB286_79:
	s_or_b64 exec, exec, s[2:3]
                                        ; implicit-def: $vgpr24_vgpr25
	s_and_saveexec_b64 s[2:3], s[14:15]
	s_cbranch_execnz .LBB286_144
.LBB286_80:
	s_or_b64 exec, exec, s[2:3]
                                        ; implicit-def: $vgpr26_vgpr27
	s_and_saveexec_b64 s[2:3], s[16:17]
	s_cbranch_execz .LBB286_82
.LBB286_81:
	global_load_dwordx2 v[26:27], v[28:29], off offset:3584
.LBB286_82:
	s_or_b64 exec, exec, s[2:3]
	s_movk_i32 s8, 0x400
	v_add_u32_e32 v54, 0x400, v1
	v_add3_u32 v42, v45, v53, v42
	v_add3_u32 v40, v41, v52, v40
	;; [unrolled: 1-line block ×7, first 2 shown]
	s_mov_b32 s9, 0
	v_mov_b32_e32 v29, 0
	s_mov_b32 s10, 0
	v_mov_b32_e32 v31, v10
	s_barrier
	s_waitcnt vmcnt(0)
	s_branch .LBB286_84
.LBB286_83:                             ;   in Loop: Header=BB286_84 Depth=1
	s_or_b64 exec, exec, s[2:3]
	s_addk_i32 s10, 0xf800
	s_add_i32 s9, s9, 2
	s_cmpk_eq_i32 s10, 0xe000
	v_add_u32_e32 v31, 0x800, v31
	s_barrier
	s_cbranch_scc1 .LBB286_89
.LBB286_84:                             ; =>This Inner Loop Header: Depth=1
	v_add_u32_e32 v28, s10, v46
	v_min_u32_e32 v28, 0x800, v28
	v_lshlrev_b32_e32 v28, 3, v28
	ds_write_b64 v28, v[12:13] offset:1024
	v_add_u32_e32 v28, s10, v11
	v_min_u32_e32 v28, 0x800, v28
	v_lshlrev_b32_e32 v28, 3, v28
	ds_write_b64 v28, v[14:15] offset:1024
	;; [unrolled: 4-line block ×7, first 2 shown]
	v_add_u32_e32 v28, s10, v42
	v_min_u32_e32 v28, 0x800, v28
	v_lshlrev_b32_e32 v28, 3, v28
	v_cmp_gt_u32_e32 vcc, s7, v31
	ds_write_b64 v28, v[26:27] offset:1024
	s_waitcnt lgkmcnt(0)
	s_barrier
	s_and_saveexec_b64 s[2:3], vcc
	s_cbranch_execz .LBB286_86
; %bb.85:                               ;   in Loop: Header=BB286_84 Depth=1
	s_cmp_eq_u32 s9, 1
	s_cselect_b64 vcc, -1, 0
	s_cmp_eq_u32 s9, 2
	v_cndmask_b32_e32 v28, v2, v3, vcc
	s_cselect_b64 vcc, -1, 0
	s_cmp_eq_u32 s9, 3
	v_cndmask_b32_e32 v28, v28, v4, vcc
	s_cselect_b64 vcc, -1, 0
	s_cmp_eq_u32 s9, 4
	v_cndmask_b32_e32 v28, v28, v5, vcc
	s_cselect_b64 vcc, -1, 0
	s_cmp_eq_u32 s9, 5
	v_cndmask_b32_e32 v28, v28, v6, vcc
	s_cselect_b64 vcc, -1, 0
	s_cmp_eq_u32 s9, 6
	v_cndmask_b32_e32 v28, v28, v7, vcc
	s_cselect_b64 vcc, -1, 0
	s_cmp_eq_u32 s9, 7
	v_cndmask_b32_e32 v28, v28, v8, vcc
	s_cselect_b64 vcc, -1, 0
	v_cndmask_b32_e32 v28, v28, v9, vcc
	v_lshlrev_b32_e32 v28, 2, v28
	ds_read_b32 v28, v28
	ds_read_b64 v[48:49], v1 offset:1024
	s_waitcnt lgkmcnt(1)
	v_add_u32_e32 v28, v31, v28
	v_lshlrev_b64 v[50:51], 3, v[28:29]
	v_mov_b32_e32 v28, s43
	v_add_co_u32_e32 v50, vcc, s42, v50
	v_addc_co_u32_e32 v51, vcc, v28, v51, vcc
	s_waitcnt lgkmcnt(0)
	global_store_dwordx2 v[50:51], v[48:49], off
.LBB286_86:                             ;   in Loop: Header=BB286_84 Depth=1
	s_or_b64 exec, exec, s[2:3]
	v_add_u32_e32 v28, 0x400, v31
	v_cmp_gt_u32_e32 vcc, s7, v28
	s_and_saveexec_b64 s[2:3], vcc
	s_cbranch_execz .LBB286_83
; %bb.87:                               ;   in Loop: Header=BB286_84 Depth=1
	s_add_i32 s11, s9, 1
	s_cmp_eq_u32 s11, 1
	s_cselect_b64 vcc, -1, 0
	s_cmp_eq_u32 s11, 2
	v_cndmask_b32_e32 v28, v2, v3, vcc
	s_cselect_b64 vcc, -1, 0
	s_cmp_eq_u32 s11, 3
	v_cndmask_b32_e32 v28, v28, v4, vcc
	;; [unrolled: 3-line block ×6, first 2 shown]
	s_cselect_b64 vcc, -1, 0
	v_cndmask_b32_e32 v28, v28, v9, vcc
	v_lshlrev_b32_e32 v28, 2, v28
	ds_read_b32 v28, v28
	ds_read_b64 v[48:49], v54 offset:8192
	s_waitcnt lgkmcnt(1)
	v_add3_u32 v28, v31, v28, s8
	v_lshlrev_b64 v[50:51], 3, v[28:29]
	v_mov_b32_e32 v28, s43
	v_add_co_u32_e32 v50, vcc, s42, v50
	v_addc_co_u32_e32 v51, vcc, v28, v51, vcc
	s_waitcnt lgkmcnt(0)
	global_store_dwordx2 v[50:51], v[48:49], off
	s_branch .LBB286_83
.LBB286_88:
	s_mov_b64 s[10:11], 0
                                        ; implicit-def: $vgpr2
                                        ; implicit-def: $vgpr14_vgpr15
	s_cbranch_execnz .LBB286_92
	s_branch .LBB286_135
.LBB286_89:
	s_add_i32 s52, s52, -1
	s_cmp_eq_u32 s52, s33
	s_cselect_b64 s[2:3], -1, 0
	s_and_b64 s[8:9], s[18:19], s[2:3]
	s_mov_b64 s[2:3], 0
	s_mov_b64 s[10:11], 0
                                        ; implicit-def: $vgpr2
                                        ; implicit-def: $vgpr14_vgpr15
	s_and_saveexec_b64 s[12:13], s[8:9]
	s_xor_b64 s[8:9], exec, s[12:13]
; %bb.90:
	v_mov_b32_e32 v11, 0
	s_mov_b64 s[10:11], exec
	v_add_u32_e32 v2, v43, v44
	v_pk_mov_b32 v[14:15], v[10:11], v[10:11] op_sel:[0,1]
; %bb.91:
	s_or_b64 exec, exec, s[8:9]
	s_and_b64 vcc, exec, s[2:3]
	s_cbranch_vccz .LBB286_135
.LBB286_92:
	s_lshl_b32 s12, s33, 13
	s_add_u32 s2, s36, s12
	v_mbcnt_hi_u32_b32 v18, -1, v30
	s_addc_u32 s3, s37, 0
	v_and_b32_e32 v12, 63, v18
	v_and_b32_e32 v8, 0x1e00, v1
	v_mov_b32_e32 v1, s3
	v_add_co_u32_e32 v2, vcc, s2, v12
	v_addc_co_u32_e32 v1, vcc, 0, v1, vcc
	v_add_co_u32_e32 v22, vcc, v2, v8
	v_addc_co_u32_e32 v23, vcc, 0, v1, vcc
	global_load_ubyte v4, v[22:23], off
	s_load_dword s2, s[4:5], 0x64
	s_load_dword s16, s[4:5], 0x58
	s_add_u32 s3, s4, 0x58
	s_addc_u32 s4, s5, 0
	v_mov_b32_e32 v2, 0
	s_waitcnt lgkmcnt(0)
	s_lshr_b32 s5, s2, 16
	s_cmp_lt_u32 s6, s16
	s_cselect_b32 s2, 12, 18
	s_add_u32 s2, s3, s2
	s_addc_u32 s3, s4, 0
	global_load_ushort v1, v2, s[2:3]
	v_mul_u32_u24_e32 v5, 5, v10
	v_lshlrev_b32_e32 v20, 2, v5
	ds_write2_b32 v20, v2, v2 offset0:16 offset1:17
	ds_write2_b32 v20, v2, v2 offset0:18 offset1:19
	ds_write_b32 v20, v2 offset:80
	global_load_ubyte v5, v[22:23], off offset:64
	global_load_ubyte v6, v[22:23], off offset:128
	;; [unrolled: 1-line block ×7, first 2 shown]
	v_bfe_u32 v3, v0, 10, 10
	v_bfe_u32 v0, v0, 20, 10
	s_lshl_b32 s2, -1, s49
	v_mad_u32_u24 v0, v0, s5, v3
	s_not_b32 s17, s2
	s_mov_b32 s13, 0
	s_waitcnt lgkmcnt(0)
	s_barrier
	s_waitcnt lgkmcnt(0)
	; wave barrier
	s_waitcnt vmcnt(8)
	v_lshrrev_b32_sdwa v3, s48, v4 dst_sel:DWORD dst_unused:UNUSED_PAD src0_sel:DWORD src1_sel:BYTE_0
	v_and_b32_e32 v9, s17, v3
	v_and_b32_e32 v16, 1, v9
	v_add_co_u32_e32 v19, vcc, -1, v16
	v_lshlrev_b32_e32 v3, 30, v9
	v_addc_co_u32_e64 v21, s[2:3], 0, -1, vcc
	v_cmp_ne_u32_e32 vcc, 0, v16
	v_cmp_gt_i64_e64 s[2:3], 0, v[2:3]
	v_not_b32_e32 v16, v3
	v_lshlrev_b32_e32 v3, 29, v9
	s_waitcnt vmcnt(3)
	v_mad_u64_u32 v[0:1], s[4:5], v0, v1, v[10:11]
	v_xor_b32_e32 v1, vcc_hi, v21
	v_xor_b32_e32 v19, vcc_lo, v19
	v_ashrrev_i32_e32 v16, 31, v16
	v_cmp_gt_i64_e32 vcc, 0, v[2:3]
	v_not_b32_e32 v21, v3
	v_lshlrev_b32_e32 v3, 28, v9
	v_mul_u32_u24_e32 v13, 17, v9
	v_lshrrev_b32_e32 v30, 6, v0
	v_and_b32_e32 v0, exec_hi, v1
	v_and_b32_e32 v1, exec_lo, v19
	v_xor_b32_e32 v19, s3, v16
	v_xor_b32_e32 v16, s2, v16
	v_ashrrev_i32_e32 v21, 31, v21
	v_cmp_gt_i64_e64 s[2:3], 0, v[2:3]
	v_not_b32_e32 v23, v3
	v_lshlrev_b32_e32 v3, 27, v9
	v_add_lshl_u32 v22, v30, v13, 2
	v_and_b32_e32 v0, v0, v19
	v_and_b32_e32 v1, v1, v16
	v_xor_b32_e32 v13, vcc_hi, v21
	v_xor_b32_e32 v16, vcc_lo, v21
	v_ashrrev_i32_e32 v19, 31, v23
	v_cmp_gt_i64_e32 vcc, 0, v[2:3]
	v_not_b32_e32 v3, v3
	v_and_b32_e32 v0, v0, v13
	v_and_b32_e32 v1, v1, v16
	v_xor_b32_e32 v13, s3, v19
	v_xor_b32_e32 v16, s2, v19
	v_ashrrev_i32_e32 v3, 31, v3
	v_and_b32_e32 v0, v0, v13
	v_and_b32_e32 v1, v1, v16
	v_xor_b32_e32 v13, vcc_hi, v3
	v_xor_b32_e32 v3, vcc_lo, v3
	v_and_b32_e32 v1, v1, v3
	v_lshlrev_b32_e32 v3, 26, v9
	v_cmp_gt_i64_e32 vcc, 0, v[2:3]
	v_not_b32_e32 v3, v3
	v_ashrrev_i32_e32 v3, 31, v3
	v_and_b32_e32 v0, v0, v13
	v_xor_b32_e32 v13, vcc_hi, v3
	v_xor_b32_e32 v3, vcc_lo, v3
	v_and_b32_e32 v1, v1, v3
	v_lshlrev_b32_e32 v3, 25, v9
	v_cmp_gt_i64_e32 vcc, 0, v[2:3]
	v_not_b32_e32 v3, v3
	v_ashrrev_i32_e32 v3, 31, v3
	v_and_b32_e32 v0, v0, v13
	v_xor_b32_e32 v13, vcc_hi, v3
	v_xor_b32_e32 v3, vcc_lo, v3
	v_and_b32_e32 v0, v0, v13
	v_and_b32_e32 v13, v1, v3
	v_lshlrev_b32_e32 v3, 24, v9
	v_not_b32_e32 v1, v3
	v_cmp_gt_i64_e32 vcc, 0, v[2:3]
	v_ashrrev_i32_e32 v1, 31, v1
	v_xor_b32_e32 v3, vcc_hi, v1
	v_xor_b32_e32 v9, vcc_lo, v1
	v_and_b32_e32 v1, v0, v3
	v_and_b32_e32 v0, v13, v9
	v_mbcnt_lo_u32_b32 v3, v0, 0
	v_mbcnt_hi_u32_b32 v23, v1, v3
	v_cmp_eq_u32_e32 vcc, 0, v23
	v_cmp_ne_u64_e64 s[2:3], 0, v[0:1]
	s_and_b64 s[4:5], s[2:3], vcc
	s_and_saveexec_b64 s[2:3], s[4:5]
	s_cbranch_execz .LBB286_94
; %bb.93:
	v_bcnt_u32_b32 v0, v0, 0
	v_bcnt_u32_b32 v0, v1, v0
	ds_write_b32 v22, v0 offset:64
.LBB286_94:
	s_or_b64 exec, exec, s[2:3]
	v_lshrrev_b32_sdwa v0, s48, v5 dst_sel:DWORD dst_unused:UNUSED_PAD src0_sel:DWORD src1_sel:BYTE_0
	v_and_b32_e32 v0, s17, v0
	v_mul_u32_u24_e32 v1, 17, v0
	v_add_lshl_u32 v26, v30, v1, 2
	v_and_b32_e32 v1, 1, v0
	v_add_co_u32_e32 v3, vcc, -1, v1
	v_addc_co_u32_e64 v13, s[2:3], 0, -1, vcc
	v_cmp_ne_u32_e32 vcc, 0, v1
	v_xor_b32_e32 v3, vcc_lo, v3
	v_xor_b32_e32 v1, vcc_hi, v13
	v_and_b32_e32 v13, exec_lo, v3
	v_lshlrev_b32_e32 v3, 30, v0
	v_cmp_gt_i64_e32 vcc, 0, v[2:3]
	v_not_b32_e32 v3, v3
	v_ashrrev_i32_e32 v3, 31, v3
	v_xor_b32_e32 v16, vcc_hi, v3
	v_xor_b32_e32 v3, vcc_lo, v3
	v_and_b32_e32 v13, v13, v3
	v_lshlrev_b32_e32 v3, 29, v0
	v_cmp_gt_i64_e32 vcc, 0, v[2:3]
	v_not_b32_e32 v3, v3
	v_and_b32_e32 v1, exec_hi, v1
	v_ashrrev_i32_e32 v3, 31, v3
	v_and_b32_e32 v1, v1, v16
	v_xor_b32_e32 v16, vcc_hi, v3
	v_xor_b32_e32 v3, vcc_lo, v3
	v_and_b32_e32 v13, v13, v3
	v_lshlrev_b32_e32 v3, 28, v0
	v_cmp_gt_i64_e32 vcc, 0, v[2:3]
	v_not_b32_e32 v3, v3
	v_ashrrev_i32_e32 v3, 31, v3
	v_and_b32_e32 v1, v1, v16
	v_xor_b32_e32 v16, vcc_hi, v3
	v_xor_b32_e32 v3, vcc_lo, v3
	v_and_b32_e32 v13, v13, v3
	v_lshlrev_b32_e32 v3, 27, v0
	v_cmp_gt_i64_e32 vcc, 0, v[2:3]
	v_not_b32_e32 v3, v3
	;; [unrolled: 8-line block ×4, first 2 shown]
	v_ashrrev_i32_e32 v3, 31, v3
	v_and_b32_e32 v1, v1, v16
	v_xor_b32_e32 v16, vcc_hi, v3
	v_xor_b32_e32 v3, vcc_lo, v3
	v_and_b32_e32 v13, v13, v3
	v_lshlrev_b32_e32 v3, 24, v0
	v_not_b32_e32 v0, v3
	v_cmp_gt_i64_e32 vcc, 0, v[2:3]
	v_ashrrev_i32_e32 v0, 31, v0
	v_xor_b32_e32 v2, vcc_hi, v0
	v_xor_b32_e32 v0, vcc_lo, v0
	; wave barrier
	ds_read_b32 v9, v26 offset:64
	v_and_b32_e32 v1, v1, v16
	v_and_b32_e32 v0, v13, v0
	;; [unrolled: 1-line block ×3, first 2 shown]
	v_mbcnt_lo_u32_b32 v2, v0, 0
	v_mbcnt_hi_u32_b32 v13, v1, v2
	v_cmp_eq_u32_e32 vcc, 0, v13
	v_cmp_ne_u64_e64 s[2:3], 0, v[0:1]
	s_and_b64 s[4:5], s[2:3], vcc
	; wave barrier
	s_and_saveexec_b64 s[2:3], s[4:5]
	s_cbranch_execz .LBB286_96
; %bb.95:
	v_bcnt_u32_b32 v0, v0, 0
	v_bcnt_u32_b32 v0, v1, v0
	s_waitcnt lgkmcnt(0)
	v_add_u32_e32 v0, v9, v0
	ds_write_b32 v26, v0 offset:64
.LBB286_96:
	s_or_b64 exec, exec, s[2:3]
	v_lshrrev_b32_sdwa v0, s48, v6 dst_sel:DWORD dst_unused:UNUSED_PAD src0_sel:DWORD src1_sel:BYTE_0
	v_and_b32_e32 v2, s17, v0
	v_and_b32_e32 v1, 1, v2
	v_add_co_u32_e32 v3, vcc, -1, v1
	v_addc_co_u32_e64 v19, s[2:3], 0, -1, vcc
	v_cmp_ne_u32_e32 vcc, 0, v1
	v_mul_u32_u24_e32 v0, 17, v2
	v_xor_b32_e32 v1, vcc_hi, v19
	v_add_lshl_u32 v29, v30, v0, 2
	v_mov_b32_e32 v0, 0
	v_and_b32_e32 v19, exec_hi, v1
	v_lshlrev_b32_e32 v1, 30, v2
	v_xor_b32_e32 v3, vcc_lo, v3
	v_cmp_gt_i64_e32 vcc, 0, v[0:1]
	v_not_b32_e32 v1, v1
	v_ashrrev_i32_e32 v1, 31, v1
	v_and_b32_e32 v3, exec_lo, v3
	v_xor_b32_e32 v21, vcc_hi, v1
	v_xor_b32_e32 v1, vcc_lo, v1
	v_and_b32_e32 v3, v3, v1
	v_lshlrev_b32_e32 v1, 29, v2
	v_cmp_gt_i64_e32 vcc, 0, v[0:1]
	v_not_b32_e32 v1, v1
	v_ashrrev_i32_e32 v1, 31, v1
	v_and_b32_e32 v19, v19, v21
	v_xor_b32_e32 v21, vcc_hi, v1
	v_xor_b32_e32 v1, vcc_lo, v1
	v_and_b32_e32 v3, v3, v1
	v_lshlrev_b32_e32 v1, 28, v2
	v_cmp_gt_i64_e32 vcc, 0, v[0:1]
	v_not_b32_e32 v1, v1
	v_ashrrev_i32_e32 v1, 31, v1
	v_and_b32_e32 v19, v19, v21
	;; [unrolled: 8-line block ×5, first 2 shown]
	v_xor_b32_e32 v21, vcc_hi, v1
	v_xor_b32_e32 v1, vcc_lo, v1
	v_and_b32_e32 v19, v19, v21
	v_and_b32_e32 v21, v3, v1
	v_lshlrev_b32_e32 v1, 24, v2
	v_cmp_gt_i64_e32 vcc, 0, v[0:1]
	v_not_b32_e32 v1, v1
	v_ashrrev_i32_e32 v1, 31, v1
	v_xor_b32_e32 v2, vcc_hi, v1
	v_xor_b32_e32 v1, vcc_lo, v1
	; wave barrier
	ds_read_b32 v16, v29 offset:64
	v_and_b32_e32 v3, v19, v2
	v_and_b32_e32 v2, v21, v1
	v_mbcnt_lo_u32_b32 v1, v2, 0
	v_mbcnt_hi_u32_b32 v19, v3, v1
	v_cmp_eq_u32_e32 vcc, 0, v19
	v_cmp_ne_u64_e64 s[2:3], 0, v[2:3]
	s_and_b64 s[4:5], s[2:3], vcc
	; wave barrier
	s_and_saveexec_b64 s[2:3], s[4:5]
	s_cbranch_execz .LBB286_98
; %bb.97:
	v_bcnt_u32_b32 v1, v2, 0
	v_bcnt_u32_b32 v1, v3, v1
	s_waitcnt lgkmcnt(0)
	v_add_u32_e32 v1, v16, v1
	ds_write_b32 v29, v1 offset:64
.LBB286_98:
	s_or_b64 exec, exec, s[2:3]
	v_lshrrev_b32_sdwa v1, s48, v7 dst_sel:DWORD dst_unused:UNUSED_PAD src0_sel:DWORD src1_sel:BYTE_0
	v_and_b32_e32 v2, s17, v1
	v_mul_u32_u24_e32 v1, 17, v2
	v_add_lshl_u32 v33, v30, v1, 2
	v_and_b32_e32 v1, 1, v2
	v_add_co_u32_e32 v3, vcc, -1, v1
	v_addc_co_u32_e64 v24, s[2:3], 0, -1, vcc
	v_cmp_ne_u32_e32 vcc, 0, v1
	v_xor_b32_e32 v1, vcc_hi, v24
	v_and_b32_e32 v24, exec_hi, v1
	v_lshlrev_b32_e32 v1, 30, v2
	v_xor_b32_e32 v3, vcc_lo, v3
	v_cmp_gt_i64_e32 vcc, 0, v[0:1]
	v_not_b32_e32 v1, v1
	v_ashrrev_i32_e32 v1, 31, v1
	v_and_b32_e32 v3, exec_lo, v3
	v_xor_b32_e32 v25, vcc_hi, v1
	v_xor_b32_e32 v1, vcc_lo, v1
	v_and_b32_e32 v3, v3, v1
	v_lshlrev_b32_e32 v1, 29, v2
	v_cmp_gt_i64_e32 vcc, 0, v[0:1]
	v_not_b32_e32 v1, v1
	v_ashrrev_i32_e32 v1, 31, v1
	v_and_b32_e32 v24, v24, v25
	v_xor_b32_e32 v25, vcc_hi, v1
	v_xor_b32_e32 v1, vcc_lo, v1
	v_and_b32_e32 v3, v3, v1
	v_lshlrev_b32_e32 v1, 28, v2
	v_cmp_gt_i64_e32 vcc, 0, v[0:1]
	v_not_b32_e32 v1, v1
	v_ashrrev_i32_e32 v1, 31, v1
	v_and_b32_e32 v24, v24, v25
	v_xor_b32_e32 v25, vcc_hi, v1
	v_xor_b32_e32 v1, vcc_lo, v1
	v_and_b32_e32 v3, v3, v1
	v_lshlrev_b32_e32 v1, 27, v2
	v_cmp_gt_i64_e32 vcc, 0, v[0:1]
	v_not_b32_e32 v1, v1
	v_ashrrev_i32_e32 v1, 31, v1
	v_and_b32_e32 v24, v24, v25
	v_xor_b32_e32 v25, vcc_hi, v1
	v_xor_b32_e32 v1, vcc_lo, v1
	v_and_b32_e32 v3, v3, v1
	v_lshlrev_b32_e32 v1, 26, v2
	v_cmp_gt_i64_e32 vcc, 0, v[0:1]
	v_not_b32_e32 v1, v1
	v_ashrrev_i32_e32 v1, 31, v1
	v_and_b32_e32 v24, v24, v25
	v_xor_b32_e32 v25, vcc_hi, v1
	v_xor_b32_e32 v1, vcc_lo, v1
	v_and_b32_e32 v3, v3, v1
	v_lshlrev_b32_e32 v1, 25, v2
	v_cmp_gt_i64_e32 vcc, 0, v[0:1]
	v_not_b32_e32 v1, v1
	v_ashrrev_i32_e32 v1, 31, v1
	v_and_b32_e32 v24, v24, v25
	v_xor_b32_e32 v25, vcc_hi, v1
	v_xor_b32_e32 v1, vcc_lo, v1
	v_and_b32_e32 v3, v3, v1
	v_lshlrev_b32_e32 v1, 24, v2
	v_cmp_gt_i64_e32 vcc, 0, v[0:1]
	v_not_b32_e32 v0, v1
	v_ashrrev_i32_e32 v0, 31, v0
	v_xor_b32_e32 v1, vcc_hi, v0
	v_xor_b32_e32 v0, vcc_lo, v0
	; wave barrier
	ds_read_b32 v21, v33 offset:64
	v_and_b32_e32 v24, v24, v25
	v_and_b32_e32 v0, v3, v0
	;; [unrolled: 1-line block ×3, first 2 shown]
	v_mbcnt_lo_u32_b32 v2, v0, 0
	v_mbcnt_hi_u32_b32 v24, v1, v2
	v_cmp_eq_u32_e32 vcc, 0, v24
	v_cmp_ne_u64_e64 s[2:3], 0, v[0:1]
	s_and_b64 s[4:5], s[2:3], vcc
	; wave barrier
	s_and_saveexec_b64 s[2:3], s[4:5]
	s_cbranch_execz .LBB286_100
; %bb.99:
	v_bcnt_u32_b32 v0, v0, 0
	v_bcnt_u32_b32 v0, v1, v0
	s_waitcnt lgkmcnt(0)
	v_add_u32_e32 v0, v21, v0
	ds_write_b32 v33, v0 offset:64
.LBB286_100:
	s_or_b64 exec, exec, s[2:3]
	v_lshrrev_b32_sdwa v0, s48, v11 dst_sel:DWORD dst_unused:UNUSED_PAD src0_sel:DWORD src1_sel:BYTE_0
	v_and_b32_e32 v2, s17, v0
	v_and_b32_e32 v1, 1, v2
	v_add_co_u32_e32 v3, vcc, -1, v1
	v_addc_co_u32_e64 v27, s[2:3], 0, -1, vcc
	v_cmp_ne_u32_e32 vcc, 0, v1
	v_mul_u32_u24_e32 v0, 17, v2
	v_xor_b32_e32 v1, vcc_hi, v27
	v_add_lshl_u32 v35, v30, v0, 2
	v_mov_b32_e32 v0, 0
	v_and_b32_e32 v27, exec_hi, v1
	v_lshlrev_b32_e32 v1, 30, v2
	v_xor_b32_e32 v3, vcc_lo, v3
	v_cmp_gt_i64_e32 vcc, 0, v[0:1]
	v_not_b32_e32 v1, v1
	v_ashrrev_i32_e32 v1, 31, v1
	v_and_b32_e32 v3, exec_lo, v3
	v_xor_b32_e32 v28, vcc_hi, v1
	v_xor_b32_e32 v1, vcc_lo, v1
	v_and_b32_e32 v3, v3, v1
	v_lshlrev_b32_e32 v1, 29, v2
	v_cmp_gt_i64_e32 vcc, 0, v[0:1]
	v_not_b32_e32 v1, v1
	v_ashrrev_i32_e32 v1, 31, v1
	v_and_b32_e32 v27, v27, v28
	v_xor_b32_e32 v28, vcc_hi, v1
	v_xor_b32_e32 v1, vcc_lo, v1
	v_and_b32_e32 v3, v3, v1
	v_lshlrev_b32_e32 v1, 28, v2
	v_cmp_gt_i64_e32 vcc, 0, v[0:1]
	v_not_b32_e32 v1, v1
	v_ashrrev_i32_e32 v1, 31, v1
	v_and_b32_e32 v27, v27, v28
	;; [unrolled: 8-line block ×5, first 2 shown]
	v_xor_b32_e32 v28, vcc_hi, v1
	v_xor_b32_e32 v1, vcc_lo, v1
	v_and_b32_e32 v27, v27, v28
	v_and_b32_e32 v28, v3, v1
	v_lshlrev_b32_e32 v1, 24, v2
	v_cmp_gt_i64_e32 vcc, 0, v[0:1]
	v_not_b32_e32 v1, v1
	v_ashrrev_i32_e32 v1, 31, v1
	v_xor_b32_e32 v2, vcc_hi, v1
	v_xor_b32_e32 v1, vcc_lo, v1
	; wave barrier
	ds_read_b32 v25, v35 offset:64
	v_and_b32_e32 v3, v27, v2
	v_and_b32_e32 v2, v28, v1
	v_mbcnt_lo_u32_b32 v1, v2, 0
	v_mbcnt_hi_u32_b32 v27, v3, v1
	v_cmp_eq_u32_e32 vcc, 0, v27
	v_cmp_ne_u64_e64 s[2:3], 0, v[2:3]
	s_and_b64 s[4:5], s[2:3], vcc
	; wave barrier
	s_and_saveexec_b64 s[2:3], s[4:5]
	s_cbranch_execz .LBB286_102
; %bb.101:
	v_bcnt_u32_b32 v1, v2, 0
	v_bcnt_u32_b32 v1, v3, v1
	s_waitcnt lgkmcnt(0)
	v_add_u32_e32 v1, v25, v1
	ds_write_b32 v35, v1 offset:64
.LBB286_102:
	s_or_b64 exec, exec, s[2:3]
	s_waitcnt vmcnt(2)
	v_lshrrev_b32_sdwa v1, s48, v14 dst_sel:DWORD dst_unused:UNUSED_PAD src0_sel:DWORD src1_sel:BYTE_0
	v_and_b32_e32 v2, s17, v1
	v_mul_u32_u24_e32 v1, 17, v2
	v_add_lshl_u32 v37, v30, v1, 2
	v_and_b32_e32 v1, 1, v2
	v_add_co_u32_e32 v3, vcc, -1, v1
	v_addc_co_u32_e64 v31, s[2:3], 0, -1, vcc
	v_cmp_ne_u32_e32 vcc, 0, v1
	v_xor_b32_e32 v1, vcc_hi, v31
	v_and_b32_e32 v31, exec_hi, v1
	v_lshlrev_b32_e32 v1, 30, v2
	v_xor_b32_e32 v3, vcc_lo, v3
	v_cmp_gt_i64_e32 vcc, 0, v[0:1]
	v_not_b32_e32 v1, v1
	v_ashrrev_i32_e32 v1, 31, v1
	v_and_b32_e32 v3, exec_lo, v3
	v_xor_b32_e32 v32, vcc_hi, v1
	v_xor_b32_e32 v1, vcc_lo, v1
	v_and_b32_e32 v3, v3, v1
	v_lshlrev_b32_e32 v1, 29, v2
	v_cmp_gt_i64_e32 vcc, 0, v[0:1]
	v_not_b32_e32 v1, v1
	v_ashrrev_i32_e32 v1, 31, v1
	v_and_b32_e32 v31, v31, v32
	v_xor_b32_e32 v32, vcc_hi, v1
	v_xor_b32_e32 v1, vcc_lo, v1
	v_and_b32_e32 v3, v3, v1
	v_lshlrev_b32_e32 v1, 28, v2
	v_cmp_gt_i64_e32 vcc, 0, v[0:1]
	v_not_b32_e32 v1, v1
	v_ashrrev_i32_e32 v1, 31, v1
	v_and_b32_e32 v31, v31, v32
	;; [unrolled: 8-line block ×5, first 2 shown]
	v_xor_b32_e32 v32, vcc_hi, v1
	v_xor_b32_e32 v1, vcc_lo, v1
	v_and_b32_e32 v3, v3, v1
	v_lshlrev_b32_e32 v1, 24, v2
	v_cmp_gt_i64_e32 vcc, 0, v[0:1]
	v_not_b32_e32 v0, v1
	v_ashrrev_i32_e32 v0, 31, v0
	v_xor_b32_e32 v1, vcc_hi, v0
	v_xor_b32_e32 v0, vcc_lo, v0
	; wave barrier
	ds_read_b32 v28, v37 offset:64
	v_and_b32_e32 v31, v31, v32
	v_and_b32_e32 v0, v3, v0
	;; [unrolled: 1-line block ×3, first 2 shown]
	v_mbcnt_lo_u32_b32 v2, v0, 0
	v_mbcnt_hi_u32_b32 v31, v1, v2
	v_cmp_eq_u32_e32 vcc, 0, v31
	v_cmp_ne_u64_e64 s[2:3], 0, v[0:1]
	s_and_b64 s[4:5], s[2:3], vcc
	; wave barrier
	s_and_saveexec_b64 s[2:3], s[4:5]
	s_cbranch_execz .LBB286_104
; %bb.103:
	v_bcnt_u32_b32 v0, v0, 0
	v_bcnt_u32_b32 v0, v1, v0
	s_waitcnt lgkmcnt(0)
	v_add_u32_e32 v0, v28, v0
	ds_write_b32 v37, v0 offset:64
.LBB286_104:
	s_or_b64 exec, exec, s[2:3]
	s_waitcnt vmcnt(1)
	v_lshrrev_b32_sdwa v0, s48, v15 dst_sel:DWORD dst_unused:UNUSED_PAD src0_sel:DWORD src1_sel:BYTE_0
	v_and_b32_e32 v2, s17, v0
	v_and_b32_e32 v1, 1, v2
	v_add_co_u32_e32 v3, vcc, -1, v1
	v_addc_co_u32_e64 v34, s[2:3], 0, -1, vcc
	v_cmp_ne_u32_e32 vcc, 0, v1
	v_mul_u32_u24_e32 v0, 17, v2
	v_xor_b32_e32 v1, vcc_hi, v34
	v_add_lshl_u32 v38, v30, v0, 2
	v_mov_b32_e32 v0, 0
	v_and_b32_e32 v34, exec_hi, v1
	v_lshlrev_b32_e32 v1, 30, v2
	v_xor_b32_e32 v3, vcc_lo, v3
	v_cmp_gt_i64_e32 vcc, 0, v[0:1]
	v_not_b32_e32 v1, v1
	v_ashrrev_i32_e32 v1, 31, v1
	v_and_b32_e32 v3, exec_lo, v3
	v_xor_b32_e32 v36, vcc_hi, v1
	v_xor_b32_e32 v1, vcc_lo, v1
	v_and_b32_e32 v3, v3, v1
	v_lshlrev_b32_e32 v1, 29, v2
	v_cmp_gt_i64_e32 vcc, 0, v[0:1]
	v_not_b32_e32 v1, v1
	v_ashrrev_i32_e32 v1, 31, v1
	v_and_b32_e32 v34, v34, v36
	v_xor_b32_e32 v36, vcc_hi, v1
	v_xor_b32_e32 v1, vcc_lo, v1
	v_and_b32_e32 v3, v3, v1
	v_lshlrev_b32_e32 v1, 28, v2
	v_cmp_gt_i64_e32 vcc, 0, v[0:1]
	v_not_b32_e32 v1, v1
	v_ashrrev_i32_e32 v1, 31, v1
	v_and_b32_e32 v34, v34, v36
	;; [unrolled: 8-line block ×5, first 2 shown]
	v_xor_b32_e32 v36, vcc_hi, v1
	v_xor_b32_e32 v1, vcc_lo, v1
	v_and_b32_e32 v34, v34, v36
	v_and_b32_e32 v36, v3, v1
	v_lshlrev_b32_e32 v1, 24, v2
	v_cmp_gt_i64_e32 vcc, 0, v[0:1]
	v_not_b32_e32 v1, v1
	v_ashrrev_i32_e32 v1, 31, v1
	v_xor_b32_e32 v2, vcc_hi, v1
	v_xor_b32_e32 v1, vcc_lo, v1
	; wave barrier
	ds_read_b32 v32, v38 offset:64
	v_and_b32_e32 v3, v34, v2
	v_and_b32_e32 v2, v36, v1
	v_mbcnt_lo_u32_b32 v1, v2, 0
	v_mbcnt_hi_u32_b32 v34, v3, v1
	v_cmp_eq_u32_e32 vcc, 0, v34
	v_cmp_ne_u64_e64 s[2:3], 0, v[2:3]
	s_and_b64 s[4:5], s[2:3], vcc
	; wave barrier
	s_and_saveexec_b64 s[2:3], s[4:5]
	s_cbranch_execz .LBB286_106
; %bb.105:
	v_bcnt_u32_b32 v1, v2, 0
	v_bcnt_u32_b32 v1, v3, v1
	s_waitcnt lgkmcnt(0)
	v_add_u32_e32 v1, v32, v1
	ds_write_b32 v38, v1 offset:64
.LBB286_106:
	s_or_b64 exec, exec, s[2:3]
	s_waitcnt vmcnt(0)
	v_lshrrev_b32_sdwa v1, s48, v17 dst_sel:DWORD dst_unused:UNUSED_PAD src0_sel:DWORD src1_sel:BYTE_0
	v_and_b32_e32 v2, s17, v1
	v_mul_u32_u24_e32 v1, 17, v2
	v_add_lshl_u32 v39, v30, v1, 2
	v_and_b32_e32 v1, 1, v2
	v_add_co_u32_e32 v3, vcc, -1, v1
	v_addc_co_u32_e64 v36, s[2:3], 0, -1, vcc
	v_cmp_ne_u32_e32 vcc, 0, v1
	v_xor_b32_e32 v1, vcc_hi, v36
	v_and_b32_e32 v36, exec_hi, v1
	v_lshlrev_b32_e32 v1, 30, v2
	v_xor_b32_e32 v3, vcc_lo, v3
	v_cmp_gt_i64_e32 vcc, 0, v[0:1]
	v_not_b32_e32 v1, v1
	v_ashrrev_i32_e32 v1, 31, v1
	v_and_b32_e32 v3, exec_lo, v3
	v_xor_b32_e32 v40, vcc_hi, v1
	v_xor_b32_e32 v1, vcc_lo, v1
	v_and_b32_e32 v3, v3, v1
	v_lshlrev_b32_e32 v1, 29, v2
	v_cmp_gt_i64_e32 vcc, 0, v[0:1]
	v_not_b32_e32 v1, v1
	v_ashrrev_i32_e32 v1, 31, v1
	v_and_b32_e32 v36, v36, v40
	v_xor_b32_e32 v40, vcc_hi, v1
	v_xor_b32_e32 v1, vcc_lo, v1
	v_and_b32_e32 v3, v3, v1
	v_lshlrev_b32_e32 v1, 28, v2
	v_cmp_gt_i64_e32 vcc, 0, v[0:1]
	v_not_b32_e32 v1, v1
	v_ashrrev_i32_e32 v1, 31, v1
	v_and_b32_e32 v36, v36, v40
	v_xor_b32_e32 v40, vcc_hi, v1
	v_xor_b32_e32 v1, vcc_lo, v1
	v_and_b32_e32 v3, v3, v1
	v_lshlrev_b32_e32 v1, 27, v2
	v_cmp_gt_i64_e32 vcc, 0, v[0:1]
	v_not_b32_e32 v1, v1
	v_ashrrev_i32_e32 v1, 31, v1
	v_and_b32_e32 v36, v36, v40
	v_xor_b32_e32 v40, vcc_hi, v1
	v_xor_b32_e32 v1, vcc_lo, v1
	v_and_b32_e32 v3, v3, v1
	v_lshlrev_b32_e32 v1, 26, v2
	v_cmp_gt_i64_e32 vcc, 0, v[0:1]
	v_not_b32_e32 v1, v1
	v_ashrrev_i32_e32 v1, 31, v1
	v_and_b32_e32 v36, v36, v40
	v_xor_b32_e32 v40, vcc_hi, v1
	v_xor_b32_e32 v1, vcc_lo, v1
	v_and_b32_e32 v3, v3, v1
	v_lshlrev_b32_e32 v1, 25, v2
	v_cmp_gt_i64_e32 vcc, 0, v[0:1]
	v_not_b32_e32 v1, v1
	v_ashrrev_i32_e32 v1, 31, v1
	v_and_b32_e32 v36, v36, v40
	v_xor_b32_e32 v40, vcc_hi, v1
	v_xor_b32_e32 v1, vcc_lo, v1
	v_and_b32_e32 v3, v3, v1
	v_lshlrev_b32_e32 v1, 24, v2
	v_cmp_gt_i64_e32 vcc, 0, v[0:1]
	v_not_b32_e32 v0, v1
	v_ashrrev_i32_e32 v0, 31, v0
	v_xor_b32_e32 v1, vcc_hi, v0
	v_xor_b32_e32 v0, vcc_lo, v0
	; wave barrier
	ds_read_b32 v30, v39 offset:64
	v_and_b32_e32 v36, v36, v40
	v_and_b32_e32 v0, v3, v0
	;; [unrolled: 1-line block ×3, first 2 shown]
	v_mbcnt_lo_u32_b32 v2, v0, 0
	v_mbcnt_hi_u32_b32 v36, v1, v2
	v_cmp_eq_u32_e32 vcc, 0, v36
	v_cmp_ne_u64_e64 s[2:3], 0, v[0:1]
	v_add_u32_e32 v41, 64, v20
	s_and_b64 s[4:5], s[2:3], vcc
	; wave barrier
	s_and_saveexec_b64 s[2:3], s[4:5]
	s_cbranch_execz .LBB286_108
; %bb.107:
	v_bcnt_u32_b32 v0, v0, 0
	v_bcnt_u32_b32 v0, v1, v0
	s_waitcnt lgkmcnt(0)
	v_add_u32_e32 v0, v30, v0
	ds_write_b32 v39, v0 offset:64
.LBB286_108:
	s_or_b64 exec, exec, s[2:3]
	; wave barrier
	s_waitcnt lgkmcnt(0)
	s_barrier
	ds_read2_b32 v[2:3], v20 offset0:16 offset1:17
	ds_read2_b32 v[0:1], v41 offset0:2 offset1:3
	ds_read_b32 v40, v41 offset:16
	v_cmp_lt_u32_e64 s[8:9], 31, v18
	s_waitcnt lgkmcnt(1)
	v_add3_u32 v42, v3, v2, v0
	s_waitcnt lgkmcnt(0)
	v_add3_u32 v40, v42, v1, v40
	v_and_b32_e32 v42, 15, v18
	v_cmp_eq_u32_e32 vcc, 0, v42
	v_mov_b32_dpp v43, v40 row_shr:1 row_mask:0xf bank_mask:0xf
	v_cndmask_b32_e64 v43, v43, 0, vcc
	v_add_u32_e32 v40, v43, v40
	v_cmp_lt_u32_e64 s[2:3], 1, v42
	v_cmp_lt_u32_e64 s[4:5], 3, v42
	v_mov_b32_dpp v43, v40 row_shr:2 row_mask:0xf bank_mask:0xf
	v_cndmask_b32_e64 v43, 0, v43, s[2:3]
	v_add_u32_e32 v40, v40, v43
	v_cmp_lt_u32_e64 s[6:7], 7, v42
	s_nop 0
	v_mov_b32_dpp v43, v40 row_shr:4 row_mask:0xf bank_mask:0xf
	v_cndmask_b32_e64 v43, 0, v43, s[4:5]
	v_add_u32_e32 v40, v40, v43
	s_nop 1
	v_mov_b32_dpp v43, v40 row_shr:8 row_mask:0xf bank_mask:0xf
	v_cndmask_b32_e64 v42, 0, v43, s[6:7]
	v_add_u32_e32 v40, v40, v42
	v_bfe_i32 v43, v18, 4, 1
	s_nop 0
	v_mov_b32_dpp v42, v40 row_bcast:15 row_mask:0xf bank_mask:0xf
	v_and_b32_e32 v42, v43, v42
	v_add_u32_e32 v40, v40, v42
	v_lshrrev_b32_e32 v43, 6, v10
	s_nop 0
	v_mov_b32_dpp v42, v40 row_bcast:31 row_mask:0xf bank_mask:0xf
	v_cndmask_b32_e64 v42, 0, v42, s[8:9]
	v_add_u32_e32 v42, v40, v42
	v_and_b32_e32 v40, 63, v10
	v_cmp_eq_u32_e64 s[8:9], 63, v40
	s_and_saveexec_b64 s[14:15], s[8:9]
	s_cbranch_execz .LBB286_110
; %bb.109:
	v_lshlrev_b32_e32 v40, 2, v43
	ds_write_b32 v40, v42
.LBB286_110:
	s_or_b64 exec, exec, s[14:15]
	v_cmp_gt_u32_e64 s[8:9], 16, v10
	v_lshlrev_b32_e32 v40, 2, v10
	s_waitcnt lgkmcnt(0)
	s_barrier
	s_and_saveexec_b64 s[14:15], s[8:9]
	s_cbranch_execz .LBB286_112
; %bb.111:
	ds_read_b32 v44, v40
	s_waitcnt lgkmcnt(0)
	s_nop 0
	v_mov_b32_dpp v45, v44 row_shr:1 row_mask:0xf bank_mask:0xf
	v_cndmask_b32_e64 v45, v45, 0, vcc
	v_add_u32_e32 v44, v45, v44
	s_nop 1
	v_mov_b32_dpp v45, v44 row_shr:2 row_mask:0xf bank_mask:0xf
	v_cndmask_b32_e64 v45, 0, v45, s[2:3]
	v_add_u32_e32 v44, v44, v45
	s_nop 1
	v_mov_b32_dpp v45, v44 row_shr:4 row_mask:0xf bank_mask:0xf
	v_cndmask_b32_e64 v45, 0, v45, s[4:5]
	;; [unrolled: 4-line block ×3, first 2 shown]
	v_add_u32_e32 v44, v44, v45
	ds_write_b32 v40, v44
.LBB286_112:
	s_or_b64 exec, exec, s[14:15]
	v_cmp_lt_u32_e32 vcc, 63, v10
	v_mov_b32_e32 v44, 0
	s_waitcnt lgkmcnt(0)
	s_barrier
	s_and_saveexec_b64 s[2:3], vcc
	s_cbranch_execz .LBB286_114
; %bb.113:
	v_lshl_add_u32 v43, v43, 2, -4
	ds_read_b32 v44, v43
.LBB286_114:
	s_or_b64 exec, exec, s[2:3]
	v_add_u32_e32 v43, -1, v18
	v_and_b32_e32 v45, 64, v18
	v_cmp_lt_i32_e32 vcc, v43, v45
	v_cndmask_b32_e32 v43, v43, v18, vcc
	s_waitcnt lgkmcnt(0)
	v_add_u32_e32 v42, v44, v42
	v_lshlrev_b32_e32 v43, 2, v43
	ds_bpermute_b32 v42, v43, v42
	v_cmp_eq_u32_e32 vcc, 0, v18
	s_movk_i32 s2, 0xff
	s_movk_i32 s3, 0x100
	s_waitcnt lgkmcnt(0)
	v_cndmask_b32_e32 v18, v42, v44, vcc
	v_cndmask_b32_e64 v18, v18, 0, s[0:1]
	v_add_u32_e32 v2, v18, v2
	v_add_u32_e32 v3, v2, v3
	;; [unrolled: 1-line block ×4, first 2 shown]
	ds_write2_b32 v20, v18, v2 offset0:16 offset1:17
	ds_write2_b32 v41, v3, v0 offset0:2 offset1:3
	ds_write_b32 v41, v1 offset:16
	s_waitcnt lgkmcnt(0)
	s_barrier
	ds_read_b32 v0, v22 offset:64
	ds_read_b32 v18, v26 offset:64
	;; [unrolled: 1-line block ×8, first 2 shown]
	v_cmp_lt_u32_e64 s[0:1], s2, v10
	v_cmp_gt_u32_e32 vcc, s3, v10
                                        ; implicit-def: $vgpr33
                                        ; implicit-def: $vgpr35
	s_and_saveexec_b64 s[4:5], vcc
	s_cbranch_execz .LBB286_118
; %bb.115:
	v_mul_u32_u24_e32 v1, 17, v10
	v_lshlrev_b32_e32 v2, 2, v1
	ds_read_b32 v33, v2 offset:64
	v_cmp_ne_u32_e64 s[2:3], s2, v10
	v_mov_b32_e32 v1, 0x2000
	s_and_saveexec_b64 s[6:7], s[2:3]
	s_cbranch_execz .LBB286_117
; %bb.116:
	ds_read_b32 v1, v2 offset:132
.LBB286_117:
	s_or_b64 exec, exec, s[6:7]
	s_waitcnt lgkmcnt(0)
	v_sub_u32_e32 v35, v1, v33
.LBB286_118:
	s_or_b64 exec, exec, s[4:5]
	s_waitcnt lgkmcnt(7)
	v_add_u32_e32 v37, v0, v23
	s_waitcnt lgkmcnt(6)
	v_add3_u32 v0, v13, v9, v18
	s_waitcnt lgkmcnt(5)
	v_add3_u32 v1, v19, v16, v20
	s_waitcnt lgkmcnt(4)
	v_add3_u32 v2, v24, v21, v22
	s_waitcnt lgkmcnt(3)
	v_add3_u32 v3, v27, v25, v26
	s_waitcnt lgkmcnt(2)
	v_add3_u32 v23, v31, v28, v29
	s_waitcnt lgkmcnt(1)
	v_add3_u32 v41, v34, v32, v38
	s_waitcnt lgkmcnt(0)
	v_add3_u32 v42, v36, v30, v39
	s_barrier
	ds_write_b8 v37, v4 offset:1024
	ds_write_b8 v0, v5 offset:1024
	;; [unrolled: 1-line block ×8, first 2 shown]
                                        ; implicit-def: $vgpr14_vgpr15
	s_and_saveexec_b64 s[2:3], s[0:1]
	s_xor_b64 s[0:1], exec, s[2:3]
; %bb.119:
	v_mov_b32_e32 v11, 0
	v_pk_mov_b32 v[14:15], v[10:11], v[10:11] op_sel:[0,1]
                                        ; implicit-def: $vgpr40
; %bb.120:
	s_andn2_saveexec_b64 s[2:3], s[0:1]
	s_cbranch_execz .LBB286_130
; %bb.121:
	v_lshl_or_b32 v0, s33, 8, v10
	v_mov_b32_e32 v1, 0
	v_lshlrev_b64 v[2:3], 2, v[0:1]
	v_mov_b32_e32 v6, s31
	v_add_co_u32_e64 v2, s[0:1], s30, v2
	v_addc_co_u32_e64 v3, s[0:1], v6, v3, s[0:1]
	v_or_b32_e32 v0, 2.0, v35
	s_mov_b64 s[4:5], 0
	s_brev_b32 s14, 1
	s_mov_b32 s15, s33
	v_mov_b32_e32 v7, 0
	global_store_dword v[2:3], v0, off
                                        ; implicit-def: $sgpr0_sgpr1
	s_branch .LBB286_124
.LBB286_122:                            ;   in Loop: Header=BB286_124 Depth=1
	s_or_b64 exec, exec, s[8:9]
.LBB286_123:                            ;   in Loop: Header=BB286_124 Depth=1
	s_or_b64 exec, exec, s[6:7]
	v_and_b32_e32 v4, 0x3fffffff, v11
	v_add_u32_e32 v7, v4, v7
	v_cmp_eq_u32_e64 s[0:1], s14, v0
	s_and_b64 s[6:7], exec, s[0:1]
	s_or_b64 s[4:5], s[6:7], s[4:5]
	s_andn2_b64 exec, exec, s[4:5]
	s_cbranch_execz .LBB286_129
.LBB286_124:                            ; =>This Loop Header: Depth=1
                                        ;     Child Loop BB286_127 Depth 2
	s_or_b64 s[0:1], s[0:1], exec
	s_cmp_eq_u32 s15, 0
	s_cbranch_scc1 .LBB286_128
; %bb.125:                              ;   in Loop: Header=BB286_124 Depth=1
	s_add_i32 s15, s15, -1
	v_lshl_or_b32 v0, s15, 8, v10
	v_lshlrev_b64 v[4:5], 2, v[0:1]
	v_add_co_u32_e64 v4, s[0:1], s30, v4
	v_addc_co_u32_e64 v5, s[0:1], v6, v5, s[0:1]
	global_load_dword v11, v[4:5], off glc
	s_waitcnt vmcnt(0)
	v_and_b32_e32 v0, -2.0, v11
	v_cmp_eq_u32_e64 s[0:1], 0, v0
	s_and_saveexec_b64 s[6:7], s[0:1]
	s_cbranch_execz .LBB286_123
; %bb.126:                              ;   in Loop: Header=BB286_124 Depth=1
	s_mov_b64 s[8:9], 0
.LBB286_127:                            ;   Parent Loop BB286_124 Depth=1
                                        ; =>  This Inner Loop Header: Depth=2
	global_load_dword v11, v[4:5], off glc
	s_waitcnt vmcnt(0)
	v_and_b32_e32 v0, -2.0, v11
	v_cmp_ne_u32_e64 s[0:1], 0, v0
	s_or_b64 s[8:9], s[0:1], s[8:9]
	s_andn2_b64 exec, exec, s[8:9]
	s_cbranch_execnz .LBB286_127
	s_branch .LBB286_122
.LBB286_128:                            ;   in Loop: Header=BB286_124 Depth=1
                                        ; implicit-def: $sgpr15
	s_and_b64 s[6:7], exec, s[0:1]
	s_or_b64 s[4:5], s[6:7], s[4:5]
	s_andn2_b64 exec, exec, s[4:5]
	s_cbranch_execnz .LBB286_124
.LBB286_129:
	s_or_b64 exec, exec, s[4:5]
	v_add_u32_e32 v0, v7, v35
	v_or_b32_e32 v0, 0x80000000, v0
	global_store_dword v[2:3], v0, off
	global_load_dword v0, v40, s[44:45]
	v_mov_b32_e32 v11, 0
	v_sub_u32_e32 v1, v7, v33
	v_pk_mov_b32 v[14:15], v[10:11], v[10:11] op_sel:[0,1]
	s_waitcnt vmcnt(0)
	v_add_u32_e32 v0, v1, v0
	ds_write_b32 v40, v0
.LBB286_130:
	s_or_b64 exec, exec, s[2:3]
	s_waitcnt lgkmcnt(0)
	s_barrier
	ds_read_u8 v11, v14 offset:1024
	ds_read_u8 v17, v10 offset:2048
	;; [unrolled: 1-line block ×8, first 2 shown]
	s_waitcnt lgkmcnt(7)
	v_lshrrev_b32_sdwa v0, s48, v11 dst_sel:DWORD dst_unused:UNUSED_PAD src0_sel:DWORD src1_sel:BYTE_0
	v_and_b32_e32 v0, s17, v0
	s_waitcnt lgkmcnt(6)
	v_lshrrev_b32_sdwa v1, s48, v17 dst_sel:DWORD dst_unused:UNUSED_PAD src0_sel:DWORD src1_sel:BYTE_0
	v_lshlrev_b32_e32 v2, 2, v0
	v_and_b32_e32 v1, s17, v1
	s_waitcnt lgkmcnt(5)
	v_lshrrev_b32_sdwa v4, s48, v23 dst_sel:DWORD dst_unused:UNUSED_PAD src0_sel:DWORD src1_sel:BYTE_0
	v_lshlrev_b32_e32 v3, 2, v1
	ds_read_b32 v45, v2
	ds_read_b32 v46, v3
	v_and_b32_e32 v2, s17, v4
	v_lshlrev_b32_e32 v3, 2, v2
	ds_read_b32 v47, v3
	s_waitcnt lgkmcnt(7)
	v_lshrrev_b32_sdwa v3, s48, v40 dst_sel:DWORD dst_unused:UNUSED_PAD src0_sel:DWORD src1_sel:BYTE_0
	v_and_b32_e32 v3, s17, v3
	v_lshlrev_b32_e32 v4, 2, v3
	ds_read_b32 v48, v4
	s_waitcnt lgkmcnt(7)
	v_lshrrev_b32_sdwa v4, s48, v41 dst_sel:DWORD dst_unused:UNUSED_PAD src0_sel:DWORD src1_sel:BYTE_0
	;; [unrolled: 5-line block ×5, first 2 shown]
	v_and_b32_e32 v7, s17, v7
	s_waitcnt lgkmcnt(6)
	v_add_u32_e32 v45, v45, v10
	s_movk_i32 s2, 0x400
	v_lshlrev_b32_e32 v52, 2, v7
	global_store_byte v45, v11, s[38:39]
	s_waitcnt lgkmcnt(5)
	v_add3_u32 v11, v46, v10, s2
	s_movk_i32 s0, 0x800
	ds_read_b32 v52, v52
	global_store_byte v11, v17, s[38:39]
	s_waitcnt lgkmcnt(5)
	v_add3_u32 v11, v47, v10, s0
	s_movk_i32 s0, 0xc00
	global_store_byte v11, v23, s[38:39]
	s_waitcnt lgkmcnt(4)
	v_add3_u32 v11, v48, v10, s0
	s_movk_i32 s0, 0x1000
	;; [unrolled: 4-line block ×5, first 2 shown]
	global_store_byte v11, v43, s[38:39]
	s_waitcnt lgkmcnt(0)
	v_add3_u32 v11, v52, v10, s0
	s_lshl_b64 s[0:1], s[12:13], 3
	s_add_u32 s0, s40, s0
	global_store_byte v11, v44, s[38:39]
	v_add3_u32 v11, v36, v39, v30
	v_add3_u32 v30, v34, v38, v32
	;; [unrolled: 1-line block ×3, first 2 shown]
	v_lshlrev_b32_e32 v9, 3, v12
	s_addc_u32 s1, s41, s1
	v_mov_b32_e32 v12, s1
	v_add_co_u32_e64 v9, s[0:1], s0, v9
	v_lshlrev_b32_e32 v8, 3, v8
	v_addc_co_u32_e64 v12, s[0:1], 0, v12, s[0:1]
	v_add3_u32 v31, v31, v29, v28
	v_add_co_u32_e64 v28, s[0:1], v9, v8
	v_addc_co_u32_e64 v29, s[0:1], 0, v12, s[0:1]
	v_or_b32_e32 v8, 0x400, v10
	v_mul_u32_u24_e32 v9, 7, v10
	v_add3_u32 v32, v27, v26, v25
	v_add3_u32 v34, v24, v22, v21
	;; [unrolled: 1-line block ×3, first 2 shown]
	v_add_u32_e32 v39, v8, v9
	global_load_dwordx2 v[8:9], v[28:29], off
	global_load_dwordx2 v[12:13], v[28:29], off offset:512
	global_load_dwordx2 v[16:17], v[28:29], off offset:1024
	global_load_dwordx2 v[18:19], v[28:29], off offset:1536
	global_load_dwordx2 v[20:21], v[28:29], off offset:2048
	global_load_dwordx2 v[22:23], v[28:29], off offset:2560
	global_load_dwordx2 v[24:25], v[28:29], off offset:3072
	global_load_dwordx2 v[26:27], v[28:29], off offset:3584
	s_mov_b32 s3, 0
	s_mov_b32 s4, 1
	v_lshlrev_b32_e32 v40, 3, v14
	v_mov_b32_e32 v29, 0
	s_barrier
	s_waitcnt vmcnt(0)
.LBB286_131:                            ; =>This Inner Loop Header: Depth=1
	v_add_u32_e32 v28, s3, v37
	v_min_u32_e32 v28, 0x800, v28
	v_lshlrev_b32_e32 v28, 3, v28
	ds_write_b64 v28, v[8:9] offset:1024
	v_add_u32_e32 v28, s3, v38
	v_min_u32_e32 v28, 0x800, v28
	v_lshlrev_b32_e32 v28, 3, v28
	ds_write_b64 v28, v[12:13] offset:1024
	;; [unrolled: 4-line block ×7, first 2 shown]
	v_add_u32_e32 v28, s3, v11
	s_add_i32 s5, s4, -1
	v_min_u32_e32 v28, 0x800, v28
	s_cmp_eq_u32 s5, 1
	v_lshlrev_b32_e32 v28, 3, v28
	s_cselect_b64 s[0:1], -1, 0
	s_cmp_eq_u32 s5, 2
	ds_write_b64 v28, v[26:27] offset:1024
	v_cndmask_b32_e64 v28, v0, v1, s[0:1]
	s_cselect_b64 s[0:1], -1, 0
	s_cmp_eq_u32 s5, 3
	v_cndmask_b32_e64 v28, v28, v2, s[0:1]
	s_cselect_b64 s[0:1], -1, 0
	s_cmp_eq_u32 s5, 4
	;; [unrolled: 3-line block ×10, first 2 shown]
	v_lshlrev_b32_e32 v28, 2, v28
	v_cndmask_b32_e64 v41, v41, v4, s[0:1]
	s_cselect_b64 s[0:1], -1, 0
	s_cmp_eq_u32 s4, 6
	s_waitcnt lgkmcnt(0)
	s_barrier
	ds_read_b32 v28, v28
	v_cndmask_b32_e64 v41, v41, v5, s[0:1]
	s_cselect_b64 s[0:1], -1, 0
	s_cmp_eq_u32 s4, 7
	v_cndmask_b32_e64 v41, v41, v6, s[0:1]
	s_cselect_b64 s[0:1], -1, 0
	v_cndmask_b32_e64 v41, v41, v7, s[0:1]
	v_lshlrev_b32_e32 v41, 2, v41
	ds_read_b32 v41, v41
	ds_read_b64 v[42:43], v39 offset:8192
	ds_read_b64 v[46:47], v40 offset:1024
	s_waitcnt lgkmcnt(3)
	v_add_u32_e32 v28, v10, v28
	v_lshlrev_b64 v[44:45], 3, v[28:29]
	v_mov_b32_e32 v48, s43
	v_add_co_u32_e64 v44, s[0:1], s42, v44
	v_addc_co_u32_e64 v45, s[0:1], v48, v45, s[0:1]
	s_waitcnt lgkmcnt(2)
	v_add3_u32 v28, v10, v41, s2
	s_waitcnt lgkmcnt(0)
	global_store_dwordx2 v[44:45], v[46:47], off
	v_lshlrev_b64 v[44:45], 3, v[28:29]
	v_add_co_u32_e64 v44, s[0:1], s42, v44
	s_addk_i32 s3, 0xf800
	s_add_i32 s4, s4, 2
	v_addc_co_u32_e64 v45, s[0:1], v48, v45, s[0:1]
	s_cmpk_lg_i32 s3, 0xe000
	v_add_u32_e32 v10, 0x800, v10
	global_store_dwordx2 v[44:45], v[42:43], off
	s_barrier
	s_cbranch_scc1 .LBB286_131
; %bb.132:
	s_add_i32 s16, s16, -1
	s_cmp_eq_u32 s16, s33
	s_cselect_b64 s[0:1], -1, 0
	s_and_b64 s[2:3], vcc, s[0:1]
                                        ; implicit-def: $vgpr2
	s_and_saveexec_b64 s[0:1], s[2:3]
; %bb.133:
	v_add_u32_e32 v2, v33, v35
	s_or_b64 s[10:11], s[10:11], exec
; %bb.134:
	s_or_b64 exec, exec, s[0:1]
	v_mov_b32_e32 v10, v14
.LBB286_135:
	s_and_saveexec_b64 s[0:1], s[10:11]
	s_cbranch_execnz .LBB286_137
; %bb.136:
	s_endpgm
.LBB286_137:
	v_lshlrev_b32_e32 v3, 2, v10
	ds_read_b32 v3, v3
	v_lshlrev_b64 v[0:1], 2, v[14:15]
	v_mov_b32_e32 v4, s47
	v_add_co_u32_e32 v0, vcc, s46, v0
	v_addc_co_u32_e32 v1, vcc, v4, v1, vcc
	s_waitcnt lgkmcnt(0)
	v_add_u32_e32 v2, v3, v2
	global_store_dword v[0:1], v2, off
	s_endpgm
.LBB286_138:
	global_load_dwordx2 v[12:13], v[28:29], off
	s_or_b64 exec, exec, s[20:21]
                                        ; implicit-def: $vgpr14_vgpr15
	s_and_saveexec_b64 s[20:21], s[2:3]
	s_cbranch_execz .LBB286_75
.LBB286_139:
	global_load_dwordx2 v[14:15], v[28:29], off offset:512
	s_or_b64 exec, exec, s[20:21]
                                        ; implicit-def: $vgpr16_vgpr17
	s_and_saveexec_b64 s[2:3], s[26:27]
	s_cbranch_execz .LBB286_76
.LBB286_140:
	global_load_dwordx2 v[16:17], v[28:29], off offset:1024
	s_or_b64 exec, exec, s[2:3]
                                        ; implicit-def: $vgpr18_vgpr19
	s_and_saveexec_b64 s[2:3], s[8:9]
	s_cbranch_execz .LBB286_77
.LBB286_141:
	global_load_dwordx2 v[18:19], v[28:29], off offset:1536
	s_or_b64 exec, exec, s[2:3]
                                        ; implicit-def: $vgpr20_vgpr21
	s_and_saveexec_b64 s[2:3], s[10:11]
	s_cbranch_execz .LBB286_78
.LBB286_142:
	global_load_dwordx2 v[20:21], v[28:29], off offset:2048
	s_or_b64 exec, exec, s[2:3]
                                        ; implicit-def: $vgpr22_vgpr23
	s_and_saveexec_b64 s[2:3], s[12:13]
	s_cbranch_execz .LBB286_79
.LBB286_143:
	global_load_dwordx2 v[22:23], v[28:29], off offset:2560
	s_or_b64 exec, exec, s[2:3]
                                        ; implicit-def: $vgpr24_vgpr25
	s_and_saveexec_b64 s[2:3], s[14:15]
	s_cbranch_execz .LBB286_80
.LBB286_144:
	global_load_dwordx2 v[24:25], v[28:29], off offset:3072
	s_or_b64 exec, exec, s[2:3]
                                        ; implicit-def: $vgpr26_vgpr27
	s_and_saveexec_b64 s[2:3], s[16:17]
	s_cbranch_execnz .LBB286_81
	s_branch .LBB286_82
	.section	.rodata,"a",@progbits
	.p2align	6, 0x0
	.amdhsa_kernel _ZN7rocprim17ROCPRIM_400000_NS6detail17trampoline_kernelINS0_14default_configENS1_35radix_sort_onesweep_config_selectorIhlEEZZNS1_29radix_sort_onesweep_iterationIS3_Lb0EPhS7_N6thrust23THRUST_200600_302600_NS10device_ptrIlEESB_jNS0_19identity_decomposerENS1_16block_id_wrapperIjLb1EEEEE10hipError_tT1_PNSt15iterator_traitsISG_E10value_typeET2_T3_PNSH_ISM_E10value_typeET4_T5_PSR_SS_PNS1_23onesweep_lookback_stateEbbT6_jjT7_P12ihipStream_tbENKUlT_T0_SG_SL_E_clIS7_S7_PlSB_EEDaSZ_S10_SG_SL_EUlSZ_E_NS1_11comp_targetILNS1_3genE4ELNS1_11target_archE910ELNS1_3gpuE8ELNS1_3repE0EEENS1_47radix_sort_onesweep_sort_config_static_selectorELNS0_4arch9wavefront6targetE1EEEvSG_
		.amdhsa_group_segment_fixed_size 20552
		.amdhsa_private_segment_fixed_size 0
		.amdhsa_kernarg_size 344
		.amdhsa_user_sgpr_count 6
		.amdhsa_user_sgpr_private_segment_buffer 1
		.amdhsa_user_sgpr_dispatch_ptr 0
		.amdhsa_user_sgpr_queue_ptr 0
		.amdhsa_user_sgpr_kernarg_segment_ptr 1
		.amdhsa_user_sgpr_dispatch_id 0
		.amdhsa_user_sgpr_flat_scratch_init 0
		.amdhsa_user_sgpr_kernarg_preload_length 0
		.amdhsa_user_sgpr_kernarg_preload_offset 0
		.amdhsa_user_sgpr_private_segment_size 0
		.amdhsa_uses_dynamic_stack 0
		.amdhsa_system_sgpr_private_segment_wavefront_offset 0
		.amdhsa_system_sgpr_workgroup_id_x 1
		.amdhsa_system_sgpr_workgroup_id_y 0
		.amdhsa_system_sgpr_workgroup_id_z 0
		.amdhsa_system_sgpr_workgroup_info 0
		.amdhsa_system_vgpr_workitem_id 2
		.amdhsa_next_free_vgpr 55
		.amdhsa_next_free_sgpr 56
		.amdhsa_accum_offset 56
		.amdhsa_reserve_vcc 1
		.amdhsa_reserve_flat_scratch 0
		.amdhsa_float_round_mode_32 0
		.amdhsa_float_round_mode_16_64 0
		.amdhsa_float_denorm_mode_32 3
		.amdhsa_float_denorm_mode_16_64 3
		.amdhsa_dx10_clamp 1
		.amdhsa_ieee_mode 1
		.amdhsa_fp16_overflow 0
		.amdhsa_tg_split 0
		.amdhsa_exception_fp_ieee_invalid_op 0
		.amdhsa_exception_fp_denorm_src 0
		.amdhsa_exception_fp_ieee_div_zero 0
		.amdhsa_exception_fp_ieee_overflow 0
		.amdhsa_exception_fp_ieee_underflow 0
		.amdhsa_exception_fp_ieee_inexact 0
		.amdhsa_exception_int_div_zero 0
	.end_amdhsa_kernel
	.section	.text._ZN7rocprim17ROCPRIM_400000_NS6detail17trampoline_kernelINS0_14default_configENS1_35radix_sort_onesweep_config_selectorIhlEEZZNS1_29radix_sort_onesweep_iterationIS3_Lb0EPhS7_N6thrust23THRUST_200600_302600_NS10device_ptrIlEESB_jNS0_19identity_decomposerENS1_16block_id_wrapperIjLb1EEEEE10hipError_tT1_PNSt15iterator_traitsISG_E10value_typeET2_T3_PNSH_ISM_E10value_typeET4_T5_PSR_SS_PNS1_23onesweep_lookback_stateEbbT6_jjT7_P12ihipStream_tbENKUlT_T0_SG_SL_E_clIS7_S7_PlSB_EEDaSZ_S10_SG_SL_EUlSZ_E_NS1_11comp_targetILNS1_3genE4ELNS1_11target_archE910ELNS1_3gpuE8ELNS1_3repE0EEENS1_47radix_sort_onesweep_sort_config_static_selectorELNS0_4arch9wavefront6targetE1EEEvSG_,"axG",@progbits,_ZN7rocprim17ROCPRIM_400000_NS6detail17trampoline_kernelINS0_14default_configENS1_35radix_sort_onesweep_config_selectorIhlEEZZNS1_29radix_sort_onesweep_iterationIS3_Lb0EPhS7_N6thrust23THRUST_200600_302600_NS10device_ptrIlEESB_jNS0_19identity_decomposerENS1_16block_id_wrapperIjLb1EEEEE10hipError_tT1_PNSt15iterator_traitsISG_E10value_typeET2_T3_PNSH_ISM_E10value_typeET4_T5_PSR_SS_PNS1_23onesweep_lookback_stateEbbT6_jjT7_P12ihipStream_tbENKUlT_T0_SG_SL_E_clIS7_S7_PlSB_EEDaSZ_S10_SG_SL_EUlSZ_E_NS1_11comp_targetILNS1_3genE4ELNS1_11target_archE910ELNS1_3gpuE8ELNS1_3repE0EEENS1_47radix_sort_onesweep_sort_config_static_selectorELNS0_4arch9wavefront6targetE1EEEvSG_,comdat
.Lfunc_end286:
	.size	_ZN7rocprim17ROCPRIM_400000_NS6detail17trampoline_kernelINS0_14default_configENS1_35radix_sort_onesweep_config_selectorIhlEEZZNS1_29radix_sort_onesweep_iterationIS3_Lb0EPhS7_N6thrust23THRUST_200600_302600_NS10device_ptrIlEESB_jNS0_19identity_decomposerENS1_16block_id_wrapperIjLb1EEEEE10hipError_tT1_PNSt15iterator_traitsISG_E10value_typeET2_T3_PNSH_ISM_E10value_typeET4_T5_PSR_SS_PNS1_23onesweep_lookback_stateEbbT6_jjT7_P12ihipStream_tbENKUlT_T0_SG_SL_E_clIS7_S7_PlSB_EEDaSZ_S10_SG_SL_EUlSZ_E_NS1_11comp_targetILNS1_3genE4ELNS1_11target_archE910ELNS1_3gpuE8ELNS1_3repE0EEENS1_47radix_sort_onesweep_sort_config_static_selectorELNS0_4arch9wavefront6targetE1EEEvSG_, .Lfunc_end286-_ZN7rocprim17ROCPRIM_400000_NS6detail17trampoline_kernelINS0_14default_configENS1_35radix_sort_onesweep_config_selectorIhlEEZZNS1_29radix_sort_onesweep_iterationIS3_Lb0EPhS7_N6thrust23THRUST_200600_302600_NS10device_ptrIlEESB_jNS0_19identity_decomposerENS1_16block_id_wrapperIjLb1EEEEE10hipError_tT1_PNSt15iterator_traitsISG_E10value_typeET2_T3_PNSH_ISM_E10value_typeET4_T5_PSR_SS_PNS1_23onesweep_lookback_stateEbbT6_jjT7_P12ihipStream_tbENKUlT_T0_SG_SL_E_clIS7_S7_PlSB_EEDaSZ_S10_SG_SL_EUlSZ_E_NS1_11comp_targetILNS1_3genE4ELNS1_11target_archE910ELNS1_3gpuE8ELNS1_3repE0EEENS1_47radix_sort_onesweep_sort_config_static_selectorELNS0_4arch9wavefront6targetE1EEEvSG_
                                        ; -- End function
	.section	.AMDGPU.csdata,"",@progbits
; Kernel info:
; codeLenInByte = 12832
; NumSgprs: 60
; NumVgprs: 55
; NumAgprs: 0
; TotalNumVgprs: 55
; ScratchSize: 0
; MemoryBound: 0
; FloatMode: 240
; IeeeMode: 1
; LDSByteSize: 20552 bytes/workgroup (compile time only)
; SGPRBlocks: 7
; VGPRBlocks: 6
; NumSGPRsForWavesPerEU: 60
; NumVGPRsForWavesPerEU: 55
; AccumOffset: 56
; Occupancy: 8
; WaveLimiterHint : 1
; COMPUTE_PGM_RSRC2:SCRATCH_EN: 0
; COMPUTE_PGM_RSRC2:USER_SGPR: 6
; COMPUTE_PGM_RSRC2:TRAP_HANDLER: 0
; COMPUTE_PGM_RSRC2:TGID_X_EN: 1
; COMPUTE_PGM_RSRC2:TGID_Y_EN: 0
; COMPUTE_PGM_RSRC2:TGID_Z_EN: 0
; COMPUTE_PGM_RSRC2:TIDIG_COMP_CNT: 2
; COMPUTE_PGM_RSRC3_GFX90A:ACCUM_OFFSET: 13
; COMPUTE_PGM_RSRC3_GFX90A:TG_SPLIT: 0
	.section	.text._ZN7rocprim17ROCPRIM_400000_NS6detail17trampoline_kernelINS0_14default_configENS1_35radix_sort_onesweep_config_selectorIhlEEZZNS1_29radix_sort_onesweep_iterationIS3_Lb0EPhS7_N6thrust23THRUST_200600_302600_NS10device_ptrIlEESB_jNS0_19identity_decomposerENS1_16block_id_wrapperIjLb1EEEEE10hipError_tT1_PNSt15iterator_traitsISG_E10value_typeET2_T3_PNSH_ISM_E10value_typeET4_T5_PSR_SS_PNS1_23onesweep_lookback_stateEbbT6_jjT7_P12ihipStream_tbENKUlT_T0_SG_SL_E_clIS7_S7_PlSB_EEDaSZ_S10_SG_SL_EUlSZ_E_NS1_11comp_targetILNS1_3genE3ELNS1_11target_archE908ELNS1_3gpuE7ELNS1_3repE0EEENS1_47radix_sort_onesweep_sort_config_static_selectorELNS0_4arch9wavefront6targetE1EEEvSG_,"axG",@progbits,_ZN7rocprim17ROCPRIM_400000_NS6detail17trampoline_kernelINS0_14default_configENS1_35radix_sort_onesweep_config_selectorIhlEEZZNS1_29radix_sort_onesweep_iterationIS3_Lb0EPhS7_N6thrust23THRUST_200600_302600_NS10device_ptrIlEESB_jNS0_19identity_decomposerENS1_16block_id_wrapperIjLb1EEEEE10hipError_tT1_PNSt15iterator_traitsISG_E10value_typeET2_T3_PNSH_ISM_E10value_typeET4_T5_PSR_SS_PNS1_23onesweep_lookback_stateEbbT6_jjT7_P12ihipStream_tbENKUlT_T0_SG_SL_E_clIS7_S7_PlSB_EEDaSZ_S10_SG_SL_EUlSZ_E_NS1_11comp_targetILNS1_3genE3ELNS1_11target_archE908ELNS1_3gpuE7ELNS1_3repE0EEENS1_47radix_sort_onesweep_sort_config_static_selectorELNS0_4arch9wavefront6targetE1EEEvSG_,comdat
	.protected	_ZN7rocprim17ROCPRIM_400000_NS6detail17trampoline_kernelINS0_14default_configENS1_35radix_sort_onesweep_config_selectorIhlEEZZNS1_29radix_sort_onesweep_iterationIS3_Lb0EPhS7_N6thrust23THRUST_200600_302600_NS10device_ptrIlEESB_jNS0_19identity_decomposerENS1_16block_id_wrapperIjLb1EEEEE10hipError_tT1_PNSt15iterator_traitsISG_E10value_typeET2_T3_PNSH_ISM_E10value_typeET4_T5_PSR_SS_PNS1_23onesweep_lookback_stateEbbT6_jjT7_P12ihipStream_tbENKUlT_T0_SG_SL_E_clIS7_S7_PlSB_EEDaSZ_S10_SG_SL_EUlSZ_E_NS1_11comp_targetILNS1_3genE3ELNS1_11target_archE908ELNS1_3gpuE7ELNS1_3repE0EEENS1_47radix_sort_onesweep_sort_config_static_selectorELNS0_4arch9wavefront6targetE1EEEvSG_ ; -- Begin function _ZN7rocprim17ROCPRIM_400000_NS6detail17trampoline_kernelINS0_14default_configENS1_35radix_sort_onesweep_config_selectorIhlEEZZNS1_29radix_sort_onesweep_iterationIS3_Lb0EPhS7_N6thrust23THRUST_200600_302600_NS10device_ptrIlEESB_jNS0_19identity_decomposerENS1_16block_id_wrapperIjLb1EEEEE10hipError_tT1_PNSt15iterator_traitsISG_E10value_typeET2_T3_PNSH_ISM_E10value_typeET4_T5_PSR_SS_PNS1_23onesweep_lookback_stateEbbT6_jjT7_P12ihipStream_tbENKUlT_T0_SG_SL_E_clIS7_S7_PlSB_EEDaSZ_S10_SG_SL_EUlSZ_E_NS1_11comp_targetILNS1_3genE3ELNS1_11target_archE908ELNS1_3gpuE7ELNS1_3repE0EEENS1_47radix_sort_onesweep_sort_config_static_selectorELNS0_4arch9wavefront6targetE1EEEvSG_
	.globl	_ZN7rocprim17ROCPRIM_400000_NS6detail17trampoline_kernelINS0_14default_configENS1_35radix_sort_onesweep_config_selectorIhlEEZZNS1_29radix_sort_onesweep_iterationIS3_Lb0EPhS7_N6thrust23THRUST_200600_302600_NS10device_ptrIlEESB_jNS0_19identity_decomposerENS1_16block_id_wrapperIjLb1EEEEE10hipError_tT1_PNSt15iterator_traitsISG_E10value_typeET2_T3_PNSH_ISM_E10value_typeET4_T5_PSR_SS_PNS1_23onesweep_lookback_stateEbbT6_jjT7_P12ihipStream_tbENKUlT_T0_SG_SL_E_clIS7_S7_PlSB_EEDaSZ_S10_SG_SL_EUlSZ_E_NS1_11comp_targetILNS1_3genE3ELNS1_11target_archE908ELNS1_3gpuE7ELNS1_3repE0EEENS1_47radix_sort_onesweep_sort_config_static_selectorELNS0_4arch9wavefront6targetE1EEEvSG_
	.p2align	8
	.type	_ZN7rocprim17ROCPRIM_400000_NS6detail17trampoline_kernelINS0_14default_configENS1_35radix_sort_onesweep_config_selectorIhlEEZZNS1_29radix_sort_onesweep_iterationIS3_Lb0EPhS7_N6thrust23THRUST_200600_302600_NS10device_ptrIlEESB_jNS0_19identity_decomposerENS1_16block_id_wrapperIjLb1EEEEE10hipError_tT1_PNSt15iterator_traitsISG_E10value_typeET2_T3_PNSH_ISM_E10value_typeET4_T5_PSR_SS_PNS1_23onesweep_lookback_stateEbbT6_jjT7_P12ihipStream_tbENKUlT_T0_SG_SL_E_clIS7_S7_PlSB_EEDaSZ_S10_SG_SL_EUlSZ_E_NS1_11comp_targetILNS1_3genE3ELNS1_11target_archE908ELNS1_3gpuE7ELNS1_3repE0EEENS1_47radix_sort_onesweep_sort_config_static_selectorELNS0_4arch9wavefront6targetE1EEEvSG_,@function
_ZN7rocprim17ROCPRIM_400000_NS6detail17trampoline_kernelINS0_14default_configENS1_35radix_sort_onesweep_config_selectorIhlEEZZNS1_29radix_sort_onesweep_iterationIS3_Lb0EPhS7_N6thrust23THRUST_200600_302600_NS10device_ptrIlEESB_jNS0_19identity_decomposerENS1_16block_id_wrapperIjLb1EEEEE10hipError_tT1_PNSt15iterator_traitsISG_E10value_typeET2_T3_PNSH_ISM_E10value_typeET4_T5_PSR_SS_PNS1_23onesweep_lookback_stateEbbT6_jjT7_P12ihipStream_tbENKUlT_T0_SG_SL_E_clIS7_S7_PlSB_EEDaSZ_S10_SG_SL_EUlSZ_E_NS1_11comp_targetILNS1_3genE3ELNS1_11target_archE908ELNS1_3gpuE7ELNS1_3repE0EEENS1_47radix_sort_onesweep_sort_config_static_selectorELNS0_4arch9wavefront6targetE1EEEvSG_: ; @_ZN7rocprim17ROCPRIM_400000_NS6detail17trampoline_kernelINS0_14default_configENS1_35radix_sort_onesweep_config_selectorIhlEEZZNS1_29radix_sort_onesweep_iterationIS3_Lb0EPhS7_N6thrust23THRUST_200600_302600_NS10device_ptrIlEESB_jNS0_19identity_decomposerENS1_16block_id_wrapperIjLb1EEEEE10hipError_tT1_PNSt15iterator_traitsISG_E10value_typeET2_T3_PNSH_ISM_E10value_typeET4_T5_PSR_SS_PNS1_23onesweep_lookback_stateEbbT6_jjT7_P12ihipStream_tbENKUlT_T0_SG_SL_E_clIS7_S7_PlSB_EEDaSZ_S10_SG_SL_EUlSZ_E_NS1_11comp_targetILNS1_3genE3ELNS1_11target_archE908ELNS1_3gpuE7ELNS1_3repE0EEENS1_47radix_sort_onesweep_sort_config_static_selectorELNS0_4arch9wavefront6targetE1EEEvSG_
; %bb.0:
	.section	.rodata,"a",@progbits
	.p2align	6, 0x0
	.amdhsa_kernel _ZN7rocprim17ROCPRIM_400000_NS6detail17trampoline_kernelINS0_14default_configENS1_35radix_sort_onesweep_config_selectorIhlEEZZNS1_29radix_sort_onesweep_iterationIS3_Lb0EPhS7_N6thrust23THRUST_200600_302600_NS10device_ptrIlEESB_jNS0_19identity_decomposerENS1_16block_id_wrapperIjLb1EEEEE10hipError_tT1_PNSt15iterator_traitsISG_E10value_typeET2_T3_PNSH_ISM_E10value_typeET4_T5_PSR_SS_PNS1_23onesweep_lookback_stateEbbT6_jjT7_P12ihipStream_tbENKUlT_T0_SG_SL_E_clIS7_S7_PlSB_EEDaSZ_S10_SG_SL_EUlSZ_E_NS1_11comp_targetILNS1_3genE3ELNS1_11target_archE908ELNS1_3gpuE7ELNS1_3repE0EEENS1_47radix_sort_onesweep_sort_config_static_selectorELNS0_4arch9wavefront6targetE1EEEvSG_
		.amdhsa_group_segment_fixed_size 0
		.amdhsa_private_segment_fixed_size 0
		.amdhsa_kernarg_size 88
		.amdhsa_user_sgpr_count 6
		.amdhsa_user_sgpr_private_segment_buffer 1
		.amdhsa_user_sgpr_dispatch_ptr 0
		.amdhsa_user_sgpr_queue_ptr 0
		.amdhsa_user_sgpr_kernarg_segment_ptr 1
		.amdhsa_user_sgpr_dispatch_id 0
		.amdhsa_user_sgpr_flat_scratch_init 0
		.amdhsa_user_sgpr_kernarg_preload_length 0
		.amdhsa_user_sgpr_kernarg_preload_offset 0
		.amdhsa_user_sgpr_private_segment_size 0
		.amdhsa_uses_dynamic_stack 0
		.amdhsa_system_sgpr_private_segment_wavefront_offset 0
		.amdhsa_system_sgpr_workgroup_id_x 1
		.amdhsa_system_sgpr_workgroup_id_y 0
		.amdhsa_system_sgpr_workgroup_id_z 0
		.amdhsa_system_sgpr_workgroup_info 0
		.amdhsa_system_vgpr_workitem_id 0
		.amdhsa_next_free_vgpr 1
		.amdhsa_next_free_sgpr 0
		.amdhsa_accum_offset 4
		.amdhsa_reserve_vcc 0
		.amdhsa_reserve_flat_scratch 0
		.amdhsa_float_round_mode_32 0
		.amdhsa_float_round_mode_16_64 0
		.amdhsa_float_denorm_mode_32 3
		.amdhsa_float_denorm_mode_16_64 3
		.amdhsa_dx10_clamp 1
		.amdhsa_ieee_mode 1
		.amdhsa_fp16_overflow 0
		.amdhsa_tg_split 0
		.amdhsa_exception_fp_ieee_invalid_op 0
		.amdhsa_exception_fp_denorm_src 0
		.amdhsa_exception_fp_ieee_div_zero 0
		.amdhsa_exception_fp_ieee_overflow 0
		.amdhsa_exception_fp_ieee_underflow 0
		.amdhsa_exception_fp_ieee_inexact 0
		.amdhsa_exception_int_div_zero 0
	.end_amdhsa_kernel
	.section	.text._ZN7rocprim17ROCPRIM_400000_NS6detail17trampoline_kernelINS0_14default_configENS1_35radix_sort_onesweep_config_selectorIhlEEZZNS1_29radix_sort_onesweep_iterationIS3_Lb0EPhS7_N6thrust23THRUST_200600_302600_NS10device_ptrIlEESB_jNS0_19identity_decomposerENS1_16block_id_wrapperIjLb1EEEEE10hipError_tT1_PNSt15iterator_traitsISG_E10value_typeET2_T3_PNSH_ISM_E10value_typeET4_T5_PSR_SS_PNS1_23onesweep_lookback_stateEbbT6_jjT7_P12ihipStream_tbENKUlT_T0_SG_SL_E_clIS7_S7_PlSB_EEDaSZ_S10_SG_SL_EUlSZ_E_NS1_11comp_targetILNS1_3genE3ELNS1_11target_archE908ELNS1_3gpuE7ELNS1_3repE0EEENS1_47radix_sort_onesweep_sort_config_static_selectorELNS0_4arch9wavefront6targetE1EEEvSG_,"axG",@progbits,_ZN7rocprim17ROCPRIM_400000_NS6detail17trampoline_kernelINS0_14default_configENS1_35radix_sort_onesweep_config_selectorIhlEEZZNS1_29radix_sort_onesweep_iterationIS3_Lb0EPhS7_N6thrust23THRUST_200600_302600_NS10device_ptrIlEESB_jNS0_19identity_decomposerENS1_16block_id_wrapperIjLb1EEEEE10hipError_tT1_PNSt15iterator_traitsISG_E10value_typeET2_T3_PNSH_ISM_E10value_typeET4_T5_PSR_SS_PNS1_23onesweep_lookback_stateEbbT6_jjT7_P12ihipStream_tbENKUlT_T0_SG_SL_E_clIS7_S7_PlSB_EEDaSZ_S10_SG_SL_EUlSZ_E_NS1_11comp_targetILNS1_3genE3ELNS1_11target_archE908ELNS1_3gpuE7ELNS1_3repE0EEENS1_47radix_sort_onesweep_sort_config_static_selectorELNS0_4arch9wavefront6targetE1EEEvSG_,comdat
.Lfunc_end287:
	.size	_ZN7rocprim17ROCPRIM_400000_NS6detail17trampoline_kernelINS0_14default_configENS1_35radix_sort_onesweep_config_selectorIhlEEZZNS1_29radix_sort_onesweep_iterationIS3_Lb0EPhS7_N6thrust23THRUST_200600_302600_NS10device_ptrIlEESB_jNS0_19identity_decomposerENS1_16block_id_wrapperIjLb1EEEEE10hipError_tT1_PNSt15iterator_traitsISG_E10value_typeET2_T3_PNSH_ISM_E10value_typeET4_T5_PSR_SS_PNS1_23onesweep_lookback_stateEbbT6_jjT7_P12ihipStream_tbENKUlT_T0_SG_SL_E_clIS7_S7_PlSB_EEDaSZ_S10_SG_SL_EUlSZ_E_NS1_11comp_targetILNS1_3genE3ELNS1_11target_archE908ELNS1_3gpuE7ELNS1_3repE0EEENS1_47radix_sort_onesweep_sort_config_static_selectorELNS0_4arch9wavefront6targetE1EEEvSG_, .Lfunc_end287-_ZN7rocprim17ROCPRIM_400000_NS6detail17trampoline_kernelINS0_14default_configENS1_35radix_sort_onesweep_config_selectorIhlEEZZNS1_29radix_sort_onesweep_iterationIS3_Lb0EPhS7_N6thrust23THRUST_200600_302600_NS10device_ptrIlEESB_jNS0_19identity_decomposerENS1_16block_id_wrapperIjLb1EEEEE10hipError_tT1_PNSt15iterator_traitsISG_E10value_typeET2_T3_PNSH_ISM_E10value_typeET4_T5_PSR_SS_PNS1_23onesweep_lookback_stateEbbT6_jjT7_P12ihipStream_tbENKUlT_T0_SG_SL_E_clIS7_S7_PlSB_EEDaSZ_S10_SG_SL_EUlSZ_E_NS1_11comp_targetILNS1_3genE3ELNS1_11target_archE908ELNS1_3gpuE7ELNS1_3repE0EEENS1_47radix_sort_onesweep_sort_config_static_selectorELNS0_4arch9wavefront6targetE1EEEvSG_
                                        ; -- End function
	.section	.AMDGPU.csdata,"",@progbits
; Kernel info:
; codeLenInByte = 0
; NumSgprs: 4
; NumVgprs: 0
; NumAgprs: 0
; TotalNumVgprs: 0
; ScratchSize: 0
; MemoryBound: 0
; FloatMode: 240
; IeeeMode: 1
; LDSByteSize: 0 bytes/workgroup (compile time only)
; SGPRBlocks: 0
; VGPRBlocks: 0
; NumSGPRsForWavesPerEU: 4
; NumVGPRsForWavesPerEU: 1
; AccumOffset: 4
; Occupancy: 8
; WaveLimiterHint : 0
; COMPUTE_PGM_RSRC2:SCRATCH_EN: 0
; COMPUTE_PGM_RSRC2:USER_SGPR: 6
; COMPUTE_PGM_RSRC2:TRAP_HANDLER: 0
; COMPUTE_PGM_RSRC2:TGID_X_EN: 1
; COMPUTE_PGM_RSRC2:TGID_Y_EN: 0
; COMPUTE_PGM_RSRC2:TGID_Z_EN: 0
; COMPUTE_PGM_RSRC2:TIDIG_COMP_CNT: 0
; COMPUTE_PGM_RSRC3_GFX90A:ACCUM_OFFSET: 0
; COMPUTE_PGM_RSRC3_GFX90A:TG_SPLIT: 0
	.section	.text._ZN7rocprim17ROCPRIM_400000_NS6detail17trampoline_kernelINS0_14default_configENS1_35radix_sort_onesweep_config_selectorIhlEEZZNS1_29radix_sort_onesweep_iterationIS3_Lb0EPhS7_N6thrust23THRUST_200600_302600_NS10device_ptrIlEESB_jNS0_19identity_decomposerENS1_16block_id_wrapperIjLb1EEEEE10hipError_tT1_PNSt15iterator_traitsISG_E10value_typeET2_T3_PNSH_ISM_E10value_typeET4_T5_PSR_SS_PNS1_23onesweep_lookback_stateEbbT6_jjT7_P12ihipStream_tbENKUlT_T0_SG_SL_E_clIS7_S7_PlSB_EEDaSZ_S10_SG_SL_EUlSZ_E_NS1_11comp_targetILNS1_3genE10ELNS1_11target_archE1201ELNS1_3gpuE5ELNS1_3repE0EEENS1_47radix_sort_onesweep_sort_config_static_selectorELNS0_4arch9wavefront6targetE1EEEvSG_,"axG",@progbits,_ZN7rocprim17ROCPRIM_400000_NS6detail17trampoline_kernelINS0_14default_configENS1_35radix_sort_onesweep_config_selectorIhlEEZZNS1_29radix_sort_onesweep_iterationIS3_Lb0EPhS7_N6thrust23THRUST_200600_302600_NS10device_ptrIlEESB_jNS0_19identity_decomposerENS1_16block_id_wrapperIjLb1EEEEE10hipError_tT1_PNSt15iterator_traitsISG_E10value_typeET2_T3_PNSH_ISM_E10value_typeET4_T5_PSR_SS_PNS1_23onesweep_lookback_stateEbbT6_jjT7_P12ihipStream_tbENKUlT_T0_SG_SL_E_clIS7_S7_PlSB_EEDaSZ_S10_SG_SL_EUlSZ_E_NS1_11comp_targetILNS1_3genE10ELNS1_11target_archE1201ELNS1_3gpuE5ELNS1_3repE0EEENS1_47radix_sort_onesweep_sort_config_static_selectorELNS0_4arch9wavefront6targetE1EEEvSG_,comdat
	.protected	_ZN7rocprim17ROCPRIM_400000_NS6detail17trampoline_kernelINS0_14default_configENS1_35radix_sort_onesweep_config_selectorIhlEEZZNS1_29radix_sort_onesweep_iterationIS3_Lb0EPhS7_N6thrust23THRUST_200600_302600_NS10device_ptrIlEESB_jNS0_19identity_decomposerENS1_16block_id_wrapperIjLb1EEEEE10hipError_tT1_PNSt15iterator_traitsISG_E10value_typeET2_T3_PNSH_ISM_E10value_typeET4_T5_PSR_SS_PNS1_23onesweep_lookback_stateEbbT6_jjT7_P12ihipStream_tbENKUlT_T0_SG_SL_E_clIS7_S7_PlSB_EEDaSZ_S10_SG_SL_EUlSZ_E_NS1_11comp_targetILNS1_3genE10ELNS1_11target_archE1201ELNS1_3gpuE5ELNS1_3repE0EEENS1_47radix_sort_onesweep_sort_config_static_selectorELNS0_4arch9wavefront6targetE1EEEvSG_ ; -- Begin function _ZN7rocprim17ROCPRIM_400000_NS6detail17trampoline_kernelINS0_14default_configENS1_35radix_sort_onesweep_config_selectorIhlEEZZNS1_29radix_sort_onesweep_iterationIS3_Lb0EPhS7_N6thrust23THRUST_200600_302600_NS10device_ptrIlEESB_jNS0_19identity_decomposerENS1_16block_id_wrapperIjLb1EEEEE10hipError_tT1_PNSt15iterator_traitsISG_E10value_typeET2_T3_PNSH_ISM_E10value_typeET4_T5_PSR_SS_PNS1_23onesweep_lookback_stateEbbT6_jjT7_P12ihipStream_tbENKUlT_T0_SG_SL_E_clIS7_S7_PlSB_EEDaSZ_S10_SG_SL_EUlSZ_E_NS1_11comp_targetILNS1_3genE10ELNS1_11target_archE1201ELNS1_3gpuE5ELNS1_3repE0EEENS1_47radix_sort_onesweep_sort_config_static_selectorELNS0_4arch9wavefront6targetE1EEEvSG_
	.globl	_ZN7rocprim17ROCPRIM_400000_NS6detail17trampoline_kernelINS0_14default_configENS1_35radix_sort_onesweep_config_selectorIhlEEZZNS1_29radix_sort_onesweep_iterationIS3_Lb0EPhS7_N6thrust23THRUST_200600_302600_NS10device_ptrIlEESB_jNS0_19identity_decomposerENS1_16block_id_wrapperIjLb1EEEEE10hipError_tT1_PNSt15iterator_traitsISG_E10value_typeET2_T3_PNSH_ISM_E10value_typeET4_T5_PSR_SS_PNS1_23onesweep_lookback_stateEbbT6_jjT7_P12ihipStream_tbENKUlT_T0_SG_SL_E_clIS7_S7_PlSB_EEDaSZ_S10_SG_SL_EUlSZ_E_NS1_11comp_targetILNS1_3genE10ELNS1_11target_archE1201ELNS1_3gpuE5ELNS1_3repE0EEENS1_47radix_sort_onesweep_sort_config_static_selectorELNS0_4arch9wavefront6targetE1EEEvSG_
	.p2align	8
	.type	_ZN7rocprim17ROCPRIM_400000_NS6detail17trampoline_kernelINS0_14default_configENS1_35radix_sort_onesweep_config_selectorIhlEEZZNS1_29radix_sort_onesweep_iterationIS3_Lb0EPhS7_N6thrust23THRUST_200600_302600_NS10device_ptrIlEESB_jNS0_19identity_decomposerENS1_16block_id_wrapperIjLb1EEEEE10hipError_tT1_PNSt15iterator_traitsISG_E10value_typeET2_T3_PNSH_ISM_E10value_typeET4_T5_PSR_SS_PNS1_23onesweep_lookback_stateEbbT6_jjT7_P12ihipStream_tbENKUlT_T0_SG_SL_E_clIS7_S7_PlSB_EEDaSZ_S10_SG_SL_EUlSZ_E_NS1_11comp_targetILNS1_3genE10ELNS1_11target_archE1201ELNS1_3gpuE5ELNS1_3repE0EEENS1_47radix_sort_onesweep_sort_config_static_selectorELNS0_4arch9wavefront6targetE1EEEvSG_,@function
_ZN7rocprim17ROCPRIM_400000_NS6detail17trampoline_kernelINS0_14default_configENS1_35radix_sort_onesweep_config_selectorIhlEEZZNS1_29radix_sort_onesweep_iterationIS3_Lb0EPhS7_N6thrust23THRUST_200600_302600_NS10device_ptrIlEESB_jNS0_19identity_decomposerENS1_16block_id_wrapperIjLb1EEEEE10hipError_tT1_PNSt15iterator_traitsISG_E10value_typeET2_T3_PNSH_ISM_E10value_typeET4_T5_PSR_SS_PNS1_23onesweep_lookback_stateEbbT6_jjT7_P12ihipStream_tbENKUlT_T0_SG_SL_E_clIS7_S7_PlSB_EEDaSZ_S10_SG_SL_EUlSZ_E_NS1_11comp_targetILNS1_3genE10ELNS1_11target_archE1201ELNS1_3gpuE5ELNS1_3repE0EEENS1_47radix_sort_onesweep_sort_config_static_selectorELNS0_4arch9wavefront6targetE1EEEvSG_: ; @_ZN7rocprim17ROCPRIM_400000_NS6detail17trampoline_kernelINS0_14default_configENS1_35radix_sort_onesweep_config_selectorIhlEEZZNS1_29radix_sort_onesweep_iterationIS3_Lb0EPhS7_N6thrust23THRUST_200600_302600_NS10device_ptrIlEESB_jNS0_19identity_decomposerENS1_16block_id_wrapperIjLb1EEEEE10hipError_tT1_PNSt15iterator_traitsISG_E10value_typeET2_T3_PNSH_ISM_E10value_typeET4_T5_PSR_SS_PNS1_23onesweep_lookback_stateEbbT6_jjT7_P12ihipStream_tbENKUlT_T0_SG_SL_E_clIS7_S7_PlSB_EEDaSZ_S10_SG_SL_EUlSZ_E_NS1_11comp_targetILNS1_3genE10ELNS1_11target_archE1201ELNS1_3gpuE5ELNS1_3repE0EEENS1_47radix_sort_onesweep_sort_config_static_selectorELNS0_4arch9wavefront6targetE1EEEvSG_
; %bb.0:
	.section	.rodata,"a",@progbits
	.p2align	6, 0x0
	.amdhsa_kernel _ZN7rocprim17ROCPRIM_400000_NS6detail17trampoline_kernelINS0_14default_configENS1_35radix_sort_onesweep_config_selectorIhlEEZZNS1_29radix_sort_onesweep_iterationIS3_Lb0EPhS7_N6thrust23THRUST_200600_302600_NS10device_ptrIlEESB_jNS0_19identity_decomposerENS1_16block_id_wrapperIjLb1EEEEE10hipError_tT1_PNSt15iterator_traitsISG_E10value_typeET2_T3_PNSH_ISM_E10value_typeET4_T5_PSR_SS_PNS1_23onesweep_lookback_stateEbbT6_jjT7_P12ihipStream_tbENKUlT_T0_SG_SL_E_clIS7_S7_PlSB_EEDaSZ_S10_SG_SL_EUlSZ_E_NS1_11comp_targetILNS1_3genE10ELNS1_11target_archE1201ELNS1_3gpuE5ELNS1_3repE0EEENS1_47radix_sort_onesweep_sort_config_static_selectorELNS0_4arch9wavefront6targetE1EEEvSG_
		.amdhsa_group_segment_fixed_size 0
		.amdhsa_private_segment_fixed_size 0
		.amdhsa_kernarg_size 88
		.amdhsa_user_sgpr_count 6
		.amdhsa_user_sgpr_private_segment_buffer 1
		.amdhsa_user_sgpr_dispatch_ptr 0
		.amdhsa_user_sgpr_queue_ptr 0
		.amdhsa_user_sgpr_kernarg_segment_ptr 1
		.amdhsa_user_sgpr_dispatch_id 0
		.amdhsa_user_sgpr_flat_scratch_init 0
		.amdhsa_user_sgpr_kernarg_preload_length 0
		.amdhsa_user_sgpr_kernarg_preload_offset 0
		.amdhsa_user_sgpr_private_segment_size 0
		.amdhsa_uses_dynamic_stack 0
		.amdhsa_system_sgpr_private_segment_wavefront_offset 0
		.amdhsa_system_sgpr_workgroup_id_x 1
		.amdhsa_system_sgpr_workgroup_id_y 0
		.amdhsa_system_sgpr_workgroup_id_z 0
		.amdhsa_system_sgpr_workgroup_info 0
		.amdhsa_system_vgpr_workitem_id 0
		.amdhsa_next_free_vgpr 1
		.amdhsa_next_free_sgpr 0
		.amdhsa_accum_offset 4
		.amdhsa_reserve_vcc 0
		.amdhsa_reserve_flat_scratch 0
		.amdhsa_float_round_mode_32 0
		.amdhsa_float_round_mode_16_64 0
		.amdhsa_float_denorm_mode_32 3
		.amdhsa_float_denorm_mode_16_64 3
		.amdhsa_dx10_clamp 1
		.amdhsa_ieee_mode 1
		.amdhsa_fp16_overflow 0
		.amdhsa_tg_split 0
		.amdhsa_exception_fp_ieee_invalid_op 0
		.amdhsa_exception_fp_denorm_src 0
		.amdhsa_exception_fp_ieee_div_zero 0
		.amdhsa_exception_fp_ieee_overflow 0
		.amdhsa_exception_fp_ieee_underflow 0
		.amdhsa_exception_fp_ieee_inexact 0
		.amdhsa_exception_int_div_zero 0
	.end_amdhsa_kernel
	.section	.text._ZN7rocprim17ROCPRIM_400000_NS6detail17trampoline_kernelINS0_14default_configENS1_35radix_sort_onesweep_config_selectorIhlEEZZNS1_29radix_sort_onesweep_iterationIS3_Lb0EPhS7_N6thrust23THRUST_200600_302600_NS10device_ptrIlEESB_jNS0_19identity_decomposerENS1_16block_id_wrapperIjLb1EEEEE10hipError_tT1_PNSt15iterator_traitsISG_E10value_typeET2_T3_PNSH_ISM_E10value_typeET4_T5_PSR_SS_PNS1_23onesweep_lookback_stateEbbT6_jjT7_P12ihipStream_tbENKUlT_T0_SG_SL_E_clIS7_S7_PlSB_EEDaSZ_S10_SG_SL_EUlSZ_E_NS1_11comp_targetILNS1_3genE10ELNS1_11target_archE1201ELNS1_3gpuE5ELNS1_3repE0EEENS1_47radix_sort_onesweep_sort_config_static_selectorELNS0_4arch9wavefront6targetE1EEEvSG_,"axG",@progbits,_ZN7rocprim17ROCPRIM_400000_NS6detail17trampoline_kernelINS0_14default_configENS1_35radix_sort_onesweep_config_selectorIhlEEZZNS1_29radix_sort_onesweep_iterationIS3_Lb0EPhS7_N6thrust23THRUST_200600_302600_NS10device_ptrIlEESB_jNS0_19identity_decomposerENS1_16block_id_wrapperIjLb1EEEEE10hipError_tT1_PNSt15iterator_traitsISG_E10value_typeET2_T3_PNSH_ISM_E10value_typeET4_T5_PSR_SS_PNS1_23onesweep_lookback_stateEbbT6_jjT7_P12ihipStream_tbENKUlT_T0_SG_SL_E_clIS7_S7_PlSB_EEDaSZ_S10_SG_SL_EUlSZ_E_NS1_11comp_targetILNS1_3genE10ELNS1_11target_archE1201ELNS1_3gpuE5ELNS1_3repE0EEENS1_47radix_sort_onesweep_sort_config_static_selectorELNS0_4arch9wavefront6targetE1EEEvSG_,comdat
.Lfunc_end288:
	.size	_ZN7rocprim17ROCPRIM_400000_NS6detail17trampoline_kernelINS0_14default_configENS1_35radix_sort_onesweep_config_selectorIhlEEZZNS1_29radix_sort_onesweep_iterationIS3_Lb0EPhS7_N6thrust23THRUST_200600_302600_NS10device_ptrIlEESB_jNS0_19identity_decomposerENS1_16block_id_wrapperIjLb1EEEEE10hipError_tT1_PNSt15iterator_traitsISG_E10value_typeET2_T3_PNSH_ISM_E10value_typeET4_T5_PSR_SS_PNS1_23onesweep_lookback_stateEbbT6_jjT7_P12ihipStream_tbENKUlT_T0_SG_SL_E_clIS7_S7_PlSB_EEDaSZ_S10_SG_SL_EUlSZ_E_NS1_11comp_targetILNS1_3genE10ELNS1_11target_archE1201ELNS1_3gpuE5ELNS1_3repE0EEENS1_47radix_sort_onesweep_sort_config_static_selectorELNS0_4arch9wavefront6targetE1EEEvSG_, .Lfunc_end288-_ZN7rocprim17ROCPRIM_400000_NS6detail17trampoline_kernelINS0_14default_configENS1_35radix_sort_onesweep_config_selectorIhlEEZZNS1_29radix_sort_onesweep_iterationIS3_Lb0EPhS7_N6thrust23THRUST_200600_302600_NS10device_ptrIlEESB_jNS0_19identity_decomposerENS1_16block_id_wrapperIjLb1EEEEE10hipError_tT1_PNSt15iterator_traitsISG_E10value_typeET2_T3_PNSH_ISM_E10value_typeET4_T5_PSR_SS_PNS1_23onesweep_lookback_stateEbbT6_jjT7_P12ihipStream_tbENKUlT_T0_SG_SL_E_clIS7_S7_PlSB_EEDaSZ_S10_SG_SL_EUlSZ_E_NS1_11comp_targetILNS1_3genE10ELNS1_11target_archE1201ELNS1_3gpuE5ELNS1_3repE0EEENS1_47radix_sort_onesweep_sort_config_static_selectorELNS0_4arch9wavefront6targetE1EEEvSG_
                                        ; -- End function
	.section	.AMDGPU.csdata,"",@progbits
; Kernel info:
; codeLenInByte = 0
; NumSgprs: 4
; NumVgprs: 0
; NumAgprs: 0
; TotalNumVgprs: 0
; ScratchSize: 0
; MemoryBound: 0
; FloatMode: 240
; IeeeMode: 1
; LDSByteSize: 0 bytes/workgroup (compile time only)
; SGPRBlocks: 0
; VGPRBlocks: 0
; NumSGPRsForWavesPerEU: 4
; NumVGPRsForWavesPerEU: 1
; AccumOffset: 4
; Occupancy: 8
; WaveLimiterHint : 0
; COMPUTE_PGM_RSRC2:SCRATCH_EN: 0
; COMPUTE_PGM_RSRC2:USER_SGPR: 6
; COMPUTE_PGM_RSRC2:TRAP_HANDLER: 0
; COMPUTE_PGM_RSRC2:TGID_X_EN: 1
; COMPUTE_PGM_RSRC2:TGID_Y_EN: 0
; COMPUTE_PGM_RSRC2:TGID_Z_EN: 0
; COMPUTE_PGM_RSRC2:TIDIG_COMP_CNT: 0
; COMPUTE_PGM_RSRC3_GFX90A:ACCUM_OFFSET: 0
; COMPUTE_PGM_RSRC3_GFX90A:TG_SPLIT: 0
	.section	.text._ZN7rocprim17ROCPRIM_400000_NS6detail17trampoline_kernelINS0_14default_configENS1_35radix_sort_onesweep_config_selectorIhlEEZZNS1_29radix_sort_onesweep_iterationIS3_Lb0EPhS7_N6thrust23THRUST_200600_302600_NS10device_ptrIlEESB_jNS0_19identity_decomposerENS1_16block_id_wrapperIjLb1EEEEE10hipError_tT1_PNSt15iterator_traitsISG_E10value_typeET2_T3_PNSH_ISM_E10value_typeET4_T5_PSR_SS_PNS1_23onesweep_lookback_stateEbbT6_jjT7_P12ihipStream_tbENKUlT_T0_SG_SL_E_clIS7_S7_PlSB_EEDaSZ_S10_SG_SL_EUlSZ_E_NS1_11comp_targetILNS1_3genE9ELNS1_11target_archE1100ELNS1_3gpuE3ELNS1_3repE0EEENS1_47radix_sort_onesweep_sort_config_static_selectorELNS0_4arch9wavefront6targetE1EEEvSG_,"axG",@progbits,_ZN7rocprim17ROCPRIM_400000_NS6detail17trampoline_kernelINS0_14default_configENS1_35radix_sort_onesweep_config_selectorIhlEEZZNS1_29radix_sort_onesweep_iterationIS3_Lb0EPhS7_N6thrust23THRUST_200600_302600_NS10device_ptrIlEESB_jNS0_19identity_decomposerENS1_16block_id_wrapperIjLb1EEEEE10hipError_tT1_PNSt15iterator_traitsISG_E10value_typeET2_T3_PNSH_ISM_E10value_typeET4_T5_PSR_SS_PNS1_23onesweep_lookback_stateEbbT6_jjT7_P12ihipStream_tbENKUlT_T0_SG_SL_E_clIS7_S7_PlSB_EEDaSZ_S10_SG_SL_EUlSZ_E_NS1_11comp_targetILNS1_3genE9ELNS1_11target_archE1100ELNS1_3gpuE3ELNS1_3repE0EEENS1_47radix_sort_onesweep_sort_config_static_selectorELNS0_4arch9wavefront6targetE1EEEvSG_,comdat
	.protected	_ZN7rocprim17ROCPRIM_400000_NS6detail17trampoline_kernelINS0_14default_configENS1_35radix_sort_onesweep_config_selectorIhlEEZZNS1_29radix_sort_onesweep_iterationIS3_Lb0EPhS7_N6thrust23THRUST_200600_302600_NS10device_ptrIlEESB_jNS0_19identity_decomposerENS1_16block_id_wrapperIjLb1EEEEE10hipError_tT1_PNSt15iterator_traitsISG_E10value_typeET2_T3_PNSH_ISM_E10value_typeET4_T5_PSR_SS_PNS1_23onesweep_lookback_stateEbbT6_jjT7_P12ihipStream_tbENKUlT_T0_SG_SL_E_clIS7_S7_PlSB_EEDaSZ_S10_SG_SL_EUlSZ_E_NS1_11comp_targetILNS1_3genE9ELNS1_11target_archE1100ELNS1_3gpuE3ELNS1_3repE0EEENS1_47radix_sort_onesweep_sort_config_static_selectorELNS0_4arch9wavefront6targetE1EEEvSG_ ; -- Begin function _ZN7rocprim17ROCPRIM_400000_NS6detail17trampoline_kernelINS0_14default_configENS1_35radix_sort_onesweep_config_selectorIhlEEZZNS1_29radix_sort_onesweep_iterationIS3_Lb0EPhS7_N6thrust23THRUST_200600_302600_NS10device_ptrIlEESB_jNS0_19identity_decomposerENS1_16block_id_wrapperIjLb1EEEEE10hipError_tT1_PNSt15iterator_traitsISG_E10value_typeET2_T3_PNSH_ISM_E10value_typeET4_T5_PSR_SS_PNS1_23onesweep_lookback_stateEbbT6_jjT7_P12ihipStream_tbENKUlT_T0_SG_SL_E_clIS7_S7_PlSB_EEDaSZ_S10_SG_SL_EUlSZ_E_NS1_11comp_targetILNS1_3genE9ELNS1_11target_archE1100ELNS1_3gpuE3ELNS1_3repE0EEENS1_47radix_sort_onesweep_sort_config_static_selectorELNS0_4arch9wavefront6targetE1EEEvSG_
	.globl	_ZN7rocprim17ROCPRIM_400000_NS6detail17trampoline_kernelINS0_14default_configENS1_35radix_sort_onesweep_config_selectorIhlEEZZNS1_29radix_sort_onesweep_iterationIS3_Lb0EPhS7_N6thrust23THRUST_200600_302600_NS10device_ptrIlEESB_jNS0_19identity_decomposerENS1_16block_id_wrapperIjLb1EEEEE10hipError_tT1_PNSt15iterator_traitsISG_E10value_typeET2_T3_PNSH_ISM_E10value_typeET4_T5_PSR_SS_PNS1_23onesweep_lookback_stateEbbT6_jjT7_P12ihipStream_tbENKUlT_T0_SG_SL_E_clIS7_S7_PlSB_EEDaSZ_S10_SG_SL_EUlSZ_E_NS1_11comp_targetILNS1_3genE9ELNS1_11target_archE1100ELNS1_3gpuE3ELNS1_3repE0EEENS1_47radix_sort_onesweep_sort_config_static_selectorELNS0_4arch9wavefront6targetE1EEEvSG_
	.p2align	8
	.type	_ZN7rocprim17ROCPRIM_400000_NS6detail17trampoline_kernelINS0_14default_configENS1_35radix_sort_onesweep_config_selectorIhlEEZZNS1_29radix_sort_onesweep_iterationIS3_Lb0EPhS7_N6thrust23THRUST_200600_302600_NS10device_ptrIlEESB_jNS0_19identity_decomposerENS1_16block_id_wrapperIjLb1EEEEE10hipError_tT1_PNSt15iterator_traitsISG_E10value_typeET2_T3_PNSH_ISM_E10value_typeET4_T5_PSR_SS_PNS1_23onesweep_lookback_stateEbbT6_jjT7_P12ihipStream_tbENKUlT_T0_SG_SL_E_clIS7_S7_PlSB_EEDaSZ_S10_SG_SL_EUlSZ_E_NS1_11comp_targetILNS1_3genE9ELNS1_11target_archE1100ELNS1_3gpuE3ELNS1_3repE0EEENS1_47radix_sort_onesweep_sort_config_static_selectorELNS0_4arch9wavefront6targetE1EEEvSG_,@function
_ZN7rocprim17ROCPRIM_400000_NS6detail17trampoline_kernelINS0_14default_configENS1_35radix_sort_onesweep_config_selectorIhlEEZZNS1_29radix_sort_onesweep_iterationIS3_Lb0EPhS7_N6thrust23THRUST_200600_302600_NS10device_ptrIlEESB_jNS0_19identity_decomposerENS1_16block_id_wrapperIjLb1EEEEE10hipError_tT1_PNSt15iterator_traitsISG_E10value_typeET2_T3_PNSH_ISM_E10value_typeET4_T5_PSR_SS_PNS1_23onesweep_lookback_stateEbbT6_jjT7_P12ihipStream_tbENKUlT_T0_SG_SL_E_clIS7_S7_PlSB_EEDaSZ_S10_SG_SL_EUlSZ_E_NS1_11comp_targetILNS1_3genE9ELNS1_11target_archE1100ELNS1_3gpuE3ELNS1_3repE0EEENS1_47radix_sort_onesweep_sort_config_static_selectorELNS0_4arch9wavefront6targetE1EEEvSG_: ; @_ZN7rocprim17ROCPRIM_400000_NS6detail17trampoline_kernelINS0_14default_configENS1_35radix_sort_onesweep_config_selectorIhlEEZZNS1_29radix_sort_onesweep_iterationIS3_Lb0EPhS7_N6thrust23THRUST_200600_302600_NS10device_ptrIlEESB_jNS0_19identity_decomposerENS1_16block_id_wrapperIjLb1EEEEE10hipError_tT1_PNSt15iterator_traitsISG_E10value_typeET2_T3_PNSH_ISM_E10value_typeET4_T5_PSR_SS_PNS1_23onesweep_lookback_stateEbbT6_jjT7_P12ihipStream_tbENKUlT_T0_SG_SL_E_clIS7_S7_PlSB_EEDaSZ_S10_SG_SL_EUlSZ_E_NS1_11comp_targetILNS1_3genE9ELNS1_11target_archE1100ELNS1_3gpuE3ELNS1_3repE0EEENS1_47radix_sort_onesweep_sort_config_static_selectorELNS0_4arch9wavefront6targetE1EEEvSG_
; %bb.0:
	.section	.rodata,"a",@progbits
	.p2align	6, 0x0
	.amdhsa_kernel _ZN7rocprim17ROCPRIM_400000_NS6detail17trampoline_kernelINS0_14default_configENS1_35radix_sort_onesweep_config_selectorIhlEEZZNS1_29radix_sort_onesweep_iterationIS3_Lb0EPhS7_N6thrust23THRUST_200600_302600_NS10device_ptrIlEESB_jNS0_19identity_decomposerENS1_16block_id_wrapperIjLb1EEEEE10hipError_tT1_PNSt15iterator_traitsISG_E10value_typeET2_T3_PNSH_ISM_E10value_typeET4_T5_PSR_SS_PNS1_23onesweep_lookback_stateEbbT6_jjT7_P12ihipStream_tbENKUlT_T0_SG_SL_E_clIS7_S7_PlSB_EEDaSZ_S10_SG_SL_EUlSZ_E_NS1_11comp_targetILNS1_3genE9ELNS1_11target_archE1100ELNS1_3gpuE3ELNS1_3repE0EEENS1_47radix_sort_onesweep_sort_config_static_selectorELNS0_4arch9wavefront6targetE1EEEvSG_
		.amdhsa_group_segment_fixed_size 0
		.amdhsa_private_segment_fixed_size 0
		.amdhsa_kernarg_size 88
		.amdhsa_user_sgpr_count 6
		.amdhsa_user_sgpr_private_segment_buffer 1
		.amdhsa_user_sgpr_dispatch_ptr 0
		.amdhsa_user_sgpr_queue_ptr 0
		.amdhsa_user_sgpr_kernarg_segment_ptr 1
		.amdhsa_user_sgpr_dispatch_id 0
		.amdhsa_user_sgpr_flat_scratch_init 0
		.amdhsa_user_sgpr_kernarg_preload_length 0
		.amdhsa_user_sgpr_kernarg_preload_offset 0
		.amdhsa_user_sgpr_private_segment_size 0
		.amdhsa_uses_dynamic_stack 0
		.amdhsa_system_sgpr_private_segment_wavefront_offset 0
		.amdhsa_system_sgpr_workgroup_id_x 1
		.amdhsa_system_sgpr_workgroup_id_y 0
		.amdhsa_system_sgpr_workgroup_id_z 0
		.amdhsa_system_sgpr_workgroup_info 0
		.amdhsa_system_vgpr_workitem_id 0
		.amdhsa_next_free_vgpr 1
		.amdhsa_next_free_sgpr 0
		.amdhsa_accum_offset 4
		.amdhsa_reserve_vcc 0
		.amdhsa_reserve_flat_scratch 0
		.amdhsa_float_round_mode_32 0
		.amdhsa_float_round_mode_16_64 0
		.amdhsa_float_denorm_mode_32 3
		.amdhsa_float_denorm_mode_16_64 3
		.amdhsa_dx10_clamp 1
		.amdhsa_ieee_mode 1
		.amdhsa_fp16_overflow 0
		.amdhsa_tg_split 0
		.amdhsa_exception_fp_ieee_invalid_op 0
		.amdhsa_exception_fp_denorm_src 0
		.amdhsa_exception_fp_ieee_div_zero 0
		.amdhsa_exception_fp_ieee_overflow 0
		.amdhsa_exception_fp_ieee_underflow 0
		.amdhsa_exception_fp_ieee_inexact 0
		.amdhsa_exception_int_div_zero 0
	.end_amdhsa_kernel
	.section	.text._ZN7rocprim17ROCPRIM_400000_NS6detail17trampoline_kernelINS0_14default_configENS1_35radix_sort_onesweep_config_selectorIhlEEZZNS1_29radix_sort_onesweep_iterationIS3_Lb0EPhS7_N6thrust23THRUST_200600_302600_NS10device_ptrIlEESB_jNS0_19identity_decomposerENS1_16block_id_wrapperIjLb1EEEEE10hipError_tT1_PNSt15iterator_traitsISG_E10value_typeET2_T3_PNSH_ISM_E10value_typeET4_T5_PSR_SS_PNS1_23onesweep_lookback_stateEbbT6_jjT7_P12ihipStream_tbENKUlT_T0_SG_SL_E_clIS7_S7_PlSB_EEDaSZ_S10_SG_SL_EUlSZ_E_NS1_11comp_targetILNS1_3genE9ELNS1_11target_archE1100ELNS1_3gpuE3ELNS1_3repE0EEENS1_47radix_sort_onesweep_sort_config_static_selectorELNS0_4arch9wavefront6targetE1EEEvSG_,"axG",@progbits,_ZN7rocprim17ROCPRIM_400000_NS6detail17trampoline_kernelINS0_14default_configENS1_35radix_sort_onesweep_config_selectorIhlEEZZNS1_29radix_sort_onesweep_iterationIS3_Lb0EPhS7_N6thrust23THRUST_200600_302600_NS10device_ptrIlEESB_jNS0_19identity_decomposerENS1_16block_id_wrapperIjLb1EEEEE10hipError_tT1_PNSt15iterator_traitsISG_E10value_typeET2_T3_PNSH_ISM_E10value_typeET4_T5_PSR_SS_PNS1_23onesweep_lookback_stateEbbT6_jjT7_P12ihipStream_tbENKUlT_T0_SG_SL_E_clIS7_S7_PlSB_EEDaSZ_S10_SG_SL_EUlSZ_E_NS1_11comp_targetILNS1_3genE9ELNS1_11target_archE1100ELNS1_3gpuE3ELNS1_3repE0EEENS1_47radix_sort_onesweep_sort_config_static_selectorELNS0_4arch9wavefront6targetE1EEEvSG_,comdat
.Lfunc_end289:
	.size	_ZN7rocprim17ROCPRIM_400000_NS6detail17trampoline_kernelINS0_14default_configENS1_35radix_sort_onesweep_config_selectorIhlEEZZNS1_29radix_sort_onesweep_iterationIS3_Lb0EPhS7_N6thrust23THRUST_200600_302600_NS10device_ptrIlEESB_jNS0_19identity_decomposerENS1_16block_id_wrapperIjLb1EEEEE10hipError_tT1_PNSt15iterator_traitsISG_E10value_typeET2_T3_PNSH_ISM_E10value_typeET4_T5_PSR_SS_PNS1_23onesweep_lookback_stateEbbT6_jjT7_P12ihipStream_tbENKUlT_T0_SG_SL_E_clIS7_S7_PlSB_EEDaSZ_S10_SG_SL_EUlSZ_E_NS1_11comp_targetILNS1_3genE9ELNS1_11target_archE1100ELNS1_3gpuE3ELNS1_3repE0EEENS1_47radix_sort_onesweep_sort_config_static_selectorELNS0_4arch9wavefront6targetE1EEEvSG_, .Lfunc_end289-_ZN7rocprim17ROCPRIM_400000_NS6detail17trampoline_kernelINS0_14default_configENS1_35radix_sort_onesweep_config_selectorIhlEEZZNS1_29radix_sort_onesweep_iterationIS3_Lb0EPhS7_N6thrust23THRUST_200600_302600_NS10device_ptrIlEESB_jNS0_19identity_decomposerENS1_16block_id_wrapperIjLb1EEEEE10hipError_tT1_PNSt15iterator_traitsISG_E10value_typeET2_T3_PNSH_ISM_E10value_typeET4_T5_PSR_SS_PNS1_23onesweep_lookback_stateEbbT6_jjT7_P12ihipStream_tbENKUlT_T0_SG_SL_E_clIS7_S7_PlSB_EEDaSZ_S10_SG_SL_EUlSZ_E_NS1_11comp_targetILNS1_3genE9ELNS1_11target_archE1100ELNS1_3gpuE3ELNS1_3repE0EEENS1_47radix_sort_onesweep_sort_config_static_selectorELNS0_4arch9wavefront6targetE1EEEvSG_
                                        ; -- End function
	.section	.AMDGPU.csdata,"",@progbits
; Kernel info:
; codeLenInByte = 0
; NumSgprs: 4
; NumVgprs: 0
; NumAgprs: 0
; TotalNumVgprs: 0
; ScratchSize: 0
; MemoryBound: 0
; FloatMode: 240
; IeeeMode: 1
; LDSByteSize: 0 bytes/workgroup (compile time only)
; SGPRBlocks: 0
; VGPRBlocks: 0
; NumSGPRsForWavesPerEU: 4
; NumVGPRsForWavesPerEU: 1
; AccumOffset: 4
; Occupancy: 8
; WaveLimiterHint : 0
; COMPUTE_PGM_RSRC2:SCRATCH_EN: 0
; COMPUTE_PGM_RSRC2:USER_SGPR: 6
; COMPUTE_PGM_RSRC2:TRAP_HANDLER: 0
; COMPUTE_PGM_RSRC2:TGID_X_EN: 1
; COMPUTE_PGM_RSRC2:TGID_Y_EN: 0
; COMPUTE_PGM_RSRC2:TGID_Z_EN: 0
; COMPUTE_PGM_RSRC2:TIDIG_COMP_CNT: 0
; COMPUTE_PGM_RSRC3_GFX90A:ACCUM_OFFSET: 0
; COMPUTE_PGM_RSRC3_GFX90A:TG_SPLIT: 0
	.section	.text._ZN7rocprim17ROCPRIM_400000_NS6detail17trampoline_kernelINS0_14default_configENS1_35radix_sort_onesweep_config_selectorIhlEEZZNS1_29radix_sort_onesweep_iterationIS3_Lb0EPhS7_N6thrust23THRUST_200600_302600_NS10device_ptrIlEESB_jNS0_19identity_decomposerENS1_16block_id_wrapperIjLb1EEEEE10hipError_tT1_PNSt15iterator_traitsISG_E10value_typeET2_T3_PNSH_ISM_E10value_typeET4_T5_PSR_SS_PNS1_23onesweep_lookback_stateEbbT6_jjT7_P12ihipStream_tbENKUlT_T0_SG_SL_E_clIS7_S7_PlSB_EEDaSZ_S10_SG_SL_EUlSZ_E_NS1_11comp_targetILNS1_3genE8ELNS1_11target_archE1030ELNS1_3gpuE2ELNS1_3repE0EEENS1_47radix_sort_onesweep_sort_config_static_selectorELNS0_4arch9wavefront6targetE1EEEvSG_,"axG",@progbits,_ZN7rocprim17ROCPRIM_400000_NS6detail17trampoline_kernelINS0_14default_configENS1_35radix_sort_onesweep_config_selectorIhlEEZZNS1_29radix_sort_onesweep_iterationIS3_Lb0EPhS7_N6thrust23THRUST_200600_302600_NS10device_ptrIlEESB_jNS0_19identity_decomposerENS1_16block_id_wrapperIjLb1EEEEE10hipError_tT1_PNSt15iterator_traitsISG_E10value_typeET2_T3_PNSH_ISM_E10value_typeET4_T5_PSR_SS_PNS1_23onesweep_lookback_stateEbbT6_jjT7_P12ihipStream_tbENKUlT_T0_SG_SL_E_clIS7_S7_PlSB_EEDaSZ_S10_SG_SL_EUlSZ_E_NS1_11comp_targetILNS1_3genE8ELNS1_11target_archE1030ELNS1_3gpuE2ELNS1_3repE0EEENS1_47radix_sort_onesweep_sort_config_static_selectorELNS0_4arch9wavefront6targetE1EEEvSG_,comdat
	.protected	_ZN7rocprim17ROCPRIM_400000_NS6detail17trampoline_kernelINS0_14default_configENS1_35radix_sort_onesweep_config_selectorIhlEEZZNS1_29radix_sort_onesweep_iterationIS3_Lb0EPhS7_N6thrust23THRUST_200600_302600_NS10device_ptrIlEESB_jNS0_19identity_decomposerENS1_16block_id_wrapperIjLb1EEEEE10hipError_tT1_PNSt15iterator_traitsISG_E10value_typeET2_T3_PNSH_ISM_E10value_typeET4_T5_PSR_SS_PNS1_23onesweep_lookback_stateEbbT6_jjT7_P12ihipStream_tbENKUlT_T0_SG_SL_E_clIS7_S7_PlSB_EEDaSZ_S10_SG_SL_EUlSZ_E_NS1_11comp_targetILNS1_3genE8ELNS1_11target_archE1030ELNS1_3gpuE2ELNS1_3repE0EEENS1_47radix_sort_onesweep_sort_config_static_selectorELNS0_4arch9wavefront6targetE1EEEvSG_ ; -- Begin function _ZN7rocprim17ROCPRIM_400000_NS6detail17trampoline_kernelINS0_14default_configENS1_35radix_sort_onesweep_config_selectorIhlEEZZNS1_29radix_sort_onesweep_iterationIS3_Lb0EPhS7_N6thrust23THRUST_200600_302600_NS10device_ptrIlEESB_jNS0_19identity_decomposerENS1_16block_id_wrapperIjLb1EEEEE10hipError_tT1_PNSt15iterator_traitsISG_E10value_typeET2_T3_PNSH_ISM_E10value_typeET4_T5_PSR_SS_PNS1_23onesweep_lookback_stateEbbT6_jjT7_P12ihipStream_tbENKUlT_T0_SG_SL_E_clIS7_S7_PlSB_EEDaSZ_S10_SG_SL_EUlSZ_E_NS1_11comp_targetILNS1_3genE8ELNS1_11target_archE1030ELNS1_3gpuE2ELNS1_3repE0EEENS1_47radix_sort_onesweep_sort_config_static_selectorELNS0_4arch9wavefront6targetE1EEEvSG_
	.globl	_ZN7rocprim17ROCPRIM_400000_NS6detail17trampoline_kernelINS0_14default_configENS1_35radix_sort_onesweep_config_selectorIhlEEZZNS1_29radix_sort_onesweep_iterationIS3_Lb0EPhS7_N6thrust23THRUST_200600_302600_NS10device_ptrIlEESB_jNS0_19identity_decomposerENS1_16block_id_wrapperIjLb1EEEEE10hipError_tT1_PNSt15iterator_traitsISG_E10value_typeET2_T3_PNSH_ISM_E10value_typeET4_T5_PSR_SS_PNS1_23onesweep_lookback_stateEbbT6_jjT7_P12ihipStream_tbENKUlT_T0_SG_SL_E_clIS7_S7_PlSB_EEDaSZ_S10_SG_SL_EUlSZ_E_NS1_11comp_targetILNS1_3genE8ELNS1_11target_archE1030ELNS1_3gpuE2ELNS1_3repE0EEENS1_47radix_sort_onesweep_sort_config_static_selectorELNS0_4arch9wavefront6targetE1EEEvSG_
	.p2align	8
	.type	_ZN7rocprim17ROCPRIM_400000_NS6detail17trampoline_kernelINS0_14default_configENS1_35radix_sort_onesweep_config_selectorIhlEEZZNS1_29radix_sort_onesweep_iterationIS3_Lb0EPhS7_N6thrust23THRUST_200600_302600_NS10device_ptrIlEESB_jNS0_19identity_decomposerENS1_16block_id_wrapperIjLb1EEEEE10hipError_tT1_PNSt15iterator_traitsISG_E10value_typeET2_T3_PNSH_ISM_E10value_typeET4_T5_PSR_SS_PNS1_23onesweep_lookback_stateEbbT6_jjT7_P12ihipStream_tbENKUlT_T0_SG_SL_E_clIS7_S7_PlSB_EEDaSZ_S10_SG_SL_EUlSZ_E_NS1_11comp_targetILNS1_3genE8ELNS1_11target_archE1030ELNS1_3gpuE2ELNS1_3repE0EEENS1_47radix_sort_onesweep_sort_config_static_selectorELNS0_4arch9wavefront6targetE1EEEvSG_,@function
_ZN7rocprim17ROCPRIM_400000_NS6detail17trampoline_kernelINS0_14default_configENS1_35radix_sort_onesweep_config_selectorIhlEEZZNS1_29radix_sort_onesweep_iterationIS3_Lb0EPhS7_N6thrust23THRUST_200600_302600_NS10device_ptrIlEESB_jNS0_19identity_decomposerENS1_16block_id_wrapperIjLb1EEEEE10hipError_tT1_PNSt15iterator_traitsISG_E10value_typeET2_T3_PNSH_ISM_E10value_typeET4_T5_PSR_SS_PNS1_23onesweep_lookback_stateEbbT6_jjT7_P12ihipStream_tbENKUlT_T0_SG_SL_E_clIS7_S7_PlSB_EEDaSZ_S10_SG_SL_EUlSZ_E_NS1_11comp_targetILNS1_3genE8ELNS1_11target_archE1030ELNS1_3gpuE2ELNS1_3repE0EEENS1_47radix_sort_onesweep_sort_config_static_selectorELNS0_4arch9wavefront6targetE1EEEvSG_: ; @_ZN7rocprim17ROCPRIM_400000_NS6detail17trampoline_kernelINS0_14default_configENS1_35radix_sort_onesweep_config_selectorIhlEEZZNS1_29radix_sort_onesweep_iterationIS3_Lb0EPhS7_N6thrust23THRUST_200600_302600_NS10device_ptrIlEESB_jNS0_19identity_decomposerENS1_16block_id_wrapperIjLb1EEEEE10hipError_tT1_PNSt15iterator_traitsISG_E10value_typeET2_T3_PNSH_ISM_E10value_typeET4_T5_PSR_SS_PNS1_23onesweep_lookback_stateEbbT6_jjT7_P12ihipStream_tbENKUlT_T0_SG_SL_E_clIS7_S7_PlSB_EEDaSZ_S10_SG_SL_EUlSZ_E_NS1_11comp_targetILNS1_3genE8ELNS1_11target_archE1030ELNS1_3gpuE2ELNS1_3repE0EEENS1_47radix_sort_onesweep_sort_config_static_selectorELNS0_4arch9wavefront6targetE1EEEvSG_
; %bb.0:
	.section	.rodata,"a",@progbits
	.p2align	6, 0x0
	.amdhsa_kernel _ZN7rocprim17ROCPRIM_400000_NS6detail17trampoline_kernelINS0_14default_configENS1_35radix_sort_onesweep_config_selectorIhlEEZZNS1_29radix_sort_onesweep_iterationIS3_Lb0EPhS7_N6thrust23THRUST_200600_302600_NS10device_ptrIlEESB_jNS0_19identity_decomposerENS1_16block_id_wrapperIjLb1EEEEE10hipError_tT1_PNSt15iterator_traitsISG_E10value_typeET2_T3_PNSH_ISM_E10value_typeET4_T5_PSR_SS_PNS1_23onesweep_lookback_stateEbbT6_jjT7_P12ihipStream_tbENKUlT_T0_SG_SL_E_clIS7_S7_PlSB_EEDaSZ_S10_SG_SL_EUlSZ_E_NS1_11comp_targetILNS1_3genE8ELNS1_11target_archE1030ELNS1_3gpuE2ELNS1_3repE0EEENS1_47radix_sort_onesweep_sort_config_static_selectorELNS0_4arch9wavefront6targetE1EEEvSG_
		.amdhsa_group_segment_fixed_size 0
		.amdhsa_private_segment_fixed_size 0
		.amdhsa_kernarg_size 88
		.amdhsa_user_sgpr_count 6
		.amdhsa_user_sgpr_private_segment_buffer 1
		.amdhsa_user_sgpr_dispatch_ptr 0
		.amdhsa_user_sgpr_queue_ptr 0
		.amdhsa_user_sgpr_kernarg_segment_ptr 1
		.amdhsa_user_sgpr_dispatch_id 0
		.amdhsa_user_sgpr_flat_scratch_init 0
		.amdhsa_user_sgpr_kernarg_preload_length 0
		.amdhsa_user_sgpr_kernarg_preload_offset 0
		.amdhsa_user_sgpr_private_segment_size 0
		.amdhsa_uses_dynamic_stack 0
		.amdhsa_system_sgpr_private_segment_wavefront_offset 0
		.amdhsa_system_sgpr_workgroup_id_x 1
		.amdhsa_system_sgpr_workgroup_id_y 0
		.amdhsa_system_sgpr_workgroup_id_z 0
		.amdhsa_system_sgpr_workgroup_info 0
		.amdhsa_system_vgpr_workitem_id 0
		.amdhsa_next_free_vgpr 1
		.amdhsa_next_free_sgpr 0
		.amdhsa_accum_offset 4
		.amdhsa_reserve_vcc 0
		.amdhsa_reserve_flat_scratch 0
		.amdhsa_float_round_mode_32 0
		.amdhsa_float_round_mode_16_64 0
		.amdhsa_float_denorm_mode_32 3
		.amdhsa_float_denorm_mode_16_64 3
		.amdhsa_dx10_clamp 1
		.amdhsa_ieee_mode 1
		.amdhsa_fp16_overflow 0
		.amdhsa_tg_split 0
		.amdhsa_exception_fp_ieee_invalid_op 0
		.amdhsa_exception_fp_denorm_src 0
		.amdhsa_exception_fp_ieee_div_zero 0
		.amdhsa_exception_fp_ieee_overflow 0
		.amdhsa_exception_fp_ieee_underflow 0
		.amdhsa_exception_fp_ieee_inexact 0
		.amdhsa_exception_int_div_zero 0
	.end_amdhsa_kernel
	.section	.text._ZN7rocprim17ROCPRIM_400000_NS6detail17trampoline_kernelINS0_14default_configENS1_35radix_sort_onesweep_config_selectorIhlEEZZNS1_29radix_sort_onesweep_iterationIS3_Lb0EPhS7_N6thrust23THRUST_200600_302600_NS10device_ptrIlEESB_jNS0_19identity_decomposerENS1_16block_id_wrapperIjLb1EEEEE10hipError_tT1_PNSt15iterator_traitsISG_E10value_typeET2_T3_PNSH_ISM_E10value_typeET4_T5_PSR_SS_PNS1_23onesweep_lookback_stateEbbT6_jjT7_P12ihipStream_tbENKUlT_T0_SG_SL_E_clIS7_S7_PlSB_EEDaSZ_S10_SG_SL_EUlSZ_E_NS1_11comp_targetILNS1_3genE8ELNS1_11target_archE1030ELNS1_3gpuE2ELNS1_3repE0EEENS1_47radix_sort_onesweep_sort_config_static_selectorELNS0_4arch9wavefront6targetE1EEEvSG_,"axG",@progbits,_ZN7rocprim17ROCPRIM_400000_NS6detail17trampoline_kernelINS0_14default_configENS1_35radix_sort_onesweep_config_selectorIhlEEZZNS1_29radix_sort_onesweep_iterationIS3_Lb0EPhS7_N6thrust23THRUST_200600_302600_NS10device_ptrIlEESB_jNS0_19identity_decomposerENS1_16block_id_wrapperIjLb1EEEEE10hipError_tT1_PNSt15iterator_traitsISG_E10value_typeET2_T3_PNSH_ISM_E10value_typeET4_T5_PSR_SS_PNS1_23onesweep_lookback_stateEbbT6_jjT7_P12ihipStream_tbENKUlT_T0_SG_SL_E_clIS7_S7_PlSB_EEDaSZ_S10_SG_SL_EUlSZ_E_NS1_11comp_targetILNS1_3genE8ELNS1_11target_archE1030ELNS1_3gpuE2ELNS1_3repE0EEENS1_47radix_sort_onesweep_sort_config_static_selectorELNS0_4arch9wavefront6targetE1EEEvSG_,comdat
.Lfunc_end290:
	.size	_ZN7rocprim17ROCPRIM_400000_NS6detail17trampoline_kernelINS0_14default_configENS1_35radix_sort_onesweep_config_selectorIhlEEZZNS1_29radix_sort_onesweep_iterationIS3_Lb0EPhS7_N6thrust23THRUST_200600_302600_NS10device_ptrIlEESB_jNS0_19identity_decomposerENS1_16block_id_wrapperIjLb1EEEEE10hipError_tT1_PNSt15iterator_traitsISG_E10value_typeET2_T3_PNSH_ISM_E10value_typeET4_T5_PSR_SS_PNS1_23onesweep_lookback_stateEbbT6_jjT7_P12ihipStream_tbENKUlT_T0_SG_SL_E_clIS7_S7_PlSB_EEDaSZ_S10_SG_SL_EUlSZ_E_NS1_11comp_targetILNS1_3genE8ELNS1_11target_archE1030ELNS1_3gpuE2ELNS1_3repE0EEENS1_47radix_sort_onesweep_sort_config_static_selectorELNS0_4arch9wavefront6targetE1EEEvSG_, .Lfunc_end290-_ZN7rocprim17ROCPRIM_400000_NS6detail17trampoline_kernelINS0_14default_configENS1_35radix_sort_onesweep_config_selectorIhlEEZZNS1_29radix_sort_onesweep_iterationIS3_Lb0EPhS7_N6thrust23THRUST_200600_302600_NS10device_ptrIlEESB_jNS0_19identity_decomposerENS1_16block_id_wrapperIjLb1EEEEE10hipError_tT1_PNSt15iterator_traitsISG_E10value_typeET2_T3_PNSH_ISM_E10value_typeET4_T5_PSR_SS_PNS1_23onesweep_lookback_stateEbbT6_jjT7_P12ihipStream_tbENKUlT_T0_SG_SL_E_clIS7_S7_PlSB_EEDaSZ_S10_SG_SL_EUlSZ_E_NS1_11comp_targetILNS1_3genE8ELNS1_11target_archE1030ELNS1_3gpuE2ELNS1_3repE0EEENS1_47radix_sort_onesweep_sort_config_static_selectorELNS0_4arch9wavefront6targetE1EEEvSG_
                                        ; -- End function
	.section	.AMDGPU.csdata,"",@progbits
; Kernel info:
; codeLenInByte = 0
; NumSgprs: 4
; NumVgprs: 0
; NumAgprs: 0
; TotalNumVgprs: 0
; ScratchSize: 0
; MemoryBound: 0
; FloatMode: 240
; IeeeMode: 1
; LDSByteSize: 0 bytes/workgroup (compile time only)
; SGPRBlocks: 0
; VGPRBlocks: 0
; NumSGPRsForWavesPerEU: 4
; NumVGPRsForWavesPerEU: 1
; AccumOffset: 4
; Occupancy: 8
; WaveLimiterHint : 0
; COMPUTE_PGM_RSRC2:SCRATCH_EN: 0
; COMPUTE_PGM_RSRC2:USER_SGPR: 6
; COMPUTE_PGM_RSRC2:TRAP_HANDLER: 0
; COMPUTE_PGM_RSRC2:TGID_X_EN: 1
; COMPUTE_PGM_RSRC2:TGID_Y_EN: 0
; COMPUTE_PGM_RSRC2:TGID_Z_EN: 0
; COMPUTE_PGM_RSRC2:TIDIG_COMP_CNT: 0
; COMPUTE_PGM_RSRC3_GFX90A:ACCUM_OFFSET: 0
; COMPUTE_PGM_RSRC3_GFX90A:TG_SPLIT: 0
	.section	.text._ZN7rocprim17ROCPRIM_400000_NS6detail17trampoline_kernelINS0_14default_configENS1_35radix_sort_onesweep_config_selectorIhlEEZZNS1_29radix_sort_onesweep_iterationIS3_Lb0EPhS7_N6thrust23THRUST_200600_302600_NS10device_ptrIlEESB_jNS0_19identity_decomposerENS1_16block_id_wrapperIjLb0EEEEE10hipError_tT1_PNSt15iterator_traitsISG_E10value_typeET2_T3_PNSH_ISM_E10value_typeET4_T5_PSR_SS_PNS1_23onesweep_lookback_stateEbbT6_jjT7_P12ihipStream_tbENKUlT_T0_SG_SL_E_clIS7_S7_SB_SB_EEDaSZ_S10_SG_SL_EUlSZ_E_NS1_11comp_targetILNS1_3genE0ELNS1_11target_archE4294967295ELNS1_3gpuE0ELNS1_3repE0EEENS1_47radix_sort_onesweep_sort_config_static_selectorELNS0_4arch9wavefront6targetE1EEEvSG_,"axG",@progbits,_ZN7rocprim17ROCPRIM_400000_NS6detail17trampoline_kernelINS0_14default_configENS1_35radix_sort_onesweep_config_selectorIhlEEZZNS1_29radix_sort_onesweep_iterationIS3_Lb0EPhS7_N6thrust23THRUST_200600_302600_NS10device_ptrIlEESB_jNS0_19identity_decomposerENS1_16block_id_wrapperIjLb0EEEEE10hipError_tT1_PNSt15iterator_traitsISG_E10value_typeET2_T3_PNSH_ISM_E10value_typeET4_T5_PSR_SS_PNS1_23onesweep_lookback_stateEbbT6_jjT7_P12ihipStream_tbENKUlT_T0_SG_SL_E_clIS7_S7_SB_SB_EEDaSZ_S10_SG_SL_EUlSZ_E_NS1_11comp_targetILNS1_3genE0ELNS1_11target_archE4294967295ELNS1_3gpuE0ELNS1_3repE0EEENS1_47radix_sort_onesweep_sort_config_static_selectorELNS0_4arch9wavefront6targetE1EEEvSG_,comdat
	.protected	_ZN7rocprim17ROCPRIM_400000_NS6detail17trampoline_kernelINS0_14default_configENS1_35radix_sort_onesweep_config_selectorIhlEEZZNS1_29radix_sort_onesweep_iterationIS3_Lb0EPhS7_N6thrust23THRUST_200600_302600_NS10device_ptrIlEESB_jNS0_19identity_decomposerENS1_16block_id_wrapperIjLb0EEEEE10hipError_tT1_PNSt15iterator_traitsISG_E10value_typeET2_T3_PNSH_ISM_E10value_typeET4_T5_PSR_SS_PNS1_23onesweep_lookback_stateEbbT6_jjT7_P12ihipStream_tbENKUlT_T0_SG_SL_E_clIS7_S7_SB_SB_EEDaSZ_S10_SG_SL_EUlSZ_E_NS1_11comp_targetILNS1_3genE0ELNS1_11target_archE4294967295ELNS1_3gpuE0ELNS1_3repE0EEENS1_47radix_sort_onesweep_sort_config_static_selectorELNS0_4arch9wavefront6targetE1EEEvSG_ ; -- Begin function _ZN7rocprim17ROCPRIM_400000_NS6detail17trampoline_kernelINS0_14default_configENS1_35radix_sort_onesweep_config_selectorIhlEEZZNS1_29radix_sort_onesweep_iterationIS3_Lb0EPhS7_N6thrust23THRUST_200600_302600_NS10device_ptrIlEESB_jNS0_19identity_decomposerENS1_16block_id_wrapperIjLb0EEEEE10hipError_tT1_PNSt15iterator_traitsISG_E10value_typeET2_T3_PNSH_ISM_E10value_typeET4_T5_PSR_SS_PNS1_23onesweep_lookback_stateEbbT6_jjT7_P12ihipStream_tbENKUlT_T0_SG_SL_E_clIS7_S7_SB_SB_EEDaSZ_S10_SG_SL_EUlSZ_E_NS1_11comp_targetILNS1_3genE0ELNS1_11target_archE4294967295ELNS1_3gpuE0ELNS1_3repE0EEENS1_47radix_sort_onesweep_sort_config_static_selectorELNS0_4arch9wavefront6targetE1EEEvSG_
	.globl	_ZN7rocprim17ROCPRIM_400000_NS6detail17trampoline_kernelINS0_14default_configENS1_35radix_sort_onesweep_config_selectorIhlEEZZNS1_29radix_sort_onesweep_iterationIS3_Lb0EPhS7_N6thrust23THRUST_200600_302600_NS10device_ptrIlEESB_jNS0_19identity_decomposerENS1_16block_id_wrapperIjLb0EEEEE10hipError_tT1_PNSt15iterator_traitsISG_E10value_typeET2_T3_PNSH_ISM_E10value_typeET4_T5_PSR_SS_PNS1_23onesweep_lookback_stateEbbT6_jjT7_P12ihipStream_tbENKUlT_T0_SG_SL_E_clIS7_S7_SB_SB_EEDaSZ_S10_SG_SL_EUlSZ_E_NS1_11comp_targetILNS1_3genE0ELNS1_11target_archE4294967295ELNS1_3gpuE0ELNS1_3repE0EEENS1_47radix_sort_onesweep_sort_config_static_selectorELNS0_4arch9wavefront6targetE1EEEvSG_
	.p2align	8
	.type	_ZN7rocprim17ROCPRIM_400000_NS6detail17trampoline_kernelINS0_14default_configENS1_35radix_sort_onesweep_config_selectorIhlEEZZNS1_29radix_sort_onesweep_iterationIS3_Lb0EPhS7_N6thrust23THRUST_200600_302600_NS10device_ptrIlEESB_jNS0_19identity_decomposerENS1_16block_id_wrapperIjLb0EEEEE10hipError_tT1_PNSt15iterator_traitsISG_E10value_typeET2_T3_PNSH_ISM_E10value_typeET4_T5_PSR_SS_PNS1_23onesweep_lookback_stateEbbT6_jjT7_P12ihipStream_tbENKUlT_T0_SG_SL_E_clIS7_S7_SB_SB_EEDaSZ_S10_SG_SL_EUlSZ_E_NS1_11comp_targetILNS1_3genE0ELNS1_11target_archE4294967295ELNS1_3gpuE0ELNS1_3repE0EEENS1_47radix_sort_onesweep_sort_config_static_selectorELNS0_4arch9wavefront6targetE1EEEvSG_,@function
_ZN7rocprim17ROCPRIM_400000_NS6detail17trampoline_kernelINS0_14default_configENS1_35radix_sort_onesweep_config_selectorIhlEEZZNS1_29radix_sort_onesweep_iterationIS3_Lb0EPhS7_N6thrust23THRUST_200600_302600_NS10device_ptrIlEESB_jNS0_19identity_decomposerENS1_16block_id_wrapperIjLb0EEEEE10hipError_tT1_PNSt15iterator_traitsISG_E10value_typeET2_T3_PNSH_ISM_E10value_typeET4_T5_PSR_SS_PNS1_23onesweep_lookback_stateEbbT6_jjT7_P12ihipStream_tbENKUlT_T0_SG_SL_E_clIS7_S7_SB_SB_EEDaSZ_S10_SG_SL_EUlSZ_E_NS1_11comp_targetILNS1_3genE0ELNS1_11target_archE4294967295ELNS1_3gpuE0ELNS1_3repE0EEENS1_47radix_sort_onesweep_sort_config_static_selectorELNS0_4arch9wavefront6targetE1EEEvSG_: ; @_ZN7rocprim17ROCPRIM_400000_NS6detail17trampoline_kernelINS0_14default_configENS1_35radix_sort_onesweep_config_selectorIhlEEZZNS1_29radix_sort_onesweep_iterationIS3_Lb0EPhS7_N6thrust23THRUST_200600_302600_NS10device_ptrIlEESB_jNS0_19identity_decomposerENS1_16block_id_wrapperIjLb0EEEEE10hipError_tT1_PNSt15iterator_traitsISG_E10value_typeET2_T3_PNSH_ISM_E10value_typeET4_T5_PSR_SS_PNS1_23onesweep_lookback_stateEbbT6_jjT7_P12ihipStream_tbENKUlT_T0_SG_SL_E_clIS7_S7_SB_SB_EEDaSZ_S10_SG_SL_EUlSZ_E_NS1_11comp_targetILNS1_3genE0ELNS1_11target_archE4294967295ELNS1_3gpuE0ELNS1_3repE0EEENS1_47radix_sort_onesweep_sort_config_static_selectorELNS0_4arch9wavefront6targetE1EEEvSG_
; %bb.0:
	.section	.rodata,"a",@progbits
	.p2align	6, 0x0
	.amdhsa_kernel _ZN7rocprim17ROCPRIM_400000_NS6detail17trampoline_kernelINS0_14default_configENS1_35radix_sort_onesweep_config_selectorIhlEEZZNS1_29radix_sort_onesweep_iterationIS3_Lb0EPhS7_N6thrust23THRUST_200600_302600_NS10device_ptrIlEESB_jNS0_19identity_decomposerENS1_16block_id_wrapperIjLb0EEEEE10hipError_tT1_PNSt15iterator_traitsISG_E10value_typeET2_T3_PNSH_ISM_E10value_typeET4_T5_PSR_SS_PNS1_23onesweep_lookback_stateEbbT6_jjT7_P12ihipStream_tbENKUlT_T0_SG_SL_E_clIS7_S7_SB_SB_EEDaSZ_S10_SG_SL_EUlSZ_E_NS1_11comp_targetILNS1_3genE0ELNS1_11target_archE4294967295ELNS1_3gpuE0ELNS1_3repE0EEENS1_47radix_sort_onesweep_sort_config_static_selectorELNS0_4arch9wavefront6targetE1EEEvSG_
		.amdhsa_group_segment_fixed_size 0
		.amdhsa_private_segment_fixed_size 0
		.amdhsa_kernarg_size 88
		.amdhsa_user_sgpr_count 6
		.amdhsa_user_sgpr_private_segment_buffer 1
		.amdhsa_user_sgpr_dispatch_ptr 0
		.amdhsa_user_sgpr_queue_ptr 0
		.amdhsa_user_sgpr_kernarg_segment_ptr 1
		.amdhsa_user_sgpr_dispatch_id 0
		.amdhsa_user_sgpr_flat_scratch_init 0
		.amdhsa_user_sgpr_kernarg_preload_length 0
		.amdhsa_user_sgpr_kernarg_preload_offset 0
		.amdhsa_user_sgpr_private_segment_size 0
		.amdhsa_uses_dynamic_stack 0
		.amdhsa_system_sgpr_private_segment_wavefront_offset 0
		.amdhsa_system_sgpr_workgroup_id_x 1
		.amdhsa_system_sgpr_workgroup_id_y 0
		.amdhsa_system_sgpr_workgroup_id_z 0
		.amdhsa_system_sgpr_workgroup_info 0
		.amdhsa_system_vgpr_workitem_id 0
		.amdhsa_next_free_vgpr 1
		.amdhsa_next_free_sgpr 0
		.amdhsa_accum_offset 4
		.amdhsa_reserve_vcc 0
		.amdhsa_reserve_flat_scratch 0
		.amdhsa_float_round_mode_32 0
		.amdhsa_float_round_mode_16_64 0
		.amdhsa_float_denorm_mode_32 3
		.amdhsa_float_denorm_mode_16_64 3
		.amdhsa_dx10_clamp 1
		.amdhsa_ieee_mode 1
		.amdhsa_fp16_overflow 0
		.amdhsa_tg_split 0
		.amdhsa_exception_fp_ieee_invalid_op 0
		.amdhsa_exception_fp_denorm_src 0
		.amdhsa_exception_fp_ieee_div_zero 0
		.amdhsa_exception_fp_ieee_overflow 0
		.amdhsa_exception_fp_ieee_underflow 0
		.amdhsa_exception_fp_ieee_inexact 0
		.amdhsa_exception_int_div_zero 0
	.end_amdhsa_kernel
	.section	.text._ZN7rocprim17ROCPRIM_400000_NS6detail17trampoline_kernelINS0_14default_configENS1_35radix_sort_onesweep_config_selectorIhlEEZZNS1_29radix_sort_onesweep_iterationIS3_Lb0EPhS7_N6thrust23THRUST_200600_302600_NS10device_ptrIlEESB_jNS0_19identity_decomposerENS1_16block_id_wrapperIjLb0EEEEE10hipError_tT1_PNSt15iterator_traitsISG_E10value_typeET2_T3_PNSH_ISM_E10value_typeET4_T5_PSR_SS_PNS1_23onesweep_lookback_stateEbbT6_jjT7_P12ihipStream_tbENKUlT_T0_SG_SL_E_clIS7_S7_SB_SB_EEDaSZ_S10_SG_SL_EUlSZ_E_NS1_11comp_targetILNS1_3genE0ELNS1_11target_archE4294967295ELNS1_3gpuE0ELNS1_3repE0EEENS1_47radix_sort_onesweep_sort_config_static_selectorELNS0_4arch9wavefront6targetE1EEEvSG_,"axG",@progbits,_ZN7rocprim17ROCPRIM_400000_NS6detail17trampoline_kernelINS0_14default_configENS1_35radix_sort_onesweep_config_selectorIhlEEZZNS1_29radix_sort_onesweep_iterationIS3_Lb0EPhS7_N6thrust23THRUST_200600_302600_NS10device_ptrIlEESB_jNS0_19identity_decomposerENS1_16block_id_wrapperIjLb0EEEEE10hipError_tT1_PNSt15iterator_traitsISG_E10value_typeET2_T3_PNSH_ISM_E10value_typeET4_T5_PSR_SS_PNS1_23onesweep_lookback_stateEbbT6_jjT7_P12ihipStream_tbENKUlT_T0_SG_SL_E_clIS7_S7_SB_SB_EEDaSZ_S10_SG_SL_EUlSZ_E_NS1_11comp_targetILNS1_3genE0ELNS1_11target_archE4294967295ELNS1_3gpuE0ELNS1_3repE0EEENS1_47radix_sort_onesweep_sort_config_static_selectorELNS0_4arch9wavefront6targetE1EEEvSG_,comdat
.Lfunc_end291:
	.size	_ZN7rocprim17ROCPRIM_400000_NS6detail17trampoline_kernelINS0_14default_configENS1_35radix_sort_onesweep_config_selectorIhlEEZZNS1_29radix_sort_onesweep_iterationIS3_Lb0EPhS7_N6thrust23THRUST_200600_302600_NS10device_ptrIlEESB_jNS0_19identity_decomposerENS1_16block_id_wrapperIjLb0EEEEE10hipError_tT1_PNSt15iterator_traitsISG_E10value_typeET2_T3_PNSH_ISM_E10value_typeET4_T5_PSR_SS_PNS1_23onesweep_lookback_stateEbbT6_jjT7_P12ihipStream_tbENKUlT_T0_SG_SL_E_clIS7_S7_SB_SB_EEDaSZ_S10_SG_SL_EUlSZ_E_NS1_11comp_targetILNS1_3genE0ELNS1_11target_archE4294967295ELNS1_3gpuE0ELNS1_3repE0EEENS1_47radix_sort_onesweep_sort_config_static_selectorELNS0_4arch9wavefront6targetE1EEEvSG_, .Lfunc_end291-_ZN7rocprim17ROCPRIM_400000_NS6detail17trampoline_kernelINS0_14default_configENS1_35radix_sort_onesweep_config_selectorIhlEEZZNS1_29radix_sort_onesweep_iterationIS3_Lb0EPhS7_N6thrust23THRUST_200600_302600_NS10device_ptrIlEESB_jNS0_19identity_decomposerENS1_16block_id_wrapperIjLb0EEEEE10hipError_tT1_PNSt15iterator_traitsISG_E10value_typeET2_T3_PNSH_ISM_E10value_typeET4_T5_PSR_SS_PNS1_23onesweep_lookback_stateEbbT6_jjT7_P12ihipStream_tbENKUlT_T0_SG_SL_E_clIS7_S7_SB_SB_EEDaSZ_S10_SG_SL_EUlSZ_E_NS1_11comp_targetILNS1_3genE0ELNS1_11target_archE4294967295ELNS1_3gpuE0ELNS1_3repE0EEENS1_47radix_sort_onesweep_sort_config_static_selectorELNS0_4arch9wavefront6targetE1EEEvSG_
                                        ; -- End function
	.section	.AMDGPU.csdata,"",@progbits
; Kernel info:
; codeLenInByte = 0
; NumSgprs: 4
; NumVgprs: 0
; NumAgprs: 0
; TotalNumVgprs: 0
; ScratchSize: 0
; MemoryBound: 0
; FloatMode: 240
; IeeeMode: 1
; LDSByteSize: 0 bytes/workgroup (compile time only)
; SGPRBlocks: 0
; VGPRBlocks: 0
; NumSGPRsForWavesPerEU: 4
; NumVGPRsForWavesPerEU: 1
; AccumOffset: 4
; Occupancy: 8
; WaveLimiterHint : 0
; COMPUTE_PGM_RSRC2:SCRATCH_EN: 0
; COMPUTE_PGM_RSRC2:USER_SGPR: 6
; COMPUTE_PGM_RSRC2:TRAP_HANDLER: 0
; COMPUTE_PGM_RSRC2:TGID_X_EN: 1
; COMPUTE_PGM_RSRC2:TGID_Y_EN: 0
; COMPUTE_PGM_RSRC2:TGID_Z_EN: 0
; COMPUTE_PGM_RSRC2:TIDIG_COMP_CNT: 0
; COMPUTE_PGM_RSRC3_GFX90A:ACCUM_OFFSET: 0
; COMPUTE_PGM_RSRC3_GFX90A:TG_SPLIT: 0
	.section	.text._ZN7rocprim17ROCPRIM_400000_NS6detail17trampoline_kernelINS0_14default_configENS1_35radix_sort_onesweep_config_selectorIhlEEZZNS1_29radix_sort_onesweep_iterationIS3_Lb0EPhS7_N6thrust23THRUST_200600_302600_NS10device_ptrIlEESB_jNS0_19identity_decomposerENS1_16block_id_wrapperIjLb0EEEEE10hipError_tT1_PNSt15iterator_traitsISG_E10value_typeET2_T3_PNSH_ISM_E10value_typeET4_T5_PSR_SS_PNS1_23onesweep_lookback_stateEbbT6_jjT7_P12ihipStream_tbENKUlT_T0_SG_SL_E_clIS7_S7_SB_SB_EEDaSZ_S10_SG_SL_EUlSZ_E_NS1_11comp_targetILNS1_3genE6ELNS1_11target_archE950ELNS1_3gpuE13ELNS1_3repE0EEENS1_47radix_sort_onesweep_sort_config_static_selectorELNS0_4arch9wavefront6targetE1EEEvSG_,"axG",@progbits,_ZN7rocprim17ROCPRIM_400000_NS6detail17trampoline_kernelINS0_14default_configENS1_35radix_sort_onesweep_config_selectorIhlEEZZNS1_29radix_sort_onesweep_iterationIS3_Lb0EPhS7_N6thrust23THRUST_200600_302600_NS10device_ptrIlEESB_jNS0_19identity_decomposerENS1_16block_id_wrapperIjLb0EEEEE10hipError_tT1_PNSt15iterator_traitsISG_E10value_typeET2_T3_PNSH_ISM_E10value_typeET4_T5_PSR_SS_PNS1_23onesweep_lookback_stateEbbT6_jjT7_P12ihipStream_tbENKUlT_T0_SG_SL_E_clIS7_S7_SB_SB_EEDaSZ_S10_SG_SL_EUlSZ_E_NS1_11comp_targetILNS1_3genE6ELNS1_11target_archE950ELNS1_3gpuE13ELNS1_3repE0EEENS1_47radix_sort_onesweep_sort_config_static_selectorELNS0_4arch9wavefront6targetE1EEEvSG_,comdat
	.protected	_ZN7rocprim17ROCPRIM_400000_NS6detail17trampoline_kernelINS0_14default_configENS1_35radix_sort_onesweep_config_selectorIhlEEZZNS1_29radix_sort_onesweep_iterationIS3_Lb0EPhS7_N6thrust23THRUST_200600_302600_NS10device_ptrIlEESB_jNS0_19identity_decomposerENS1_16block_id_wrapperIjLb0EEEEE10hipError_tT1_PNSt15iterator_traitsISG_E10value_typeET2_T3_PNSH_ISM_E10value_typeET4_T5_PSR_SS_PNS1_23onesweep_lookback_stateEbbT6_jjT7_P12ihipStream_tbENKUlT_T0_SG_SL_E_clIS7_S7_SB_SB_EEDaSZ_S10_SG_SL_EUlSZ_E_NS1_11comp_targetILNS1_3genE6ELNS1_11target_archE950ELNS1_3gpuE13ELNS1_3repE0EEENS1_47radix_sort_onesweep_sort_config_static_selectorELNS0_4arch9wavefront6targetE1EEEvSG_ ; -- Begin function _ZN7rocprim17ROCPRIM_400000_NS6detail17trampoline_kernelINS0_14default_configENS1_35radix_sort_onesweep_config_selectorIhlEEZZNS1_29radix_sort_onesweep_iterationIS3_Lb0EPhS7_N6thrust23THRUST_200600_302600_NS10device_ptrIlEESB_jNS0_19identity_decomposerENS1_16block_id_wrapperIjLb0EEEEE10hipError_tT1_PNSt15iterator_traitsISG_E10value_typeET2_T3_PNSH_ISM_E10value_typeET4_T5_PSR_SS_PNS1_23onesweep_lookback_stateEbbT6_jjT7_P12ihipStream_tbENKUlT_T0_SG_SL_E_clIS7_S7_SB_SB_EEDaSZ_S10_SG_SL_EUlSZ_E_NS1_11comp_targetILNS1_3genE6ELNS1_11target_archE950ELNS1_3gpuE13ELNS1_3repE0EEENS1_47radix_sort_onesweep_sort_config_static_selectorELNS0_4arch9wavefront6targetE1EEEvSG_
	.globl	_ZN7rocprim17ROCPRIM_400000_NS6detail17trampoline_kernelINS0_14default_configENS1_35radix_sort_onesweep_config_selectorIhlEEZZNS1_29radix_sort_onesweep_iterationIS3_Lb0EPhS7_N6thrust23THRUST_200600_302600_NS10device_ptrIlEESB_jNS0_19identity_decomposerENS1_16block_id_wrapperIjLb0EEEEE10hipError_tT1_PNSt15iterator_traitsISG_E10value_typeET2_T3_PNSH_ISM_E10value_typeET4_T5_PSR_SS_PNS1_23onesweep_lookback_stateEbbT6_jjT7_P12ihipStream_tbENKUlT_T0_SG_SL_E_clIS7_S7_SB_SB_EEDaSZ_S10_SG_SL_EUlSZ_E_NS1_11comp_targetILNS1_3genE6ELNS1_11target_archE950ELNS1_3gpuE13ELNS1_3repE0EEENS1_47radix_sort_onesweep_sort_config_static_selectorELNS0_4arch9wavefront6targetE1EEEvSG_
	.p2align	8
	.type	_ZN7rocprim17ROCPRIM_400000_NS6detail17trampoline_kernelINS0_14default_configENS1_35radix_sort_onesweep_config_selectorIhlEEZZNS1_29radix_sort_onesweep_iterationIS3_Lb0EPhS7_N6thrust23THRUST_200600_302600_NS10device_ptrIlEESB_jNS0_19identity_decomposerENS1_16block_id_wrapperIjLb0EEEEE10hipError_tT1_PNSt15iterator_traitsISG_E10value_typeET2_T3_PNSH_ISM_E10value_typeET4_T5_PSR_SS_PNS1_23onesweep_lookback_stateEbbT6_jjT7_P12ihipStream_tbENKUlT_T0_SG_SL_E_clIS7_S7_SB_SB_EEDaSZ_S10_SG_SL_EUlSZ_E_NS1_11comp_targetILNS1_3genE6ELNS1_11target_archE950ELNS1_3gpuE13ELNS1_3repE0EEENS1_47radix_sort_onesweep_sort_config_static_selectorELNS0_4arch9wavefront6targetE1EEEvSG_,@function
_ZN7rocprim17ROCPRIM_400000_NS6detail17trampoline_kernelINS0_14default_configENS1_35radix_sort_onesweep_config_selectorIhlEEZZNS1_29radix_sort_onesweep_iterationIS3_Lb0EPhS7_N6thrust23THRUST_200600_302600_NS10device_ptrIlEESB_jNS0_19identity_decomposerENS1_16block_id_wrapperIjLb0EEEEE10hipError_tT1_PNSt15iterator_traitsISG_E10value_typeET2_T3_PNSH_ISM_E10value_typeET4_T5_PSR_SS_PNS1_23onesweep_lookback_stateEbbT6_jjT7_P12ihipStream_tbENKUlT_T0_SG_SL_E_clIS7_S7_SB_SB_EEDaSZ_S10_SG_SL_EUlSZ_E_NS1_11comp_targetILNS1_3genE6ELNS1_11target_archE950ELNS1_3gpuE13ELNS1_3repE0EEENS1_47radix_sort_onesweep_sort_config_static_selectorELNS0_4arch9wavefront6targetE1EEEvSG_: ; @_ZN7rocprim17ROCPRIM_400000_NS6detail17trampoline_kernelINS0_14default_configENS1_35radix_sort_onesweep_config_selectorIhlEEZZNS1_29radix_sort_onesweep_iterationIS3_Lb0EPhS7_N6thrust23THRUST_200600_302600_NS10device_ptrIlEESB_jNS0_19identity_decomposerENS1_16block_id_wrapperIjLb0EEEEE10hipError_tT1_PNSt15iterator_traitsISG_E10value_typeET2_T3_PNSH_ISM_E10value_typeET4_T5_PSR_SS_PNS1_23onesweep_lookback_stateEbbT6_jjT7_P12ihipStream_tbENKUlT_T0_SG_SL_E_clIS7_S7_SB_SB_EEDaSZ_S10_SG_SL_EUlSZ_E_NS1_11comp_targetILNS1_3genE6ELNS1_11target_archE950ELNS1_3gpuE13ELNS1_3repE0EEENS1_47radix_sort_onesweep_sort_config_static_selectorELNS0_4arch9wavefront6targetE1EEEvSG_
; %bb.0:
	.section	.rodata,"a",@progbits
	.p2align	6, 0x0
	.amdhsa_kernel _ZN7rocprim17ROCPRIM_400000_NS6detail17trampoline_kernelINS0_14default_configENS1_35radix_sort_onesweep_config_selectorIhlEEZZNS1_29radix_sort_onesweep_iterationIS3_Lb0EPhS7_N6thrust23THRUST_200600_302600_NS10device_ptrIlEESB_jNS0_19identity_decomposerENS1_16block_id_wrapperIjLb0EEEEE10hipError_tT1_PNSt15iterator_traitsISG_E10value_typeET2_T3_PNSH_ISM_E10value_typeET4_T5_PSR_SS_PNS1_23onesweep_lookback_stateEbbT6_jjT7_P12ihipStream_tbENKUlT_T0_SG_SL_E_clIS7_S7_SB_SB_EEDaSZ_S10_SG_SL_EUlSZ_E_NS1_11comp_targetILNS1_3genE6ELNS1_11target_archE950ELNS1_3gpuE13ELNS1_3repE0EEENS1_47radix_sort_onesweep_sort_config_static_selectorELNS0_4arch9wavefront6targetE1EEEvSG_
		.amdhsa_group_segment_fixed_size 0
		.amdhsa_private_segment_fixed_size 0
		.amdhsa_kernarg_size 88
		.amdhsa_user_sgpr_count 6
		.amdhsa_user_sgpr_private_segment_buffer 1
		.amdhsa_user_sgpr_dispatch_ptr 0
		.amdhsa_user_sgpr_queue_ptr 0
		.amdhsa_user_sgpr_kernarg_segment_ptr 1
		.amdhsa_user_sgpr_dispatch_id 0
		.amdhsa_user_sgpr_flat_scratch_init 0
		.amdhsa_user_sgpr_kernarg_preload_length 0
		.amdhsa_user_sgpr_kernarg_preload_offset 0
		.amdhsa_user_sgpr_private_segment_size 0
		.amdhsa_uses_dynamic_stack 0
		.amdhsa_system_sgpr_private_segment_wavefront_offset 0
		.amdhsa_system_sgpr_workgroup_id_x 1
		.amdhsa_system_sgpr_workgroup_id_y 0
		.amdhsa_system_sgpr_workgroup_id_z 0
		.amdhsa_system_sgpr_workgroup_info 0
		.amdhsa_system_vgpr_workitem_id 0
		.amdhsa_next_free_vgpr 1
		.amdhsa_next_free_sgpr 0
		.amdhsa_accum_offset 4
		.amdhsa_reserve_vcc 0
		.amdhsa_reserve_flat_scratch 0
		.amdhsa_float_round_mode_32 0
		.amdhsa_float_round_mode_16_64 0
		.amdhsa_float_denorm_mode_32 3
		.amdhsa_float_denorm_mode_16_64 3
		.amdhsa_dx10_clamp 1
		.amdhsa_ieee_mode 1
		.amdhsa_fp16_overflow 0
		.amdhsa_tg_split 0
		.amdhsa_exception_fp_ieee_invalid_op 0
		.amdhsa_exception_fp_denorm_src 0
		.amdhsa_exception_fp_ieee_div_zero 0
		.amdhsa_exception_fp_ieee_overflow 0
		.amdhsa_exception_fp_ieee_underflow 0
		.amdhsa_exception_fp_ieee_inexact 0
		.amdhsa_exception_int_div_zero 0
	.end_amdhsa_kernel
	.section	.text._ZN7rocprim17ROCPRIM_400000_NS6detail17trampoline_kernelINS0_14default_configENS1_35radix_sort_onesweep_config_selectorIhlEEZZNS1_29radix_sort_onesweep_iterationIS3_Lb0EPhS7_N6thrust23THRUST_200600_302600_NS10device_ptrIlEESB_jNS0_19identity_decomposerENS1_16block_id_wrapperIjLb0EEEEE10hipError_tT1_PNSt15iterator_traitsISG_E10value_typeET2_T3_PNSH_ISM_E10value_typeET4_T5_PSR_SS_PNS1_23onesweep_lookback_stateEbbT6_jjT7_P12ihipStream_tbENKUlT_T0_SG_SL_E_clIS7_S7_SB_SB_EEDaSZ_S10_SG_SL_EUlSZ_E_NS1_11comp_targetILNS1_3genE6ELNS1_11target_archE950ELNS1_3gpuE13ELNS1_3repE0EEENS1_47radix_sort_onesweep_sort_config_static_selectorELNS0_4arch9wavefront6targetE1EEEvSG_,"axG",@progbits,_ZN7rocprim17ROCPRIM_400000_NS6detail17trampoline_kernelINS0_14default_configENS1_35radix_sort_onesweep_config_selectorIhlEEZZNS1_29radix_sort_onesweep_iterationIS3_Lb0EPhS7_N6thrust23THRUST_200600_302600_NS10device_ptrIlEESB_jNS0_19identity_decomposerENS1_16block_id_wrapperIjLb0EEEEE10hipError_tT1_PNSt15iterator_traitsISG_E10value_typeET2_T3_PNSH_ISM_E10value_typeET4_T5_PSR_SS_PNS1_23onesweep_lookback_stateEbbT6_jjT7_P12ihipStream_tbENKUlT_T0_SG_SL_E_clIS7_S7_SB_SB_EEDaSZ_S10_SG_SL_EUlSZ_E_NS1_11comp_targetILNS1_3genE6ELNS1_11target_archE950ELNS1_3gpuE13ELNS1_3repE0EEENS1_47radix_sort_onesweep_sort_config_static_selectorELNS0_4arch9wavefront6targetE1EEEvSG_,comdat
.Lfunc_end292:
	.size	_ZN7rocprim17ROCPRIM_400000_NS6detail17trampoline_kernelINS0_14default_configENS1_35radix_sort_onesweep_config_selectorIhlEEZZNS1_29radix_sort_onesweep_iterationIS3_Lb0EPhS7_N6thrust23THRUST_200600_302600_NS10device_ptrIlEESB_jNS0_19identity_decomposerENS1_16block_id_wrapperIjLb0EEEEE10hipError_tT1_PNSt15iterator_traitsISG_E10value_typeET2_T3_PNSH_ISM_E10value_typeET4_T5_PSR_SS_PNS1_23onesweep_lookback_stateEbbT6_jjT7_P12ihipStream_tbENKUlT_T0_SG_SL_E_clIS7_S7_SB_SB_EEDaSZ_S10_SG_SL_EUlSZ_E_NS1_11comp_targetILNS1_3genE6ELNS1_11target_archE950ELNS1_3gpuE13ELNS1_3repE0EEENS1_47radix_sort_onesweep_sort_config_static_selectorELNS0_4arch9wavefront6targetE1EEEvSG_, .Lfunc_end292-_ZN7rocprim17ROCPRIM_400000_NS6detail17trampoline_kernelINS0_14default_configENS1_35radix_sort_onesweep_config_selectorIhlEEZZNS1_29radix_sort_onesweep_iterationIS3_Lb0EPhS7_N6thrust23THRUST_200600_302600_NS10device_ptrIlEESB_jNS0_19identity_decomposerENS1_16block_id_wrapperIjLb0EEEEE10hipError_tT1_PNSt15iterator_traitsISG_E10value_typeET2_T3_PNSH_ISM_E10value_typeET4_T5_PSR_SS_PNS1_23onesweep_lookback_stateEbbT6_jjT7_P12ihipStream_tbENKUlT_T0_SG_SL_E_clIS7_S7_SB_SB_EEDaSZ_S10_SG_SL_EUlSZ_E_NS1_11comp_targetILNS1_3genE6ELNS1_11target_archE950ELNS1_3gpuE13ELNS1_3repE0EEENS1_47radix_sort_onesweep_sort_config_static_selectorELNS0_4arch9wavefront6targetE1EEEvSG_
                                        ; -- End function
	.section	.AMDGPU.csdata,"",@progbits
; Kernel info:
; codeLenInByte = 0
; NumSgprs: 4
; NumVgprs: 0
; NumAgprs: 0
; TotalNumVgprs: 0
; ScratchSize: 0
; MemoryBound: 0
; FloatMode: 240
; IeeeMode: 1
; LDSByteSize: 0 bytes/workgroup (compile time only)
; SGPRBlocks: 0
; VGPRBlocks: 0
; NumSGPRsForWavesPerEU: 4
; NumVGPRsForWavesPerEU: 1
; AccumOffset: 4
; Occupancy: 8
; WaveLimiterHint : 0
; COMPUTE_PGM_RSRC2:SCRATCH_EN: 0
; COMPUTE_PGM_RSRC2:USER_SGPR: 6
; COMPUTE_PGM_RSRC2:TRAP_HANDLER: 0
; COMPUTE_PGM_RSRC2:TGID_X_EN: 1
; COMPUTE_PGM_RSRC2:TGID_Y_EN: 0
; COMPUTE_PGM_RSRC2:TGID_Z_EN: 0
; COMPUTE_PGM_RSRC2:TIDIG_COMP_CNT: 0
; COMPUTE_PGM_RSRC3_GFX90A:ACCUM_OFFSET: 0
; COMPUTE_PGM_RSRC3_GFX90A:TG_SPLIT: 0
	.section	.text._ZN7rocprim17ROCPRIM_400000_NS6detail17trampoline_kernelINS0_14default_configENS1_35radix_sort_onesweep_config_selectorIhlEEZZNS1_29radix_sort_onesweep_iterationIS3_Lb0EPhS7_N6thrust23THRUST_200600_302600_NS10device_ptrIlEESB_jNS0_19identity_decomposerENS1_16block_id_wrapperIjLb0EEEEE10hipError_tT1_PNSt15iterator_traitsISG_E10value_typeET2_T3_PNSH_ISM_E10value_typeET4_T5_PSR_SS_PNS1_23onesweep_lookback_stateEbbT6_jjT7_P12ihipStream_tbENKUlT_T0_SG_SL_E_clIS7_S7_SB_SB_EEDaSZ_S10_SG_SL_EUlSZ_E_NS1_11comp_targetILNS1_3genE5ELNS1_11target_archE942ELNS1_3gpuE9ELNS1_3repE0EEENS1_47radix_sort_onesweep_sort_config_static_selectorELNS0_4arch9wavefront6targetE1EEEvSG_,"axG",@progbits,_ZN7rocprim17ROCPRIM_400000_NS6detail17trampoline_kernelINS0_14default_configENS1_35radix_sort_onesweep_config_selectorIhlEEZZNS1_29radix_sort_onesweep_iterationIS3_Lb0EPhS7_N6thrust23THRUST_200600_302600_NS10device_ptrIlEESB_jNS0_19identity_decomposerENS1_16block_id_wrapperIjLb0EEEEE10hipError_tT1_PNSt15iterator_traitsISG_E10value_typeET2_T3_PNSH_ISM_E10value_typeET4_T5_PSR_SS_PNS1_23onesweep_lookback_stateEbbT6_jjT7_P12ihipStream_tbENKUlT_T0_SG_SL_E_clIS7_S7_SB_SB_EEDaSZ_S10_SG_SL_EUlSZ_E_NS1_11comp_targetILNS1_3genE5ELNS1_11target_archE942ELNS1_3gpuE9ELNS1_3repE0EEENS1_47radix_sort_onesweep_sort_config_static_selectorELNS0_4arch9wavefront6targetE1EEEvSG_,comdat
	.protected	_ZN7rocprim17ROCPRIM_400000_NS6detail17trampoline_kernelINS0_14default_configENS1_35radix_sort_onesweep_config_selectorIhlEEZZNS1_29radix_sort_onesweep_iterationIS3_Lb0EPhS7_N6thrust23THRUST_200600_302600_NS10device_ptrIlEESB_jNS0_19identity_decomposerENS1_16block_id_wrapperIjLb0EEEEE10hipError_tT1_PNSt15iterator_traitsISG_E10value_typeET2_T3_PNSH_ISM_E10value_typeET4_T5_PSR_SS_PNS1_23onesweep_lookback_stateEbbT6_jjT7_P12ihipStream_tbENKUlT_T0_SG_SL_E_clIS7_S7_SB_SB_EEDaSZ_S10_SG_SL_EUlSZ_E_NS1_11comp_targetILNS1_3genE5ELNS1_11target_archE942ELNS1_3gpuE9ELNS1_3repE0EEENS1_47radix_sort_onesweep_sort_config_static_selectorELNS0_4arch9wavefront6targetE1EEEvSG_ ; -- Begin function _ZN7rocprim17ROCPRIM_400000_NS6detail17trampoline_kernelINS0_14default_configENS1_35radix_sort_onesweep_config_selectorIhlEEZZNS1_29radix_sort_onesweep_iterationIS3_Lb0EPhS7_N6thrust23THRUST_200600_302600_NS10device_ptrIlEESB_jNS0_19identity_decomposerENS1_16block_id_wrapperIjLb0EEEEE10hipError_tT1_PNSt15iterator_traitsISG_E10value_typeET2_T3_PNSH_ISM_E10value_typeET4_T5_PSR_SS_PNS1_23onesweep_lookback_stateEbbT6_jjT7_P12ihipStream_tbENKUlT_T0_SG_SL_E_clIS7_S7_SB_SB_EEDaSZ_S10_SG_SL_EUlSZ_E_NS1_11comp_targetILNS1_3genE5ELNS1_11target_archE942ELNS1_3gpuE9ELNS1_3repE0EEENS1_47radix_sort_onesweep_sort_config_static_selectorELNS0_4arch9wavefront6targetE1EEEvSG_
	.globl	_ZN7rocprim17ROCPRIM_400000_NS6detail17trampoline_kernelINS0_14default_configENS1_35radix_sort_onesweep_config_selectorIhlEEZZNS1_29radix_sort_onesweep_iterationIS3_Lb0EPhS7_N6thrust23THRUST_200600_302600_NS10device_ptrIlEESB_jNS0_19identity_decomposerENS1_16block_id_wrapperIjLb0EEEEE10hipError_tT1_PNSt15iterator_traitsISG_E10value_typeET2_T3_PNSH_ISM_E10value_typeET4_T5_PSR_SS_PNS1_23onesweep_lookback_stateEbbT6_jjT7_P12ihipStream_tbENKUlT_T0_SG_SL_E_clIS7_S7_SB_SB_EEDaSZ_S10_SG_SL_EUlSZ_E_NS1_11comp_targetILNS1_3genE5ELNS1_11target_archE942ELNS1_3gpuE9ELNS1_3repE0EEENS1_47radix_sort_onesweep_sort_config_static_selectorELNS0_4arch9wavefront6targetE1EEEvSG_
	.p2align	8
	.type	_ZN7rocprim17ROCPRIM_400000_NS6detail17trampoline_kernelINS0_14default_configENS1_35radix_sort_onesweep_config_selectorIhlEEZZNS1_29radix_sort_onesweep_iterationIS3_Lb0EPhS7_N6thrust23THRUST_200600_302600_NS10device_ptrIlEESB_jNS0_19identity_decomposerENS1_16block_id_wrapperIjLb0EEEEE10hipError_tT1_PNSt15iterator_traitsISG_E10value_typeET2_T3_PNSH_ISM_E10value_typeET4_T5_PSR_SS_PNS1_23onesweep_lookback_stateEbbT6_jjT7_P12ihipStream_tbENKUlT_T0_SG_SL_E_clIS7_S7_SB_SB_EEDaSZ_S10_SG_SL_EUlSZ_E_NS1_11comp_targetILNS1_3genE5ELNS1_11target_archE942ELNS1_3gpuE9ELNS1_3repE0EEENS1_47radix_sort_onesweep_sort_config_static_selectorELNS0_4arch9wavefront6targetE1EEEvSG_,@function
_ZN7rocprim17ROCPRIM_400000_NS6detail17trampoline_kernelINS0_14default_configENS1_35radix_sort_onesweep_config_selectorIhlEEZZNS1_29radix_sort_onesweep_iterationIS3_Lb0EPhS7_N6thrust23THRUST_200600_302600_NS10device_ptrIlEESB_jNS0_19identity_decomposerENS1_16block_id_wrapperIjLb0EEEEE10hipError_tT1_PNSt15iterator_traitsISG_E10value_typeET2_T3_PNSH_ISM_E10value_typeET4_T5_PSR_SS_PNS1_23onesweep_lookback_stateEbbT6_jjT7_P12ihipStream_tbENKUlT_T0_SG_SL_E_clIS7_S7_SB_SB_EEDaSZ_S10_SG_SL_EUlSZ_E_NS1_11comp_targetILNS1_3genE5ELNS1_11target_archE942ELNS1_3gpuE9ELNS1_3repE0EEENS1_47radix_sort_onesweep_sort_config_static_selectorELNS0_4arch9wavefront6targetE1EEEvSG_: ; @_ZN7rocprim17ROCPRIM_400000_NS6detail17trampoline_kernelINS0_14default_configENS1_35radix_sort_onesweep_config_selectorIhlEEZZNS1_29radix_sort_onesweep_iterationIS3_Lb0EPhS7_N6thrust23THRUST_200600_302600_NS10device_ptrIlEESB_jNS0_19identity_decomposerENS1_16block_id_wrapperIjLb0EEEEE10hipError_tT1_PNSt15iterator_traitsISG_E10value_typeET2_T3_PNSH_ISM_E10value_typeET4_T5_PSR_SS_PNS1_23onesweep_lookback_stateEbbT6_jjT7_P12ihipStream_tbENKUlT_T0_SG_SL_E_clIS7_S7_SB_SB_EEDaSZ_S10_SG_SL_EUlSZ_E_NS1_11comp_targetILNS1_3genE5ELNS1_11target_archE942ELNS1_3gpuE9ELNS1_3repE0EEENS1_47radix_sort_onesweep_sort_config_static_selectorELNS0_4arch9wavefront6targetE1EEEvSG_
; %bb.0:
	.section	.rodata,"a",@progbits
	.p2align	6, 0x0
	.amdhsa_kernel _ZN7rocprim17ROCPRIM_400000_NS6detail17trampoline_kernelINS0_14default_configENS1_35radix_sort_onesweep_config_selectorIhlEEZZNS1_29radix_sort_onesweep_iterationIS3_Lb0EPhS7_N6thrust23THRUST_200600_302600_NS10device_ptrIlEESB_jNS0_19identity_decomposerENS1_16block_id_wrapperIjLb0EEEEE10hipError_tT1_PNSt15iterator_traitsISG_E10value_typeET2_T3_PNSH_ISM_E10value_typeET4_T5_PSR_SS_PNS1_23onesweep_lookback_stateEbbT6_jjT7_P12ihipStream_tbENKUlT_T0_SG_SL_E_clIS7_S7_SB_SB_EEDaSZ_S10_SG_SL_EUlSZ_E_NS1_11comp_targetILNS1_3genE5ELNS1_11target_archE942ELNS1_3gpuE9ELNS1_3repE0EEENS1_47radix_sort_onesweep_sort_config_static_selectorELNS0_4arch9wavefront6targetE1EEEvSG_
		.amdhsa_group_segment_fixed_size 0
		.amdhsa_private_segment_fixed_size 0
		.amdhsa_kernarg_size 88
		.amdhsa_user_sgpr_count 6
		.amdhsa_user_sgpr_private_segment_buffer 1
		.amdhsa_user_sgpr_dispatch_ptr 0
		.amdhsa_user_sgpr_queue_ptr 0
		.amdhsa_user_sgpr_kernarg_segment_ptr 1
		.amdhsa_user_sgpr_dispatch_id 0
		.amdhsa_user_sgpr_flat_scratch_init 0
		.amdhsa_user_sgpr_kernarg_preload_length 0
		.amdhsa_user_sgpr_kernarg_preload_offset 0
		.amdhsa_user_sgpr_private_segment_size 0
		.amdhsa_uses_dynamic_stack 0
		.amdhsa_system_sgpr_private_segment_wavefront_offset 0
		.amdhsa_system_sgpr_workgroup_id_x 1
		.amdhsa_system_sgpr_workgroup_id_y 0
		.amdhsa_system_sgpr_workgroup_id_z 0
		.amdhsa_system_sgpr_workgroup_info 0
		.amdhsa_system_vgpr_workitem_id 0
		.amdhsa_next_free_vgpr 1
		.amdhsa_next_free_sgpr 0
		.amdhsa_accum_offset 4
		.amdhsa_reserve_vcc 0
		.amdhsa_reserve_flat_scratch 0
		.amdhsa_float_round_mode_32 0
		.amdhsa_float_round_mode_16_64 0
		.amdhsa_float_denorm_mode_32 3
		.amdhsa_float_denorm_mode_16_64 3
		.amdhsa_dx10_clamp 1
		.amdhsa_ieee_mode 1
		.amdhsa_fp16_overflow 0
		.amdhsa_tg_split 0
		.amdhsa_exception_fp_ieee_invalid_op 0
		.amdhsa_exception_fp_denorm_src 0
		.amdhsa_exception_fp_ieee_div_zero 0
		.amdhsa_exception_fp_ieee_overflow 0
		.amdhsa_exception_fp_ieee_underflow 0
		.amdhsa_exception_fp_ieee_inexact 0
		.amdhsa_exception_int_div_zero 0
	.end_amdhsa_kernel
	.section	.text._ZN7rocprim17ROCPRIM_400000_NS6detail17trampoline_kernelINS0_14default_configENS1_35radix_sort_onesweep_config_selectorIhlEEZZNS1_29radix_sort_onesweep_iterationIS3_Lb0EPhS7_N6thrust23THRUST_200600_302600_NS10device_ptrIlEESB_jNS0_19identity_decomposerENS1_16block_id_wrapperIjLb0EEEEE10hipError_tT1_PNSt15iterator_traitsISG_E10value_typeET2_T3_PNSH_ISM_E10value_typeET4_T5_PSR_SS_PNS1_23onesweep_lookback_stateEbbT6_jjT7_P12ihipStream_tbENKUlT_T0_SG_SL_E_clIS7_S7_SB_SB_EEDaSZ_S10_SG_SL_EUlSZ_E_NS1_11comp_targetILNS1_3genE5ELNS1_11target_archE942ELNS1_3gpuE9ELNS1_3repE0EEENS1_47radix_sort_onesweep_sort_config_static_selectorELNS0_4arch9wavefront6targetE1EEEvSG_,"axG",@progbits,_ZN7rocprim17ROCPRIM_400000_NS6detail17trampoline_kernelINS0_14default_configENS1_35radix_sort_onesweep_config_selectorIhlEEZZNS1_29radix_sort_onesweep_iterationIS3_Lb0EPhS7_N6thrust23THRUST_200600_302600_NS10device_ptrIlEESB_jNS0_19identity_decomposerENS1_16block_id_wrapperIjLb0EEEEE10hipError_tT1_PNSt15iterator_traitsISG_E10value_typeET2_T3_PNSH_ISM_E10value_typeET4_T5_PSR_SS_PNS1_23onesweep_lookback_stateEbbT6_jjT7_P12ihipStream_tbENKUlT_T0_SG_SL_E_clIS7_S7_SB_SB_EEDaSZ_S10_SG_SL_EUlSZ_E_NS1_11comp_targetILNS1_3genE5ELNS1_11target_archE942ELNS1_3gpuE9ELNS1_3repE0EEENS1_47radix_sort_onesweep_sort_config_static_selectorELNS0_4arch9wavefront6targetE1EEEvSG_,comdat
.Lfunc_end293:
	.size	_ZN7rocprim17ROCPRIM_400000_NS6detail17trampoline_kernelINS0_14default_configENS1_35radix_sort_onesweep_config_selectorIhlEEZZNS1_29radix_sort_onesweep_iterationIS3_Lb0EPhS7_N6thrust23THRUST_200600_302600_NS10device_ptrIlEESB_jNS0_19identity_decomposerENS1_16block_id_wrapperIjLb0EEEEE10hipError_tT1_PNSt15iterator_traitsISG_E10value_typeET2_T3_PNSH_ISM_E10value_typeET4_T5_PSR_SS_PNS1_23onesweep_lookback_stateEbbT6_jjT7_P12ihipStream_tbENKUlT_T0_SG_SL_E_clIS7_S7_SB_SB_EEDaSZ_S10_SG_SL_EUlSZ_E_NS1_11comp_targetILNS1_3genE5ELNS1_11target_archE942ELNS1_3gpuE9ELNS1_3repE0EEENS1_47radix_sort_onesweep_sort_config_static_selectorELNS0_4arch9wavefront6targetE1EEEvSG_, .Lfunc_end293-_ZN7rocprim17ROCPRIM_400000_NS6detail17trampoline_kernelINS0_14default_configENS1_35radix_sort_onesweep_config_selectorIhlEEZZNS1_29radix_sort_onesweep_iterationIS3_Lb0EPhS7_N6thrust23THRUST_200600_302600_NS10device_ptrIlEESB_jNS0_19identity_decomposerENS1_16block_id_wrapperIjLb0EEEEE10hipError_tT1_PNSt15iterator_traitsISG_E10value_typeET2_T3_PNSH_ISM_E10value_typeET4_T5_PSR_SS_PNS1_23onesweep_lookback_stateEbbT6_jjT7_P12ihipStream_tbENKUlT_T0_SG_SL_E_clIS7_S7_SB_SB_EEDaSZ_S10_SG_SL_EUlSZ_E_NS1_11comp_targetILNS1_3genE5ELNS1_11target_archE942ELNS1_3gpuE9ELNS1_3repE0EEENS1_47radix_sort_onesweep_sort_config_static_selectorELNS0_4arch9wavefront6targetE1EEEvSG_
                                        ; -- End function
	.section	.AMDGPU.csdata,"",@progbits
; Kernel info:
; codeLenInByte = 0
; NumSgprs: 4
; NumVgprs: 0
; NumAgprs: 0
; TotalNumVgprs: 0
; ScratchSize: 0
; MemoryBound: 0
; FloatMode: 240
; IeeeMode: 1
; LDSByteSize: 0 bytes/workgroup (compile time only)
; SGPRBlocks: 0
; VGPRBlocks: 0
; NumSGPRsForWavesPerEU: 4
; NumVGPRsForWavesPerEU: 1
; AccumOffset: 4
; Occupancy: 8
; WaveLimiterHint : 0
; COMPUTE_PGM_RSRC2:SCRATCH_EN: 0
; COMPUTE_PGM_RSRC2:USER_SGPR: 6
; COMPUTE_PGM_RSRC2:TRAP_HANDLER: 0
; COMPUTE_PGM_RSRC2:TGID_X_EN: 1
; COMPUTE_PGM_RSRC2:TGID_Y_EN: 0
; COMPUTE_PGM_RSRC2:TGID_Z_EN: 0
; COMPUTE_PGM_RSRC2:TIDIG_COMP_CNT: 0
; COMPUTE_PGM_RSRC3_GFX90A:ACCUM_OFFSET: 0
; COMPUTE_PGM_RSRC3_GFX90A:TG_SPLIT: 0
	.section	.text._ZN7rocprim17ROCPRIM_400000_NS6detail17trampoline_kernelINS0_14default_configENS1_35radix_sort_onesweep_config_selectorIhlEEZZNS1_29radix_sort_onesweep_iterationIS3_Lb0EPhS7_N6thrust23THRUST_200600_302600_NS10device_ptrIlEESB_jNS0_19identity_decomposerENS1_16block_id_wrapperIjLb0EEEEE10hipError_tT1_PNSt15iterator_traitsISG_E10value_typeET2_T3_PNSH_ISM_E10value_typeET4_T5_PSR_SS_PNS1_23onesweep_lookback_stateEbbT6_jjT7_P12ihipStream_tbENKUlT_T0_SG_SL_E_clIS7_S7_SB_SB_EEDaSZ_S10_SG_SL_EUlSZ_E_NS1_11comp_targetILNS1_3genE2ELNS1_11target_archE906ELNS1_3gpuE6ELNS1_3repE0EEENS1_47radix_sort_onesweep_sort_config_static_selectorELNS0_4arch9wavefront6targetE1EEEvSG_,"axG",@progbits,_ZN7rocprim17ROCPRIM_400000_NS6detail17trampoline_kernelINS0_14default_configENS1_35radix_sort_onesweep_config_selectorIhlEEZZNS1_29radix_sort_onesweep_iterationIS3_Lb0EPhS7_N6thrust23THRUST_200600_302600_NS10device_ptrIlEESB_jNS0_19identity_decomposerENS1_16block_id_wrapperIjLb0EEEEE10hipError_tT1_PNSt15iterator_traitsISG_E10value_typeET2_T3_PNSH_ISM_E10value_typeET4_T5_PSR_SS_PNS1_23onesweep_lookback_stateEbbT6_jjT7_P12ihipStream_tbENKUlT_T0_SG_SL_E_clIS7_S7_SB_SB_EEDaSZ_S10_SG_SL_EUlSZ_E_NS1_11comp_targetILNS1_3genE2ELNS1_11target_archE906ELNS1_3gpuE6ELNS1_3repE0EEENS1_47radix_sort_onesweep_sort_config_static_selectorELNS0_4arch9wavefront6targetE1EEEvSG_,comdat
	.protected	_ZN7rocprim17ROCPRIM_400000_NS6detail17trampoline_kernelINS0_14default_configENS1_35radix_sort_onesweep_config_selectorIhlEEZZNS1_29radix_sort_onesweep_iterationIS3_Lb0EPhS7_N6thrust23THRUST_200600_302600_NS10device_ptrIlEESB_jNS0_19identity_decomposerENS1_16block_id_wrapperIjLb0EEEEE10hipError_tT1_PNSt15iterator_traitsISG_E10value_typeET2_T3_PNSH_ISM_E10value_typeET4_T5_PSR_SS_PNS1_23onesweep_lookback_stateEbbT6_jjT7_P12ihipStream_tbENKUlT_T0_SG_SL_E_clIS7_S7_SB_SB_EEDaSZ_S10_SG_SL_EUlSZ_E_NS1_11comp_targetILNS1_3genE2ELNS1_11target_archE906ELNS1_3gpuE6ELNS1_3repE0EEENS1_47radix_sort_onesweep_sort_config_static_selectorELNS0_4arch9wavefront6targetE1EEEvSG_ ; -- Begin function _ZN7rocprim17ROCPRIM_400000_NS6detail17trampoline_kernelINS0_14default_configENS1_35radix_sort_onesweep_config_selectorIhlEEZZNS1_29radix_sort_onesweep_iterationIS3_Lb0EPhS7_N6thrust23THRUST_200600_302600_NS10device_ptrIlEESB_jNS0_19identity_decomposerENS1_16block_id_wrapperIjLb0EEEEE10hipError_tT1_PNSt15iterator_traitsISG_E10value_typeET2_T3_PNSH_ISM_E10value_typeET4_T5_PSR_SS_PNS1_23onesweep_lookback_stateEbbT6_jjT7_P12ihipStream_tbENKUlT_T0_SG_SL_E_clIS7_S7_SB_SB_EEDaSZ_S10_SG_SL_EUlSZ_E_NS1_11comp_targetILNS1_3genE2ELNS1_11target_archE906ELNS1_3gpuE6ELNS1_3repE0EEENS1_47radix_sort_onesweep_sort_config_static_selectorELNS0_4arch9wavefront6targetE1EEEvSG_
	.globl	_ZN7rocprim17ROCPRIM_400000_NS6detail17trampoline_kernelINS0_14default_configENS1_35radix_sort_onesweep_config_selectorIhlEEZZNS1_29radix_sort_onesweep_iterationIS3_Lb0EPhS7_N6thrust23THRUST_200600_302600_NS10device_ptrIlEESB_jNS0_19identity_decomposerENS1_16block_id_wrapperIjLb0EEEEE10hipError_tT1_PNSt15iterator_traitsISG_E10value_typeET2_T3_PNSH_ISM_E10value_typeET4_T5_PSR_SS_PNS1_23onesweep_lookback_stateEbbT6_jjT7_P12ihipStream_tbENKUlT_T0_SG_SL_E_clIS7_S7_SB_SB_EEDaSZ_S10_SG_SL_EUlSZ_E_NS1_11comp_targetILNS1_3genE2ELNS1_11target_archE906ELNS1_3gpuE6ELNS1_3repE0EEENS1_47radix_sort_onesweep_sort_config_static_selectorELNS0_4arch9wavefront6targetE1EEEvSG_
	.p2align	8
	.type	_ZN7rocprim17ROCPRIM_400000_NS6detail17trampoline_kernelINS0_14default_configENS1_35radix_sort_onesweep_config_selectorIhlEEZZNS1_29radix_sort_onesweep_iterationIS3_Lb0EPhS7_N6thrust23THRUST_200600_302600_NS10device_ptrIlEESB_jNS0_19identity_decomposerENS1_16block_id_wrapperIjLb0EEEEE10hipError_tT1_PNSt15iterator_traitsISG_E10value_typeET2_T3_PNSH_ISM_E10value_typeET4_T5_PSR_SS_PNS1_23onesweep_lookback_stateEbbT6_jjT7_P12ihipStream_tbENKUlT_T0_SG_SL_E_clIS7_S7_SB_SB_EEDaSZ_S10_SG_SL_EUlSZ_E_NS1_11comp_targetILNS1_3genE2ELNS1_11target_archE906ELNS1_3gpuE6ELNS1_3repE0EEENS1_47radix_sort_onesweep_sort_config_static_selectorELNS0_4arch9wavefront6targetE1EEEvSG_,@function
_ZN7rocprim17ROCPRIM_400000_NS6detail17trampoline_kernelINS0_14default_configENS1_35radix_sort_onesweep_config_selectorIhlEEZZNS1_29radix_sort_onesweep_iterationIS3_Lb0EPhS7_N6thrust23THRUST_200600_302600_NS10device_ptrIlEESB_jNS0_19identity_decomposerENS1_16block_id_wrapperIjLb0EEEEE10hipError_tT1_PNSt15iterator_traitsISG_E10value_typeET2_T3_PNSH_ISM_E10value_typeET4_T5_PSR_SS_PNS1_23onesweep_lookback_stateEbbT6_jjT7_P12ihipStream_tbENKUlT_T0_SG_SL_E_clIS7_S7_SB_SB_EEDaSZ_S10_SG_SL_EUlSZ_E_NS1_11comp_targetILNS1_3genE2ELNS1_11target_archE906ELNS1_3gpuE6ELNS1_3repE0EEENS1_47radix_sort_onesweep_sort_config_static_selectorELNS0_4arch9wavefront6targetE1EEEvSG_: ; @_ZN7rocprim17ROCPRIM_400000_NS6detail17trampoline_kernelINS0_14default_configENS1_35radix_sort_onesweep_config_selectorIhlEEZZNS1_29radix_sort_onesweep_iterationIS3_Lb0EPhS7_N6thrust23THRUST_200600_302600_NS10device_ptrIlEESB_jNS0_19identity_decomposerENS1_16block_id_wrapperIjLb0EEEEE10hipError_tT1_PNSt15iterator_traitsISG_E10value_typeET2_T3_PNSH_ISM_E10value_typeET4_T5_PSR_SS_PNS1_23onesweep_lookback_stateEbbT6_jjT7_P12ihipStream_tbENKUlT_T0_SG_SL_E_clIS7_S7_SB_SB_EEDaSZ_S10_SG_SL_EUlSZ_E_NS1_11comp_targetILNS1_3genE2ELNS1_11target_archE906ELNS1_3gpuE6ELNS1_3repE0EEENS1_47radix_sort_onesweep_sort_config_static_selectorELNS0_4arch9wavefront6targetE1EEEvSG_
; %bb.0:
	.section	.rodata,"a",@progbits
	.p2align	6, 0x0
	.amdhsa_kernel _ZN7rocprim17ROCPRIM_400000_NS6detail17trampoline_kernelINS0_14default_configENS1_35radix_sort_onesweep_config_selectorIhlEEZZNS1_29radix_sort_onesweep_iterationIS3_Lb0EPhS7_N6thrust23THRUST_200600_302600_NS10device_ptrIlEESB_jNS0_19identity_decomposerENS1_16block_id_wrapperIjLb0EEEEE10hipError_tT1_PNSt15iterator_traitsISG_E10value_typeET2_T3_PNSH_ISM_E10value_typeET4_T5_PSR_SS_PNS1_23onesweep_lookback_stateEbbT6_jjT7_P12ihipStream_tbENKUlT_T0_SG_SL_E_clIS7_S7_SB_SB_EEDaSZ_S10_SG_SL_EUlSZ_E_NS1_11comp_targetILNS1_3genE2ELNS1_11target_archE906ELNS1_3gpuE6ELNS1_3repE0EEENS1_47radix_sort_onesweep_sort_config_static_selectorELNS0_4arch9wavefront6targetE1EEEvSG_
		.amdhsa_group_segment_fixed_size 0
		.amdhsa_private_segment_fixed_size 0
		.amdhsa_kernarg_size 88
		.amdhsa_user_sgpr_count 6
		.amdhsa_user_sgpr_private_segment_buffer 1
		.amdhsa_user_sgpr_dispatch_ptr 0
		.amdhsa_user_sgpr_queue_ptr 0
		.amdhsa_user_sgpr_kernarg_segment_ptr 1
		.amdhsa_user_sgpr_dispatch_id 0
		.amdhsa_user_sgpr_flat_scratch_init 0
		.amdhsa_user_sgpr_kernarg_preload_length 0
		.amdhsa_user_sgpr_kernarg_preload_offset 0
		.amdhsa_user_sgpr_private_segment_size 0
		.amdhsa_uses_dynamic_stack 0
		.amdhsa_system_sgpr_private_segment_wavefront_offset 0
		.amdhsa_system_sgpr_workgroup_id_x 1
		.amdhsa_system_sgpr_workgroup_id_y 0
		.amdhsa_system_sgpr_workgroup_id_z 0
		.amdhsa_system_sgpr_workgroup_info 0
		.amdhsa_system_vgpr_workitem_id 0
		.amdhsa_next_free_vgpr 1
		.amdhsa_next_free_sgpr 0
		.amdhsa_accum_offset 4
		.amdhsa_reserve_vcc 0
		.amdhsa_reserve_flat_scratch 0
		.amdhsa_float_round_mode_32 0
		.amdhsa_float_round_mode_16_64 0
		.amdhsa_float_denorm_mode_32 3
		.amdhsa_float_denorm_mode_16_64 3
		.amdhsa_dx10_clamp 1
		.amdhsa_ieee_mode 1
		.amdhsa_fp16_overflow 0
		.amdhsa_tg_split 0
		.amdhsa_exception_fp_ieee_invalid_op 0
		.amdhsa_exception_fp_denorm_src 0
		.amdhsa_exception_fp_ieee_div_zero 0
		.amdhsa_exception_fp_ieee_overflow 0
		.amdhsa_exception_fp_ieee_underflow 0
		.amdhsa_exception_fp_ieee_inexact 0
		.amdhsa_exception_int_div_zero 0
	.end_amdhsa_kernel
	.section	.text._ZN7rocprim17ROCPRIM_400000_NS6detail17trampoline_kernelINS0_14default_configENS1_35radix_sort_onesweep_config_selectorIhlEEZZNS1_29radix_sort_onesweep_iterationIS3_Lb0EPhS7_N6thrust23THRUST_200600_302600_NS10device_ptrIlEESB_jNS0_19identity_decomposerENS1_16block_id_wrapperIjLb0EEEEE10hipError_tT1_PNSt15iterator_traitsISG_E10value_typeET2_T3_PNSH_ISM_E10value_typeET4_T5_PSR_SS_PNS1_23onesweep_lookback_stateEbbT6_jjT7_P12ihipStream_tbENKUlT_T0_SG_SL_E_clIS7_S7_SB_SB_EEDaSZ_S10_SG_SL_EUlSZ_E_NS1_11comp_targetILNS1_3genE2ELNS1_11target_archE906ELNS1_3gpuE6ELNS1_3repE0EEENS1_47radix_sort_onesweep_sort_config_static_selectorELNS0_4arch9wavefront6targetE1EEEvSG_,"axG",@progbits,_ZN7rocprim17ROCPRIM_400000_NS6detail17trampoline_kernelINS0_14default_configENS1_35radix_sort_onesweep_config_selectorIhlEEZZNS1_29radix_sort_onesweep_iterationIS3_Lb0EPhS7_N6thrust23THRUST_200600_302600_NS10device_ptrIlEESB_jNS0_19identity_decomposerENS1_16block_id_wrapperIjLb0EEEEE10hipError_tT1_PNSt15iterator_traitsISG_E10value_typeET2_T3_PNSH_ISM_E10value_typeET4_T5_PSR_SS_PNS1_23onesweep_lookback_stateEbbT6_jjT7_P12ihipStream_tbENKUlT_T0_SG_SL_E_clIS7_S7_SB_SB_EEDaSZ_S10_SG_SL_EUlSZ_E_NS1_11comp_targetILNS1_3genE2ELNS1_11target_archE906ELNS1_3gpuE6ELNS1_3repE0EEENS1_47radix_sort_onesweep_sort_config_static_selectorELNS0_4arch9wavefront6targetE1EEEvSG_,comdat
.Lfunc_end294:
	.size	_ZN7rocprim17ROCPRIM_400000_NS6detail17trampoline_kernelINS0_14default_configENS1_35radix_sort_onesweep_config_selectorIhlEEZZNS1_29radix_sort_onesweep_iterationIS3_Lb0EPhS7_N6thrust23THRUST_200600_302600_NS10device_ptrIlEESB_jNS0_19identity_decomposerENS1_16block_id_wrapperIjLb0EEEEE10hipError_tT1_PNSt15iterator_traitsISG_E10value_typeET2_T3_PNSH_ISM_E10value_typeET4_T5_PSR_SS_PNS1_23onesweep_lookback_stateEbbT6_jjT7_P12ihipStream_tbENKUlT_T0_SG_SL_E_clIS7_S7_SB_SB_EEDaSZ_S10_SG_SL_EUlSZ_E_NS1_11comp_targetILNS1_3genE2ELNS1_11target_archE906ELNS1_3gpuE6ELNS1_3repE0EEENS1_47radix_sort_onesweep_sort_config_static_selectorELNS0_4arch9wavefront6targetE1EEEvSG_, .Lfunc_end294-_ZN7rocprim17ROCPRIM_400000_NS6detail17trampoline_kernelINS0_14default_configENS1_35radix_sort_onesweep_config_selectorIhlEEZZNS1_29radix_sort_onesweep_iterationIS3_Lb0EPhS7_N6thrust23THRUST_200600_302600_NS10device_ptrIlEESB_jNS0_19identity_decomposerENS1_16block_id_wrapperIjLb0EEEEE10hipError_tT1_PNSt15iterator_traitsISG_E10value_typeET2_T3_PNSH_ISM_E10value_typeET4_T5_PSR_SS_PNS1_23onesweep_lookback_stateEbbT6_jjT7_P12ihipStream_tbENKUlT_T0_SG_SL_E_clIS7_S7_SB_SB_EEDaSZ_S10_SG_SL_EUlSZ_E_NS1_11comp_targetILNS1_3genE2ELNS1_11target_archE906ELNS1_3gpuE6ELNS1_3repE0EEENS1_47radix_sort_onesweep_sort_config_static_selectorELNS0_4arch9wavefront6targetE1EEEvSG_
                                        ; -- End function
	.section	.AMDGPU.csdata,"",@progbits
; Kernel info:
; codeLenInByte = 0
; NumSgprs: 4
; NumVgprs: 0
; NumAgprs: 0
; TotalNumVgprs: 0
; ScratchSize: 0
; MemoryBound: 0
; FloatMode: 240
; IeeeMode: 1
; LDSByteSize: 0 bytes/workgroup (compile time only)
; SGPRBlocks: 0
; VGPRBlocks: 0
; NumSGPRsForWavesPerEU: 4
; NumVGPRsForWavesPerEU: 1
; AccumOffset: 4
; Occupancy: 8
; WaveLimiterHint : 0
; COMPUTE_PGM_RSRC2:SCRATCH_EN: 0
; COMPUTE_PGM_RSRC2:USER_SGPR: 6
; COMPUTE_PGM_RSRC2:TRAP_HANDLER: 0
; COMPUTE_PGM_RSRC2:TGID_X_EN: 1
; COMPUTE_PGM_RSRC2:TGID_Y_EN: 0
; COMPUTE_PGM_RSRC2:TGID_Z_EN: 0
; COMPUTE_PGM_RSRC2:TIDIG_COMP_CNT: 0
; COMPUTE_PGM_RSRC3_GFX90A:ACCUM_OFFSET: 0
; COMPUTE_PGM_RSRC3_GFX90A:TG_SPLIT: 0
	.section	.text._ZN7rocprim17ROCPRIM_400000_NS6detail17trampoline_kernelINS0_14default_configENS1_35radix_sort_onesweep_config_selectorIhlEEZZNS1_29radix_sort_onesweep_iterationIS3_Lb0EPhS7_N6thrust23THRUST_200600_302600_NS10device_ptrIlEESB_jNS0_19identity_decomposerENS1_16block_id_wrapperIjLb0EEEEE10hipError_tT1_PNSt15iterator_traitsISG_E10value_typeET2_T3_PNSH_ISM_E10value_typeET4_T5_PSR_SS_PNS1_23onesweep_lookback_stateEbbT6_jjT7_P12ihipStream_tbENKUlT_T0_SG_SL_E_clIS7_S7_SB_SB_EEDaSZ_S10_SG_SL_EUlSZ_E_NS1_11comp_targetILNS1_3genE4ELNS1_11target_archE910ELNS1_3gpuE8ELNS1_3repE0EEENS1_47radix_sort_onesweep_sort_config_static_selectorELNS0_4arch9wavefront6targetE1EEEvSG_,"axG",@progbits,_ZN7rocprim17ROCPRIM_400000_NS6detail17trampoline_kernelINS0_14default_configENS1_35radix_sort_onesweep_config_selectorIhlEEZZNS1_29radix_sort_onesweep_iterationIS3_Lb0EPhS7_N6thrust23THRUST_200600_302600_NS10device_ptrIlEESB_jNS0_19identity_decomposerENS1_16block_id_wrapperIjLb0EEEEE10hipError_tT1_PNSt15iterator_traitsISG_E10value_typeET2_T3_PNSH_ISM_E10value_typeET4_T5_PSR_SS_PNS1_23onesweep_lookback_stateEbbT6_jjT7_P12ihipStream_tbENKUlT_T0_SG_SL_E_clIS7_S7_SB_SB_EEDaSZ_S10_SG_SL_EUlSZ_E_NS1_11comp_targetILNS1_3genE4ELNS1_11target_archE910ELNS1_3gpuE8ELNS1_3repE0EEENS1_47radix_sort_onesweep_sort_config_static_selectorELNS0_4arch9wavefront6targetE1EEEvSG_,comdat
	.protected	_ZN7rocprim17ROCPRIM_400000_NS6detail17trampoline_kernelINS0_14default_configENS1_35radix_sort_onesweep_config_selectorIhlEEZZNS1_29radix_sort_onesweep_iterationIS3_Lb0EPhS7_N6thrust23THRUST_200600_302600_NS10device_ptrIlEESB_jNS0_19identity_decomposerENS1_16block_id_wrapperIjLb0EEEEE10hipError_tT1_PNSt15iterator_traitsISG_E10value_typeET2_T3_PNSH_ISM_E10value_typeET4_T5_PSR_SS_PNS1_23onesweep_lookback_stateEbbT6_jjT7_P12ihipStream_tbENKUlT_T0_SG_SL_E_clIS7_S7_SB_SB_EEDaSZ_S10_SG_SL_EUlSZ_E_NS1_11comp_targetILNS1_3genE4ELNS1_11target_archE910ELNS1_3gpuE8ELNS1_3repE0EEENS1_47radix_sort_onesweep_sort_config_static_selectorELNS0_4arch9wavefront6targetE1EEEvSG_ ; -- Begin function _ZN7rocprim17ROCPRIM_400000_NS6detail17trampoline_kernelINS0_14default_configENS1_35radix_sort_onesweep_config_selectorIhlEEZZNS1_29radix_sort_onesweep_iterationIS3_Lb0EPhS7_N6thrust23THRUST_200600_302600_NS10device_ptrIlEESB_jNS0_19identity_decomposerENS1_16block_id_wrapperIjLb0EEEEE10hipError_tT1_PNSt15iterator_traitsISG_E10value_typeET2_T3_PNSH_ISM_E10value_typeET4_T5_PSR_SS_PNS1_23onesweep_lookback_stateEbbT6_jjT7_P12ihipStream_tbENKUlT_T0_SG_SL_E_clIS7_S7_SB_SB_EEDaSZ_S10_SG_SL_EUlSZ_E_NS1_11comp_targetILNS1_3genE4ELNS1_11target_archE910ELNS1_3gpuE8ELNS1_3repE0EEENS1_47radix_sort_onesweep_sort_config_static_selectorELNS0_4arch9wavefront6targetE1EEEvSG_
	.globl	_ZN7rocprim17ROCPRIM_400000_NS6detail17trampoline_kernelINS0_14default_configENS1_35radix_sort_onesweep_config_selectorIhlEEZZNS1_29radix_sort_onesweep_iterationIS3_Lb0EPhS7_N6thrust23THRUST_200600_302600_NS10device_ptrIlEESB_jNS0_19identity_decomposerENS1_16block_id_wrapperIjLb0EEEEE10hipError_tT1_PNSt15iterator_traitsISG_E10value_typeET2_T3_PNSH_ISM_E10value_typeET4_T5_PSR_SS_PNS1_23onesweep_lookback_stateEbbT6_jjT7_P12ihipStream_tbENKUlT_T0_SG_SL_E_clIS7_S7_SB_SB_EEDaSZ_S10_SG_SL_EUlSZ_E_NS1_11comp_targetILNS1_3genE4ELNS1_11target_archE910ELNS1_3gpuE8ELNS1_3repE0EEENS1_47radix_sort_onesweep_sort_config_static_selectorELNS0_4arch9wavefront6targetE1EEEvSG_
	.p2align	8
	.type	_ZN7rocprim17ROCPRIM_400000_NS6detail17trampoline_kernelINS0_14default_configENS1_35radix_sort_onesweep_config_selectorIhlEEZZNS1_29radix_sort_onesweep_iterationIS3_Lb0EPhS7_N6thrust23THRUST_200600_302600_NS10device_ptrIlEESB_jNS0_19identity_decomposerENS1_16block_id_wrapperIjLb0EEEEE10hipError_tT1_PNSt15iterator_traitsISG_E10value_typeET2_T3_PNSH_ISM_E10value_typeET4_T5_PSR_SS_PNS1_23onesweep_lookback_stateEbbT6_jjT7_P12ihipStream_tbENKUlT_T0_SG_SL_E_clIS7_S7_SB_SB_EEDaSZ_S10_SG_SL_EUlSZ_E_NS1_11comp_targetILNS1_3genE4ELNS1_11target_archE910ELNS1_3gpuE8ELNS1_3repE0EEENS1_47radix_sort_onesweep_sort_config_static_selectorELNS0_4arch9wavefront6targetE1EEEvSG_,@function
_ZN7rocprim17ROCPRIM_400000_NS6detail17trampoline_kernelINS0_14default_configENS1_35radix_sort_onesweep_config_selectorIhlEEZZNS1_29radix_sort_onesweep_iterationIS3_Lb0EPhS7_N6thrust23THRUST_200600_302600_NS10device_ptrIlEESB_jNS0_19identity_decomposerENS1_16block_id_wrapperIjLb0EEEEE10hipError_tT1_PNSt15iterator_traitsISG_E10value_typeET2_T3_PNSH_ISM_E10value_typeET4_T5_PSR_SS_PNS1_23onesweep_lookback_stateEbbT6_jjT7_P12ihipStream_tbENKUlT_T0_SG_SL_E_clIS7_S7_SB_SB_EEDaSZ_S10_SG_SL_EUlSZ_E_NS1_11comp_targetILNS1_3genE4ELNS1_11target_archE910ELNS1_3gpuE8ELNS1_3repE0EEENS1_47radix_sort_onesweep_sort_config_static_selectorELNS0_4arch9wavefront6targetE1EEEvSG_: ; @_ZN7rocprim17ROCPRIM_400000_NS6detail17trampoline_kernelINS0_14default_configENS1_35radix_sort_onesweep_config_selectorIhlEEZZNS1_29radix_sort_onesweep_iterationIS3_Lb0EPhS7_N6thrust23THRUST_200600_302600_NS10device_ptrIlEESB_jNS0_19identity_decomposerENS1_16block_id_wrapperIjLb0EEEEE10hipError_tT1_PNSt15iterator_traitsISG_E10value_typeET2_T3_PNSH_ISM_E10value_typeET4_T5_PSR_SS_PNS1_23onesweep_lookback_stateEbbT6_jjT7_P12ihipStream_tbENKUlT_T0_SG_SL_E_clIS7_S7_SB_SB_EEDaSZ_S10_SG_SL_EUlSZ_E_NS1_11comp_targetILNS1_3genE4ELNS1_11target_archE910ELNS1_3gpuE8ELNS1_3repE0EEENS1_47radix_sort_onesweep_sort_config_static_selectorELNS0_4arch9wavefront6targetE1EEEvSG_
; %bb.0:
	s_load_dwordx8 s[36:43], s[4:5], 0x0
	s_load_dwordx4 s[44:47], s[4:5], 0x44
	s_load_dwordx4 s[28:31], s[4:5], 0x28
	s_load_dwordx2 s[34:35], s[4:5], 0x38
	v_mbcnt_lo_u32_b32 v1, -1, 0
	s_waitcnt lgkmcnt(0)
	s_cmp_ge_u32 s6, s46
	s_cbranch_scc0 .LBB295_84
; %bb.1:
	s_load_dword s0, s[4:5], 0x20
	s_lshl_b32 s1, s46, 13
	s_lshl_b32 s46, s6, 13
	v_mbcnt_hi_u32_b32 v15, -1, v1
	v_and_b32_e32 v10, 0x3ff, v0
	s_waitcnt lgkmcnt(0)
	s_sub_i32 s7, s0, s1
	s_add_u32 s0, s36, s46
	s_addc_u32 s1, s37, 0
	v_and_b32_e32 v14, 63, v15
	v_lshlrev_b32_e32 v11, 3, v10
	v_mov_b32_e32 v2, s1
	v_add_co_u32_e32 v3, vcc, s0, v14
	v_and_b32_e32 v12, 0x1e00, v11
	v_addc_co_u32_e32 v4, vcc, 0, v2, vcc
	v_add_co_u32_e32 v2, vcc, v3, v12
	v_addc_co_u32_e32 v3, vcc, 0, v4, vcc
	v_or_b32_e32 v4, v14, v12
	s_mov_b32 s47, 0
	v_cmp_gt_u32_e32 vcc, s7, v4
	v_mov_b32_e32 v6, 0xff
	v_mov_b32_e32 v7, 0xff
	s_and_saveexec_b64 s[0:1], vcc
	s_cbranch_execz .LBB295_3
; %bb.2:
	global_load_ubyte v7, v[2:3], off
.LBB295_3:
	s_or_b64 exec, exec, s[0:1]
	v_or_b32_e32 v5, 64, v4
	v_cmp_gt_u32_e64 s[0:1], s7, v5
	s_and_saveexec_b64 s[2:3], s[0:1]
	s_cbranch_execz .LBB295_5
; %bb.4:
	global_load_ubyte v6, v[2:3], off offset:64
.LBB295_5:
	s_or_b64 exec, exec, s[2:3]
	v_or_b32_e32 v5, 0x80, v4
	v_cmp_gt_u32_e64 s[2:3], s7, v5
	v_mov_b32_e32 v8, 0xff
	v_mov_b32_e32 v9, 0xff
	s_and_saveexec_b64 s[8:9], s[2:3]
	s_cbranch_execz .LBB295_7
; %bb.6:
	global_load_ubyte v9, v[2:3], off offset:128
.LBB295_7:
	s_or_b64 exec, exec, s[8:9]
	v_or_b32_e32 v5, 0xc0, v4
	v_cmp_gt_u32_e64 s[24:25], s7, v5
	s_and_saveexec_b64 s[8:9], s[24:25]
	s_cbranch_execz .LBB295_9
; %bb.8:
	global_load_ubyte v8, v[2:3], off offset:192
.LBB295_9:
	s_or_b64 exec, exec, s[8:9]
	v_or_b32_e32 v5, 0x100, v4
	v_cmp_gt_u32_e64 s[8:9], s7, v5
	v_mov_b32_e32 v13, 0xff
	v_mov_b32_e32 v16, 0xff
	s_and_saveexec_b64 s[10:11], s[8:9]
	s_cbranch_execz .LBB295_11
; %bb.10:
	global_load_ubyte v16, v[2:3], off offset:256
.LBB295_11:
	;; [unrolled: 18-line block ×3, first 2 shown]
	s_or_b64 exec, exec, s[14:15]
	v_or_b32_e32 v4, 0x1c0, v4
	v_cmp_gt_u32_e64 s[14:15], s7, v4
	s_and_saveexec_b64 s[16:17], s[14:15]
	s_cbranch_execz .LBB295_17
; %bb.16:
	global_load_ubyte v17, v[2:3], off offset:448
.LBB295_17:
	s_or_b64 exec, exec, s[16:17]
	s_load_dword s16, s[4:5], 0x64
	s_load_dword s33, s[4:5], 0x58
	s_add_u32 s17, s4, 0x58
	s_addc_u32 s18, s5, 0
	v_mov_b32_e32 v2, 0
	s_waitcnt lgkmcnt(0)
	s_lshr_b32 s19, s16, 16
	s_cmp_lt_u32 s6, s33
	s_cselect_b32 s16, 12, 18
	s_add_u32 s16, s17, s16
	s_addc_u32 s17, s18, 0
	global_load_ushort v4, v2, s[16:17]
	s_lshl_b32 s16, -1, s45
	s_waitcnt vmcnt(1)
	v_lshrrev_b32_sdwa v20, s44, v7 dst_sel:DWORD dst_unused:UNUSED_PAD src0_sel:DWORD src1_sel:BYTE_0
	s_not_b32 s50, s16
	v_and_b32_e32 v20, s50, v20
	v_and_b32_e32 v22, 1, v20
	v_bfe_u32 v3, v0, 10, 10
	v_bfe_u32 v5, v0, 20, 10
	v_add_co_u32_e64 v23, s[16:17], -1, v22
	v_mad_u32_u24 v5, v5, s19, v3
	v_lshlrev_b32_e32 v3, 30, v20
	v_addc_co_u32_e64 v24, s[16:17], 0, -1, s[16:17]
	v_cmp_ne_u32_e64 s[16:17], 0, v22
	v_cmp_gt_i64_e64 s[18:19], 0, v[2:3]
	v_not_b32_e32 v22, v3
	v_lshlrev_b32_e32 v3, 29, v20
	v_xor_b32_e32 v24, s17, v24
	v_xor_b32_e32 v23, s16, v23
	v_ashrrev_i32_e32 v22, 31, v22
	v_cmp_gt_i64_e64 s[16:17], 0, v[2:3]
	v_not_b32_e32 v25, v3
	v_lshlrev_b32_e32 v3, 28, v20
	v_and_b32_e32 v24, exec_hi, v24
	v_and_b32_e32 v23, exec_lo, v23
	v_xor_b32_e32 v26, s19, v22
	v_xor_b32_e32 v22, s18, v22
	v_ashrrev_i32_e32 v25, 31, v25
	v_cmp_gt_i64_e64 s[18:19], 0, v[2:3]
	v_not_b32_e32 v27, v3
	v_lshlrev_b32_e32 v3, 27, v20
	v_and_b32_e32 v24, v24, v26
	v_and_b32_e32 v22, v23, v22
	v_xor_b32_e32 v23, s17, v25
	v_xor_b32_e32 v25, s16, v25
	v_ashrrev_i32_e32 v26, 31, v27
	v_cmp_gt_i64_e64 s[16:17], 0, v[2:3]
	v_not_b32_e32 v27, v3
	v_lshlrev_b32_e32 v3, 26, v20
	v_and_b32_e32 v23, v24, v23
	v_and_b32_e32 v22, v22, v25
	;; [unrolled: 8-line block ×3, first 2 shown]
	v_xor_b32_e32 v24, s17, v26
	v_xor_b32_e32 v25, s16, v26
	v_ashrrev_i32_e32 v26, 31, v27
	v_cmp_gt_i64_e64 s[16:17], 0, v[2:3]
	v_not_b32_e32 v27, v3
	v_lshlrev_b32_e32 v3, 24, v20
	v_mul_u32_u24_e32 v21, 17, v20
	v_and_b32_e32 v20, v23, v24
	v_and_b32_e32 v22, v22, v25
	v_xor_b32_e32 v23, s19, v26
	v_xor_b32_e32 v24, s18, v26
	v_ashrrev_i32_e32 v25, 31, v27
	v_cmp_gt_i64_e64 s[18:19], 0, v[2:3]
	v_not_b32_e32 v3, v3
	v_and_b32_e32 v20, v20, v23
	v_and_b32_e32 v22, v22, v24
	v_xor_b32_e32 v23, s17, v25
	v_xor_b32_e32 v24, s16, v25
	v_ashrrev_i32_e32 v3, 31, v3
	v_and_b32_e32 v20, v20, v23
	v_and_b32_e32 v22, v22, v24
	v_mul_u32_u24_e32 v19, 5, v10
	v_lshlrev_b32_e32 v19, 2, v19
	ds_write2_b32 v19, v2, v2 offset0:16 offset1:17
	ds_write2_b32 v19, v2, v2 offset0:18 offset1:19
	ds_write_b32 v19, v2 offset:80
	s_waitcnt lgkmcnt(0)
	s_barrier
	s_waitcnt lgkmcnt(0)
	; wave barrier
	s_waitcnt vmcnt(0)
	v_mad_u64_u32 v[4:5], s[16:17], v5, v4, v[10:11]
	v_lshrrev_b32_e32 v24, 6, v4
	v_xor_b32_e32 v4, s19, v3
	v_xor_b32_e32 v3, s18, v3
	v_and_b32_e32 v5, v20, v4
	v_and_b32_e32 v4, v22, v3
	v_mbcnt_lo_u32_b32 v3, v4, 0
	v_mbcnt_hi_u32_b32 v20, v5, v3
	v_cmp_eq_u32_e64 s[16:17], 0, v20
	v_cmp_ne_u64_e64 s[18:19], 0, v[4:5]
	v_add_lshl_u32 v21, v24, v21, 2
	s_and_b64 s[18:19], s[18:19], s[16:17]
	s_and_saveexec_b64 s[16:17], s[18:19]
	s_cbranch_execz .LBB295_19
; %bb.18:
	v_bcnt_u32_b32 v3, v4, 0
	v_bcnt_u32_b32 v3, v5, v3
	ds_write_b32 v21, v3 offset:64
.LBB295_19:
	s_or_b64 exec, exec, s[16:17]
	v_lshrrev_b32_sdwa v3, s44, v6 dst_sel:DWORD dst_unused:UNUSED_PAD src0_sel:DWORD src1_sel:BYTE_0
	v_and_b32_e32 v4, s50, v3
	v_mul_u32_u24_e32 v3, 17, v4
	v_add_lshl_u32 v22, v24, v3, 2
	v_and_b32_e32 v3, 1, v4
	v_add_co_u32_e64 v5, s[16:17], -1, v3
	v_addc_co_u32_e64 v23, s[16:17], 0, -1, s[16:17]
	v_cmp_ne_u32_e64 s[16:17], 0, v3
	v_xor_b32_e32 v3, s17, v23
	v_and_b32_e32 v23, exec_hi, v3
	v_lshlrev_b32_e32 v3, 30, v4
	v_xor_b32_e32 v5, s16, v5
	v_cmp_gt_i64_e64 s[16:17], 0, v[2:3]
	v_not_b32_e32 v3, v3
	v_ashrrev_i32_e32 v3, 31, v3
	v_and_b32_e32 v5, exec_lo, v5
	v_xor_b32_e32 v25, s17, v3
	v_xor_b32_e32 v3, s16, v3
	v_and_b32_e32 v5, v5, v3
	v_lshlrev_b32_e32 v3, 29, v4
	v_cmp_gt_i64_e64 s[16:17], 0, v[2:3]
	v_not_b32_e32 v3, v3
	v_ashrrev_i32_e32 v3, 31, v3
	v_and_b32_e32 v23, v23, v25
	v_xor_b32_e32 v25, s17, v3
	v_xor_b32_e32 v3, s16, v3
	v_and_b32_e32 v5, v5, v3
	v_lshlrev_b32_e32 v3, 28, v4
	v_cmp_gt_i64_e64 s[16:17], 0, v[2:3]
	v_not_b32_e32 v3, v3
	v_ashrrev_i32_e32 v3, 31, v3
	v_and_b32_e32 v23, v23, v25
	;; [unrolled: 8-line block ×5, first 2 shown]
	v_xor_b32_e32 v25, s17, v3
	v_xor_b32_e32 v3, s16, v3
	v_and_b32_e32 v5, v5, v3
	v_lshlrev_b32_e32 v3, 24, v4
	v_cmp_gt_i64_e64 s[16:17], 0, v[2:3]
	v_not_b32_e32 v2, v3
	v_ashrrev_i32_e32 v2, 31, v2
	v_xor_b32_e32 v3, s17, v2
	v_xor_b32_e32 v2, s16, v2
	; wave barrier
	ds_read_b32 v30, v22 offset:64
	v_and_b32_e32 v23, v23, v25
	v_and_b32_e32 v2, v5, v2
	;; [unrolled: 1-line block ×3, first 2 shown]
	v_mbcnt_lo_u32_b32 v4, v2, 0
	v_mbcnt_hi_u32_b32 v31, v3, v4
	v_cmp_eq_u32_e64 s[16:17], 0, v31
	v_cmp_ne_u64_e64 s[18:19], 0, v[2:3]
	s_and_b64 s[18:19], s[18:19], s[16:17]
	; wave barrier
	s_and_saveexec_b64 s[16:17], s[18:19]
	s_cbranch_execz .LBB295_21
; %bb.20:
	v_bcnt_u32_b32 v2, v2, 0
	v_bcnt_u32_b32 v2, v3, v2
	s_waitcnt lgkmcnt(0)
	v_add_u32_e32 v2, v30, v2
	ds_write_b32 v22, v2 offset:64
.LBB295_21:
	s_or_b64 exec, exec, s[16:17]
	v_lshrrev_b32_sdwa v2, s44, v9 dst_sel:DWORD dst_unused:UNUSED_PAD src0_sel:DWORD src1_sel:BYTE_0
	v_and_b32_e32 v4, s50, v2
	v_and_b32_e32 v3, 1, v4
	v_add_co_u32_e64 v5, s[16:17], -1, v3
	v_addc_co_u32_e64 v25, s[16:17], 0, -1, s[16:17]
	v_cmp_ne_u32_e64 s[16:17], 0, v3
	v_mul_u32_u24_e32 v2, 17, v4
	v_xor_b32_e32 v3, s17, v25
	v_add_lshl_u32 v23, v24, v2, 2
	v_mov_b32_e32 v2, 0
	v_and_b32_e32 v25, exec_hi, v3
	v_lshlrev_b32_e32 v3, 30, v4
	v_xor_b32_e32 v5, s16, v5
	v_cmp_gt_i64_e64 s[16:17], 0, v[2:3]
	v_not_b32_e32 v3, v3
	v_ashrrev_i32_e32 v3, 31, v3
	v_and_b32_e32 v5, exec_lo, v5
	v_xor_b32_e32 v26, s17, v3
	v_xor_b32_e32 v3, s16, v3
	v_and_b32_e32 v5, v5, v3
	v_lshlrev_b32_e32 v3, 29, v4
	v_cmp_gt_i64_e64 s[16:17], 0, v[2:3]
	v_not_b32_e32 v3, v3
	v_ashrrev_i32_e32 v3, 31, v3
	v_and_b32_e32 v25, v25, v26
	v_xor_b32_e32 v26, s17, v3
	v_xor_b32_e32 v3, s16, v3
	v_and_b32_e32 v5, v5, v3
	v_lshlrev_b32_e32 v3, 28, v4
	v_cmp_gt_i64_e64 s[16:17], 0, v[2:3]
	v_not_b32_e32 v3, v3
	v_ashrrev_i32_e32 v3, 31, v3
	v_and_b32_e32 v25, v25, v26
	;; [unrolled: 8-line block ×5, first 2 shown]
	v_xor_b32_e32 v26, s17, v3
	v_xor_b32_e32 v3, s16, v3
	v_and_b32_e32 v25, v25, v26
	v_and_b32_e32 v26, v5, v3
	v_lshlrev_b32_e32 v3, 24, v4
	v_cmp_gt_i64_e64 s[16:17], 0, v[2:3]
	v_not_b32_e32 v3, v3
	v_ashrrev_i32_e32 v3, 31, v3
	v_xor_b32_e32 v4, s17, v3
	v_xor_b32_e32 v3, s16, v3
	; wave barrier
	ds_read_b32 v32, v23 offset:64
	v_and_b32_e32 v5, v25, v4
	v_and_b32_e32 v4, v26, v3
	v_mbcnt_lo_u32_b32 v3, v4, 0
	v_mbcnt_hi_u32_b32 v33, v5, v3
	v_cmp_eq_u32_e64 s[16:17], 0, v33
	v_cmp_ne_u64_e64 s[18:19], 0, v[4:5]
	s_and_b64 s[18:19], s[18:19], s[16:17]
	; wave barrier
	s_and_saveexec_b64 s[16:17], s[18:19]
	s_cbranch_execz .LBB295_23
; %bb.22:
	v_bcnt_u32_b32 v3, v4, 0
	v_bcnt_u32_b32 v3, v5, v3
	s_waitcnt lgkmcnt(0)
	v_add_u32_e32 v3, v32, v3
	ds_write_b32 v23, v3 offset:64
.LBB295_23:
	s_or_b64 exec, exec, s[16:17]
	v_lshrrev_b32_sdwa v3, s44, v8 dst_sel:DWORD dst_unused:UNUSED_PAD src0_sel:DWORD src1_sel:BYTE_0
	v_and_b32_e32 v4, s50, v3
	v_mul_u32_u24_e32 v3, 17, v4
	v_add_lshl_u32 v25, v24, v3, 2
	v_and_b32_e32 v3, 1, v4
	v_add_co_u32_e64 v5, s[16:17], -1, v3
	v_addc_co_u32_e64 v26, s[16:17], 0, -1, s[16:17]
	v_cmp_ne_u32_e64 s[16:17], 0, v3
	v_xor_b32_e32 v3, s17, v26
	v_and_b32_e32 v26, exec_hi, v3
	v_lshlrev_b32_e32 v3, 30, v4
	v_xor_b32_e32 v5, s16, v5
	v_cmp_gt_i64_e64 s[16:17], 0, v[2:3]
	v_not_b32_e32 v3, v3
	v_ashrrev_i32_e32 v3, 31, v3
	v_and_b32_e32 v5, exec_lo, v5
	v_xor_b32_e32 v27, s17, v3
	v_xor_b32_e32 v3, s16, v3
	v_and_b32_e32 v5, v5, v3
	v_lshlrev_b32_e32 v3, 29, v4
	v_cmp_gt_i64_e64 s[16:17], 0, v[2:3]
	v_not_b32_e32 v3, v3
	v_ashrrev_i32_e32 v3, 31, v3
	v_and_b32_e32 v26, v26, v27
	v_xor_b32_e32 v27, s17, v3
	v_xor_b32_e32 v3, s16, v3
	v_and_b32_e32 v5, v5, v3
	v_lshlrev_b32_e32 v3, 28, v4
	v_cmp_gt_i64_e64 s[16:17], 0, v[2:3]
	v_not_b32_e32 v3, v3
	v_ashrrev_i32_e32 v3, 31, v3
	v_and_b32_e32 v26, v26, v27
	;; [unrolled: 8-line block ×5, first 2 shown]
	v_xor_b32_e32 v27, s17, v3
	v_xor_b32_e32 v3, s16, v3
	v_and_b32_e32 v5, v5, v3
	v_lshlrev_b32_e32 v3, 24, v4
	v_cmp_gt_i64_e64 s[16:17], 0, v[2:3]
	v_not_b32_e32 v2, v3
	v_ashrrev_i32_e32 v2, 31, v2
	v_xor_b32_e32 v3, s17, v2
	v_xor_b32_e32 v2, s16, v2
	; wave barrier
	ds_read_b32 v34, v25 offset:64
	v_and_b32_e32 v26, v26, v27
	v_and_b32_e32 v2, v5, v2
	;; [unrolled: 1-line block ×3, first 2 shown]
	v_mbcnt_lo_u32_b32 v4, v2, 0
	v_mbcnt_hi_u32_b32 v35, v3, v4
	v_cmp_eq_u32_e64 s[16:17], 0, v35
	v_cmp_ne_u64_e64 s[18:19], 0, v[2:3]
	s_and_b64 s[18:19], s[18:19], s[16:17]
	; wave barrier
	s_and_saveexec_b64 s[16:17], s[18:19]
	s_cbranch_execz .LBB295_25
; %bb.24:
	v_bcnt_u32_b32 v2, v2, 0
	v_bcnt_u32_b32 v2, v3, v2
	s_waitcnt lgkmcnt(0)
	v_add_u32_e32 v2, v34, v2
	ds_write_b32 v25, v2 offset:64
.LBB295_25:
	s_or_b64 exec, exec, s[16:17]
	v_lshrrev_b32_sdwa v2, s44, v16 dst_sel:DWORD dst_unused:UNUSED_PAD src0_sel:DWORD src1_sel:BYTE_0
	v_and_b32_e32 v4, s50, v2
	v_and_b32_e32 v3, 1, v4
	v_add_co_u32_e64 v5, s[16:17], -1, v3
	v_addc_co_u32_e64 v27, s[16:17], 0, -1, s[16:17]
	v_cmp_ne_u32_e64 s[16:17], 0, v3
	v_mul_u32_u24_e32 v2, 17, v4
	v_xor_b32_e32 v3, s17, v27
	v_add_lshl_u32 v26, v24, v2, 2
	v_mov_b32_e32 v2, 0
	v_and_b32_e32 v27, exec_hi, v3
	v_lshlrev_b32_e32 v3, 30, v4
	v_xor_b32_e32 v5, s16, v5
	v_cmp_gt_i64_e64 s[16:17], 0, v[2:3]
	v_not_b32_e32 v3, v3
	v_ashrrev_i32_e32 v3, 31, v3
	v_and_b32_e32 v5, exec_lo, v5
	v_xor_b32_e32 v28, s17, v3
	v_xor_b32_e32 v3, s16, v3
	v_and_b32_e32 v5, v5, v3
	v_lshlrev_b32_e32 v3, 29, v4
	v_cmp_gt_i64_e64 s[16:17], 0, v[2:3]
	v_not_b32_e32 v3, v3
	v_ashrrev_i32_e32 v3, 31, v3
	v_and_b32_e32 v27, v27, v28
	v_xor_b32_e32 v28, s17, v3
	v_xor_b32_e32 v3, s16, v3
	v_and_b32_e32 v5, v5, v3
	v_lshlrev_b32_e32 v3, 28, v4
	v_cmp_gt_i64_e64 s[16:17], 0, v[2:3]
	v_not_b32_e32 v3, v3
	v_ashrrev_i32_e32 v3, 31, v3
	v_and_b32_e32 v27, v27, v28
	;; [unrolled: 8-line block ×5, first 2 shown]
	v_xor_b32_e32 v28, s17, v3
	v_xor_b32_e32 v3, s16, v3
	v_and_b32_e32 v27, v27, v28
	v_and_b32_e32 v28, v5, v3
	v_lshlrev_b32_e32 v3, 24, v4
	v_cmp_gt_i64_e64 s[16:17], 0, v[2:3]
	v_not_b32_e32 v3, v3
	v_ashrrev_i32_e32 v3, 31, v3
	v_xor_b32_e32 v4, s17, v3
	v_xor_b32_e32 v3, s16, v3
	; wave barrier
	ds_read_b32 v36, v26 offset:64
	v_and_b32_e32 v5, v27, v4
	v_and_b32_e32 v4, v28, v3
	v_mbcnt_lo_u32_b32 v3, v4, 0
	v_mbcnt_hi_u32_b32 v37, v5, v3
	v_cmp_eq_u32_e64 s[16:17], 0, v37
	v_cmp_ne_u64_e64 s[18:19], 0, v[4:5]
	s_and_b64 s[18:19], s[18:19], s[16:17]
	; wave barrier
	s_and_saveexec_b64 s[16:17], s[18:19]
	s_cbranch_execz .LBB295_27
; %bb.26:
	v_bcnt_u32_b32 v3, v4, 0
	v_bcnt_u32_b32 v3, v5, v3
	s_waitcnt lgkmcnt(0)
	v_add_u32_e32 v3, v36, v3
	ds_write_b32 v26, v3 offset:64
.LBB295_27:
	s_or_b64 exec, exec, s[16:17]
	v_lshrrev_b32_sdwa v3, s44, v13 dst_sel:DWORD dst_unused:UNUSED_PAD src0_sel:DWORD src1_sel:BYTE_0
	v_and_b32_e32 v4, s50, v3
	v_mul_u32_u24_e32 v3, 17, v4
	v_add_lshl_u32 v27, v24, v3, 2
	v_and_b32_e32 v3, 1, v4
	v_add_co_u32_e64 v5, s[16:17], -1, v3
	v_addc_co_u32_e64 v28, s[16:17], 0, -1, s[16:17]
	v_cmp_ne_u32_e64 s[16:17], 0, v3
	v_xor_b32_e32 v3, s17, v28
	v_and_b32_e32 v28, exec_hi, v3
	v_lshlrev_b32_e32 v3, 30, v4
	v_xor_b32_e32 v5, s16, v5
	v_cmp_gt_i64_e64 s[16:17], 0, v[2:3]
	v_not_b32_e32 v3, v3
	v_ashrrev_i32_e32 v3, 31, v3
	v_and_b32_e32 v5, exec_lo, v5
	v_xor_b32_e32 v29, s17, v3
	v_xor_b32_e32 v3, s16, v3
	v_and_b32_e32 v5, v5, v3
	v_lshlrev_b32_e32 v3, 29, v4
	v_cmp_gt_i64_e64 s[16:17], 0, v[2:3]
	v_not_b32_e32 v3, v3
	v_ashrrev_i32_e32 v3, 31, v3
	v_and_b32_e32 v28, v28, v29
	v_xor_b32_e32 v29, s17, v3
	v_xor_b32_e32 v3, s16, v3
	v_and_b32_e32 v5, v5, v3
	v_lshlrev_b32_e32 v3, 28, v4
	v_cmp_gt_i64_e64 s[16:17], 0, v[2:3]
	v_not_b32_e32 v3, v3
	v_ashrrev_i32_e32 v3, 31, v3
	v_and_b32_e32 v28, v28, v29
	;; [unrolled: 8-line block ×5, first 2 shown]
	v_xor_b32_e32 v29, s17, v3
	v_xor_b32_e32 v3, s16, v3
	v_and_b32_e32 v5, v5, v3
	v_lshlrev_b32_e32 v3, 24, v4
	v_cmp_gt_i64_e64 s[16:17], 0, v[2:3]
	v_not_b32_e32 v2, v3
	v_ashrrev_i32_e32 v2, 31, v2
	v_xor_b32_e32 v3, s17, v2
	v_xor_b32_e32 v2, s16, v2
	; wave barrier
	ds_read_b32 v38, v27 offset:64
	v_and_b32_e32 v28, v28, v29
	v_and_b32_e32 v2, v5, v2
	;; [unrolled: 1-line block ×3, first 2 shown]
	v_mbcnt_lo_u32_b32 v4, v2, 0
	v_mbcnt_hi_u32_b32 v39, v3, v4
	v_cmp_eq_u32_e64 s[16:17], 0, v39
	v_cmp_ne_u64_e64 s[18:19], 0, v[2:3]
	s_and_b64 s[18:19], s[18:19], s[16:17]
	; wave barrier
	s_and_saveexec_b64 s[16:17], s[18:19]
	s_cbranch_execz .LBB295_29
; %bb.28:
	v_bcnt_u32_b32 v2, v2, 0
	v_bcnt_u32_b32 v2, v3, v2
	s_waitcnt lgkmcnt(0)
	v_add_u32_e32 v2, v38, v2
	ds_write_b32 v27, v2 offset:64
.LBB295_29:
	s_or_b64 exec, exec, s[16:17]
	v_lshrrev_b32_sdwa v2, s44, v18 dst_sel:DWORD dst_unused:UNUSED_PAD src0_sel:DWORD src1_sel:BYTE_0
	v_and_b32_e32 v4, s50, v2
	v_and_b32_e32 v3, 1, v4
	v_add_co_u32_e64 v5, s[16:17], -1, v3
	v_addc_co_u32_e64 v29, s[16:17], 0, -1, s[16:17]
	v_cmp_ne_u32_e64 s[16:17], 0, v3
	v_mul_u32_u24_e32 v2, 17, v4
	v_xor_b32_e32 v3, s17, v29
	v_add_lshl_u32 v28, v24, v2, 2
	v_mov_b32_e32 v2, 0
	v_and_b32_e32 v29, exec_hi, v3
	v_lshlrev_b32_e32 v3, 30, v4
	v_xor_b32_e32 v5, s16, v5
	v_cmp_gt_i64_e64 s[16:17], 0, v[2:3]
	v_not_b32_e32 v3, v3
	v_ashrrev_i32_e32 v3, 31, v3
	v_and_b32_e32 v5, exec_lo, v5
	v_xor_b32_e32 v41, s17, v3
	v_xor_b32_e32 v3, s16, v3
	v_and_b32_e32 v5, v5, v3
	v_lshlrev_b32_e32 v3, 29, v4
	v_cmp_gt_i64_e64 s[16:17], 0, v[2:3]
	v_not_b32_e32 v3, v3
	v_ashrrev_i32_e32 v3, 31, v3
	v_and_b32_e32 v29, v29, v41
	v_xor_b32_e32 v41, s17, v3
	v_xor_b32_e32 v3, s16, v3
	v_and_b32_e32 v5, v5, v3
	v_lshlrev_b32_e32 v3, 28, v4
	v_cmp_gt_i64_e64 s[16:17], 0, v[2:3]
	v_not_b32_e32 v3, v3
	v_ashrrev_i32_e32 v3, 31, v3
	v_and_b32_e32 v29, v29, v41
	;; [unrolled: 8-line block ×5, first 2 shown]
	v_xor_b32_e32 v41, s17, v3
	v_xor_b32_e32 v3, s16, v3
	v_and_b32_e32 v29, v29, v41
	v_and_b32_e32 v41, v5, v3
	v_lshlrev_b32_e32 v3, 24, v4
	v_cmp_gt_i64_e64 s[16:17], 0, v[2:3]
	v_not_b32_e32 v3, v3
	v_ashrrev_i32_e32 v3, 31, v3
	v_xor_b32_e32 v4, s17, v3
	v_xor_b32_e32 v3, s16, v3
	; wave barrier
	ds_read_b32 v40, v28 offset:64
	v_and_b32_e32 v5, v29, v4
	v_and_b32_e32 v4, v41, v3
	v_mbcnt_lo_u32_b32 v3, v4, 0
	v_mbcnt_hi_u32_b32 v41, v5, v3
	v_cmp_eq_u32_e64 s[16:17], 0, v41
	v_cmp_ne_u64_e64 s[18:19], 0, v[4:5]
	s_and_b64 s[18:19], s[18:19], s[16:17]
	; wave barrier
	s_and_saveexec_b64 s[16:17], s[18:19]
	s_cbranch_execz .LBB295_31
; %bb.30:
	v_bcnt_u32_b32 v3, v4, 0
	v_bcnt_u32_b32 v3, v5, v3
	s_waitcnt lgkmcnt(0)
	v_add_u32_e32 v3, v40, v3
	ds_write_b32 v28, v3 offset:64
.LBB295_31:
	s_or_b64 exec, exec, s[16:17]
	v_lshrrev_b32_sdwa v3, s44, v17 dst_sel:DWORD dst_unused:UNUSED_PAD src0_sel:DWORD src1_sel:BYTE_0
	v_and_b32_e32 v4, s50, v3
	v_mul_u32_u24_e32 v3, 17, v4
	v_add_lshl_u32 v29, v24, v3, 2
	v_and_b32_e32 v3, 1, v4
	v_add_co_u32_e64 v5, s[16:17], -1, v3
	v_addc_co_u32_e64 v24, s[16:17], 0, -1, s[16:17]
	v_cmp_ne_u32_e64 s[16:17], 0, v3
	v_xor_b32_e32 v3, s17, v24
	v_and_b32_e32 v24, exec_hi, v3
	v_lshlrev_b32_e32 v3, 30, v4
	v_xor_b32_e32 v5, s16, v5
	v_cmp_gt_i64_e64 s[16:17], 0, v[2:3]
	v_not_b32_e32 v3, v3
	v_ashrrev_i32_e32 v3, 31, v3
	v_and_b32_e32 v5, exec_lo, v5
	v_xor_b32_e32 v44, s17, v3
	v_xor_b32_e32 v3, s16, v3
	v_and_b32_e32 v5, v5, v3
	v_lshlrev_b32_e32 v3, 29, v4
	v_cmp_gt_i64_e64 s[16:17], 0, v[2:3]
	v_not_b32_e32 v3, v3
	v_ashrrev_i32_e32 v3, 31, v3
	v_and_b32_e32 v24, v24, v44
	v_xor_b32_e32 v44, s17, v3
	v_xor_b32_e32 v3, s16, v3
	v_and_b32_e32 v5, v5, v3
	v_lshlrev_b32_e32 v3, 28, v4
	v_cmp_gt_i64_e64 s[16:17], 0, v[2:3]
	v_not_b32_e32 v3, v3
	v_ashrrev_i32_e32 v3, 31, v3
	v_and_b32_e32 v24, v24, v44
	;; [unrolled: 8-line block ×5, first 2 shown]
	v_xor_b32_e32 v44, s17, v3
	v_xor_b32_e32 v3, s16, v3
	v_and_b32_e32 v5, v5, v3
	v_lshlrev_b32_e32 v3, 24, v4
	v_cmp_gt_i64_e64 s[16:17], 0, v[2:3]
	v_not_b32_e32 v2, v3
	v_ashrrev_i32_e32 v2, 31, v2
	v_xor_b32_e32 v3, s17, v2
	v_xor_b32_e32 v2, s16, v2
	; wave barrier
	ds_read_b32 v42, v29 offset:64
	v_and_b32_e32 v24, v24, v44
	v_and_b32_e32 v2, v5, v2
	;; [unrolled: 1-line block ×3, first 2 shown]
	v_mbcnt_lo_u32_b32 v4, v2, 0
	v_mbcnt_hi_u32_b32 v45, v3, v4
	v_cmp_eq_u32_e64 s[16:17], 0, v45
	v_cmp_ne_u64_e64 s[18:19], 0, v[2:3]
	v_add_u32_e32 v43, 64, v19
	s_and_b64 s[18:19], s[18:19], s[16:17]
	; wave barrier
	s_and_saveexec_b64 s[16:17], s[18:19]
	s_cbranch_execz .LBB295_33
; %bb.32:
	v_bcnt_u32_b32 v2, v2, 0
	v_bcnt_u32_b32 v2, v3, v2
	s_waitcnt lgkmcnt(0)
	v_add_u32_e32 v2, v42, v2
	ds_write_b32 v29, v2 offset:64
.LBB295_33:
	s_or_b64 exec, exec, s[16:17]
	; wave barrier
	s_waitcnt lgkmcnt(0)
	s_barrier
	ds_read2_b32 v[4:5], v19 offset0:16 offset1:17
	ds_read2_b32 v[2:3], v43 offset0:2 offset1:3
	ds_read_b32 v24, v43 offset:16
	v_cmp_lt_u32_e64 s[26:27], 31, v15
	s_waitcnt lgkmcnt(1)
	v_add3_u32 v44, v5, v4, v2
	s_waitcnt lgkmcnt(0)
	v_add3_u32 v24, v44, v3, v24
	v_and_b32_e32 v44, 15, v15
	v_cmp_eq_u32_e64 s[16:17], 0, v44
	v_mov_b32_dpp v46, v24 row_shr:1 row_mask:0xf bank_mask:0xf
	v_cndmask_b32_e64 v46, v46, 0, s[16:17]
	v_add_u32_e32 v24, v46, v24
	v_cmp_lt_u32_e64 s[18:19], 1, v44
	v_cmp_lt_u32_e64 s[20:21], 3, v44
	v_mov_b32_dpp v46, v24 row_shr:2 row_mask:0xf bank_mask:0xf
	v_cndmask_b32_e64 v46, 0, v46, s[18:19]
	v_add_u32_e32 v24, v24, v46
	v_cmp_lt_u32_e64 s[22:23], 7, v44
	s_nop 0
	v_mov_b32_dpp v46, v24 row_shr:4 row_mask:0xf bank_mask:0xf
	v_cndmask_b32_e64 v46, 0, v46, s[20:21]
	v_add_u32_e32 v24, v24, v46
	s_nop 1
	v_mov_b32_dpp v46, v24 row_shr:8 row_mask:0xf bank_mask:0xf
	v_cndmask_b32_e64 v44, 0, v46, s[22:23]
	v_add_u32_e32 v24, v24, v44
	v_bfe_i32 v46, v15, 4, 1
	s_nop 0
	v_mov_b32_dpp v44, v24 row_bcast:15 row_mask:0xf bank_mask:0xf
	v_and_b32_e32 v44, v46, v44
	v_add_u32_e32 v24, v24, v44
	v_lshrrev_b32_e32 v46, 6, v10
	s_nop 0
	v_mov_b32_dpp v44, v24 row_bcast:31 row_mask:0xf bank_mask:0xf
	v_cndmask_b32_e64 v44, 0, v44, s[26:27]
	v_add_u32_e32 v44, v24, v44
	v_and_b32_e32 v24, 63, v10
	v_cmp_eq_u32_e64 s[26:27], 63, v24
	s_and_saveexec_b64 s[48:49], s[26:27]
	s_cbranch_execz .LBB295_35
; %bb.34:
	v_lshlrev_b32_e32 v24, 2, v46
	ds_write_b32 v24, v44
.LBB295_35:
	s_or_b64 exec, exec, s[48:49]
	v_cmp_gt_u32_e64 s[26:27], 16, v10
	v_lshlrev_b32_e32 v24, 2, v10
	s_waitcnt lgkmcnt(0)
	s_barrier
	s_and_saveexec_b64 s[48:49], s[26:27]
	s_cbranch_execz .LBB295_37
; %bb.36:
	ds_read_b32 v47, v24
	s_waitcnt lgkmcnt(0)
	s_nop 0
	v_mov_b32_dpp v48, v47 row_shr:1 row_mask:0xf bank_mask:0xf
	v_cndmask_b32_e64 v48, v48, 0, s[16:17]
	v_add_u32_e32 v47, v48, v47
	s_nop 1
	v_mov_b32_dpp v48, v47 row_shr:2 row_mask:0xf bank_mask:0xf
	v_cndmask_b32_e64 v48, 0, v48, s[18:19]
	v_add_u32_e32 v47, v47, v48
	;; [unrolled: 4-line block ×4, first 2 shown]
	ds_write_b32 v24, v47
.LBB295_37:
	s_or_b64 exec, exec, s[48:49]
	v_cmp_lt_u32_e64 s[16:17], 63, v10
	v_mov_b32_e32 v47, 0
	s_waitcnt lgkmcnt(0)
	s_barrier
	s_and_saveexec_b64 s[18:19], s[16:17]
	s_cbranch_execz .LBB295_39
; %bb.38:
	v_lshl_add_u32 v46, v46, 2, -4
	ds_read_b32 v47, v46
.LBB295_39:
	s_or_b64 exec, exec, s[18:19]
	v_add_u32_e32 v46, -1, v15
	v_and_b32_e32 v48, 64, v15
	v_cmp_lt_i32_e64 s[16:17], v46, v48
	v_cndmask_b32_e64 v46, v46, v15, s[16:17]
	s_waitcnt lgkmcnt(0)
	v_add_u32_e32 v44, v47, v44
	v_lshlrev_b32_e32 v46, 2, v46
	ds_bpermute_b32 v44, v46, v44
	v_cmp_eq_u32_e64 s[16:17], 0, v15
	s_waitcnt lgkmcnt(0)
	v_cndmask_b32_e64 v15, v44, v47, s[16:17]
	v_cmp_ne_u32_e64 s[16:17], 0, v10
	v_cndmask_b32_e64 v15, 0, v15, s[16:17]
	v_add_u32_e32 v4, v15, v4
	v_add_u32_e32 v5, v4, v5
	;; [unrolled: 1-line block ×4, first 2 shown]
	ds_write2_b32 v19, v15, v4 offset0:16 offset1:17
	ds_write2_b32 v43, v5, v2 offset0:2 offset1:3
	ds_write_b32 v43, v3 offset:16
	s_waitcnt lgkmcnt(0)
	s_barrier
	ds_read_b32 v2, v21 offset:64
	ds_read_b32 v47, v22 offset:64
	;; [unrolled: 1-line block ×8, first 2 shown]
	s_movk_i32 s16, 0x100
	v_cmp_gt_u32_e64 s[16:17], s16, v10
                                        ; implicit-def: $vgpr43
                                        ; implicit-def: $vgpr44
	s_and_saveexec_b64 s[20:21], s[16:17]
	s_cbranch_execz .LBB295_43
; %bb.40:
	v_mul_u32_u24_e32 v3, 17, v10
	v_lshlrev_b32_e32 v4, 2, v3
	ds_read_b32 v43, v4 offset:64
	s_movk_i32 s18, 0xff
	v_cmp_ne_u32_e64 s[18:19], s18, v10
	v_mov_b32_e32 v3, 0x2000
	s_and_saveexec_b64 s[22:23], s[18:19]
	s_cbranch_execz .LBB295_42
; %bb.41:
	ds_read_b32 v3, v4 offset:132
.LBB295_42:
	s_or_b64 exec, exec, s[22:23]
	s_waitcnt lgkmcnt(0)
	v_sub_u32_e32 v44, v3, v43
.LBB295_43:
	s_or_b64 exec, exec, s[20:21]
	s_waitcnt lgkmcnt(7)
	v_add_u32_e32 v46, v2, v20
	s_waitcnt lgkmcnt(6)
	v_add3_u32 v2, v31, v30, v47
	s_waitcnt lgkmcnt(5)
	v_add3_u32 v3, v33, v32, v48
	;; [unrolled: 2-line block ×7, first 2 shown]
	s_barrier
	ds_write_b8 v46, v7 offset:1024
	ds_write_b8 v2, v6 offset:1024
	ds_write_b8 v3, v9 offset:1024
	ds_write_b8 v4, v8 offset:1024
	ds_write_b8 v5, v16 offset:1024
	ds_write_b8 v15, v13 offset:1024
	ds_write_b8 v19, v18 offset:1024
	ds_write_b8 v20, v17 offset:1024
	s_and_saveexec_b64 s[20:21], s[16:17]
	s_cbranch_execz .LBB295_53
; %bb.44:
	v_lshl_or_b32 v2, s6, 8, v10
	v_mov_b32_e32 v3, 0
	v_lshlrev_b64 v[4:5], 2, v[2:3]
	v_mov_b32_e32 v8, s35
	v_add_co_u32_e64 v4, s[18:19], s34, v4
	v_addc_co_u32_e64 v5, s[18:19], v8, v5, s[18:19]
	v_or_b32_e32 v2, 2.0, v44
	s_mov_b64 s[22:23], 0
	s_brev_b32 s51, 1
	s_mov_b32 s52, s6
	v_mov_b32_e32 v9, 0
	global_store_dword v[4:5], v2, off
                                        ; implicit-def: $sgpr18_sgpr19
	s_branch .LBB295_46
.LBB295_45:                             ;   in Loop: Header=BB295_46 Depth=1
	s_or_b64 exec, exec, s[26:27]
	v_and_b32_e32 v6, 0x3fffffff, v13
	v_add_u32_e32 v9, v6, v9
	v_cmp_eq_u32_e64 s[18:19], s51, v2
	s_and_b64 s[26:27], exec, s[18:19]
	s_or_b64 s[22:23], s[26:27], s[22:23]
	s_andn2_b64 exec, exec, s[22:23]
	s_cbranch_execz .LBB295_52
.LBB295_46:                             ; =>This Loop Header: Depth=1
                                        ;     Child Loop BB295_49 Depth 2
	s_or_b64 s[18:19], s[18:19], exec
	s_cmp_eq_u32 s52, 0
	s_cbranch_scc1 .LBB295_51
; %bb.47:                               ;   in Loop: Header=BB295_46 Depth=1
	s_add_i32 s52, s52, -1
	v_lshl_or_b32 v2, s52, 8, v10
	v_lshlrev_b64 v[6:7], 2, v[2:3]
	v_add_co_u32_e64 v6, s[18:19], s34, v6
	v_addc_co_u32_e64 v7, s[18:19], v8, v7, s[18:19]
	global_load_dword v13, v[6:7], off glc
	s_waitcnt vmcnt(0)
	v_and_b32_e32 v2, -2.0, v13
	v_cmp_eq_u32_e64 s[18:19], 0, v2
	s_and_saveexec_b64 s[26:27], s[18:19]
	s_cbranch_execz .LBB295_45
; %bb.48:                               ;   in Loop: Header=BB295_46 Depth=1
	s_mov_b64 s[48:49], 0
.LBB295_49:                             ;   Parent Loop BB295_46 Depth=1
                                        ; =>  This Inner Loop Header: Depth=2
	global_load_dword v13, v[6:7], off glc
	s_waitcnt vmcnt(0)
	v_and_b32_e32 v2, -2.0, v13
	v_cmp_ne_u32_e64 s[18:19], 0, v2
	s_or_b64 s[48:49], s[18:19], s[48:49]
	s_andn2_b64 exec, exec, s[48:49]
	s_cbranch_execnz .LBB295_49
; %bb.50:                               ;   in Loop: Header=BB295_46 Depth=1
	s_or_b64 exec, exec, s[48:49]
	s_branch .LBB295_45
.LBB295_51:                             ;   in Loop: Header=BB295_46 Depth=1
                                        ; implicit-def: $sgpr52
	s_and_b64 s[26:27], exec, s[18:19]
	s_or_b64 s[22:23], s[26:27], s[22:23]
	s_andn2_b64 exec, exec, s[22:23]
	s_cbranch_execnz .LBB295_46
.LBB295_52:
	s_or_b64 exec, exec, s[22:23]
	v_add_u32_e32 v2, v9, v44
	v_or_b32_e32 v2, 0x80000000, v2
	global_store_dword v[4:5], v2, off
	global_load_dword v2, v24, s[28:29]
	v_sub_u32_e32 v3, v9, v43
	s_waitcnt vmcnt(0)
	v_add_u32_e32 v2, v3, v2
	ds_write_b32 v24, v2
.LBB295_53:
	s_or_b64 exec, exec, s[20:21]
	v_cmp_gt_u32_e64 s[18:19], s7, v10
	s_waitcnt lgkmcnt(0)
	s_barrier
	s_waitcnt lgkmcnt(0)
                                        ; implicit-def: $vgpr2_vgpr3_vgpr4_vgpr5_vgpr6_vgpr7_vgpr8_vgpr9
	s_and_saveexec_b64 s[20:21], s[18:19]
	s_cbranch_execz .LBB295_55
; %bb.54:
	ds_read_u8 v3, v10 offset:1024
	s_waitcnt lgkmcnt(0)
	v_lshrrev_b32_sdwa v2, s44, v3 dst_sel:DWORD dst_unused:UNUSED_PAD src0_sel:DWORD src1_sel:BYTE_0
	v_and_b32_e32 v2, s50, v2
	v_lshlrev_b32_e32 v4, 2, v2
	ds_read_b32 v4, v4
	s_waitcnt lgkmcnt(0)
	v_add_u32_e32 v4, v4, v10
	global_store_byte v4, v3, s[38:39]
.LBB295_55:
	s_or_b64 exec, exec, s[20:21]
	v_or_b32_e32 v13, 0x400, v10
	v_cmp_gt_u32_e64 s[18:19], s7, v13
	s_and_saveexec_b64 s[20:21], s[18:19]
	s_cbranch_execz .LBB295_57
; %bb.56:
	ds_read_u8 v15, v10 offset:2048
	s_waitcnt lgkmcnt(0)
	v_lshrrev_b32_sdwa v3, s44, v15 dst_sel:DWORD dst_unused:UNUSED_PAD src0_sel:DWORD src1_sel:BYTE_0
	v_and_b32_e32 v3, s50, v3
	v_lshlrev_b32_e32 v16, 2, v3
	ds_read_b32 v16, v16
	s_waitcnt lgkmcnt(0)
	v_add_u32_e32 v13, v16, v13
	global_store_byte v13, v15, s[38:39]
.LBB295_57:
	s_or_b64 exec, exec, s[20:21]
	v_or_b32_e32 v13, 0x800, v10
	v_cmp_gt_u32_e64 s[18:19], s7, v13
	;; [unrolled: 16-line block ×7, first 2 shown]
	s_and_saveexec_b64 s[20:21], s[18:19]
	s_cbranch_execz .LBB295_69
; %bb.68:
	ds_read_u8 v15, v10 offset:8192
	s_waitcnt lgkmcnt(0)
	v_lshrrev_b32_sdwa v9, s44, v15 dst_sel:DWORD dst_unused:UNUSED_PAD src0_sel:DWORD src1_sel:BYTE_0
	v_and_b32_e32 v9, s50, v9
	v_lshlrev_b32_e32 v16, 2, v9
	ds_read_b32 v16, v16
	s_waitcnt lgkmcnt(0)
	v_add_u32_e32 v13, v16, v13
	global_store_byte v13, v15, s[38:39]
.LBB295_69:
	s_or_b64 exec, exec, s[20:21]
	s_lshl_b64 s[18:19], s[46:47], 3
	s_add_u32 s18, s40, s18
	s_addc_u32 s19, s41, s19
	v_lshlrev_b32_e32 v13, 3, v14
	v_mov_b32_e32 v14, s19
	v_add_co_u32_e64 v13, s[18:19], s18, v13
	v_addc_co_u32_e64 v14, s[18:19], 0, v14, s[18:19]
	v_lshlrev_b32_e32 v12, 3, v12
	v_add_co_u32_e64 v28, s[18:19], v13, v12
	v_addc_co_u32_e64 v29, s[18:19], 0, v14, s[18:19]
                                        ; implicit-def: $vgpr12_vgpr13
	s_and_saveexec_b64 s[18:19], vcc
	s_xor_b64 s[18:19], exec, s[18:19]
	s_cbranch_execnz .LBB295_134
; %bb.70:
	s_or_b64 exec, exec, s[18:19]
                                        ; implicit-def: $vgpr14_vgpr15
	s_and_saveexec_b64 s[18:19], s[0:1]
	s_cbranch_execnz .LBB295_135
.LBB295_71:
	s_or_b64 exec, exec, s[18:19]
                                        ; implicit-def: $vgpr16_vgpr17
	s_and_saveexec_b64 s[0:1], s[2:3]
	s_cbranch_execnz .LBB295_136
.LBB295_72:
	s_or_b64 exec, exec, s[0:1]
                                        ; implicit-def: $vgpr18_vgpr19
	s_and_saveexec_b64 s[0:1], s[24:25]
	s_cbranch_execnz .LBB295_137
.LBB295_73:
	s_or_b64 exec, exec, s[0:1]
                                        ; implicit-def: $vgpr20_vgpr21
	s_and_saveexec_b64 s[0:1], s[8:9]
	s_cbranch_execnz .LBB295_138
.LBB295_74:
	s_or_b64 exec, exec, s[0:1]
                                        ; implicit-def: $vgpr22_vgpr23
	s_and_saveexec_b64 s[0:1], s[10:11]
	s_cbranch_execnz .LBB295_139
.LBB295_75:
	s_or_b64 exec, exec, s[0:1]
                                        ; implicit-def: $vgpr24_vgpr25
	s_and_saveexec_b64 s[0:1], s[12:13]
	s_cbranch_execnz .LBB295_140
.LBB295_76:
	s_or_b64 exec, exec, s[0:1]
                                        ; implicit-def: $vgpr26_vgpr27
	s_and_saveexec_b64 s[0:1], s[14:15]
	s_cbranch_execz .LBB295_78
.LBB295_77:
	global_load_dwordx2 v[26:27], v[28:29], off offset:3584
.LBB295_78:
	s_or_b64 exec, exec, s[0:1]
	s_movk_i32 s2, 0x400
	v_add_u32_e32 v54, 0x400, v11
	v_add3_u32 v42, v45, v53, v42
	v_add3_u32 v40, v41, v52, v40
	;; [unrolled: 1-line block ×7, first 2 shown]
	s_mov_b32 s3, 0
	v_mov_b32_e32 v29, 0
	s_mov_b32 s8, 0
	v_mov_b32_e32 v31, v10
	s_barrier
	s_waitcnt vmcnt(0)
	s_branch .LBB295_80
.LBB295_79:                             ;   in Loop: Header=BB295_80 Depth=1
	s_or_b64 exec, exec, s[0:1]
	s_addk_i32 s8, 0xf800
	s_add_i32 s3, s3, 2
	s_cmpk_eq_i32 s8, 0xe000
	v_add_u32_e32 v31, 0x800, v31
	s_barrier
	s_cbranch_scc1 .LBB295_85
.LBB295_80:                             ; =>This Inner Loop Header: Depth=1
	v_add_u32_e32 v28, s8, v46
	v_min_u32_e32 v28, 0x800, v28
	v_lshlrev_b32_e32 v28, 3, v28
	ds_write_b64 v28, v[12:13] offset:1024
	v_add_u32_e32 v28, s8, v30
	v_min_u32_e32 v28, 0x800, v28
	v_lshlrev_b32_e32 v28, 3, v28
	ds_write_b64 v28, v[14:15] offset:1024
	;; [unrolled: 4-line block ×7, first 2 shown]
	v_add_u32_e32 v28, s8, v42
	v_min_u32_e32 v28, 0x800, v28
	v_lshlrev_b32_e32 v28, 3, v28
	v_cmp_gt_u32_e32 vcc, s7, v31
	ds_write_b64 v28, v[26:27] offset:1024
	s_waitcnt lgkmcnt(0)
	s_barrier
	s_and_saveexec_b64 s[0:1], vcc
	s_cbranch_execz .LBB295_82
; %bb.81:                               ;   in Loop: Header=BB295_80 Depth=1
	s_cmp_eq_u32 s3, 1
	s_cselect_b64 vcc, -1, 0
	s_cmp_eq_u32 s3, 2
	v_cndmask_b32_e32 v28, v2, v3, vcc
	s_cselect_b64 vcc, -1, 0
	s_cmp_eq_u32 s3, 3
	v_cndmask_b32_e32 v28, v28, v4, vcc
	;; [unrolled: 3-line block ×6, first 2 shown]
	s_cselect_b64 vcc, -1, 0
	v_cndmask_b32_e32 v28, v28, v9, vcc
	v_lshlrev_b32_e32 v28, 2, v28
	ds_read_b32 v28, v28
	ds_read_b64 v[48:49], v11 offset:1024
	s_waitcnt lgkmcnt(1)
	v_add_u32_e32 v28, v31, v28
	v_lshlrev_b64 v[50:51], 3, v[28:29]
	v_mov_b32_e32 v28, s43
	v_add_co_u32_e32 v50, vcc, s42, v50
	v_addc_co_u32_e32 v51, vcc, v28, v51, vcc
	s_waitcnt lgkmcnt(0)
	global_store_dwordx2 v[50:51], v[48:49], off
.LBB295_82:                             ;   in Loop: Header=BB295_80 Depth=1
	s_or_b64 exec, exec, s[0:1]
	v_add_u32_e32 v28, 0x400, v31
	v_cmp_gt_u32_e32 vcc, s7, v28
	s_and_saveexec_b64 s[0:1], vcc
	s_cbranch_execz .LBB295_79
; %bb.83:                               ;   in Loop: Header=BB295_80 Depth=1
	s_add_i32 s9, s3, 1
	s_cmp_eq_u32 s9, 1
	s_cselect_b64 vcc, -1, 0
	s_cmp_eq_u32 s9, 2
	v_cndmask_b32_e32 v28, v2, v3, vcc
	s_cselect_b64 vcc, -1, 0
	s_cmp_eq_u32 s9, 3
	v_cndmask_b32_e32 v28, v28, v4, vcc
	;; [unrolled: 3-line block ×6, first 2 shown]
	s_cselect_b64 vcc, -1, 0
	v_cndmask_b32_e32 v28, v28, v9, vcc
	v_lshlrev_b32_e32 v28, 2, v28
	ds_read_b32 v28, v28
	ds_read_b64 v[48:49], v54 offset:8192
	s_waitcnt lgkmcnt(1)
	v_add3_u32 v28, v31, v28, s2
	v_lshlrev_b64 v[50:51], 3, v[28:29]
	v_mov_b32_e32 v28, s43
	v_add_co_u32_e32 v50, vcc, s42, v50
	v_addc_co_u32_e32 v51, vcc, v28, v51, vcc
	s_waitcnt lgkmcnt(0)
	global_store_dwordx2 v[50:51], v[48:49], off
	s_branch .LBB295_79
.LBB295_84:
	s_mov_b64 s[10:11], 0
                                        ; implicit-def: $vgpr2
                                        ; implicit-def: $vgpr10_vgpr11
	s_cbranch_execnz .LBB295_88
	s_branch .LBB295_131
.LBB295_85:
	s_add_i32 s33, s33, -1
	s_cmp_eq_u32 s33, s6
	s_cselect_b64 s[0:1], -1, 0
	s_and_b64 s[2:3], s[16:17], s[0:1]
	s_mov_b64 s[0:1], 0
	s_mov_b64 s[10:11], 0
                                        ; implicit-def: $vgpr2
	s_and_saveexec_b64 s[8:9], s[2:3]
	s_xor_b64 s[2:3], exec, s[8:9]
; %bb.86:
	s_mov_b64 s[10:11], exec
	v_mov_b32_e32 v11, 0
	v_add_u32_e32 v2, v43, v44
; %bb.87:
	s_or_b64 exec, exec, s[2:3]
	s_and_b64 vcc, exec, s[0:1]
	s_cbranch_vccz .LBB295_131
.LBB295_88:
	s_lshl_b32 s12, s6, 13
	v_and_b32_e32 v8, 0x3ff, v0
	s_add_u32 s0, s36, s12
	v_mbcnt_hi_u32_b32 v18, -1, v1
	s_addc_u32 s1, s37, 0
	v_and_b32_e32 v12, 63, v18
	v_lshlrev_b32_e32 v1, 3, v8
	v_and_b32_e32 v14, 0x1e00, v1
	v_mov_b32_e32 v1, s1
	v_add_co_u32_e32 v2, vcc, s0, v12
	v_addc_co_u32_e32 v1, vcc, 0, v1, vcc
	v_add_co_u32_e32 v22, vcc, v2, v14
	v_addc_co_u32_e32 v23, vcc, 0, v1, vcc
	global_load_ubyte v4, v[22:23], off
	s_load_dword s0, s[4:5], 0x64
	s_load_dword s7, s[4:5], 0x58
	s_add_u32 s1, s4, 0x58
	s_addc_u32 s2, s5, 0
	v_mov_b32_e32 v2, 0
	s_waitcnt lgkmcnt(0)
	s_lshr_b32 s3, s0, 16
	s_cmp_lt_u32 s6, s7
	s_cselect_b32 s0, 12, 18
	s_add_u32 s0, s1, s0
	s_addc_u32 s1, s2, 0
	global_load_ushort v1, v2, s[0:1]
	v_mul_u32_u24_e32 v5, 5, v8
	v_lshlrev_b32_e32 v20, 2, v5
	ds_write2_b32 v20, v2, v2 offset0:16 offset1:17
	ds_write2_b32 v20, v2, v2 offset0:18 offset1:19
	ds_write_b32 v20, v2 offset:80
	global_load_ubyte v5, v[22:23], off offset:64
	global_load_ubyte v6, v[22:23], off offset:128
	global_load_ubyte v7, v[22:23], off offset:192
	global_load_ubyte v9, v[22:23], off offset:256
	global_load_ubyte v10, v[22:23], off offset:320
	global_load_ubyte v11, v[22:23], off offset:384
	global_load_ubyte v17, v[22:23], off offset:448
	v_bfe_u32 v3, v0, 10, 10
	v_bfe_u32 v0, v0, 20, 10
	s_lshl_b32 s0, -1, s45
	v_mad_u32_u24 v0, v0, s3, v3
	s_not_b32 s16, s0
	s_mov_b32 s13, 0
	s_waitcnt lgkmcnt(0)
	s_barrier
	s_waitcnt lgkmcnt(0)
	; wave barrier
	s_waitcnt vmcnt(8)
	v_lshrrev_b32_sdwa v3, s44, v4 dst_sel:DWORD dst_unused:UNUSED_PAD src0_sel:DWORD src1_sel:BYTE_0
	v_and_b32_e32 v13, s16, v3
	v_and_b32_e32 v16, 1, v13
	v_add_co_u32_e32 v19, vcc, -1, v16
	v_lshlrev_b32_e32 v3, 30, v13
	v_addc_co_u32_e64 v21, s[0:1], 0, -1, vcc
	v_cmp_ne_u32_e32 vcc, 0, v16
	v_cmp_gt_i64_e64 s[0:1], 0, v[2:3]
	v_not_b32_e32 v16, v3
	v_lshlrev_b32_e32 v3, 29, v13
	s_waitcnt vmcnt(3)
	v_mad_u64_u32 v[0:1], s[2:3], v0, v1, v[8:9]
	v_xor_b32_e32 v1, vcc_hi, v21
	v_xor_b32_e32 v19, vcc_lo, v19
	v_ashrrev_i32_e32 v16, 31, v16
	v_cmp_gt_i64_e32 vcc, 0, v[2:3]
	v_not_b32_e32 v21, v3
	v_lshlrev_b32_e32 v3, 28, v13
	v_mul_u32_u24_e32 v15, 17, v13
	v_lshrrev_b32_e32 v30, 6, v0
	v_and_b32_e32 v0, exec_hi, v1
	v_and_b32_e32 v1, exec_lo, v19
	v_xor_b32_e32 v19, s1, v16
	v_xor_b32_e32 v16, s0, v16
	v_ashrrev_i32_e32 v21, 31, v21
	v_cmp_gt_i64_e64 s[0:1], 0, v[2:3]
	v_not_b32_e32 v23, v3
	v_lshlrev_b32_e32 v3, 27, v13
	v_add_lshl_u32 v22, v30, v15, 2
	v_and_b32_e32 v0, v0, v19
	v_and_b32_e32 v1, v1, v16
	v_xor_b32_e32 v15, vcc_hi, v21
	v_xor_b32_e32 v16, vcc_lo, v21
	v_ashrrev_i32_e32 v19, 31, v23
	v_cmp_gt_i64_e32 vcc, 0, v[2:3]
	v_not_b32_e32 v3, v3
	v_and_b32_e32 v0, v0, v15
	v_and_b32_e32 v1, v1, v16
	v_xor_b32_e32 v15, s1, v19
	v_xor_b32_e32 v16, s0, v19
	v_ashrrev_i32_e32 v3, 31, v3
	v_and_b32_e32 v0, v0, v15
	v_and_b32_e32 v1, v1, v16
	v_xor_b32_e32 v15, vcc_hi, v3
	v_xor_b32_e32 v3, vcc_lo, v3
	v_and_b32_e32 v1, v1, v3
	v_lshlrev_b32_e32 v3, 26, v13
	v_cmp_gt_i64_e32 vcc, 0, v[2:3]
	v_not_b32_e32 v3, v3
	v_ashrrev_i32_e32 v3, 31, v3
	v_and_b32_e32 v0, v0, v15
	v_xor_b32_e32 v15, vcc_hi, v3
	v_xor_b32_e32 v3, vcc_lo, v3
	v_and_b32_e32 v1, v1, v3
	v_lshlrev_b32_e32 v3, 25, v13
	v_cmp_gt_i64_e32 vcc, 0, v[2:3]
	v_not_b32_e32 v3, v3
	v_ashrrev_i32_e32 v3, 31, v3
	v_and_b32_e32 v0, v0, v15
	v_xor_b32_e32 v15, vcc_hi, v3
	v_xor_b32_e32 v3, vcc_lo, v3
	v_and_b32_e32 v0, v0, v15
	v_and_b32_e32 v15, v1, v3
	v_lshlrev_b32_e32 v3, 24, v13
	v_not_b32_e32 v1, v3
	v_cmp_gt_i64_e32 vcc, 0, v[2:3]
	v_ashrrev_i32_e32 v1, 31, v1
	v_xor_b32_e32 v3, vcc_hi, v1
	v_xor_b32_e32 v13, vcc_lo, v1
	v_and_b32_e32 v1, v0, v3
	v_and_b32_e32 v0, v15, v13
	v_mbcnt_lo_u32_b32 v3, v0, 0
	v_mbcnt_hi_u32_b32 v23, v1, v3
	v_cmp_eq_u32_e32 vcc, 0, v23
	v_cmp_ne_u64_e64 s[0:1], 0, v[0:1]
	s_and_b64 s[2:3], s[0:1], vcc
	s_and_saveexec_b64 s[0:1], s[2:3]
	s_cbranch_execz .LBB295_90
; %bb.89:
	v_bcnt_u32_b32 v0, v0, 0
	v_bcnt_u32_b32 v0, v1, v0
	ds_write_b32 v22, v0 offset:64
.LBB295_90:
	s_or_b64 exec, exec, s[0:1]
	v_lshrrev_b32_sdwa v0, s44, v5 dst_sel:DWORD dst_unused:UNUSED_PAD src0_sel:DWORD src1_sel:BYTE_0
	v_and_b32_e32 v0, s16, v0
	v_mul_u32_u24_e32 v1, 17, v0
	v_add_lshl_u32 v26, v30, v1, 2
	v_and_b32_e32 v1, 1, v0
	v_add_co_u32_e32 v3, vcc, -1, v1
	v_addc_co_u32_e64 v15, s[0:1], 0, -1, vcc
	v_cmp_ne_u32_e32 vcc, 0, v1
	v_xor_b32_e32 v3, vcc_lo, v3
	v_xor_b32_e32 v1, vcc_hi, v15
	v_and_b32_e32 v15, exec_lo, v3
	v_lshlrev_b32_e32 v3, 30, v0
	v_cmp_gt_i64_e32 vcc, 0, v[2:3]
	v_not_b32_e32 v3, v3
	v_ashrrev_i32_e32 v3, 31, v3
	v_xor_b32_e32 v16, vcc_hi, v3
	v_xor_b32_e32 v3, vcc_lo, v3
	v_and_b32_e32 v15, v15, v3
	v_lshlrev_b32_e32 v3, 29, v0
	v_cmp_gt_i64_e32 vcc, 0, v[2:3]
	v_not_b32_e32 v3, v3
	v_and_b32_e32 v1, exec_hi, v1
	v_ashrrev_i32_e32 v3, 31, v3
	v_and_b32_e32 v1, v1, v16
	v_xor_b32_e32 v16, vcc_hi, v3
	v_xor_b32_e32 v3, vcc_lo, v3
	v_and_b32_e32 v15, v15, v3
	v_lshlrev_b32_e32 v3, 28, v0
	v_cmp_gt_i64_e32 vcc, 0, v[2:3]
	v_not_b32_e32 v3, v3
	v_ashrrev_i32_e32 v3, 31, v3
	v_and_b32_e32 v1, v1, v16
	v_xor_b32_e32 v16, vcc_hi, v3
	v_xor_b32_e32 v3, vcc_lo, v3
	v_and_b32_e32 v15, v15, v3
	v_lshlrev_b32_e32 v3, 27, v0
	v_cmp_gt_i64_e32 vcc, 0, v[2:3]
	v_not_b32_e32 v3, v3
	;; [unrolled: 8-line block ×4, first 2 shown]
	v_ashrrev_i32_e32 v3, 31, v3
	v_and_b32_e32 v1, v1, v16
	v_xor_b32_e32 v16, vcc_hi, v3
	v_xor_b32_e32 v3, vcc_lo, v3
	v_and_b32_e32 v15, v15, v3
	v_lshlrev_b32_e32 v3, 24, v0
	v_not_b32_e32 v0, v3
	v_cmp_gt_i64_e32 vcc, 0, v[2:3]
	v_ashrrev_i32_e32 v0, 31, v0
	v_xor_b32_e32 v2, vcc_hi, v0
	v_xor_b32_e32 v0, vcc_lo, v0
	; wave barrier
	ds_read_b32 v13, v26 offset:64
	v_and_b32_e32 v1, v1, v16
	v_and_b32_e32 v0, v15, v0
	;; [unrolled: 1-line block ×3, first 2 shown]
	v_mbcnt_lo_u32_b32 v2, v0, 0
	v_mbcnt_hi_u32_b32 v15, v1, v2
	v_cmp_eq_u32_e32 vcc, 0, v15
	v_cmp_ne_u64_e64 s[0:1], 0, v[0:1]
	s_and_b64 s[2:3], s[0:1], vcc
	; wave barrier
	s_and_saveexec_b64 s[0:1], s[2:3]
	s_cbranch_execz .LBB295_92
; %bb.91:
	v_bcnt_u32_b32 v0, v0, 0
	v_bcnt_u32_b32 v0, v1, v0
	s_waitcnt lgkmcnt(0)
	v_add_u32_e32 v0, v13, v0
	ds_write_b32 v26, v0 offset:64
.LBB295_92:
	s_or_b64 exec, exec, s[0:1]
	v_lshrrev_b32_sdwa v0, s44, v6 dst_sel:DWORD dst_unused:UNUSED_PAD src0_sel:DWORD src1_sel:BYTE_0
	v_and_b32_e32 v2, s16, v0
	v_and_b32_e32 v1, 1, v2
	v_add_co_u32_e32 v3, vcc, -1, v1
	v_addc_co_u32_e64 v19, s[0:1], 0, -1, vcc
	v_cmp_ne_u32_e32 vcc, 0, v1
	v_mul_u32_u24_e32 v0, 17, v2
	v_xor_b32_e32 v1, vcc_hi, v19
	v_add_lshl_u32 v29, v30, v0, 2
	v_mov_b32_e32 v0, 0
	v_and_b32_e32 v19, exec_hi, v1
	v_lshlrev_b32_e32 v1, 30, v2
	v_xor_b32_e32 v3, vcc_lo, v3
	v_cmp_gt_i64_e32 vcc, 0, v[0:1]
	v_not_b32_e32 v1, v1
	v_ashrrev_i32_e32 v1, 31, v1
	v_and_b32_e32 v3, exec_lo, v3
	v_xor_b32_e32 v21, vcc_hi, v1
	v_xor_b32_e32 v1, vcc_lo, v1
	v_and_b32_e32 v3, v3, v1
	v_lshlrev_b32_e32 v1, 29, v2
	v_cmp_gt_i64_e32 vcc, 0, v[0:1]
	v_not_b32_e32 v1, v1
	v_ashrrev_i32_e32 v1, 31, v1
	v_and_b32_e32 v19, v19, v21
	v_xor_b32_e32 v21, vcc_hi, v1
	v_xor_b32_e32 v1, vcc_lo, v1
	v_and_b32_e32 v3, v3, v1
	v_lshlrev_b32_e32 v1, 28, v2
	v_cmp_gt_i64_e32 vcc, 0, v[0:1]
	v_not_b32_e32 v1, v1
	v_ashrrev_i32_e32 v1, 31, v1
	v_and_b32_e32 v19, v19, v21
	;; [unrolled: 8-line block ×5, first 2 shown]
	v_xor_b32_e32 v21, vcc_hi, v1
	v_xor_b32_e32 v1, vcc_lo, v1
	v_and_b32_e32 v19, v19, v21
	v_and_b32_e32 v21, v3, v1
	v_lshlrev_b32_e32 v1, 24, v2
	v_cmp_gt_i64_e32 vcc, 0, v[0:1]
	v_not_b32_e32 v1, v1
	v_ashrrev_i32_e32 v1, 31, v1
	v_xor_b32_e32 v2, vcc_hi, v1
	v_xor_b32_e32 v1, vcc_lo, v1
	; wave barrier
	ds_read_b32 v16, v29 offset:64
	v_and_b32_e32 v3, v19, v2
	v_and_b32_e32 v2, v21, v1
	v_mbcnt_lo_u32_b32 v1, v2, 0
	v_mbcnt_hi_u32_b32 v19, v3, v1
	v_cmp_eq_u32_e32 vcc, 0, v19
	v_cmp_ne_u64_e64 s[0:1], 0, v[2:3]
	s_and_b64 s[2:3], s[0:1], vcc
	; wave barrier
	s_and_saveexec_b64 s[0:1], s[2:3]
	s_cbranch_execz .LBB295_94
; %bb.93:
	v_bcnt_u32_b32 v1, v2, 0
	v_bcnt_u32_b32 v1, v3, v1
	s_waitcnt lgkmcnt(0)
	v_add_u32_e32 v1, v16, v1
	ds_write_b32 v29, v1 offset:64
.LBB295_94:
	s_or_b64 exec, exec, s[0:1]
	v_lshrrev_b32_sdwa v1, s44, v7 dst_sel:DWORD dst_unused:UNUSED_PAD src0_sel:DWORD src1_sel:BYTE_0
	v_and_b32_e32 v2, s16, v1
	v_mul_u32_u24_e32 v1, 17, v2
	v_add_lshl_u32 v33, v30, v1, 2
	v_and_b32_e32 v1, 1, v2
	v_add_co_u32_e32 v3, vcc, -1, v1
	v_addc_co_u32_e64 v24, s[0:1], 0, -1, vcc
	v_cmp_ne_u32_e32 vcc, 0, v1
	v_xor_b32_e32 v1, vcc_hi, v24
	v_and_b32_e32 v24, exec_hi, v1
	v_lshlrev_b32_e32 v1, 30, v2
	v_xor_b32_e32 v3, vcc_lo, v3
	v_cmp_gt_i64_e32 vcc, 0, v[0:1]
	v_not_b32_e32 v1, v1
	v_ashrrev_i32_e32 v1, 31, v1
	v_and_b32_e32 v3, exec_lo, v3
	v_xor_b32_e32 v25, vcc_hi, v1
	v_xor_b32_e32 v1, vcc_lo, v1
	v_and_b32_e32 v3, v3, v1
	v_lshlrev_b32_e32 v1, 29, v2
	v_cmp_gt_i64_e32 vcc, 0, v[0:1]
	v_not_b32_e32 v1, v1
	v_ashrrev_i32_e32 v1, 31, v1
	v_and_b32_e32 v24, v24, v25
	v_xor_b32_e32 v25, vcc_hi, v1
	v_xor_b32_e32 v1, vcc_lo, v1
	v_and_b32_e32 v3, v3, v1
	v_lshlrev_b32_e32 v1, 28, v2
	v_cmp_gt_i64_e32 vcc, 0, v[0:1]
	v_not_b32_e32 v1, v1
	v_ashrrev_i32_e32 v1, 31, v1
	v_and_b32_e32 v24, v24, v25
	;; [unrolled: 8-line block ×5, first 2 shown]
	v_xor_b32_e32 v25, vcc_hi, v1
	v_xor_b32_e32 v1, vcc_lo, v1
	v_and_b32_e32 v3, v3, v1
	v_lshlrev_b32_e32 v1, 24, v2
	v_cmp_gt_i64_e32 vcc, 0, v[0:1]
	v_not_b32_e32 v0, v1
	v_ashrrev_i32_e32 v0, 31, v0
	v_xor_b32_e32 v1, vcc_hi, v0
	v_xor_b32_e32 v0, vcc_lo, v0
	; wave barrier
	ds_read_b32 v21, v33 offset:64
	v_and_b32_e32 v24, v24, v25
	v_and_b32_e32 v0, v3, v0
	;; [unrolled: 1-line block ×3, first 2 shown]
	v_mbcnt_lo_u32_b32 v2, v0, 0
	v_mbcnt_hi_u32_b32 v24, v1, v2
	v_cmp_eq_u32_e32 vcc, 0, v24
	v_cmp_ne_u64_e64 s[0:1], 0, v[0:1]
	s_and_b64 s[2:3], s[0:1], vcc
	; wave barrier
	s_and_saveexec_b64 s[0:1], s[2:3]
	s_cbranch_execz .LBB295_96
; %bb.95:
	v_bcnt_u32_b32 v0, v0, 0
	v_bcnt_u32_b32 v0, v1, v0
	s_waitcnt lgkmcnt(0)
	v_add_u32_e32 v0, v21, v0
	ds_write_b32 v33, v0 offset:64
.LBB295_96:
	s_or_b64 exec, exec, s[0:1]
	v_lshrrev_b32_sdwa v0, s44, v9 dst_sel:DWORD dst_unused:UNUSED_PAD src0_sel:DWORD src1_sel:BYTE_0
	v_and_b32_e32 v2, s16, v0
	v_and_b32_e32 v1, 1, v2
	v_add_co_u32_e32 v3, vcc, -1, v1
	v_addc_co_u32_e64 v27, s[0:1], 0, -1, vcc
	v_cmp_ne_u32_e32 vcc, 0, v1
	v_mul_u32_u24_e32 v0, 17, v2
	v_xor_b32_e32 v1, vcc_hi, v27
	v_add_lshl_u32 v35, v30, v0, 2
	v_mov_b32_e32 v0, 0
	v_and_b32_e32 v27, exec_hi, v1
	v_lshlrev_b32_e32 v1, 30, v2
	v_xor_b32_e32 v3, vcc_lo, v3
	v_cmp_gt_i64_e32 vcc, 0, v[0:1]
	v_not_b32_e32 v1, v1
	v_ashrrev_i32_e32 v1, 31, v1
	v_and_b32_e32 v3, exec_lo, v3
	v_xor_b32_e32 v28, vcc_hi, v1
	v_xor_b32_e32 v1, vcc_lo, v1
	v_and_b32_e32 v3, v3, v1
	v_lshlrev_b32_e32 v1, 29, v2
	v_cmp_gt_i64_e32 vcc, 0, v[0:1]
	v_not_b32_e32 v1, v1
	v_ashrrev_i32_e32 v1, 31, v1
	v_and_b32_e32 v27, v27, v28
	v_xor_b32_e32 v28, vcc_hi, v1
	v_xor_b32_e32 v1, vcc_lo, v1
	v_and_b32_e32 v3, v3, v1
	v_lshlrev_b32_e32 v1, 28, v2
	v_cmp_gt_i64_e32 vcc, 0, v[0:1]
	v_not_b32_e32 v1, v1
	v_ashrrev_i32_e32 v1, 31, v1
	v_and_b32_e32 v27, v27, v28
	v_xor_b32_e32 v28, vcc_hi, v1
	v_xor_b32_e32 v1, vcc_lo, v1
	v_and_b32_e32 v3, v3, v1
	v_lshlrev_b32_e32 v1, 27, v2
	v_cmp_gt_i64_e32 vcc, 0, v[0:1]
	v_not_b32_e32 v1, v1
	v_ashrrev_i32_e32 v1, 31, v1
	v_and_b32_e32 v27, v27, v28
	v_xor_b32_e32 v28, vcc_hi, v1
	v_xor_b32_e32 v1, vcc_lo, v1
	v_and_b32_e32 v3, v3, v1
	v_lshlrev_b32_e32 v1, 26, v2
	v_cmp_gt_i64_e32 vcc, 0, v[0:1]
	v_not_b32_e32 v1, v1
	v_ashrrev_i32_e32 v1, 31, v1
	v_and_b32_e32 v27, v27, v28
	v_xor_b32_e32 v28, vcc_hi, v1
	v_xor_b32_e32 v1, vcc_lo, v1
	v_and_b32_e32 v3, v3, v1
	v_lshlrev_b32_e32 v1, 25, v2
	v_cmp_gt_i64_e32 vcc, 0, v[0:1]
	v_not_b32_e32 v1, v1
	v_ashrrev_i32_e32 v1, 31, v1
	v_and_b32_e32 v27, v27, v28
	v_xor_b32_e32 v28, vcc_hi, v1
	v_xor_b32_e32 v1, vcc_lo, v1
	v_and_b32_e32 v27, v27, v28
	v_and_b32_e32 v28, v3, v1
	v_lshlrev_b32_e32 v1, 24, v2
	v_cmp_gt_i64_e32 vcc, 0, v[0:1]
	v_not_b32_e32 v1, v1
	v_ashrrev_i32_e32 v1, 31, v1
	v_xor_b32_e32 v2, vcc_hi, v1
	v_xor_b32_e32 v1, vcc_lo, v1
	; wave barrier
	ds_read_b32 v25, v35 offset:64
	v_and_b32_e32 v3, v27, v2
	v_and_b32_e32 v2, v28, v1
	v_mbcnt_lo_u32_b32 v1, v2, 0
	v_mbcnt_hi_u32_b32 v27, v3, v1
	v_cmp_eq_u32_e32 vcc, 0, v27
	v_cmp_ne_u64_e64 s[0:1], 0, v[2:3]
	s_and_b64 s[2:3], s[0:1], vcc
	; wave barrier
	s_and_saveexec_b64 s[0:1], s[2:3]
	s_cbranch_execz .LBB295_98
; %bb.97:
	v_bcnt_u32_b32 v1, v2, 0
	v_bcnt_u32_b32 v1, v3, v1
	s_waitcnt lgkmcnt(0)
	v_add_u32_e32 v1, v25, v1
	ds_write_b32 v35, v1 offset:64
.LBB295_98:
	s_or_b64 exec, exec, s[0:1]
	s_waitcnt vmcnt(2)
	v_lshrrev_b32_sdwa v1, s44, v10 dst_sel:DWORD dst_unused:UNUSED_PAD src0_sel:DWORD src1_sel:BYTE_0
	v_and_b32_e32 v2, s16, v1
	v_mul_u32_u24_e32 v1, 17, v2
	v_add_lshl_u32 v37, v30, v1, 2
	v_and_b32_e32 v1, 1, v2
	v_add_co_u32_e32 v3, vcc, -1, v1
	v_addc_co_u32_e64 v31, s[0:1], 0, -1, vcc
	v_cmp_ne_u32_e32 vcc, 0, v1
	v_xor_b32_e32 v1, vcc_hi, v31
	v_and_b32_e32 v31, exec_hi, v1
	v_lshlrev_b32_e32 v1, 30, v2
	v_xor_b32_e32 v3, vcc_lo, v3
	v_cmp_gt_i64_e32 vcc, 0, v[0:1]
	v_not_b32_e32 v1, v1
	v_ashrrev_i32_e32 v1, 31, v1
	v_and_b32_e32 v3, exec_lo, v3
	v_xor_b32_e32 v32, vcc_hi, v1
	v_xor_b32_e32 v1, vcc_lo, v1
	v_and_b32_e32 v3, v3, v1
	v_lshlrev_b32_e32 v1, 29, v2
	v_cmp_gt_i64_e32 vcc, 0, v[0:1]
	v_not_b32_e32 v1, v1
	v_ashrrev_i32_e32 v1, 31, v1
	v_and_b32_e32 v31, v31, v32
	v_xor_b32_e32 v32, vcc_hi, v1
	v_xor_b32_e32 v1, vcc_lo, v1
	v_and_b32_e32 v3, v3, v1
	v_lshlrev_b32_e32 v1, 28, v2
	v_cmp_gt_i64_e32 vcc, 0, v[0:1]
	v_not_b32_e32 v1, v1
	v_ashrrev_i32_e32 v1, 31, v1
	v_and_b32_e32 v31, v31, v32
	;; [unrolled: 8-line block ×5, first 2 shown]
	v_xor_b32_e32 v32, vcc_hi, v1
	v_xor_b32_e32 v1, vcc_lo, v1
	v_and_b32_e32 v3, v3, v1
	v_lshlrev_b32_e32 v1, 24, v2
	v_cmp_gt_i64_e32 vcc, 0, v[0:1]
	v_not_b32_e32 v0, v1
	v_ashrrev_i32_e32 v0, 31, v0
	v_xor_b32_e32 v1, vcc_hi, v0
	v_xor_b32_e32 v0, vcc_lo, v0
	; wave barrier
	ds_read_b32 v28, v37 offset:64
	v_and_b32_e32 v31, v31, v32
	v_and_b32_e32 v0, v3, v0
	;; [unrolled: 1-line block ×3, first 2 shown]
	v_mbcnt_lo_u32_b32 v2, v0, 0
	v_mbcnt_hi_u32_b32 v31, v1, v2
	v_cmp_eq_u32_e32 vcc, 0, v31
	v_cmp_ne_u64_e64 s[0:1], 0, v[0:1]
	s_and_b64 s[2:3], s[0:1], vcc
	; wave barrier
	s_and_saveexec_b64 s[0:1], s[2:3]
	s_cbranch_execz .LBB295_100
; %bb.99:
	v_bcnt_u32_b32 v0, v0, 0
	v_bcnt_u32_b32 v0, v1, v0
	s_waitcnt lgkmcnt(0)
	v_add_u32_e32 v0, v28, v0
	ds_write_b32 v37, v0 offset:64
.LBB295_100:
	s_or_b64 exec, exec, s[0:1]
	s_waitcnt vmcnt(1)
	v_lshrrev_b32_sdwa v0, s44, v11 dst_sel:DWORD dst_unused:UNUSED_PAD src0_sel:DWORD src1_sel:BYTE_0
	v_and_b32_e32 v2, s16, v0
	v_and_b32_e32 v1, 1, v2
	v_add_co_u32_e32 v3, vcc, -1, v1
	v_addc_co_u32_e64 v34, s[0:1], 0, -1, vcc
	v_cmp_ne_u32_e32 vcc, 0, v1
	v_mul_u32_u24_e32 v0, 17, v2
	v_xor_b32_e32 v1, vcc_hi, v34
	v_add_lshl_u32 v38, v30, v0, 2
	v_mov_b32_e32 v0, 0
	v_and_b32_e32 v34, exec_hi, v1
	v_lshlrev_b32_e32 v1, 30, v2
	v_xor_b32_e32 v3, vcc_lo, v3
	v_cmp_gt_i64_e32 vcc, 0, v[0:1]
	v_not_b32_e32 v1, v1
	v_ashrrev_i32_e32 v1, 31, v1
	v_and_b32_e32 v3, exec_lo, v3
	v_xor_b32_e32 v36, vcc_hi, v1
	v_xor_b32_e32 v1, vcc_lo, v1
	v_and_b32_e32 v3, v3, v1
	v_lshlrev_b32_e32 v1, 29, v2
	v_cmp_gt_i64_e32 vcc, 0, v[0:1]
	v_not_b32_e32 v1, v1
	v_ashrrev_i32_e32 v1, 31, v1
	v_and_b32_e32 v34, v34, v36
	v_xor_b32_e32 v36, vcc_hi, v1
	v_xor_b32_e32 v1, vcc_lo, v1
	v_and_b32_e32 v3, v3, v1
	v_lshlrev_b32_e32 v1, 28, v2
	v_cmp_gt_i64_e32 vcc, 0, v[0:1]
	v_not_b32_e32 v1, v1
	v_ashrrev_i32_e32 v1, 31, v1
	v_and_b32_e32 v34, v34, v36
	;; [unrolled: 8-line block ×5, first 2 shown]
	v_xor_b32_e32 v36, vcc_hi, v1
	v_xor_b32_e32 v1, vcc_lo, v1
	v_and_b32_e32 v34, v34, v36
	v_and_b32_e32 v36, v3, v1
	v_lshlrev_b32_e32 v1, 24, v2
	v_cmp_gt_i64_e32 vcc, 0, v[0:1]
	v_not_b32_e32 v1, v1
	v_ashrrev_i32_e32 v1, 31, v1
	v_xor_b32_e32 v2, vcc_hi, v1
	v_xor_b32_e32 v1, vcc_lo, v1
	; wave barrier
	ds_read_b32 v32, v38 offset:64
	v_and_b32_e32 v3, v34, v2
	v_and_b32_e32 v2, v36, v1
	v_mbcnt_lo_u32_b32 v1, v2, 0
	v_mbcnt_hi_u32_b32 v34, v3, v1
	v_cmp_eq_u32_e32 vcc, 0, v34
	v_cmp_ne_u64_e64 s[0:1], 0, v[2:3]
	s_and_b64 s[2:3], s[0:1], vcc
	; wave barrier
	s_and_saveexec_b64 s[0:1], s[2:3]
	s_cbranch_execz .LBB295_102
; %bb.101:
	v_bcnt_u32_b32 v1, v2, 0
	v_bcnt_u32_b32 v1, v3, v1
	s_waitcnt lgkmcnt(0)
	v_add_u32_e32 v1, v32, v1
	ds_write_b32 v38, v1 offset:64
.LBB295_102:
	s_or_b64 exec, exec, s[0:1]
	s_waitcnt vmcnt(0)
	v_lshrrev_b32_sdwa v1, s44, v17 dst_sel:DWORD dst_unused:UNUSED_PAD src0_sel:DWORD src1_sel:BYTE_0
	v_and_b32_e32 v2, s16, v1
	v_mul_u32_u24_e32 v1, 17, v2
	v_add_lshl_u32 v39, v30, v1, 2
	v_and_b32_e32 v1, 1, v2
	v_add_co_u32_e32 v3, vcc, -1, v1
	v_addc_co_u32_e64 v36, s[0:1], 0, -1, vcc
	v_cmp_ne_u32_e32 vcc, 0, v1
	v_xor_b32_e32 v1, vcc_hi, v36
	v_and_b32_e32 v36, exec_hi, v1
	v_lshlrev_b32_e32 v1, 30, v2
	v_xor_b32_e32 v3, vcc_lo, v3
	v_cmp_gt_i64_e32 vcc, 0, v[0:1]
	v_not_b32_e32 v1, v1
	v_ashrrev_i32_e32 v1, 31, v1
	v_and_b32_e32 v3, exec_lo, v3
	v_xor_b32_e32 v40, vcc_hi, v1
	v_xor_b32_e32 v1, vcc_lo, v1
	v_and_b32_e32 v3, v3, v1
	v_lshlrev_b32_e32 v1, 29, v2
	v_cmp_gt_i64_e32 vcc, 0, v[0:1]
	v_not_b32_e32 v1, v1
	v_ashrrev_i32_e32 v1, 31, v1
	v_and_b32_e32 v36, v36, v40
	v_xor_b32_e32 v40, vcc_hi, v1
	v_xor_b32_e32 v1, vcc_lo, v1
	v_and_b32_e32 v3, v3, v1
	v_lshlrev_b32_e32 v1, 28, v2
	v_cmp_gt_i64_e32 vcc, 0, v[0:1]
	v_not_b32_e32 v1, v1
	v_ashrrev_i32_e32 v1, 31, v1
	v_and_b32_e32 v36, v36, v40
	v_xor_b32_e32 v40, vcc_hi, v1
	v_xor_b32_e32 v1, vcc_lo, v1
	v_and_b32_e32 v3, v3, v1
	v_lshlrev_b32_e32 v1, 27, v2
	v_cmp_gt_i64_e32 vcc, 0, v[0:1]
	v_not_b32_e32 v1, v1
	v_ashrrev_i32_e32 v1, 31, v1
	v_and_b32_e32 v36, v36, v40
	v_xor_b32_e32 v40, vcc_hi, v1
	v_xor_b32_e32 v1, vcc_lo, v1
	v_and_b32_e32 v3, v3, v1
	v_lshlrev_b32_e32 v1, 26, v2
	v_cmp_gt_i64_e32 vcc, 0, v[0:1]
	v_not_b32_e32 v1, v1
	v_ashrrev_i32_e32 v1, 31, v1
	v_and_b32_e32 v36, v36, v40
	v_xor_b32_e32 v40, vcc_hi, v1
	v_xor_b32_e32 v1, vcc_lo, v1
	v_and_b32_e32 v3, v3, v1
	v_lshlrev_b32_e32 v1, 25, v2
	v_cmp_gt_i64_e32 vcc, 0, v[0:1]
	v_not_b32_e32 v1, v1
	v_ashrrev_i32_e32 v1, 31, v1
	v_and_b32_e32 v36, v36, v40
	v_xor_b32_e32 v40, vcc_hi, v1
	v_xor_b32_e32 v1, vcc_lo, v1
	v_and_b32_e32 v3, v3, v1
	v_lshlrev_b32_e32 v1, 24, v2
	v_cmp_gt_i64_e32 vcc, 0, v[0:1]
	v_not_b32_e32 v0, v1
	v_ashrrev_i32_e32 v0, 31, v0
	v_xor_b32_e32 v1, vcc_hi, v0
	v_xor_b32_e32 v0, vcc_lo, v0
	; wave barrier
	ds_read_b32 v30, v39 offset:64
	v_and_b32_e32 v36, v36, v40
	v_and_b32_e32 v0, v3, v0
	;; [unrolled: 1-line block ×3, first 2 shown]
	v_mbcnt_lo_u32_b32 v2, v0, 0
	v_mbcnt_hi_u32_b32 v36, v1, v2
	v_cmp_eq_u32_e32 vcc, 0, v36
	v_cmp_ne_u64_e64 s[0:1], 0, v[0:1]
	v_add_u32_e32 v41, 64, v20
	s_and_b64 s[2:3], s[0:1], vcc
	; wave barrier
	s_and_saveexec_b64 s[0:1], s[2:3]
	s_cbranch_execz .LBB295_104
; %bb.103:
	v_bcnt_u32_b32 v0, v0, 0
	v_bcnt_u32_b32 v0, v1, v0
	s_waitcnt lgkmcnt(0)
	v_add_u32_e32 v0, v30, v0
	ds_write_b32 v39, v0 offset:64
.LBB295_104:
	s_or_b64 exec, exec, s[0:1]
	; wave barrier
	s_waitcnt lgkmcnt(0)
	s_barrier
	ds_read2_b32 v[2:3], v20 offset0:16 offset1:17
	ds_read2_b32 v[0:1], v41 offset0:2 offset1:3
	ds_read_b32 v40, v41 offset:16
	v_cmp_lt_u32_e64 s[8:9], 31, v18
	s_waitcnt lgkmcnt(1)
	v_add3_u32 v42, v3, v2, v0
	s_waitcnt lgkmcnt(0)
	v_add3_u32 v40, v42, v1, v40
	v_and_b32_e32 v42, 15, v18
	v_cmp_eq_u32_e32 vcc, 0, v42
	v_mov_b32_dpp v43, v40 row_shr:1 row_mask:0xf bank_mask:0xf
	v_cndmask_b32_e64 v43, v43, 0, vcc
	v_add_u32_e32 v40, v43, v40
	v_cmp_lt_u32_e64 s[0:1], 1, v42
	v_cmp_lt_u32_e64 s[2:3], 3, v42
	v_mov_b32_dpp v43, v40 row_shr:2 row_mask:0xf bank_mask:0xf
	v_cndmask_b32_e64 v43, 0, v43, s[0:1]
	v_add_u32_e32 v40, v40, v43
	v_cmp_lt_u32_e64 s[4:5], 7, v42
	s_nop 0
	v_mov_b32_dpp v43, v40 row_shr:4 row_mask:0xf bank_mask:0xf
	v_cndmask_b32_e64 v43, 0, v43, s[2:3]
	v_add_u32_e32 v40, v40, v43
	s_nop 1
	v_mov_b32_dpp v43, v40 row_shr:8 row_mask:0xf bank_mask:0xf
	v_cndmask_b32_e64 v42, 0, v43, s[4:5]
	v_add_u32_e32 v40, v40, v42
	v_bfe_i32 v43, v18, 4, 1
	s_nop 0
	v_mov_b32_dpp v42, v40 row_bcast:15 row_mask:0xf bank_mask:0xf
	v_and_b32_e32 v42, v43, v42
	v_add_u32_e32 v40, v40, v42
	v_lshrrev_b32_e32 v43, 6, v8
	s_nop 0
	v_mov_b32_dpp v42, v40 row_bcast:31 row_mask:0xf bank_mask:0xf
	v_cndmask_b32_e64 v42, 0, v42, s[8:9]
	v_add_u32_e32 v42, v40, v42
	v_and_b32_e32 v40, 63, v8
	v_cmp_eq_u32_e64 s[8:9], 63, v40
	s_and_saveexec_b64 s[14:15], s[8:9]
	s_cbranch_execz .LBB295_106
; %bb.105:
	v_lshlrev_b32_e32 v40, 2, v43
	ds_write_b32 v40, v42
.LBB295_106:
	s_or_b64 exec, exec, s[14:15]
	v_cmp_gt_u32_e64 s[8:9], 16, v8
	v_lshlrev_b32_e32 v40, 2, v8
	s_waitcnt lgkmcnt(0)
	s_barrier
	s_and_saveexec_b64 s[14:15], s[8:9]
	s_cbranch_execz .LBB295_108
; %bb.107:
	ds_read_b32 v44, v40
	s_waitcnt lgkmcnt(0)
	s_nop 0
	v_mov_b32_dpp v45, v44 row_shr:1 row_mask:0xf bank_mask:0xf
	v_cndmask_b32_e64 v45, v45, 0, vcc
	v_add_u32_e32 v44, v45, v44
	s_nop 1
	v_mov_b32_dpp v45, v44 row_shr:2 row_mask:0xf bank_mask:0xf
	v_cndmask_b32_e64 v45, 0, v45, s[0:1]
	v_add_u32_e32 v44, v44, v45
	s_nop 1
	v_mov_b32_dpp v45, v44 row_shr:4 row_mask:0xf bank_mask:0xf
	v_cndmask_b32_e64 v45, 0, v45, s[2:3]
	;; [unrolled: 4-line block ×3, first 2 shown]
	v_add_u32_e32 v44, v44, v45
	ds_write_b32 v40, v44
.LBB295_108:
	s_or_b64 exec, exec, s[14:15]
	v_cmp_lt_u32_e32 vcc, 63, v8
	v_mov_b32_e32 v44, 0
	s_waitcnt lgkmcnt(0)
	s_barrier
	s_and_saveexec_b64 s[0:1], vcc
	s_cbranch_execz .LBB295_110
; %bb.109:
	v_lshl_add_u32 v43, v43, 2, -4
	ds_read_b32 v44, v43
.LBB295_110:
	s_or_b64 exec, exec, s[0:1]
	v_add_u32_e32 v43, -1, v18
	v_and_b32_e32 v45, 64, v18
	v_cmp_lt_i32_e32 vcc, v43, v45
	v_cndmask_b32_e32 v43, v43, v18, vcc
	s_waitcnt lgkmcnt(0)
	v_add_u32_e32 v42, v44, v42
	v_lshlrev_b32_e32 v43, 2, v43
	ds_bpermute_b32 v42, v43, v42
	v_cmp_eq_u32_e32 vcc, 0, v18
	s_movk_i32 s2, 0xff
	s_movk_i32 s3, 0x100
	v_cmp_lt_u32_e64 s[0:1], s2, v8
	s_waitcnt lgkmcnt(0)
	v_cndmask_b32_e32 v18, v42, v44, vcc
	v_cmp_ne_u32_e32 vcc, 0, v8
	v_cndmask_b32_e32 v18, 0, v18, vcc
	v_add_u32_e32 v2, v18, v2
	v_add_u32_e32 v3, v2, v3
	;; [unrolled: 1-line block ×4, first 2 shown]
	ds_write2_b32 v20, v18, v2 offset0:16 offset1:17
	ds_write2_b32 v41, v3, v0 offset0:2 offset1:3
	ds_write_b32 v41, v1 offset:16
	s_waitcnt lgkmcnt(0)
	s_barrier
	ds_read_b32 v0, v22 offset:64
	ds_read_b32 v18, v26 offset:64
	ds_read_b32 v20, v29 offset:64
	ds_read_b32 v22, v33 offset:64
	ds_read_b32 v26, v35 offset:64
	ds_read_b32 v29, v37 offset:64
	ds_read_b32 v38, v38 offset:64
	ds_read_b32 v39, v39 offset:64
	v_cmp_gt_u32_e32 vcc, s3, v8
                                        ; implicit-def: $vgpr33
                                        ; implicit-def: $vgpr35
	s_and_saveexec_b64 s[4:5], vcc
	s_cbranch_execz .LBB295_114
; %bb.111:
	v_mul_u32_u24_e32 v1, 17, v8
	v_lshlrev_b32_e32 v2, 2, v1
	ds_read_b32 v33, v2 offset:64
	v_cmp_ne_u32_e64 s[2:3], s2, v8
	v_mov_b32_e32 v1, 0x2000
	s_and_saveexec_b64 s[8:9], s[2:3]
	s_cbranch_execz .LBB295_113
; %bb.112:
	ds_read_b32 v1, v2 offset:132
.LBB295_113:
	s_or_b64 exec, exec, s[8:9]
	s_waitcnt lgkmcnt(0)
	v_sub_u32_e32 v35, v1, v33
.LBB295_114:
	s_or_b64 exec, exec, s[4:5]
	s_waitcnt lgkmcnt(7)
	v_add_u32_e32 v37, v0, v23
	s_waitcnt lgkmcnt(6)
	v_add3_u32 v0, v15, v13, v18
	s_waitcnt lgkmcnt(5)
	v_add3_u32 v1, v19, v16, v20
	;; [unrolled: 2-line block ×7, first 2 shown]
	s_barrier
	ds_write_b8 v37, v4 offset:1024
	ds_write_b8 v0, v5 offset:1024
	;; [unrolled: 1-line block ×8, first 2 shown]
                                        ; implicit-def: $vgpr10_vgpr11
	s_and_saveexec_b64 s[2:3], s[0:1]
	s_xor_b64 s[0:1], exec, s[2:3]
; %bb.115:
	v_mov_b32_e32 v9, 0
	v_pk_mov_b32 v[10:11], v[8:9], v[8:9] op_sel:[0,1]
                                        ; implicit-def: $vgpr40
; %bb.116:
	s_andn2_saveexec_b64 s[2:3], s[0:1]
	s_cbranch_execz .LBB295_126
; %bb.117:
	v_lshl_or_b32 v0, s6, 8, v8
	v_mov_b32_e32 v1, 0
	v_lshlrev_b64 v[2:3], 2, v[0:1]
	v_mov_b32_e32 v6, s35
	v_add_co_u32_e64 v2, s[0:1], s34, v2
	v_addc_co_u32_e64 v3, s[0:1], v6, v3, s[0:1]
	v_or_b32_e32 v0, 2.0, v35
	s_mov_b64 s[4:5], 0
	s_brev_b32 s17, 1
	s_mov_b32 s18, s6
	v_mov_b32_e32 v7, 0
	global_store_dword v[2:3], v0, off
                                        ; implicit-def: $sgpr0_sgpr1
	s_branch .LBB295_120
.LBB295_118:                            ;   in Loop: Header=BB295_120 Depth=1
	s_or_b64 exec, exec, s[14:15]
.LBB295_119:                            ;   in Loop: Header=BB295_120 Depth=1
	s_or_b64 exec, exec, s[8:9]
	v_and_b32_e32 v4, 0x3fffffff, v9
	v_add_u32_e32 v7, v4, v7
	v_cmp_eq_u32_e64 s[0:1], s17, v0
	s_and_b64 s[8:9], exec, s[0:1]
	s_or_b64 s[4:5], s[8:9], s[4:5]
	s_andn2_b64 exec, exec, s[4:5]
	s_cbranch_execz .LBB295_125
.LBB295_120:                            ; =>This Loop Header: Depth=1
                                        ;     Child Loop BB295_123 Depth 2
	s_or_b64 s[0:1], s[0:1], exec
	s_cmp_eq_u32 s18, 0
	s_cbranch_scc1 .LBB295_124
; %bb.121:                              ;   in Loop: Header=BB295_120 Depth=1
	s_add_i32 s18, s18, -1
	v_lshl_or_b32 v0, s18, 8, v8
	v_lshlrev_b64 v[4:5], 2, v[0:1]
	v_add_co_u32_e64 v4, s[0:1], s34, v4
	v_addc_co_u32_e64 v5, s[0:1], v6, v5, s[0:1]
	global_load_dword v9, v[4:5], off glc
	s_waitcnt vmcnt(0)
	v_and_b32_e32 v0, -2.0, v9
	v_cmp_eq_u32_e64 s[0:1], 0, v0
	s_and_saveexec_b64 s[8:9], s[0:1]
	s_cbranch_execz .LBB295_119
; %bb.122:                              ;   in Loop: Header=BB295_120 Depth=1
	s_mov_b64 s[14:15], 0
.LBB295_123:                            ;   Parent Loop BB295_120 Depth=1
                                        ; =>  This Inner Loop Header: Depth=2
	global_load_dword v9, v[4:5], off glc
	s_waitcnt vmcnt(0)
	v_and_b32_e32 v0, -2.0, v9
	v_cmp_ne_u32_e64 s[0:1], 0, v0
	s_or_b64 s[14:15], s[0:1], s[14:15]
	s_andn2_b64 exec, exec, s[14:15]
	s_cbranch_execnz .LBB295_123
	s_branch .LBB295_118
.LBB295_124:                            ;   in Loop: Header=BB295_120 Depth=1
                                        ; implicit-def: $sgpr18
	s_and_b64 s[8:9], exec, s[0:1]
	s_or_b64 s[4:5], s[8:9], s[4:5]
	s_andn2_b64 exec, exec, s[4:5]
	s_cbranch_execnz .LBB295_120
.LBB295_125:
	s_or_b64 exec, exec, s[4:5]
	v_add_u32_e32 v0, v7, v35
	v_or_b32_e32 v0, 0x80000000, v0
	global_store_dword v[2:3], v0, off
	global_load_dword v0, v40, s[28:29]
	v_mov_b32_e32 v9, 0
	v_sub_u32_e32 v1, v7, v33
	v_pk_mov_b32 v[10:11], v[8:9], v[8:9] op_sel:[0,1]
	s_waitcnt vmcnt(0)
	v_add_u32_e32 v0, v1, v0
	ds_write_b32 v40, v0
.LBB295_126:
	s_or_b64 exec, exec, s[2:3]
	s_waitcnt lgkmcnt(0)
	s_barrier
	ds_read_u8 v9, v10 offset:1024
	ds_read_u8 v17, v8 offset:2048
	;; [unrolled: 1-line block ×8, first 2 shown]
	s_waitcnt lgkmcnt(7)
	v_lshrrev_b32_sdwa v0, s44, v9 dst_sel:DWORD dst_unused:UNUSED_PAD src0_sel:DWORD src1_sel:BYTE_0
	v_and_b32_e32 v0, s16, v0
	s_waitcnt lgkmcnt(6)
	v_lshrrev_b32_sdwa v1, s44, v17 dst_sel:DWORD dst_unused:UNUSED_PAD src0_sel:DWORD src1_sel:BYTE_0
	v_lshlrev_b32_e32 v2, 2, v0
	v_and_b32_e32 v1, s16, v1
	s_waitcnt lgkmcnt(5)
	v_lshrrev_b32_sdwa v4, s44, v23 dst_sel:DWORD dst_unused:UNUSED_PAD src0_sel:DWORD src1_sel:BYTE_0
	v_lshlrev_b32_e32 v3, 2, v1
	ds_read_b32 v45, v2
	ds_read_b32 v46, v3
	v_and_b32_e32 v2, s16, v4
	v_lshlrev_b32_e32 v3, 2, v2
	ds_read_b32 v47, v3
	s_waitcnt lgkmcnt(7)
	v_lshrrev_b32_sdwa v3, s44, v40 dst_sel:DWORD dst_unused:UNUSED_PAD src0_sel:DWORD src1_sel:BYTE_0
	v_and_b32_e32 v3, s16, v3
	v_lshlrev_b32_e32 v4, 2, v3
	ds_read_b32 v48, v4
	s_waitcnt lgkmcnt(7)
	v_lshrrev_b32_sdwa v4, s44, v41 dst_sel:DWORD dst_unused:UNUSED_PAD src0_sel:DWORD src1_sel:BYTE_0
	v_and_b32_e32 v4, s16, v4
	v_lshlrev_b32_e32 v5, 2, v4
	ds_read_b32 v49, v5
	s_waitcnt lgkmcnt(7)
	v_lshrrev_b32_sdwa v5, s44, v42 dst_sel:DWORD dst_unused:UNUSED_PAD src0_sel:DWORD src1_sel:BYTE_0
	v_and_b32_e32 v5, s16, v5
	v_lshlrev_b32_e32 v6, 2, v5
	ds_read_b32 v50, v6
	s_waitcnt lgkmcnt(7)
	v_lshrrev_b32_sdwa v6, s44, v43 dst_sel:DWORD dst_unused:UNUSED_PAD src0_sel:DWORD src1_sel:BYTE_0
	v_and_b32_e32 v6, s16, v6
	v_lshlrev_b32_e32 v7, 2, v6
	ds_read_b32 v51, v7
	s_waitcnt lgkmcnt(7)
	v_lshrrev_b32_sdwa v7, s44, v44 dst_sel:DWORD dst_unused:UNUSED_PAD src0_sel:DWORD src1_sel:BYTE_0
	v_and_b32_e32 v7, s16, v7
	s_waitcnt lgkmcnt(6)
	v_add_u32_e32 v45, v45, v8
	s_movk_i32 s2, 0x400
	v_lshlrev_b32_e32 v52, 2, v7
	global_store_byte v45, v9, s[38:39]
	s_waitcnt lgkmcnt(5)
	v_add3_u32 v9, v46, v8, s2
	s_movk_i32 s0, 0x800
	ds_read_b32 v52, v52
	global_store_byte v9, v17, s[38:39]
	s_waitcnt lgkmcnt(5)
	v_add3_u32 v9, v47, v8, s0
	s_movk_i32 s0, 0xc00
	global_store_byte v9, v23, s[38:39]
	s_waitcnt lgkmcnt(4)
	v_add3_u32 v9, v48, v8, s0
	s_movk_i32 s0, 0x1000
	;; [unrolled: 4-line block ×5, first 2 shown]
	global_store_byte v9, v43, s[38:39]
	s_waitcnt lgkmcnt(0)
	v_add3_u32 v9, v52, v8, s0
	s_lshl_b64 s[0:1], s[12:13], 3
	s_add_u32 s0, s40, s0
	v_lshlrev_b32_e32 v12, 3, v12
	s_addc_u32 s1, s41, s1
	global_store_byte v9, v44, s[38:39]
	v_add3_u32 v9, v36, v39, v30
	v_add3_u32 v30, v34, v38, v32
	;; [unrolled: 1-line block ×3, first 2 shown]
	v_lshlrev_b32_e32 v13, 3, v14
	v_mov_b32_e32 v14, s1
	v_add_co_u32_e64 v12, s[0:1], s0, v12
	v_addc_co_u32_e64 v14, s[0:1], 0, v14, s[0:1]
	v_add3_u32 v31, v31, v29, v28
	v_add_co_u32_e64 v28, s[0:1], v12, v13
	v_addc_co_u32_e64 v29, s[0:1], 0, v14, s[0:1]
	v_or_b32_e32 v12, 0x400, v8
	v_mul_u32_u24_e32 v13, 7, v8
	v_add3_u32 v32, v27, v26, v25
	v_add3_u32 v34, v24, v22, v21
	v_add3_u32 v36, v19, v20, v16
	v_add_u32_e32 v39, v12, v13
	global_load_dwordx2 v[12:13], v[28:29], off
	global_load_dwordx2 v[14:15], v[28:29], off offset:512
	global_load_dwordx2 v[16:17], v[28:29], off offset:1024
	;; [unrolled: 1-line block ×7, first 2 shown]
	s_mov_b32 s3, 0
	s_mov_b32 s4, 1
	v_lshlrev_b32_e32 v40, 3, v10
	v_mov_b32_e32 v29, 0
	s_barrier
	s_waitcnt vmcnt(0)
.LBB295_127:                            ; =>This Inner Loop Header: Depth=1
	v_add_u32_e32 v28, s3, v37
	v_min_u32_e32 v28, 0x800, v28
	v_lshlrev_b32_e32 v28, 3, v28
	ds_write_b64 v28, v[12:13] offset:1024
	v_add_u32_e32 v28, s3, v38
	v_min_u32_e32 v28, 0x800, v28
	v_lshlrev_b32_e32 v28, 3, v28
	ds_write_b64 v28, v[14:15] offset:1024
	;; [unrolled: 4-line block ×7, first 2 shown]
	v_add_u32_e32 v28, s3, v9
	s_add_i32 s5, s4, -1
	v_min_u32_e32 v28, 0x800, v28
	s_cmp_eq_u32 s5, 1
	v_lshlrev_b32_e32 v28, 3, v28
	s_cselect_b64 s[0:1], -1, 0
	s_cmp_eq_u32 s5, 2
	ds_write_b64 v28, v[26:27] offset:1024
	v_cndmask_b32_e64 v28, v0, v1, s[0:1]
	s_cselect_b64 s[0:1], -1, 0
	s_cmp_eq_u32 s5, 3
	v_cndmask_b32_e64 v28, v28, v2, s[0:1]
	s_cselect_b64 s[0:1], -1, 0
	s_cmp_eq_u32 s5, 4
	;; [unrolled: 3-line block ×10, first 2 shown]
	v_lshlrev_b32_e32 v28, 2, v28
	v_cndmask_b32_e64 v41, v41, v4, s[0:1]
	s_cselect_b64 s[0:1], -1, 0
	s_cmp_eq_u32 s4, 6
	s_waitcnt lgkmcnt(0)
	s_barrier
	ds_read_b32 v28, v28
	v_cndmask_b32_e64 v41, v41, v5, s[0:1]
	s_cselect_b64 s[0:1], -1, 0
	s_cmp_eq_u32 s4, 7
	v_cndmask_b32_e64 v41, v41, v6, s[0:1]
	s_cselect_b64 s[0:1], -1, 0
	v_cndmask_b32_e64 v41, v41, v7, s[0:1]
	v_lshlrev_b32_e32 v41, 2, v41
	ds_read_b32 v41, v41
	ds_read_b64 v[42:43], v39 offset:8192
	ds_read_b64 v[46:47], v40 offset:1024
	s_waitcnt lgkmcnt(3)
	v_add_u32_e32 v28, v8, v28
	v_lshlrev_b64 v[44:45], 3, v[28:29]
	v_mov_b32_e32 v48, s43
	v_add_co_u32_e64 v44, s[0:1], s42, v44
	v_addc_co_u32_e64 v45, s[0:1], v48, v45, s[0:1]
	s_waitcnt lgkmcnt(2)
	v_add3_u32 v28, v8, v41, s2
	s_waitcnt lgkmcnt(0)
	global_store_dwordx2 v[44:45], v[46:47], off
	v_lshlrev_b64 v[44:45], 3, v[28:29]
	v_add_co_u32_e64 v44, s[0:1], s42, v44
	s_addk_i32 s3, 0xf800
	s_add_i32 s4, s4, 2
	v_addc_co_u32_e64 v45, s[0:1], v48, v45, s[0:1]
	s_cmpk_lg_i32 s3, 0xe000
	v_add_u32_e32 v8, 0x800, v8
	global_store_dwordx2 v[44:45], v[42:43], off
	s_barrier
	s_cbranch_scc1 .LBB295_127
; %bb.128:
	s_add_i32 s7, s7, -1
	s_cmp_eq_u32 s7, s6
	s_cselect_b64 s[0:1], -1, 0
	s_and_b64 s[2:3], vcc, s[0:1]
                                        ; implicit-def: $vgpr2
	s_and_saveexec_b64 s[0:1], s[2:3]
; %bb.129:
	v_add_u32_e32 v2, v33, v35
	s_or_b64 s[10:11], s[10:11], exec
; %bb.130:
	s_or_b64 exec, exec, s[0:1]
.LBB295_131:
	s_and_saveexec_b64 s[0:1], s[10:11]
	s_cbranch_execnz .LBB295_133
; %bb.132:
	s_endpgm
.LBB295_133:
	v_lshlrev_b32_e32 v3, 2, v10
	ds_read_b32 v3, v3
	v_lshlrev_b64 v[0:1], 2, v[10:11]
	v_mov_b32_e32 v4, s31
	v_add_co_u32_e32 v0, vcc, s30, v0
	v_addc_co_u32_e32 v1, vcc, v4, v1, vcc
	s_waitcnt lgkmcnt(0)
	v_add_u32_e32 v2, v3, v2
	global_store_dword v[0:1], v2, off
	s_endpgm
.LBB295_134:
	global_load_dwordx2 v[12:13], v[28:29], off
	s_or_b64 exec, exec, s[18:19]
                                        ; implicit-def: $vgpr14_vgpr15
	s_and_saveexec_b64 s[18:19], s[0:1]
	s_cbranch_execz .LBB295_71
.LBB295_135:
	global_load_dwordx2 v[14:15], v[28:29], off offset:512
	s_or_b64 exec, exec, s[18:19]
                                        ; implicit-def: $vgpr16_vgpr17
	s_and_saveexec_b64 s[0:1], s[2:3]
	s_cbranch_execz .LBB295_72
.LBB295_136:
	global_load_dwordx2 v[16:17], v[28:29], off offset:1024
	s_or_b64 exec, exec, s[0:1]
                                        ; implicit-def: $vgpr18_vgpr19
	s_and_saveexec_b64 s[0:1], s[24:25]
	s_cbranch_execz .LBB295_73
.LBB295_137:
	global_load_dwordx2 v[18:19], v[28:29], off offset:1536
	s_or_b64 exec, exec, s[0:1]
                                        ; implicit-def: $vgpr20_vgpr21
	s_and_saveexec_b64 s[0:1], s[8:9]
	s_cbranch_execz .LBB295_74
.LBB295_138:
	global_load_dwordx2 v[20:21], v[28:29], off offset:2048
	s_or_b64 exec, exec, s[0:1]
                                        ; implicit-def: $vgpr22_vgpr23
	s_and_saveexec_b64 s[0:1], s[10:11]
	s_cbranch_execz .LBB295_75
.LBB295_139:
	global_load_dwordx2 v[22:23], v[28:29], off offset:2560
	s_or_b64 exec, exec, s[0:1]
                                        ; implicit-def: $vgpr24_vgpr25
	s_and_saveexec_b64 s[0:1], s[12:13]
	s_cbranch_execz .LBB295_76
.LBB295_140:
	global_load_dwordx2 v[24:25], v[28:29], off offset:3072
	s_or_b64 exec, exec, s[0:1]
                                        ; implicit-def: $vgpr26_vgpr27
	s_and_saveexec_b64 s[0:1], s[14:15]
	s_cbranch_execnz .LBB295_77
	s_branch .LBB295_78
	.section	.rodata,"a",@progbits
	.p2align	6, 0x0
	.amdhsa_kernel _ZN7rocprim17ROCPRIM_400000_NS6detail17trampoline_kernelINS0_14default_configENS1_35radix_sort_onesweep_config_selectorIhlEEZZNS1_29radix_sort_onesweep_iterationIS3_Lb0EPhS7_N6thrust23THRUST_200600_302600_NS10device_ptrIlEESB_jNS0_19identity_decomposerENS1_16block_id_wrapperIjLb0EEEEE10hipError_tT1_PNSt15iterator_traitsISG_E10value_typeET2_T3_PNSH_ISM_E10value_typeET4_T5_PSR_SS_PNS1_23onesweep_lookback_stateEbbT6_jjT7_P12ihipStream_tbENKUlT_T0_SG_SL_E_clIS7_S7_SB_SB_EEDaSZ_S10_SG_SL_EUlSZ_E_NS1_11comp_targetILNS1_3genE4ELNS1_11target_archE910ELNS1_3gpuE8ELNS1_3repE0EEENS1_47radix_sort_onesweep_sort_config_static_selectorELNS0_4arch9wavefront6targetE1EEEvSG_
		.amdhsa_group_segment_fixed_size 20552
		.amdhsa_private_segment_fixed_size 0
		.amdhsa_kernarg_size 344
		.amdhsa_user_sgpr_count 6
		.amdhsa_user_sgpr_private_segment_buffer 1
		.amdhsa_user_sgpr_dispatch_ptr 0
		.amdhsa_user_sgpr_queue_ptr 0
		.amdhsa_user_sgpr_kernarg_segment_ptr 1
		.amdhsa_user_sgpr_dispatch_id 0
		.amdhsa_user_sgpr_flat_scratch_init 0
		.amdhsa_user_sgpr_kernarg_preload_length 0
		.amdhsa_user_sgpr_kernarg_preload_offset 0
		.amdhsa_user_sgpr_private_segment_size 0
		.amdhsa_uses_dynamic_stack 0
		.amdhsa_system_sgpr_private_segment_wavefront_offset 0
		.amdhsa_system_sgpr_workgroup_id_x 1
		.amdhsa_system_sgpr_workgroup_id_y 0
		.amdhsa_system_sgpr_workgroup_id_z 0
		.amdhsa_system_sgpr_workgroup_info 0
		.amdhsa_system_vgpr_workitem_id 2
		.amdhsa_next_free_vgpr 55
		.amdhsa_next_free_sgpr 53
		.amdhsa_accum_offset 56
		.amdhsa_reserve_vcc 1
		.amdhsa_reserve_flat_scratch 0
		.amdhsa_float_round_mode_32 0
		.amdhsa_float_round_mode_16_64 0
		.amdhsa_float_denorm_mode_32 3
		.amdhsa_float_denorm_mode_16_64 3
		.amdhsa_dx10_clamp 1
		.amdhsa_ieee_mode 1
		.amdhsa_fp16_overflow 0
		.amdhsa_tg_split 0
		.amdhsa_exception_fp_ieee_invalid_op 0
		.amdhsa_exception_fp_denorm_src 0
		.amdhsa_exception_fp_ieee_div_zero 0
		.amdhsa_exception_fp_ieee_overflow 0
		.amdhsa_exception_fp_ieee_underflow 0
		.amdhsa_exception_fp_ieee_inexact 0
		.amdhsa_exception_int_div_zero 0
	.end_amdhsa_kernel
	.section	.text._ZN7rocprim17ROCPRIM_400000_NS6detail17trampoline_kernelINS0_14default_configENS1_35radix_sort_onesweep_config_selectorIhlEEZZNS1_29radix_sort_onesweep_iterationIS3_Lb0EPhS7_N6thrust23THRUST_200600_302600_NS10device_ptrIlEESB_jNS0_19identity_decomposerENS1_16block_id_wrapperIjLb0EEEEE10hipError_tT1_PNSt15iterator_traitsISG_E10value_typeET2_T3_PNSH_ISM_E10value_typeET4_T5_PSR_SS_PNS1_23onesweep_lookback_stateEbbT6_jjT7_P12ihipStream_tbENKUlT_T0_SG_SL_E_clIS7_S7_SB_SB_EEDaSZ_S10_SG_SL_EUlSZ_E_NS1_11comp_targetILNS1_3genE4ELNS1_11target_archE910ELNS1_3gpuE8ELNS1_3repE0EEENS1_47radix_sort_onesweep_sort_config_static_selectorELNS0_4arch9wavefront6targetE1EEEvSG_,"axG",@progbits,_ZN7rocprim17ROCPRIM_400000_NS6detail17trampoline_kernelINS0_14default_configENS1_35radix_sort_onesweep_config_selectorIhlEEZZNS1_29radix_sort_onesweep_iterationIS3_Lb0EPhS7_N6thrust23THRUST_200600_302600_NS10device_ptrIlEESB_jNS0_19identity_decomposerENS1_16block_id_wrapperIjLb0EEEEE10hipError_tT1_PNSt15iterator_traitsISG_E10value_typeET2_T3_PNSH_ISM_E10value_typeET4_T5_PSR_SS_PNS1_23onesweep_lookback_stateEbbT6_jjT7_P12ihipStream_tbENKUlT_T0_SG_SL_E_clIS7_S7_SB_SB_EEDaSZ_S10_SG_SL_EUlSZ_E_NS1_11comp_targetILNS1_3genE4ELNS1_11target_archE910ELNS1_3gpuE8ELNS1_3repE0EEENS1_47radix_sort_onesweep_sort_config_static_selectorELNS0_4arch9wavefront6targetE1EEEvSG_,comdat
.Lfunc_end295:
	.size	_ZN7rocprim17ROCPRIM_400000_NS6detail17trampoline_kernelINS0_14default_configENS1_35radix_sort_onesweep_config_selectorIhlEEZZNS1_29radix_sort_onesweep_iterationIS3_Lb0EPhS7_N6thrust23THRUST_200600_302600_NS10device_ptrIlEESB_jNS0_19identity_decomposerENS1_16block_id_wrapperIjLb0EEEEE10hipError_tT1_PNSt15iterator_traitsISG_E10value_typeET2_T3_PNSH_ISM_E10value_typeET4_T5_PSR_SS_PNS1_23onesweep_lookback_stateEbbT6_jjT7_P12ihipStream_tbENKUlT_T0_SG_SL_E_clIS7_S7_SB_SB_EEDaSZ_S10_SG_SL_EUlSZ_E_NS1_11comp_targetILNS1_3genE4ELNS1_11target_archE910ELNS1_3gpuE8ELNS1_3repE0EEENS1_47radix_sort_onesweep_sort_config_static_selectorELNS0_4arch9wavefront6targetE1EEEvSG_, .Lfunc_end295-_ZN7rocprim17ROCPRIM_400000_NS6detail17trampoline_kernelINS0_14default_configENS1_35radix_sort_onesweep_config_selectorIhlEEZZNS1_29radix_sort_onesweep_iterationIS3_Lb0EPhS7_N6thrust23THRUST_200600_302600_NS10device_ptrIlEESB_jNS0_19identity_decomposerENS1_16block_id_wrapperIjLb0EEEEE10hipError_tT1_PNSt15iterator_traitsISG_E10value_typeET2_T3_PNSH_ISM_E10value_typeET4_T5_PSR_SS_PNS1_23onesweep_lookback_stateEbbT6_jjT7_P12ihipStream_tbENKUlT_T0_SG_SL_E_clIS7_S7_SB_SB_EEDaSZ_S10_SG_SL_EUlSZ_E_NS1_11comp_targetILNS1_3genE4ELNS1_11target_archE910ELNS1_3gpuE8ELNS1_3repE0EEENS1_47radix_sort_onesweep_sort_config_static_selectorELNS0_4arch9wavefront6targetE1EEEvSG_
                                        ; -- End function
	.section	.AMDGPU.csdata,"",@progbits
; Kernel info:
; codeLenInByte = 12700
; NumSgprs: 57
; NumVgprs: 55
; NumAgprs: 0
; TotalNumVgprs: 55
; ScratchSize: 0
; MemoryBound: 0
; FloatMode: 240
; IeeeMode: 1
; LDSByteSize: 20552 bytes/workgroup (compile time only)
; SGPRBlocks: 7
; VGPRBlocks: 6
; NumSGPRsForWavesPerEU: 57
; NumVGPRsForWavesPerEU: 55
; AccumOffset: 56
; Occupancy: 8
; WaveLimiterHint : 1
; COMPUTE_PGM_RSRC2:SCRATCH_EN: 0
; COMPUTE_PGM_RSRC2:USER_SGPR: 6
; COMPUTE_PGM_RSRC2:TRAP_HANDLER: 0
; COMPUTE_PGM_RSRC2:TGID_X_EN: 1
; COMPUTE_PGM_RSRC2:TGID_Y_EN: 0
; COMPUTE_PGM_RSRC2:TGID_Z_EN: 0
; COMPUTE_PGM_RSRC2:TIDIG_COMP_CNT: 2
; COMPUTE_PGM_RSRC3_GFX90A:ACCUM_OFFSET: 13
; COMPUTE_PGM_RSRC3_GFX90A:TG_SPLIT: 0
	.section	.text._ZN7rocprim17ROCPRIM_400000_NS6detail17trampoline_kernelINS0_14default_configENS1_35radix_sort_onesweep_config_selectorIhlEEZZNS1_29radix_sort_onesweep_iterationIS3_Lb0EPhS7_N6thrust23THRUST_200600_302600_NS10device_ptrIlEESB_jNS0_19identity_decomposerENS1_16block_id_wrapperIjLb0EEEEE10hipError_tT1_PNSt15iterator_traitsISG_E10value_typeET2_T3_PNSH_ISM_E10value_typeET4_T5_PSR_SS_PNS1_23onesweep_lookback_stateEbbT6_jjT7_P12ihipStream_tbENKUlT_T0_SG_SL_E_clIS7_S7_SB_SB_EEDaSZ_S10_SG_SL_EUlSZ_E_NS1_11comp_targetILNS1_3genE3ELNS1_11target_archE908ELNS1_3gpuE7ELNS1_3repE0EEENS1_47radix_sort_onesweep_sort_config_static_selectorELNS0_4arch9wavefront6targetE1EEEvSG_,"axG",@progbits,_ZN7rocprim17ROCPRIM_400000_NS6detail17trampoline_kernelINS0_14default_configENS1_35radix_sort_onesweep_config_selectorIhlEEZZNS1_29radix_sort_onesweep_iterationIS3_Lb0EPhS7_N6thrust23THRUST_200600_302600_NS10device_ptrIlEESB_jNS0_19identity_decomposerENS1_16block_id_wrapperIjLb0EEEEE10hipError_tT1_PNSt15iterator_traitsISG_E10value_typeET2_T3_PNSH_ISM_E10value_typeET4_T5_PSR_SS_PNS1_23onesweep_lookback_stateEbbT6_jjT7_P12ihipStream_tbENKUlT_T0_SG_SL_E_clIS7_S7_SB_SB_EEDaSZ_S10_SG_SL_EUlSZ_E_NS1_11comp_targetILNS1_3genE3ELNS1_11target_archE908ELNS1_3gpuE7ELNS1_3repE0EEENS1_47radix_sort_onesweep_sort_config_static_selectorELNS0_4arch9wavefront6targetE1EEEvSG_,comdat
	.protected	_ZN7rocprim17ROCPRIM_400000_NS6detail17trampoline_kernelINS0_14default_configENS1_35radix_sort_onesweep_config_selectorIhlEEZZNS1_29radix_sort_onesweep_iterationIS3_Lb0EPhS7_N6thrust23THRUST_200600_302600_NS10device_ptrIlEESB_jNS0_19identity_decomposerENS1_16block_id_wrapperIjLb0EEEEE10hipError_tT1_PNSt15iterator_traitsISG_E10value_typeET2_T3_PNSH_ISM_E10value_typeET4_T5_PSR_SS_PNS1_23onesweep_lookback_stateEbbT6_jjT7_P12ihipStream_tbENKUlT_T0_SG_SL_E_clIS7_S7_SB_SB_EEDaSZ_S10_SG_SL_EUlSZ_E_NS1_11comp_targetILNS1_3genE3ELNS1_11target_archE908ELNS1_3gpuE7ELNS1_3repE0EEENS1_47radix_sort_onesweep_sort_config_static_selectorELNS0_4arch9wavefront6targetE1EEEvSG_ ; -- Begin function _ZN7rocprim17ROCPRIM_400000_NS6detail17trampoline_kernelINS0_14default_configENS1_35radix_sort_onesweep_config_selectorIhlEEZZNS1_29radix_sort_onesweep_iterationIS3_Lb0EPhS7_N6thrust23THRUST_200600_302600_NS10device_ptrIlEESB_jNS0_19identity_decomposerENS1_16block_id_wrapperIjLb0EEEEE10hipError_tT1_PNSt15iterator_traitsISG_E10value_typeET2_T3_PNSH_ISM_E10value_typeET4_T5_PSR_SS_PNS1_23onesweep_lookback_stateEbbT6_jjT7_P12ihipStream_tbENKUlT_T0_SG_SL_E_clIS7_S7_SB_SB_EEDaSZ_S10_SG_SL_EUlSZ_E_NS1_11comp_targetILNS1_3genE3ELNS1_11target_archE908ELNS1_3gpuE7ELNS1_3repE0EEENS1_47radix_sort_onesweep_sort_config_static_selectorELNS0_4arch9wavefront6targetE1EEEvSG_
	.globl	_ZN7rocprim17ROCPRIM_400000_NS6detail17trampoline_kernelINS0_14default_configENS1_35radix_sort_onesweep_config_selectorIhlEEZZNS1_29radix_sort_onesweep_iterationIS3_Lb0EPhS7_N6thrust23THRUST_200600_302600_NS10device_ptrIlEESB_jNS0_19identity_decomposerENS1_16block_id_wrapperIjLb0EEEEE10hipError_tT1_PNSt15iterator_traitsISG_E10value_typeET2_T3_PNSH_ISM_E10value_typeET4_T5_PSR_SS_PNS1_23onesweep_lookback_stateEbbT6_jjT7_P12ihipStream_tbENKUlT_T0_SG_SL_E_clIS7_S7_SB_SB_EEDaSZ_S10_SG_SL_EUlSZ_E_NS1_11comp_targetILNS1_3genE3ELNS1_11target_archE908ELNS1_3gpuE7ELNS1_3repE0EEENS1_47radix_sort_onesweep_sort_config_static_selectorELNS0_4arch9wavefront6targetE1EEEvSG_
	.p2align	8
	.type	_ZN7rocprim17ROCPRIM_400000_NS6detail17trampoline_kernelINS0_14default_configENS1_35radix_sort_onesweep_config_selectorIhlEEZZNS1_29radix_sort_onesweep_iterationIS3_Lb0EPhS7_N6thrust23THRUST_200600_302600_NS10device_ptrIlEESB_jNS0_19identity_decomposerENS1_16block_id_wrapperIjLb0EEEEE10hipError_tT1_PNSt15iterator_traitsISG_E10value_typeET2_T3_PNSH_ISM_E10value_typeET4_T5_PSR_SS_PNS1_23onesweep_lookback_stateEbbT6_jjT7_P12ihipStream_tbENKUlT_T0_SG_SL_E_clIS7_S7_SB_SB_EEDaSZ_S10_SG_SL_EUlSZ_E_NS1_11comp_targetILNS1_3genE3ELNS1_11target_archE908ELNS1_3gpuE7ELNS1_3repE0EEENS1_47radix_sort_onesweep_sort_config_static_selectorELNS0_4arch9wavefront6targetE1EEEvSG_,@function
_ZN7rocprim17ROCPRIM_400000_NS6detail17trampoline_kernelINS0_14default_configENS1_35radix_sort_onesweep_config_selectorIhlEEZZNS1_29radix_sort_onesweep_iterationIS3_Lb0EPhS7_N6thrust23THRUST_200600_302600_NS10device_ptrIlEESB_jNS0_19identity_decomposerENS1_16block_id_wrapperIjLb0EEEEE10hipError_tT1_PNSt15iterator_traitsISG_E10value_typeET2_T3_PNSH_ISM_E10value_typeET4_T5_PSR_SS_PNS1_23onesweep_lookback_stateEbbT6_jjT7_P12ihipStream_tbENKUlT_T0_SG_SL_E_clIS7_S7_SB_SB_EEDaSZ_S10_SG_SL_EUlSZ_E_NS1_11comp_targetILNS1_3genE3ELNS1_11target_archE908ELNS1_3gpuE7ELNS1_3repE0EEENS1_47radix_sort_onesweep_sort_config_static_selectorELNS0_4arch9wavefront6targetE1EEEvSG_: ; @_ZN7rocprim17ROCPRIM_400000_NS6detail17trampoline_kernelINS0_14default_configENS1_35radix_sort_onesweep_config_selectorIhlEEZZNS1_29radix_sort_onesweep_iterationIS3_Lb0EPhS7_N6thrust23THRUST_200600_302600_NS10device_ptrIlEESB_jNS0_19identity_decomposerENS1_16block_id_wrapperIjLb0EEEEE10hipError_tT1_PNSt15iterator_traitsISG_E10value_typeET2_T3_PNSH_ISM_E10value_typeET4_T5_PSR_SS_PNS1_23onesweep_lookback_stateEbbT6_jjT7_P12ihipStream_tbENKUlT_T0_SG_SL_E_clIS7_S7_SB_SB_EEDaSZ_S10_SG_SL_EUlSZ_E_NS1_11comp_targetILNS1_3genE3ELNS1_11target_archE908ELNS1_3gpuE7ELNS1_3repE0EEENS1_47radix_sort_onesweep_sort_config_static_selectorELNS0_4arch9wavefront6targetE1EEEvSG_
; %bb.0:
	.section	.rodata,"a",@progbits
	.p2align	6, 0x0
	.amdhsa_kernel _ZN7rocprim17ROCPRIM_400000_NS6detail17trampoline_kernelINS0_14default_configENS1_35radix_sort_onesweep_config_selectorIhlEEZZNS1_29radix_sort_onesweep_iterationIS3_Lb0EPhS7_N6thrust23THRUST_200600_302600_NS10device_ptrIlEESB_jNS0_19identity_decomposerENS1_16block_id_wrapperIjLb0EEEEE10hipError_tT1_PNSt15iterator_traitsISG_E10value_typeET2_T3_PNSH_ISM_E10value_typeET4_T5_PSR_SS_PNS1_23onesweep_lookback_stateEbbT6_jjT7_P12ihipStream_tbENKUlT_T0_SG_SL_E_clIS7_S7_SB_SB_EEDaSZ_S10_SG_SL_EUlSZ_E_NS1_11comp_targetILNS1_3genE3ELNS1_11target_archE908ELNS1_3gpuE7ELNS1_3repE0EEENS1_47radix_sort_onesweep_sort_config_static_selectorELNS0_4arch9wavefront6targetE1EEEvSG_
		.amdhsa_group_segment_fixed_size 0
		.amdhsa_private_segment_fixed_size 0
		.amdhsa_kernarg_size 88
		.amdhsa_user_sgpr_count 6
		.amdhsa_user_sgpr_private_segment_buffer 1
		.amdhsa_user_sgpr_dispatch_ptr 0
		.amdhsa_user_sgpr_queue_ptr 0
		.amdhsa_user_sgpr_kernarg_segment_ptr 1
		.amdhsa_user_sgpr_dispatch_id 0
		.amdhsa_user_sgpr_flat_scratch_init 0
		.amdhsa_user_sgpr_kernarg_preload_length 0
		.amdhsa_user_sgpr_kernarg_preload_offset 0
		.amdhsa_user_sgpr_private_segment_size 0
		.amdhsa_uses_dynamic_stack 0
		.amdhsa_system_sgpr_private_segment_wavefront_offset 0
		.amdhsa_system_sgpr_workgroup_id_x 1
		.amdhsa_system_sgpr_workgroup_id_y 0
		.amdhsa_system_sgpr_workgroup_id_z 0
		.amdhsa_system_sgpr_workgroup_info 0
		.amdhsa_system_vgpr_workitem_id 0
		.amdhsa_next_free_vgpr 1
		.amdhsa_next_free_sgpr 0
		.amdhsa_accum_offset 4
		.amdhsa_reserve_vcc 0
		.amdhsa_reserve_flat_scratch 0
		.amdhsa_float_round_mode_32 0
		.amdhsa_float_round_mode_16_64 0
		.amdhsa_float_denorm_mode_32 3
		.amdhsa_float_denorm_mode_16_64 3
		.amdhsa_dx10_clamp 1
		.amdhsa_ieee_mode 1
		.amdhsa_fp16_overflow 0
		.amdhsa_tg_split 0
		.amdhsa_exception_fp_ieee_invalid_op 0
		.amdhsa_exception_fp_denorm_src 0
		.amdhsa_exception_fp_ieee_div_zero 0
		.amdhsa_exception_fp_ieee_overflow 0
		.amdhsa_exception_fp_ieee_underflow 0
		.amdhsa_exception_fp_ieee_inexact 0
		.amdhsa_exception_int_div_zero 0
	.end_amdhsa_kernel
	.section	.text._ZN7rocprim17ROCPRIM_400000_NS6detail17trampoline_kernelINS0_14default_configENS1_35radix_sort_onesweep_config_selectorIhlEEZZNS1_29radix_sort_onesweep_iterationIS3_Lb0EPhS7_N6thrust23THRUST_200600_302600_NS10device_ptrIlEESB_jNS0_19identity_decomposerENS1_16block_id_wrapperIjLb0EEEEE10hipError_tT1_PNSt15iterator_traitsISG_E10value_typeET2_T3_PNSH_ISM_E10value_typeET4_T5_PSR_SS_PNS1_23onesweep_lookback_stateEbbT6_jjT7_P12ihipStream_tbENKUlT_T0_SG_SL_E_clIS7_S7_SB_SB_EEDaSZ_S10_SG_SL_EUlSZ_E_NS1_11comp_targetILNS1_3genE3ELNS1_11target_archE908ELNS1_3gpuE7ELNS1_3repE0EEENS1_47radix_sort_onesweep_sort_config_static_selectorELNS0_4arch9wavefront6targetE1EEEvSG_,"axG",@progbits,_ZN7rocprim17ROCPRIM_400000_NS6detail17trampoline_kernelINS0_14default_configENS1_35radix_sort_onesweep_config_selectorIhlEEZZNS1_29radix_sort_onesweep_iterationIS3_Lb0EPhS7_N6thrust23THRUST_200600_302600_NS10device_ptrIlEESB_jNS0_19identity_decomposerENS1_16block_id_wrapperIjLb0EEEEE10hipError_tT1_PNSt15iterator_traitsISG_E10value_typeET2_T3_PNSH_ISM_E10value_typeET4_T5_PSR_SS_PNS1_23onesweep_lookback_stateEbbT6_jjT7_P12ihipStream_tbENKUlT_T0_SG_SL_E_clIS7_S7_SB_SB_EEDaSZ_S10_SG_SL_EUlSZ_E_NS1_11comp_targetILNS1_3genE3ELNS1_11target_archE908ELNS1_3gpuE7ELNS1_3repE0EEENS1_47radix_sort_onesweep_sort_config_static_selectorELNS0_4arch9wavefront6targetE1EEEvSG_,comdat
.Lfunc_end296:
	.size	_ZN7rocprim17ROCPRIM_400000_NS6detail17trampoline_kernelINS0_14default_configENS1_35radix_sort_onesweep_config_selectorIhlEEZZNS1_29radix_sort_onesweep_iterationIS3_Lb0EPhS7_N6thrust23THRUST_200600_302600_NS10device_ptrIlEESB_jNS0_19identity_decomposerENS1_16block_id_wrapperIjLb0EEEEE10hipError_tT1_PNSt15iterator_traitsISG_E10value_typeET2_T3_PNSH_ISM_E10value_typeET4_T5_PSR_SS_PNS1_23onesweep_lookback_stateEbbT6_jjT7_P12ihipStream_tbENKUlT_T0_SG_SL_E_clIS7_S7_SB_SB_EEDaSZ_S10_SG_SL_EUlSZ_E_NS1_11comp_targetILNS1_3genE3ELNS1_11target_archE908ELNS1_3gpuE7ELNS1_3repE0EEENS1_47radix_sort_onesweep_sort_config_static_selectorELNS0_4arch9wavefront6targetE1EEEvSG_, .Lfunc_end296-_ZN7rocprim17ROCPRIM_400000_NS6detail17trampoline_kernelINS0_14default_configENS1_35radix_sort_onesweep_config_selectorIhlEEZZNS1_29radix_sort_onesweep_iterationIS3_Lb0EPhS7_N6thrust23THRUST_200600_302600_NS10device_ptrIlEESB_jNS0_19identity_decomposerENS1_16block_id_wrapperIjLb0EEEEE10hipError_tT1_PNSt15iterator_traitsISG_E10value_typeET2_T3_PNSH_ISM_E10value_typeET4_T5_PSR_SS_PNS1_23onesweep_lookback_stateEbbT6_jjT7_P12ihipStream_tbENKUlT_T0_SG_SL_E_clIS7_S7_SB_SB_EEDaSZ_S10_SG_SL_EUlSZ_E_NS1_11comp_targetILNS1_3genE3ELNS1_11target_archE908ELNS1_3gpuE7ELNS1_3repE0EEENS1_47radix_sort_onesweep_sort_config_static_selectorELNS0_4arch9wavefront6targetE1EEEvSG_
                                        ; -- End function
	.section	.AMDGPU.csdata,"",@progbits
; Kernel info:
; codeLenInByte = 0
; NumSgprs: 4
; NumVgprs: 0
; NumAgprs: 0
; TotalNumVgprs: 0
; ScratchSize: 0
; MemoryBound: 0
; FloatMode: 240
; IeeeMode: 1
; LDSByteSize: 0 bytes/workgroup (compile time only)
; SGPRBlocks: 0
; VGPRBlocks: 0
; NumSGPRsForWavesPerEU: 4
; NumVGPRsForWavesPerEU: 1
; AccumOffset: 4
; Occupancy: 8
; WaveLimiterHint : 0
; COMPUTE_PGM_RSRC2:SCRATCH_EN: 0
; COMPUTE_PGM_RSRC2:USER_SGPR: 6
; COMPUTE_PGM_RSRC2:TRAP_HANDLER: 0
; COMPUTE_PGM_RSRC2:TGID_X_EN: 1
; COMPUTE_PGM_RSRC2:TGID_Y_EN: 0
; COMPUTE_PGM_RSRC2:TGID_Z_EN: 0
; COMPUTE_PGM_RSRC2:TIDIG_COMP_CNT: 0
; COMPUTE_PGM_RSRC3_GFX90A:ACCUM_OFFSET: 0
; COMPUTE_PGM_RSRC3_GFX90A:TG_SPLIT: 0
	.section	.text._ZN7rocprim17ROCPRIM_400000_NS6detail17trampoline_kernelINS0_14default_configENS1_35radix_sort_onesweep_config_selectorIhlEEZZNS1_29radix_sort_onesweep_iterationIS3_Lb0EPhS7_N6thrust23THRUST_200600_302600_NS10device_ptrIlEESB_jNS0_19identity_decomposerENS1_16block_id_wrapperIjLb0EEEEE10hipError_tT1_PNSt15iterator_traitsISG_E10value_typeET2_T3_PNSH_ISM_E10value_typeET4_T5_PSR_SS_PNS1_23onesweep_lookback_stateEbbT6_jjT7_P12ihipStream_tbENKUlT_T0_SG_SL_E_clIS7_S7_SB_SB_EEDaSZ_S10_SG_SL_EUlSZ_E_NS1_11comp_targetILNS1_3genE10ELNS1_11target_archE1201ELNS1_3gpuE5ELNS1_3repE0EEENS1_47radix_sort_onesweep_sort_config_static_selectorELNS0_4arch9wavefront6targetE1EEEvSG_,"axG",@progbits,_ZN7rocprim17ROCPRIM_400000_NS6detail17trampoline_kernelINS0_14default_configENS1_35radix_sort_onesweep_config_selectorIhlEEZZNS1_29radix_sort_onesweep_iterationIS3_Lb0EPhS7_N6thrust23THRUST_200600_302600_NS10device_ptrIlEESB_jNS0_19identity_decomposerENS1_16block_id_wrapperIjLb0EEEEE10hipError_tT1_PNSt15iterator_traitsISG_E10value_typeET2_T3_PNSH_ISM_E10value_typeET4_T5_PSR_SS_PNS1_23onesweep_lookback_stateEbbT6_jjT7_P12ihipStream_tbENKUlT_T0_SG_SL_E_clIS7_S7_SB_SB_EEDaSZ_S10_SG_SL_EUlSZ_E_NS1_11comp_targetILNS1_3genE10ELNS1_11target_archE1201ELNS1_3gpuE5ELNS1_3repE0EEENS1_47radix_sort_onesweep_sort_config_static_selectorELNS0_4arch9wavefront6targetE1EEEvSG_,comdat
	.protected	_ZN7rocprim17ROCPRIM_400000_NS6detail17trampoline_kernelINS0_14default_configENS1_35radix_sort_onesweep_config_selectorIhlEEZZNS1_29radix_sort_onesweep_iterationIS3_Lb0EPhS7_N6thrust23THRUST_200600_302600_NS10device_ptrIlEESB_jNS0_19identity_decomposerENS1_16block_id_wrapperIjLb0EEEEE10hipError_tT1_PNSt15iterator_traitsISG_E10value_typeET2_T3_PNSH_ISM_E10value_typeET4_T5_PSR_SS_PNS1_23onesweep_lookback_stateEbbT6_jjT7_P12ihipStream_tbENKUlT_T0_SG_SL_E_clIS7_S7_SB_SB_EEDaSZ_S10_SG_SL_EUlSZ_E_NS1_11comp_targetILNS1_3genE10ELNS1_11target_archE1201ELNS1_3gpuE5ELNS1_3repE0EEENS1_47radix_sort_onesweep_sort_config_static_selectorELNS0_4arch9wavefront6targetE1EEEvSG_ ; -- Begin function _ZN7rocprim17ROCPRIM_400000_NS6detail17trampoline_kernelINS0_14default_configENS1_35radix_sort_onesweep_config_selectorIhlEEZZNS1_29radix_sort_onesweep_iterationIS3_Lb0EPhS7_N6thrust23THRUST_200600_302600_NS10device_ptrIlEESB_jNS0_19identity_decomposerENS1_16block_id_wrapperIjLb0EEEEE10hipError_tT1_PNSt15iterator_traitsISG_E10value_typeET2_T3_PNSH_ISM_E10value_typeET4_T5_PSR_SS_PNS1_23onesweep_lookback_stateEbbT6_jjT7_P12ihipStream_tbENKUlT_T0_SG_SL_E_clIS7_S7_SB_SB_EEDaSZ_S10_SG_SL_EUlSZ_E_NS1_11comp_targetILNS1_3genE10ELNS1_11target_archE1201ELNS1_3gpuE5ELNS1_3repE0EEENS1_47radix_sort_onesweep_sort_config_static_selectorELNS0_4arch9wavefront6targetE1EEEvSG_
	.globl	_ZN7rocprim17ROCPRIM_400000_NS6detail17trampoline_kernelINS0_14default_configENS1_35radix_sort_onesweep_config_selectorIhlEEZZNS1_29radix_sort_onesweep_iterationIS3_Lb0EPhS7_N6thrust23THRUST_200600_302600_NS10device_ptrIlEESB_jNS0_19identity_decomposerENS1_16block_id_wrapperIjLb0EEEEE10hipError_tT1_PNSt15iterator_traitsISG_E10value_typeET2_T3_PNSH_ISM_E10value_typeET4_T5_PSR_SS_PNS1_23onesweep_lookback_stateEbbT6_jjT7_P12ihipStream_tbENKUlT_T0_SG_SL_E_clIS7_S7_SB_SB_EEDaSZ_S10_SG_SL_EUlSZ_E_NS1_11comp_targetILNS1_3genE10ELNS1_11target_archE1201ELNS1_3gpuE5ELNS1_3repE0EEENS1_47radix_sort_onesweep_sort_config_static_selectorELNS0_4arch9wavefront6targetE1EEEvSG_
	.p2align	8
	.type	_ZN7rocprim17ROCPRIM_400000_NS6detail17trampoline_kernelINS0_14default_configENS1_35radix_sort_onesweep_config_selectorIhlEEZZNS1_29radix_sort_onesweep_iterationIS3_Lb0EPhS7_N6thrust23THRUST_200600_302600_NS10device_ptrIlEESB_jNS0_19identity_decomposerENS1_16block_id_wrapperIjLb0EEEEE10hipError_tT1_PNSt15iterator_traitsISG_E10value_typeET2_T3_PNSH_ISM_E10value_typeET4_T5_PSR_SS_PNS1_23onesweep_lookback_stateEbbT6_jjT7_P12ihipStream_tbENKUlT_T0_SG_SL_E_clIS7_S7_SB_SB_EEDaSZ_S10_SG_SL_EUlSZ_E_NS1_11comp_targetILNS1_3genE10ELNS1_11target_archE1201ELNS1_3gpuE5ELNS1_3repE0EEENS1_47radix_sort_onesweep_sort_config_static_selectorELNS0_4arch9wavefront6targetE1EEEvSG_,@function
_ZN7rocprim17ROCPRIM_400000_NS6detail17trampoline_kernelINS0_14default_configENS1_35radix_sort_onesweep_config_selectorIhlEEZZNS1_29radix_sort_onesweep_iterationIS3_Lb0EPhS7_N6thrust23THRUST_200600_302600_NS10device_ptrIlEESB_jNS0_19identity_decomposerENS1_16block_id_wrapperIjLb0EEEEE10hipError_tT1_PNSt15iterator_traitsISG_E10value_typeET2_T3_PNSH_ISM_E10value_typeET4_T5_PSR_SS_PNS1_23onesweep_lookback_stateEbbT6_jjT7_P12ihipStream_tbENKUlT_T0_SG_SL_E_clIS7_S7_SB_SB_EEDaSZ_S10_SG_SL_EUlSZ_E_NS1_11comp_targetILNS1_3genE10ELNS1_11target_archE1201ELNS1_3gpuE5ELNS1_3repE0EEENS1_47radix_sort_onesweep_sort_config_static_selectorELNS0_4arch9wavefront6targetE1EEEvSG_: ; @_ZN7rocprim17ROCPRIM_400000_NS6detail17trampoline_kernelINS0_14default_configENS1_35radix_sort_onesweep_config_selectorIhlEEZZNS1_29radix_sort_onesweep_iterationIS3_Lb0EPhS7_N6thrust23THRUST_200600_302600_NS10device_ptrIlEESB_jNS0_19identity_decomposerENS1_16block_id_wrapperIjLb0EEEEE10hipError_tT1_PNSt15iterator_traitsISG_E10value_typeET2_T3_PNSH_ISM_E10value_typeET4_T5_PSR_SS_PNS1_23onesweep_lookback_stateEbbT6_jjT7_P12ihipStream_tbENKUlT_T0_SG_SL_E_clIS7_S7_SB_SB_EEDaSZ_S10_SG_SL_EUlSZ_E_NS1_11comp_targetILNS1_3genE10ELNS1_11target_archE1201ELNS1_3gpuE5ELNS1_3repE0EEENS1_47radix_sort_onesweep_sort_config_static_selectorELNS0_4arch9wavefront6targetE1EEEvSG_
; %bb.0:
	.section	.rodata,"a",@progbits
	.p2align	6, 0x0
	.amdhsa_kernel _ZN7rocprim17ROCPRIM_400000_NS6detail17trampoline_kernelINS0_14default_configENS1_35radix_sort_onesweep_config_selectorIhlEEZZNS1_29radix_sort_onesweep_iterationIS3_Lb0EPhS7_N6thrust23THRUST_200600_302600_NS10device_ptrIlEESB_jNS0_19identity_decomposerENS1_16block_id_wrapperIjLb0EEEEE10hipError_tT1_PNSt15iterator_traitsISG_E10value_typeET2_T3_PNSH_ISM_E10value_typeET4_T5_PSR_SS_PNS1_23onesweep_lookback_stateEbbT6_jjT7_P12ihipStream_tbENKUlT_T0_SG_SL_E_clIS7_S7_SB_SB_EEDaSZ_S10_SG_SL_EUlSZ_E_NS1_11comp_targetILNS1_3genE10ELNS1_11target_archE1201ELNS1_3gpuE5ELNS1_3repE0EEENS1_47radix_sort_onesweep_sort_config_static_selectorELNS0_4arch9wavefront6targetE1EEEvSG_
		.amdhsa_group_segment_fixed_size 0
		.amdhsa_private_segment_fixed_size 0
		.amdhsa_kernarg_size 88
		.amdhsa_user_sgpr_count 6
		.amdhsa_user_sgpr_private_segment_buffer 1
		.amdhsa_user_sgpr_dispatch_ptr 0
		.amdhsa_user_sgpr_queue_ptr 0
		.amdhsa_user_sgpr_kernarg_segment_ptr 1
		.amdhsa_user_sgpr_dispatch_id 0
		.amdhsa_user_sgpr_flat_scratch_init 0
		.amdhsa_user_sgpr_kernarg_preload_length 0
		.amdhsa_user_sgpr_kernarg_preload_offset 0
		.amdhsa_user_sgpr_private_segment_size 0
		.amdhsa_uses_dynamic_stack 0
		.amdhsa_system_sgpr_private_segment_wavefront_offset 0
		.amdhsa_system_sgpr_workgroup_id_x 1
		.amdhsa_system_sgpr_workgroup_id_y 0
		.amdhsa_system_sgpr_workgroup_id_z 0
		.amdhsa_system_sgpr_workgroup_info 0
		.amdhsa_system_vgpr_workitem_id 0
		.amdhsa_next_free_vgpr 1
		.amdhsa_next_free_sgpr 0
		.amdhsa_accum_offset 4
		.amdhsa_reserve_vcc 0
		.amdhsa_reserve_flat_scratch 0
		.amdhsa_float_round_mode_32 0
		.amdhsa_float_round_mode_16_64 0
		.amdhsa_float_denorm_mode_32 3
		.amdhsa_float_denorm_mode_16_64 3
		.amdhsa_dx10_clamp 1
		.amdhsa_ieee_mode 1
		.amdhsa_fp16_overflow 0
		.amdhsa_tg_split 0
		.amdhsa_exception_fp_ieee_invalid_op 0
		.amdhsa_exception_fp_denorm_src 0
		.amdhsa_exception_fp_ieee_div_zero 0
		.amdhsa_exception_fp_ieee_overflow 0
		.amdhsa_exception_fp_ieee_underflow 0
		.amdhsa_exception_fp_ieee_inexact 0
		.amdhsa_exception_int_div_zero 0
	.end_amdhsa_kernel
	.section	.text._ZN7rocprim17ROCPRIM_400000_NS6detail17trampoline_kernelINS0_14default_configENS1_35radix_sort_onesweep_config_selectorIhlEEZZNS1_29radix_sort_onesweep_iterationIS3_Lb0EPhS7_N6thrust23THRUST_200600_302600_NS10device_ptrIlEESB_jNS0_19identity_decomposerENS1_16block_id_wrapperIjLb0EEEEE10hipError_tT1_PNSt15iterator_traitsISG_E10value_typeET2_T3_PNSH_ISM_E10value_typeET4_T5_PSR_SS_PNS1_23onesweep_lookback_stateEbbT6_jjT7_P12ihipStream_tbENKUlT_T0_SG_SL_E_clIS7_S7_SB_SB_EEDaSZ_S10_SG_SL_EUlSZ_E_NS1_11comp_targetILNS1_3genE10ELNS1_11target_archE1201ELNS1_3gpuE5ELNS1_3repE0EEENS1_47radix_sort_onesweep_sort_config_static_selectorELNS0_4arch9wavefront6targetE1EEEvSG_,"axG",@progbits,_ZN7rocprim17ROCPRIM_400000_NS6detail17trampoline_kernelINS0_14default_configENS1_35radix_sort_onesweep_config_selectorIhlEEZZNS1_29radix_sort_onesweep_iterationIS3_Lb0EPhS7_N6thrust23THRUST_200600_302600_NS10device_ptrIlEESB_jNS0_19identity_decomposerENS1_16block_id_wrapperIjLb0EEEEE10hipError_tT1_PNSt15iterator_traitsISG_E10value_typeET2_T3_PNSH_ISM_E10value_typeET4_T5_PSR_SS_PNS1_23onesweep_lookback_stateEbbT6_jjT7_P12ihipStream_tbENKUlT_T0_SG_SL_E_clIS7_S7_SB_SB_EEDaSZ_S10_SG_SL_EUlSZ_E_NS1_11comp_targetILNS1_3genE10ELNS1_11target_archE1201ELNS1_3gpuE5ELNS1_3repE0EEENS1_47radix_sort_onesweep_sort_config_static_selectorELNS0_4arch9wavefront6targetE1EEEvSG_,comdat
.Lfunc_end297:
	.size	_ZN7rocprim17ROCPRIM_400000_NS6detail17trampoline_kernelINS0_14default_configENS1_35radix_sort_onesweep_config_selectorIhlEEZZNS1_29radix_sort_onesweep_iterationIS3_Lb0EPhS7_N6thrust23THRUST_200600_302600_NS10device_ptrIlEESB_jNS0_19identity_decomposerENS1_16block_id_wrapperIjLb0EEEEE10hipError_tT1_PNSt15iterator_traitsISG_E10value_typeET2_T3_PNSH_ISM_E10value_typeET4_T5_PSR_SS_PNS1_23onesweep_lookback_stateEbbT6_jjT7_P12ihipStream_tbENKUlT_T0_SG_SL_E_clIS7_S7_SB_SB_EEDaSZ_S10_SG_SL_EUlSZ_E_NS1_11comp_targetILNS1_3genE10ELNS1_11target_archE1201ELNS1_3gpuE5ELNS1_3repE0EEENS1_47radix_sort_onesweep_sort_config_static_selectorELNS0_4arch9wavefront6targetE1EEEvSG_, .Lfunc_end297-_ZN7rocprim17ROCPRIM_400000_NS6detail17trampoline_kernelINS0_14default_configENS1_35radix_sort_onesweep_config_selectorIhlEEZZNS1_29radix_sort_onesweep_iterationIS3_Lb0EPhS7_N6thrust23THRUST_200600_302600_NS10device_ptrIlEESB_jNS0_19identity_decomposerENS1_16block_id_wrapperIjLb0EEEEE10hipError_tT1_PNSt15iterator_traitsISG_E10value_typeET2_T3_PNSH_ISM_E10value_typeET4_T5_PSR_SS_PNS1_23onesweep_lookback_stateEbbT6_jjT7_P12ihipStream_tbENKUlT_T0_SG_SL_E_clIS7_S7_SB_SB_EEDaSZ_S10_SG_SL_EUlSZ_E_NS1_11comp_targetILNS1_3genE10ELNS1_11target_archE1201ELNS1_3gpuE5ELNS1_3repE0EEENS1_47radix_sort_onesweep_sort_config_static_selectorELNS0_4arch9wavefront6targetE1EEEvSG_
                                        ; -- End function
	.section	.AMDGPU.csdata,"",@progbits
; Kernel info:
; codeLenInByte = 0
; NumSgprs: 4
; NumVgprs: 0
; NumAgprs: 0
; TotalNumVgprs: 0
; ScratchSize: 0
; MemoryBound: 0
; FloatMode: 240
; IeeeMode: 1
; LDSByteSize: 0 bytes/workgroup (compile time only)
; SGPRBlocks: 0
; VGPRBlocks: 0
; NumSGPRsForWavesPerEU: 4
; NumVGPRsForWavesPerEU: 1
; AccumOffset: 4
; Occupancy: 8
; WaveLimiterHint : 0
; COMPUTE_PGM_RSRC2:SCRATCH_EN: 0
; COMPUTE_PGM_RSRC2:USER_SGPR: 6
; COMPUTE_PGM_RSRC2:TRAP_HANDLER: 0
; COMPUTE_PGM_RSRC2:TGID_X_EN: 1
; COMPUTE_PGM_RSRC2:TGID_Y_EN: 0
; COMPUTE_PGM_RSRC2:TGID_Z_EN: 0
; COMPUTE_PGM_RSRC2:TIDIG_COMP_CNT: 0
; COMPUTE_PGM_RSRC3_GFX90A:ACCUM_OFFSET: 0
; COMPUTE_PGM_RSRC3_GFX90A:TG_SPLIT: 0
	.section	.text._ZN7rocprim17ROCPRIM_400000_NS6detail17trampoline_kernelINS0_14default_configENS1_35radix_sort_onesweep_config_selectorIhlEEZZNS1_29radix_sort_onesweep_iterationIS3_Lb0EPhS7_N6thrust23THRUST_200600_302600_NS10device_ptrIlEESB_jNS0_19identity_decomposerENS1_16block_id_wrapperIjLb0EEEEE10hipError_tT1_PNSt15iterator_traitsISG_E10value_typeET2_T3_PNSH_ISM_E10value_typeET4_T5_PSR_SS_PNS1_23onesweep_lookback_stateEbbT6_jjT7_P12ihipStream_tbENKUlT_T0_SG_SL_E_clIS7_S7_SB_SB_EEDaSZ_S10_SG_SL_EUlSZ_E_NS1_11comp_targetILNS1_3genE9ELNS1_11target_archE1100ELNS1_3gpuE3ELNS1_3repE0EEENS1_47radix_sort_onesweep_sort_config_static_selectorELNS0_4arch9wavefront6targetE1EEEvSG_,"axG",@progbits,_ZN7rocprim17ROCPRIM_400000_NS6detail17trampoline_kernelINS0_14default_configENS1_35radix_sort_onesweep_config_selectorIhlEEZZNS1_29radix_sort_onesweep_iterationIS3_Lb0EPhS7_N6thrust23THRUST_200600_302600_NS10device_ptrIlEESB_jNS0_19identity_decomposerENS1_16block_id_wrapperIjLb0EEEEE10hipError_tT1_PNSt15iterator_traitsISG_E10value_typeET2_T3_PNSH_ISM_E10value_typeET4_T5_PSR_SS_PNS1_23onesweep_lookback_stateEbbT6_jjT7_P12ihipStream_tbENKUlT_T0_SG_SL_E_clIS7_S7_SB_SB_EEDaSZ_S10_SG_SL_EUlSZ_E_NS1_11comp_targetILNS1_3genE9ELNS1_11target_archE1100ELNS1_3gpuE3ELNS1_3repE0EEENS1_47radix_sort_onesweep_sort_config_static_selectorELNS0_4arch9wavefront6targetE1EEEvSG_,comdat
	.protected	_ZN7rocprim17ROCPRIM_400000_NS6detail17trampoline_kernelINS0_14default_configENS1_35radix_sort_onesweep_config_selectorIhlEEZZNS1_29radix_sort_onesweep_iterationIS3_Lb0EPhS7_N6thrust23THRUST_200600_302600_NS10device_ptrIlEESB_jNS0_19identity_decomposerENS1_16block_id_wrapperIjLb0EEEEE10hipError_tT1_PNSt15iterator_traitsISG_E10value_typeET2_T3_PNSH_ISM_E10value_typeET4_T5_PSR_SS_PNS1_23onesweep_lookback_stateEbbT6_jjT7_P12ihipStream_tbENKUlT_T0_SG_SL_E_clIS7_S7_SB_SB_EEDaSZ_S10_SG_SL_EUlSZ_E_NS1_11comp_targetILNS1_3genE9ELNS1_11target_archE1100ELNS1_3gpuE3ELNS1_3repE0EEENS1_47radix_sort_onesweep_sort_config_static_selectorELNS0_4arch9wavefront6targetE1EEEvSG_ ; -- Begin function _ZN7rocprim17ROCPRIM_400000_NS6detail17trampoline_kernelINS0_14default_configENS1_35radix_sort_onesweep_config_selectorIhlEEZZNS1_29radix_sort_onesweep_iterationIS3_Lb0EPhS7_N6thrust23THRUST_200600_302600_NS10device_ptrIlEESB_jNS0_19identity_decomposerENS1_16block_id_wrapperIjLb0EEEEE10hipError_tT1_PNSt15iterator_traitsISG_E10value_typeET2_T3_PNSH_ISM_E10value_typeET4_T5_PSR_SS_PNS1_23onesweep_lookback_stateEbbT6_jjT7_P12ihipStream_tbENKUlT_T0_SG_SL_E_clIS7_S7_SB_SB_EEDaSZ_S10_SG_SL_EUlSZ_E_NS1_11comp_targetILNS1_3genE9ELNS1_11target_archE1100ELNS1_3gpuE3ELNS1_3repE0EEENS1_47radix_sort_onesweep_sort_config_static_selectorELNS0_4arch9wavefront6targetE1EEEvSG_
	.globl	_ZN7rocprim17ROCPRIM_400000_NS6detail17trampoline_kernelINS0_14default_configENS1_35radix_sort_onesweep_config_selectorIhlEEZZNS1_29radix_sort_onesweep_iterationIS3_Lb0EPhS7_N6thrust23THRUST_200600_302600_NS10device_ptrIlEESB_jNS0_19identity_decomposerENS1_16block_id_wrapperIjLb0EEEEE10hipError_tT1_PNSt15iterator_traitsISG_E10value_typeET2_T3_PNSH_ISM_E10value_typeET4_T5_PSR_SS_PNS1_23onesweep_lookback_stateEbbT6_jjT7_P12ihipStream_tbENKUlT_T0_SG_SL_E_clIS7_S7_SB_SB_EEDaSZ_S10_SG_SL_EUlSZ_E_NS1_11comp_targetILNS1_3genE9ELNS1_11target_archE1100ELNS1_3gpuE3ELNS1_3repE0EEENS1_47radix_sort_onesweep_sort_config_static_selectorELNS0_4arch9wavefront6targetE1EEEvSG_
	.p2align	8
	.type	_ZN7rocprim17ROCPRIM_400000_NS6detail17trampoline_kernelINS0_14default_configENS1_35radix_sort_onesweep_config_selectorIhlEEZZNS1_29radix_sort_onesweep_iterationIS3_Lb0EPhS7_N6thrust23THRUST_200600_302600_NS10device_ptrIlEESB_jNS0_19identity_decomposerENS1_16block_id_wrapperIjLb0EEEEE10hipError_tT1_PNSt15iterator_traitsISG_E10value_typeET2_T3_PNSH_ISM_E10value_typeET4_T5_PSR_SS_PNS1_23onesweep_lookback_stateEbbT6_jjT7_P12ihipStream_tbENKUlT_T0_SG_SL_E_clIS7_S7_SB_SB_EEDaSZ_S10_SG_SL_EUlSZ_E_NS1_11comp_targetILNS1_3genE9ELNS1_11target_archE1100ELNS1_3gpuE3ELNS1_3repE0EEENS1_47radix_sort_onesweep_sort_config_static_selectorELNS0_4arch9wavefront6targetE1EEEvSG_,@function
_ZN7rocprim17ROCPRIM_400000_NS6detail17trampoline_kernelINS0_14default_configENS1_35radix_sort_onesweep_config_selectorIhlEEZZNS1_29radix_sort_onesweep_iterationIS3_Lb0EPhS7_N6thrust23THRUST_200600_302600_NS10device_ptrIlEESB_jNS0_19identity_decomposerENS1_16block_id_wrapperIjLb0EEEEE10hipError_tT1_PNSt15iterator_traitsISG_E10value_typeET2_T3_PNSH_ISM_E10value_typeET4_T5_PSR_SS_PNS1_23onesweep_lookback_stateEbbT6_jjT7_P12ihipStream_tbENKUlT_T0_SG_SL_E_clIS7_S7_SB_SB_EEDaSZ_S10_SG_SL_EUlSZ_E_NS1_11comp_targetILNS1_3genE9ELNS1_11target_archE1100ELNS1_3gpuE3ELNS1_3repE0EEENS1_47radix_sort_onesweep_sort_config_static_selectorELNS0_4arch9wavefront6targetE1EEEvSG_: ; @_ZN7rocprim17ROCPRIM_400000_NS6detail17trampoline_kernelINS0_14default_configENS1_35radix_sort_onesweep_config_selectorIhlEEZZNS1_29radix_sort_onesweep_iterationIS3_Lb0EPhS7_N6thrust23THRUST_200600_302600_NS10device_ptrIlEESB_jNS0_19identity_decomposerENS1_16block_id_wrapperIjLb0EEEEE10hipError_tT1_PNSt15iterator_traitsISG_E10value_typeET2_T3_PNSH_ISM_E10value_typeET4_T5_PSR_SS_PNS1_23onesweep_lookback_stateEbbT6_jjT7_P12ihipStream_tbENKUlT_T0_SG_SL_E_clIS7_S7_SB_SB_EEDaSZ_S10_SG_SL_EUlSZ_E_NS1_11comp_targetILNS1_3genE9ELNS1_11target_archE1100ELNS1_3gpuE3ELNS1_3repE0EEENS1_47radix_sort_onesweep_sort_config_static_selectorELNS0_4arch9wavefront6targetE1EEEvSG_
; %bb.0:
	.section	.rodata,"a",@progbits
	.p2align	6, 0x0
	.amdhsa_kernel _ZN7rocprim17ROCPRIM_400000_NS6detail17trampoline_kernelINS0_14default_configENS1_35radix_sort_onesweep_config_selectorIhlEEZZNS1_29radix_sort_onesweep_iterationIS3_Lb0EPhS7_N6thrust23THRUST_200600_302600_NS10device_ptrIlEESB_jNS0_19identity_decomposerENS1_16block_id_wrapperIjLb0EEEEE10hipError_tT1_PNSt15iterator_traitsISG_E10value_typeET2_T3_PNSH_ISM_E10value_typeET4_T5_PSR_SS_PNS1_23onesweep_lookback_stateEbbT6_jjT7_P12ihipStream_tbENKUlT_T0_SG_SL_E_clIS7_S7_SB_SB_EEDaSZ_S10_SG_SL_EUlSZ_E_NS1_11comp_targetILNS1_3genE9ELNS1_11target_archE1100ELNS1_3gpuE3ELNS1_3repE0EEENS1_47radix_sort_onesweep_sort_config_static_selectorELNS0_4arch9wavefront6targetE1EEEvSG_
		.amdhsa_group_segment_fixed_size 0
		.amdhsa_private_segment_fixed_size 0
		.amdhsa_kernarg_size 88
		.amdhsa_user_sgpr_count 6
		.amdhsa_user_sgpr_private_segment_buffer 1
		.amdhsa_user_sgpr_dispatch_ptr 0
		.amdhsa_user_sgpr_queue_ptr 0
		.amdhsa_user_sgpr_kernarg_segment_ptr 1
		.amdhsa_user_sgpr_dispatch_id 0
		.amdhsa_user_sgpr_flat_scratch_init 0
		.amdhsa_user_sgpr_kernarg_preload_length 0
		.amdhsa_user_sgpr_kernarg_preload_offset 0
		.amdhsa_user_sgpr_private_segment_size 0
		.amdhsa_uses_dynamic_stack 0
		.amdhsa_system_sgpr_private_segment_wavefront_offset 0
		.amdhsa_system_sgpr_workgroup_id_x 1
		.amdhsa_system_sgpr_workgroup_id_y 0
		.amdhsa_system_sgpr_workgroup_id_z 0
		.amdhsa_system_sgpr_workgroup_info 0
		.amdhsa_system_vgpr_workitem_id 0
		.amdhsa_next_free_vgpr 1
		.amdhsa_next_free_sgpr 0
		.amdhsa_accum_offset 4
		.amdhsa_reserve_vcc 0
		.amdhsa_reserve_flat_scratch 0
		.amdhsa_float_round_mode_32 0
		.amdhsa_float_round_mode_16_64 0
		.amdhsa_float_denorm_mode_32 3
		.amdhsa_float_denorm_mode_16_64 3
		.amdhsa_dx10_clamp 1
		.amdhsa_ieee_mode 1
		.amdhsa_fp16_overflow 0
		.amdhsa_tg_split 0
		.amdhsa_exception_fp_ieee_invalid_op 0
		.amdhsa_exception_fp_denorm_src 0
		.amdhsa_exception_fp_ieee_div_zero 0
		.amdhsa_exception_fp_ieee_overflow 0
		.amdhsa_exception_fp_ieee_underflow 0
		.amdhsa_exception_fp_ieee_inexact 0
		.amdhsa_exception_int_div_zero 0
	.end_amdhsa_kernel
	.section	.text._ZN7rocprim17ROCPRIM_400000_NS6detail17trampoline_kernelINS0_14default_configENS1_35radix_sort_onesweep_config_selectorIhlEEZZNS1_29radix_sort_onesweep_iterationIS3_Lb0EPhS7_N6thrust23THRUST_200600_302600_NS10device_ptrIlEESB_jNS0_19identity_decomposerENS1_16block_id_wrapperIjLb0EEEEE10hipError_tT1_PNSt15iterator_traitsISG_E10value_typeET2_T3_PNSH_ISM_E10value_typeET4_T5_PSR_SS_PNS1_23onesweep_lookback_stateEbbT6_jjT7_P12ihipStream_tbENKUlT_T0_SG_SL_E_clIS7_S7_SB_SB_EEDaSZ_S10_SG_SL_EUlSZ_E_NS1_11comp_targetILNS1_3genE9ELNS1_11target_archE1100ELNS1_3gpuE3ELNS1_3repE0EEENS1_47radix_sort_onesweep_sort_config_static_selectorELNS0_4arch9wavefront6targetE1EEEvSG_,"axG",@progbits,_ZN7rocprim17ROCPRIM_400000_NS6detail17trampoline_kernelINS0_14default_configENS1_35radix_sort_onesweep_config_selectorIhlEEZZNS1_29radix_sort_onesweep_iterationIS3_Lb0EPhS7_N6thrust23THRUST_200600_302600_NS10device_ptrIlEESB_jNS0_19identity_decomposerENS1_16block_id_wrapperIjLb0EEEEE10hipError_tT1_PNSt15iterator_traitsISG_E10value_typeET2_T3_PNSH_ISM_E10value_typeET4_T5_PSR_SS_PNS1_23onesweep_lookback_stateEbbT6_jjT7_P12ihipStream_tbENKUlT_T0_SG_SL_E_clIS7_S7_SB_SB_EEDaSZ_S10_SG_SL_EUlSZ_E_NS1_11comp_targetILNS1_3genE9ELNS1_11target_archE1100ELNS1_3gpuE3ELNS1_3repE0EEENS1_47radix_sort_onesweep_sort_config_static_selectorELNS0_4arch9wavefront6targetE1EEEvSG_,comdat
.Lfunc_end298:
	.size	_ZN7rocprim17ROCPRIM_400000_NS6detail17trampoline_kernelINS0_14default_configENS1_35radix_sort_onesweep_config_selectorIhlEEZZNS1_29radix_sort_onesweep_iterationIS3_Lb0EPhS7_N6thrust23THRUST_200600_302600_NS10device_ptrIlEESB_jNS0_19identity_decomposerENS1_16block_id_wrapperIjLb0EEEEE10hipError_tT1_PNSt15iterator_traitsISG_E10value_typeET2_T3_PNSH_ISM_E10value_typeET4_T5_PSR_SS_PNS1_23onesweep_lookback_stateEbbT6_jjT7_P12ihipStream_tbENKUlT_T0_SG_SL_E_clIS7_S7_SB_SB_EEDaSZ_S10_SG_SL_EUlSZ_E_NS1_11comp_targetILNS1_3genE9ELNS1_11target_archE1100ELNS1_3gpuE3ELNS1_3repE0EEENS1_47radix_sort_onesweep_sort_config_static_selectorELNS0_4arch9wavefront6targetE1EEEvSG_, .Lfunc_end298-_ZN7rocprim17ROCPRIM_400000_NS6detail17trampoline_kernelINS0_14default_configENS1_35radix_sort_onesweep_config_selectorIhlEEZZNS1_29radix_sort_onesweep_iterationIS3_Lb0EPhS7_N6thrust23THRUST_200600_302600_NS10device_ptrIlEESB_jNS0_19identity_decomposerENS1_16block_id_wrapperIjLb0EEEEE10hipError_tT1_PNSt15iterator_traitsISG_E10value_typeET2_T3_PNSH_ISM_E10value_typeET4_T5_PSR_SS_PNS1_23onesweep_lookback_stateEbbT6_jjT7_P12ihipStream_tbENKUlT_T0_SG_SL_E_clIS7_S7_SB_SB_EEDaSZ_S10_SG_SL_EUlSZ_E_NS1_11comp_targetILNS1_3genE9ELNS1_11target_archE1100ELNS1_3gpuE3ELNS1_3repE0EEENS1_47radix_sort_onesweep_sort_config_static_selectorELNS0_4arch9wavefront6targetE1EEEvSG_
                                        ; -- End function
	.section	.AMDGPU.csdata,"",@progbits
; Kernel info:
; codeLenInByte = 0
; NumSgprs: 4
; NumVgprs: 0
; NumAgprs: 0
; TotalNumVgprs: 0
; ScratchSize: 0
; MemoryBound: 0
; FloatMode: 240
; IeeeMode: 1
; LDSByteSize: 0 bytes/workgroup (compile time only)
; SGPRBlocks: 0
; VGPRBlocks: 0
; NumSGPRsForWavesPerEU: 4
; NumVGPRsForWavesPerEU: 1
; AccumOffset: 4
; Occupancy: 8
; WaveLimiterHint : 0
; COMPUTE_PGM_RSRC2:SCRATCH_EN: 0
; COMPUTE_PGM_RSRC2:USER_SGPR: 6
; COMPUTE_PGM_RSRC2:TRAP_HANDLER: 0
; COMPUTE_PGM_RSRC2:TGID_X_EN: 1
; COMPUTE_PGM_RSRC2:TGID_Y_EN: 0
; COMPUTE_PGM_RSRC2:TGID_Z_EN: 0
; COMPUTE_PGM_RSRC2:TIDIG_COMP_CNT: 0
; COMPUTE_PGM_RSRC3_GFX90A:ACCUM_OFFSET: 0
; COMPUTE_PGM_RSRC3_GFX90A:TG_SPLIT: 0
	.section	.text._ZN7rocprim17ROCPRIM_400000_NS6detail17trampoline_kernelINS0_14default_configENS1_35radix_sort_onesweep_config_selectorIhlEEZZNS1_29radix_sort_onesweep_iterationIS3_Lb0EPhS7_N6thrust23THRUST_200600_302600_NS10device_ptrIlEESB_jNS0_19identity_decomposerENS1_16block_id_wrapperIjLb0EEEEE10hipError_tT1_PNSt15iterator_traitsISG_E10value_typeET2_T3_PNSH_ISM_E10value_typeET4_T5_PSR_SS_PNS1_23onesweep_lookback_stateEbbT6_jjT7_P12ihipStream_tbENKUlT_T0_SG_SL_E_clIS7_S7_SB_SB_EEDaSZ_S10_SG_SL_EUlSZ_E_NS1_11comp_targetILNS1_3genE8ELNS1_11target_archE1030ELNS1_3gpuE2ELNS1_3repE0EEENS1_47radix_sort_onesweep_sort_config_static_selectorELNS0_4arch9wavefront6targetE1EEEvSG_,"axG",@progbits,_ZN7rocprim17ROCPRIM_400000_NS6detail17trampoline_kernelINS0_14default_configENS1_35radix_sort_onesweep_config_selectorIhlEEZZNS1_29radix_sort_onesweep_iterationIS3_Lb0EPhS7_N6thrust23THRUST_200600_302600_NS10device_ptrIlEESB_jNS0_19identity_decomposerENS1_16block_id_wrapperIjLb0EEEEE10hipError_tT1_PNSt15iterator_traitsISG_E10value_typeET2_T3_PNSH_ISM_E10value_typeET4_T5_PSR_SS_PNS1_23onesweep_lookback_stateEbbT6_jjT7_P12ihipStream_tbENKUlT_T0_SG_SL_E_clIS7_S7_SB_SB_EEDaSZ_S10_SG_SL_EUlSZ_E_NS1_11comp_targetILNS1_3genE8ELNS1_11target_archE1030ELNS1_3gpuE2ELNS1_3repE0EEENS1_47radix_sort_onesweep_sort_config_static_selectorELNS0_4arch9wavefront6targetE1EEEvSG_,comdat
	.protected	_ZN7rocprim17ROCPRIM_400000_NS6detail17trampoline_kernelINS0_14default_configENS1_35radix_sort_onesweep_config_selectorIhlEEZZNS1_29radix_sort_onesweep_iterationIS3_Lb0EPhS7_N6thrust23THRUST_200600_302600_NS10device_ptrIlEESB_jNS0_19identity_decomposerENS1_16block_id_wrapperIjLb0EEEEE10hipError_tT1_PNSt15iterator_traitsISG_E10value_typeET2_T3_PNSH_ISM_E10value_typeET4_T5_PSR_SS_PNS1_23onesweep_lookback_stateEbbT6_jjT7_P12ihipStream_tbENKUlT_T0_SG_SL_E_clIS7_S7_SB_SB_EEDaSZ_S10_SG_SL_EUlSZ_E_NS1_11comp_targetILNS1_3genE8ELNS1_11target_archE1030ELNS1_3gpuE2ELNS1_3repE0EEENS1_47radix_sort_onesweep_sort_config_static_selectorELNS0_4arch9wavefront6targetE1EEEvSG_ ; -- Begin function _ZN7rocprim17ROCPRIM_400000_NS6detail17trampoline_kernelINS0_14default_configENS1_35radix_sort_onesweep_config_selectorIhlEEZZNS1_29radix_sort_onesweep_iterationIS3_Lb0EPhS7_N6thrust23THRUST_200600_302600_NS10device_ptrIlEESB_jNS0_19identity_decomposerENS1_16block_id_wrapperIjLb0EEEEE10hipError_tT1_PNSt15iterator_traitsISG_E10value_typeET2_T3_PNSH_ISM_E10value_typeET4_T5_PSR_SS_PNS1_23onesweep_lookback_stateEbbT6_jjT7_P12ihipStream_tbENKUlT_T0_SG_SL_E_clIS7_S7_SB_SB_EEDaSZ_S10_SG_SL_EUlSZ_E_NS1_11comp_targetILNS1_3genE8ELNS1_11target_archE1030ELNS1_3gpuE2ELNS1_3repE0EEENS1_47radix_sort_onesweep_sort_config_static_selectorELNS0_4arch9wavefront6targetE1EEEvSG_
	.globl	_ZN7rocprim17ROCPRIM_400000_NS6detail17trampoline_kernelINS0_14default_configENS1_35radix_sort_onesweep_config_selectorIhlEEZZNS1_29radix_sort_onesweep_iterationIS3_Lb0EPhS7_N6thrust23THRUST_200600_302600_NS10device_ptrIlEESB_jNS0_19identity_decomposerENS1_16block_id_wrapperIjLb0EEEEE10hipError_tT1_PNSt15iterator_traitsISG_E10value_typeET2_T3_PNSH_ISM_E10value_typeET4_T5_PSR_SS_PNS1_23onesweep_lookback_stateEbbT6_jjT7_P12ihipStream_tbENKUlT_T0_SG_SL_E_clIS7_S7_SB_SB_EEDaSZ_S10_SG_SL_EUlSZ_E_NS1_11comp_targetILNS1_3genE8ELNS1_11target_archE1030ELNS1_3gpuE2ELNS1_3repE0EEENS1_47radix_sort_onesweep_sort_config_static_selectorELNS0_4arch9wavefront6targetE1EEEvSG_
	.p2align	8
	.type	_ZN7rocprim17ROCPRIM_400000_NS6detail17trampoline_kernelINS0_14default_configENS1_35radix_sort_onesweep_config_selectorIhlEEZZNS1_29radix_sort_onesweep_iterationIS3_Lb0EPhS7_N6thrust23THRUST_200600_302600_NS10device_ptrIlEESB_jNS0_19identity_decomposerENS1_16block_id_wrapperIjLb0EEEEE10hipError_tT1_PNSt15iterator_traitsISG_E10value_typeET2_T3_PNSH_ISM_E10value_typeET4_T5_PSR_SS_PNS1_23onesweep_lookback_stateEbbT6_jjT7_P12ihipStream_tbENKUlT_T0_SG_SL_E_clIS7_S7_SB_SB_EEDaSZ_S10_SG_SL_EUlSZ_E_NS1_11comp_targetILNS1_3genE8ELNS1_11target_archE1030ELNS1_3gpuE2ELNS1_3repE0EEENS1_47radix_sort_onesweep_sort_config_static_selectorELNS0_4arch9wavefront6targetE1EEEvSG_,@function
_ZN7rocprim17ROCPRIM_400000_NS6detail17trampoline_kernelINS0_14default_configENS1_35radix_sort_onesweep_config_selectorIhlEEZZNS1_29radix_sort_onesweep_iterationIS3_Lb0EPhS7_N6thrust23THRUST_200600_302600_NS10device_ptrIlEESB_jNS0_19identity_decomposerENS1_16block_id_wrapperIjLb0EEEEE10hipError_tT1_PNSt15iterator_traitsISG_E10value_typeET2_T3_PNSH_ISM_E10value_typeET4_T5_PSR_SS_PNS1_23onesweep_lookback_stateEbbT6_jjT7_P12ihipStream_tbENKUlT_T0_SG_SL_E_clIS7_S7_SB_SB_EEDaSZ_S10_SG_SL_EUlSZ_E_NS1_11comp_targetILNS1_3genE8ELNS1_11target_archE1030ELNS1_3gpuE2ELNS1_3repE0EEENS1_47radix_sort_onesweep_sort_config_static_selectorELNS0_4arch9wavefront6targetE1EEEvSG_: ; @_ZN7rocprim17ROCPRIM_400000_NS6detail17trampoline_kernelINS0_14default_configENS1_35radix_sort_onesweep_config_selectorIhlEEZZNS1_29radix_sort_onesweep_iterationIS3_Lb0EPhS7_N6thrust23THRUST_200600_302600_NS10device_ptrIlEESB_jNS0_19identity_decomposerENS1_16block_id_wrapperIjLb0EEEEE10hipError_tT1_PNSt15iterator_traitsISG_E10value_typeET2_T3_PNSH_ISM_E10value_typeET4_T5_PSR_SS_PNS1_23onesweep_lookback_stateEbbT6_jjT7_P12ihipStream_tbENKUlT_T0_SG_SL_E_clIS7_S7_SB_SB_EEDaSZ_S10_SG_SL_EUlSZ_E_NS1_11comp_targetILNS1_3genE8ELNS1_11target_archE1030ELNS1_3gpuE2ELNS1_3repE0EEENS1_47radix_sort_onesweep_sort_config_static_selectorELNS0_4arch9wavefront6targetE1EEEvSG_
; %bb.0:
	.section	.rodata,"a",@progbits
	.p2align	6, 0x0
	.amdhsa_kernel _ZN7rocprim17ROCPRIM_400000_NS6detail17trampoline_kernelINS0_14default_configENS1_35radix_sort_onesweep_config_selectorIhlEEZZNS1_29radix_sort_onesweep_iterationIS3_Lb0EPhS7_N6thrust23THRUST_200600_302600_NS10device_ptrIlEESB_jNS0_19identity_decomposerENS1_16block_id_wrapperIjLb0EEEEE10hipError_tT1_PNSt15iterator_traitsISG_E10value_typeET2_T3_PNSH_ISM_E10value_typeET4_T5_PSR_SS_PNS1_23onesweep_lookback_stateEbbT6_jjT7_P12ihipStream_tbENKUlT_T0_SG_SL_E_clIS7_S7_SB_SB_EEDaSZ_S10_SG_SL_EUlSZ_E_NS1_11comp_targetILNS1_3genE8ELNS1_11target_archE1030ELNS1_3gpuE2ELNS1_3repE0EEENS1_47radix_sort_onesweep_sort_config_static_selectorELNS0_4arch9wavefront6targetE1EEEvSG_
		.amdhsa_group_segment_fixed_size 0
		.amdhsa_private_segment_fixed_size 0
		.amdhsa_kernarg_size 88
		.amdhsa_user_sgpr_count 6
		.amdhsa_user_sgpr_private_segment_buffer 1
		.amdhsa_user_sgpr_dispatch_ptr 0
		.amdhsa_user_sgpr_queue_ptr 0
		.amdhsa_user_sgpr_kernarg_segment_ptr 1
		.amdhsa_user_sgpr_dispatch_id 0
		.amdhsa_user_sgpr_flat_scratch_init 0
		.amdhsa_user_sgpr_kernarg_preload_length 0
		.amdhsa_user_sgpr_kernarg_preload_offset 0
		.amdhsa_user_sgpr_private_segment_size 0
		.amdhsa_uses_dynamic_stack 0
		.amdhsa_system_sgpr_private_segment_wavefront_offset 0
		.amdhsa_system_sgpr_workgroup_id_x 1
		.amdhsa_system_sgpr_workgroup_id_y 0
		.amdhsa_system_sgpr_workgroup_id_z 0
		.amdhsa_system_sgpr_workgroup_info 0
		.amdhsa_system_vgpr_workitem_id 0
		.amdhsa_next_free_vgpr 1
		.amdhsa_next_free_sgpr 0
		.amdhsa_accum_offset 4
		.amdhsa_reserve_vcc 0
		.amdhsa_reserve_flat_scratch 0
		.amdhsa_float_round_mode_32 0
		.amdhsa_float_round_mode_16_64 0
		.amdhsa_float_denorm_mode_32 3
		.amdhsa_float_denorm_mode_16_64 3
		.amdhsa_dx10_clamp 1
		.amdhsa_ieee_mode 1
		.amdhsa_fp16_overflow 0
		.amdhsa_tg_split 0
		.amdhsa_exception_fp_ieee_invalid_op 0
		.amdhsa_exception_fp_denorm_src 0
		.amdhsa_exception_fp_ieee_div_zero 0
		.amdhsa_exception_fp_ieee_overflow 0
		.amdhsa_exception_fp_ieee_underflow 0
		.amdhsa_exception_fp_ieee_inexact 0
		.amdhsa_exception_int_div_zero 0
	.end_amdhsa_kernel
	.section	.text._ZN7rocprim17ROCPRIM_400000_NS6detail17trampoline_kernelINS0_14default_configENS1_35radix_sort_onesweep_config_selectorIhlEEZZNS1_29radix_sort_onesweep_iterationIS3_Lb0EPhS7_N6thrust23THRUST_200600_302600_NS10device_ptrIlEESB_jNS0_19identity_decomposerENS1_16block_id_wrapperIjLb0EEEEE10hipError_tT1_PNSt15iterator_traitsISG_E10value_typeET2_T3_PNSH_ISM_E10value_typeET4_T5_PSR_SS_PNS1_23onesweep_lookback_stateEbbT6_jjT7_P12ihipStream_tbENKUlT_T0_SG_SL_E_clIS7_S7_SB_SB_EEDaSZ_S10_SG_SL_EUlSZ_E_NS1_11comp_targetILNS1_3genE8ELNS1_11target_archE1030ELNS1_3gpuE2ELNS1_3repE0EEENS1_47radix_sort_onesweep_sort_config_static_selectorELNS0_4arch9wavefront6targetE1EEEvSG_,"axG",@progbits,_ZN7rocprim17ROCPRIM_400000_NS6detail17trampoline_kernelINS0_14default_configENS1_35radix_sort_onesweep_config_selectorIhlEEZZNS1_29radix_sort_onesweep_iterationIS3_Lb0EPhS7_N6thrust23THRUST_200600_302600_NS10device_ptrIlEESB_jNS0_19identity_decomposerENS1_16block_id_wrapperIjLb0EEEEE10hipError_tT1_PNSt15iterator_traitsISG_E10value_typeET2_T3_PNSH_ISM_E10value_typeET4_T5_PSR_SS_PNS1_23onesweep_lookback_stateEbbT6_jjT7_P12ihipStream_tbENKUlT_T0_SG_SL_E_clIS7_S7_SB_SB_EEDaSZ_S10_SG_SL_EUlSZ_E_NS1_11comp_targetILNS1_3genE8ELNS1_11target_archE1030ELNS1_3gpuE2ELNS1_3repE0EEENS1_47radix_sort_onesweep_sort_config_static_selectorELNS0_4arch9wavefront6targetE1EEEvSG_,comdat
.Lfunc_end299:
	.size	_ZN7rocprim17ROCPRIM_400000_NS6detail17trampoline_kernelINS0_14default_configENS1_35radix_sort_onesweep_config_selectorIhlEEZZNS1_29radix_sort_onesweep_iterationIS3_Lb0EPhS7_N6thrust23THRUST_200600_302600_NS10device_ptrIlEESB_jNS0_19identity_decomposerENS1_16block_id_wrapperIjLb0EEEEE10hipError_tT1_PNSt15iterator_traitsISG_E10value_typeET2_T3_PNSH_ISM_E10value_typeET4_T5_PSR_SS_PNS1_23onesweep_lookback_stateEbbT6_jjT7_P12ihipStream_tbENKUlT_T0_SG_SL_E_clIS7_S7_SB_SB_EEDaSZ_S10_SG_SL_EUlSZ_E_NS1_11comp_targetILNS1_3genE8ELNS1_11target_archE1030ELNS1_3gpuE2ELNS1_3repE0EEENS1_47radix_sort_onesweep_sort_config_static_selectorELNS0_4arch9wavefront6targetE1EEEvSG_, .Lfunc_end299-_ZN7rocprim17ROCPRIM_400000_NS6detail17trampoline_kernelINS0_14default_configENS1_35radix_sort_onesweep_config_selectorIhlEEZZNS1_29radix_sort_onesweep_iterationIS3_Lb0EPhS7_N6thrust23THRUST_200600_302600_NS10device_ptrIlEESB_jNS0_19identity_decomposerENS1_16block_id_wrapperIjLb0EEEEE10hipError_tT1_PNSt15iterator_traitsISG_E10value_typeET2_T3_PNSH_ISM_E10value_typeET4_T5_PSR_SS_PNS1_23onesweep_lookback_stateEbbT6_jjT7_P12ihipStream_tbENKUlT_T0_SG_SL_E_clIS7_S7_SB_SB_EEDaSZ_S10_SG_SL_EUlSZ_E_NS1_11comp_targetILNS1_3genE8ELNS1_11target_archE1030ELNS1_3gpuE2ELNS1_3repE0EEENS1_47radix_sort_onesweep_sort_config_static_selectorELNS0_4arch9wavefront6targetE1EEEvSG_
                                        ; -- End function
	.section	.AMDGPU.csdata,"",@progbits
; Kernel info:
; codeLenInByte = 0
; NumSgprs: 4
; NumVgprs: 0
; NumAgprs: 0
; TotalNumVgprs: 0
; ScratchSize: 0
; MemoryBound: 0
; FloatMode: 240
; IeeeMode: 1
; LDSByteSize: 0 bytes/workgroup (compile time only)
; SGPRBlocks: 0
; VGPRBlocks: 0
; NumSGPRsForWavesPerEU: 4
; NumVGPRsForWavesPerEU: 1
; AccumOffset: 4
; Occupancy: 8
; WaveLimiterHint : 0
; COMPUTE_PGM_RSRC2:SCRATCH_EN: 0
; COMPUTE_PGM_RSRC2:USER_SGPR: 6
; COMPUTE_PGM_RSRC2:TRAP_HANDLER: 0
; COMPUTE_PGM_RSRC2:TGID_X_EN: 1
; COMPUTE_PGM_RSRC2:TGID_Y_EN: 0
; COMPUTE_PGM_RSRC2:TGID_Z_EN: 0
; COMPUTE_PGM_RSRC2:TIDIG_COMP_CNT: 0
; COMPUTE_PGM_RSRC3_GFX90A:ACCUM_OFFSET: 0
; COMPUTE_PGM_RSRC3_GFX90A:TG_SPLIT: 0
	.section	.text._ZN7rocprim17ROCPRIM_400000_NS6detail17trampoline_kernelINS0_14default_configENS1_35radix_sort_onesweep_config_selectorIhlEEZZNS1_29radix_sort_onesweep_iterationIS3_Lb0EPhS7_N6thrust23THRUST_200600_302600_NS10device_ptrIlEESB_jNS0_19identity_decomposerENS1_16block_id_wrapperIjLb0EEEEE10hipError_tT1_PNSt15iterator_traitsISG_E10value_typeET2_T3_PNSH_ISM_E10value_typeET4_T5_PSR_SS_PNS1_23onesweep_lookback_stateEbbT6_jjT7_P12ihipStream_tbENKUlT_T0_SG_SL_E_clIS7_S7_SB_PlEEDaSZ_S10_SG_SL_EUlSZ_E_NS1_11comp_targetILNS1_3genE0ELNS1_11target_archE4294967295ELNS1_3gpuE0ELNS1_3repE0EEENS1_47radix_sort_onesweep_sort_config_static_selectorELNS0_4arch9wavefront6targetE1EEEvSG_,"axG",@progbits,_ZN7rocprim17ROCPRIM_400000_NS6detail17trampoline_kernelINS0_14default_configENS1_35radix_sort_onesweep_config_selectorIhlEEZZNS1_29radix_sort_onesweep_iterationIS3_Lb0EPhS7_N6thrust23THRUST_200600_302600_NS10device_ptrIlEESB_jNS0_19identity_decomposerENS1_16block_id_wrapperIjLb0EEEEE10hipError_tT1_PNSt15iterator_traitsISG_E10value_typeET2_T3_PNSH_ISM_E10value_typeET4_T5_PSR_SS_PNS1_23onesweep_lookback_stateEbbT6_jjT7_P12ihipStream_tbENKUlT_T0_SG_SL_E_clIS7_S7_SB_PlEEDaSZ_S10_SG_SL_EUlSZ_E_NS1_11comp_targetILNS1_3genE0ELNS1_11target_archE4294967295ELNS1_3gpuE0ELNS1_3repE0EEENS1_47radix_sort_onesweep_sort_config_static_selectorELNS0_4arch9wavefront6targetE1EEEvSG_,comdat
	.protected	_ZN7rocprim17ROCPRIM_400000_NS6detail17trampoline_kernelINS0_14default_configENS1_35radix_sort_onesweep_config_selectorIhlEEZZNS1_29radix_sort_onesweep_iterationIS3_Lb0EPhS7_N6thrust23THRUST_200600_302600_NS10device_ptrIlEESB_jNS0_19identity_decomposerENS1_16block_id_wrapperIjLb0EEEEE10hipError_tT1_PNSt15iterator_traitsISG_E10value_typeET2_T3_PNSH_ISM_E10value_typeET4_T5_PSR_SS_PNS1_23onesweep_lookback_stateEbbT6_jjT7_P12ihipStream_tbENKUlT_T0_SG_SL_E_clIS7_S7_SB_PlEEDaSZ_S10_SG_SL_EUlSZ_E_NS1_11comp_targetILNS1_3genE0ELNS1_11target_archE4294967295ELNS1_3gpuE0ELNS1_3repE0EEENS1_47radix_sort_onesweep_sort_config_static_selectorELNS0_4arch9wavefront6targetE1EEEvSG_ ; -- Begin function _ZN7rocprim17ROCPRIM_400000_NS6detail17trampoline_kernelINS0_14default_configENS1_35radix_sort_onesweep_config_selectorIhlEEZZNS1_29radix_sort_onesweep_iterationIS3_Lb0EPhS7_N6thrust23THRUST_200600_302600_NS10device_ptrIlEESB_jNS0_19identity_decomposerENS1_16block_id_wrapperIjLb0EEEEE10hipError_tT1_PNSt15iterator_traitsISG_E10value_typeET2_T3_PNSH_ISM_E10value_typeET4_T5_PSR_SS_PNS1_23onesweep_lookback_stateEbbT6_jjT7_P12ihipStream_tbENKUlT_T0_SG_SL_E_clIS7_S7_SB_PlEEDaSZ_S10_SG_SL_EUlSZ_E_NS1_11comp_targetILNS1_3genE0ELNS1_11target_archE4294967295ELNS1_3gpuE0ELNS1_3repE0EEENS1_47radix_sort_onesweep_sort_config_static_selectorELNS0_4arch9wavefront6targetE1EEEvSG_
	.globl	_ZN7rocprim17ROCPRIM_400000_NS6detail17trampoline_kernelINS0_14default_configENS1_35radix_sort_onesweep_config_selectorIhlEEZZNS1_29radix_sort_onesweep_iterationIS3_Lb0EPhS7_N6thrust23THRUST_200600_302600_NS10device_ptrIlEESB_jNS0_19identity_decomposerENS1_16block_id_wrapperIjLb0EEEEE10hipError_tT1_PNSt15iterator_traitsISG_E10value_typeET2_T3_PNSH_ISM_E10value_typeET4_T5_PSR_SS_PNS1_23onesweep_lookback_stateEbbT6_jjT7_P12ihipStream_tbENKUlT_T0_SG_SL_E_clIS7_S7_SB_PlEEDaSZ_S10_SG_SL_EUlSZ_E_NS1_11comp_targetILNS1_3genE0ELNS1_11target_archE4294967295ELNS1_3gpuE0ELNS1_3repE0EEENS1_47radix_sort_onesweep_sort_config_static_selectorELNS0_4arch9wavefront6targetE1EEEvSG_
	.p2align	8
	.type	_ZN7rocprim17ROCPRIM_400000_NS6detail17trampoline_kernelINS0_14default_configENS1_35radix_sort_onesweep_config_selectorIhlEEZZNS1_29radix_sort_onesweep_iterationIS3_Lb0EPhS7_N6thrust23THRUST_200600_302600_NS10device_ptrIlEESB_jNS0_19identity_decomposerENS1_16block_id_wrapperIjLb0EEEEE10hipError_tT1_PNSt15iterator_traitsISG_E10value_typeET2_T3_PNSH_ISM_E10value_typeET4_T5_PSR_SS_PNS1_23onesweep_lookback_stateEbbT6_jjT7_P12ihipStream_tbENKUlT_T0_SG_SL_E_clIS7_S7_SB_PlEEDaSZ_S10_SG_SL_EUlSZ_E_NS1_11comp_targetILNS1_3genE0ELNS1_11target_archE4294967295ELNS1_3gpuE0ELNS1_3repE0EEENS1_47radix_sort_onesweep_sort_config_static_selectorELNS0_4arch9wavefront6targetE1EEEvSG_,@function
_ZN7rocprim17ROCPRIM_400000_NS6detail17trampoline_kernelINS0_14default_configENS1_35radix_sort_onesweep_config_selectorIhlEEZZNS1_29radix_sort_onesweep_iterationIS3_Lb0EPhS7_N6thrust23THRUST_200600_302600_NS10device_ptrIlEESB_jNS0_19identity_decomposerENS1_16block_id_wrapperIjLb0EEEEE10hipError_tT1_PNSt15iterator_traitsISG_E10value_typeET2_T3_PNSH_ISM_E10value_typeET4_T5_PSR_SS_PNS1_23onesweep_lookback_stateEbbT6_jjT7_P12ihipStream_tbENKUlT_T0_SG_SL_E_clIS7_S7_SB_PlEEDaSZ_S10_SG_SL_EUlSZ_E_NS1_11comp_targetILNS1_3genE0ELNS1_11target_archE4294967295ELNS1_3gpuE0ELNS1_3repE0EEENS1_47radix_sort_onesweep_sort_config_static_selectorELNS0_4arch9wavefront6targetE1EEEvSG_: ; @_ZN7rocprim17ROCPRIM_400000_NS6detail17trampoline_kernelINS0_14default_configENS1_35radix_sort_onesweep_config_selectorIhlEEZZNS1_29radix_sort_onesweep_iterationIS3_Lb0EPhS7_N6thrust23THRUST_200600_302600_NS10device_ptrIlEESB_jNS0_19identity_decomposerENS1_16block_id_wrapperIjLb0EEEEE10hipError_tT1_PNSt15iterator_traitsISG_E10value_typeET2_T3_PNSH_ISM_E10value_typeET4_T5_PSR_SS_PNS1_23onesweep_lookback_stateEbbT6_jjT7_P12ihipStream_tbENKUlT_T0_SG_SL_E_clIS7_S7_SB_PlEEDaSZ_S10_SG_SL_EUlSZ_E_NS1_11comp_targetILNS1_3genE0ELNS1_11target_archE4294967295ELNS1_3gpuE0ELNS1_3repE0EEENS1_47radix_sort_onesweep_sort_config_static_selectorELNS0_4arch9wavefront6targetE1EEEvSG_
; %bb.0:
	.section	.rodata,"a",@progbits
	.p2align	6, 0x0
	.amdhsa_kernel _ZN7rocprim17ROCPRIM_400000_NS6detail17trampoline_kernelINS0_14default_configENS1_35radix_sort_onesweep_config_selectorIhlEEZZNS1_29radix_sort_onesweep_iterationIS3_Lb0EPhS7_N6thrust23THRUST_200600_302600_NS10device_ptrIlEESB_jNS0_19identity_decomposerENS1_16block_id_wrapperIjLb0EEEEE10hipError_tT1_PNSt15iterator_traitsISG_E10value_typeET2_T3_PNSH_ISM_E10value_typeET4_T5_PSR_SS_PNS1_23onesweep_lookback_stateEbbT6_jjT7_P12ihipStream_tbENKUlT_T0_SG_SL_E_clIS7_S7_SB_PlEEDaSZ_S10_SG_SL_EUlSZ_E_NS1_11comp_targetILNS1_3genE0ELNS1_11target_archE4294967295ELNS1_3gpuE0ELNS1_3repE0EEENS1_47radix_sort_onesweep_sort_config_static_selectorELNS0_4arch9wavefront6targetE1EEEvSG_
		.amdhsa_group_segment_fixed_size 0
		.amdhsa_private_segment_fixed_size 0
		.amdhsa_kernarg_size 88
		.amdhsa_user_sgpr_count 6
		.amdhsa_user_sgpr_private_segment_buffer 1
		.amdhsa_user_sgpr_dispatch_ptr 0
		.amdhsa_user_sgpr_queue_ptr 0
		.amdhsa_user_sgpr_kernarg_segment_ptr 1
		.amdhsa_user_sgpr_dispatch_id 0
		.amdhsa_user_sgpr_flat_scratch_init 0
		.amdhsa_user_sgpr_kernarg_preload_length 0
		.amdhsa_user_sgpr_kernarg_preload_offset 0
		.amdhsa_user_sgpr_private_segment_size 0
		.amdhsa_uses_dynamic_stack 0
		.amdhsa_system_sgpr_private_segment_wavefront_offset 0
		.amdhsa_system_sgpr_workgroup_id_x 1
		.amdhsa_system_sgpr_workgroup_id_y 0
		.amdhsa_system_sgpr_workgroup_id_z 0
		.amdhsa_system_sgpr_workgroup_info 0
		.amdhsa_system_vgpr_workitem_id 0
		.amdhsa_next_free_vgpr 1
		.amdhsa_next_free_sgpr 0
		.amdhsa_accum_offset 4
		.amdhsa_reserve_vcc 0
		.amdhsa_reserve_flat_scratch 0
		.amdhsa_float_round_mode_32 0
		.amdhsa_float_round_mode_16_64 0
		.amdhsa_float_denorm_mode_32 3
		.amdhsa_float_denorm_mode_16_64 3
		.amdhsa_dx10_clamp 1
		.amdhsa_ieee_mode 1
		.amdhsa_fp16_overflow 0
		.amdhsa_tg_split 0
		.amdhsa_exception_fp_ieee_invalid_op 0
		.amdhsa_exception_fp_denorm_src 0
		.amdhsa_exception_fp_ieee_div_zero 0
		.amdhsa_exception_fp_ieee_overflow 0
		.amdhsa_exception_fp_ieee_underflow 0
		.amdhsa_exception_fp_ieee_inexact 0
		.amdhsa_exception_int_div_zero 0
	.end_amdhsa_kernel
	.section	.text._ZN7rocprim17ROCPRIM_400000_NS6detail17trampoline_kernelINS0_14default_configENS1_35radix_sort_onesweep_config_selectorIhlEEZZNS1_29radix_sort_onesweep_iterationIS3_Lb0EPhS7_N6thrust23THRUST_200600_302600_NS10device_ptrIlEESB_jNS0_19identity_decomposerENS1_16block_id_wrapperIjLb0EEEEE10hipError_tT1_PNSt15iterator_traitsISG_E10value_typeET2_T3_PNSH_ISM_E10value_typeET4_T5_PSR_SS_PNS1_23onesweep_lookback_stateEbbT6_jjT7_P12ihipStream_tbENKUlT_T0_SG_SL_E_clIS7_S7_SB_PlEEDaSZ_S10_SG_SL_EUlSZ_E_NS1_11comp_targetILNS1_3genE0ELNS1_11target_archE4294967295ELNS1_3gpuE0ELNS1_3repE0EEENS1_47radix_sort_onesweep_sort_config_static_selectorELNS0_4arch9wavefront6targetE1EEEvSG_,"axG",@progbits,_ZN7rocprim17ROCPRIM_400000_NS6detail17trampoline_kernelINS0_14default_configENS1_35radix_sort_onesweep_config_selectorIhlEEZZNS1_29radix_sort_onesweep_iterationIS3_Lb0EPhS7_N6thrust23THRUST_200600_302600_NS10device_ptrIlEESB_jNS0_19identity_decomposerENS1_16block_id_wrapperIjLb0EEEEE10hipError_tT1_PNSt15iterator_traitsISG_E10value_typeET2_T3_PNSH_ISM_E10value_typeET4_T5_PSR_SS_PNS1_23onesweep_lookback_stateEbbT6_jjT7_P12ihipStream_tbENKUlT_T0_SG_SL_E_clIS7_S7_SB_PlEEDaSZ_S10_SG_SL_EUlSZ_E_NS1_11comp_targetILNS1_3genE0ELNS1_11target_archE4294967295ELNS1_3gpuE0ELNS1_3repE0EEENS1_47radix_sort_onesweep_sort_config_static_selectorELNS0_4arch9wavefront6targetE1EEEvSG_,comdat
.Lfunc_end300:
	.size	_ZN7rocprim17ROCPRIM_400000_NS6detail17trampoline_kernelINS0_14default_configENS1_35radix_sort_onesweep_config_selectorIhlEEZZNS1_29radix_sort_onesweep_iterationIS3_Lb0EPhS7_N6thrust23THRUST_200600_302600_NS10device_ptrIlEESB_jNS0_19identity_decomposerENS1_16block_id_wrapperIjLb0EEEEE10hipError_tT1_PNSt15iterator_traitsISG_E10value_typeET2_T3_PNSH_ISM_E10value_typeET4_T5_PSR_SS_PNS1_23onesweep_lookback_stateEbbT6_jjT7_P12ihipStream_tbENKUlT_T0_SG_SL_E_clIS7_S7_SB_PlEEDaSZ_S10_SG_SL_EUlSZ_E_NS1_11comp_targetILNS1_3genE0ELNS1_11target_archE4294967295ELNS1_3gpuE0ELNS1_3repE0EEENS1_47radix_sort_onesweep_sort_config_static_selectorELNS0_4arch9wavefront6targetE1EEEvSG_, .Lfunc_end300-_ZN7rocprim17ROCPRIM_400000_NS6detail17trampoline_kernelINS0_14default_configENS1_35radix_sort_onesweep_config_selectorIhlEEZZNS1_29radix_sort_onesweep_iterationIS3_Lb0EPhS7_N6thrust23THRUST_200600_302600_NS10device_ptrIlEESB_jNS0_19identity_decomposerENS1_16block_id_wrapperIjLb0EEEEE10hipError_tT1_PNSt15iterator_traitsISG_E10value_typeET2_T3_PNSH_ISM_E10value_typeET4_T5_PSR_SS_PNS1_23onesweep_lookback_stateEbbT6_jjT7_P12ihipStream_tbENKUlT_T0_SG_SL_E_clIS7_S7_SB_PlEEDaSZ_S10_SG_SL_EUlSZ_E_NS1_11comp_targetILNS1_3genE0ELNS1_11target_archE4294967295ELNS1_3gpuE0ELNS1_3repE0EEENS1_47radix_sort_onesweep_sort_config_static_selectorELNS0_4arch9wavefront6targetE1EEEvSG_
                                        ; -- End function
	.section	.AMDGPU.csdata,"",@progbits
; Kernel info:
; codeLenInByte = 0
; NumSgprs: 4
; NumVgprs: 0
; NumAgprs: 0
; TotalNumVgprs: 0
; ScratchSize: 0
; MemoryBound: 0
; FloatMode: 240
; IeeeMode: 1
; LDSByteSize: 0 bytes/workgroup (compile time only)
; SGPRBlocks: 0
; VGPRBlocks: 0
; NumSGPRsForWavesPerEU: 4
; NumVGPRsForWavesPerEU: 1
; AccumOffset: 4
; Occupancy: 8
; WaveLimiterHint : 0
; COMPUTE_PGM_RSRC2:SCRATCH_EN: 0
; COMPUTE_PGM_RSRC2:USER_SGPR: 6
; COMPUTE_PGM_RSRC2:TRAP_HANDLER: 0
; COMPUTE_PGM_RSRC2:TGID_X_EN: 1
; COMPUTE_PGM_RSRC2:TGID_Y_EN: 0
; COMPUTE_PGM_RSRC2:TGID_Z_EN: 0
; COMPUTE_PGM_RSRC2:TIDIG_COMP_CNT: 0
; COMPUTE_PGM_RSRC3_GFX90A:ACCUM_OFFSET: 0
; COMPUTE_PGM_RSRC3_GFX90A:TG_SPLIT: 0
	.section	.text._ZN7rocprim17ROCPRIM_400000_NS6detail17trampoline_kernelINS0_14default_configENS1_35radix_sort_onesweep_config_selectorIhlEEZZNS1_29radix_sort_onesweep_iterationIS3_Lb0EPhS7_N6thrust23THRUST_200600_302600_NS10device_ptrIlEESB_jNS0_19identity_decomposerENS1_16block_id_wrapperIjLb0EEEEE10hipError_tT1_PNSt15iterator_traitsISG_E10value_typeET2_T3_PNSH_ISM_E10value_typeET4_T5_PSR_SS_PNS1_23onesweep_lookback_stateEbbT6_jjT7_P12ihipStream_tbENKUlT_T0_SG_SL_E_clIS7_S7_SB_PlEEDaSZ_S10_SG_SL_EUlSZ_E_NS1_11comp_targetILNS1_3genE6ELNS1_11target_archE950ELNS1_3gpuE13ELNS1_3repE0EEENS1_47radix_sort_onesweep_sort_config_static_selectorELNS0_4arch9wavefront6targetE1EEEvSG_,"axG",@progbits,_ZN7rocprim17ROCPRIM_400000_NS6detail17trampoline_kernelINS0_14default_configENS1_35radix_sort_onesweep_config_selectorIhlEEZZNS1_29radix_sort_onesweep_iterationIS3_Lb0EPhS7_N6thrust23THRUST_200600_302600_NS10device_ptrIlEESB_jNS0_19identity_decomposerENS1_16block_id_wrapperIjLb0EEEEE10hipError_tT1_PNSt15iterator_traitsISG_E10value_typeET2_T3_PNSH_ISM_E10value_typeET4_T5_PSR_SS_PNS1_23onesweep_lookback_stateEbbT6_jjT7_P12ihipStream_tbENKUlT_T0_SG_SL_E_clIS7_S7_SB_PlEEDaSZ_S10_SG_SL_EUlSZ_E_NS1_11comp_targetILNS1_3genE6ELNS1_11target_archE950ELNS1_3gpuE13ELNS1_3repE0EEENS1_47radix_sort_onesweep_sort_config_static_selectorELNS0_4arch9wavefront6targetE1EEEvSG_,comdat
	.protected	_ZN7rocprim17ROCPRIM_400000_NS6detail17trampoline_kernelINS0_14default_configENS1_35radix_sort_onesweep_config_selectorIhlEEZZNS1_29radix_sort_onesweep_iterationIS3_Lb0EPhS7_N6thrust23THRUST_200600_302600_NS10device_ptrIlEESB_jNS0_19identity_decomposerENS1_16block_id_wrapperIjLb0EEEEE10hipError_tT1_PNSt15iterator_traitsISG_E10value_typeET2_T3_PNSH_ISM_E10value_typeET4_T5_PSR_SS_PNS1_23onesweep_lookback_stateEbbT6_jjT7_P12ihipStream_tbENKUlT_T0_SG_SL_E_clIS7_S7_SB_PlEEDaSZ_S10_SG_SL_EUlSZ_E_NS1_11comp_targetILNS1_3genE6ELNS1_11target_archE950ELNS1_3gpuE13ELNS1_3repE0EEENS1_47radix_sort_onesweep_sort_config_static_selectorELNS0_4arch9wavefront6targetE1EEEvSG_ ; -- Begin function _ZN7rocprim17ROCPRIM_400000_NS6detail17trampoline_kernelINS0_14default_configENS1_35radix_sort_onesweep_config_selectorIhlEEZZNS1_29radix_sort_onesweep_iterationIS3_Lb0EPhS7_N6thrust23THRUST_200600_302600_NS10device_ptrIlEESB_jNS0_19identity_decomposerENS1_16block_id_wrapperIjLb0EEEEE10hipError_tT1_PNSt15iterator_traitsISG_E10value_typeET2_T3_PNSH_ISM_E10value_typeET4_T5_PSR_SS_PNS1_23onesweep_lookback_stateEbbT6_jjT7_P12ihipStream_tbENKUlT_T0_SG_SL_E_clIS7_S7_SB_PlEEDaSZ_S10_SG_SL_EUlSZ_E_NS1_11comp_targetILNS1_3genE6ELNS1_11target_archE950ELNS1_3gpuE13ELNS1_3repE0EEENS1_47radix_sort_onesweep_sort_config_static_selectorELNS0_4arch9wavefront6targetE1EEEvSG_
	.globl	_ZN7rocprim17ROCPRIM_400000_NS6detail17trampoline_kernelINS0_14default_configENS1_35radix_sort_onesweep_config_selectorIhlEEZZNS1_29radix_sort_onesweep_iterationIS3_Lb0EPhS7_N6thrust23THRUST_200600_302600_NS10device_ptrIlEESB_jNS0_19identity_decomposerENS1_16block_id_wrapperIjLb0EEEEE10hipError_tT1_PNSt15iterator_traitsISG_E10value_typeET2_T3_PNSH_ISM_E10value_typeET4_T5_PSR_SS_PNS1_23onesweep_lookback_stateEbbT6_jjT7_P12ihipStream_tbENKUlT_T0_SG_SL_E_clIS7_S7_SB_PlEEDaSZ_S10_SG_SL_EUlSZ_E_NS1_11comp_targetILNS1_3genE6ELNS1_11target_archE950ELNS1_3gpuE13ELNS1_3repE0EEENS1_47radix_sort_onesweep_sort_config_static_selectorELNS0_4arch9wavefront6targetE1EEEvSG_
	.p2align	8
	.type	_ZN7rocprim17ROCPRIM_400000_NS6detail17trampoline_kernelINS0_14default_configENS1_35radix_sort_onesweep_config_selectorIhlEEZZNS1_29radix_sort_onesweep_iterationIS3_Lb0EPhS7_N6thrust23THRUST_200600_302600_NS10device_ptrIlEESB_jNS0_19identity_decomposerENS1_16block_id_wrapperIjLb0EEEEE10hipError_tT1_PNSt15iterator_traitsISG_E10value_typeET2_T3_PNSH_ISM_E10value_typeET4_T5_PSR_SS_PNS1_23onesweep_lookback_stateEbbT6_jjT7_P12ihipStream_tbENKUlT_T0_SG_SL_E_clIS7_S7_SB_PlEEDaSZ_S10_SG_SL_EUlSZ_E_NS1_11comp_targetILNS1_3genE6ELNS1_11target_archE950ELNS1_3gpuE13ELNS1_3repE0EEENS1_47radix_sort_onesweep_sort_config_static_selectorELNS0_4arch9wavefront6targetE1EEEvSG_,@function
_ZN7rocprim17ROCPRIM_400000_NS6detail17trampoline_kernelINS0_14default_configENS1_35radix_sort_onesweep_config_selectorIhlEEZZNS1_29radix_sort_onesweep_iterationIS3_Lb0EPhS7_N6thrust23THRUST_200600_302600_NS10device_ptrIlEESB_jNS0_19identity_decomposerENS1_16block_id_wrapperIjLb0EEEEE10hipError_tT1_PNSt15iterator_traitsISG_E10value_typeET2_T3_PNSH_ISM_E10value_typeET4_T5_PSR_SS_PNS1_23onesweep_lookback_stateEbbT6_jjT7_P12ihipStream_tbENKUlT_T0_SG_SL_E_clIS7_S7_SB_PlEEDaSZ_S10_SG_SL_EUlSZ_E_NS1_11comp_targetILNS1_3genE6ELNS1_11target_archE950ELNS1_3gpuE13ELNS1_3repE0EEENS1_47radix_sort_onesweep_sort_config_static_selectorELNS0_4arch9wavefront6targetE1EEEvSG_: ; @_ZN7rocprim17ROCPRIM_400000_NS6detail17trampoline_kernelINS0_14default_configENS1_35radix_sort_onesweep_config_selectorIhlEEZZNS1_29radix_sort_onesweep_iterationIS3_Lb0EPhS7_N6thrust23THRUST_200600_302600_NS10device_ptrIlEESB_jNS0_19identity_decomposerENS1_16block_id_wrapperIjLb0EEEEE10hipError_tT1_PNSt15iterator_traitsISG_E10value_typeET2_T3_PNSH_ISM_E10value_typeET4_T5_PSR_SS_PNS1_23onesweep_lookback_stateEbbT6_jjT7_P12ihipStream_tbENKUlT_T0_SG_SL_E_clIS7_S7_SB_PlEEDaSZ_S10_SG_SL_EUlSZ_E_NS1_11comp_targetILNS1_3genE6ELNS1_11target_archE950ELNS1_3gpuE13ELNS1_3repE0EEENS1_47radix_sort_onesweep_sort_config_static_selectorELNS0_4arch9wavefront6targetE1EEEvSG_
; %bb.0:
	.section	.rodata,"a",@progbits
	.p2align	6, 0x0
	.amdhsa_kernel _ZN7rocprim17ROCPRIM_400000_NS6detail17trampoline_kernelINS0_14default_configENS1_35radix_sort_onesweep_config_selectorIhlEEZZNS1_29radix_sort_onesweep_iterationIS3_Lb0EPhS7_N6thrust23THRUST_200600_302600_NS10device_ptrIlEESB_jNS0_19identity_decomposerENS1_16block_id_wrapperIjLb0EEEEE10hipError_tT1_PNSt15iterator_traitsISG_E10value_typeET2_T3_PNSH_ISM_E10value_typeET4_T5_PSR_SS_PNS1_23onesweep_lookback_stateEbbT6_jjT7_P12ihipStream_tbENKUlT_T0_SG_SL_E_clIS7_S7_SB_PlEEDaSZ_S10_SG_SL_EUlSZ_E_NS1_11comp_targetILNS1_3genE6ELNS1_11target_archE950ELNS1_3gpuE13ELNS1_3repE0EEENS1_47radix_sort_onesweep_sort_config_static_selectorELNS0_4arch9wavefront6targetE1EEEvSG_
		.amdhsa_group_segment_fixed_size 0
		.amdhsa_private_segment_fixed_size 0
		.amdhsa_kernarg_size 88
		.amdhsa_user_sgpr_count 6
		.amdhsa_user_sgpr_private_segment_buffer 1
		.amdhsa_user_sgpr_dispatch_ptr 0
		.amdhsa_user_sgpr_queue_ptr 0
		.amdhsa_user_sgpr_kernarg_segment_ptr 1
		.amdhsa_user_sgpr_dispatch_id 0
		.amdhsa_user_sgpr_flat_scratch_init 0
		.amdhsa_user_sgpr_kernarg_preload_length 0
		.amdhsa_user_sgpr_kernarg_preload_offset 0
		.amdhsa_user_sgpr_private_segment_size 0
		.amdhsa_uses_dynamic_stack 0
		.amdhsa_system_sgpr_private_segment_wavefront_offset 0
		.amdhsa_system_sgpr_workgroup_id_x 1
		.amdhsa_system_sgpr_workgroup_id_y 0
		.amdhsa_system_sgpr_workgroup_id_z 0
		.amdhsa_system_sgpr_workgroup_info 0
		.amdhsa_system_vgpr_workitem_id 0
		.amdhsa_next_free_vgpr 1
		.amdhsa_next_free_sgpr 0
		.amdhsa_accum_offset 4
		.amdhsa_reserve_vcc 0
		.amdhsa_reserve_flat_scratch 0
		.amdhsa_float_round_mode_32 0
		.amdhsa_float_round_mode_16_64 0
		.amdhsa_float_denorm_mode_32 3
		.amdhsa_float_denorm_mode_16_64 3
		.amdhsa_dx10_clamp 1
		.amdhsa_ieee_mode 1
		.amdhsa_fp16_overflow 0
		.amdhsa_tg_split 0
		.amdhsa_exception_fp_ieee_invalid_op 0
		.amdhsa_exception_fp_denorm_src 0
		.amdhsa_exception_fp_ieee_div_zero 0
		.amdhsa_exception_fp_ieee_overflow 0
		.amdhsa_exception_fp_ieee_underflow 0
		.amdhsa_exception_fp_ieee_inexact 0
		.amdhsa_exception_int_div_zero 0
	.end_amdhsa_kernel
	.section	.text._ZN7rocprim17ROCPRIM_400000_NS6detail17trampoline_kernelINS0_14default_configENS1_35radix_sort_onesweep_config_selectorIhlEEZZNS1_29radix_sort_onesweep_iterationIS3_Lb0EPhS7_N6thrust23THRUST_200600_302600_NS10device_ptrIlEESB_jNS0_19identity_decomposerENS1_16block_id_wrapperIjLb0EEEEE10hipError_tT1_PNSt15iterator_traitsISG_E10value_typeET2_T3_PNSH_ISM_E10value_typeET4_T5_PSR_SS_PNS1_23onesweep_lookback_stateEbbT6_jjT7_P12ihipStream_tbENKUlT_T0_SG_SL_E_clIS7_S7_SB_PlEEDaSZ_S10_SG_SL_EUlSZ_E_NS1_11comp_targetILNS1_3genE6ELNS1_11target_archE950ELNS1_3gpuE13ELNS1_3repE0EEENS1_47radix_sort_onesweep_sort_config_static_selectorELNS0_4arch9wavefront6targetE1EEEvSG_,"axG",@progbits,_ZN7rocprim17ROCPRIM_400000_NS6detail17trampoline_kernelINS0_14default_configENS1_35radix_sort_onesweep_config_selectorIhlEEZZNS1_29radix_sort_onesweep_iterationIS3_Lb0EPhS7_N6thrust23THRUST_200600_302600_NS10device_ptrIlEESB_jNS0_19identity_decomposerENS1_16block_id_wrapperIjLb0EEEEE10hipError_tT1_PNSt15iterator_traitsISG_E10value_typeET2_T3_PNSH_ISM_E10value_typeET4_T5_PSR_SS_PNS1_23onesweep_lookback_stateEbbT6_jjT7_P12ihipStream_tbENKUlT_T0_SG_SL_E_clIS7_S7_SB_PlEEDaSZ_S10_SG_SL_EUlSZ_E_NS1_11comp_targetILNS1_3genE6ELNS1_11target_archE950ELNS1_3gpuE13ELNS1_3repE0EEENS1_47radix_sort_onesweep_sort_config_static_selectorELNS0_4arch9wavefront6targetE1EEEvSG_,comdat
.Lfunc_end301:
	.size	_ZN7rocprim17ROCPRIM_400000_NS6detail17trampoline_kernelINS0_14default_configENS1_35radix_sort_onesweep_config_selectorIhlEEZZNS1_29radix_sort_onesweep_iterationIS3_Lb0EPhS7_N6thrust23THRUST_200600_302600_NS10device_ptrIlEESB_jNS0_19identity_decomposerENS1_16block_id_wrapperIjLb0EEEEE10hipError_tT1_PNSt15iterator_traitsISG_E10value_typeET2_T3_PNSH_ISM_E10value_typeET4_T5_PSR_SS_PNS1_23onesweep_lookback_stateEbbT6_jjT7_P12ihipStream_tbENKUlT_T0_SG_SL_E_clIS7_S7_SB_PlEEDaSZ_S10_SG_SL_EUlSZ_E_NS1_11comp_targetILNS1_3genE6ELNS1_11target_archE950ELNS1_3gpuE13ELNS1_3repE0EEENS1_47radix_sort_onesweep_sort_config_static_selectorELNS0_4arch9wavefront6targetE1EEEvSG_, .Lfunc_end301-_ZN7rocprim17ROCPRIM_400000_NS6detail17trampoline_kernelINS0_14default_configENS1_35radix_sort_onesweep_config_selectorIhlEEZZNS1_29radix_sort_onesweep_iterationIS3_Lb0EPhS7_N6thrust23THRUST_200600_302600_NS10device_ptrIlEESB_jNS0_19identity_decomposerENS1_16block_id_wrapperIjLb0EEEEE10hipError_tT1_PNSt15iterator_traitsISG_E10value_typeET2_T3_PNSH_ISM_E10value_typeET4_T5_PSR_SS_PNS1_23onesweep_lookback_stateEbbT6_jjT7_P12ihipStream_tbENKUlT_T0_SG_SL_E_clIS7_S7_SB_PlEEDaSZ_S10_SG_SL_EUlSZ_E_NS1_11comp_targetILNS1_3genE6ELNS1_11target_archE950ELNS1_3gpuE13ELNS1_3repE0EEENS1_47radix_sort_onesweep_sort_config_static_selectorELNS0_4arch9wavefront6targetE1EEEvSG_
                                        ; -- End function
	.section	.AMDGPU.csdata,"",@progbits
; Kernel info:
; codeLenInByte = 0
; NumSgprs: 4
; NumVgprs: 0
; NumAgprs: 0
; TotalNumVgprs: 0
; ScratchSize: 0
; MemoryBound: 0
; FloatMode: 240
; IeeeMode: 1
; LDSByteSize: 0 bytes/workgroup (compile time only)
; SGPRBlocks: 0
; VGPRBlocks: 0
; NumSGPRsForWavesPerEU: 4
; NumVGPRsForWavesPerEU: 1
; AccumOffset: 4
; Occupancy: 8
; WaveLimiterHint : 0
; COMPUTE_PGM_RSRC2:SCRATCH_EN: 0
; COMPUTE_PGM_RSRC2:USER_SGPR: 6
; COMPUTE_PGM_RSRC2:TRAP_HANDLER: 0
; COMPUTE_PGM_RSRC2:TGID_X_EN: 1
; COMPUTE_PGM_RSRC2:TGID_Y_EN: 0
; COMPUTE_PGM_RSRC2:TGID_Z_EN: 0
; COMPUTE_PGM_RSRC2:TIDIG_COMP_CNT: 0
; COMPUTE_PGM_RSRC3_GFX90A:ACCUM_OFFSET: 0
; COMPUTE_PGM_RSRC3_GFX90A:TG_SPLIT: 0
	.section	.text._ZN7rocprim17ROCPRIM_400000_NS6detail17trampoline_kernelINS0_14default_configENS1_35radix_sort_onesweep_config_selectorIhlEEZZNS1_29radix_sort_onesweep_iterationIS3_Lb0EPhS7_N6thrust23THRUST_200600_302600_NS10device_ptrIlEESB_jNS0_19identity_decomposerENS1_16block_id_wrapperIjLb0EEEEE10hipError_tT1_PNSt15iterator_traitsISG_E10value_typeET2_T3_PNSH_ISM_E10value_typeET4_T5_PSR_SS_PNS1_23onesweep_lookback_stateEbbT6_jjT7_P12ihipStream_tbENKUlT_T0_SG_SL_E_clIS7_S7_SB_PlEEDaSZ_S10_SG_SL_EUlSZ_E_NS1_11comp_targetILNS1_3genE5ELNS1_11target_archE942ELNS1_3gpuE9ELNS1_3repE0EEENS1_47radix_sort_onesweep_sort_config_static_selectorELNS0_4arch9wavefront6targetE1EEEvSG_,"axG",@progbits,_ZN7rocprim17ROCPRIM_400000_NS6detail17trampoline_kernelINS0_14default_configENS1_35radix_sort_onesweep_config_selectorIhlEEZZNS1_29radix_sort_onesweep_iterationIS3_Lb0EPhS7_N6thrust23THRUST_200600_302600_NS10device_ptrIlEESB_jNS0_19identity_decomposerENS1_16block_id_wrapperIjLb0EEEEE10hipError_tT1_PNSt15iterator_traitsISG_E10value_typeET2_T3_PNSH_ISM_E10value_typeET4_T5_PSR_SS_PNS1_23onesweep_lookback_stateEbbT6_jjT7_P12ihipStream_tbENKUlT_T0_SG_SL_E_clIS7_S7_SB_PlEEDaSZ_S10_SG_SL_EUlSZ_E_NS1_11comp_targetILNS1_3genE5ELNS1_11target_archE942ELNS1_3gpuE9ELNS1_3repE0EEENS1_47radix_sort_onesweep_sort_config_static_selectorELNS0_4arch9wavefront6targetE1EEEvSG_,comdat
	.protected	_ZN7rocprim17ROCPRIM_400000_NS6detail17trampoline_kernelINS0_14default_configENS1_35radix_sort_onesweep_config_selectorIhlEEZZNS1_29radix_sort_onesweep_iterationIS3_Lb0EPhS7_N6thrust23THRUST_200600_302600_NS10device_ptrIlEESB_jNS0_19identity_decomposerENS1_16block_id_wrapperIjLb0EEEEE10hipError_tT1_PNSt15iterator_traitsISG_E10value_typeET2_T3_PNSH_ISM_E10value_typeET4_T5_PSR_SS_PNS1_23onesweep_lookback_stateEbbT6_jjT7_P12ihipStream_tbENKUlT_T0_SG_SL_E_clIS7_S7_SB_PlEEDaSZ_S10_SG_SL_EUlSZ_E_NS1_11comp_targetILNS1_3genE5ELNS1_11target_archE942ELNS1_3gpuE9ELNS1_3repE0EEENS1_47radix_sort_onesweep_sort_config_static_selectorELNS0_4arch9wavefront6targetE1EEEvSG_ ; -- Begin function _ZN7rocprim17ROCPRIM_400000_NS6detail17trampoline_kernelINS0_14default_configENS1_35radix_sort_onesweep_config_selectorIhlEEZZNS1_29radix_sort_onesweep_iterationIS3_Lb0EPhS7_N6thrust23THRUST_200600_302600_NS10device_ptrIlEESB_jNS0_19identity_decomposerENS1_16block_id_wrapperIjLb0EEEEE10hipError_tT1_PNSt15iterator_traitsISG_E10value_typeET2_T3_PNSH_ISM_E10value_typeET4_T5_PSR_SS_PNS1_23onesweep_lookback_stateEbbT6_jjT7_P12ihipStream_tbENKUlT_T0_SG_SL_E_clIS7_S7_SB_PlEEDaSZ_S10_SG_SL_EUlSZ_E_NS1_11comp_targetILNS1_3genE5ELNS1_11target_archE942ELNS1_3gpuE9ELNS1_3repE0EEENS1_47radix_sort_onesweep_sort_config_static_selectorELNS0_4arch9wavefront6targetE1EEEvSG_
	.globl	_ZN7rocprim17ROCPRIM_400000_NS6detail17trampoline_kernelINS0_14default_configENS1_35radix_sort_onesweep_config_selectorIhlEEZZNS1_29radix_sort_onesweep_iterationIS3_Lb0EPhS7_N6thrust23THRUST_200600_302600_NS10device_ptrIlEESB_jNS0_19identity_decomposerENS1_16block_id_wrapperIjLb0EEEEE10hipError_tT1_PNSt15iterator_traitsISG_E10value_typeET2_T3_PNSH_ISM_E10value_typeET4_T5_PSR_SS_PNS1_23onesweep_lookback_stateEbbT6_jjT7_P12ihipStream_tbENKUlT_T0_SG_SL_E_clIS7_S7_SB_PlEEDaSZ_S10_SG_SL_EUlSZ_E_NS1_11comp_targetILNS1_3genE5ELNS1_11target_archE942ELNS1_3gpuE9ELNS1_3repE0EEENS1_47radix_sort_onesweep_sort_config_static_selectorELNS0_4arch9wavefront6targetE1EEEvSG_
	.p2align	8
	.type	_ZN7rocprim17ROCPRIM_400000_NS6detail17trampoline_kernelINS0_14default_configENS1_35radix_sort_onesweep_config_selectorIhlEEZZNS1_29radix_sort_onesweep_iterationIS3_Lb0EPhS7_N6thrust23THRUST_200600_302600_NS10device_ptrIlEESB_jNS0_19identity_decomposerENS1_16block_id_wrapperIjLb0EEEEE10hipError_tT1_PNSt15iterator_traitsISG_E10value_typeET2_T3_PNSH_ISM_E10value_typeET4_T5_PSR_SS_PNS1_23onesweep_lookback_stateEbbT6_jjT7_P12ihipStream_tbENKUlT_T0_SG_SL_E_clIS7_S7_SB_PlEEDaSZ_S10_SG_SL_EUlSZ_E_NS1_11comp_targetILNS1_3genE5ELNS1_11target_archE942ELNS1_3gpuE9ELNS1_3repE0EEENS1_47radix_sort_onesweep_sort_config_static_selectorELNS0_4arch9wavefront6targetE1EEEvSG_,@function
_ZN7rocprim17ROCPRIM_400000_NS6detail17trampoline_kernelINS0_14default_configENS1_35radix_sort_onesweep_config_selectorIhlEEZZNS1_29radix_sort_onesweep_iterationIS3_Lb0EPhS7_N6thrust23THRUST_200600_302600_NS10device_ptrIlEESB_jNS0_19identity_decomposerENS1_16block_id_wrapperIjLb0EEEEE10hipError_tT1_PNSt15iterator_traitsISG_E10value_typeET2_T3_PNSH_ISM_E10value_typeET4_T5_PSR_SS_PNS1_23onesweep_lookback_stateEbbT6_jjT7_P12ihipStream_tbENKUlT_T0_SG_SL_E_clIS7_S7_SB_PlEEDaSZ_S10_SG_SL_EUlSZ_E_NS1_11comp_targetILNS1_3genE5ELNS1_11target_archE942ELNS1_3gpuE9ELNS1_3repE0EEENS1_47radix_sort_onesweep_sort_config_static_selectorELNS0_4arch9wavefront6targetE1EEEvSG_: ; @_ZN7rocprim17ROCPRIM_400000_NS6detail17trampoline_kernelINS0_14default_configENS1_35radix_sort_onesweep_config_selectorIhlEEZZNS1_29radix_sort_onesweep_iterationIS3_Lb0EPhS7_N6thrust23THRUST_200600_302600_NS10device_ptrIlEESB_jNS0_19identity_decomposerENS1_16block_id_wrapperIjLb0EEEEE10hipError_tT1_PNSt15iterator_traitsISG_E10value_typeET2_T3_PNSH_ISM_E10value_typeET4_T5_PSR_SS_PNS1_23onesweep_lookback_stateEbbT6_jjT7_P12ihipStream_tbENKUlT_T0_SG_SL_E_clIS7_S7_SB_PlEEDaSZ_S10_SG_SL_EUlSZ_E_NS1_11comp_targetILNS1_3genE5ELNS1_11target_archE942ELNS1_3gpuE9ELNS1_3repE0EEENS1_47radix_sort_onesweep_sort_config_static_selectorELNS0_4arch9wavefront6targetE1EEEvSG_
; %bb.0:
	.section	.rodata,"a",@progbits
	.p2align	6, 0x0
	.amdhsa_kernel _ZN7rocprim17ROCPRIM_400000_NS6detail17trampoline_kernelINS0_14default_configENS1_35radix_sort_onesweep_config_selectorIhlEEZZNS1_29radix_sort_onesweep_iterationIS3_Lb0EPhS7_N6thrust23THRUST_200600_302600_NS10device_ptrIlEESB_jNS0_19identity_decomposerENS1_16block_id_wrapperIjLb0EEEEE10hipError_tT1_PNSt15iterator_traitsISG_E10value_typeET2_T3_PNSH_ISM_E10value_typeET4_T5_PSR_SS_PNS1_23onesweep_lookback_stateEbbT6_jjT7_P12ihipStream_tbENKUlT_T0_SG_SL_E_clIS7_S7_SB_PlEEDaSZ_S10_SG_SL_EUlSZ_E_NS1_11comp_targetILNS1_3genE5ELNS1_11target_archE942ELNS1_3gpuE9ELNS1_3repE0EEENS1_47radix_sort_onesweep_sort_config_static_selectorELNS0_4arch9wavefront6targetE1EEEvSG_
		.amdhsa_group_segment_fixed_size 0
		.amdhsa_private_segment_fixed_size 0
		.amdhsa_kernarg_size 88
		.amdhsa_user_sgpr_count 6
		.amdhsa_user_sgpr_private_segment_buffer 1
		.amdhsa_user_sgpr_dispatch_ptr 0
		.amdhsa_user_sgpr_queue_ptr 0
		.amdhsa_user_sgpr_kernarg_segment_ptr 1
		.amdhsa_user_sgpr_dispatch_id 0
		.amdhsa_user_sgpr_flat_scratch_init 0
		.amdhsa_user_sgpr_kernarg_preload_length 0
		.amdhsa_user_sgpr_kernarg_preload_offset 0
		.amdhsa_user_sgpr_private_segment_size 0
		.amdhsa_uses_dynamic_stack 0
		.amdhsa_system_sgpr_private_segment_wavefront_offset 0
		.amdhsa_system_sgpr_workgroup_id_x 1
		.amdhsa_system_sgpr_workgroup_id_y 0
		.amdhsa_system_sgpr_workgroup_id_z 0
		.amdhsa_system_sgpr_workgroup_info 0
		.amdhsa_system_vgpr_workitem_id 0
		.amdhsa_next_free_vgpr 1
		.amdhsa_next_free_sgpr 0
		.amdhsa_accum_offset 4
		.amdhsa_reserve_vcc 0
		.amdhsa_reserve_flat_scratch 0
		.amdhsa_float_round_mode_32 0
		.amdhsa_float_round_mode_16_64 0
		.amdhsa_float_denorm_mode_32 3
		.amdhsa_float_denorm_mode_16_64 3
		.amdhsa_dx10_clamp 1
		.amdhsa_ieee_mode 1
		.amdhsa_fp16_overflow 0
		.amdhsa_tg_split 0
		.amdhsa_exception_fp_ieee_invalid_op 0
		.amdhsa_exception_fp_denorm_src 0
		.amdhsa_exception_fp_ieee_div_zero 0
		.amdhsa_exception_fp_ieee_overflow 0
		.amdhsa_exception_fp_ieee_underflow 0
		.amdhsa_exception_fp_ieee_inexact 0
		.amdhsa_exception_int_div_zero 0
	.end_amdhsa_kernel
	.section	.text._ZN7rocprim17ROCPRIM_400000_NS6detail17trampoline_kernelINS0_14default_configENS1_35radix_sort_onesweep_config_selectorIhlEEZZNS1_29radix_sort_onesweep_iterationIS3_Lb0EPhS7_N6thrust23THRUST_200600_302600_NS10device_ptrIlEESB_jNS0_19identity_decomposerENS1_16block_id_wrapperIjLb0EEEEE10hipError_tT1_PNSt15iterator_traitsISG_E10value_typeET2_T3_PNSH_ISM_E10value_typeET4_T5_PSR_SS_PNS1_23onesweep_lookback_stateEbbT6_jjT7_P12ihipStream_tbENKUlT_T0_SG_SL_E_clIS7_S7_SB_PlEEDaSZ_S10_SG_SL_EUlSZ_E_NS1_11comp_targetILNS1_3genE5ELNS1_11target_archE942ELNS1_3gpuE9ELNS1_3repE0EEENS1_47radix_sort_onesweep_sort_config_static_selectorELNS0_4arch9wavefront6targetE1EEEvSG_,"axG",@progbits,_ZN7rocprim17ROCPRIM_400000_NS6detail17trampoline_kernelINS0_14default_configENS1_35radix_sort_onesweep_config_selectorIhlEEZZNS1_29radix_sort_onesweep_iterationIS3_Lb0EPhS7_N6thrust23THRUST_200600_302600_NS10device_ptrIlEESB_jNS0_19identity_decomposerENS1_16block_id_wrapperIjLb0EEEEE10hipError_tT1_PNSt15iterator_traitsISG_E10value_typeET2_T3_PNSH_ISM_E10value_typeET4_T5_PSR_SS_PNS1_23onesweep_lookback_stateEbbT6_jjT7_P12ihipStream_tbENKUlT_T0_SG_SL_E_clIS7_S7_SB_PlEEDaSZ_S10_SG_SL_EUlSZ_E_NS1_11comp_targetILNS1_3genE5ELNS1_11target_archE942ELNS1_3gpuE9ELNS1_3repE0EEENS1_47radix_sort_onesweep_sort_config_static_selectorELNS0_4arch9wavefront6targetE1EEEvSG_,comdat
.Lfunc_end302:
	.size	_ZN7rocprim17ROCPRIM_400000_NS6detail17trampoline_kernelINS0_14default_configENS1_35radix_sort_onesweep_config_selectorIhlEEZZNS1_29radix_sort_onesweep_iterationIS3_Lb0EPhS7_N6thrust23THRUST_200600_302600_NS10device_ptrIlEESB_jNS0_19identity_decomposerENS1_16block_id_wrapperIjLb0EEEEE10hipError_tT1_PNSt15iterator_traitsISG_E10value_typeET2_T3_PNSH_ISM_E10value_typeET4_T5_PSR_SS_PNS1_23onesweep_lookback_stateEbbT6_jjT7_P12ihipStream_tbENKUlT_T0_SG_SL_E_clIS7_S7_SB_PlEEDaSZ_S10_SG_SL_EUlSZ_E_NS1_11comp_targetILNS1_3genE5ELNS1_11target_archE942ELNS1_3gpuE9ELNS1_3repE0EEENS1_47radix_sort_onesweep_sort_config_static_selectorELNS0_4arch9wavefront6targetE1EEEvSG_, .Lfunc_end302-_ZN7rocprim17ROCPRIM_400000_NS6detail17trampoline_kernelINS0_14default_configENS1_35radix_sort_onesweep_config_selectorIhlEEZZNS1_29radix_sort_onesweep_iterationIS3_Lb0EPhS7_N6thrust23THRUST_200600_302600_NS10device_ptrIlEESB_jNS0_19identity_decomposerENS1_16block_id_wrapperIjLb0EEEEE10hipError_tT1_PNSt15iterator_traitsISG_E10value_typeET2_T3_PNSH_ISM_E10value_typeET4_T5_PSR_SS_PNS1_23onesweep_lookback_stateEbbT6_jjT7_P12ihipStream_tbENKUlT_T0_SG_SL_E_clIS7_S7_SB_PlEEDaSZ_S10_SG_SL_EUlSZ_E_NS1_11comp_targetILNS1_3genE5ELNS1_11target_archE942ELNS1_3gpuE9ELNS1_3repE0EEENS1_47radix_sort_onesweep_sort_config_static_selectorELNS0_4arch9wavefront6targetE1EEEvSG_
                                        ; -- End function
	.section	.AMDGPU.csdata,"",@progbits
; Kernel info:
; codeLenInByte = 0
; NumSgprs: 4
; NumVgprs: 0
; NumAgprs: 0
; TotalNumVgprs: 0
; ScratchSize: 0
; MemoryBound: 0
; FloatMode: 240
; IeeeMode: 1
; LDSByteSize: 0 bytes/workgroup (compile time only)
; SGPRBlocks: 0
; VGPRBlocks: 0
; NumSGPRsForWavesPerEU: 4
; NumVGPRsForWavesPerEU: 1
; AccumOffset: 4
; Occupancy: 8
; WaveLimiterHint : 0
; COMPUTE_PGM_RSRC2:SCRATCH_EN: 0
; COMPUTE_PGM_RSRC2:USER_SGPR: 6
; COMPUTE_PGM_RSRC2:TRAP_HANDLER: 0
; COMPUTE_PGM_RSRC2:TGID_X_EN: 1
; COMPUTE_PGM_RSRC2:TGID_Y_EN: 0
; COMPUTE_PGM_RSRC2:TGID_Z_EN: 0
; COMPUTE_PGM_RSRC2:TIDIG_COMP_CNT: 0
; COMPUTE_PGM_RSRC3_GFX90A:ACCUM_OFFSET: 0
; COMPUTE_PGM_RSRC3_GFX90A:TG_SPLIT: 0
	.section	.text._ZN7rocprim17ROCPRIM_400000_NS6detail17trampoline_kernelINS0_14default_configENS1_35radix_sort_onesweep_config_selectorIhlEEZZNS1_29radix_sort_onesweep_iterationIS3_Lb0EPhS7_N6thrust23THRUST_200600_302600_NS10device_ptrIlEESB_jNS0_19identity_decomposerENS1_16block_id_wrapperIjLb0EEEEE10hipError_tT1_PNSt15iterator_traitsISG_E10value_typeET2_T3_PNSH_ISM_E10value_typeET4_T5_PSR_SS_PNS1_23onesweep_lookback_stateEbbT6_jjT7_P12ihipStream_tbENKUlT_T0_SG_SL_E_clIS7_S7_SB_PlEEDaSZ_S10_SG_SL_EUlSZ_E_NS1_11comp_targetILNS1_3genE2ELNS1_11target_archE906ELNS1_3gpuE6ELNS1_3repE0EEENS1_47radix_sort_onesweep_sort_config_static_selectorELNS0_4arch9wavefront6targetE1EEEvSG_,"axG",@progbits,_ZN7rocprim17ROCPRIM_400000_NS6detail17trampoline_kernelINS0_14default_configENS1_35radix_sort_onesweep_config_selectorIhlEEZZNS1_29radix_sort_onesweep_iterationIS3_Lb0EPhS7_N6thrust23THRUST_200600_302600_NS10device_ptrIlEESB_jNS0_19identity_decomposerENS1_16block_id_wrapperIjLb0EEEEE10hipError_tT1_PNSt15iterator_traitsISG_E10value_typeET2_T3_PNSH_ISM_E10value_typeET4_T5_PSR_SS_PNS1_23onesweep_lookback_stateEbbT6_jjT7_P12ihipStream_tbENKUlT_T0_SG_SL_E_clIS7_S7_SB_PlEEDaSZ_S10_SG_SL_EUlSZ_E_NS1_11comp_targetILNS1_3genE2ELNS1_11target_archE906ELNS1_3gpuE6ELNS1_3repE0EEENS1_47radix_sort_onesweep_sort_config_static_selectorELNS0_4arch9wavefront6targetE1EEEvSG_,comdat
	.protected	_ZN7rocprim17ROCPRIM_400000_NS6detail17trampoline_kernelINS0_14default_configENS1_35radix_sort_onesweep_config_selectorIhlEEZZNS1_29radix_sort_onesweep_iterationIS3_Lb0EPhS7_N6thrust23THRUST_200600_302600_NS10device_ptrIlEESB_jNS0_19identity_decomposerENS1_16block_id_wrapperIjLb0EEEEE10hipError_tT1_PNSt15iterator_traitsISG_E10value_typeET2_T3_PNSH_ISM_E10value_typeET4_T5_PSR_SS_PNS1_23onesweep_lookback_stateEbbT6_jjT7_P12ihipStream_tbENKUlT_T0_SG_SL_E_clIS7_S7_SB_PlEEDaSZ_S10_SG_SL_EUlSZ_E_NS1_11comp_targetILNS1_3genE2ELNS1_11target_archE906ELNS1_3gpuE6ELNS1_3repE0EEENS1_47radix_sort_onesweep_sort_config_static_selectorELNS0_4arch9wavefront6targetE1EEEvSG_ ; -- Begin function _ZN7rocprim17ROCPRIM_400000_NS6detail17trampoline_kernelINS0_14default_configENS1_35radix_sort_onesweep_config_selectorIhlEEZZNS1_29radix_sort_onesweep_iterationIS3_Lb0EPhS7_N6thrust23THRUST_200600_302600_NS10device_ptrIlEESB_jNS0_19identity_decomposerENS1_16block_id_wrapperIjLb0EEEEE10hipError_tT1_PNSt15iterator_traitsISG_E10value_typeET2_T3_PNSH_ISM_E10value_typeET4_T5_PSR_SS_PNS1_23onesweep_lookback_stateEbbT6_jjT7_P12ihipStream_tbENKUlT_T0_SG_SL_E_clIS7_S7_SB_PlEEDaSZ_S10_SG_SL_EUlSZ_E_NS1_11comp_targetILNS1_3genE2ELNS1_11target_archE906ELNS1_3gpuE6ELNS1_3repE0EEENS1_47radix_sort_onesweep_sort_config_static_selectorELNS0_4arch9wavefront6targetE1EEEvSG_
	.globl	_ZN7rocprim17ROCPRIM_400000_NS6detail17trampoline_kernelINS0_14default_configENS1_35radix_sort_onesweep_config_selectorIhlEEZZNS1_29radix_sort_onesweep_iterationIS3_Lb0EPhS7_N6thrust23THRUST_200600_302600_NS10device_ptrIlEESB_jNS0_19identity_decomposerENS1_16block_id_wrapperIjLb0EEEEE10hipError_tT1_PNSt15iterator_traitsISG_E10value_typeET2_T3_PNSH_ISM_E10value_typeET4_T5_PSR_SS_PNS1_23onesweep_lookback_stateEbbT6_jjT7_P12ihipStream_tbENKUlT_T0_SG_SL_E_clIS7_S7_SB_PlEEDaSZ_S10_SG_SL_EUlSZ_E_NS1_11comp_targetILNS1_3genE2ELNS1_11target_archE906ELNS1_3gpuE6ELNS1_3repE0EEENS1_47radix_sort_onesweep_sort_config_static_selectorELNS0_4arch9wavefront6targetE1EEEvSG_
	.p2align	8
	.type	_ZN7rocprim17ROCPRIM_400000_NS6detail17trampoline_kernelINS0_14default_configENS1_35radix_sort_onesweep_config_selectorIhlEEZZNS1_29radix_sort_onesweep_iterationIS3_Lb0EPhS7_N6thrust23THRUST_200600_302600_NS10device_ptrIlEESB_jNS0_19identity_decomposerENS1_16block_id_wrapperIjLb0EEEEE10hipError_tT1_PNSt15iterator_traitsISG_E10value_typeET2_T3_PNSH_ISM_E10value_typeET4_T5_PSR_SS_PNS1_23onesweep_lookback_stateEbbT6_jjT7_P12ihipStream_tbENKUlT_T0_SG_SL_E_clIS7_S7_SB_PlEEDaSZ_S10_SG_SL_EUlSZ_E_NS1_11comp_targetILNS1_3genE2ELNS1_11target_archE906ELNS1_3gpuE6ELNS1_3repE0EEENS1_47radix_sort_onesweep_sort_config_static_selectorELNS0_4arch9wavefront6targetE1EEEvSG_,@function
_ZN7rocprim17ROCPRIM_400000_NS6detail17trampoline_kernelINS0_14default_configENS1_35radix_sort_onesweep_config_selectorIhlEEZZNS1_29radix_sort_onesweep_iterationIS3_Lb0EPhS7_N6thrust23THRUST_200600_302600_NS10device_ptrIlEESB_jNS0_19identity_decomposerENS1_16block_id_wrapperIjLb0EEEEE10hipError_tT1_PNSt15iterator_traitsISG_E10value_typeET2_T3_PNSH_ISM_E10value_typeET4_T5_PSR_SS_PNS1_23onesweep_lookback_stateEbbT6_jjT7_P12ihipStream_tbENKUlT_T0_SG_SL_E_clIS7_S7_SB_PlEEDaSZ_S10_SG_SL_EUlSZ_E_NS1_11comp_targetILNS1_3genE2ELNS1_11target_archE906ELNS1_3gpuE6ELNS1_3repE0EEENS1_47radix_sort_onesweep_sort_config_static_selectorELNS0_4arch9wavefront6targetE1EEEvSG_: ; @_ZN7rocprim17ROCPRIM_400000_NS6detail17trampoline_kernelINS0_14default_configENS1_35radix_sort_onesweep_config_selectorIhlEEZZNS1_29radix_sort_onesweep_iterationIS3_Lb0EPhS7_N6thrust23THRUST_200600_302600_NS10device_ptrIlEESB_jNS0_19identity_decomposerENS1_16block_id_wrapperIjLb0EEEEE10hipError_tT1_PNSt15iterator_traitsISG_E10value_typeET2_T3_PNSH_ISM_E10value_typeET4_T5_PSR_SS_PNS1_23onesweep_lookback_stateEbbT6_jjT7_P12ihipStream_tbENKUlT_T0_SG_SL_E_clIS7_S7_SB_PlEEDaSZ_S10_SG_SL_EUlSZ_E_NS1_11comp_targetILNS1_3genE2ELNS1_11target_archE906ELNS1_3gpuE6ELNS1_3repE0EEENS1_47radix_sort_onesweep_sort_config_static_selectorELNS0_4arch9wavefront6targetE1EEEvSG_
; %bb.0:
	.section	.rodata,"a",@progbits
	.p2align	6, 0x0
	.amdhsa_kernel _ZN7rocprim17ROCPRIM_400000_NS6detail17trampoline_kernelINS0_14default_configENS1_35radix_sort_onesweep_config_selectorIhlEEZZNS1_29radix_sort_onesweep_iterationIS3_Lb0EPhS7_N6thrust23THRUST_200600_302600_NS10device_ptrIlEESB_jNS0_19identity_decomposerENS1_16block_id_wrapperIjLb0EEEEE10hipError_tT1_PNSt15iterator_traitsISG_E10value_typeET2_T3_PNSH_ISM_E10value_typeET4_T5_PSR_SS_PNS1_23onesweep_lookback_stateEbbT6_jjT7_P12ihipStream_tbENKUlT_T0_SG_SL_E_clIS7_S7_SB_PlEEDaSZ_S10_SG_SL_EUlSZ_E_NS1_11comp_targetILNS1_3genE2ELNS1_11target_archE906ELNS1_3gpuE6ELNS1_3repE0EEENS1_47radix_sort_onesweep_sort_config_static_selectorELNS0_4arch9wavefront6targetE1EEEvSG_
		.amdhsa_group_segment_fixed_size 0
		.amdhsa_private_segment_fixed_size 0
		.amdhsa_kernarg_size 88
		.amdhsa_user_sgpr_count 6
		.amdhsa_user_sgpr_private_segment_buffer 1
		.amdhsa_user_sgpr_dispatch_ptr 0
		.amdhsa_user_sgpr_queue_ptr 0
		.amdhsa_user_sgpr_kernarg_segment_ptr 1
		.amdhsa_user_sgpr_dispatch_id 0
		.amdhsa_user_sgpr_flat_scratch_init 0
		.amdhsa_user_sgpr_kernarg_preload_length 0
		.amdhsa_user_sgpr_kernarg_preload_offset 0
		.amdhsa_user_sgpr_private_segment_size 0
		.amdhsa_uses_dynamic_stack 0
		.amdhsa_system_sgpr_private_segment_wavefront_offset 0
		.amdhsa_system_sgpr_workgroup_id_x 1
		.amdhsa_system_sgpr_workgroup_id_y 0
		.amdhsa_system_sgpr_workgroup_id_z 0
		.amdhsa_system_sgpr_workgroup_info 0
		.amdhsa_system_vgpr_workitem_id 0
		.amdhsa_next_free_vgpr 1
		.amdhsa_next_free_sgpr 0
		.amdhsa_accum_offset 4
		.amdhsa_reserve_vcc 0
		.amdhsa_reserve_flat_scratch 0
		.amdhsa_float_round_mode_32 0
		.amdhsa_float_round_mode_16_64 0
		.amdhsa_float_denorm_mode_32 3
		.amdhsa_float_denorm_mode_16_64 3
		.amdhsa_dx10_clamp 1
		.amdhsa_ieee_mode 1
		.amdhsa_fp16_overflow 0
		.amdhsa_tg_split 0
		.amdhsa_exception_fp_ieee_invalid_op 0
		.amdhsa_exception_fp_denorm_src 0
		.amdhsa_exception_fp_ieee_div_zero 0
		.amdhsa_exception_fp_ieee_overflow 0
		.amdhsa_exception_fp_ieee_underflow 0
		.amdhsa_exception_fp_ieee_inexact 0
		.amdhsa_exception_int_div_zero 0
	.end_amdhsa_kernel
	.section	.text._ZN7rocprim17ROCPRIM_400000_NS6detail17trampoline_kernelINS0_14default_configENS1_35radix_sort_onesweep_config_selectorIhlEEZZNS1_29radix_sort_onesweep_iterationIS3_Lb0EPhS7_N6thrust23THRUST_200600_302600_NS10device_ptrIlEESB_jNS0_19identity_decomposerENS1_16block_id_wrapperIjLb0EEEEE10hipError_tT1_PNSt15iterator_traitsISG_E10value_typeET2_T3_PNSH_ISM_E10value_typeET4_T5_PSR_SS_PNS1_23onesweep_lookback_stateEbbT6_jjT7_P12ihipStream_tbENKUlT_T0_SG_SL_E_clIS7_S7_SB_PlEEDaSZ_S10_SG_SL_EUlSZ_E_NS1_11comp_targetILNS1_3genE2ELNS1_11target_archE906ELNS1_3gpuE6ELNS1_3repE0EEENS1_47radix_sort_onesweep_sort_config_static_selectorELNS0_4arch9wavefront6targetE1EEEvSG_,"axG",@progbits,_ZN7rocprim17ROCPRIM_400000_NS6detail17trampoline_kernelINS0_14default_configENS1_35radix_sort_onesweep_config_selectorIhlEEZZNS1_29radix_sort_onesweep_iterationIS3_Lb0EPhS7_N6thrust23THRUST_200600_302600_NS10device_ptrIlEESB_jNS0_19identity_decomposerENS1_16block_id_wrapperIjLb0EEEEE10hipError_tT1_PNSt15iterator_traitsISG_E10value_typeET2_T3_PNSH_ISM_E10value_typeET4_T5_PSR_SS_PNS1_23onesweep_lookback_stateEbbT6_jjT7_P12ihipStream_tbENKUlT_T0_SG_SL_E_clIS7_S7_SB_PlEEDaSZ_S10_SG_SL_EUlSZ_E_NS1_11comp_targetILNS1_3genE2ELNS1_11target_archE906ELNS1_3gpuE6ELNS1_3repE0EEENS1_47radix_sort_onesweep_sort_config_static_selectorELNS0_4arch9wavefront6targetE1EEEvSG_,comdat
.Lfunc_end303:
	.size	_ZN7rocprim17ROCPRIM_400000_NS6detail17trampoline_kernelINS0_14default_configENS1_35radix_sort_onesweep_config_selectorIhlEEZZNS1_29radix_sort_onesweep_iterationIS3_Lb0EPhS7_N6thrust23THRUST_200600_302600_NS10device_ptrIlEESB_jNS0_19identity_decomposerENS1_16block_id_wrapperIjLb0EEEEE10hipError_tT1_PNSt15iterator_traitsISG_E10value_typeET2_T3_PNSH_ISM_E10value_typeET4_T5_PSR_SS_PNS1_23onesweep_lookback_stateEbbT6_jjT7_P12ihipStream_tbENKUlT_T0_SG_SL_E_clIS7_S7_SB_PlEEDaSZ_S10_SG_SL_EUlSZ_E_NS1_11comp_targetILNS1_3genE2ELNS1_11target_archE906ELNS1_3gpuE6ELNS1_3repE0EEENS1_47radix_sort_onesweep_sort_config_static_selectorELNS0_4arch9wavefront6targetE1EEEvSG_, .Lfunc_end303-_ZN7rocprim17ROCPRIM_400000_NS6detail17trampoline_kernelINS0_14default_configENS1_35radix_sort_onesweep_config_selectorIhlEEZZNS1_29radix_sort_onesweep_iterationIS3_Lb0EPhS7_N6thrust23THRUST_200600_302600_NS10device_ptrIlEESB_jNS0_19identity_decomposerENS1_16block_id_wrapperIjLb0EEEEE10hipError_tT1_PNSt15iterator_traitsISG_E10value_typeET2_T3_PNSH_ISM_E10value_typeET4_T5_PSR_SS_PNS1_23onesweep_lookback_stateEbbT6_jjT7_P12ihipStream_tbENKUlT_T0_SG_SL_E_clIS7_S7_SB_PlEEDaSZ_S10_SG_SL_EUlSZ_E_NS1_11comp_targetILNS1_3genE2ELNS1_11target_archE906ELNS1_3gpuE6ELNS1_3repE0EEENS1_47radix_sort_onesweep_sort_config_static_selectorELNS0_4arch9wavefront6targetE1EEEvSG_
                                        ; -- End function
	.section	.AMDGPU.csdata,"",@progbits
; Kernel info:
; codeLenInByte = 0
; NumSgprs: 4
; NumVgprs: 0
; NumAgprs: 0
; TotalNumVgprs: 0
; ScratchSize: 0
; MemoryBound: 0
; FloatMode: 240
; IeeeMode: 1
; LDSByteSize: 0 bytes/workgroup (compile time only)
; SGPRBlocks: 0
; VGPRBlocks: 0
; NumSGPRsForWavesPerEU: 4
; NumVGPRsForWavesPerEU: 1
; AccumOffset: 4
; Occupancy: 8
; WaveLimiterHint : 0
; COMPUTE_PGM_RSRC2:SCRATCH_EN: 0
; COMPUTE_PGM_RSRC2:USER_SGPR: 6
; COMPUTE_PGM_RSRC2:TRAP_HANDLER: 0
; COMPUTE_PGM_RSRC2:TGID_X_EN: 1
; COMPUTE_PGM_RSRC2:TGID_Y_EN: 0
; COMPUTE_PGM_RSRC2:TGID_Z_EN: 0
; COMPUTE_PGM_RSRC2:TIDIG_COMP_CNT: 0
; COMPUTE_PGM_RSRC3_GFX90A:ACCUM_OFFSET: 0
; COMPUTE_PGM_RSRC3_GFX90A:TG_SPLIT: 0
	.section	.text._ZN7rocprim17ROCPRIM_400000_NS6detail17trampoline_kernelINS0_14default_configENS1_35radix_sort_onesweep_config_selectorIhlEEZZNS1_29radix_sort_onesweep_iterationIS3_Lb0EPhS7_N6thrust23THRUST_200600_302600_NS10device_ptrIlEESB_jNS0_19identity_decomposerENS1_16block_id_wrapperIjLb0EEEEE10hipError_tT1_PNSt15iterator_traitsISG_E10value_typeET2_T3_PNSH_ISM_E10value_typeET4_T5_PSR_SS_PNS1_23onesweep_lookback_stateEbbT6_jjT7_P12ihipStream_tbENKUlT_T0_SG_SL_E_clIS7_S7_SB_PlEEDaSZ_S10_SG_SL_EUlSZ_E_NS1_11comp_targetILNS1_3genE4ELNS1_11target_archE910ELNS1_3gpuE8ELNS1_3repE0EEENS1_47radix_sort_onesweep_sort_config_static_selectorELNS0_4arch9wavefront6targetE1EEEvSG_,"axG",@progbits,_ZN7rocprim17ROCPRIM_400000_NS6detail17trampoline_kernelINS0_14default_configENS1_35radix_sort_onesweep_config_selectorIhlEEZZNS1_29radix_sort_onesweep_iterationIS3_Lb0EPhS7_N6thrust23THRUST_200600_302600_NS10device_ptrIlEESB_jNS0_19identity_decomposerENS1_16block_id_wrapperIjLb0EEEEE10hipError_tT1_PNSt15iterator_traitsISG_E10value_typeET2_T3_PNSH_ISM_E10value_typeET4_T5_PSR_SS_PNS1_23onesweep_lookback_stateEbbT6_jjT7_P12ihipStream_tbENKUlT_T0_SG_SL_E_clIS7_S7_SB_PlEEDaSZ_S10_SG_SL_EUlSZ_E_NS1_11comp_targetILNS1_3genE4ELNS1_11target_archE910ELNS1_3gpuE8ELNS1_3repE0EEENS1_47radix_sort_onesweep_sort_config_static_selectorELNS0_4arch9wavefront6targetE1EEEvSG_,comdat
	.protected	_ZN7rocprim17ROCPRIM_400000_NS6detail17trampoline_kernelINS0_14default_configENS1_35radix_sort_onesweep_config_selectorIhlEEZZNS1_29radix_sort_onesweep_iterationIS3_Lb0EPhS7_N6thrust23THRUST_200600_302600_NS10device_ptrIlEESB_jNS0_19identity_decomposerENS1_16block_id_wrapperIjLb0EEEEE10hipError_tT1_PNSt15iterator_traitsISG_E10value_typeET2_T3_PNSH_ISM_E10value_typeET4_T5_PSR_SS_PNS1_23onesweep_lookback_stateEbbT6_jjT7_P12ihipStream_tbENKUlT_T0_SG_SL_E_clIS7_S7_SB_PlEEDaSZ_S10_SG_SL_EUlSZ_E_NS1_11comp_targetILNS1_3genE4ELNS1_11target_archE910ELNS1_3gpuE8ELNS1_3repE0EEENS1_47radix_sort_onesweep_sort_config_static_selectorELNS0_4arch9wavefront6targetE1EEEvSG_ ; -- Begin function _ZN7rocprim17ROCPRIM_400000_NS6detail17trampoline_kernelINS0_14default_configENS1_35radix_sort_onesweep_config_selectorIhlEEZZNS1_29radix_sort_onesweep_iterationIS3_Lb0EPhS7_N6thrust23THRUST_200600_302600_NS10device_ptrIlEESB_jNS0_19identity_decomposerENS1_16block_id_wrapperIjLb0EEEEE10hipError_tT1_PNSt15iterator_traitsISG_E10value_typeET2_T3_PNSH_ISM_E10value_typeET4_T5_PSR_SS_PNS1_23onesweep_lookback_stateEbbT6_jjT7_P12ihipStream_tbENKUlT_T0_SG_SL_E_clIS7_S7_SB_PlEEDaSZ_S10_SG_SL_EUlSZ_E_NS1_11comp_targetILNS1_3genE4ELNS1_11target_archE910ELNS1_3gpuE8ELNS1_3repE0EEENS1_47radix_sort_onesweep_sort_config_static_selectorELNS0_4arch9wavefront6targetE1EEEvSG_
	.globl	_ZN7rocprim17ROCPRIM_400000_NS6detail17trampoline_kernelINS0_14default_configENS1_35radix_sort_onesweep_config_selectorIhlEEZZNS1_29radix_sort_onesweep_iterationIS3_Lb0EPhS7_N6thrust23THRUST_200600_302600_NS10device_ptrIlEESB_jNS0_19identity_decomposerENS1_16block_id_wrapperIjLb0EEEEE10hipError_tT1_PNSt15iterator_traitsISG_E10value_typeET2_T3_PNSH_ISM_E10value_typeET4_T5_PSR_SS_PNS1_23onesweep_lookback_stateEbbT6_jjT7_P12ihipStream_tbENKUlT_T0_SG_SL_E_clIS7_S7_SB_PlEEDaSZ_S10_SG_SL_EUlSZ_E_NS1_11comp_targetILNS1_3genE4ELNS1_11target_archE910ELNS1_3gpuE8ELNS1_3repE0EEENS1_47radix_sort_onesweep_sort_config_static_selectorELNS0_4arch9wavefront6targetE1EEEvSG_
	.p2align	8
	.type	_ZN7rocprim17ROCPRIM_400000_NS6detail17trampoline_kernelINS0_14default_configENS1_35radix_sort_onesweep_config_selectorIhlEEZZNS1_29radix_sort_onesweep_iterationIS3_Lb0EPhS7_N6thrust23THRUST_200600_302600_NS10device_ptrIlEESB_jNS0_19identity_decomposerENS1_16block_id_wrapperIjLb0EEEEE10hipError_tT1_PNSt15iterator_traitsISG_E10value_typeET2_T3_PNSH_ISM_E10value_typeET4_T5_PSR_SS_PNS1_23onesweep_lookback_stateEbbT6_jjT7_P12ihipStream_tbENKUlT_T0_SG_SL_E_clIS7_S7_SB_PlEEDaSZ_S10_SG_SL_EUlSZ_E_NS1_11comp_targetILNS1_3genE4ELNS1_11target_archE910ELNS1_3gpuE8ELNS1_3repE0EEENS1_47radix_sort_onesweep_sort_config_static_selectorELNS0_4arch9wavefront6targetE1EEEvSG_,@function
_ZN7rocprim17ROCPRIM_400000_NS6detail17trampoline_kernelINS0_14default_configENS1_35radix_sort_onesweep_config_selectorIhlEEZZNS1_29radix_sort_onesweep_iterationIS3_Lb0EPhS7_N6thrust23THRUST_200600_302600_NS10device_ptrIlEESB_jNS0_19identity_decomposerENS1_16block_id_wrapperIjLb0EEEEE10hipError_tT1_PNSt15iterator_traitsISG_E10value_typeET2_T3_PNSH_ISM_E10value_typeET4_T5_PSR_SS_PNS1_23onesweep_lookback_stateEbbT6_jjT7_P12ihipStream_tbENKUlT_T0_SG_SL_E_clIS7_S7_SB_PlEEDaSZ_S10_SG_SL_EUlSZ_E_NS1_11comp_targetILNS1_3genE4ELNS1_11target_archE910ELNS1_3gpuE8ELNS1_3repE0EEENS1_47radix_sort_onesweep_sort_config_static_selectorELNS0_4arch9wavefront6targetE1EEEvSG_: ; @_ZN7rocprim17ROCPRIM_400000_NS6detail17trampoline_kernelINS0_14default_configENS1_35radix_sort_onesweep_config_selectorIhlEEZZNS1_29radix_sort_onesweep_iterationIS3_Lb0EPhS7_N6thrust23THRUST_200600_302600_NS10device_ptrIlEESB_jNS0_19identity_decomposerENS1_16block_id_wrapperIjLb0EEEEE10hipError_tT1_PNSt15iterator_traitsISG_E10value_typeET2_T3_PNSH_ISM_E10value_typeET4_T5_PSR_SS_PNS1_23onesweep_lookback_stateEbbT6_jjT7_P12ihipStream_tbENKUlT_T0_SG_SL_E_clIS7_S7_SB_PlEEDaSZ_S10_SG_SL_EUlSZ_E_NS1_11comp_targetILNS1_3genE4ELNS1_11target_archE910ELNS1_3gpuE8ELNS1_3repE0EEENS1_47radix_sort_onesweep_sort_config_static_selectorELNS0_4arch9wavefront6targetE1EEEvSG_
; %bb.0:
	s_load_dwordx8 s[36:43], s[4:5], 0x0
	s_load_dwordx4 s[44:47], s[4:5], 0x44
	s_load_dwordx4 s[28:31], s[4:5], 0x28
	s_load_dwordx2 s[34:35], s[4:5], 0x38
	v_mbcnt_lo_u32_b32 v1, -1, 0
	s_waitcnt lgkmcnt(0)
	s_cmp_ge_u32 s6, s46
	s_cbranch_scc0 .LBB304_84
; %bb.1:
	s_load_dword s0, s[4:5], 0x20
	s_lshl_b32 s1, s46, 13
	s_lshl_b32 s46, s6, 13
	v_mbcnt_hi_u32_b32 v15, -1, v1
	v_and_b32_e32 v10, 0x3ff, v0
	s_waitcnt lgkmcnt(0)
	s_sub_i32 s7, s0, s1
	s_add_u32 s0, s36, s46
	s_addc_u32 s1, s37, 0
	v_and_b32_e32 v14, 63, v15
	v_lshlrev_b32_e32 v11, 3, v10
	v_mov_b32_e32 v2, s1
	v_add_co_u32_e32 v3, vcc, s0, v14
	v_and_b32_e32 v12, 0x1e00, v11
	v_addc_co_u32_e32 v4, vcc, 0, v2, vcc
	v_add_co_u32_e32 v2, vcc, v3, v12
	v_addc_co_u32_e32 v3, vcc, 0, v4, vcc
	v_or_b32_e32 v4, v14, v12
	s_mov_b32 s47, 0
	v_cmp_gt_u32_e32 vcc, s7, v4
	v_mov_b32_e32 v6, 0xff
	v_mov_b32_e32 v7, 0xff
	s_and_saveexec_b64 s[0:1], vcc
	s_cbranch_execz .LBB304_3
; %bb.2:
	global_load_ubyte v7, v[2:3], off
.LBB304_3:
	s_or_b64 exec, exec, s[0:1]
	v_or_b32_e32 v5, 64, v4
	v_cmp_gt_u32_e64 s[0:1], s7, v5
	s_and_saveexec_b64 s[2:3], s[0:1]
	s_cbranch_execz .LBB304_5
; %bb.4:
	global_load_ubyte v6, v[2:3], off offset:64
.LBB304_5:
	s_or_b64 exec, exec, s[2:3]
	v_or_b32_e32 v5, 0x80, v4
	v_cmp_gt_u32_e64 s[2:3], s7, v5
	v_mov_b32_e32 v8, 0xff
	v_mov_b32_e32 v9, 0xff
	s_and_saveexec_b64 s[8:9], s[2:3]
	s_cbranch_execz .LBB304_7
; %bb.6:
	global_load_ubyte v9, v[2:3], off offset:128
.LBB304_7:
	s_or_b64 exec, exec, s[8:9]
	v_or_b32_e32 v5, 0xc0, v4
	v_cmp_gt_u32_e64 s[24:25], s7, v5
	s_and_saveexec_b64 s[8:9], s[24:25]
	s_cbranch_execz .LBB304_9
; %bb.8:
	global_load_ubyte v8, v[2:3], off offset:192
.LBB304_9:
	s_or_b64 exec, exec, s[8:9]
	v_or_b32_e32 v5, 0x100, v4
	v_cmp_gt_u32_e64 s[8:9], s7, v5
	v_mov_b32_e32 v13, 0xff
	v_mov_b32_e32 v16, 0xff
	s_and_saveexec_b64 s[10:11], s[8:9]
	s_cbranch_execz .LBB304_11
; %bb.10:
	global_load_ubyte v16, v[2:3], off offset:256
.LBB304_11:
	;; [unrolled: 18-line block ×3, first 2 shown]
	s_or_b64 exec, exec, s[14:15]
	v_or_b32_e32 v4, 0x1c0, v4
	v_cmp_gt_u32_e64 s[14:15], s7, v4
	s_and_saveexec_b64 s[16:17], s[14:15]
	s_cbranch_execz .LBB304_17
; %bb.16:
	global_load_ubyte v17, v[2:3], off offset:448
.LBB304_17:
	s_or_b64 exec, exec, s[16:17]
	s_load_dword s16, s[4:5], 0x64
	s_load_dword s33, s[4:5], 0x58
	s_add_u32 s17, s4, 0x58
	s_addc_u32 s18, s5, 0
	v_mov_b32_e32 v2, 0
	s_waitcnt lgkmcnt(0)
	s_lshr_b32 s19, s16, 16
	s_cmp_lt_u32 s6, s33
	s_cselect_b32 s16, 12, 18
	s_add_u32 s16, s17, s16
	s_addc_u32 s17, s18, 0
	global_load_ushort v4, v2, s[16:17]
	s_lshl_b32 s16, -1, s45
	s_waitcnt vmcnt(1)
	v_lshrrev_b32_sdwa v20, s44, v7 dst_sel:DWORD dst_unused:UNUSED_PAD src0_sel:DWORD src1_sel:BYTE_0
	s_not_b32 s50, s16
	v_and_b32_e32 v20, s50, v20
	v_and_b32_e32 v22, 1, v20
	v_bfe_u32 v3, v0, 10, 10
	v_bfe_u32 v5, v0, 20, 10
	v_add_co_u32_e64 v23, s[16:17], -1, v22
	v_mad_u32_u24 v5, v5, s19, v3
	v_lshlrev_b32_e32 v3, 30, v20
	v_addc_co_u32_e64 v24, s[16:17], 0, -1, s[16:17]
	v_cmp_ne_u32_e64 s[16:17], 0, v22
	v_cmp_gt_i64_e64 s[18:19], 0, v[2:3]
	v_not_b32_e32 v22, v3
	v_lshlrev_b32_e32 v3, 29, v20
	v_xor_b32_e32 v24, s17, v24
	v_xor_b32_e32 v23, s16, v23
	v_ashrrev_i32_e32 v22, 31, v22
	v_cmp_gt_i64_e64 s[16:17], 0, v[2:3]
	v_not_b32_e32 v25, v3
	v_lshlrev_b32_e32 v3, 28, v20
	v_and_b32_e32 v24, exec_hi, v24
	v_and_b32_e32 v23, exec_lo, v23
	v_xor_b32_e32 v26, s19, v22
	v_xor_b32_e32 v22, s18, v22
	v_ashrrev_i32_e32 v25, 31, v25
	v_cmp_gt_i64_e64 s[18:19], 0, v[2:3]
	v_not_b32_e32 v27, v3
	v_lshlrev_b32_e32 v3, 27, v20
	v_and_b32_e32 v24, v24, v26
	v_and_b32_e32 v22, v23, v22
	v_xor_b32_e32 v23, s17, v25
	v_xor_b32_e32 v25, s16, v25
	v_ashrrev_i32_e32 v26, 31, v27
	v_cmp_gt_i64_e64 s[16:17], 0, v[2:3]
	v_not_b32_e32 v27, v3
	v_lshlrev_b32_e32 v3, 26, v20
	v_and_b32_e32 v23, v24, v23
	v_and_b32_e32 v22, v22, v25
	;; [unrolled: 8-line block ×3, first 2 shown]
	v_xor_b32_e32 v24, s17, v26
	v_xor_b32_e32 v25, s16, v26
	v_ashrrev_i32_e32 v26, 31, v27
	v_cmp_gt_i64_e64 s[16:17], 0, v[2:3]
	v_not_b32_e32 v27, v3
	v_lshlrev_b32_e32 v3, 24, v20
	v_mul_u32_u24_e32 v21, 17, v20
	v_and_b32_e32 v20, v23, v24
	v_and_b32_e32 v22, v22, v25
	v_xor_b32_e32 v23, s19, v26
	v_xor_b32_e32 v24, s18, v26
	v_ashrrev_i32_e32 v25, 31, v27
	v_cmp_gt_i64_e64 s[18:19], 0, v[2:3]
	v_not_b32_e32 v3, v3
	v_and_b32_e32 v20, v20, v23
	v_and_b32_e32 v22, v22, v24
	v_xor_b32_e32 v23, s17, v25
	v_xor_b32_e32 v24, s16, v25
	v_ashrrev_i32_e32 v3, 31, v3
	v_and_b32_e32 v20, v20, v23
	v_and_b32_e32 v22, v22, v24
	v_mul_u32_u24_e32 v19, 5, v10
	v_lshlrev_b32_e32 v19, 2, v19
	ds_write2_b32 v19, v2, v2 offset0:16 offset1:17
	ds_write2_b32 v19, v2, v2 offset0:18 offset1:19
	ds_write_b32 v19, v2 offset:80
	s_waitcnt lgkmcnt(0)
	s_barrier
	s_waitcnt lgkmcnt(0)
	; wave barrier
	s_waitcnt vmcnt(0)
	v_mad_u64_u32 v[4:5], s[16:17], v5, v4, v[10:11]
	v_lshrrev_b32_e32 v24, 6, v4
	v_xor_b32_e32 v4, s19, v3
	v_xor_b32_e32 v3, s18, v3
	v_and_b32_e32 v5, v20, v4
	v_and_b32_e32 v4, v22, v3
	v_mbcnt_lo_u32_b32 v3, v4, 0
	v_mbcnt_hi_u32_b32 v20, v5, v3
	v_cmp_eq_u32_e64 s[16:17], 0, v20
	v_cmp_ne_u64_e64 s[18:19], 0, v[4:5]
	v_add_lshl_u32 v21, v24, v21, 2
	s_and_b64 s[18:19], s[18:19], s[16:17]
	s_and_saveexec_b64 s[16:17], s[18:19]
	s_cbranch_execz .LBB304_19
; %bb.18:
	v_bcnt_u32_b32 v3, v4, 0
	v_bcnt_u32_b32 v3, v5, v3
	ds_write_b32 v21, v3 offset:64
.LBB304_19:
	s_or_b64 exec, exec, s[16:17]
	v_lshrrev_b32_sdwa v3, s44, v6 dst_sel:DWORD dst_unused:UNUSED_PAD src0_sel:DWORD src1_sel:BYTE_0
	v_and_b32_e32 v4, s50, v3
	v_mul_u32_u24_e32 v3, 17, v4
	v_add_lshl_u32 v22, v24, v3, 2
	v_and_b32_e32 v3, 1, v4
	v_add_co_u32_e64 v5, s[16:17], -1, v3
	v_addc_co_u32_e64 v23, s[16:17], 0, -1, s[16:17]
	v_cmp_ne_u32_e64 s[16:17], 0, v3
	v_xor_b32_e32 v3, s17, v23
	v_and_b32_e32 v23, exec_hi, v3
	v_lshlrev_b32_e32 v3, 30, v4
	v_xor_b32_e32 v5, s16, v5
	v_cmp_gt_i64_e64 s[16:17], 0, v[2:3]
	v_not_b32_e32 v3, v3
	v_ashrrev_i32_e32 v3, 31, v3
	v_and_b32_e32 v5, exec_lo, v5
	v_xor_b32_e32 v25, s17, v3
	v_xor_b32_e32 v3, s16, v3
	v_and_b32_e32 v5, v5, v3
	v_lshlrev_b32_e32 v3, 29, v4
	v_cmp_gt_i64_e64 s[16:17], 0, v[2:3]
	v_not_b32_e32 v3, v3
	v_ashrrev_i32_e32 v3, 31, v3
	v_and_b32_e32 v23, v23, v25
	v_xor_b32_e32 v25, s17, v3
	v_xor_b32_e32 v3, s16, v3
	v_and_b32_e32 v5, v5, v3
	v_lshlrev_b32_e32 v3, 28, v4
	v_cmp_gt_i64_e64 s[16:17], 0, v[2:3]
	v_not_b32_e32 v3, v3
	v_ashrrev_i32_e32 v3, 31, v3
	v_and_b32_e32 v23, v23, v25
	;; [unrolled: 8-line block ×5, first 2 shown]
	v_xor_b32_e32 v25, s17, v3
	v_xor_b32_e32 v3, s16, v3
	v_and_b32_e32 v5, v5, v3
	v_lshlrev_b32_e32 v3, 24, v4
	v_cmp_gt_i64_e64 s[16:17], 0, v[2:3]
	v_not_b32_e32 v2, v3
	v_ashrrev_i32_e32 v2, 31, v2
	v_xor_b32_e32 v3, s17, v2
	v_xor_b32_e32 v2, s16, v2
	; wave barrier
	ds_read_b32 v30, v22 offset:64
	v_and_b32_e32 v23, v23, v25
	v_and_b32_e32 v2, v5, v2
	;; [unrolled: 1-line block ×3, first 2 shown]
	v_mbcnt_lo_u32_b32 v4, v2, 0
	v_mbcnt_hi_u32_b32 v31, v3, v4
	v_cmp_eq_u32_e64 s[16:17], 0, v31
	v_cmp_ne_u64_e64 s[18:19], 0, v[2:3]
	s_and_b64 s[18:19], s[18:19], s[16:17]
	; wave barrier
	s_and_saveexec_b64 s[16:17], s[18:19]
	s_cbranch_execz .LBB304_21
; %bb.20:
	v_bcnt_u32_b32 v2, v2, 0
	v_bcnt_u32_b32 v2, v3, v2
	s_waitcnt lgkmcnt(0)
	v_add_u32_e32 v2, v30, v2
	ds_write_b32 v22, v2 offset:64
.LBB304_21:
	s_or_b64 exec, exec, s[16:17]
	v_lshrrev_b32_sdwa v2, s44, v9 dst_sel:DWORD dst_unused:UNUSED_PAD src0_sel:DWORD src1_sel:BYTE_0
	v_and_b32_e32 v4, s50, v2
	v_and_b32_e32 v3, 1, v4
	v_add_co_u32_e64 v5, s[16:17], -1, v3
	v_addc_co_u32_e64 v25, s[16:17], 0, -1, s[16:17]
	v_cmp_ne_u32_e64 s[16:17], 0, v3
	v_mul_u32_u24_e32 v2, 17, v4
	v_xor_b32_e32 v3, s17, v25
	v_add_lshl_u32 v23, v24, v2, 2
	v_mov_b32_e32 v2, 0
	v_and_b32_e32 v25, exec_hi, v3
	v_lshlrev_b32_e32 v3, 30, v4
	v_xor_b32_e32 v5, s16, v5
	v_cmp_gt_i64_e64 s[16:17], 0, v[2:3]
	v_not_b32_e32 v3, v3
	v_ashrrev_i32_e32 v3, 31, v3
	v_and_b32_e32 v5, exec_lo, v5
	v_xor_b32_e32 v26, s17, v3
	v_xor_b32_e32 v3, s16, v3
	v_and_b32_e32 v5, v5, v3
	v_lshlrev_b32_e32 v3, 29, v4
	v_cmp_gt_i64_e64 s[16:17], 0, v[2:3]
	v_not_b32_e32 v3, v3
	v_ashrrev_i32_e32 v3, 31, v3
	v_and_b32_e32 v25, v25, v26
	v_xor_b32_e32 v26, s17, v3
	v_xor_b32_e32 v3, s16, v3
	v_and_b32_e32 v5, v5, v3
	v_lshlrev_b32_e32 v3, 28, v4
	v_cmp_gt_i64_e64 s[16:17], 0, v[2:3]
	v_not_b32_e32 v3, v3
	v_ashrrev_i32_e32 v3, 31, v3
	v_and_b32_e32 v25, v25, v26
	;; [unrolled: 8-line block ×5, first 2 shown]
	v_xor_b32_e32 v26, s17, v3
	v_xor_b32_e32 v3, s16, v3
	v_and_b32_e32 v25, v25, v26
	v_and_b32_e32 v26, v5, v3
	v_lshlrev_b32_e32 v3, 24, v4
	v_cmp_gt_i64_e64 s[16:17], 0, v[2:3]
	v_not_b32_e32 v3, v3
	v_ashrrev_i32_e32 v3, 31, v3
	v_xor_b32_e32 v4, s17, v3
	v_xor_b32_e32 v3, s16, v3
	; wave barrier
	ds_read_b32 v32, v23 offset:64
	v_and_b32_e32 v5, v25, v4
	v_and_b32_e32 v4, v26, v3
	v_mbcnt_lo_u32_b32 v3, v4, 0
	v_mbcnt_hi_u32_b32 v33, v5, v3
	v_cmp_eq_u32_e64 s[16:17], 0, v33
	v_cmp_ne_u64_e64 s[18:19], 0, v[4:5]
	s_and_b64 s[18:19], s[18:19], s[16:17]
	; wave barrier
	s_and_saveexec_b64 s[16:17], s[18:19]
	s_cbranch_execz .LBB304_23
; %bb.22:
	v_bcnt_u32_b32 v3, v4, 0
	v_bcnt_u32_b32 v3, v5, v3
	s_waitcnt lgkmcnt(0)
	v_add_u32_e32 v3, v32, v3
	ds_write_b32 v23, v3 offset:64
.LBB304_23:
	s_or_b64 exec, exec, s[16:17]
	v_lshrrev_b32_sdwa v3, s44, v8 dst_sel:DWORD dst_unused:UNUSED_PAD src0_sel:DWORD src1_sel:BYTE_0
	v_and_b32_e32 v4, s50, v3
	v_mul_u32_u24_e32 v3, 17, v4
	v_add_lshl_u32 v25, v24, v3, 2
	v_and_b32_e32 v3, 1, v4
	v_add_co_u32_e64 v5, s[16:17], -1, v3
	v_addc_co_u32_e64 v26, s[16:17], 0, -1, s[16:17]
	v_cmp_ne_u32_e64 s[16:17], 0, v3
	v_xor_b32_e32 v3, s17, v26
	v_and_b32_e32 v26, exec_hi, v3
	v_lshlrev_b32_e32 v3, 30, v4
	v_xor_b32_e32 v5, s16, v5
	v_cmp_gt_i64_e64 s[16:17], 0, v[2:3]
	v_not_b32_e32 v3, v3
	v_ashrrev_i32_e32 v3, 31, v3
	v_and_b32_e32 v5, exec_lo, v5
	v_xor_b32_e32 v27, s17, v3
	v_xor_b32_e32 v3, s16, v3
	v_and_b32_e32 v5, v5, v3
	v_lshlrev_b32_e32 v3, 29, v4
	v_cmp_gt_i64_e64 s[16:17], 0, v[2:3]
	v_not_b32_e32 v3, v3
	v_ashrrev_i32_e32 v3, 31, v3
	v_and_b32_e32 v26, v26, v27
	v_xor_b32_e32 v27, s17, v3
	v_xor_b32_e32 v3, s16, v3
	v_and_b32_e32 v5, v5, v3
	v_lshlrev_b32_e32 v3, 28, v4
	v_cmp_gt_i64_e64 s[16:17], 0, v[2:3]
	v_not_b32_e32 v3, v3
	v_ashrrev_i32_e32 v3, 31, v3
	v_and_b32_e32 v26, v26, v27
	;; [unrolled: 8-line block ×5, first 2 shown]
	v_xor_b32_e32 v27, s17, v3
	v_xor_b32_e32 v3, s16, v3
	v_and_b32_e32 v5, v5, v3
	v_lshlrev_b32_e32 v3, 24, v4
	v_cmp_gt_i64_e64 s[16:17], 0, v[2:3]
	v_not_b32_e32 v2, v3
	v_ashrrev_i32_e32 v2, 31, v2
	v_xor_b32_e32 v3, s17, v2
	v_xor_b32_e32 v2, s16, v2
	; wave barrier
	ds_read_b32 v34, v25 offset:64
	v_and_b32_e32 v26, v26, v27
	v_and_b32_e32 v2, v5, v2
	v_and_b32_e32 v3, v26, v3
	v_mbcnt_lo_u32_b32 v4, v2, 0
	v_mbcnt_hi_u32_b32 v35, v3, v4
	v_cmp_eq_u32_e64 s[16:17], 0, v35
	v_cmp_ne_u64_e64 s[18:19], 0, v[2:3]
	s_and_b64 s[18:19], s[18:19], s[16:17]
	; wave barrier
	s_and_saveexec_b64 s[16:17], s[18:19]
	s_cbranch_execz .LBB304_25
; %bb.24:
	v_bcnt_u32_b32 v2, v2, 0
	v_bcnt_u32_b32 v2, v3, v2
	s_waitcnt lgkmcnt(0)
	v_add_u32_e32 v2, v34, v2
	ds_write_b32 v25, v2 offset:64
.LBB304_25:
	s_or_b64 exec, exec, s[16:17]
	v_lshrrev_b32_sdwa v2, s44, v16 dst_sel:DWORD dst_unused:UNUSED_PAD src0_sel:DWORD src1_sel:BYTE_0
	v_and_b32_e32 v4, s50, v2
	v_and_b32_e32 v3, 1, v4
	v_add_co_u32_e64 v5, s[16:17], -1, v3
	v_addc_co_u32_e64 v27, s[16:17], 0, -1, s[16:17]
	v_cmp_ne_u32_e64 s[16:17], 0, v3
	v_mul_u32_u24_e32 v2, 17, v4
	v_xor_b32_e32 v3, s17, v27
	v_add_lshl_u32 v26, v24, v2, 2
	v_mov_b32_e32 v2, 0
	v_and_b32_e32 v27, exec_hi, v3
	v_lshlrev_b32_e32 v3, 30, v4
	v_xor_b32_e32 v5, s16, v5
	v_cmp_gt_i64_e64 s[16:17], 0, v[2:3]
	v_not_b32_e32 v3, v3
	v_ashrrev_i32_e32 v3, 31, v3
	v_and_b32_e32 v5, exec_lo, v5
	v_xor_b32_e32 v28, s17, v3
	v_xor_b32_e32 v3, s16, v3
	v_and_b32_e32 v5, v5, v3
	v_lshlrev_b32_e32 v3, 29, v4
	v_cmp_gt_i64_e64 s[16:17], 0, v[2:3]
	v_not_b32_e32 v3, v3
	v_ashrrev_i32_e32 v3, 31, v3
	v_and_b32_e32 v27, v27, v28
	v_xor_b32_e32 v28, s17, v3
	v_xor_b32_e32 v3, s16, v3
	v_and_b32_e32 v5, v5, v3
	v_lshlrev_b32_e32 v3, 28, v4
	v_cmp_gt_i64_e64 s[16:17], 0, v[2:3]
	v_not_b32_e32 v3, v3
	v_ashrrev_i32_e32 v3, 31, v3
	v_and_b32_e32 v27, v27, v28
	;; [unrolled: 8-line block ×5, first 2 shown]
	v_xor_b32_e32 v28, s17, v3
	v_xor_b32_e32 v3, s16, v3
	v_and_b32_e32 v27, v27, v28
	v_and_b32_e32 v28, v5, v3
	v_lshlrev_b32_e32 v3, 24, v4
	v_cmp_gt_i64_e64 s[16:17], 0, v[2:3]
	v_not_b32_e32 v3, v3
	v_ashrrev_i32_e32 v3, 31, v3
	v_xor_b32_e32 v4, s17, v3
	v_xor_b32_e32 v3, s16, v3
	; wave barrier
	ds_read_b32 v36, v26 offset:64
	v_and_b32_e32 v5, v27, v4
	v_and_b32_e32 v4, v28, v3
	v_mbcnt_lo_u32_b32 v3, v4, 0
	v_mbcnt_hi_u32_b32 v37, v5, v3
	v_cmp_eq_u32_e64 s[16:17], 0, v37
	v_cmp_ne_u64_e64 s[18:19], 0, v[4:5]
	s_and_b64 s[18:19], s[18:19], s[16:17]
	; wave barrier
	s_and_saveexec_b64 s[16:17], s[18:19]
	s_cbranch_execz .LBB304_27
; %bb.26:
	v_bcnt_u32_b32 v3, v4, 0
	v_bcnt_u32_b32 v3, v5, v3
	s_waitcnt lgkmcnt(0)
	v_add_u32_e32 v3, v36, v3
	ds_write_b32 v26, v3 offset:64
.LBB304_27:
	s_or_b64 exec, exec, s[16:17]
	v_lshrrev_b32_sdwa v3, s44, v13 dst_sel:DWORD dst_unused:UNUSED_PAD src0_sel:DWORD src1_sel:BYTE_0
	v_and_b32_e32 v4, s50, v3
	v_mul_u32_u24_e32 v3, 17, v4
	v_add_lshl_u32 v27, v24, v3, 2
	v_and_b32_e32 v3, 1, v4
	v_add_co_u32_e64 v5, s[16:17], -1, v3
	v_addc_co_u32_e64 v28, s[16:17], 0, -1, s[16:17]
	v_cmp_ne_u32_e64 s[16:17], 0, v3
	v_xor_b32_e32 v3, s17, v28
	v_and_b32_e32 v28, exec_hi, v3
	v_lshlrev_b32_e32 v3, 30, v4
	v_xor_b32_e32 v5, s16, v5
	v_cmp_gt_i64_e64 s[16:17], 0, v[2:3]
	v_not_b32_e32 v3, v3
	v_ashrrev_i32_e32 v3, 31, v3
	v_and_b32_e32 v5, exec_lo, v5
	v_xor_b32_e32 v29, s17, v3
	v_xor_b32_e32 v3, s16, v3
	v_and_b32_e32 v5, v5, v3
	v_lshlrev_b32_e32 v3, 29, v4
	v_cmp_gt_i64_e64 s[16:17], 0, v[2:3]
	v_not_b32_e32 v3, v3
	v_ashrrev_i32_e32 v3, 31, v3
	v_and_b32_e32 v28, v28, v29
	v_xor_b32_e32 v29, s17, v3
	v_xor_b32_e32 v3, s16, v3
	v_and_b32_e32 v5, v5, v3
	v_lshlrev_b32_e32 v3, 28, v4
	v_cmp_gt_i64_e64 s[16:17], 0, v[2:3]
	v_not_b32_e32 v3, v3
	v_ashrrev_i32_e32 v3, 31, v3
	v_and_b32_e32 v28, v28, v29
	;; [unrolled: 8-line block ×5, first 2 shown]
	v_xor_b32_e32 v29, s17, v3
	v_xor_b32_e32 v3, s16, v3
	v_and_b32_e32 v5, v5, v3
	v_lshlrev_b32_e32 v3, 24, v4
	v_cmp_gt_i64_e64 s[16:17], 0, v[2:3]
	v_not_b32_e32 v2, v3
	v_ashrrev_i32_e32 v2, 31, v2
	v_xor_b32_e32 v3, s17, v2
	v_xor_b32_e32 v2, s16, v2
	; wave barrier
	ds_read_b32 v38, v27 offset:64
	v_and_b32_e32 v28, v28, v29
	v_and_b32_e32 v2, v5, v2
	;; [unrolled: 1-line block ×3, first 2 shown]
	v_mbcnt_lo_u32_b32 v4, v2, 0
	v_mbcnt_hi_u32_b32 v39, v3, v4
	v_cmp_eq_u32_e64 s[16:17], 0, v39
	v_cmp_ne_u64_e64 s[18:19], 0, v[2:3]
	s_and_b64 s[18:19], s[18:19], s[16:17]
	; wave barrier
	s_and_saveexec_b64 s[16:17], s[18:19]
	s_cbranch_execz .LBB304_29
; %bb.28:
	v_bcnt_u32_b32 v2, v2, 0
	v_bcnt_u32_b32 v2, v3, v2
	s_waitcnt lgkmcnt(0)
	v_add_u32_e32 v2, v38, v2
	ds_write_b32 v27, v2 offset:64
.LBB304_29:
	s_or_b64 exec, exec, s[16:17]
	v_lshrrev_b32_sdwa v2, s44, v18 dst_sel:DWORD dst_unused:UNUSED_PAD src0_sel:DWORD src1_sel:BYTE_0
	v_and_b32_e32 v4, s50, v2
	v_and_b32_e32 v3, 1, v4
	v_add_co_u32_e64 v5, s[16:17], -1, v3
	v_addc_co_u32_e64 v29, s[16:17], 0, -1, s[16:17]
	v_cmp_ne_u32_e64 s[16:17], 0, v3
	v_mul_u32_u24_e32 v2, 17, v4
	v_xor_b32_e32 v3, s17, v29
	v_add_lshl_u32 v28, v24, v2, 2
	v_mov_b32_e32 v2, 0
	v_and_b32_e32 v29, exec_hi, v3
	v_lshlrev_b32_e32 v3, 30, v4
	v_xor_b32_e32 v5, s16, v5
	v_cmp_gt_i64_e64 s[16:17], 0, v[2:3]
	v_not_b32_e32 v3, v3
	v_ashrrev_i32_e32 v3, 31, v3
	v_and_b32_e32 v5, exec_lo, v5
	v_xor_b32_e32 v41, s17, v3
	v_xor_b32_e32 v3, s16, v3
	v_and_b32_e32 v5, v5, v3
	v_lshlrev_b32_e32 v3, 29, v4
	v_cmp_gt_i64_e64 s[16:17], 0, v[2:3]
	v_not_b32_e32 v3, v3
	v_ashrrev_i32_e32 v3, 31, v3
	v_and_b32_e32 v29, v29, v41
	v_xor_b32_e32 v41, s17, v3
	v_xor_b32_e32 v3, s16, v3
	v_and_b32_e32 v5, v5, v3
	v_lshlrev_b32_e32 v3, 28, v4
	v_cmp_gt_i64_e64 s[16:17], 0, v[2:3]
	v_not_b32_e32 v3, v3
	v_ashrrev_i32_e32 v3, 31, v3
	v_and_b32_e32 v29, v29, v41
	;; [unrolled: 8-line block ×5, first 2 shown]
	v_xor_b32_e32 v41, s17, v3
	v_xor_b32_e32 v3, s16, v3
	v_and_b32_e32 v29, v29, v41
	v_and_b32_e32 v41, v5, v3
	v_lshlrev_b32_e32 v3, 24, v4
	v_cmp_gt_i64_e64 s[16:17], 0, v[2:3]
	v_not_b32_e32 v3, v3
	v_ashrrev_i32_e32 v3, 31, v3
	v_xor_b32_e32 v4, s17, v3
	v_xor_b32_e32 v3, s16, v3
	; wave barrier
	ds_read_b32 v40, v28 offset:64
	v_and_b32_e32 v5, v29, v4
	v_and_b32_e32 v4, v41, v3
	v_mbcnt_lo_u32_b32 v3, v4, 0
	v_mbcnt_hi_u32_b32 v41, v5, v3
	v_cmp_eq_u32_e64 s[16:17], 0, v41
	v_cmp_ne_u64_e64 s[18:19], 0, v[4:5]
	s_and_b64 s[18:19], s[18:19], s[16:17]
	; wave barrier
	s_and_saveexec_b64 s[16:17], s[18:19]
	s_cbranch_execz .LBB304_31
; %bb.30:
	v_bcnt_u32_b32 v3, v4, 0
	v_bcnt_u32_b32 v3, v5, v3
	s_waitcnt lgkmcnt(0)
	v_add_u32_e32 v3, v40, v3
	ds_write_b32 v28, v3 offset:64
.LBB304_31:
	s_or_b64 exec, exec, s[16:17]
	v_lshrrev_b32_sdwa v3, s44, v17 dst_sel:DWORD dst_unused:UNUSED_PAD src0_sel:DWORD src1_sel:BYTE_0
	v_and_b32_e32 v4, s50, v3
	v_mul_u32_u24_e32 v3, 17, v4
	v_add_lshl_u32 v29, v24, v3, 2
	v_and_b32_e32 v3, 1, v4
	v_add_co_u32_e64 v5, s[16:17], -1, v3
	v_addc_co_u32_e64 v24, s[16:17], 0, -1, s[16:17]
	v_cmp_ne_u32_e64 s[16:17], 0, v3
	v_xor_b32_e32 v3, s17, v24
	v_and_b32_e32 v24, exec_hi, v3
	v_lshlrev_b32_e32 v3, 30, v4
	v_xor_b32_e32 v5, s16, v5
	v_cmp_gt_i64_e64 s[16:17], 0, v[2:3]
	v_not_b32_e32 v3, v3
	v_ashrrev_i32_e32 v3, 31, v3
	v_and_b32_e32 v5, exec_lo, v5
	v_xor_b32_e32 v44, s17, v3
	v_xor_b32_e32 v3, s16, v3
	v_and_b32_e32 v5, v5, v3
	v_lshlrev_b32_e32 v3, 29, v4
	v_cmp_gt_i64_e64 s[16:17], 0, v[2:3]
	v_not_b32_e32 v3, v3
	v_ashrrev_i32_e32 v3, 31, v3
	v_and_b32_e32 v24, v24, v44
	v_xor_b32_e32 v44, s17, v3
	v_xor_b32_e32 v3, s16, v3
	v_and_b32_e32 v5, v5, v3
	v_lshlrev_b32_e32 v3, 28, v4
	v_cmp_gt_i64_e64 s[16:17], 0, v[2:3]
	v_not_b32_e32 v3, v3
	v_ashrrev_i32_e32 v3, 31, v3
	v_and_b32_e32 v24, v24, v44
	;; [unrolled: 8-line block ×5, first 2 shown]
	v_xor_b32_e32 v44, s17, v3
	v_xor_b32_e32 v3, s16, v3
	v_and_b32_e32 v5, v5, v3
	v_lshlrev_b32_e32 v3, 24, v4
	v_cmp_gt_i64_e64 s[16:17], 0, v[2:3]
	v_not_b32_e32 v2, v3
	v_ashrrev_i32_e32 v2, 31, v2
	v_xor_b32_e32 v3, s17, v2
	v_xor_b32_e32 v2, s16, v2
	; wave barrier
	ds_read_b32 v42, v29 offset:64
	v_and_b32_e32 v24, v24, v44
	v_and_b32_e32 v2, v5, v2
	;; [unrolled: 1-line block ×3, first 2 shown]
	v_mbcnt_lo_u32_b32 v4, v2, 0
	v_mbcnt_hi_u32_b32 v45, v3, v4
	v_cmp_eq_u32_e64 s[16:17], 0, v45
	v_cmp_ne_u64_e64 s[18:19], 0, v[2:3]
	v_add_u32_e32 v43, 64, v19
	s_and_b64 s[18:19], s[18:19], s[16:17]
	; wave barrier
	s_and_saveexec_b64 s[16:17], s[18:19]
	s_cbranch_execz .LBB304_33
; %bb.32:
	v_bcnt_u32_b32 v2, v2, 0
	v_bcnt_u32_b32 v2, v3, v2
	s_waitcnt lgkmcnt(0)
	v_add_u32_e32 v2, v42, v2
	ds_write_b32 v29, v2 offset:64
.LBB304_33:
	s_or_b64 exec, exec, s[16:17]
	; wave barrier
	s_waitcnt lgkmcnt(0)
	s_barrier
	ds_read2_b32 v[4:5], v19 offset0:16 offset1:17
	ds_read2_b32 v[2:3], v43 offset0:2 offset1:3
	ds_read_b32 v24, v43 offset:16
	v_cmp_lt_u32_e64 s[26:27], 31, v15
	s_waitcnt lgkmcnt(1)
	v_add3_u32 v44, v5, v4, v2
	s_waitcnt lgkmcnt(0)
	v_add3_u32 v24, v44, v3, v24
	v_and_b32_e32 v44, 15, v15
	v_cmp_eq_u32_e64 s[16:17], 0, v44
	v_mov_b32_dpp v46, v24 row_shr:1 row_mask:0xf bank_mask:0xf
	v_cndmask_b32_e64 v46, v46, 0, s[16:17]
	v_add_u32_e32 v24, v46, v24
	v_cmp_lt_u32_e64 s[18:19], 1, v44
	v_cmp_lt_u32_e64 s[20:21], 3, v44
	v_mov_b32_dpp v46, v24 row_shr:2 row_mask:0xf bank_mask:0xf
	v_cndmask_b32_e64 v46, 0, v46, s[18:19]
	v_add_u32_e32 v24, v24, v46
	v_cmp_lt_u32_e64 s[22:23], 7, v44
	s_nop 0
	v_mov_b32_dpp v46, v24 row_shr:4 row_mask:0xf bank_mask:0xf
	v_cndmask_b32_e64 v46, 0, v46, s[20:21]
	v_add_u32_e32 v24, v24, v46
	s_nop 1
	v_mov_b32_dpp v46, v24 row_shr:8 row_mask:0xf bank_mask:0xf
	v_cndmask_b32_e64 v44, 0, v46, s[22:23]
	v_add_u32_e32 v24, v24, v44
	v_bfe_i32 v46, v15, 4, 1
	s_nop 0
	v_mov_b32_dpp v44, v24 row_bcast:15 row_mask:0xf bank_mask:0xf
	v_and_b32_e32 v44, v46, v44
	v_add_u32_e32 v24, v24, v44
	v_lshrrev_b32_e32 v46, 6, v10
	s_nop 0
	v_mov_b32_dpp v44, v24 row_bcast:31 row_mask:0xf bank_mask:0xf
	v_cndmask_b32_e64 v44, 0, v44, s[26:27]
	v_add_u32_e32 v44, v24, v44
	v_and_b32_e32 v24, 63, v10
	v_cmp_eq_u32_e64 s[26:27], 63, v24
	s_and_saveexec_b64 s[48:49], s[26:27]
	s_cbranch_execz .LBB304_35
; %bb.34:
	v_lshlrev_b32_e32 v24, 2, v46
	ds_write_b32 v24, v44
.LBB304_35:
	s_or_b64 exec, exec, s[48:49]
	v_cmp_gt_u32_e64 s[26:27], 16, v10
	v_lshlrev_b32_e32 v24, 2, v10
	s_waitcnt lgkmcnt(0)
	s_barrier
	s_and_saveexec_b64 s[48:49], s[26:27]
	s_cbranch_execz .LBB304_37
; %bb.36:
	ds_read_b32 v47, v24
	s_waitcnt lgkmcnt(0)
	s_nop 0
	v_mov_b32_dpp v48, v47 row_shr:1 row_mask:0xf bank_mask:0xf
	v_cndmask_b32_e64 v48, v48, 0, s[16:17]
	v_add_u32_e32 v47, v48, v47
	s_nop 1
	v_mov_b32_dpp v48, v47 row_shr:2 row_mask:0xf bank_mask:0xf
	v_cndmask_b32_e64 v48, 0, v48, s[18:19]
	v_add_u32_e32 v47, v47, v48
	s_nop 1
	v_mov_b32_dpp v48, v47 row_shr:4 row_mask:0xf bank_mask:0xf
	v_cndmask_b32_e64 v48, 0, v48, s[20:21]
	v_add_u32_e32 v47, v47, v48
	s_nop 1
	v_mov_b32_dpp v48, v47 row_shr:8 row_mask:0xf bank_mask:0xf
	v_cndmask_b32_e64 v48, 0, v48, s[22:23]
	v_add_u32_e32 v47, v47, v48
	ds_write_b32 v24, v47
.LBB304_37:
	s_or_b64 exec, exec, s[48:49]
	v_cmp_lt_u32_e64 s[16:17], 63, v10
	v_mov_b32_e32 v47, 0
	s_waitcnt lgkmcnt(0)
	s_barrier
	s_and_saveexec_b64 s[18:19], s[16:17]
	s_cbranch_execz .LBB304_39
; %bb.38:
	v_lshl_add_u32 v46, v46, 2, -4
	ds_read_b32 v47, v46
.LBB304_39:
	s_or_b64 exec, exec, s[18:19]
	v_add_u32_e32 v46, -1, v15
	v_and_b32_e32 v48, 64, v15
	v_cmp_lt_i32_e64 s[16:17], v46, v48
	v_cndmask_b32_e64 v46, v46, v15, s[16:17]
	s_waitcnt lgkmcnt(0)
	v_add_u32_e32 v44, v47, v44
	v_lshlrev_b32_e32 v46, 2, v46
	ds_bpermute_b32 v44, v46, v44
	v_cmp_eq_u32_e64 s[16:17], 0, v15
	s_waitcnt lgkmcnt(0)
	v_cndmask_b32_e64 v15, v44, v47, s[16:17]
	v_cmp_ne_u32_e64 s[16:17], 0, v10
	v_cndmask_b32_e64 v15, 0, v15, s[16:17]
	v_add_u32_e32 v4, v15, v4
	v_add_u32_e32 v5, v4, v5
	;; [unrolled: 1-line block ×4, first 2 shown]
	ds_write2_b32 v19, v15, v4 offset0:16 offset1:17
	ds_write2_b32 v43, v5, v2 offset0:2 offset1:3
	ds_write_b32 v43, v3 offset:16
	s_waitcnt lgkmcnt(0)
	s_barrier
	ds_read_b32 v2, v21 offset:64
	ds_read_b32 v47, v22 offset:64
	;; [unrolled: 1-line block ×8, first 2 shown]
	s_movk_i32 s16, 0x100
	v_cmp_gt_u32_e64 s[16:17], s16, v10
                                        ; implicit-def: $vgpr43
                                        ; implicit-def: $vgpr44
	s_and_saveexec_b64 s[20:21], s[16:17]
	s_cbranch_execz .LBB304_43
; %bb.40:
	v_mul_u32_u24_e32 v3, 17, v10
	v_lshlrev_b32_e32 v4, 2, v3
	ds_read_b32 v43, v4 offset:64
	s_movk_i32 s18, 0xff
	v_cmp_ne_u32_e64 s[18:19], s18, v10
	v_mov_b32_e32 v3, 0x2000
	s_and_saveexec_b64 s[22:23], s[18:19]
	s_cbranch_execz .LBB304_42
; %bb.41:
	ds_read_b32 v3, v4 offset:132
.LBB304_42:
	s_or_b64 exec, exec, s[22:23]
	s_waitcnt lgkmcnt(0)
	v_sub_u32_e32 v44, v3, v43
.LBB304_43:
	s_or_b64 exec, exec, s[20:21]
	s_waitcnt lgkmcnt(7)
	v_add_u32_e32 v46, v2, v20
	s_waitcnt lgkmcnt(6)
	v_add3_u32 v2, v31, v30, v47
	s_waitcnt lgkmcnt(5)
	v_add3_u32 v3, v33, v32, v48
	;; [unrolled: 2-line block ×7, first 2 shown]
	s_barrier
	ds_write_b8 v46, v7 offset:1024
	ds_write_b8 v2, v6 offset:1024
	;; [unrolled: 1-line block ×8, first 2 shown]
	s_and_saveexec_b64 s[20:21], s[16:17]
	s_cbranch_execz .LBB304_53
; %bb.44:
	v_lshl_or_b32 v2, s6, 8, v10
	v_mov_b32_e32 v3, 0
	v_lshlrev_b64 v[4:5], 2, v[2:3]
	v_mov_b32_e32 v8, s35
	v_add_co_u32_e64 v4, s[18:19], s34, v4
	v_addc_co_u32_e64 v5, s[18:19], v8, v5, s[18:19]
	v_or_b32_e32 v2, 2.0, v44
	s_mov_b64 s[22:23], 0
	s_brev_b32 s51, 1
	s_mov_b32 s52, s6
	v_mov_b32_e32 v9, 0
	global_store_dword v[4:5], v2, off
                                        ; implicit-def: $sgpr18_sgpr19
	s_branch .LBB304_46
.LBB304_45:                             ;   in Loop: Header=BB304_46 Depth=1
	s_or_b64 exec, exec, s[26:27]
	v_and_b32_e32 v6, 0x3fffffff, v13
	v_add_u32_e32 v9, v6, v9
	v_cmp_eq_u32_e64 s[18:19], s51, v2
	s_and_b64 s[26:27], exec, s[18:19]
	s_or_b64 s[22:23], s[26:27], s[22:23]
	s_andn2_b64 exec, exec, s[22:23]
	s_cbranch_execz .LBB304_52
.LBB304_46:                             ; =>This Loop Header: Depth=1
                                        ;     Child Loop BB304_49 Depth 2
	s_or_b64 s[18:19], s[18:19], exec
	s_cmp_eq_u32 s52, 0
	s_cbranch_scc1 .LBB304_51
; %bb.47:                               ;   in Loop: Header=BB304_46 Depth=1
	s_add_i32 s52, s52, -1
	v_lshl_or_b32 v2, s52, 8, v10
	v_lshlrev_b64 v[6:7], 2, v[2:3]
	v_add_co_u32_e64 v6, s[18:19], s34, v6
	v_addc_co_u32_e64 v7, s[18:19], v8, v7, s[18:19]
	global_load_dword v13, v[6:7], off glc
	s_waitcnt vmcnt(0)
	v_and_b32_e32 v2, -2.0, v13
	v_cmp_eq_u32_e64 s[18:19], 0, v2
	s_and_saveexec_b64 s[26:27], s[18:19]
	s_cbranch_execz .LBB304_45
; %bb.48:                               ;   in Loop: Header=BB304_46 Depth=1
	s_mov_b64 s[48:49], 0
.LBB304_49:                             ;   Parent Loop BB304_46 Depth=1
                                        ; =>  This Inner Loop Header: Depth=2
	global_load_dword v13, v[6:7], off glc
	s_waitcnt vmcnt(0)
	v_and_b32_e32 v2, -2.0, v13
	v_cmp_ne_u32_e64 s[18:19], 0, v2
	s_or_b64 s[48:49], s[18:19], s[48:49]
	s_andn2_b64 exec, exec, s[48:49]
	s_cbranch_execnz .LBB304_49
; %bb.50:                               ;   in Loop: Header=BB304_46 Depth=1
	s_or_b64 exec, exec, s[48:49]
	s_branch .LBB304_45
.LBB304_51:                             ;   in Loop: Header=BB304_46 Depth=1
                                        ; implicit-def: $sgpr52
	s_and_b64 s[26:27], exec, s[18:19]
	s_or_b64 s[22:23], s[26:27], s[22:23]
	s_andn2_b64 exec, exec, s[22:23]
	s_cbranch_execnz .LBB304_46
.LBB304_52:
	s_or_b64 exec, exec, s[22:23]
	v_add_u32_e32 v2, v9, v44
	v_or_b32_e32 v2, 0x80000000, v2
	global_store_dword v[4:5], v2, off
	global_load_dword v2, v24, s[28:29]
	v_sub_u32_e32 v3, v9, v43
	s_waitcnt vmcnt(0)
	v_add_u32_e32 v2, v3, v2
	ds_write_b32 v24, v2
.LBB304_53:
	s_or_b64 exec, exec, s[20:21]
	v_cmp_gt_u32_e64 s[18:19], s7, v10
	s_waitcnt lgkmcnt(0)
	s_barrier
	s_waitcnt lgkmcnt(0)
                                        ; implicit-def: $vgpr2_vgpr3_vgpr4_vgpr5_vgpr6_vgpr7_vgpr8_vgpr9
	s_and_saveexec_b64 s[20:21], s[18:19]
	s_cbranch_execz .LBB304_55
; %bb.54:
	ds_read_u8 v3, v10 offset:1024
	s_waitcnt lgkmcnt(0)
	v_lshrrev_b32_sdwa v2, s44, v3 dst_sel:DWORD dst_unused:UNUSED_PAD src0_sel:DWORD src1_sel:BYTE_0
	v_and_b32_e32 v2, s50, v2
	v_lshlrev_b32_e32 v4, 2, v2
	ds_read_b32 v4, v4
	s_waitcnt lgkmcnt(0)
	v_add_u32_e32 v4, v4, v10
	global_store_byte v4, v3, s[38:39]
.LBB304_55:
	s_or_b64 exec, exec, s[20:21]
	v_or_b32_e32 v13, 0x400, v10
	v_cmp_gt_u32_e64 s[18:19], s7, v13
	s_and_saveexec_b64 s[20:21], s[18:19]
	s_cbranch_execz .LBB304_57
; %bb.56:
	ds_read_u8 v15, v10 offset:2048
	s_waitcnt lgkmcnt(0)
	v_lshrrev_b32_sdwa v3, s44, v15 dst_sel:DWORD dst_unused:UNUSED_PAD src0_sel:DWORD src1_sel:BYTE_0
	v_and_b32_e32 v3, s50, v3
	v_lshlrev_b32_e32 v16, 2, v3
	ds_read_b32 v16, v16
	s_waitcnt lgkmcnt(0)
	v_add_u32_e32 v13, v16, v13
	global_store_byte v13, v15, s[38:39]
.LBB304_57:
	s_or_b64 exec, exec, s[20:21]
	v_or_b32_e32 v13, 0x800, v10
	v_cmp_gt_u32_e64 s[18:19], s7, v13
	;; [unrolled: 16-line block ×7, first 2 shown]
	s_and_saveexec_b64 s[20:21], s[18:19]
	s_cbranch_execz .LBB304_69
; %bb.68:
	ds_read_u8 v15, v10 offset:8192
	s_waitcnt lgkmcnt(0)
	v_lshrrev_b32_sdwa v9, s44, v15 dst_sel:DWORD dst_unused:UNUSED_PAD src0_sel:DWORD src1_sel:BYTE_0
	v_and_b32_e32 v9, s50, v9
	v_lshlrev_b32_e32 v16, 2, v9
	ds_read_b32 v16, v16
	s_waitcnt lgkmcnt(0)
	v_add_u32_e32 v13, v16, v13
	global_store_byte v13, v15, s[38:39]
.LBB304_69:
	s_or_b64 exec, exec, s[20:21]
	s_lshl_b64 s[18:19], s[46:47], 3
	s_add_u32 s18, s40, s18
	s_addc_u32 s19, s41, s19
	v_lshlrev_b32_e32 v13, 3, v14
	v_mov_b32_e32 v14, s19
	v_add_co_u32_e64 v13, s[18:19], s18, v13
	v_addc_co_u32_e64 v14, s[18:19], 0, v14, s[18:19]
	v_lshlrev_b32_e32 v12, 3, v12
	v_add_co_u32_e64 v28, s[18:19], v13, v12
	v_addc_co_u32_e64 v29, s[18:19], 0, v14, s[18:19]
                                        ; implicit-def: $vgpr12_vgpr13
	s_and_saveexec_b64 s[18:19], vcc
	s_xor_b64 s[18:19], exec, s[18:19]
	s_cbranch_execnz .LBB304_134
; %bb.70:
	s_or_b64 exec, exec, s[18:19]
                                        ; implicit-def: $vgpr14_vgpr15
	s_and_saveexec_b64 s[18:19], s[0:1]
	s_cbranch_execnz .LBB304_135
.LBB304_71:
	s_or_b64 exec, exec, s[18:19]
                                        ; implicit-def: $vgpr16_vgpr17
	s_and_saveexec_b64 s[0:1], s[2:3]
	s_cbranch_execnz .LBB304_136
.LBB304_72:
	s_or_b64 exec, exec, s[0:1]
                                        ; implicit-def: $vgpr18_vgpr19
	s_and_saveexec_b64 s[0:1], s[24:25]
	s_cbranch_execnz .LBB304_137
.LBB304_73:
	s_or_b64 exec, exec, s[0:1]
                                        ; implicit-def: $vgpr20_vgpr21
	s_and_saveexec_b64 s[0:1], s[8:9]
	s_cbranch_execnz .LBB304_138
.LBB304_74:
	s_or_b64 exec, exec, s[0:1]
                                        ; implicit-def: $vgpr22_vgpr23
	s_and_saveexec_b64 s[0:1], s[10:11]
	s_cbranch_execnz .LBB304_139
.LBB304_75:
	s_or_b64 exec, exec, s[0:1]
                                        ; implicit-def: $vgpr24_vgpr25
	s_and_saveexec_b64 s[0:1], s[12:13]
	s_cbranch_execnz .LBB304_140
.LBB304_76:
	s_or_b64 exec, exec, s[0:1]
                                        ; implicit-def: $vgpr26_vgpr27
	s_and_saveexec_b64 s[0:1], s[14:15]
	s_cbranch_execz .LBB304_78
.LBB304_77:
	global_load_dwordx2 v[26:27], v[28:29], off offset:3584
.LBB304_78:
	s_or_b64 exec, exec, s[0:1]
	s_movk_i32 s2, 0x400
	v_add_u32_e32 v54, 0x400, v11
	v_add3_u32 v42, v45, v53, v42
	v_add3_u32 v40, v41, v52, v40
	;; [unrolled: 1-line block ×7, first 2 shown]
	s_mov_b32 s3, 0
	v_mov_b32_e32 v29, 0
	s_mov_b32 s8, 0
	v_mov_b32_e32 v31, v10
	s_barrier
	s_waitcnt vmcnt(0)
	s_branch .LBB304_80
.LBB304_79:                             ;   in Loop: Header=BB304_80 Depth=1
	s_or_b64 exec, exec, s[0:1]
	s_addk_i32 s8, 0xf800
	s_add_i32 s3, s3, 2
	s_cmpk_eq_i32 s8, 0xe000
	v_add_u32_e32 v31, 0x800, v31
	s_barrier
	s_cbranch_scc1 .LBB304_85
.LBB304_80:                             ; =>This Inner Loop Header: Depth=1
	v_add_u32_e32 v28, s8, v46
	v_min_u32_e32 v28, 0x800, v28
	v_lshlrev_b32_e32 v28, 3, v28
	ds_write_b64 v28, v[12:13] offset:1024
	v_add_u32_e32 v28, s8, v30
	v_min_u32_e32 v28, 0x800, v28
	v_lshlrev_b32_e32 v28, 3, v28
	ds_write_b64 v28, v[14:15] offset:1024
	;; [unrolled: 4-line block ×7, first 2 shown]
	v_add_u32_e32 v28, s8, v42
	v_min_u32_e32 v28, 0x800, v28
	v_lshlrev_b32_e32 v28, 3, v28
	v_cmp_gt_u32_e32 vcc, s7, v31
	ds_write_b64 v28, v[26:27] offset:1024
	s_waitcnt lgkmcnt(0)
	s_barrier
	s_and_saveexec_b64 s[0:1], vcc
	s_cbranch_execz .LBB304_82
; %bb.81:                               ;   in Loop: Header=BB304_80 Depth=1
	s_cmp_eq_u32 s3, 1
	s_cselect_b64 vcc, -1, 0
	s_cmp_eq_u32 s3, 2
	v_cndmask_b32_e32 v28, v2, v3, vcc
	s_cselect_b64 vcc, -1, 0
	s_cmp_eq_u32 s3, 3
	v_cndmask_b32_e32 v28, v28, v4, vcc
	s_cselect_b64 vcc, -1, 0
	s_cmp_eq_u32 s3, 4
	v_cndmask_b32_e32 v28, v28, v5, vcc
	s_cselect_b64 vcc, -1, 0
	s_cmp_eq_u32 s3, 5
	v_cndmask_b32_e32 v28, v28, v6, vcc
	s_cselect_b64 vcc, -1, 0
	s_cmp_eq_u32 s3, 6
	v_cndmask_b32_e32 v28, v28, v7, vcc
	s_cselect_b64 vcc, -1, 0
	s_cmp_eq_u32 s3, 7
	v_cndmask_b32_e32 v28, v28, v8, vcc
	s_cselect_b64 vcc, -1, 0
	v_cndmask_b32_e32 v28, v28, v9, vcc
	v_lshlrev_b32_e32 v28, 2, v28
	ds_read_b32 v28, v28
	ds_read_b64 v[48:49], v11 offset:1024
	s_waitcnt lgkmcnt(1)
	v_add_u32_e32 v28, v31, v28
	v_lshlrev_b64 v[50:51], 3, v[28:29]
	v_mov_b32_e32 v28, s43
	v_add_co_u32_e32 v50, vcc, s42, v50
	v_addc_co_u32_e32 v51, vcc, v28, v51, vcc
	s_waitcnt lgkmcnt(0)
	global_store_dwordx2 v[50:51], v[48:49], off
.LBB304_82:                             ;   in Loop: Header=BB304_80 Depth=1
	s_or_b64 exec, exec, s[0:1]
	v_add_u32_e32 v28, 0x400, v31
	v_cmp_gt_u32_e32 vcc, s7, v28
	s_and_saveexec_b64 s[0:1], vcc
	s_cbranch_execz .LBB304_79
; %bb.83:                               ;   in Loop: Header=BB304_80 Depth=1
	s_add_i32 s9, s3, 1
	s_cmp_eq_u32 s9, 1
	s_cselect_b64 vcc, -1, 0
	s_cmp_eq_u32 s9, 2
	v_cndmask_b32_e32 v28, v2, v3, vcc
	s_cselect_b64 vcc, -1, 0
	s_cmp_eq_u32 s9, 3
	v_cndmask_b32_e32 v28, v28, v4, vcc
	;; [unrolled: 3-line block ×6, first 2 shown]
	s_cselect_b64 vcc, -1, 0
	v_cndmask_b32_e32 v28, v28, v9, vcc
	v_lshlrev_b32_e32 v28, 2, v28
	ds_read_b32 v28, v28
	ds_read_b64 v[48:49], v54 offset:8192
	s_waitcnt lgkmcnt(1)
	v_add3_u32 v28, v31, v28, s2
	v_lshlrev_b64 v[50:51], 3, v[28:29]
	v_mov_b32_e32 v28, s43
	v_add_co_u32_e32 v50, vcc, s42, v50
	v_addc_co_u32_e32 v51, vcc, v28, v51, vcc
	s_waitcnt lgkmcnt(0)
	global_store_dwordx2 v[50:51], v[48:49], off
	s_branch .LBB304_79
.LBB304_84:
	s_mov_b64 s[10:11], 0
                                        ; implicit-def: $vgpr2
                                        ; implicit-def: $vgpr10_vgpr11
	s_cbranch_execnz .LBB304_88
	s_branch .LBB304_131
.LBB304_85:
	s_add_i32 s33, s33, -1
	s_cmp_eq_u32 s33, s6
	s_cselect_b64 s[0:1], -1, 0
	s_and_b64 s[2:3], s[16:17], s[0:1]
	s_mov_b64 s[0:1], 0
	s_mov_b64 s[10:11], 0
                                        ; implicit-def: $vgpr2
	s_and_saveexec_b64 s[8:9], s[2:3]
	s_xor_b64 s[2:3], exec, s[8:9]
; %bb.86:
	s_mov_b64 s[10:11], exec
	v_mov_b32_e32 v11, 0
	v_add_u32_e32 v2, v43, v44
; %bb.87:
	s_or_b64 exec, exec, s[2:3]
	s_and_b64 vcc, exec, s[0:1]
	s_cbranch_vccz .LBB304_131
.LBB304_88:
	s_lshl_b32 s12, s6, 13
	v_and_b32_e32 v8, 0x3ff, v0
	s_add_u32 s0, s36, s12
	v_mbcnt_hi_u32_b32 v18, -1, v1
	s_addc_u32 s1, s37, 0
	v_and_b32_e32 v12, 63, v18
	v_lshlrev_b32_e32 v1, 3, v8
	v_and_b32_e32 v14, 0x1e00, v1
	v_mov_b32_e32 v1, s1
	v_add_co_u32_e32 v2, vcc, s0, v12
	v_addc_co_u32_e32 v1, vcc, 0, v1, vcc
	v_add_co_u32_e32 v22, vcc, v2, v14
	v_addc_co_u32_e32 v23, vcc, 0, v1, vcc
	global_load_ubyte v4, v[22:23], off
	s_load_dword s0, s[4:5], 0x64
	s_load_dword s7, s[4:5], 0x58
	s_add_u32 s1, s4, 0x58
	s_addc_u32 s2, s5, 0
	v_mov_b32_e32 v2, 0
	s_waitcnt lgkmcnt(0)
	s_lshr_b32 s3, s0, 16
	s_cmp_lt_u32 s6, s7
	s_cselect_b32 s0, 12, 18
	s_add_u32 s0, s1, s0
	s_addc_u32 s1, s2, 0
	global_load_ushort v1, v2, s[0:1]
	v_mul_u32_u24_e32 v5, 5, v8
	v_lshlrev_b32_e32 v20, 2, v5
	ds_write2_b32 v20, v2, v2 offset0:16 offset1:17
	ds_write2_b32 v20, v2, v2 offset0:18 offset1:19
	ds_write_b32 v20, v2 offset:80
	global_load_ubyte v5, v[22:23], off offset:64
	global_load_ubyte v6, v[22:23], off offset:128
	;; [unrolled: 1-line block ×7, first 2 shown]
	v_bfe_u32 v3, v0, 10, 10
	v_bfe_u32 v0, v0, 20, 10
	s_lshl_b32 s0, -1, s45
	v_mad_u32_u24 v0, v0, s3, v3
	s_not_b32 s16, s0
	s_mov_b32 s13, 0
	s_waitcnt lgkmcnt(0)
	s_barrier
	s_waitcnt lgkmcnt(0)
	; wave barrier
	s_waitcnt vmcnt(8)
	v_lshrrev_b32_sdwa v3, s44, v4 dst_sel:DWORD dst_unused:UNUSED_PAD src0_sel:DWORD src1_sel:BYTE_0
	v_and_b32_e32 v13, s16, v3
	v_and_b32_e32 v16, 1, v13
	v_add_co_u32_e32 v19, vcc, -1, v16
	v_lshlrev_b32_e32 v3, 30, v13
	v_addc_co_u32_e64 v21, s[0:1], 0, -1, vcc
	v_cmp_ne_u32_e32 vcc, 0, v16
	v_cmp_gt_i64_e64 s[0:1], 0, v[2:3]
	v_not_b32_e32 v16, v3
	v_lshlrev_b32_e32 v3, 29, v13
	s_waitcnt vmcnt(3)
	v_mad_u64_u32 v[0:1], s[2:3], v0, v1, v[8:9]
	v_xor_b32_e32 v1, vcc_hi, v21
	v_xor_b32_e32 v19, vcc_lo, v19
	v_ashrrev_i32_e32 v16, 31, v16
	v_cmp_gt_i64_e32 vcc, 0, v[2:3]
	v_not_b32_e32 v21, v3
	v_lshlrev_b32_e32 v3, 28, v13
	v_mul_u32_u24_e32 v15, 17, v13
	v_lshrrev_b32_e32 v30, 6, v0
	v_and_b32_e32 v0, exec_hi, v1
	v_and_b32_e32 v1, exec_lo, v19
	v_xor_b32_e32 v19, s1, v16
	v_xor_b32_e32 v16, s0, v16
	v_ashrrev_i32_e32 v21, 31, v21
	v_cmp_gt_i64_e64 s[0:1], 0, v[2:3]
	v_not_b32_e32 v23, v3
	v_lshlrev_b32_e32 v3, 27, v13
	v_add_lshl_u32 v22, v30, v15, 2
	v_and_b32_e32 v0, v0, v19
	v_and_b32_e32 v1, v1, v16
	v_xor_b32_e32 v15, vcc_hi, v21
	v_xor_b32_e32 v16, vcc_lo, v21
	v_ashrrev_i32_e32 v19, 31, v23
	v_cmp_gt_i64_e32 vcc, 0, v[2:3]
	v_not_b32_e32 v3, v3
	v_and_b32_e32 v0, v0, v15
	v_and_b32_e32 v1, v1, v16
	v_xor_b32_e32 v15, s1, v19
	v_xor_b32_e32 v16, s0, v19
	v_ashrrev_i32_e32 v3, 31, v3
	v_and_b32_e32 v0, v0, v15
	v_and_b32_e32 v1, v1, v16
	v_xor_b32_e32 v15, vcc_hi, v3
	v_xor_b32_e32 v3, vcc_lo, v3
	v_and_b32_e32 v1, v1, v3
	v_lshlrev_b32_e32 v3, 26, v13
	v_cmp_gt_i64_e32 vcc, 0, v[2:3]
	v_not_b32_e32 v3, v3
	v_ashrrev_i32_e32 v3, 31, v3
	v_and_b32_e32 v0, v0, v15
	v_xor_b32_e32 v15, vcc_hi, v3
	v_xor_b32_e32 v3, vcc_lo, v3
	v_and_b32_e32 v1, v1, v3
	v_lshlrev_b32_e32 v3, 25, v13
	v_cmp_gt_i64_e32 vcc, 0, v[2:3]
	v_not_b32_e32 v3, v3
	v_ashrrev_i32_e32 v3, 31, v3
	v_and_b32_e32 v0, v0, v15
	v_xor_b32_e32 v15, vcc_hi, v3
	v_xor_b32_e32 v3, vcc_lo, v3
	v_and_b32_e32 v0, v0, v15
	v_and_b32_e32 v15, v1, v3
	v_lshlrev_b32_e32 v3, 24, v13
	v_not_b32_e32 v1, v3
	v_cmp_gt_i64_e32 vcc, 0, v[2:3]
	v_ashrrev_i32_e32 v1, 31, v1
	v_xor_b32_e32 v3, vcc_hi, v1
	v_xor_b32_e32 v13, vcc_lo, v1
	v_and_b32_e32 v1, v0, v3
	v_and_b32_e32 v0, v15, v13
	v_mbcnt_lo_u32_b32 v3, v0, 0
	v_mbcnt_hi_u32_b32 v23, v1, v3
	v_cmp_eq_u32_e32 vcc, 0, v23
	v_cmp_ne_u64_e64 s[0:1], 0, v[0:1]
	s_and_b64 s[2:3], s[0:1], vcc
	s_and_saveexec_b64 s[0:1], s[2:3]
	s_cbranch_execz .LBB304_90
; %bb.89:
	v_bcnt_u32_b32 v0, v0, 0
	v_bcnt_u32_b32 v0, v1, v0
	ds_write_b32 v22, v0 offset:64
.LBB304_90:
	s_or_b64 exec, exec, s[0:1]
	v_lshrrev_b32_sdwa v0, s44, v5 dst_sel:DWORD dst_unused:UNUSED_PAD src0_sel:DWORD src1_sel:BYTE_0
	v_and_b32_e32 v0, s16, v0
	v_mul_u32_u24_e32 v1, 17, v0
	v_add_lshl_u32 v26, v30, v1, 2
	v_and_b32_e32 v1, 1, v0
	v_add_co_u32_e32 v3, vcc, -1, v1
	v_addc_co_u32_e64 v15, s[0:1], 0, -1, vcc
	v_cmp_ne_u32_e32 vcc, 0, v1
	v_xor_b32_e32 v3, vcc_lo, v3
	v_xor_b32_e32 v1, vcc_hi, v15
	v_and_b32_e32 v15, exec_lo, v3
	v_lshlrev_b32_e32 v3, 30, v0
	v_cmp_gt_i64_e32 vcc, 0, v[2:3]
	v_not_b32_e32 v3, v3
	v_ashrrev_i32_e32 v3, 31, v3
	v_xor_b32_e32 v16, vcc_hi, v3
	v_xor_b32_e32 v3, vcc_lo, v3
	v_and_b32_e32 v15, v15, v3
	v_lshlrev_b32_e32 v3, 29, v0
	v_cmp_gt_i64_e32 vcc, 0, v[2:3]
	v_not_b32_e32 v3, v3
	v_and_b32_e32 v1, exec_hi, v1
	v_ashrrev_i32_e32 v3, 31, v3
	v_and_b32_e32 v1, v1, v16
	v_xor_b32_e32 v16, vcc_hi, v3
	v_xor_b32_e32 v3, vcc_lo, v3
	v_and_b32_e32 v15, v15, v3
	v_lshlrev_b32_e32 v3, 28, v0
	v_cmp_gt_i64_e32 vcc, 0, v[2:3]
	v_not_b32_e32 v3, v3
	v_ashrrev_i32_e32 v3, 31, v3
	v_and_b32_e32 v1, v1, v16
	v_xor_b32_e32 v16, vcc_hi, v3
	v_xor_b32_e32 v3, vcc_lo, v3
	v_and_b32_e32 v15, v15, v3
	v_lshlrev_b32_e32 v3, 27, v0
	v_cmp_gt_i64_e32 vcc, 0, v[2:3]
	v_not_b32_e32 v3, v3
	;; [unrolled: 8-line block ×4, first 2 shown]
	v_ashrrev_i32_e32 v3, 31, v3
	v_and_b32_e32 v1, v1, v16
	v_xor_b32_e32 v16, vcc_hi, v3
	v_xor_b32_e32 v3, vcc_lo, v3
	v_and_b32_e32 v15, v15, v3
	v_lshlrev_b32_e32 v3, 24, v0
	v_not_b32_e32 v0, v3
	v_cmp_gt_i64_e32 vcc, 0, v[2:3]
	v_ashrrev_i32_e32 v0, 31, v0
	v_xor_b32_e32 v2, vcc_hi, v0
	v_xor_b32_e32 v0, vcc_lo, v0
	; wave barrier
	ds_read_b32 v13, v26 offset:64
	v_and_b32_e32 v1, v1, v16
	v_and_b32_e32 v0, v15, v0
	;; [unrolled: 1-line block ×3, first 2 shown]
	v_mbcnt_lo_u32_b32 v2, v0, 0
	v_mbcnt_hi_u32_b32 v15, v1, v2
	v_cmp_eq_u32_e32 vcc, 0, v15
	v_cmp_ne_u64_e64 s[0:1], 0, v[0:1]
	s_and_b64 s[2:3], s[0:1], vcc
	; wave barrier
	s_and_saveexec_b64 s[0:1], s[2:3]
	s_cbranch_execz .LBB304_92
; %bb.91:
	v_bcnt_u32_b32 v0, v0, 0
	v_bcnt_u32_b32 v0, v1, v0
	s_waitcnt lgkmcnt(0)
	v_add_u32_e32 v0, v13, v0
	ds_write_b32 v26, v0 offset:64
.LBB304_92:
	s_or_b64 exec, exec, s[0:1]
	v_lshrrev_b32_sdwa v0, s44, v6 dst_sel:DWORD dst_unused:UNUSED_PAD src0_sel:DWORD src1_sel:BYTE_0
	v_and_b32_e32 v2, s16, v0
	v_and_b32_e32 v1, 1, v2
	v_add_co_u32_e32 v3, vcc, -1, v1
	v_addc_co_u32_e64 v19, s[0:1], 0, -1, vcc
	v_cmp_ne_u32_e32 vcc, 0, v1
	v_mul_u32_u24_e32 v0, 17, v2
	v_xor_b32_e32 v1, vcc_hi, v19
	v_add_lshl_u32 v29, v30, v0, 2
	v_mov_b32_e32 v0, 0
	v_and_b32_e32 v19, exec_hi, v1
	v_lshlrev_b32_e32 v1, 30, v2
	v_xor_b32_e32 v3, vcc_lo, v3
	v_cmp_gt_i64_e32 vcc, 0, v[0:1]
	v_not_b32_e32 v1, v1
	v_ashrrev_i32_e32 v1, 31, v1
	v_and_b32_e32 v3, exec_lo, v3
	v_xor_b32_e32 v21, vcc_hi, v1
	v_xor_b32_e32 v1, vcc_lo, v1
	v_and_b32_e32 v3, v3, v1
	v_lshlrev_b32_e32 v1, 29, v2
	v_cmp_gt_i64_e32 vcc, 0, v[0:1]
	v_not_b32_e32 v1, v1
	v_ashrrev_i32_e32 v1, 31, v1
	v_and_b32_e32 v19, v19, v21
	v_xor_b32_e32 v21, vcc_hi, v1
	v_xor_b32_e32 v1, vcc_lo, v1
	v_and_b32_e32 v3, v3, v1
	v_lshlrev_b32_e32 v1, 28, v2
	v_cmp_gt_i64_e32 vcc, 0, v[0:1]
	v_not_b32_e32 v1, v1
	v_ashrrev_i32_e32 v1, 31, v1
	v_and_b32_e32 v19, v19, v21
	;; [unrolled: 8-line block ×5, first 2 shown]
	v_xor_b32_e32 v21, vcc_hi, v1
	v_xor_b32_e32 v1, vcc_lo, v1
	v_and_b32_e32 v19, v19, v21
	v_and_b32_e32 v21, v3, v1
	v_lshlrev_b32_e32 v1, 24, v2
	v_cmp_gt_i64_e32 vcc, 0, v[0:1]
	v_not_b32_e32 v1, v1
	v_ashrrev_i32_e32 v1, 31, v1
	v_xor_b32_e32 v2, vcc_hi, v1
	v_xor_b32_e32 v1, vcc_lo, v1
	; wave barrier
	ds_read_b32 v16, v29 offset:64
	v_and_b32_e32 v3, v19, v2
	v_and_b32_e32 v2, v21, v1
	v_mbcnt_lo_u32_b32 v1, v2, 0
	v_mbcnt_hi_u32_b32 v19, v3, v1
	v_cmp_eq_u32_e32 vcc, 0, v19
	v_cmp_ne_u64_e64 s[0:1], 0, v[2:3]
	s_and_b64 s[2:3], s[0:1], vcc
	; wave barrier
	s_and_saveexec_b64 s[0:1], s[2:3]
	s_cbranch_execz .LBB304_94
; %bb.93:
	v_bcnt_u32_b32 v1, v2, 0
	v_bcnt_u32_b32 v1, v3, v1
	s_waitcnt lgkmcnt(0)
	v_add_u32_e32 v1, v16, v1
	ds_write_b32 v29, v1 offset:64
.LBB304_94:
	s_or_b64 exec, exec, s[0:1]
	v_lshrrev_b32_sdwa v1, s44, v7 dst_sel:DWORD dst_unused:UNUSED_PAD src0_sel:DWORD src1_sel:BYTE_0
	v_and_b32_e32 v2, s16, v1
	v_mul_u32_u24_e32 v1, 17, v2
	v_add_lshl_u32 v33, v30, v1, 2
	v_and_b32_e32 v1, 1, v2
	v_add_co_u32_e32 v3, vcc, -1, v1
	v_addc_co_u32_e64 v24, s[0:1], 0, -1, vcc
	v_cmp_ne_u32_e32 vcc, 0, v1
	v_xor_b32_e32 v1, vcc_hi, v24
	v_and_b32_e32 v24, exec_hi, v1
	v_lshlrev_b32_e32 v1, 30, v2
	v_xor_b32_e32 v3, vcc_lo, v3
	v_cmp_gt_i64_e32 vcc, 0, v[0:1]
	v_not_b32_e32 v1, v1
	v_ashrrev_i32_e32 v1, 31, v1
	v_and_b32_e32 v3, exec_lo, v3
	v_xor_b32_e32 v25, vcc_hi, v1
	v_xor_b32_e32 v1, vcc_lo, v1
	v_and_b32_e32 v3, v3, v1
	v_lshlrev_b32_e32 v1, 29, v2
	v_cmp_gt_i64_e32 vcc, 0, v[0:1]
	v_not_b32_e32 v1, v1
	v_ashrrev_i32_e32 v1, 31, v1
	v_and_b32_e32 v24, v24, v25
	v_xor_b32_e32 v25, vcc_hi, v1
	v_xor_b32_e32 v1, vcc_lo, v1
	v_and_b32_e32 v3, v3, v1
	v_lshlrev_b32_e32 v1, 28, v2
	v_cmp_gt_i64_e32 vcc, 0, v[0:1]
	v_not_b32_e32 v1, v1
	v_ashrrev_i32_e32 v1, 31, v1
	v_and_b32_e32 v24, v24, v25
	;; [unrolled: 8-line block ×5, first 2 shown]
	v_xor_b32_e32 v25, vcc_hi, v1
	v_xor_b32_e32 v1, vcc_lo, v1
	v_and_b32_e32 v3, v3, v1
	v_lshlrev_b32_e32 v1, 24, v2
	v_cmp_gt_i64_e32 vcc, 0, v[0:1]
	v_not_b32_e32 v0, v1
	v_ashrrev_i32_e32 v0, 31, v0
	v_xor_b32_e32 v1, vcc_hi, v0
	v_xor_b32_e32 v0, vcc_lo, v0
	; wave barrier
	ds_read_b32 v21, v33 offset:64
	v_and_b32_e32 v24, v24, v25
	v_and_b32_e32 v0, v3, v0
	;; [unrolled: 1-line block ×3, first 2 shown]
	v_mbcnt_lo_u32_b32 v2, v0, 0
	v_mbcnt_hi_u32_b32 v24, v1, v2
	v_cmp_eq_u32_e32 vcc, 0, v24
	v_cmp_ne_u64_e64 s[0:1], 0, v[0:1]
	s_and_b64 s[2:3], s[0:1], vcc
	; wave barrier
	s_and_saveexec_b64 s[0:1], s[2:3]
	s_cbranch_execz .LBB304_96
; %bb.95:
	v_bcnt_u32_b32 v0, v0, 0
	v_bcnt_u32_b32 v0, v1, v0
	s_waitcnt lgkmcnt(0)
	v_add_u32_e32 v0, v21, v0
	ds_write_b32 v33, v0 offset:64
.LBB304_96:
	s_or_b64 exec, exec, s[0:1]
	v_lshrrev_b32_sdwa v0, s44, v9 dst_sel:DWORD dst_unused:UNUSED_PAD src0_sel:DWORD src1_sel:BYTE_0
	v_and_b32_e32 v2, s16, v0
	v_and_b32_e32 v1, 1, v2
	v_add_co_u32_e32 v3, vcc, -1, v1
	v_addc_co_u32_e64 v27, s[0:1], 0, -1, vcc
	v_cmp_ne_u32_e32 vcc, 0, v1
	v_mul_u32_u24_e32 v0, 17, v2
	v_xor_b32_e32 v1, vcc_hi, v27
	v_add_lshl_u32 v35, v30, v0, 2
	v_mov_b32_e32 v0, 0
	v_and_b32_e32 v27, exec_hi, v1
	v_lshlrev_b32_e32 v1, 30, v2
	v_xor_b32_e32 v3, vcc_lo, v3
	v_cmp_gt_i64_e32 vcc, 0, v[0:1]
	v_not_b32_e32 v1, v1
	v_ashrrev_i32_e32 v1, 31, v1
	v_and_b32_e32 v3, exec_lo, v3
	v_xor_b32_e32 v28, vcc_hi, v1
	v_xor_b32_e32 v1, vcc_lo, v1
	v_and_b32_e32 v3, v3, v1
	v_lshlrev_b32_e32 v1, 29, v2
	v_cmp_gt_i64_e32 vcc, 0, v[0:1]
	v_not_b32_e32 v1, v1
	v_ashrrev_i32_e32 v1, 31, v1
	v_and_b32_e32 v27, v27, v28
	v_xor_b32_e32 v28, vcc_hi, v1
	v_xor_b32_e32 v1, vcc_lo, v1
	v_and_b32_e32 v3, v3, v1
	v_lshlrev_b32_e32 v1, 28, v2
	v_cmp_gt_i64_e32 vcc, 0, v[0:1]
	v_not_b32_e32 v1, v1
	v_ashrrev_i32_e32 v1, 31, v1
	v_and_b32_e32 v27, v27, v28
	;; [unrolled: 8-line block ×5, first 2 shown]
	v_xor_b32_e32 v28, vcc_hi, v1
	v_xor_b32_e32 v1, vcc_lo, v1
	v_and_b32_e32 v27, v27, v28
	v_and_b32_e32 v28, v3, v1
	v_lshlrev_b32_e32 v1, 24, v2
	v_cmp_gt_i64_e32 vcc, 0, v[0:1]
	v_not_b32_e32 v1, v1
	v_ashrrev_i32_e32 v1, 31, v1
	v_xor_b32_e32 v2, vcc_hi, v1
	v_xor_b32_e32 v1, vcc_lo, v1
	; wave barrier
	ds_read_b32 v25, v35 offset:64
	v_and_b32_e32 v3, v27, v2
	v_and_b32_e32 v2, v28, v1
	v_mbcnt_lo_u32_b32 v1, v2, 0
	v_mbcnt_hi_u32_b32 v27, v3, v1
	v_cmp_eq_u32_e32 vcc, 0, v27
	v_cmp_ne_u64_e64 s[0:1], 0, v[2:3]
	s_and_b64 s[2:3], s[0:1], vcc
	; wave barrier
	s_and_saveexec_b64 s[0:1], s[2:3]
	s_cbranch_execz .LBB304_98
; %bb.97:
	v_bcnt_u32_b32 v1, v2, 0
	v_bcnt_u32_b32 v1, v3, v1
	s_waitcnt lgkmcnt(0)
	v_add_u32_e32 v1, v25, v1
	ds_write_b32 v35, v1 offset:64
.LBB304_98:
	s_or_b64 exec, exec, s[0:1]
	s_waitcnt vmcnt(2)
	v_lshrrev_b32_sdwa v1, s44, v10 dst_sel:DWORD dst_unused:UNUSED_PAD src0_sel:DWORD src1_sel:BYTE_0
	v_and_b32_e32 v2, s16, v1
	v_mul_u32_u24_e32 v1, 17, v2
	v_add_lshl_u32 v37, v30, v1, 2
	v_and_b32_e32 v1, 1, v2
	v_add_co_u32_e32 v3, vcc, -1, v1
	v_addc_co_u32_e64 v31, s[0:1], 0, -1, vcc
	v_cmp_ne_u32_e32 vcc, 0, v1
	v_xor_b32_e32 v1, vcc_hi, v31
	v_and_b32_e32 v31, exec_hi, v1
	v_lshlrev_b32_e32 v1, 30, v2
	v_xor_b32_e32 v3, vcc_lo, v3
	v_cmp_gt_i64_e32 vcc, 0, v[0:1]
	v_not_b32_e32 v1, v1
	v_ashrrev_i32_e32 v1, 31, v1
	v_and_b32_e32 v3, exec_lo, v3
	v_xor_b32_e32 v32, vcc_hi, v1
	v_xor_b32_e32 v1, vcc_lo, v1
	v_and_b32_e32 v3, v3, v1
	v_lshlrev_b32_e32 v1, 29, v2
	v_cmp_gt_i64_e32 vcc, 0, v[0:1]
	v_not_b32_e32 v1, v1
	v_ashrrev_i32_e32 v1, 31, v1
	v_and_b32_e32 v31, v31, v32
	v_xor_b32_e32 v32, vcc_hi, v1
	v_xor_b32_e32 v1, vcc_lo, v1
	v_and_b32_e32 v3, v3, v1
	v_lshlrev_b32_e32 v1, 28, v2
	v_cmp_gt_i64_e32 vcc, 0, v[0:1]
	v_not_b32_e32 v1, v1
	v_ashrrev_i32_e32 v1, 31, v1
	v_and_b32_e32 v31, v31, v32
	;; [unrolled: 8-line block ×5, first 2 shown]
	v_xor_b32_e32 v32, vcc_hi, v1
	v_xor_b32_e32 v1, vcc_lo, v1
	v_and_b32_e32 v3, v3, v1
	v_lshlrev_b32_e32 v1, 24, v2
	v_cmp_gt_i64_e32 vcc, 0, v[0:1]
	v_not_b32_e32 v0, v1
	v_ashrrev_i32_e32 v0, 31, v0
	v_xor_b32_e32 v1, vcc_hi, v0
	v_xor_b32_e32 v0, vcc_lo, v0
	; wave barrier
	ds_read_b32 v28, v37 offset:64
	v_and_b32_e32 v31, v31, v32
	v_and_b32_e32 v0, v3, v0
	;; [unrolled: 1-line block ×3, first 2 shown]
	v_mbcnt_lo_u32_b32 v2, v0, 0
	v_mbcnt_hi_u32_b32 v31, v1, v2
	v_cmp_eq_u32_e32 vcc, 0, v31
	v_cmp_ne_u64_e64 s[0:1], 0, v[0:1]
	s_and_b64 s[2:3], s[0:1], vcc
	; wave barrier
	s_and_saveexec_b64 s[0:1], s[2:3]
	s_cbranch_execz .LBB304_100
; %bb.99:
	v_bcnt_u32_b32 v0, v0, 0
	v_bcnt_u32_b32 v0, v1, v0
	s_waitcnt lgkmcnt(0)
	v_add_u32_e32 v0, v28, v0
	ds_write_b32 v37, v0 offset:64
.LBB304_100:
	s_or_b64 exec, exec, s[0:1]
	s_waitcnt vmcnt(1)
	v_lshrrev_b32_sdwa v0, s44, v11 dst_sel:DWORD dst_unused:UNUSED_PAD src0_sel:DWORD src1_sel:BYTE_0
	v_and_b32_e32 v2, s16, v0
	v_and_b32_e32 v1, 1, v2
	v_add_co_u32_e32 v3, vcc, -1, v1
	v_addc_co_u32_e64 v34, s[0:1], 0, -1, vcc
	v_cmp_ne_u32_e32 vcc, 0, v1
	v_mul_u32_u24_e32 v0, 17, v2
	v_xor_b32_e32 v1, vcc_hi, v34
	v_add_lshl_u32 v38, v30, v0, 2
	v_mov_b32_e32 v0, 0
	v_and_b32_e32 v34, exec_hi, v1
	v_lshlrev_b32_e32 v1, 30, v2
	v_xor_b32_e32 v3, vcc_lo, v3
	v_cmp_gt_i64_e32 vcc, 0, v[0:1]
	v_not_b32_e32 v1, v1
	v_ashrrev_i32_e32 v1, 31, v1
	v_and_b32_e32 v3, exec_lo, v3
	v_xor_b32_e32 v36, vcc_hi, v1
	v_xor_b32_e32 v1, vcc_lo, v1
	v_and_b32_e32 v3, v3, v1
	v_lshlrev_b32_e32 v1, 29, v2
	v_cmp_gt_i64_e32 vcc, 0, v[0:1]
	v_not_b32_e32 v1, v1
	v_ashrrev_i32_e32 v1, 31, v1
	v_and_b32_e32 v34, v34, v36
	v_xor_b32_e32 v36, vcc_hi, v1
	v_xor_b32_e32 v1, vcc_lo, v1
	v_and_b32_e32 v3, v3, v1
	v_lshlrev_b32_e32 v1, 28, v2
	v_cmp_gt_i64_e32 vcc, 0, v[0:1]
	v_not_b32_e32 v1, v1
	v_ashrrev_i32_e32 v1, 31, v1
	v_and_b32_e32 v34, v34, v36
	v_xor_b32_e32 v36, vcc_hi, v1
	v_xor_b32_e32 v1, vcc_lo, v1
	v_and_b32_e32 v3, v3, v1
	v_lshlrev_b32_e32 v1, 27, v2
	v_cmp_gt_i64_e32 vcc, 0, v[0:1]
	v_not_b32_e32 v1, v1
	v_ashrrev_i32_e32 v1, 31, v1
	v_and_b32_e32 v34, v34, v36
	v_xor_b32_e32 v36, vcc_hi, v1
	v_xor_b32_e32 v1, vcc_lo, v1
	v_and_b32_e32 v3, v3, v1
	v_lshlrev_b32_e32 v1, 26, v2
	v_cmp_gt_i64_e32 vcc, 0, v[0:1]
	v_not_b32_e32 v1, v1
	v_ashrrev_i32_e32 v1, 31, v1
	v_and_b32_e32 v34, v34, v36
	v_xor_b32_e32 v36, vcc_hi, v1
	v_xor_b32_e32 v1, vcc_lo, v1
	v_and_b32_e32 v3, v3, v1
	v_lshlrev_b32_e32 v1, 25, v2
	v_cmp_gt_i64_e32 vcc, 0, v[0:1]
	v_not_b32_e32 v1, v1
	v_ashrrev_i32_e32 v1, 31, v1
	v_and_b32_e32 v34, v34, v36
	v_xor_b32_e32 v36, vcc_hi, v1
	v_xor_b32_e32 v1, vcc_lo, v1
	v_and_b32_e32 v34, v34, v36
	v_and_b32_e32 v36, v3, v1
	v_lshlrev_b32_e32 v1, 24, v2
	v_cmp_gt_i64_e32 vcc, 0, v[0:1]
	v_not_b32_e32 v1, v1
	v_ashrrev_i32_e32 v1, 31, v1
	v_xor_b32_e32 v2, vcc_hi, v1
	v_xor_b32_e32 v1, vcc_lo, v1
	; wave barrier
	ds_read_b32 v32, v38 offset:64
	v_and_b32_e32 v3, v34, v2
	v_and_b32_e32 v2, v36, v1
	v_mbcnt_lo_u32_b32 v1, v2, 0
	v_mbcnt_hi_u32_b32 v34, v3, v1
	v_cmp_eq_u32_e32 vcc, 0, v34
	v_cmp_ne_u64_e64 s[0:1], 0, v[2:3]
	s_and_b64 s[2:3], s[0:1], vcc
	; wave barrier
	s_and_saveexec_b64 s[0:1], s[2:3]
	s_cbranch_execz .LBB304_102
; %bb.101:
	v_bcnt_u32_b32 v1, v2, 0
	v_bcnt_u32_b32 v1, v3, v1
	s_waitcnt lgkmcnt(0)
	v_add_u32_e32 v1, v32, v1
	ds_write_b32 v38, v1 offset:64
.LBB304_102:
	s_or_b64 exec, exec, s[0:1]
	s_waitcnt vmcnt(0)
	v_lshrrev_b32_sdwa v1, s44, v17 dst_sel:DWORD dst_unused:UNUSED_PAD src0_sel:DWORD src1_sel:BYTE_0
	v_and_b32_e32 v2, s16, v1
	v_mul_u32_u24_e32 v1, 17, v2
	v_add_lshl_u32 v39, v30, v1, 2
	v_and_b32_e32 v1, 1, v2
	v_add_co_u32_e32 v3, vcc, -1, v1
	v_addc_co_u32_e64 v36, s[0:1], 0, -1, vcc
	v_cmp_ne_u32_e32 vcc, 0, v1
	v_xor_b32_e32 v1, vcc_hi, v36
	v_and_b32_e32 v36, exec_hi, v1
	v_lshlrev_b32_e32 v1, 30, v2
	v_xor_b32_e32 v3, vcc_lo, v3
	v_cmp_gt_i64_e32 vcc, 0, v[0:1]
	v_not_b32_e32 v1, v1
	v_ashrrev_i32_e32 v1, 31, v1
	v_and_b32_e32 v3, exec_lo, v3
	v_xor_b32_e32 v40, vcc_hi, v1
	v_xor_b32_e32 v1, vcc_lo, v1
	v_and_b32_e32 v3, v3, v1
	v_lshlrev_b32_e32 v1, 29, v2
	v_cmp_gt_i64_e32 vcc, 0, v[0:1]
	v_not_b32_e32 v1, v1
	v_ashrrev_i32_e32 v1, 31, v1
	v_and_b32_e32 v36, v36, v40
	v_xor_b32_e32 v40, vcc_hi, v1
	v_xor_b32_e32 v1, vcc_lo, v1
	v_and_b32_e32 v3, v3, v1
	v_lshlrev_b32_e32 v1, 28, v2
	v_cmp_gt_i64_e32 vcc, 0, v[0:1]
	v_not_b32_e32 v1, v1
	v_ashrrev_i32_e32 v1, 31, v1
	v_and_b32_e32 v36, v36, v40
	;; [unrolled: 8-line block ×5, first 2 shown]
	v_xor_b32_e32 v40, vcc_hi, v1
	v_xor_b32_e32 v1, vcc_lo, v1
	v_and_b32_e32 v3, v3, v1
	v_lshlrev_b32_e32 v1, 24, v2
	v_cmp_gt_i64_e32 vcc, 0, v[0:1]
	v_not_b32_e32 v0, v1
	v_ashrrev_i32_e32 v0, 31, v0
	v_xor_b32_e32 v1, vcc_hi, v0
	v_xor_b32_e32 v0, vcc_lo, v0
	; wave barrier
	ds_read_b32 v30, v39 offset:64
	v_and_b32_e32 v36, v36, v40
	v_and_b32_e32 v0, v3, v0
	;; [unrolled: 1-line block ×3, first 2 shown]
	v_mbcnt_lo_u32_b32 v2, v0, 0
	v_mbcnt_hi_u32_b32 v36, v1, v2
	v_cmp_eq_u32_e32 vcc, 0, v36
	v_cmp_ne_u64_e64 s[0:1], 0, v[0:1]
	v_add_u32_e32 v41, 64, v20
	s_and_b64 s[2:3], s[0:1], vcc
	; wave barrier
	s_and_saveexec_b64 s[0:1], s[2:3]
	s_cbranch_execz .LBB304_104
; %bb.103:
	v_bcnt_u32_b32 v0, v0, 0
	v_bcnt_u32_b32 v0, v1, v0
	s_waitcnt lgkmcnt(0)
	v_add_u32_e32 v0, v30, v0
	ds_write_b32 v39, v0 offset:64
.LBB304_104:
	s_or_b64 exec, exec, s[0:1]
	; wave barrier
	s_waitcnt lgkmcnt(0)
	s_barrier
	ds_read2_b32 v[2:3], v20 offset0:16 offset1:17
	ds_read2_b32 v[0:1], v41 offset0:2 offset1:3
	ds_read_b32 v40, v41 offset:16
	v_cmp_lt_u32_e64 s[8:9], 31, v18
	s_waitcnt lgkmcnt(1)
	v_add3_u32 v42, v3, v2, v0
	s_waitcnt lgkmcnt(0)
	v_add3_u32 v40, v42, v1, v40
	v_and_b32_e32 v42, 15, v18
	v_cmp_eq_u32_e32 vcc, 0, v42
	v_mov_b32_dpp v43, v40 row_shr:1 row_mask:0xf bank_mask:0xf
	v_cndmask_b32_e64 v43, v43, 0, vcc
	v_add_u32_e32 v40, v43, v40
	v_cmp_lt_u32_e64 s[0:1], 1, v42
	v_cmp_lt_u32_e64 s[2:3], 3, v42
	v_mov_b32_dpp v43, v40 row_shr:2 row_mask:0xf bank_mask:0xf
	v_cndmask_b32_e64 v43, 0, v43, s[0:1]
	v_add_u32_e32 v40, v40, v43
	v_cmp_lt_u32_e64 s[4:5], 7, v42
	s_nop 0
	v_mov_b32_dpp v43, v40 row_shr:4 row_mask:0xf bank_mask:0xf
	v_cndmask_b32_e64 v43, 0, v43, s[2:3]
	v_add_u32_e32 v40, v40, v43
	s_nop 1
	v_mov_b32_dpp v43, v40 row_shr:8 row_mask:0xf bank_mask:0xf
	v_cndmask_b32_e64 v42, 0, v43, s[4:5]
	v_add_u32_e32 v40, v40, v42
	v_bfe_i32 v43, v18, 4, 1
	s_nop 0
	v_mov_b32_dpp v42, v40 row_bcast:15 row_mask:0xf bank_mask:0xf
	v_and_b32_e32 v42, v43, v42
	v_add_u32_e32 v40, v40, v42
	v_lshrrev_b32_e32 v43, 6, v8
	s_nop 0
	v_mov_b32_dpp v42, v40 row_bcast:31 row_mask:0xf bank_mask:0xf
	v_cndmask_b32_e64 v42, 0, v42, s[8:9]
	v_add_u32_e32 v42, v40, v42
	v_and_b32_e32 v40, 63, v8
	v_cmp_eq_u32_e64 s[8:9], 63, v40
	s_and_saveexec_b64 s[14:15], s[8:9]
	s_cbranch_execz .LBB304_106
; %bb.105:
	v_lshlrev_b32_e32 v40, 2, v43
	ds_write_b32 v40, v42
.LBB304_106:
	s_or_b64 exec, exec, s[14:15]
	v_cmp_gt_u32_e64 s[8:9], 16, v8
	v_lshlrev_b32_e32 v40, 2, v8
	s_waitcnt lgkmcnt(0)
	s_barrier
	s_and_saveexec_b64 s[14:15], s[8:9]
	s_cbranch_execz .LBB304_108
; %bb.107:
	ds_read_b32 v44, v40
	s_waitcnt lgkmcnt(0)
	s_nop 0
	v_mov_b32_dpp v45, v44 row_shr:1 row_mask:0xf bank_mask:0xf
	v_cndmask_b32_e64 v45, v45, 0, vcc
	v_add_u32_e32 v44, v45, v44
	s_nop 1
	v_mov_b32_dpp v45, v44 row_shr:2 row_mask:0xf bank_mask:0xf
	v_cndmask_b32_e64 v45, 0, v45, s[0:1]
	v_add_u32_e32 v44, v44, v45
	s_nop 1
	v_mov_b32_dpp v45, v44 row_shr:4 row_mask:0xf bank_mask:0xf
	v_cndmask_b32_e64 v45, 0, v45, s[2:3]
	;; [unrolled: 4-line block ×3, first 2 shown]
	v_add_u32_e32 v44, v44, v45
	ds_write_b32 v40, v44
.LBB304_108:
	s_or_b64 exec, exec, s[14:15]
	v_cmp_lt_u32_e32 vcc, 63, v8
	v_mov_b32_e32 v44, 0
	s_waitcnt lgkmcnt(0)
	s_barrier
	s_and_saveexec_b64 s[0:1], vcc
	s_cbranch_execz .LBB304_110
; %bb.109:
	v_lshl_add_u32 v43, v43, 2, -4
	ds_read_b32 v44, v43
.LBB304_110:
	s_or_b64 exec, exec, s[0:1]
	v_add_u32_e32 v43, -1, v18
	v_and_b32_e32 v45, 64, v18
	v_cmp_lt_i32_e32 vcc, v43, v45
	v_cndmask_b32_e32 v43, v43, v18, vcc
	s_waitcnt lgkmcnt(0)
	v_add_u32_e32 v42, v44, v42
	v_lshlrev_b32_e32 v43, 2, v43
	ds_bpermute_b32 v42, v43, v42
	v_cmp_eq_u32_e32 vcc, 0, v18
	s_movk_i32 s2, 0xff
	s_movk_i32 s3, 0x100
	v_cmp_lt_u32_e64 s[0:1], s2, v8
	s_waitcnt lgkmcnt(0)
	v_cndmask_b32_e32 v18, v42, v44, vcc
	v_cmp_ne_u32_e32 vcc, 0, v8
	v_cndmask_b32_e32 v18, 0, v18, vcc
	v_add_u32_e32 v2, v18, v2
	v_add_u32_e32 v3, v2, v3
	;; [unrolled: 1-line block ×4, first 2 shown]
	ds_write2_b32 v20, v18, v2 offset0:16 offset1:17
	ds_write2_b32 v41, v3, v0 offset0:2 offset1:3
	ds_write_b32 v41, v1 offset:16
	s_waitcnt lgkmcnt(0)
	s_barrier
	ds_read_b32 v0, v22 offset:64
	ds_read_b32 v18, v26 offset:64
	;; [unrolled: 1-line block ×8, first 2 shown]
	v_cmp_gt_u32_e32 vcc, s3, v8
                                        ; implicit-def: $vgpr33
                                        ; implicit-def: $vgpr35
	s_and_saveexec_b64 s[4:5], vcc
	s_cbranch_execz .LBB304_114
; %bb.111:
	v_mul_u32_u24_e32 v1, 17, v8
	v_lshlrev_b32_e32 v2, 2, v1
	ds_read_b32 v33, v2 offset:64
	v_cmp_ne_u32_e64 s[2:3], s2, v8
	v_mov_b32_e32 v1, 0x2000
	s_and_saveexec_b64 s[8:9], s[2:3]
	s_cbranch_execz .LBB304_113
; %bb.112:
	ds_read_b32 v1, v2 offset:132
.LBB304_113:
	s_or_b64 exec, exec, s[8:9]
	s_waitcnt lgkmcnt(0)
	v_sub_u32_e32 v35, v1, v33
.LBB304_114:
	s_or_b64 exec, exec, s[4:5]
	s_waitcnt lgkmcnt(7)
	v_add_u32_e32 v37, v0, v23
	s_waitcnt lgkmcnt(6)
	v_add3_u32 v0, v15, v13, v18
	s_waitcnt lgkmcnt(5)
	v_add3_u32 v1, v19, v16, v20
	;; [unrolled: 2-line block ×7, first 2 shown]
	s_barrier
	ds_write_b8 v37, v4 offset:1024
	ds_write_b8 v0, v5 offset:1024
	;; [unrolled: 1-line block ×8, first 2 shown]
                                        ; implicit-def: $vgpr10_vgpr11
	s_and_saveexec_b64 s[2:3], s[0:1]
	s_xor_b64 s[0:1], exec, s[2:3]
; %bb.115:
	v_mov_b32_e32 v9, 0
	v_pk_mov_b32 v[10:11], v[8:9], v[8:9] op_sel:[0,1]
                                        ; implicit-def: $vgpr40
; %bb.116:
	s_andn2_saveexec_b64 s[2:3], s[0:1]
	s_cbranch_execz .LBB304_126
; %bb.117:
	v_lshl_or_b32 v0, s6, 8, v8
	v_mov_b32_e32 v1, 0
	v_lshlrev_b64 v[2:3], 2, v[0:1]
	v_mov_b32_e32 v6, s35
	v_add_co_u32_e64 v2, s[0:1], s34, v2
	v_addc_co_u32_e64 v3, s[0:1], v6, v3, s[0:1]
	v_or_b32_e32 v0, 2.0, v35
	s_mov_b64 s[4:5], 0
	s_brev_b32 s17, 1
	s_mov_b32 s18, s6
	v_mov_b32_e32 v7, 0
	global_store_dword v[2:3], v0, off
                                        ; implicit-def: $sgpr0_sgpr1
	s_branch .LBB304_120
.LBB304_118:                            ;   in Loop: Header=BB304_120 Depth=1
	s_or_b64 exec, exec, s[14:15]
.LBB304_119:                            ;   in Loop: Header=BB304_120 Depth=1
	s_or_b64 exec, exec, s[8:9]
	v_and_b32_e32 v4, 0x3fffffff, v9
	v_add_u32_e32 v7, v4, v7
	v_cmp_eq_u32_e64 s[0:1], s17, v0
	s_and_b64 s[8:9], exec, s[0:1]
	s_or_b64 s[4:5], s[8:9], s[4:5]
	s_andn2_b64 exec, exec, s[4:5]
	s_cbranch_execz .LBB304_125
.LBB304_120:                            ; =>This Loop Header: Depth=1
                                        ;     Child Loop BB304_123 Depth 2
	s_or_b64 s[0:1], s[0:1], exec
	s_cmp_eq_u32 s18, 0
	s_cbranch_scc1 .LBB304_124
; %bb.121:                              ;   in Loop: Header=BB304_120 Depth=1
	s_add_i32 s18, s18, -1
	v_lshl_or_b32 v0, s18, 8, v8
	v_lshlrev_b64 v[4:5], 2, v[0:1]
	v_add_co_u32_e64 v4, s[0:1], s34, v4
	v_addc_co_u32_e64 v5, s[0:1], v6, v5, s[0:1]
	global_load_dword v9, v[4:5], off glc
	s_waitcnt vmcnt(0)
	v_and_b32_e32 v0, -2.0, v9
	v_cmp_eq_u32_e64 s[0:1], 0, v0
	s_and_saveexec_b64 s[8:9], s[0:1]
	s_cbranch_execz .LBB304_119
; %bb.122:                              ;   in Loop: Header=BB304_120 Depth=1
	s_mov_b64 s[14:15], 0
.LBB304_123:                            ;   Parent Loop BB304_120 Depth=1
                                        ; =>  This Inner Loop Header: Depth=2
	global_load_dword v9, v[4:5], off glc
	s_waitcnt vmcnt(0)
	v_and_b32_e32 v0, -2.0, v9
	v_cmp_ne_u32_e64 s[0:1], 0, v0
	s_or_b64 s[14:15], s[0:1], s[14:15]
	s_andn2_b64 exec, exec, s[14:15]
	s_cbranch_execnz .LBB304_123
	s_branch .LBB304_118
.LBB304_124:                            ;   in Loop: Header=BB304_120 Depth=1
                                        ; implicit-def: $sgpr18
	s_and_b64 s[8:9], exec, s[0:1]
	s_or_b64 s[4:5], s[8:9], s[4:5]
	s_andn2_b64 exec, exec, s[4:5]
	s_cbranch_execnz .LBB304_120
.LBB304_125:
	s_or_b64 exec, exec, s[4:5]
	v_add_u32_e32 v0, v7, v35
	v_or_b32_e32 v0, 0x80000000, v0
	global_store_dword v[2:3], v0, off
	global_load_dword v0, v40, s[28:29]
	v_mov_b32_e32 v9, 0
	v_sub_u32_e32 v1, v7, v33
	v_pk_mov_b32 v[10:11], v[8:9], v[8:9] op_sel:[0,1]
	s_waitcnt vmcnt(0)
	v_add_u32_e32 v0, v1, v0
	ds_write_b32 v40, v0
.LBB304_126:
	s_or_b64 exec, exec, s[2:3]
	s_waitcnt lgkmcnt(0)
	s_barrier
	ds_read_u8 v9, v10 offset:1024
	ds_read_u8 v17, v8 offset:2048
	;; [unrolled: 1-line block ×8, first 2 shown]
	s_waitcnt lgkmcnt(7)
	v_lshrrev_b32_sdwa v0, s44, v9 dst_sel:DWORD dst_unused:UNUSED_PAD src0_sel:DWORD src1_sel:BYTE_0
	v_and_b32_e32 v0, s16, v0
	s_waitcnt lgkmcnt(6)
	v_lshrrev_b32_sdwa v1, s44, v17 dst_sel:DWORD dst_unused:UNUSED_PAD src0_sel:DWORD src1_sel:BYTE_0
	v_lshlrev_b32_e32 v2, 2, v0
	v_and_b32_e32 v1, s16, v1
	s_waitcnt lgkmcnt(5)
	v_lshrrev_b32_sdwa v4, s44, v23 dst_sel:DWORD dst_unused:UNUSED_PAD src0_sel:DWORD src1_sel:BYTE_0
	v_lshlrev_b32_e32 v3, 2, v1
	ds_read_b32 v45, v2
	ds_read_b32 v46, v3
	v_and_b32_e32 v2, s16, v4
	v_lshlrev_b32_e32 v3, 2, v2
	ds_read_b32 v47, v3
	s_waitcnt lgkmcnt(7)
	v_lshrrev_b32_sdwa v3, s44, v40 dst_sel:DWORD dst_unused:UNUSED_PAD src0_sel:DWORD src1_sel:BYTE_0
	v_and_b32_e32 v3, s16, v3
	v_lshlrev_b32_e32 v4, 2, v3
	ds_read_b32 v48, v4
	s_waitcnt lgkmcnt(7)
	v_lshrrev_b32_sdwa v4, s44, v41 dst_sel:DWORD dst_unused:UNUSED_PAD src0_sel:DWORD src1_sel:BYTE_0
	;; [unrolled: 5-line block ×5, first 2 shown]
	v_and_b32_e32 v7, s16, v7
	s_waitcnt lgkmcnt(6)
	v_add_u32_e32 v45, v45, v8
	s_movk_i32 s2, 0x400
	v_lshlrev_b32_e32 v52, 2, v7
	global_store_byte v45, v9, s[38:39]
	s_waitcnt lgkmcnt(5)
	v_add3_u32 v9, v46, v8, s2
	s_movk_i32 s0, 0x800
	ds_read_b32 v52, v52
	global_store_byte v9, v17, s[38:39]
	s_waitcnt lgkmcnt(5)
	v_add3_u32 v9, v47, v8, s0
	s_movk_i32 s0, 0xc00
	global_store_byte v9, v23, s[38:39]
	s_waitcnt lgkmcnt(4)
	v_add3_u32 v9, v48, v8, s0
	s_movk_i32 s0, 0x1000
	;; [unrolled: 4-line block ×5, first 2 shown]
	global_store_byte v9, v43, s[38:39]
	s_waitcnt lgkmcnt(0)
	v_add3_u32 v9, v52, v8, s0
	s_lshl_b64 s[0:1], s[12:13], 3
	s_add_u32 s0, s40, s0
	v_lshlrev_b32_e32 v12, 3, v12
	s_addc_u32 s1, s41, s1
	global_store_byte v9, v44, s[38:39]
	v_add3_u32 v9, v36, v39, v30
	v_add3_u32 v30, v34, v38, v32
	v_add3_u32 v38, v15, v18, v13
	v_lshlrev_b32_e32 v13, 3, v14
	v_mov_b32_e32 v14, s1
	v_add_co_u32_e64 v12, s[0:1], s0, v12
	v_addc_co_u32_e64 v14, s[0:1], 0, v14, s[0:1]
	v_add3_u32 v31, v31, v29, v28
	v_add_co_u32_e64 v28, s[0:1], v12, v13
	v_addc_co_u32_e64 v29, s[0:1], 0, v14, s[0:1]
	v_or_b32_e32 v12, 0x400, v8
	v_mul_u32_u24_e32 v13, 7, v8
	v_add3_u32 v32, v27, v26, v25
	v_add3_u32 v34, v24, v22, v21
	;; [unrolled: 1-line block ×3, first 2 shown]
	v_add_u32_e32 v39, v12, v13
	global_load_dwordx2 v[12:13], v[28:29], off
	global_load_dwordx2 v[14:15], v[28:29], off offset:512
	global_load_dwordx2 v[16:17], v[28:29], off offset:1024
	;; [unrolled: 1-line block ×7, first 2 shown]
	s_mov_b32 s3, 0
	s_mov_b32 s4, 1
	v_lshlrev_b32_e32 v40, 3, v10
	v_mov_b32_e32 v29, 0
	s_barrier
	s_waitcnt vmcnt(0)
.LBB304_127:                            ; =>This Inner Loop Header: Depth=1
	v_add_u32_e32 v28, s3, v37
	v_min_u32_e32 v28, 0x800, v28
	v_lshlrev_b32_e32 v28, 3, v28
	ds_write_b64 v28, v[12:13] offset:1024
	v_add_u32_e32 v28, s3, v38
	v_min_u32_e32 v28, 0x800, v28
	v_lshlrev_b32_e32 v28, 3, v28
	ds_write_b64 v28, v[14:15] offset:1024
	;; [unrolled: 4-line block ×7, first 2 shown]
	v_add_u32_e32 v28, s3, v9
	s_add_i32 s5, s4, -1
	v_min_u32_e32 v28, 0x800, v28
	s_cmp_eq_u32 s5, 1
	v_lshlrev_b32_e32 v28, 3, v28
	s_cselect_b64 s[0:1], -1, 0
	s_cmp_eq_u32 s5, 2
	ds_write_b64 v28, v[26:27] offset:1024
	v_cndmask_b32_e64 v28, v0, v1, s[0:1]
	s_cselect_b64 s[0:1], -1, 0
	s_cmp_eq_u32 s5, 3
	v_cndmask_b32_e64 v28, v28, v2, s[0:1]
	s_cselect_b64 s[0:1], -1, 0
	s_cmp_eq_u32 s5, 4
	;; [unrolled: 3-line block ×10, first 2 shown]
	v_lshlrev_b32_e32 v28, 2, v28
	v_cndmask_b32_e64 v41, v41, v4, s[0:1]
	s_cselect_b64 s[0:1], -1, 0
	s_cmp_eq_u32 s4, 6
	s_waitcnt lgkmcnt(0)
	s_barrier
	ds_read_b32 v28, v28
	v_cndmask_b32_e64 v41, v41, v5, s[0:1]
	s_cselect_b64 s[0:1], -1, 0
	s_cmp_eq_u32 s4, 7
	v_cndmask_b32_e64 v41, v41, v6, s[0:1]
	s_cselect_b64 s[0:1], -1, 0
	v_cndmask_b32_e64 v41, v41, v7, s[0:1]
	v_lshlrev_b32_e32 v41, 2, v41
	ds_read_b32 v41, v41
	ds_read_b64 v[42:43], v39 offset:8192
	ds_read_b64 v[46:47], v40 offset:1024
	s_waitcnt lgkmcnt(3)
	v_add_u32_e32 v28, v8, v28
	v_lshlrev_b64 v[44:45], 3, v[28:29]
	v_mov_b32_e32 v48, s43
	v_add_co_u32_e64 v44, s[0:1], s42, v44
	v_addc_co_u32_e64 v45, s[0:1], v48, v45, s[0:1]
	s_waitcnt lgkmcnt(2)
	v_add3_u32 v28, v8, v41, s2
	s_waitcnt lgkmcnt(0)
	global_store_dwordx2 v[44:45], v[46:47], off
	v_lshlrev_b64 v[44:45], 3, v[28:29]
	v_add_co_u32_e64 v44, s[0:1], s42, v44
	s_addk_i32 s3, 0xf800
	s_add_i32 s4, s4, 2
	v_addc_co_u32_e64 v45, s[0:1], v48, v45, s[0:1]
	s_cmpk_lg_i32 s3, 0xe000
	v_add_u32_e32 v8, 0x800, v8
	global_store_dwordx2 v[44:45], v[42:43], off
	s_barrier
	s_cbranch_scc1 .LBB304_127
; %bb.128:
	s_add_i32 s7, s7, -1
	s_cmp_eq_u32 s7, s6
	s_cselect_b64 s[0:1], -1, 0
	s_and_b64 s[2:3], vcc, s[0:1]
                                        ; implicit-def: $vgpr2
	s_and_saveexec_b64 s[0:1], s[2:3]
; %bb.129:
	v_add_u32_e32 v2, v33, v35
	s_or_b64 s[10:11], s[10:11], exec
; %bb.130:
	s_or_b64 exec, exec, s[0:1]
.LBB304_131:
	s_and_saveexec_b64 s[0:1], s[10:11]
	s_cbranch_execnz .LBB304_133
; %bb.132:
	s_endpgm
.LBB304_133:
	v_lshlrev_b32_e32 v3, 2, v10
	ds_read_b32 v3, v3
	v_lshlrev_b64 v[0:1], 2, v[10:11]
	v_mov_b32_e32 v4, s31
	v_add_co_u32_e32 v0, vcc, s30, v0
	v_addc_co_u32_e32 v1, vcc, v4, v1, vcc
	s_waitcnt lgkmcnt(0)
	v_add_u32_e32 v2, v3, v2
	global_store_dword v[0:1], v2, off
	s_endpgm
.LBB304_134:
	global_load_dwordx2 v[12:13], v[28:29], off
	s_or_b64 exec, exec, s[18:19]
                                        ; implicit-def: $vgpr14_vgpr15
	s_and_saveexec_b64 s[18:19], s[0:1]
	s_cbranch_execz .LBB304_71
.LBB304_135:
	global_load_dwordx2 v[14:15], v[28:29], off offset:512
	s_or_b64 exec, exec, s[18:19]
                                        ; implicit-def: $vgpr16_vgpr17
	s_and_saveexec_b64 s[0:1], s[2:3]
	s_cbranch_execz .LBB304_72
.LBB304_136:
	global_load_dwordx2 v[16:17], v[28:29], off offset:1024
	s_or_b64 exec, exec, s[0:1]
                                        ; implicit-def: $vgpr18_vgpr19
	s_and_saveexec_b64 s[0:1], s[24:25]
	s_cbranch_execz .LBB304_73
.LBB304_137:
	global_load_dwordx2 v[18:19], v[28:29], off offset:1536
	s_or_b64 exec, exec, s[0:1]
                                        ; implicit-def: $vgpr20_vgpr21
	s_and_saveexec_b64 s[0:1], s[8:9]
	s_cbranch_execz .LBB304_74
.LBB304_138:
	global_load_dwordx2 v[20:21], v[28:29], off offset:2048
	s_or_b64 exec, exec, s[0:1]
                                        ; implicit-def: $vgpr22_vgpr23
	s_and_saveexec_b64 s[0:1], s[10:11]
	s_cbranch_execz .LBB304_75
.LBB304_139:
	global_load_dwordx2 v[22:23], v[28:29], off offset:2560
	s_or_b64 exec, exec, s[0:1]
                                        ; implicit-def: $vgpr24_vgpr25
	s_and_saveexec_b64 s[0:1], s[12:13]
	s_cbranch_execz .LBB304_76
.LBB304_140:
	global_load_dwordx2 v[24:25], v[28:29], off offset:3072
	s_or_b64 exec, exec, s[0:1]
                                        ; implicit-def: $vgpr26_vgpr27
	s_and_saveexec_b64 s[0:1], s[14:15]
	s_cbranch_execnz .LBB304_77
	s_branch .LBB304_78
	.section	.rodata,"a",@progbits
	.p2align	6, 0x0
	.amdhsa_kernel _ZN7rocprim17ROCPRIM_400000_NS6detail17trampoline_kernelINS0_14default_configENS1_35radix_sort_onesweep_config_selectorIhlEEZZNS1_29radix_sort_onesweep_iterationIS3_Lb0EPhS7_N6thrust23THRUST_200600_302600_NS10device_ptrIlEESB_jNS0_19identity_decomposerENS1_16block_id_wrapperIjLb0EEEEE10hipError_tT1_PNSt15iterator_traitsISG_E10value_typeET2_T3_PNSH_ISM_E10value_typeET4_T5_PSR_SS_PNS1_23onesweep_lookback_stateEbbT6_jjT7_P12ihipStream_tbENKUlT_T0_SG_SL_E_clIS7_S7_SB_PlEEDaSZ_S10_SG_SL_EUlSZ_E_NS1_11comp_targetILNS1_3genE4ELNS1_11target_archE910ELNS1_3gpuE8ELNS1_3repE0EEENS1_47radix_sort_onesweep_sort_config_static_selectorELNS0_4arch9wavefront6targetE1EEEvSG_
		.amdhsa_group_segment_fixed_size 20552
		.amdhsa_private_segment_fixed_size 0
		.amdhsa_kernarg_size 344
		.amdhsa_user_sgpr_count 6
		.amdhsa_user_sgpr_private_segment_buffer 1
		.amdhsa_user_sgpr_dispatch_ptr 0
		.amdhsa_user_sgpr_queue_ptr 0
		.amdhsa_user_sgpr_kernarg_segment_ptr 1
		.amdhsa_user_sgpr_dispatch_id 0
		.amdhsa_user_sgpr_flat_scratch_init 0
		.amdhsa_user_sgpr_kernarg_preload_length 0
		.amdhsa_user_sgpr_kernarg_preload_offset 0
		.amdhsa_user_sgpr_private_segment_size 0
		.amdhsa_uses_dynamic_stack 0
		.amdhsa_system_sgpr_private_segment_wavefront_offset 0
		.amdhsa_system_sgpr_workgroup_id_x 1
		.amdhsa_system_sgpr_workgroup_id_y 0
		.amdhsa_system_sgpr_workgroup_id_z 0
		.amdhsa_system_sgpr_workgroup_info 0
		.amdhsa_system_vgpr_workitem_id 2
		.amdhsa_next_free_vgpr 55
		.amdhsa_next_free_sgpr 53
		.amdhsa_accum_offset 56
		.amdhsa_reserve_vcc 1
		.amdhsa_reserve_flat_scratch 0
		.amdhsa_float_round_mode_32 0
		.amdhsa_float_round_mode_16_64 0
		.amdhsa_float_denorm_mode_32 3
		.amdhsa_float_denorm_mode_16_64 3
		.amdhsa_dx10_clamp 1
		.amdhsa_ieee_mode 1
		.amdhsa_fp16_overflow 0
		.amdhsa_tg_split 0
		.amdhsa_exception_fp_ieee_invalid_op 0
		.amdhsa_exception_fp_denorm_src 0
		.amdhsa_exception_fp_ieee_div_zero 0
		.amdhsa_exception_fp_ieee_overflow 0
		.amdhsa_exception_fp_ieee_underflow 0
		.amdhsa_exception_fp_ieee_inexact 0
		.amdhsa_exception_int_div_zero 0
	.end_amdhsa_kernel
	.section	.text._ZN7rocprim17ROCPRIM_400000_NS6detail17trampoline_kernelINS0_14default_configENS1_35radix_sort_onesweep_config_selectorIhlEEZZNS1_29radix_sort_onesweep_iterationIS3_Lb0EPhS7_N6thrust23THRUST_200600_302600_NS10device_ptrIlEESB_jNS0_19identity_decomposerENS1_16block_id_wrapperIjLb0EEEEE10hipError_tT1_PNSt15iterator_traitsISG_E10value_typeET2_T3_PNSH_ISM_E10value_typeET4_T5_PSR_SS_PNS1_23onesweep_lookback_stateEbbT6_jjT7_P12ihipStream_tbENKUlT_T0_SG_SL_E_clIS7_S7_SB_PlEEDaSZ_S10_SG_SL_EUlSZ_E_NS1_11comp_targetILNS1_3genE4ELNS1_11target_archE910ELNS1_3gpuE8ELNS1_3repE0EEENS1_47radix_sort_onesweep_sort_config_static_selectorELNS0_4arch9wavefront6targetE1EEEvSG_,"axG",@progbits,_ZN7rocprim17ROCPRIM_400000_NS6detail17trampoline_kernelINS0_14default_configENS1_35radix_sort_onesweep_config_selectorIhlEEZZNS1_29radix_sort_onesweep_iterationIS3_Lb0EPhS7_N6thrust23THRUST_200600_302600_NS10device_ptrIlEESB_jNS0_19identity_decomposerENS1_16block_id_wrapperIjLb0EEEEE10hipError_tT1_PNSt15iterator_traitsISG_E10value_typeET2_T3_PNSH_ISM_E10value_typeET4_T5_PSR_SS_PNS1_23onesweep_lookback_stateEbbT6_jjT7_P12ihipStream_tbENKUlT_T0_SG_SL_E_clIS7_S7_SB_PlEEDaSZ_S10_SG_SL_EUlSZ_E_NS1_11comp_targetILNS1_3genE4ELNS1_11target_archE910ELNS1_3gpuE8ELNS1_3repE0EEENS1_47radix_sort_onesweep_sort_config_static_selectorELNS0_4arch9wavefront6targetE1EEEvSG_,comdat
.Lfunc_end304:
	.size	_ZN7rocprim17ROCPRIM_400000_NS6detail17trampoline_kernelINS0_14default_configENS1_35radix_sort_onesweep_config_selectorIhlEEZZNS1_29radix_sort_onesweep_iterationIS3_Lb0EPhS7_N6thrust23THRUST_200600_302600_NS10device_ptrIlEESB_jNS0_19identity_decomposerENS1_16block_id_wrapperIjLb0EEEEE10hipError_tT1_PNSt15iterator_traitsISG_E10value_typeET2_T3_PNSH_ISM_E10value_typeET4_T5_PSR_SS_PNS1_23onesweep_lookback_stateEbbT6_jjT7_P12ihipStream_tbENKUlT_T0_SG_SL_E_clIS7_S7_SB_PlEEDaSZ_S10_SG_SL_EUlSZ_E_NS1_11comp_targetILNS1_3genE4ELNS1_11target_archE910ELNS1_3gpuE8ELNS1_3repE0EEENS1_47radix_sort_onesweep_sort_config_static_selectorELNS0_4arch9wavefront6targetE1EEEvSG_, .Lfunc_end304-_ZN7rocprim17ROCPRIM_400000_NS6detail17trampoline_kernelINS0_14default_configENS1_35radix_sort_onesweep_config_selectorIhlEEZZNS1_29radix_sort_onesweep_iterationIS3_Lb0EPhS7_N6thrust23THRUST_200600_302600_NS10device_ptrIlEESB_jNS0_19identity_decomposerENS1_16block_id_wrapperIjLb0EEEEE10hipError_tT1_PNSt15iterator_traitsISG_E10value_typeET2_T3_PNSH_ISM_E10value_typeET4_T5_PSR_SS_PNS1_23onesweep_lookback_stateEbbT6_jjT7_P12ihipStream_tbENKUlT_T0_SG_SL_E_clIS7_S7_SB_PlEEDaSZ_S10_SG_SL_EUlSZ_E_NS1_11comp_targetILNS1_3genE4ELNS1_11target_archE910ELNS1_3gpuE8ELNS1_3repE0EEENS1_47radix_sort_onesweep_sort_config_static_selectorELNS0_4arch9wavefront6targetE1EEEvSG_
                                        ; -- End function
	.section	.AMDGPU.csdata,"",@progbits
; Kernel info:
; codeLenInByte = 12700
; NumSgprs: 57
; NumVgprs: 55
; NumAgprs: 0
; TotalNumVgprs: 55
; ScratchSize: 0
; MemoryBound: 0
; FloatMode: 240
; IeeeMode: 1
; LDSByteSize: 20552 bytes/workgroup (compile time only)
; SGPRBlocks: 7
; VGPRBlocks: 6
; NumSGPRsForWavesPerEU: 57
; NumVGPRsForWavesPerEU: 55
; AccumOffset: 56
; Occupancy: 8
; WaveLimiterHint : 1
; COMPUTE_PGM_RSRC2:SCRATCH_EN: 0
; COMPUTE_PGM_RSRC2:USER_SGPR: 6
; COMPUTE_PGM_RSRC2:TRAP_HANDLER: 0
; COMPUTE_PGM_RSRC2:TGID_X_EN: 1
; COMPUTE_PGM_RSRC2:TGID_Y_EN: 0
; COMPUTE_PGM_RSRC2:TGID_Z_EN: 0
; COMPUTE_PGM_RSRC2:TIDIG_COMP_CNT: 2
; COMPUTE_PGM_RSRC3_GFX90A:ACCUM_OFFSET: 13
; COMPUTE_PGM_RSRC3_GFX90A:TG_SPLIT: 0
	.section	.text._ZN7rocprim17ROCPRIM_400000_NS6detail17trampoline_kernelINS0_14default_configENS1_35radix_sort_onesweep_config_selectorIhlEEZZNS1_29radix_sort_onesweep_iterationIS3_Lb0EPhS7_N6thrust23THRUST_200600_302600_NS10device_ptrIlEESB_jNS0_19identity_decomposerENS1_16block_id_wrapperIjLb0EEEEE10hipError_tT1_PNSt15iterator_traitsISG_E10value_typeET2_T3_PNSH_ISM_E10value_typeET4_T5_PSR_SS_PNS1_23onesweep_lookback_stateEbbT6_jjT7_P12ihipStream_tbENKUlT_T0_SG_SL_E_clIS7_S7_SB_PlEEDaSZ_S10_SG_SL_EUlSZ_E_NS1_11comp_targetILNS1_3genE3ELNS1_11target_archE908ELNS1_3gpuE7ELNS1_3repE0EEENS1_47radix_sort_onesweep_sort_config_static_selectorELNS0_4arch9wavefront6targetE1EEEvSG_,"axG",@progbits,_ZN7rocprim17ROCPRIM_400000_NS6detail17trampoline_kernelINS0_14default_configENS1_35radix_sort_onesweep_config_selectorIhlEEZZNS1_29radix_sort_onesweep_iterationIS3_Lb0EPhS7_N6thrust23THRUST_200600_302600_NS10device_ptrIlEESB_jNS0_19identity_decomposerENS1_16block_id_wrapperIjLb0EEEEE10hipError_tT1_PNSt15iterator_traitsISG_E10value_typeET2_T3_PNSH_ISM_E10value_typeET4_T5_PSR_SS_PNS1_23onesweep_lookback_stateEbbT6_jjT7_P12ihipStream_tbENKUlT_T0_SG_SL_E_clIS7_S7_SB_PlEEDaSZ_S10_SG_SL_EUlSZ_E_NS1_11comp_targetILNS1_3genE3ELNS1_11target_archE908ELNS1_3gpuE7ELNS1_3repE0EEENS1_47radix_sort_onesweep_sort_config_static_selectorELNS0_4arch9wavefront6targetE1EEEvSG_,comdat
	.protected	_ZN7rocprim17ROCPRIM_400000_NS6detail17trampoline_kernelINS0_14default_configENS1_35radix_sort_onesweep_config_selectorIhlEEZZNS1_29radix_sort_onesweep_iterationIS3_Lb0EPhS7_N6thrust23THRUST_200600_302600_NS10device_ptrIlEESB_jNS0_19identity_decomposerENS1_16block_id_wrapperIjLb0EEEEE10hipError_tT1_PNSt15iterator_traitsISG_E10value_typeET2_T3_PNSH_ISM_E10value_typeET4_T5_PSR_SS_PNS1_23onesweep_lookback_stateEbbT6_jjT7_P12ihipStream_tbENKUlT_T0_SG_SL_E_clIS7_S7_SB_PlEEDaSZ_S10_SG_SL_EUlSZ_E_NS1_11comp_targetILNS1_3genE3ELNS1_11target_archE908ELNS1_3gpuE7ELNS1_3repE0EEENS1_47radix_sort_onesweep_sort_config_static_selectorELNS0_4arch9wavefront6targetE1EEEvSG_ ; -- Begin function _ZN7rocprim17ROCPRIM_400000_NS6detail17trampoline_kernelINS0_14default_configENS1_35radix_sort_onesweep_config_selectorIhlEEZZNS1_29radix_sort_onesweep_iterationIS3_Lb0EPhS7_N6thrust23THRUST_200600_302600_NS10device_ptrIlEESB_jNS0_19identity_decomposerENS1_16block_id_wrapperIjLb0EEEEE10hipError_tT1_PNSt15iterator_traitsISG_E10value_typeET2_T3_PNSH_ISM_E10value_typeET4_T5_PSR_SS_PNS1_23onesweep_lookback_stateEbbT6_jjT7_P12ihipStream_tbENKUlT_T0_SG_SL_E_clIS7_S7_SB_PlEEDaSZ_S10_SG_SL_EUlSZ_E_NS1_11comp_targetILNS1_3genE3ELNS1_11target_archE908ELNS1_3gpuE7ELNS1_3repE0EEENS1_47radix_sort_onesweep_sort_config_static_selectorELNS0_4arch9wavefront6targetE1EEEvSG_
	.globl	_ZN7rocprim17ROCPRIM_400000_NS6detail17trampoline_kernelINS0_14default_configENS1_35radix_sort_onesweep_config_selectorIhlEEZZNS1_29radix_sort_onesweep_iterationIS3_Lb0EPhS7_N6thrust23THRUST_200600_302600_NS10device_ptrIlEESB_jNS0_19identity_decomposerENS1_16block_id_wrapperIjLb0EEEEE10hipError_tT1_PNSt15iterator_traitsISG_E10value_typeET2_T3_PNSH_ISM_E10value_typeET4_T5_PSR_SS_PNS1_23onesweep_lookback_stateEbbT6_jjT7_P12ihipStream_tbENKUlT_T0_SG_SL_E_clIS7_S7_SB_PlEEDaSZ_S10_SG_SL_EUlSZ_E_NS1_11comp_targetILNS1_3genE3ELNS1_11target_archE908ELNS1_3gpuE7ELNS1_3repE0EEENS1_47radix_sort_onesweep_sort_config_static_selectorELNS0_4arch9wavefront6targetE1EEEvSG_
	.p2align	8
	.type	_ZN7rocprim17ROCPRIM_400000_NS6detail17trampoline_kernelINS0_14default_configENS1_35radix_sort_onesweep_config_selectorIhlEEZZNS1_29radix_sort_onesweep_iterationIS3_Lb0EPhS7_N6thrust23THRUST_200600_302600_NS10device_ptrIlEESB_jNS0_19identity_decomposerENS1_16block_id_wrapperIjLb0EEEEE10hipError_tT1_PNSt15iterator_traitsISG_E10value_typeET2_T3_PNSH_ISM_E10value_typeET4_T5_PSR_SS_PNS1_23onesweep_lookback_stateEbbT6_jjT7_P12ihipStream_tbENKUlT_T0_SG_SL_E_clIS7_S7_SB_PlEEDaSZ_S10_SG_SL_EUlSZ_E_NS1_11comp_targetILNS1_3genE3ELNS1_11target_archE908ELNS1_3gpuE7ELNS1_3repE0EEENS1_47radix_sort_onesweep_sort_config_static_selectorELNS0_4arch9wavefront6targetE1EEEvSG_,@function
_ZN7rocprim17ROCPRIM_400000_NS6detail17trampoline_kernelINS0_14default_configENS1_35radix_sort_onesweep_config_selectorIhlEEZZNS1_29radix_sort_onesweep_iterationIS3_Lb0EPhS7_N6thrust23THRUST_200600_302600_NS10device_ptrIlEESB_jNS0_19identity_decomposerENS1_16block_id_wrapperIjLb0EEEEE10hipError_tT1_PNSt15iterator_traitsISG_E10value_typeET2_T3_PNSH_ISM_E10value_typeET4_T5_PSR_SS_PNS1_23onesweep_lookback_stateEbbT6_jjT7_P12ihipStream_tbENKUlT_T0_SG_SL_E_clIS7_S7_SB_PlEEDaSZ_S10_SG_SL_EUlSZ_E_NS1_11comp_targetILNS1_3genE3ELNS1_11target_archE908ELNS1_3gpuE7ELNS1_3repE0EEENS1_47radix_sort_onesweep_sort_config_static_selectorELNS0_4arch9wavefront6targetE1EEEvSG_: ; @_ZN7rocprim17ROCPRIM_400000_NS6detail17trampoline_kernelINS0_14default_configENS1_35radix_sort_onesweep_config_selectorIhlEEZZNS1_29radix_sort_onesweep_iterationIS3_Lb0EPhS7_N6thrust23THRUST_200600_302600_NS10device_ptrIlEESB_jNS0_19identity_decomposerENS1_16block_id_wrapperIjLb0EEEEE10hipError_tT1_PNSt15iterator_traitsISG_E10value_typeET2_T3_PNSH_ISM_E10value_typeET4_T5_PSR_SS_PNS1_23onesweep_lookback_stateEbbT6_jjT7_P12ihipStream_tbENKUlT_T0_SG_SL_E_clIS7_S7_SB_PlEEDaSZ_S10_SG_SL_EUlSZ_E_NS1_11comp_targetILNS1_3genE3ELNS1_11target_archE908ELNS1_3gpuE7ELNS1_3repE0EEENS1_47radix_sort_onesweep_sort_config_static_selectorELNS0_4arch9wavefront6targetE1EEEvSG_
; %bb.0:
	.section	.rodata,"a",@progbits
	.p2align	6, 0x0
	.amdhsa_kernel _ZN7rocprim17ROCPRIM_400000_NS6detail17trampoline_kernelINS0_14default_configENS1_35radix_sort_onesweep_config_selectorIhlEEZZNS1_29radix_sort_onesweep_iterationIS3_Lb0EPhS7_N6thrust23THRUST_200600_302600_NS10device_ptrIlEESB_jNS0_19identity_decomposerENS1_16block_id_wrapperIjLb0EEEEE10hipError_tT1_PNSt15iterator_traitsISG_E10value_typeET2_T3_PNSH_ISM_E10value_typeET4_T5_PSR_SS_PNS1_23onesweep_lookback_stateEbbT6_jjT7_P12ihipStream_tbENKUlT_T0_SG_SL_E_clIS7_S7_SB_PlEEDaSZ_S10_SG_SL_EUlSZ_E_NS1_11comp_targetILNS1_3genE3ELNS1_11target_archE908ELNS1_3gpuE7ELNS1_3repE0EEENS1_47radix_sort_onesweep_sort_config_static_selectorELNS0_4arch9wavefront6targetE1EEEvSG_
		.amdhsa_group_segment_fixed_size 0
		.amdhsa_private_segment_fixed_size 0
		.amdhsa_kernarg_size 88
		.amdhsa_user_sgpr_count 6
		.amdhsa_user_sgpr_private_segment_buffer 1
		.amdhsa_user_sgpr_dispatch_ptr 0
		.amdhsa_user_sgpr_queue_ptr 0
		.amdhsa_user_sgpr_kernarg_segment_ptr 1
		.amdhsa_user_sgpr_dispatch_id 0
		.amdhsa_user_sgpr_flat_scratch_init 0
		.amdhsa_user_sgpr_kernarg_preload_length 0
		.amdhsa_user_sgpr_kernarg_preload_offset 0
		.amdhsa_user_sgpr_private_segment_size 0
		.amdhsa_uses_dynamic_stack 0
		.amdhsa_system_sgpr_private_segment_wavefront_offset 0
		.amdhsa_system_sgpr_workgroup_id_x 1
		.amdhsa_system_sgpr_workgroup_id_y 0
		.amdhsa_system_sgpr_workgroup_id_z 0
		.amdhsa_system_sgpr_workgroup_info 0
		.amdhsa_system_vgpr_workitem_id 0
		.amdhsa_next_free_vgpr 1
		.amdhsa_next_free_sgpr 0
		.amdhsa_accum_offset 4
		.amdhsa_reserve_vcc 0
		.amdhsa_reserve_flat_scratch 0
		.amdhsa_float_round_mode_32 0
		.amdhsa_float_round_mode_16_64 0
		.amdhsa_float_denorm_mode_32 3
		.amdhsa_float_denorm_mode_16_64 3
		.amdhsa_dx10_clamp 1
		.amdhsa_ieee_mode 1
		.amdhsa_fp16_overflow 0
		.amdhsa_tg_split 0
		.amdhsa_exception_fp_ieee_invalid_op 0
		.amdhsa_exception_fp_denorm_src 0
		.amdhsa_exception_fp_ieee_div_zero 0
		.amdhsa_exception_fp_ieee_overflow 0
		.amdhsa_exception_fp_ieee_underflow 0
		.amdhsa_exception_fp_ieee_inexact 0
		.amdhsa_exception_int_div_zero 0
	.end_amdhsa_kernel
	.section	.text._ZN7rocprim17ROCPRIM_400000_NS6detail17trampoline_kernelINS0_14default_configENS1_35radix_sort_onesweep_config_selectorIhlEEZZNS1_29radix_sort_onesweep_iterationIS3_Lb0EPhS7_N6thrust23THRUST_200600_302600_NS10device_ptrIlEESB_jNS0_19identity_decomposerENS1_16block_id_wrapperIjLb0EEEEE10hipError_tT1_PNSt15iterator_traitsISG_E10value_typeET2_T3_PNSH_ISM_E10value_typeET4_T5_PSR_SS_PNS1_23onesweep_lookback_stateEbbT6_jjT7_P12ihipStream_tbENKUlT_T0_SG_SL_E_clIS7_S7_SB_PlEEDaSZ_S10_SG_SL_EUlSZ_E_NS1_11comp_targetILNS1_3genE3ELNS1_11target_archE908ELNS1_3gpuE7ELNS1_3repE0EEENS1_47radix_sort_onesweep_sort_config_static_selectorELNS0_4arch9wavefront6targetE1EEEvSG_,"axG",@progbits,_ZN7rocprim17ROCPRIM_400000_NS6detail17trampoline_kernelINS0_14default_configENS1_35radix_sort_onesweep_config_selectorIhlEEZZNS1_29radix_sort_onesweep_iterationIS3_Lb0EPhS7_N6thrust23THRUST_200600_302600_NS10device_ptrIlEESB_jNS0_19identity_decomposerENS1_16block_id_wrapperIjLb0EEEEE10hipError_tT1_PNSt15iterator_traitsISG_E10value_typeET2_T3_PNSH_ISM_E10value_typeET4_T5_PSR_SS_PNS1_23onesweep_lookback_stateEbbT6_jjT7_P12ihipStream_tbENKUlT_T0_SG_SL_E_clIS7_S7_SB_PlEEDaSZ_S10_SG_SL_EUlSZ_E_NS1_11comp_targetILNS1_3genE3ELNS1_11target_archE908ELNS1_3gpuE7ELNS1_3repE0EEENS1_47radix_sort_onesweep_sort_config_static_selectorELNS0_4arch9wavefront6targetE1EEEvSG_,comdat
.Lfunc_end305:
	.size	_ZN7rocprim17ROCPRIM_400000_NS6detail17trampoline_kernelINS0_14default_configENS1_35radix_sort_onesweep_config_selectorIhlEEZZNS1_29radix_sort_onesweep_iterationIS3_Lb0EPhS7_N6thrust23THRUST_200600_302600_NS10device_ptrIlEESB_jNS0_19identity_decomposerENS1_16block_id_wrapperIjLb0EEEEE10hipError_tT1_PNSt15iterator_traitsISG_E10value_typeET2_T3_PNSH_ISM_E10value_typeET4_T5_PSR_SS_PNS1_23onesweep_lookback_stateEbbT6_jjT7_P12ihipStream_tbENKUlT_T0_SG_SL_E_clIS7_S7_SB_PlEEDaSZ_S10_SG_SL_EUlSZ_E_NS1_11comp_targetILNS1_3genE3ELNS1_11target_archE908ELNS1_3gpuE7ELNS1_3repE0EEENS1_47radix_sort_onesweep_sort_config_static_selectorELNS0_4arch9wavefront6targetE1EEEvSG_, .Lfunc_end305-_ZN7rocprim17ROCPRIM_400000_NS6detail17trampoline_kernelINS0_14default_configENS1_35radix_sort_onesweep_config_selectorIhlEEZZNS1_29radix_sort_onesweep_iterationIS3_Lb0EPhS7_N6thrust23THRUST_200600_302600_NS10device_ptrIlEESB_jNS0_19identity_decomposerENS1_16block_id_wrapperIjLb0EEEEE10hipError_tT1_PNSt15iterator_traitsISG_E10value_typeET2_T3_PNSH_ISM_E10value_typeET4_T5_PSR_SS_PNS1_23onesweep_lookback_stateEbbT6_jjT7_P12ihipStream_tbENKUlT_T0_SG_SL_E_clIS7_S7_SB_PlEEDaSZ_S10_SG_SL_EUlSZ_E_NS1_11comp_targetILNS1_3genE3ELNS1_11target_archE908ELNS1_3gpuE7ELNS1_3repE0EEENS1_47radix_sort_onesweep_sort_config_static_selectorELNS0_4arch9wavefront6targetE1EEEvSG_
                                        ; -- End function
	.section	.AMDGPU.csdata,"",@progbits
; Kernel info:
; codeLenInByte = 0
; NumSgprs: 4
; NumVgprs: 0
; NumAgprs: 0
; TotalNumVgprs: 0
; ScratchSize: 0
; MemoryBound: 0
; FloatMode: 240
; IeeeMode: 1
; LDSByteSize: 0 bytes/workgroup (compile time only)
; SGPRBlocks: 0
; VGPRBlocks: 0
; NumSGPRsForWavesPerEU: 4
; NumVGPRsForWavesPerEU: 1
; AccumOffset: 4
; Occupancy: 8
; WaveLimiterHint : 0
; COMPUTE_PGM_RSRC2:SCRATCH_EN: 0
; COMPUTE_PGM_RSRC2:USER_SGPR: 6
; COMPUTE_PGM_RSRC2:TRAP_HANDLER: 0
; COMPUTE_PGM_RSRC2:TGID_X_EN: 1
; COMPUTE_PGM_RSRC2:TGID_Y_EN: 0
; COMPUTE_PGM_RSRC2:TGID_Z_EN: 0
; COMPUTE_PGM_RSRC2:TIDIG_COMP_CNT: 0
; COMPUTE_PGM_RSRC3_GFX90A:ACCUM_OFFSET: 0
; COMPUTE_PGM_RSRC3_GFX90A:TG_SPLIT: 0
	.section	.text._ZN7rocprim17ROCPRIM_400000_NS6detail17trampoline_kernelINS0_14default_configENS1_35radix_sort_onesweep_config_selectorIhlEEZZNS1_29radix_sort_onesweep_iterationIS3_Lb0EPhS7_N6thrust23THRUST_200600_302600_NS10device_ptrIlEESB_jNS0_19identity_decomposerENS1_16block_id_wrapperIjLb0EEEEE10hipError_tT1_PNSt15iterator_traitsISG_E10value_typeET2_T3_PNSH_ISM_E10value_typeET4_T5_PSR_SS_PNS1_23onesweep_lookback_stateEbbT6_jjT7_P12ihipStream_tbENKUlT_T0_SG_SL_E_clIS7_S7_SB_PlEEDaSZ_S10_SG_SL_EUlSZ_E_NS1_11comp_targetILNS1_3genE10ELNS1_11target_archE1201ELNS1_3gpuE5ELNS1_3repE0EEENS1_47radix_sort_onesweep_sort_config_static_selectorELNS0_4arch9wavefront6targetE1EEEvSG_,"axG",@progbits,_ZN7rocprim17ROCPRIM_400000_NS6detail17trampoline_kernelINS0_14default_configENS1_35radix_sort_onesweep_config_selectorIhlEEZZNS1_29radix_sort_onesweep_iterationIS3_Lb0EPhS7_N6thrust23THRUST_200600_302600_NS10device_ptrIlEESB_jNS0_19identity_decomposerENS1_16block_id_wrapperIjLb0EEEEE10hipError_tT1_PNSt15iterator_traitsISG_E10value_typeET2_T3_PNSH_ISM_E10value_typeET4_T5_PSR_SS_PNS1_23onesweep_lookback_stateEbbT6_jjT7_P12ihipStream_tbENKUlT_T0_SG_SL_E_clIS7_S7_SB_PlEEDaSZ_S10_SG_SL_EUlSZ_E_NS1_11comp_targetILNS1_3genE10ELNS1_11target_archE1201ELNS1_3gpuE5ELNS1_3repE0EEENS1_47radix_sort_onesweep_sort_config_static_selectorELNS0_4arch9wavefront6targetE1EEEvSG_,comdat
	.protected	_ZN7rocprim17ROCPRIM_400000_NS6detail17trampoline_kernelINS0_14default_configENS1_35radix_sort_onesweep_config_selectorIhlEEZZNS1_29radix_sort_onesweep_iterationIS3_Lb0EPhS7_N6thrust23THRUST_200600_302600_NS10device_ptrIlEESB_jNS0_19identity_decomposerENS1_16block_id_wrapperIjLb0EEEEE10hipError_tT1_PNSt15iterator_traitsISG_E10value_typeET2_T3_PNSH_ISM_E10value_typeET4_T5_PSR_SS_PNS1_23onesweep_lookback_stateEbbT6_jjT7_P12ihipStream_tbENKUlT_T0_SG_SL_E_clIS7_S7_SB_PlEEDaSZ_S10_SG_SL_EUlSZ_E_NS1_11comp_targetILNS1_3genE10ELNS1_11target_archE1201ELNS1_3gpuE5ELNS1_3repE0EEENS1_47radix_sort_onesweep_sort_config_static_selectorELNS0_4arch9wavefront6targetE1EEEvSG_ ; -- Begin function _ZN7rocprim17ROCPRIM_400000_NS6detail17trampoline_kernelINS0_14default_configENS1_35radix_sort_onesweep_config_selectorIhlEEZZNS1_29radix_sort_onesweep_iterationIS3_Lb0EPhS7_N6thrust23THRUST_200600_302600_NS10device_ptrIlEESB_jNS0_19identity_decomposerENS1_16block_id_wrapperIjLb0EEEEE10hipError_tT1_PNSt15iterator_traitsISG_E10value_typeET2_T3_PNSH_ISM_E10value_typeET4_T5_PSR_SS_PNS1_23onesweep_lookback_stateEbbT6_jjT7_P12ihipStream_tbENKUlT_T0_SG_SL_E_clIS7_S7_SB_PlEEDaSZ_S10_SG_SL_EUlSZ_E_NS1_11comp_targetILNS1_3genE10ELNS1_11target_archE1201ELNS1_3gpuE5ELNS1_3repE0EEENS1_47radix_sort_onesweep_sort_config_static_selectorELNS0_4arch9wavefront6targetE1EEEvSG_
	.globl	_ZN7rocprim17ROCPRIM_400000_NS6detail17trampoline_kernelINS0_14default_configENS1_35radix_sort_onesweep_config_selectorIhlEEZZNS1_29radix_sort_onesweep_iterationIS3_Lb0EPhS7_N6thrust23THRUST_200600_302600_NS10device_ptrIlEESB_jNS0_19identity_decomposerENS1_16block_id_wrapperIjLb0EEEEE10hipError_tT1_PNSt15iterator_traitsISG_E10value_typeET2_T3_PNSH_ISM_E10value_typeET4_T5_PSR_SS_PNS1_23onesweep_lookback_stateEbbT6_jjT7_P12ihipStream_tbENKUlT_T0_SG_SL_E_clIS7_S7_SB_PlEEDaSZ_S10_SG_SL_EUlSZ_E_NS1_11comp_targetILNS1_3genE10ELNS1_11target_archE1201ELNS1_3gpuE5ELNS1_3repE0EEENS1_47radix_sort_onesweep_sort_config_static_selectorELNS0_4arch9wavefront6targetE1EEEvSG_
	.p2align	8
	.type	_ZN7rocprim17ROCPRIM_400000_NS6detail17trampoline_kernelINS0_14default_configENS1_35radix_sort_onesweep_config_selectorIhlEEZZNS1_29radix_sort_onesweep_iterationIS3_Lb0EPhS7_N6thrust23THRUST_200600_302600_NS10device_ptrIlEESB_jNS0_19identity_decomposerENS1_16block_id_wrapperIjLb0EEEEE10hipError_tT1_PNSt15iterator_traitsISG_E10value_typeET2_T3_PNSH_ISM_E10value_typeET4_T5_PSR_SS_PNS1_23onesweep_lookback_stateEbbT6_jjT7_P12ihipStream_tbENKUlT_T0_SG_SL_E_clIS7_S7_SB_PlEEDaSZ_S10_SG_SL_EUlSZ_E_NS1_11comp_targetILNS1_3genE10ELNS1_11target_archE1201ELNS1_3gpuE5ELNS1_3repE0EEENS1_47radix_sort_onesweep_sort_config_static_selectorELNS0_4arch9wavefront6targetE1EEEvSG_,@function
_ZN7rocprim17ROCPRIM_400000_NS6detail17trampoline_kernelINS0_14default_configENS1_35radix_sort_onesweep_config_selectorIhlEEZZNS1_29radix_sort_onesweep_iterationIS3_Lb0EPhS7_N6thrust23THRUST_200600_302600_NS10device_ptrIlEESB_jNS0_19identity_decomposerENS1_16block_id_wrapperIjLb0EEEEE10hipError_tT1_PNSt15iterator_traitsISG_E10value_typeET2_T3_PNSH_ISM_E10value_typeET4_T5_PSR_SS_PNS1_23onesweep_lookback_stateEbbT6_jjT7_P12ihipStream_tbENKUlT_T0_SG_SL_E_clIS7_S7_SB_PlEEDaSZ_S10_SG_SL_EUlSZ_E_NS1_11comp_targetILNS1_3genE10ELNS1_11target_archE1201ELNS1_3gpuE5ELNS1_3repE0EEENS1_47radix_sort_onesweep_sort_config_static_selectorELNS0_4arch9wavefront6targetE1EEEvSG_: ; @_ZN7rocprim17ROCPRIM_400000_NS6detail17trampoline_kernelINS0_14default_configENS1_35radix_sort_onesweep_config_selectorIhlEEZZNS1_29radix_sort_onesweep_iterationIS3_Lb0EPhS7_N6thrust23THRUST_200600_302600_NS10device_ptrIlEESB_jNS0_19identity_decomposerENS1_16block_id_wrapperIjLb0EEEEE10hipError_tT1_PNSt15iterator_traitsISG_E10value_typeET2_T3_PNSH_ISM_E10value_typeET4_T5_PSR_SS_PNS1_23onesweep_lookback_stateEbbT6_jjT7_P12ihipStream_tbENKUlT_T0_SG_SL_E_clIS7_S7_SB_PlEEDaSZ_S10_SG_SL_EUlSZ_E_NS1_11comp_targetILNS1_3genE10ELNS1_11target_archE1201ELNS1_3gpuE5ELNS1_3repE0EEENS1_47radix_sort_onesweep_sort_config_static_selectorELNS0_4arch9wavefront6targetE1EEEvSG_
; %bb.0:
	.section	.rodata,"a",@progbits
	.p2align	6, 0x0
	.amdhsa_kernel _ZN7rocprim17ROCPRIM_400000_NS6detail17trampoline_kernelINS0_14default_configENS1_35radix_sort_onesweep_config_selectorIhlEEZZNS1_29radix_sort_onesweep_iterationIS3_Lb0EPhS7_N6thrust23THRUST_200600_302600_NS10device_ptrIlEESB_jNS0_19identity_decomposerENS1_16block_id_wrapperIjLb0EEEEE10hipError_tT1_PNSt15iterator_traitsISG_E10value_typeET2_T3_PNSH_ISM_E10value_typeET4_T5_PSR_SS_PNS1_23onesweep_lookback_stateEbbT6_jjT7_P12ihipStream_tbENKUlT_T0_SG_SL_E_clIS7_S7_SB_PlEEDaSZ_S10_SG_SL_EUlSZ_E_NS1_11comp_targetILNS1_3genE10ELNS1_11target_archE1201ELNS1_3gpuE5ELNS1_3repE0EEENS1_47radix_sort_onesweep_sort_config_static_selectorELNS0_4arch9wavefront6targetE1EEEvSG_
		.amdhsa_group_segment_fixed_size 0
		.amdhsa_private_segment_fixed_size 0
		.amdhsa_kernarg_size 88
		.amdhsa_user_sgpr_count 6
		.amdhsa_user_sgpr_private_segment_buffer 1
		.amdhsa_user_sgpr_dispatch_ptr 0
		.amdhsa_user_sgpr_queue_ptr 0
		.amdhsa_user_sgpr_kernarg_segment_ptr 1
		.amdhsa_user_sgpr_dispatch_id 0
		.amdhsa_user_sgpr_flat_scratch_init 0
		.amdhsa_user_sgpr_kernarg_preload_length 0
		.amdhsa_user_sgpr_kernarg_preload_offset 0
		.amdhsa_user_sgpr_private_segment_size 0
		.amdhsa_uses_dynamic_stack 0
		.amdhsa_system_sgpr_private_segment_wavefront_offset 0
		.amdhsa_system_sgpr_workgroup_id_x 1
		.amdhsa_system_sgpr_workgroup_id_y 0
		.amdhsa_system_sgpr_workgroup_id_z 0
		.amdhsa_system_sgpr_workgroup_info 0
		.amdhsa_system_vgpr_workitem_id 0
		.amdhsa_next_free_vgpr 1
		.amdhsa_next_free_sgpr 0
		.amdhsa_accum_offset 4
		.amdhsa_reserve_vcc 0
		.amdhsa_reserve_flat_scratch 0
		.amdhsa_float_round_mode_32 0
		.amdhsa_float_round_mode_16_64 0
		.amdhsa_float_denorm_mode_32 3
		.amdhsa_float_denorm_mode_16_64 3
		.amdhsa_dx10_clamp 1
		.amdhsa_ieee_mode 1
		.amdhsa_fp16_overflow 0
		.amdhsa_tg_split 0
		.amdhsa_exception_fp_ieee_invalid_op 0
		.amdhsa_exception_fp_denorm_src 0
		.amdhsa_exception_fp_ieee_div_zero 0
		.amdhsa_exception_fp_ieee_overflow 0
		.amdhsa_exception_fp_ieee_underflow 0
		.amdhsa_exception_fp_ieee_inexact 0
		.amdhsa_exception_int_div_zero 0
	.end_amdhsa_kernel
	.section	.text._ZN7rocprim17ROCPRIM_400000_NS6detail17trampoline_kernelINS0_14default_configENS1_35radix_sort_onesweep_config_selectorIhlEEZZNS1_29radix_sort_onesweep_iterationIS3_Lb0EPhS7_N6thrust23THRUST_200600_302600_NS10device_ptrIlEESB_jNS0_19identity_decomposerENS1_16block_id_wrapperIjLb0EEEEE10hipError_tT1_PNSt15iterator_traitsISG_E10value_typeET2_T3_PNSH_ISM_E10value_typeET4_T5_PSR_SS_PNS1_23onesweep_lookback_stateEbbT6_jjT7_P12ihipStream_tbENKUlT_T0_SG_SL_E_clIS7_S7_SB_PlEEDaSZ_S10_SG_SL_EUlSZ_E_NS1_11comp_targetILNS1_3genE10ELNS1_11target_archE1201ELNS1_3gpuE5ELNS1_3repE0EEENS1_47radix_sort_onesweep_sort_config_static_selectorELNS0_4arch9wavefront6targetE1EEEvSG_,"axG",@progbits,_ZN7rocprim17ROCPRIM_400000_NS6detail17trampoline_kernelINS0_14default_configENS1_35radix_sort_onesweep_config_selectorIhlEEZZNS1_29radix_sort_onesweep_iterationIS3_Lb0EPhS7_N6thrust23THRUST_200600_302600_NS10device_ptrIlEESB_jNS0_19identity_decomposerENS1_16block_id_wrapperIjLb0EEEEE10hipError_tT1_PNSt15iterator_traitsISG_E10value_typeET2_T3_PNSH_ISM_E10value_typeET4_T5_PSR_SS_PNS1_23onesweep_lookback_stateEbbT6_jjT7_P12ihipStream_tbENKUlT_T0_SG_SL_E_clIS7_S7_SB_PlEEDaSZ_S10_SG_SL_EUlSZ_E_NS1_11comp_targetILNS1_3genE10ELNS1_11target_archE1201ELNS1_3gpuE5ELNS1_3repE0EEENS1_47radix_sort_onesweep_sort_config_static_selectorELNS0_4arch9wavefront6targetE1EEEvSG_,comdat
.Lfunc_end306:
	.size	_ZN7rocprim17ROCPRIM_400000_NS6detail17trampoline_kernelINS0_14default_configENS1_35radix_sort_onesweep_config_selectorIhlEEZZNS1_29radix_sort_onesweep_iterationIS3_Lb0EPhS7_N6thrust23THRUST_200600_302600_NS10device_ptrIlEESB_jNS0_19identity_decomposerENS1_16block_id_wrapperIjLb0EEEEE10hipError_tT1_PNSt15iterator_traitsISG_E10value_typeET2_T3_PNSH_ISM_E10value_typeET4_T5_PSR_SS_PNS1_23onesweep_lookback_stateEbbT6_jjT7_P12ihipStream_tbENKUlT_T0_SG_SL_E_clIS7_S7_SB_PlEEDaSZ_S10_SG_SL_EUlSZ_E_NS1_11comp_targetILNS1_3genE10ELNS1_11target_archE1201ELNS1_3gpuE5ELNS1_3repE0EEENS1_47radix_sort_onesweep_sort_config_static_selectorELNS0_4arch9wavefront6targetE1EEEvSG_, .Lfunc_end306-_ZN7rocprim17ROCPRIM_400000_NS6detail17trampoline_kernelINS0_14default_configENS1_35radix_sort_onesweep_config_selectorIhlEEZZNS1_29radix_sort_onesweep_iterationIS3_Lb0EPhS7_N6thrust23THRUST_200600_302600_NS10device_ptrIlEESB_jNS0_19identity_decomposerENS1_16block_id_wrapperIjLb0EEEEE10hipError_tT1_PNSt15iterator_traitsISG_E10value_typeET2_T3_PNSH_ISM_E10value_typeET4_T5_PSR_SS_PNS1_23onesweep_lookback_stateEbbT6_jjT7_P12ihipStream_tbENKUlT_T0_SG_SL_E_clIS7_S7_SB_PlEEDaSZ_S10_SG_SL_EUlSZ_E_NS1_11comp_targetILNS1_3genE10ELNS1_11target_archE1201ELNS1_3gpuE5ELNS1_3repE0EEENS1_47radix_sort_onesweep_sort_config_static_selectorELNS0_4arch9wavefront6targetE1EEEvSG_
                                        ; -- End function
	.section	.AMDGPU.csdata,"",@progbits
; Kernel info:
; codeLenInByte = 0
; NumSgprs: 4
; NumVgprs: 0
; NumAgprs: 0
; TotalNumVgprs: 0
; ScratchSize: 0
; MemoryBound: 0
; FloatMode: 240
; IeeeMode: 1
; LDSByteSize: 0 bytes/workgroup (compile time only)
; SGPRBlocks: 0
; VGPRBlocks: 0
; NumSGPRsForWavesPerEU: 4
; NumVGPRsForWavesPerEU: 1
; AccumOffset: 4
; Occupancy: 8
; WaveLimiterHint : 0
; COMPUTE_PGM_RSRC2:SCRATCH_EN: 0
; COMPUTE_PGM_RSRC2:USER_SGPR: 6
; COMPUTE_PGM_RSRC2:TRAP_HANDLER: 0
; COMPUTE_PGM_RSRC2:TGID_X_EN: 1
; COMPUTE_PGM_RSRC2:TGID_Y_EN: 0
; COMPUTE_PGM_RSRC2:TGID_Z_EN: 0
; COMPUTE_PGM_RSRC2:TIDIG_COMP_CNT: 0
; COMPUTE_PGM_RSRC3_GFX90A:ACCUM_OFFSET: 0
; COMPUTE_PGM_RSRC3_GFX90A:TG_SPLIT: 0
	.section	.text._ZN7rocprim17ROCPRIM_400000_NS6detail17trampoline_kernelINS0_14default_configENS1_35radix_sort_onesweep_config_selectorIhlEEZZNS1_29radix_sort_onesweep_iterationIS3_Lb0EPhS7_N6thrust23THRUST_200600_302600_NS10device_ptrIlEESB_jNS0_19identity_decomposerENS1_16block_id_wrapperIjLb0EEEEE10hipError_tT1_PNSt15iterator_traitsISG_E10value_typeET2_T3_PNSH_ISM_E10value_typeET4_T5_PSR_SS_PNS1_23onesweep_lookback_stateEbbT6_jjT7_P12ihipStream_tbENKUlT_T0_SG_SL_E_clIS7_S7_SB_PlEEDaSZ_S10_SG_SL_EUlSZ_E_NS1_11comp_targetILNS1_3genE9ELNS1_11target_archE1100ELNS1_3gpuE3ELNS1_3repE0EEENS1_47radix_sort_onesweep_sort_config_static_selectorELNS0_4arch9wavefront6targetE1EEEvSG_,"axG",@progbits,_ZN7rocprim17ROCPRIM_400000_NS6detail17trampoline_kernelINS0_14default_configENS1_35radix_sort_onesweep_config_selectorIhlEEZZNS1_29radix_sort_onesweep_iterationIS3_Lb0EPhS7_N6thrust23THRUST_200600_302600_NS10device_ptrIlEESB_jNS0_19identity_decomposerENS1_16block_id_wrapperIjLb0EEEEE10hipError_tT1_PNSt15iterator_traitsISG_E10value_typeET2_T3_PNSH_ISM_E10value_typeET4_T5_PSR_SS_PNS1_23onesweep_lookback_stateEbbT6_jjT7_P12ihipStream_tbENKUlT_T0_SG_SL_E_clIS7_S7_SB_PlEEDaSZ_S10_SG_SL_EUlSZ_E_NS1_11comp_targetILNS1_3genE9ELNS1_11target_archE1100ELNS1_3gpuE3ELNS1_3repE0EEENS1_47radix_sort_onesweep_sort_config_static_selectorELNS0_4arch9wavefront6targetE1EEEvSG_,comdat
	.protected	_ZN7rocprim17ROCPRIM_400000_NS6detail17trampoline_kernelINS0_14default_configENS1_35radix_sort_onesweep_config_selectorIhlEEZZNS1_29radix_sort_onesweep_iterationIS3_Lb0EPhS7_N6thrust23THRUST_200600_302600_NS10device_ptrIlEESB_jNS0_19identity_decomposerENS1_16block_id_wrapperIjLb0EEEEE10hipError_tT1_PNSt15iterator_traitsISG_E10value_typeET2_T3_PNSH_ISM_E10value_typeET4_T5_PSR_SS_PNS1_23onesweep_lookback_stateEbbT6_jjT7_P12ihipStream_tbENKUlT_T0_SG_SL_E_clIS7_S7_SB_PlEEDaSZ_S10_SG_SL_EUlSZ_E_NS1_11comp_targetILNS1_3genE9ELNS1_11target_archE1100ELNS1_3gpuE3ELNS1_3repE0EEENS1_47radix_sort_onesweep_sort_config_static_selectorELNS0_4arch9wavefront6targetE1EEEvSG_ ; -- Begin function _ZN7rocprim17ROCPRIM_400000_NS6detail17trampoline_kernelINS0_14default_configENS1_35radix_sort_onesweep_config_selectorIhlEEZZNS1_29radix_sort_onesweep_iterationIS3_Lb0EPhS7_N6thrust23THRUST_200600_302600_NS10device_ptrIlEESB_jNS0_19identity_decomposerENS1_16block_id_wrapperIjLb0EEEEE10hipError_tT1_PNSt15iterator_traitsISG_E10value_typeET2_T3_PNSH_ISM_E10value_typeET4_T5_PSR_SS_PNS1_23onesweep_lookback_stateEbbT6_jjT7_P12ihipStream_tbENKUlT_T0_SG_SL_E_clIS7_S7_SB_PlEEDaSZ_S10_SG_SL_EUlSZ_E_NS1_11comp_targetILNS1_3genE9ELNS1_11target_archE1100ELNS1_3gpuE3ELNS1_3repE0EEENS1_47radix_sort_onesweep_sort_config_static_selectorELNS0_4arch9wavefront6targetE1EEEvSG_
	.globl	_ZN7rocprim17ROCPRIM_400000_NS6detail17trampoline_kernelINS0_14default_configENS1_35radix_sort_onesweep_config_selectorIhlEEZZNS1_29radix_sort_onesweep_iterationIS3_Lb0EPhS7_N6thrust23THRUST_200600_302600_NS10device_ptrIlEESB_jNS0_19identity_decomposerENS1_16block_id_wrapperIjLb0EEEEE10hipError_tT1_PNSt15iterator_traitsISG_E10value_typeET2_T3_PNSH_ISM_E10value_typeET4_T5_PSR_SS_PNS1_23onesweep_lookback_stateEbbT6_jjT7_P12ihipStream_tbENKUlT_T0_SG_SL_E_clIS7_S7_SB_PlEEDaSZ_S10_SG_SL_EUlSZ_E_NS1_11comp_targetILNS1_3genE9ELNS1_11target_archE1100ELNS1_3gpuE3ELNS1_3repE0EEENS1_47radix_sort_onesweep_sort_config_static_selectorELNS0_4arch9wavefront6targetE1EEEvSG_
	.p2align	8
	.type	_ZN7rocprim17ROCPRIM_400000_NS6detail17trampoline_kernelINS0_14default_configENS1_35radix_sort_onesweep_config_selectorIhlEEZZNS1_29radix_sort_onesweep_iterationIS3_Lb0EPhS7_N6thrust23THRUST_200600_302600_NS10device_ptrIlEESB_jNS0_19identity_decomposerENS1_16block_id_wrapperIjLb0EEEEE10hipError_tT1_PNSt15iterator_traitsISG_E10value_typeET2_T3_PNSH_ISM_E10value_typeET4_T5_PSR_SS_PNS1_23onesweep_lookback_stateEbbT6_jjT7_P12ihipStream_tbENKUlT_T0_SG_SL_E_clIS7_S7_SB_PlEEDaSZ_S10_SG_SL_EUlSZ_E_NS1_11comp_targetILNS1_3genE9ELNS1_11target_archE1100ELNS1_3gpuE3ELNS1_3repE0EEENS1_47radix_sort_onesweep_sort_config_static_selectorELNS0_4arch9wavefront6targetE1EEEvSG_,@function
_ZN7rocprim17ROCPRIM_400000_NS6detail17trampoline_kernelINS0_14default_configENS1_35radix_sort_onesweep_config_selectorIhlEEZZNS1_29radix_sort_onesweep_iterationIS3_Lb0EPhS7_N6thrust23THRUST_200600_302600_NS10device_ptrIlEESB_jNS0_19identity_decomposerENS1_16block_id_wrapperIjLb0EEEEE10hipError_tT1_PNSt15iterator_traitsISG_E10value_typeET2_T3_PNSH_ISM_E10value_typeET4_T5_PSR_SS_PNS1_23onesweep_lookback_stateEbbT6_jjT7_P12ihipStream_tbENKUlT_T0_SG_SL_E_clIS7_S7_SB_PlEEDaSZ_S10_SG_SL_EUlSZ_E_NS1_11comp_targetILNS1_3genE9ELNS1_11target_archE1100ELNS1_3gpuE3ELNS1_3repE0EEENS1_47radix_sort_onesweep_sort_config_static_selectorELNS0_4arch9wavefront6targetE1EEEvSG_: ; @_ZN7rocprim17ROCPRIM_400000_NS6detail17trampoline_kernelINS0_14default_configENS1_35radix_sort_onesweep_config_selectorIhlEEZZNS1_29radix_sort_onesweep_iterationIS3_Lb0EPhS7_N6thrust23THRUST_200600_302600_NS10device_ptrIlEESB_jNS0_19identity_decomposerENS1_16block_id_wrapperIjLb0EEEEE10hipError_tT1_PNSt15iterator_traitsISG_E10value_typeET2_T3_PNSH_ISM_E10value_typeET4_T5_PSR_SS_PNS1_23onesweep_lookback_stateEbbT6_jjT7_P12ihipStream_tbENKUlT_T0_SG_SL_E_clIS7_S7_SB_PlEEDaSZ_S10_SG_SL_EUlSZ_E_NS1_11comp_targetILNS1_3genE9ELNS1_11target_archE1100ELNS1_3gpuE3ELNS1_3repE0EEENS1_47radix_sort_onesweep_sort_config_static_selectorELNS0_4arch9wavefront6targetE1EEEvSG_
; %bb.0:
	.section	.rodata,"a",@progbits
	.p2align	6, 0x0
	.amdhsa_kernel _ZN7rocprim17ROCPRIM_400000_NS6detail17trampoline_kernelINS0_14default_configENS1_35radix_sort_onesweep_config_selectorIhlEEZZNS1_29radix_sort_onesweep_iterationIS3_Lb0EPhS7_N6thrust23THRUST_200600_302600_NS10device_ptrIlEESB_jNS0_19identity_decomposerENS1_16block_id_wrapperIjLb0EEEEE10hipError_tT1_PNSt15iterator_traitsISG_E10value_typeET2_T3_PNSH_ISM_E10value_typeET4_T5_PSR_SS_PNS1_23onesweep_lookback_stateEbbT6_jjT7_P12ihipStream_tbENKUlT_T0_SG_SL_E_clIS7_S7_SB_PlEEDaSZ_S10_SG_SL_EUlSZ_E_NS1_11comp_targetILNS1_3genE9ELNS1_11target_archE1100ELNS1_3gpuE3ELNS1_3repE0EEENS1_47radix_sort_onesweep_sort_config_static_selectorELNS0_4arch9wavefront6targetE1EEEvSG_
		.amdhsa_group_segment_fixed_size 0
		.amdhsa_private_segment_fixed_size 0
		.amdhsa_kernarg_size 88
		.amdhsa_user_sgpr_count 6
		.amdhsa_user_sgpr_private_segment_buffer 1
		.amdhsa_user_sgpr_dispatch_ptr 0
		.amdhsa_user_sgpr_queue_ptr 0
		.amdhsa_user_sgpr_kernarg_segment_ptr 1
		.amdhsa_user_sgpr_dispatch_id 0
		.amdhsa_user_sgpr_flat_scratch_init 0
		.amdhsa_user_sgpr_kernarg_preload_length 0
		.amdhsa_user_sgpr_kernarg_preload_offset 0
		.amdhsa_user_sgpr_private_segment_size 0
		.amdhsa_uses_dynamic_stack 0
		.amdhsa_system_sgpr_private_segment_wavefront_offset 0
		.amdhsa_system_sgpr_workgroup_id_x 1
		.amdhsa_system_sgpr_workgroup_id_y 0
		.amdhsa_system_sgpr_workgroup_id_z 0
		.amdhsa_system_sgpr_workgroup_info 0
		.amdhsa_system_vgpr_workitem_id 0
		.amdhsa_next_free_vgpr 1
		.amdhsa_next_free_sgpr 0
		.amdhsa_accum_offset 4
		.amdhsa_reserve_vcc 0
		.amdhsa_reserve_flat_scratch 0
		.amdhsa_float_round_mode_32 0
		.amdhsa_float_round_mode_16_64 0
		.amdhsa_float_denorm_mode_32 3
		.amdhsa_float_denorm_mode_16_64 3
		.amdhsa_dx10_clamp 1
		.amdhsa_ieee_mode 1
		.amdhsa_fp16_overflow 0
		.amdhsa_tg_split 0
		.amdhsa_exception_fp_ieee_invalid_op 0
		.amdhsa_exception_fp_denorm_src 0
		.amdhsa_exception_fp_ieee_div_zero 0
		.amdhsa_exception_fp_ieee_overflow 0
		.amdhsa_exception_fp_ieee_underflow 0
		.amdhsa_exception_fp_ieee_inexact 0
		.amdhsa_exception_int_div_zero 0
	.end_amdhsa_kernel
	.section	.text._ZN7rocprim17ROCPRIM_400000_NS6detail17trampoline_kernelINS0_14default_configENS1_35radix_sort_onesweep_config_selectorIhlEEZZNS1_29radix_sort_onesweep_iterationIS3_Lb0EPhS7_N6thrust23THRUST_200600_302600_NS10device_ptrIlEESB_jNS0_19identity_decomposerENS1_16block_id_wrapperIjLb0EEEEE10hipError_tT1_PNSt15iterator_traitsISG_E10value_typeET2_T3_PNSH_ISM_E10value_typeET4_T5_PSR_SS_PNS1_23onesweep_lookback_stateEbbT6_jjT7_P12ihipStream_tbENKUlT_T0_SG_SL_E_clIS7_S7_SB_PlEEDaSZ_S10_SG_SL_EUlSZ_E_NS1_11comp_targetILNS1_3genE9ELNS1_11target_archE1100ELNS1_3gpuE3ELNS1_3repE0EEENS1_47radix_sort_onesweep_sort_config_static_selectorELNS0_4arch9wavefront6targetE1EEEvSG_,"axG",@progbits,_ZN7rocprim17ROCPRIM_400000_NS6detail17trampoline_kernelINS0_14default_configENS1_35radix_sort_onesweep_config_selectorIhlEEZZNS1_29radix_sort_onesweep_iterationIS3_Lb0EPhS7_N6thrust23THRUST_200600_302600_NS10device_ptrIlEESB_jNS0_19identity_decomposerENS1_16block_id_wrapperIjLb0EEEEE10hipError_tT1_PNSt15iterator_traitsISG_E10value_typeET2_T3_PNSH_ISM_E10value_typeET4_T5_PSR_SS_PNS1_23onesweep_lookback_stateEbbT6_jjT7_P12ihipStream_tbENKUlT_T0_SG_SL_E_clIS7_S7_SB_PlEEDaSZ_S10_SG_SL_EUlSZ_E_NS1_11comp_targetILNS1_3genE9ELNS1_11target_archE1100ELNS1_3gpuE3ELNS1_3repE0EEENS1_47radix_sort_onesweep_sort_config_static_selectorELNS0_4arch9wavefront6targetE1EEEvSG_,comdat
.Lfunc_end307:
	.size	_ZN7rocprim17ROCPRIM_400000_NS6detail17trampoline_kernelINS0_14default_configENS1_35radix_sort_onesweep_config_selectorIhlEEZZNS1_29radix_sort_onesweep_iterationIS3_Lb0EPhS7_N6thrust23THRUST_200600_302600_NS10device_ptrIlEESB_jNS0_19identity_decomposerENS1_16block_id_wrapperIjLb0EEEEE10hipError_tT1_PNSt15iterator_traitsISG_E10value_typeET2_T3_PNSH_ISM_E10value_typeET4_T5_PSR_SS_PNS1_23onesweep_lookback_stateEbbT6_jjT7_P12ihipStream_tbENKUlT_T0_SG_SL_E_clIS7_S7_SB_PlEEDaSZ_S10_SG_SL_EUlSZ_E_NS1_11comp_targetILNS1_3genE9ELNS1_11target_archE1100ELNS1_3gpuE3ELNS1_3repE0EEENS1_47radix_sort_onesweep_sort_config_static_selectorELNS0_4arch9wavefront6targetE1EEEvSG_, .Lfunc_end307-_ZN7rocprim17ROCPRIM_400000_NS6detail17trampoline_kernelINS0_14default_configENS1_35radix_sort_onesweep_config_selectorIhlEEZZNS1_29radix_sort_onesweep_iterationIS3_Lb0EPhS7_N6thrust23THRUST_200600_302600_NS10device_ptrIlEESB_jNS0_19identity_decomposerENS1_16block_id_wrapperIjLb0EEEEE10hipError_tT1_PNSt15iterator_traitsISG_E10value_typeET2_T3_PNSH_ISM_E10value_typeET4_T5_PSR_SS_PNS1_23onesweep_lookback_stateEbbT6_jjT7_P12ihipStream_tbENKUlT_T0_SG_SL_E_clIS7_S7_SB_PlEEDaSZ_S10_SG_SL_EUlSZ_E_NS1_11comp_targetILNS1_3genE9ELNS1_11target_archE1100ELNS1_3gpuE3ELNS1_3repE0EEENS1_47radix_sort_onesweep_sort_config_static_selectorELNS0_4arch9wavefront6targetE1EEEvSG_
                                        ; -- End function
	.section	.AMDGPU.csdata,"",@progbits
; Kernel info:
; codeLenInByte = 0
; NumSgprs: 4
; NumVgprs: 0
; NumAgprs: 0
; TotalNumVgprs: 0
; ScratchSize: 0
; MemoryBound: 0
; FloatMode: 240
; IeeeMode: 1
; LDSByteSize: 0 bytes/workgroup (compile time only)
; SGPRBlocks: 0
; VGPRBlocks: 0
; NumSGPRsForWavesPerEU: 4
; NumVGPRsForWavesPerEU: 1
; AccumOffset: 4
; Occupancy: 8
; WaveLimiterHint : 0
; COMPUTE_PGM_RSRC2:SCRATCH_EN: 0
; COMPUTE_PGM_RSRC2:USER_SGPR: 6
; COMPUTE_PGM_RSRC2:TRAP_HANDLER: 0
; COMPUTE_PGM_RSRC2:TGID_X_EN: 1
; COMPUTE_PGM_RSRC2:TGID_Y_EN: 0
; COMPUTE_PGM_RSRC2:TGID_Z_EN: 0
; COMPUTE_PGM_RSRC2:TIDIG_COMP_CNT: 0
; COMPUTE_PGM_RSRC3_GFX90A:ACCUM_OFFSET: 0
; COMPUTE_PGM_RSRC3_GFX90A:TG_SPLIT: 0
	.section	.text._ZN7rocprim17ROCPRIM_400000_NS6detail17trampoline_kernelINS0_14default_configENS1_35radix_sort_onesweep_config_selectorIhlEEZZNS1_29radix_sort_onesweep_iterationIS3_Lb0EPhS7_N6thrust23THRUST_200600_302600_NS10device_ptrIlEESB_jNS0_19identity_decomposerENS1_16block_id_wrapperIjLb0EEEEE10hipError_tT1_PNSt15iterator_traitsISG_E10value_typeET2_T3_PNSH_ISM_E10value_typeET4_T5_PSR_SS_PNS1_23onesweep_lookback_stateEbbT6_jjT7_P12ihipStream_tbENKUlT_T0_SG_SL_E_clIS7_S7_SB_PlEEDaSZ_S10_SG_SL_EUlSZ_E_NS1_11comp_targetILNS1_3genE8ELNS1_11target_archE1030ELNS1_3gpuE2ELNS1_3repE0EEENS1_47radix_sort_onesweep_sort_config_static_selectorELNS0_4arch9wavefront6targetE1EEEvSG_,"axG",@progbits,_ZN7rocprim17ROCPRIM_400000_NS6detail17trampoline_kernelINS0_14default_configENS1_35radix_sort_onesweep_config_selectorIhlEEZZNS1_29radix_sort_onesweep_iterationIS3_Lb0EPhS7_N6thrust23THRUST_200600_302600_NS10device_ptrIlEESB_jNS0_19identity_decomposerENS1_16block_id_wrapperIjLb0EEEEE10hipError_tT1_PNSt15iterator_traitsISG_E10value_typeET2_T3_PNSH_ISM_E10value_typeET4_T5_PSR_SS_PNS1_23onesweep_lookback_stateEbbT6_jjT7_P12ihipStream_tbENKUlT_T0_SG_SL_E_clIS7_S7_SB_PlEEDaSZ_S10_SG_SL_EUlSZ_E_NS1_11comp_targetILNS1_3genE8ELNS1_11target_archE1030ELNS1_3gpuE2ELNS1_3repE0EEENS1_47radix_sort_onesweep_sort_config_static_selectorELNS0_4arch9wavefront6targetE1EEEvSG_,comdat
	.protected	_ZN7rocprim17ROCPRIM_400000_NS6detail17trampoline_kernelINS0_14default_configENS1_35radix_sort_onesweep_config_selectorIhlEEZZNS1_29radix_sort_onesweep_iterationIS3_Lb0EPhS7_N6thrust23THRUST_200600_302600_NS10device_ptrIlEESB_jNS0_19identity_decomposerENS1_16block_id_wrapperIjLb0EEEEE10hipError_tT1_PNSt15iterator_traitsISG_E10value_typeET2_T3_PNSH_ISM_E10value_typeET4_T5_PSR_SS_PNS1_23onesweep_lookback_stateEbbT6_jjT7_P12ihipStream_tbENKUlT_T0_SG_SL_E_clIS7_S7_SB_PlEEDaSZ_S10_SG_SL_EUlSZ_E_NS1_11comp_targetILNS1_3genE8ELNS1_11target_archE1030ELNS1_3gpuE2ELNS1_3repE0EEENS1_47radix_sort_onesweep_sort_config_static_selectorELNS0_4arch9wavefront6targetE1EEEvSG_ ; -- Begin function _ZN7rocprim17ROCPRIM_400000_NS6detail17trampoline_kernelINS0_14default_configENS1_35radix_sort_onesweep_config_selectorIhlEEZZNS1_29radix_sort_onesweep_iterationIS3_Lb0EPhS7_N6thrust23THRUST_200600_302600_NS10device_ptrIlEESB_jNS0_19identity_decomposerENS1_16block_id_wrapperIjLb0EEEEE10hipError_tT1_PNSt15iterator_traitsISG_E10value_typeET2_T3_PNSH_ISM_E10value_typeET4_T5_PSR_SS_PNS1_23onesweep_lookback_stateEbbT6_jjT7_P12ihipStream_tbENKUlT_T0_SG_SL_E_clIS7_S7_SB_PlEEDaSZ_S10_SG_SL_EUlSZ_E_NS1_11comp_targetILNS1_3genE8ELNS1_11target_archE1030ELNS1_3gpuE2ELNS1_3repE0EEENS1_47radix_sort_onesweep_sort_config_static_selectorELNS0_4arch9wavefront6targetE1EEEvSG_
	.globl	_ZN7rocprim17ROCPRIM_400000_NS6detail17trampoline_kernelINS0_14default_configENS1_35radix_sort_onesweep_config_selectorIhlEEZZNS1_29radix_sort_onesweep_iterationIS3_Lb0EPhS7_N6thrust23THRUST_200600_302600_NS10device_ptrIlEESB_jNS0_19identity_decomposerENS1_16block_id_wrapperIjLb0EEEEE10hipError_tT1_PNSt15iterator_traitsISG_E10value_typeET2_T3_PNSH_ISM_E10value_typeET4_T5_PSR_SS_PNS1_23onesweep_lookback_stateEbbT6_jjT7_P12ihipStream_tbENKUlT_T0_SG_SL_E_clIS7_S7_SB_PlEEDaSZ_S10_SG_SL_EUlSZ_E_NS1_11comp_targetILNS1_3genE8ELNS1_11target_archE1030ELNS1_3gpuE2ELNS1_3repE0EEENS1_47radix_sort_onesweep_sort_config_static_selectorELNS0_4arch9wavefront6targetE1EEEvSG_
	.p2align	8
	.type	_ZN7rocprim17ROCPRIM_400000_NS6detail17trampoline_kernelINS0_14default_configENS1_35radix_sort_onesweep_config_selectorIhlEEZZNS1_29radix_sort_onesweep_iterationIS3_Lb0EPhS7_N6thrust23THRUST_200600_302600_NS10device_ptrIlEESB_jNS0_19identity_decomposerENS1_16block_id_wrapperIjLb0EEEEE10hipError_tT1_PNSt15iterator_traitsISG_E10value_typeET2_T3_PNSH_ISM_E10value_typeET4_T5_PSR_SS_PNS1_23onesweep_lookback_stateEbbT6_jjT7_P12ihipStream_tbENKUlT_T0_SG_SL_E_clIS7_S7_SB_PlEEDaSZ_S10_SG_SL_EUlSZ_E_NS1_11comp_targetILNS1_3genE8ELNS1_11target_archE1030ELNS1_3gpuE2ELNS1_3repE0EEENS1_47radix_sort_onesweep_sort_config_static_selectorELNS0_4arch9wavefront6targetE1EEEvSG_,@function
_ZN7rocprim17ROCPRIM_400000_NS6detail17trampoline_kernelINS0_14default_configENS1_35radix_sort_onesweep_config_selectorIhlEEZZNS1_29radix_sort_onesweep_iterationIS3_Lb0EPhS7_N6thrust23THRUST_200600_302600_NS10device_ptrIlEESB_jNS0_19identity_decomposerENS1_16block_id_wrapperIjLb0EEEEE10hipError_tT1_PNSt15iterator_traitsISG_E10value_typeET2_T3_PNSH_ISM_E10value_typeET4_T5_PSR_SS_PNS1_23onesweep_lookback_stateEbbT6_jjT7_P12ihipStream_tbENKUlT_T0_SG_SL_E_clIS7_S7_SB_PlEEDaSZ_S10_SG_SL_EUlSZ_E_NS1_11comp_targetILNS1_3genE8ELNS1_11target_archE1030ELNS1_3gpuE2ELNS1_3repE0EEENS1_47radix_sort_onesweep_sort_config_static_selectorELNS0_4arch9wavefront6targetE1EEEvSG_: ; @_ZN7rocprim17ROCPRIM_400000_NS6detail17trampoline_kernelINS0_14default_configENS1_35radix_sort_onesweep_config_selectorIhlEEZZNS1_29radix_sort_onesweep_iterationIS3_Lb0EPhS7_N6thrust23THRUST_200600_302600_NS10device_ptrIlEESB_jNS0_19identity_decomposerENS1_16block_id_wrapperIjLb0EEEEE10hipError_tT1_PNSt15iterator_traitsISG_E10value_typeET2_T3_PNSH_ISM_E10value_typeET4_T5_PSR_SS_PNS1_23onesweep_lookback_stateEbbT6_jjT7_P12ihipStream_tbENKUlT_T0_SG_SL_E_clIS7_S7_SB_PlEEDaSZ_S10_SG_SL_EUlSZ_E_NS1_11comp_targetILNS1_3genE8ELNS1_11target_archE1030ELNS1_3gpuE2ELNS1_3repE0EEENS1_47radix_sort_onesweep_sort_config_static_selectorELNS0_4arch9wavefront6targetE1EEEvSG_
; %bb.0:
	.section	.rodata,"a",@progbits
	.p2align	6, 0x0
	.amdhsa_kernel _ZN7rocprim17ROCPRIM_400000_NS6detail17trampoline_kernelINS0_14default_configENS1_35radix_sort_onesweep_config_selectorIhlEEZZNS1_29radix_sort_onesweep_iterationIS3_Lb0EPhS7_N6thrust23THRUST_200600_302600_NS10device_ptrIlEESB_jNS0_19identity_decomposerENS1_16block_id_wrapperIjLb0EEEEE10hipError_tT1_PNSt15iterator_traitsISG_E10value_typeET2_T3_PNSH_ISM_E10value_typeET4_T5_PSR_SS_PNS1_23onesweep_lookback_stateEbbT6_jjT7_P12ihipStream_tbENKUlT_T0_SG_SL_E_clIS7_S7_SB_PlEEDaSZ_S10_SG_SL_EUlSZ_E_NS1_11comp_targetILNS1_3genE8ELNS1_11target_archE1030ELNS1_3gpuE2ELNS1_3repE0EEENS1_47radix_sort_onesweep_sort_config_static_selectorELNS0_4arch9wavefront6targetE1EEEvSG_
		.amdhsa_group_segment_fixed_size 0
		.amdhsa_private_segment_fixed_size 0
		.amdhsa_kernarg_size 88
		.amdhsa_user_sgpr_count 6
		.amdhsa_user_sgpr_private_segment_buffer 1
		.amdhsa_user_sgpr_dispatch_ptr 0
		.amdhsa_user_sgpr_queue_ptr 0
		.amdhsa_user_sgpr_kernarg_segment_ptr 1
		.amdhsa_user_sgpr_dispatch_id 0
		.amdhsa_user_sgpr_flat_scratch_init 0
		.amdhsa_user_sgpr_kernarg_preload_length 0
		.amdhsa_user_sgpr_kernarg_preload_offset 0
		.amdhsa_user_sgpr_private_segment_size 0
		.amdhsa_uses_dynamic_stack 0
		.amdhsa_system_sgpr_private_segment_wavefront_offset 0
		.amdhsa_system_sgpr_workgroup_id_x 1
		.amdhsa_system_sgpr_workgroup_id_y 0
		.amdhsa_system_sgpr_workgroup_id_z 0
		.amdhsa_system_sgpr_workgroup_info 0
		.amdhsa_system_vgpr_workitem_id 0
		.amdhsa_next_free_vgpr 1
		.amdhsa_next_free_sgpr 0
		.amdhsa_accum_offset 4
		.amdhsa_reserve_vcc 0
		.amdhsa_reserve_flat_scratch 0
		.amdhsa_float_round_mode_32 0
		.amdhsa_float_round_mode_16_64 0
		.amdhsa_float_denorm_mode_32 3
		.amdhsa_float_denorm_mode_16_64 3
		.amdhsa_dx10_clamp 1
		.amdhsa_ieee_mode 1
		.amdhsa_fp16_overflow 0
		.amdhsa_tg_split 0
		.amdhsa_exception_fp_ieee_invalid_op 0
		.amdhsa_exception_fp_denorm_src 0
		.amdhsa_exception_fp_ieee_div_zero 0
		.amdhsa_exception_fp_ieee_overflow 0
		.amdhsa_exception_fp_ieee_underflow 0
		.amdhsa_exception_fp_ieee_inexact 0
		.amdhsa_exception_int_div_zero 0
	.end_amdhsa_kernel
	.section	.text._ZN7rocprim17ROCPRIM_400000_NS6detail17trampoline_kernelINS0_14default_configENS1_35radix_sort_onesweep_config_selectorIhlEEZZNS1_29radix_sort_onesweep_iterationIS3_Lb0EPhS7_N6thrust23THRUST_200600_302600_NS10device_ptrIlEESB_jNS0_19identity_decomposerENS1_16block_id_wrapperIjLb0EEEEE10hipError_tT1_PNSt15iterator_traitsISG_E10value_typeET2_T3_PNSH_ISM_E10value_typeET4_T5_PSR_SS_PNS1_23onesweep_lookback_stateEbbT6_jjT7_P12ihipStream_tbENKUlT_T0_SG_SL_E_clIS7_S7_SB_PlEEDaSZ_S10_SG_SL_EUlSZ_E_NS1_11comp_targetILNS1_3genE8ELNS1_11target_archE1030ELNS1_3gpuE2ELNS1_3repE0EEENS1_47radix_sort_onesweep_sort_config_static_selectorELNS0_4arch9wavefront6targetE1EEEvSG_,"axG",@progbits,_ZN7rocprim17ROCPRIM_400000_NS6detail17trampoline_kernelINS0_14default_configENS1_35radix_sort_onesweep_config_selectorIhlEEZZNS1_29radix_sort_onesweep_iterationIS3_Lb0EPhS7_N6thrust23THRUST_200600_302600_NS10device_ptrIlEESB_jNS0_19identity_decomposerENS1_16block_id_wrapperIjLb0EEEEE10hipError_tT1_PNSt15iterator_traitsISG_E10value_typeET2_T3_PNSH_ISM_E10value_typeET4_T5_PSR_SS_PNS1_23onesweep_lookback_stateEbbT6_jjT7_P12ihipStream_tbENKUlT_T0_SG_SL_E_clIS7_S7_SB_PlEEDaSZ_S10_SG_SL_EUlSZ_E_NS1_11comp_targetILNS1_3genE8ELNS1_11target_archE1030ELNS1_3gpuE2ELNS1_3repE0EEENS1_47radix_sort_onesweep_sort_config_static_selectorELNS0_4arch9wavefront6targetE1EEEvSG_,comdat
.Lfunc_end308:
	.size	_ZN7rocprim17ROCPRIM_400000_NS6detail17trampoline_kernelINS0_14default_configENS1_35radix_sort_onesweep_config_selectorIhlEEZZNS1_29radix_sort_onesweep_iterationIS3_Lb0EPhS7_N6thrust23THRUST_200600_302600_NS10device_ptrIlEESB_jNS0_19identity_decomposerENS1_16block_id_wrapperIjLb0EEEEE10hipError_tT1_PNSt15iterator_traitsISG_E10value_typeET2_T3_PNSH_ISM_E10value_typeET4_T5_PSR_SS_PNS1_23onesweep_lookback_stateEbbT6_jjT7_P12ihipStream_tbENKUlT_T0_SG_SL_E_clIS7_S7_SB_PlEEDaSZ_S10_SG_SL_EUlSZ_E_NS1_11comp_targetILNS1_3genE8ELNS1_11target_archE1030ELNS1_3gpuE2ELNS1_3repE0EEENS1_47radix_sort_onesweep_sort_config_static_selectorELNS0_4arch9wavefront6targetE1EEEvSG_, .Lfunc_end308-_ZN7rocprim17ROCPRIM_400000_NS6detail17trampoline_kernelINS0_14default_configENS1_35radix_sort_onesweep_config_selectorIhlEEZZNS1_29radix_sort_onesweep_iterationIS3_Lb0EPhS7_N6thrust23THRUST_200600_302600_NS10device_ptrIlEESB_jNS0_19identity_decomposerENS1_16block_id_wrapperIjLb0EEEEE10hipError_tT1_PNSt15iterator_traitsISG_E10value_typeET2_T3_PNSH_ISM_E10value_typeET4_T5_PSR_SS_PNS1_23onesweep_lookback_stateEbbT6_jjT7_P12ihipStream_tbENKUlT_T0_SG_SL_E_clIS7_S7_SB_PlEEDaSZ_S10_SG_SL_EUlSZ_E_NS1_11comp_targetILNS1_3genE8ELNS1_11target_archE1030ELNS1_3gpuE2ELNS1_3repE0EEENS1_47radix_sort_onesweep_sort_config_static_selectorELNS0_4arch9wavefront6targetE1EEEvSG_
                                        ; -- End function
	.section	.AMDGPU.csdata,"",@progbits
; Kernel info:
; codeLenInByte = 0
; NumSgprs: 4
; NumVgprs: 0
; NumAgprs: 0
; TotalNumVgprs: 0
; ScratchSize: 0
; MemoryBound: 0
; FloatMode: 240
; IeeeMode: 1
; LDSByteSize: 0 bytes/workgroup (compile time only)
; SGPRBlocks: 0
; VGPRBlocks: 0
; NumSGPRsForWavesPerEU: 4
; NumVGPRsForWavesPerEU: 1
; AccumOffset: 4
; Occupancy: 8
; WaveLimiterHint : 0
; COMPUTE_PGM_RSRC2:SCRATCH_EN: 0
; COMPUTE_PGM_RSRC2:USER_SGPR: 6
; COMPUTE_PGM_RSRC2:TRAP_HANDLER: 0
; COMPUTE_PGM_RSRC2:TGID_X_EN: 1
; COMPUTE_PGM_RSRC2:TGID_Y_EN: 0
; COMPUTE_PGM_RSRC2:TGID_Z_EN: 0
; COMPUTE_PGM_RSRC2:TIDIG_COMP_CNT: 0
; COMPUTE_PGM_RSRC3_GFX90A:ACCUM_OFFSET: 0
; COMPUTE_PGM_RSRC3_GFX90A:TG_SPLIT: 0
	.section	.text._ZN7rocprim17ROCPRIM_400000_NS6detail17trampoline_kernelINS0_14default_configENS1_35radix_sort_onesweep_config_selectorIhlEEZZNS1_29radix_sort_onesweep_iterationIS3_Lb0EPhS7_N6thrust23THRUST_200600_302600_NS10device_ptrIlEESB_jNS0_19identity_decomposerENS1_16block_id_wrapperIjLb0EEEEE10hipError_tT1_PNSt15iterator_traitsISG_E10value_typeET2_T3_PNSH_ISM_E10value_typeET4_T5_PSR_SS_PNS1_23onesweep_lookback_stateEbbT6_jjT7_P12ihipStream_tbENKUlT_T0_SG_SL_E_clIS7_S7_PlSB_EEDaSZ_S10_SG_SL_EUlSZ_E_NS1_11comp_targetILNS1_3genE0ELNS1_11target_archE4294967295ELNS1_3gpuE0ELNS1_3repE0EEENS1_47radix_sort_onesweep_sort_config_static_selectorELNS0_4arch9wavefront6targetE1EEEvSG_,"axG",@progbits,_ZN7rocprim17ROCPRIM_400000_NS6detail17trampoline_kernelINS0_14default_configENS1_35radix_sort_onesweep_config_selectorIhlEEZZNS1_29radix_sort_onesweep_iterationIS3_Lb0EPhS7_N6thrust23THRUST_200600_302600_NS10device_ptrIlEESB_jNS0_19identity_decomposerENS1_16block_id_wrapperIjLb0EEEEE10hipError_tT1_PNSt15iterator_traitsISG_E10value_typeET2_T3_PNSH_ISM_E10value_typeET4_T5_PSR_SS_PNS1_23onesweep_lookback_stateEbbT6_jjT7_P12ihipStream_tbENKUlT_T0_SG_SL_E_clIS7_S7_PlSB_EEDaSZ_S10_SG_SL_EUlSZ_E_NS1_11comp_targetILNS1_3genE0ELNS1_11target_archE4294967295ELNS1_3gpuE0ELNS1_3repE0EEENS1_47radix_sort_onesweep_sort_config_static_selectorELNS0_4arch9wavefront6targetE1EEEvSG_,comdat
	.protected	_ZN7rocprim17ROCPRIM_400000_NS6detail17trampoline_kernelINS0_14default_configENS1_35radix_sort_onesweep_config_selectorIhlEEZZNS1_29radix_sort_onesweep_iterationIS3_Lb0EPhS7_N6thrust23THRUST_200600_302600_NS10device_ptrIlEESB_jNS0_19identity_decomposerENS1_16block_id_wrapperIjLb0EEEEE10hipError_tT1_PNSt15iterator_traitsISG_E10value_typeET2_T3_PNSH_ISM_E10value_typeET4_T5_PSR_SS_PNS1_23onesweep_lookback_stateEbbT6_jjT7_P12ihipStream_tbENKUlT_T0_SG_SL_E_clIS7_S7_PlSB_EEDaSZ_S10_SG_SL_EUlSZ_E_NS1_11comp_targetILNS1_3genE0ELNS1_11target_archE4294967295ELNS1_3gpuE0ELNS1_3repE0EEENS1_47radix_sort_onesweep_sort_config_static_selectorELNS0_4arch9wavefront6targetE1EEEvSG_ ; -- Begin function _ZN7rocprim17ROCPRIM_400000_NS6detail17trampoline_kernelINS0_14default_configENS1_35radix_sort_onesweep_config_selectorIhlEEZZNS1_29radix_sort_onesweep_iterationIS3_Lb0EPhS7_N6thrust23THRUST_200600_302600_NS10device_ptrIlEESB_jNS0_19identity_decomposerENS1_16block_id_wrapperIjLb0EEEEE10hipError_tT1_PNSt15iterator_traitsISG_E10value_typeET2_T3_PNSH_ISM_E10value_typeET4_T5_PSR_SS_PNS1_23onesweep_lookback_stateEbbT6_jjT7_P12ihipStream_tbENKUlT_T0_SG_SL_E_clIS7_S7_PlSB_EEDaSZ_S10_SG_SL_EUlSZ_E_NS1_11comp_targetILNS1_3genE0ELNS1_11target_archE4294967295ELNS1_3gpuE0ELNS1_3repE0EEENS1_47radix_sort_onesweep_sort_config_static_selectorELNS0_4arch9wavefront6targetE1EEEvSG_
	.globl	_ZN7rocprim17ROCPRIM_400000_NS6detail17trampoline_kernelINS0_14default_configENS1_35radix_sort_onesweep_config_selectorIhlEEZZNS1_29radix_sort_onesweep_iterationIS3_Lb0EPhS7_N6thrust23THRUST_200600_302600_NS10device_ptrIlEESB_jNS0_19identity_decomposerENS1_16block_id_wrapperIjLb0EEEEE10hipError_tT1_PNSt15iterator_traitsISG_E10value_typeET2_T3_PNSH_ISM_E10value_typeET4_T5_PSR_SS_PNS1_23onesweep_lookback_stateEbbT6_jjT7_P12ihipStream_tbENKUlT_T0_SG_SL_E_clIS7_S7_PlSB_EEDaSZ_S10_SG_SL_EUlSZ_E_NS1_11comp_targetILNS1_3genE0ELNS1_11target_archE4294967295ELNS1_3gpuE0ELNS1_3repE0EEENS1_47radix_sort_onesweep_sort_config_static_selectorELNS0_4arch9wavefront6targetE1EEEvSG_
	.p2align	8
	.type	_ZN7rocprim17ROCPRIM_400000_NS6detail17trampoline_kernelINS0_14default_configENS1_35radix_sort_onesweep_config_selectorIhlEEZZNS1_29radix_sort_onesweep_iterationIS3_Lb0EPhS7_N6thrust23THRUST_200600_302600_NS10device_ptrIlEESB_jNS0_19identity_decomposerENS1_16block_id_wrapperIjLb0EEEEE10hipError_tT1_PNSt15iterator_traitsISG_E10value_typeET2_T3_PNSH_ISM_E10value_typeET4_T5_PSR_SS_PNS1_23onesweep_lookback_stateEbbT6_jjT7_P12ihipStream_tbENKUlT_T0_SG_SL_E_clIS7_S7_PlSB_EEDaSZ_S10_SG_SL_EUlSZ_E_NS1_11comp_targetILNS1_3genE0ELNS1_11target_archE4294967295ELNS1_3gpuE0ELNS1_3repE0EEENS1_47radix_sort_onesweep_sort_config_static_selectorELNS0_4arch9wavefront6targetE1EEEvSG_,@function
_ZN7rocprim17ROCPRIM_400000_NS6detail17trampoline_kernelINS0_14default_configENS1_35radix_sort_onesweep_config_selectorIhlEEZZNS1_29radix_sort_onesweep_iterationIS3_Lb0EPhS7_N6thrust23THRUST_200600_302600_NS10device_ptrIlEESB_jNS0_19identity_decomposerENS1_16block_id_wrapperIjLb0EEEEE10hipError_tT1_PNSt15iterator_traitsISG_E10value_typeET2_T3_PNSH_ISM_E10value_typeET4_T5_PSR_SS_PNS1_23onesweep_lookback_stateEbbT6_jjT7_P12ihipStream_tbENKUlT_T0_SG_SL_E_clIS7_S7_PlSB_EEDaSZ_S10_SG_SL_EUlSZ_E_NS1_11comp_targetILNS1_3genE0ELNS1_11target_archE4294967295ELNS1_3gpuE0ELNS1_3repE0EEENS1_47radix_sort_onesweep_sort_config_static_selectorELNS0_4arch9wavefront6targetE1EEEvSG_: ; @_ZN7rocprim17ROCPRIM_400000_NS6detail17trampoline_kernelINS0_14default_configENS1_35radix_sort_onesweep_config_selectorIhlEEZZNS1_29radix_sort_onesweep_iterationIS3_Lb0EPhS7_N6thrust23THRUST_200600_302600_NS10device_ptrIlEESB_jNS0_19identity_decomposerENS1_16block_id_wrapperIjLb0EEEEE10hipError_tT1_PNSt15iterator_traitsISG_E10value_typeET2_T3_PNSH_ISM_E10value_typeET4_T5_PSR_SS_PNS1_23onesweep_lookback_stateEbbT6_jjT7_P12ihipStream_tbENKUlT_T0_SG_SL_E_clIS7_S7_PlSB_EEDaSZ_S10_SG_SL_EUlSZ_E_NS1_11comp_targetILNS1_3genE0ELNS1_11target_archE4294967295ELNS1_3gpuE0ELNS1_3repE0EEENS1_47radix_sort_onesweep_sort_config_static_selectorELNS0_4arch9wavefront6targetE1EEEvSG_
; %bb.0:
	.section	.rodata,"a",@progbits
	.p2align	6, 0x0
	.amdhsa_kernel _ZN7rocprim17ROCPRIM_400000_NS6detail17trampoline_kernelINS0_14default_configENS1_35radix_sort_onesweep_config_selectorIhlEEZZNS1_29radix_sort_onesweep_iterationIS3_Lb0EPhS7_N6thrust23THRUST_200600_302600_NS10device_ptrIlEESB_jNS0_19identity_decomposerENS1_16block_id_wrapperIjLb0EEEEE10hipError_tT1_PNSt15iterator_traitsISG_E10value_typeET2_T3_PNSH_ISM_E10value_typeET4_T5_PSR_SS_PNS1_23onesweep_lookback_stateEbbT6_jjT7_P12ihipStream_tbENKUlT_T0_SG_SL_E_clIS7_S7_PlSB_EEDaSZ_S10_SG_SL_EUlSZ_E_NS1_11comp_targetILNS1_3genE0ELNS1_11target_archE4294967295ELNS1_3gpuE0ELNS1_3repE0EEENS1_47radix_sort_onesweep_sort_config_static_selectorELNS0_4arch9wavefront6targetE1EEEvSG_
		.amdhsa_group_segment_fixed_size 0
		.amdhsa_private_segment_fixed_size 0
		.amdhsa_kernarg_size 88
		.amdhsa_user_sgpr_count 6
		.amdhsa_user_sgpr_private_segment_buffer 1
		.amdhsa_user_sgpr_dispatch_ptr 0
		.amdhsa_user_sgpr_queue_ptr 0
		.amdhsa_user_sgpr_kernarg_segment_ptr 1
		.amdhsa_user_sgpr_dispatch_id 0
		.amdhsa_user_sgpr_flat_scratch_init 0
		.amdhsa_user_sgpr_kernarg_preload_length 0
		.amdhsa_user_sgpr_kernarg_preload_offset 0
		.amdhsa_user_sgpr_private_segment_size 0
		.amdhsa_uses_dynamic_stack 0
		.amdhsa_system_sgpr_private_segment_wavefront_offset 0
		.amdhsa_system_sgpr_workgroup_id_x 1
		.amdhsa_system_sgpr_workgroup_id_y 0
		.amdhsa_system_sgpr_workgroup_id_z 0
		.amdhsa_system_sgpr_workgroup_info 0
		.amdhsa_system_vgpr_workitem_id 0
		.amdhsa_next_free_vgpr 1
		.amdhsa_next_free_sgpr 0
		.amdhsa_accum_offset 4
		.amdhsa_reserve_vcc 0
		.amdhsa_reserve_flat_scratch 0
		.amdhsa_float_round_mode_32 0
		.amdhsa_float_round_mode_16_64 0
		.amdhsa_float_denorm_mode_32 3
		.amdhsa_float_denorm_mode_16_64 3
		.amdhsa_dx10_clamp 1
		.amdhsa_ieee_mode 1
		.amdhsa_fp16_overflow 0
		.amdhsa_tg_split 0
		.amdhsa_exception_fp_ieee_invalid_op 0
		.amdhsa_exception_fp_denorm_src 0
		.amdhsa_exception_fp_ieee_div_zero 0
		.amdhsa_exception_fp_ieee_overflow 0
		.amdhsa_exception_fp_ieee_underflow 0
		.amdhsa_exception_fp_ieee_inexact 0
		.amdhsa_exception_int_div_zero 0
	.end_amdhsa_kernel
	.section	.text._ZN7rocprim17ROCPRIM_400000_NS6detail17trampoline_kernelINS0_14default_configENS1_35radix_sort_onesweep_config_selectorIhlEEZZNS1_29radix_sort_onesweep_iterationIS3_Lb0EPhS7_N6thrust23THRUST_200600_302600_NS10device_ptrIlEESB_jNS0_19identity_decomposerENS1_16block_id_wrapperIjLb0EEEEE10hipError_tT1_PNSt15iterator_traitsISG_E10value_typeET2_T3_PNSH_ISM_E10value_typeET4_T5_PSR_SS_PNS1_23onesweep_lookback_stateEbbT6_jjT7_P12ihipStream_tbENKUlT_T0_SG_SL_E_clIS7_S7_PlSB_EEDaSZ_S10_SG_SL_EUlSZ_E_NS1_11comp_targetILNS1_3genE0ELNS1_11target_archE4294967295ELNS1_3gpuE0ELNS1_3repE0EEENS1_47radix_sort_onesweep_sort_config_static_selectorELNS0_4arch9wavefront6targetE1EEEvSG_,"axG",@progbits,_ZN7rocprim17ROCPRIM_400000_NS6detail17trampoline_kernelINS0_14default_configENS1_35radix_sort_onesweep_config_selectorIhlEEZZNS1_29radix_sort_onesweep_iterationIS3_Lb0EPhS7_N6thrust23THRUST_200600_302600_NS10device_ptrIlEESB_jNS0_19identity_decomposerENS1_16block_id_wrapperIjLb0EEEEE10hipError_tT1_PNSt15iterator_traitsISG_E10value_typeET2_T3_PNSH_ISM_E10value_typeET4_T5_PSR_SS_PNS1_23onesweep_lookback_stateEbbT6_jjT7_P12ihipStream_tbENKUlT_T0_SG_SL_E_clIS7_S7_PlSB_EEDaSZ_S10_SG_SL_EUlSZ_E_NS1_11comp_targetILNS1_3genE0ELNS1_11target_archE4294967295ELNS1_3gpuE0ELNS1_3repE0EEENS1_47radix_sort_onesweep_sort_config_static_selectorELNS0_4arch9wavefront6targetE1EEEvSG_,comdat
.Lfunc_end309:
	.size	_ZN7rocprim17ROCPRIM_400000_NS6detail17trampoline_kernelINS0_14default_configENS1_35radix_sort_onesweep_config_selectorIhlEEZZNS1_29radix_sort_onesweep_iterationIS3_Lb0EPhS7_N6thrust23THRUST_200600_302600_NS10device_ptrIlEESB_jNS0_19identity_decomposerENS1_16block_id_wrapperIjLb0EEEEE10hipError_tT1_PNSt15iterator_traitsISG_E10value_typeET2_T3_PNSH_ISM_E10value_typeET4_T5_PSR_SS_PNS1_23onesweep_lookback_stateEbbT6_jjT7_P12ihipStream_tbENKUlT_T0_SG_SL_E_clIS7_S7_PlSB_EEDaSZ_S10_SG_SL_EUlSZ_E_NS1_11comp_targetILNS1_3genE0ELNS1_11target_archE4294967295ELNS1_3gpuE0ELNS1_3repE0EEENS1_47radix_sort_onesweep_sort_config_static_selectorELNS0_4arch9wavefront6targetE1EEEvSG_, .Lfunc_end309-_ZN7rocprim17ROCPRIM_400000_NS6detail17trampoline_kernelINS0_14default_configENS1_35radix_sort_onesweep_config_selectorIhlEEZZNS1_29radix_sort_onesweep_iterationIS3_Lb0EPhS7_N6thrust23THRUST_200600_302600_NS10device_ptrIlEESB_jNS0_19identity_decomposerENS1_16block_id_wrapperIjLb0EEEEE10hipError_tT1_PNSt15iterator_traitsISG_E10value_typeET2_T3_PNSH_ISM_E10value_typeET4_T5_PSR_SS_PNS1_23onesweep_lookback_stateEbbT6_jjT7_P12ihipStream_tbENKUlT_T0_SG_SL_E_clIS7_S7_PlSB_EEDaSZ_S10_SG_SL_EUlSZ_E_NS1_11comp_targetILNS1_3genE0ELNS1_11target_archE4294967295ELNS1_3gpuE0ELNS1_3repE0EEENS1_47radix_sort_onesweep_sort_config_static_selectorELNS0_4arch9wavefront6targetE1EEEvSG_
                                        ; -- End function
	.section	.AMDGPU.csdata,"",@progbits
; Kernel info:
; codeLenInByte = 0
; NumSgprs: 4
; NumVgprs: 0
; NumAgprs: 0
; TotalNumVgprs: 0
; ScratchSize: 0
; MemoryBound: 0
; FloatMode: 240
; IeeeMode: 1
; LDSByteSize: 0 bytes/workgroup (compile time only)
; SGPRBlocks: 0
; VGPRBlocks: 0
; NumSGPRsForWavesPerEU: 4
; NumVGPRsForWavesPerEU: 1
; AccumOffset: 4
; Occupancy: 8
; WaveLimiterHint : 0
; COMPUTE_PGM_RSRC2:SCRATCH_EN: 0
; COMPUTE_PGM_RSRC2:USER_SGPR: 6
; COMPUTE_PGM_RSRC2:TRAP_HANDLER: 0
; COMPUTE_PGM_RSRC2:TGID_X_EN: 1
; COMPUTE_PGM_RSRC2:TGID_Y_EN: 0
; COMPUTE_PGM_RSRC2:TGID_Z_EN: 0
; COMPUTE_PGM_RSRC2:TIDIG_COMP_CNT: 0
; COMPUTE_PGM_RSRC3_GFX90A:ACCUM_OFFSET: 0
; COMPUTE_PGM_RSRC3_GFX90A:TG_SPLIT: 0
	.section	.text._ZN7rocprim17ROCPRIM_400000_NS6detail17trampoline_kernelINS0_14default_configENS1_35radix_sort_onesweep_config_selectorIhlEEZZNS1_29radix_sort_onesweep_iterationIS3_Lb0EPhS7_N6thrust23THRUST_200600_302600_NS10device_ptrIlEESB_jNS0_19identity_decomposerENS1_16block_id_wrapperIjLb0EEEEE10hipError_tT1_PNSt15iterator_traitsISG_E10value_typeET2_T3_PNSH_ISM_E10value_typeET4_T5_PSR_SS_PNS1_23onesweep_lookback_stateEbbT6_jjT7_P12ihipStream_tbENKUlT_T0_SG_SL_E_clIS7_S7_PlSB_EEDaSZ_S10_SG_SL_EUlSZ_E_NS1_11comp_targetILNS1_3genE6ELNS1_11target_archE950ELNS1_3gpuE13ELNS1_3repE0EEENS1_47radix_sort_onesweep_sort_config_static_selectorELNS0_4arch9wavefront6targetE1EEEvSG_,"axG",@progbits,_ZN7rocprim17ROCPRIM_400000_NS6detail17trampoline_kernelINS0_14default_configENS1_35radix_sort_onesweep_config_selectorIhlEEZZNS1_29radix_sort_onesweep_iterationIS3_Lb0EPhS7_N6thrust23THRUST_200600_302600_NS10device_ptrIlEESB_jNS0_19identity_decomposerENS1_16block_id_wrapperIjLb0EEEEE10hipError_tT1_PNSt15iterator_traitsISG_E10value_typeET2_T3_PNSH_ISM_E10value_typeET4_T5_PSR_SS_PNS1_23onesweep_lookback_stateEbbT6_jjT7_P12ihipStream_tbENKUlT_T0_SG_SL_E_clIS7_S7_PlSB_EEDaSZ_S10_SG_SL_EUlSZ_E_NS1_11comp_targetILNS1_3genE6ELNS1_11target_archE950ELNS1_3gpuE13ELNS1_3repE0EEENS1_47radix_sort_onesweep_sort_config_static_selectorELNS0_4arch9wavefront6targetE1EEEvSG_,comdat
	.protected	_ZN7rocprim17ROCPRIM_400000_NS6detail17trampoline_kernelINS0_14default_configENS1_35radix_sort_onesweep_config_selectorIhlEEZZNS1_29radix_sort_onesweep_iterationIS3_Lb0EPhS7_N6thrust23THRUST_200600_302600_NS10device_ptrIlEESB_jNS0_19identity_decomposerENS1_16block_id_wrapperIjLb0EEEEE10hipError_tT1_PNSt15iterator_traitsISG_E10value_typeET2_T3_PNSH_ISM_E10value_typeET4_T5_PSR_SS_PNS1_23onesweep_lookback_stateEbbT6_jjT7_P12ihipStream_tbENKUlT_T0_SG_SL_E_clIS7_S7_PlSB_EEDaSZ_S10_SG_SL_EUlSZ_E_NS1_11comp_targetILNS1_3genE6ELNS1_11target_archE950ELNS1_3gpuE13ELNS1_3repE0EEENS1_47radix_sort_onesweep_sort_config_static_selectorELNS0_4arch9wavefront6targetE1EEEvSG_ ; -- Begin function _ZN7rocprim17ROCPRIM_400000_NS6detail17trampoline_kernelINS0_14default_configENS1_35radix_sort_onesweep_config_selectorIhlEEZZNS1_29radix_sort_onesweep_iterationIS3_Lb0EPhS7_N6thrust23THRUST_200600_302600_NS10device_ptrIlEESB_jNS0_19identity_decomposerENS1_16block_id_wrapperIjLb0EEEEE10hipError_tT1_PNSt15iterator_traitsISG_E10value_typeET2_T3_PNSH_ISM_E10value_typeET4_T5_PSR_SS_PNS1_23onesweep_lookback_stateEbbT6_jjT7_P12ihipStream_tbENKUlT_T0_SG_SL_E_clIS7_S7_PlSB_EEDaSZ_S10_SG_SL_EUlSZ_E_NS1_11comp_targetILNS1_3genE6ELNS1_11target_archE950ELNS1_3gpuE13ELNS1_3repE0EEENS1_47radix_sort_onesweep_sort_config_static_selectorELNS0_4arch9wavefront6targetE1EEEvSG_
	.globl	_ZN7rocprim17ROCPRIM_400000_NS6detail17trampoline_kernelINS0_14default_configENS1_35radix_sort_onesweep_config_selectorIhlEEZZNS1_29radix_sort_onesweep_iterationIS3_Lb0EPhS7_N6thrust23THRUST_200600_302600_NS10device_ptrIlEESB_jNS0_19identity_decomposerENS1_16block_id_wrapperIjLb0EEEEE10hipError_tT1_PNSt15iterator_traitsISG_E10value_typeET2_T3_PNSH_ISM_E10value_typeET4_T5_PSR_SS_PNS1_23onesweep_lookback_stateEbbT6_jjT7_P12ihipStream_tbENKUlT_T0_SG_SL_E_clIS7_S7_PlSB_EEDaSZ_S10_SG_SL_EUlSZ_E_NS1_11comp_targetILNS1_3genE6ELNS1_11target_archE950ELNS1_3gpuE13ELNS1_3repE0EEENS1_47radix_sort_onesweep_sort_config_static_selectorELNS0_4arch9wavefront6targetE1EEEvSG_
	.p2align	8
	.type	_ZN7rocprim17ROCPRIM_400000_NS6detail17trampoline_kernelINS0_14default_configENS1_35radix_sort_onesweep_config_selectorIhlEEZZNS1_29radix_sort_onesweep_iterationIS3_Lb0EPhS7_N6thrust23THRUST_200600_302600_NS10device_ptrIlEESB_jNS0_19identity_decomposerENS1_16block_id_wrapperIjLb0EEEEE10hipError_tT1_PNSt15iterator_traitsISG_E10value_typeET2_T3_PNSH_ISM_E10value_typeET4_T5_PSR_SS_PNS1_23onesweep_lookback_stateEbbT6_jjT7_P12ihipStream_tbENKUlT_T0_SG_SL_E_clIS7_S7_PlSB_EEDaSZ_S10_SG_SL_EUlSZ_E_NS1_11comp_targetILNS1_3genE6ELNS1_11target_archE950ELNS1_3gpuE13ELNS1_3repE0EEENS1_47radix_sort_onesweep_sort_config_static_selectorELNS0_4arch9wavefront6targetE1EEEvSG_,@function
_ZN7rocprim17ROCPRIM_400000_NS6detail17trampoline_kernelINS0_14default_configENS1_35radix_sort_onesweep_config_selectorIhlEEZZNS1_29radix_sort_onesweep_iterationIS3_Lb0EPhS7_N6thrust23THRUST_200600_302600_NS10device_ptrIlEESB_jNS0_19identity_decomposerENS1_16block_id_wrapperIjLb0EEEEE10hipError_tT1_PNSt15iterator_traitsISG_E10value_typeET2_T3_PNSH_ISM_E10value_typeET4_T5_PSR_SS_PNS1_23onesweep_lookback_stateEbbT6_jjT7_P12ihipStream_tbENKUlT_T0_SG_SL_E_clIS7_S7_PlSB_EEDaSZ_S10_SG_SL_EUlSZ_E_NS1_11comp_targetILNS1_3genE6ELNS1_11target_archE950ELNS1_3gpuE13ELNS1_3repE0EEENS1_47radix_sort_onesweep_sort_config_static_selectorELNS0_4arch9wavefront6targetE1EEEvSG_: ; @_ZN7rocprim17ROCPRIM_400000_NS6detail17trampoline_kernelINS0_14default_configENS1_35radix_sort_onesweep_config_selectorIhlEEZZNS1_29radix_sort_onesweep_iterationIS3_Lb0EPhS7_N6thrust23THRUST_200600_302600_NS10device_ptrIlEESB_jNS0_19identity_decomposerENS1_16block_id_wrapperIjLb0EEEEE10hipError_tT1_PNSt15iterator_traitsISG_E10value_typeET2_T3_PNSH_ISM_E10value_typeET4_T5_PSR_SS_PNS1_23onesweep_lookback_stateEbbT6_jjT7_P12ihipStream_tbENKUlT_T0_SG_SL_E_clIS7_S7_PlSB_EEDaSZ_S10_SG_SL_EUlSZ_E_NS1_11comp_targetILNS1_3genE6ELNS1_11target_archE950ELNS1_3gpuE13ELNS1_3repE0EEENS1_47radix_sort_onesweep_sort_config_static_selectorELNS0_4arch9wavefront6targetE1EEEvSG_
; %bb.0:
	.section	.rodata,"a",@progbits
	.p2align	6, 0x0
	.amdhsa_kernel _ZN7rocprim17ROCPRIM_400000_NS6detail17trampoline_kernelINS0_14default_configENS1_35radix_sort_onesweep_config_selectorIhlEEZZNS1_29radix_sort_onesweep_iterationIS3_Lb0EPhS7_N6thrust23THRUST_200600_302600_NS10device_ptrIlEESB_jNS0_19identity_decomposerENS1_16block_id_wrapperIjLb0EEEEE10hipError_tT1_PNSt15iterator_traitsISG_E10value_typeET2_T3_PNSH_ISM_E10value_typeET4_T5_PSR_SS_PNS1_23onesweep_lookback_stateEbbT6_jjT7_P12ihipStream_tbENKUlT_T0_SG_SL_E_clIS7_S7_PlSB_EEDaSZ_S10_SG_SL_EUlSZ_E_NS1_11comp_targetILNS1_3genE6ELNS1_11target_archE950ELNS1_3gpuE13ELNS1_3repE0EEENS1_47radix_sort_onesweep_sort_config_static_selectorELNS0_4arch9wavefront6targetE1EEEvSG_
		.amdhsa_group_segment_fixed_size 0
		.amdhsa_private_segment_fixed_size 0
		.amdhsa_kernarg_size 88
		.amdhsa_user_sgpr_count 6
		.amdhsa_user_sgpr_private_segment_buffer 1
		.amdhsa_user_sgpr_dispatch_ptr 0
		.amdhsa_user_sgpr_queue_ptr 0
		.amdhsa_user_sgpr_kernarg_segment_ptr 1
		.amdhsa_user_sgpr_dispatch_id 0
		.amdhsa_user_sgpr_flat_scratch_init 0
		.amdhsa_user_sgpr_kernarg_preload_length 0
		.amdhsa_user_sgpr_kernarg_preload_offset 0
		.amdhsa_user_sgpr_private_segment_size 0
		.amdhsa_uses_dynamic_stack 0
		.amdhsa_system_sgpr_private_segment_wavefront_offset 0
		.amdhsa_system_sgpr_workgroup_id_x 1
		.amdhsa_system_sgpr_workgroup_id_y 0
		.amdhsa_system_sgpr_workgroup_id_z 0
		.amdhsa_system_sgpr_workgroup_info 0
		.amdhsa_system_vgpr_workitem_id 0
		.amdhsa_next_free_vgpr 1
		.amdhsa_next_free_sgpr 0
		.amdhsa_accum_offset 4
		.amdhsa_reserve_vcc 0
		.amdhsa_reserve_flat_scratch 0
		.amdhsa_float_round_mode_32 0
		.amdhsa_float_round_mode_16_64 0
		.amdhsa_float_denorm_mode_32 3
		.amdhsa_float_denorm_mode_16_64 3
		.amdhsa_dx10_clamp 1
		.amdhsa_ieee_mode 1
		.amdhsa_fp16_overflow 0
		.amdhsa_tg_split 0
		.amdhsa_exception_fp_ieee_invalid_op 0
		.amdhsa_exception_fp_denorm_src 0
		.amdhsa_exception_fp_ieee_div_zero 0
		.amdhsa_exception_fp_ieee_overflow 0
		.amdhsa_exception_fp_ieee_underflow 0
		.amdhsa_exception_fp_ieee_inexact 0
		.amdhsa_exception_int_div_zero 0
	.end_amdhsa_kernel
	.section	.text._ZN7rocprim17ROCPRIM_400000_NS6detail17trampoline_kernelINS0_14default_configENS1_35radix_sort_onesweep_config_selectorIhlEEZZNS1_29radix_sort_onesweep_iterationIS3_Lb0EPhS7_N6thrust23THRUST_200600_302600_NS10device_ptrIlEESB_jNS0_19identity_decomposerENS1_16block_id_wrapperIjLb0EEEEE10hipError_tT1_PNSt15iterator_traitsISG_E10value_typeET2_T3_PNSH_ISM_E10value_typeET4_T5_PSR_SS_PNS1_23onesweep_lookback_stateEbbT6_jjT7_P12ihipStream_tbENKUlT_T0_SG_SL_E_clIS7_S7_PlSB_EEDaSZ_S10_SG_SL_EUlSZ_E_NS1_11comp_targetILNS1_3genE6ELNS1_11target_archE950ELNS1_3gpuE13ELNS1_3repE0EEENS1_47radix_sort_onesweep_sort_config_static_selectorELNS0_4arch9wavefront6targetE1EEEvSG_,"axG",@progbits,_ZN7rocprim17ROCPRIM_400000_NS6detail17trampoline_kernelINS0_14default_configENS1_35radix_sort_onesweep_config_selectorIhlEEZZNS1_29radix_sort_onesweep_iterationIS3_Lb0EPhS7_N6thrust23THRUST_200600_302600_NS10device_ptrIlEESB_jNS0_19identity_decomposerENS1_16block_id_wrapperIjLb0EEEEE10hipError_tT1_PNSt15iterator_traitsISG_E10value_typeET2_T3_PNSH_ISM_E10value_typeET4_T5_PSR_SS_PNS1_23onesweep_lookback_stateEbbT6_jjT7_P12ihipStream_tbENKUlT_T0_SG_SL_E_clIS7_S7_PlSB_EEDaSZ_S10_SG_SL_EUlSZ_E_NS1_11comp_targetILNS1_3genE6ELNS1_11target_archE950ELNS1_3gpuE13ELNS1_3repE0EEENS1_47radix_sort_onesweep_sort_config_static_selectorELNS0_4arch9wavefront6targetE1EEEvSG_,comdat
.Lfunc_end310:
	.size	_ZN7rocprim17ROCPRIM_400000_NS6detail17trampoline_kernelINS0_14default_configENS1_35radix_sort_onesweep_config_selectorIhlEEZZNS1_29radix_sort_onesweep_iterationIS3_Lb0EPhS7_N6thrust23THRUST_200600_302600_NS10device_ptrIlEESB_jNS0_19identity_decomposerENS1_16block_id_wrapperIjLb0EEEEE10hipError_tT1_PNSt15iterator_traitsISG_E10value_typeET2_T3_PNSH_ISM_E10value_typeET4_T5_PSR_SS_PNS1_23onesweep_lookback_stateEbbT6_jjT7_P12ihipStream_tbENKUlT_T0_SG_SL_E_clIS7_S7_PlSB_EEDaSZ_S10_SG_SL_EUlSZ_E_NS1_11comp_targetILNS1_3genE6ELNS1_11target_archE950ELNS1_3gpuE13ELNS1_3repE0EEENS1_47radix_sort_onesweep_sort_config_static_selectorELNS0_4arch9wavefront6targetE1EEEvSG_, .Lfunc_end310-_ZN7rocprim17ROCPRIM_400000_NS6detail17trampoline_kernelINS0_14default_configENS1_35radix_sort_onesweep_config_selectorIhlEEZZNS1_29radix_sort_onesweep_iterationIS3_Lb0EPhS7_N6thrust23THRUST_200600_302600_NS10device_ptrIlEESB_jNS0_19identity_decomposerENS1_16block_id_wrapperIjLb0EEEEE10hipError_tT1_PNSt15iterator_traitsISG_E10value_typeET2_T3_PNSH_ISM_E10value_typeET4_T5_PSR_SS_PNS1_23onesweep_lookback_stateEbbT6_jjT7_P12ihipStream_tbENKUlT_T0_SG_SL_E_clIS7_S7_PlSB_EEDaSZ_S10_SG_SL_EUlSZ_E_NS1_11comp_targetILNS1_3genE6ELNS1_11target_archE950ELNS1_3gpuE13ELNS1_3repE0EEENS1_47radix_sort_onesweep_sort_config_static_selectorELNS0_4arch9wavefront6targetE1EEEvSG_
                                        ; -- End function
	.section	.AMDGPU.csdata,"",@progbits
; Kernel info:
; codeLenInByte = 0
; NumSgprs: 4
; NumVgprs: 0
; NumAgprs: 0
; TotalNumVgprs: 0
; ScratchSize: 0
; MemoryBound: 0
; FloatMode: 240
; IeeeMode: 1
; LDSByteSize: 0 bytes/workgroup (compile time only)
; SGPRBlocks: 0
; VGPRBlocks: 0
; NumSGPRsForWavesPerEU: 4
; NumVGPRsForWavesPerEU: 1
; AccumOffset: 4
; Occupancy: 8
; WaveLimiterHint : 0
; COMPUTE_PGM_RSRC2:SCRATCH_EN: 0
; COMPUTE_PGM_RSRC2:USER_SGPR: 6
; COMPUTE_PGM_RSRC2:TRAP_HANDLER: 0
; COMPUTE_PGM_RSRC2:TGID_X_EN: 1
; COMPUTE_PGM_RSRC2:TGID_Y_EN: 0
; COMPUTE_PGM_RSRC2:TGID_Z_EN: 0
; COMPUTE_PGM_RSRC2:TIDIG_COMP_CNT: 0
; COMPUTE_PGM_RSRC3_GFX90A:ACCUM_OFFSET: 0
; COMPUTE_PGM_RSRC3_GFX90A:TG_SPLIT: 0
	.section	.text._ZN7rocprim17ROCPRIM_400000_NS6detail17trampoline_kernelINS0_14default_configENS1_35radix_sort_onesweep_config_selectorIhlEEZZNS1_29radix_sort_onesweep_iterationIS3_Lb0EPhS7_N6thrust23THRUST_200600_302600_NS10device_ptrIlEESB_jNS0_19identity_decomposerENS1_16block_id_wrapperIjLb0EEEEE10hipError_tT1_PNSt15iterator_traitsISG_E10value_typeET2_T3_PNSH_ISM_E10value_typeET4_T5_PSR_SS_PNS1_23onesweep_lookback_stateEbbT6_jjT7_P12ihipStream_tbENKUlT_T0_SG_SL_E_clIS7_S7_PlSB_EEDaSZ_S10_SG_SL_EUlSZ_E_NS1_11comp_targetILNS1_3genE5ELNS1_11target_archE942ELNS1_3gpuE9ELNS1_3repE0EEENS1_47radix_sort_onesweep_sort_config_static_selectorELNS0_4arch9wavefront6targetE1EEEvSG_,"axG",@progbits,_ZN7rocprim17ROCPRIM_400000_NS6detail17trampoline_kernelINS0_14default_configENS1_35radix_sort_onesweep_config_selectorIhlEEZZNS1_29radix_sort_onesweep_iterationIS3_Lb0EPhS7_N6thrust23THRUST_200600_302600_NS10device_ptrIlEESB_jNS0_19identity_decomposerENS1_16block_id_wrapperIjLb0EEEEE10hipError_tT1_PNSt15iterator_traitsISG_E10value_typeET2_T3_PNSH_ISM_E10value_typeET4_T5_PSR_SS_PNS1_23onesweep_lookback_stateEbbT6_jjT7_P12ihipStream_tbENKUlT_T0_SG_SL_E_clIS7_S7_PlSB_EEDaSZ_S10_SG_SL_EUlSZ_E_NS1_11comp_targetILNS1_3genE5ELNS1_11target_archE942ELNS1_3gpuE9ELNS1_3repE0EEENS1_47radix_sort_onesweep_sort_config_static_selectorELNS0_4arch9wavefront6targetE1EEEvSG_,comdat
	.protected	_ZN7rocprim17ROCPRIM_400000_NS6detail17trampoline_kernelINS0_14default_configENS1_35radix_sort_onesweep_config_selectorIhlEEZZNS1_29radix_sort_onesweep_iterationIS3_Lb0EPhS7_N6thrust23THRUST_200600_302600_NS10device_ptrIlEESB_jNS0_19identity_decomposerENS1_16block_id_wrapperIjLb0EEEEE10hipError_tT1_PNSt15iterator_traitsISG_E10value_typeET2_T3_PNSH_ISM_E10value_typeET4_T5_PSR_SS_PNS1_23onesweep_lookback_stateEbbT6_jjT7_P12ihipStream_tbENKUlT_T0_SG_SL_E_clIS7_S7_PlSB_EEDaSZ_S10_SG_SL_EUlSZ_E_NS1_11comp_targetILNS1_3genE5ELNS1_11target_archE942ELNS1_3gpuE9ELNS1_3repE0EEENS1_47radix_sort_onesweep_sort_config_static_selectorELNS0_4arch9wavefront6targetE1EEEvSG_ ; -- Begin function _ZN7rocprim17ROCPRIM_400000_NS6detail17trampoline_kernelINS0_14default_configENS1_35radix_sort_onesweep_config_selectorIhlEEZZNS1_29radix_sort_onesweep_iterationIS3_Lb0EPhS7_N6thrust23THRUST_200600_302600_NS10device_ptrIlEESB_jNS0_19identity_decomposerENS1_16block_id_wrapperIjLb0EEEEE10hipError_tT1_PNSt15iterator_traitsISG_E10value_typeET2_T3_PNSH_ISM_E10value_typeET4_T5_PSR_SS_PNS1_23onesweep_lookback_stateEbbT6_jjT7_P12ihipStream_tbENKUlT_T0_SG_SL_E_clIS7_S7_PlSB_EEDaSZ_S10_SG_SL_EUlSZ_E_NS1_11comp_targetILNS1_3genE5ELNS1_11target_archE942ELNS1_3gpuE9ELNS1_3repE0EEENS1_47radix_sort_onesweep_sort_config_static_selectorELNS0_4arch9wavefront6targetE1EEEvSG_
	.globl	_ZN7rocprim17ROCPRIM_400000_NS6detail17trampoline_kernelINS0_14default_configENS1_35radix_sort_onesweep_config_selectorIhlEEZZNS1_29radix_sort_onesweep_iterationIS3_Lb0EPhS7_N6thrust23THRUST_200600_302600_NS10device_ptrIlEESB_jNS0_19identity_decomposerENS1_16block_id_wrapperIjLb0EEEEE10hipError_tT1_PNSt15iterator_traitsISG_E10value_typeET2_T3_PNSH_ISM_E10value_typeET4_T5_PSR_SS_PNS1_23onesweep_lookback_stateEbbT6_jjT7_P12ihipStream_tbENKUlT_T0_SG_SL_E_clIS7_S7_PlSB_EEDaSZ_S10_SG_SL_EUlSZ_E_NS1_11comp_targetILNS1_3genE5ELNS1_11target_archE942ELNS1_3gpuE9ELNS1_3repE0EEENS1_47radix_sort_onesweep_sort_config_static_selectorELNS0_4arch9wavefront6targetE1EEEvSG_
	.p2align	8
	.type	_ZN7rocprim17ROCPRIM_400000_NS6detail17trampoline_kernelINS0_14default_configENS1_35radix_sort_onesweep_config_selectorIhlEEZZNS1_29radix_sort_onesweep_iterationIS3_Lb0EPhS7_N6thrust23THRUST_200600_302600_NS10device_ptrIlEESB_jNS0_19identity_decomposerENS1_16block_id_wrapperIjLb0EEEEE10hipError_tT1_PNSt15iterator_traitsISG_E10value_typeET2_T3_PNSH_ISM_E10value_typeET4_T5_PSR_SS_PNS1_23onesweep_lookback_stateEbbT6_jjT7_P12ihipStream_tbENKUlT_T0_SG_SL_E_clIS7_S7_PlSB_EEDaSZ_S10_SG_SL_EUlSZ_E_NS1_11comp_targetILNS1_3genE5ELNS1_11target_archE942ELNS1_3gpuE9ELNS1_3repE0EEENS1_47radix_sort_onesweep_sort_config_static_selectorELNS0_4arch9wavefront6targetE1EEEvSG_,@function
_ZN7rocprim17ROCPRIM_400000_NS6detail17trampoline_kernelINS0_14default_configENS1_35radix_sort_onesweep_config_selectorIhlEEZZNS1_29radix_sort_onesweep_iterationIS3_Lb0EPhS7_N6thrust23THRUST_200600_302600_NS10device_ptrIlEESB_jNS0_19identity_decomposerENS1_16block_id_wrapperIjLb0EEEEE10hipError_tT1_PNSt15iterator_traitsISG_E10value_typeET2_T3_PNSH_ISM_E10value_typeET4_T5_PSR_SS_PNS1_23onesweep_lookback_stateEbbT6_jjT7_P12ihipStream_tbENKUlT_T0_SG_SL_E_clIS7_S7_PlSB_EEDaSZ_S10_SG_SL_EUlSZ_E_NS1_11comp_targetILNS1_3genE5ELNS1_11target_archE942ELNS1_3gpuE9ELNS1_3repE0EEENS1_47radix_sort_onesweep_sort_config_static_selectorELNS0_4arch9wavefront6targetE1EEEvSG_: ; @_ZN7rocprim17ROCPRIM_400000_NS6detail17trampoline_kernelINS0_14default_configENS1_35radix_sort_onesweep_config_selectorIhlEEZZNS1_29radix_sort_onesweep_iterationIS3_Lb0EPhS7_N6thrust23THRUST_200600_302600_NS10device_ptrIlEESB_jNS0_19identity_decomposerENS1_16block_id_wrapperIjLb0EEEEE10hipError_tT1_PNSt15iterator_traitsISG_E10value_typeET2_T3_PNSH_ISM_E10value_typeET4_T5_PSR_SS_PNS1_23onesweep_lookback_stateEbbT6_jjT7_P12ihipStream_tbENKUlT_T0_SG_SL_E_clIS7_S7_PlSB_EEDaSZ_S10_SG_SL_EUlSZ_E_NS1_11comp_targetILNS1_3genE5ELNS1_11target_archE942ELNS1_3gpuE9ELNS1_3repE0EEENS1_47radix_sort_onesweep_sort_config_static_selectorELNS0_4arch9wavefront6targetE1EEEvSG_
; %bb.0:
	.section	.rodata,"a",@progbits
	.p2align	6, 0x0
	.amdhsa_kernel _ZN7rocprim17ROCPRIM_400000_NS6detail17trampoline_kernelINS0_14default_configENS1_35radix_sort_onesweep_config_selectorIhlEEZZNS1_29radix_sort_onesweep_iterationIS3_Lb0EPhS7_N6thrust23THRUST_200600_302600_NS10device_ptrIlEESB_jNS0_19identity_decomposerENS1_16block_id_wrapperIjLb0EEEEE10hipError_tT1_PNSt15iterator_traitsISG_E10value_typeET2_T3_PNSH_ISM_E10value_typeET4_T5_PSR_SS_PNS1_23onesweep_lookback_stateEbbT6_jjT7_P12ihipStream_tbENKUlT_T0_SG_SL_E_clIS7_S7_PlSB_EEDaSZ_S10_SG_SL_EUlSZ_E_NS1_11comp_targetILNS1_3genE5ELNS1_11target_archE942ELNS1_3gpuE9ELNS1_3repE0EEENS1_47radix_sort_onesweep_sort_config_static_selectorELNS0_4arch9wavefront6targetE1EEEvSG_
		.amdhsa_group_segment_fixed_size 0
		.amdhsa_private_segment_fixed_size 0
		.amdhsa_kernarg_size 88
		.amdhsa_user_sgpr_count 6
		.amdhsa_user_sgpr_private_segment_buffer 1
		.amdhsa_user_sgpr_dispatch_ptr 0
		.amdhsa_user_sgpr_queue_ptr 0
		.amdhsa_user_sgpr_kernarg_segment_ptr 1
		.amdhsa_user_sgpr_dispatch_id 0
		.amdhsa_user_sgpr_flat_scratch_init 0
		.amdhsa_user_sgpr_kernarg_preload_length 0
		.amdhsa_user_sgpr_kernarg_preload_offset 0
		.amdhsa_user_sgpr_private_segment_size 0
		.amdhsa_uses_dynamic_stack 0
		.amdhsa_system_sgpr_private_segment_wavefront_offset 0
		.amdhsa_system_sgpr_workgroup_id_x 1
		.amdhsa_system_sgpr_workgroup_id_y 0
		.amdhsa_system_sgpr_workgroup_id_z 0
		.amdhsa_system_sgpr_workgroup_info 0
		.amdhsa_system_vgpr_workitem_id 0
		.amdhsa_next_free_vgpr 1
		.amdhsa_next_free_sgpr 0
		.amdhsa_accum_offset 4
		.amdhsa_reserve_vcc 0
		.amdhsa_reserve_flat_scratch 0
		.amdhsa_float_round_mode_32 0
		.amdhsa_float_round_mode_16_64 0
		.amdhsa_float_denorm_mode_32 3
		.amdhsa_float_denorm_mode_16_64 3
		.amdhsa_dx10_clamp 1
		.amdhsa_ieee_mode 1
		.amdhsa_fp16_overflow 0
		.amdhsa_tg_split 0
		.amdhsa_exception_fp_ieee_invalid_op 0
		.amdhsa_exception_fp_denorm_src 0
		.amdhsa_exception_fp_ieee_div_zero 0
		.amdhsa_exception_fp_ieee_overflow 0
		.amdhsa_exception_fp_ieee_underflow 0
		.amdhsa_exception_fp_ieee_inexact 0
		.amdhsa_exception_int_div_zero 0
	.end_amdhsa_kernel
	.section	.text._ZN7rocprim17ROCPRIM_400000_NS6detail17trampoline_kernelINS0_14default_configENS1_35radix_sort_onesweep_config_selectorIhlEEZZNS1_29radix_sort_onesweep_iterationIS3_Lb0EPhS7_N6thrust23THRUST_200600_302600_NS10device_ptrIlEESB_jNS0_19identity_decomposerENS1_16block_id_wrapperIjLb0EEEEE10hipError_tT1_PNSt15iterator_traitsISG_E10value_typeET2_T3_PNSH_ISM_E10value_typeET4_T5_PSR_SS_PNS1_23onesweep_lookback_stateEbbT6_jjT7_P12ihipStream_tbENKUlT_T0_SG_SL_E_clIS7_S7_PlSB_EEDaSZ_S10_SG_SL_EUlSZ_E_NS1_11comp_targetILNS1_3genE5ELNS1_11target_archE942ELNS1_3gpuE9ELNS1_3repE0EEENS1_47radix_sort_onesweep_sort_config_static_selectorELNS0_4arch9wavefront6targetE1EEEvSG_,"axG",@progbits,_ZN7rocprim17ROCPRIM_400000_NS6detail17trampoline_kernelINS0_14default_configENS1_35radix_sort_onesweep_config_selectorIhlEEZZNS1_29radix_sort_onesweep_iterationIS3_Lb0EPhS7_N6thrust23THRUST_200600_302600_NS10device_ptrIlEESB_jNS0_19identity_decomposerENS1_16block_id_wrapperIjLb0EEEEE10hipError_tT1_PNSt15iterator_traitsISG_E10value_typeET2_T3_PNSH_ISM_E10value_typeET4_T5_PSR_SS_PNS1_23onesweep_lookback_stateEbbT6_jjT7_P12ihipStream_tbENKUlT_T0_SG_SL_E_clIS7_S7_PlSB_EEDaSZ_S10_SG_SL_EUlSZ_E_NS1_11comp_targetILNS1_3genE5ELNS1_11target_archE942ELNS1_3gpuE9ELNS1_3repE0EEENS1_47radix_sort_onesweep_sort_config_static_selectorELNS0_4arch9wavefront6targetE1EEEvSG_,comdat
.Lfunc_end311:
	.size	_ZN7rocprim17ROCPRIM_400000_NS6detail17trampoline_kernelINS0_14default_configENS1_35radix_sort_onesweep_config_selectorIhlEEZZNS1_29radix_sort_onesweep_iterationIS3_Lb0EPhS7_N6thrust23THRUST_200600_302600_NS10device_ptrIlEESB_jNS0_19identity_decomposerENS1_16block_id_wrapperIjLb0EEEEE10hipError_tT1_PNSt15iterator_traitsISG_E10value_typeET2_T3_PNSH_ISM_E10value_typeET4_T5_PSR_SS_PNS1_23onesweep_lookback_stateEbbT6_jjT7_P12ihipStream_tbENKUlT_T0_SG_SL_E_clIS7_S7_PlSB_EEDaSZ_S10_SG_SL_EUlSZ_E_NS1_11comp_targetILNS1_3genE5ELNS1_11target_archE942ELNS1_3gpuE9ELNS1_3repE0EEENS1_47radix_sort_onesweep_sort_config_static_selectorELNS0_4arch9wavefront6targetE1EEEvSG_, .Lfunc_end311-_ZN7rocprim17ROCPRIM_400000_NS6detail17trampoline_kernelINS0_14default_configENS1_35radix_sort_onesweep_config_selectorIhlEEZZNS1_29radix_sort_onesweep_iterationIS3_Lb0EPhS7_N6thrust23THRUST_200600_302600_NS10device_ptrIlEESB_jNS0_19identity_decomposerENS1_16block_id_wrapperIjLb0EEEEE10hipError_tT1_PNSt15iterator_traitsISG_E10value_typeET2_T3_PNSH_ISM_E10value_typeET4_T5_PSR_SS_PNS1_23onesweep_lookback_stateEbbT6_jjT7_P12ihipStream_tbENKUlT_T0_SG_SL_E_clIS7_S7_PlSB_EEDaSZ_S10_SG_SL_EUlSZ_E_NS1_11comp_targetILNS1_3genE5ELNS1_11target_archE942ELNS1_3gpuE9ELNS1_3repE0EEENS1_47radix_sort_onesweep_sort_config_static_selectorELNS0_4arch9wavefront6targetE1EEEvSG_
                                        ; -- End function
	.section	.AMDGPU.csdata,"",@progbits
; Kernel info:
; codeLenInByte = 0
; NumSgprs: 4
; NumVgprs: 0
; NumAgprs: 0
; TotalNumVgprs: 0
; ScratchSize: 0
; MemoryBound: 0
; FloatMode: 240
; IeeeMode: 1
; LDSByteSize: 0 bytes/workgroup (compile time only)
; SGPRBlocks: 0
; VGPRBlocks: 0
; NumSGPRsForWavesPerEU: 4
; NumVGPRsForWavesPerEU: 1
; AccumOffset: 4
; Occupancy: 8
; WaveLimiterHint : 0
; COMPUTE_PGM_RSRC2:SCRATCH_EN: 0
; COMPUTE_PGM_RSRC2:USER_SGPR: 6
; COMPUTE_PGM_RSRC2:TRAP_HANDLER: 0
; COMPUTE_PGM_RSRC2:TGID_X_EN: 1
; COMPUTE_PGM_RSRC2:TGID_Y_EN: 0
; COMPUTE_PGM_RSRC2:TGID_Z_EN: 0
; COMPUTE_PGM_RSRC2:TIDIG_COMP_CNT: 0
; COMPUTE_PGM_RSRC3_GFX90A:ACCUM_OFFSET: 0
; COMPUTE_PGM_RSRC3_GFX90A:TG_SPLIT: 0
	.section	.text._ZN7rocprim17ROCPRIM_400000_NS6detail17trampoline_kernelINS0_14default_configENS1_35radix_sort_onesweep_config_selectorIhlEEZZNS1_29radix_sort_onesweep_iterationIS3_Lb0EPhS7_N6thrust23THRUST_200600_302600_NS10device_ptrIlEESB_jNS0_19identity_decomposerENS1_16block_id_wrapperIjLb0EEEEE10hipError_tT1_PNSt15iterator_traitsISG_E10value_typeET2_T3_PNSH_ISM_E10value_typeET4_T5_PSR_SS_PNS1_23onesweep_lookback_stateEbbT6_jjT7_P12ihipStream_tbENKUlT_T0_SG_SL_E_clIS7_S7_PlSB_EEDaSZ_S10_SG_SL_EUlSZ_E_NS1_11comp_targetILNS1_3genE2ELNS1_11target_archE906ELNS1_3gpuE6ELNS1_3repE0EEENS1_47radix_sort_onesweep_sort_config_static_selectorELNS0_4arch9wavefront6targetE1EEEvSG_,"axG",@progbits,_ZN7rocprim17ROCPRIM_400000_NS6detail17trampoline_kernelINS0_14default_configENS1_35radix_sort_onesweep_config_selectorIhlEEZZNS1_29radix_sort_onesweep_iterationIS3_Lb0EPhS7_N6thrust23THRUST_200600_302600_NS10device_ptrIlEESB_jNS0_19identity_decomposerENS1_16block_id_wrapperIjLb0EEEEE10hipError_tT1_PNSt15iterator_traitsISG_E10value_typeET2_T3_PNSH_ISM_E10value_typeET4_T5_PSR_SS_PNS1_23onesweep_lookback_stateEbbT6_jjT7_P12ihipStream_tbENKUlT_T0_SG_SL_E_clIS7_S7_PlSB_EEDaSZ_S10_SG_SL_EUlSZ_E_NS1_11comp_targetILNS1_3genE2ELNS1_11target_archE906ELNS1_3gpuE6ELNS1_3repE0EEENS1_47radix_sort_onesweep_sort_config_static_selectorELNS0_4arch9wavefront6targetE1EEEvSG_,comdat
	.protected	_ZN7rocprim17ROCPRIM_400000_NS6detail17trampoline_kernelINS0_14default_configENS1_35radix_sort_onesweep_config_selectorIhlEEZZNS1_29radix_sort_onesweep_iterationIS3_Lb0EPhS7_N6thrust23THRUST_200600_302600_NS10device_ptrIlEESB_jNS0_19identity_decomposerENS1_16block_id_wrapperIjLb0EEEEE10hipError_tT1_PNSt15iterator_traitsISG_E10value_typeET2_T3_PNSH_ISM_E10value_typeET4_T5_PSR_SS_PNS1_23onesweep_lookback_stateEbbT6_jjT7_P12ihipStream_tbENKUlT_T0_SG_SL_E_clIS7_S7_PlSB_EEDaSZ_S10_SG_SL_EUlSZ_E_NS1_11comp_targetILNS1_3genE2ELNS1_11target_archE906ELNS1_3gpuE6ELNS1_3repE0EEENS1_47radix_sort_onesweep_sort_config_static_selectorELNS0_4arch9wavefront6targetE1EEEvSG_ ; -- Begin function _ZN7rocprim17ROCPRIM_400000_NS6detail17trampoline_kernelINS0_14default_configENS1_35radix_sort_onesweep_config_selectorIhlEEZZNS1_29radix_sort_onesweep_iterationIS3_Lb0EPhS7_N6thrust23THRUST_200600_302600_NS10device_ptrIlEESB_jNS0_19identity_decomposerENS1_16block_id_wrapperIjLb0EEEEE10hipError_tT1_PNSt15iterator_traitsISG_E10value_typeET2_T3_PNSH_ISM_E10value_typeET4_T5_PSR_SS_PNS1_23onesweep_lookback_stateEbbT6_jjT7_P12ihipStream_tbENKUlT_T0_SG_SL_E_clIS7_S7_PlSB_EEDaSZ_S10_SG_SL_EUlSZ_E_NS1_11comp_targetILNS1_3genE2ELNS1_11target_archE906ELNS1_3gpuE6ELNS1_3repE0EEENS1_47radix_sort_onesweep_sort_config_static_selectorELNS0_4arch9wavefront6targetE1EEEvSG_
	.globl	_ZN7rocprim17ROCPRIM_400000_NS6detail17trampoline_kernelINS0_14default_configENS1_35radix_sort_onesweep_config_selectorIhlEEZZNS1_29radix_sort_onesweep_iterationIS3_Lb0EPhS7_N6thrust23THRUST_200600_302600_NS10device_ptrIlEESB_jNS0_19identity_decomposerENS1_16block_id_wrapperIjLb0EEEEE10hipError_tT1_PNSt15iterator_traitsISG_E10value_typeET2_T3_PNSH_ISM_E10value_typeET4_T5_PSR_SS_PNS1_23onesweep_lookback_stateEbbT6_jjT7_P12ihipStream_tbENKUlT_T0_SG_SL_E_clIS7_S7_PlSB_EEDaSZ_S10_SG_SL_EUlSZ_E_NS1_11comp_targetILNS1_3genE2ELNS1_11target_archE906ELNS1_3gpuE6ELNS1_3repE0EEENS1_47radix_sort_onesweep_sort_config_static_selectorELNS0_4arch9wavefront6targetE1EEEvSG_
	.p2align	8
	.type	_ZN7rocprim17ROCPRIM_400000_NS6detail17trampoline_kernelINS0_14default_configENS1_35radix_sort_onesweep_config_selectorIhlEEZZNS1_29radix_sort_onesweep_iterationIS3_Lb0EPhS7_N6thrust23THRUST_200600_302600_NS10device_ptrIlEESB_jNS0_19identity_decomposerENS1_16block_id_wrapperIjLb0EEEEE10hipError_tT1_PNSt15iterator_traitsISG_E10value_typeET2_T3_PNSH_ISM_E10value_typeET4_T5_PSR_SS_PNS1_23onesweep_lookback_stateEbbT6_jjT7_P12ihipStream_tbENKUlT_T0_SG_SL_E_clIS7_S7_PlSB_EEDaSZ_S10_SG_SL_EUlSZ_E_NS1_11comp_targetILNS1_3genE2ELNS1_11target_archE906ELNS1_3gpuE6ELNS1_3repE0EEENS1_47radix_sort_onesweep_sort_config_static_selectorELNS0_4arch9wavefront6targetE1EEEvSG_,@function
_ZN7rocprim17ROCPRIM_400000_NS6detail17trampoline_kernelINS0_14default_configENS1_35radix_sort_onesweep_config_selectorIhlEEZZNS1_29radix_sort_onesweep_iterationIS3_Lb0EPhS7_N6thrust23THRUST_200600_302600_NS10device_ptrIlEESB_jNS0_19identity_decomposerENS1_16block_id_wrapperIjLb0EEEEE10hipError_tT1_PNSt15iterator_traitsISG_E10value_typeET2_T3_PNSH_ISM_E10value_typeET4_T5_PSR_SS_PNS1_23onesweep_lookback_stateEbbT6_jjT7_P12ihipStream_tbENKUlT_T0_SG_SL_E_clIS7_S7_PlSB_EEDaSZ_S10_SG_SL_EUlSZ_E_NS1_11comp_targetILNS1_3genE2ELNS1_11target_archE906ELNS1_3gpuE6ELNS1_3repE0EEENS1_47radix_sort_onesweep_sort_config_static_selectorELNS0_4arch9wavefront6targetE1EEEvSG_: ; @_ZN7rocprim17ROCPRIM_400000_NS6detail17trampoline_kernelINS0_14default_configENS1_35radix_sort_onesweep_config_selectorIhlEEZZNS1_29radix_sort_onesweep_iterationIS3_Lb0EPhS7_N6thrust23THRUST_200600_302600_NS10device_ptrIlEESB_jNS0_19identity_decomposerENS1_16block_id_wrapperIjLb0EEEEE10hipError_tT1_PNSt15iterator_traitsISG_E10value_typeET2_T3_PNSH_ISM_E10value_typeET4_T5_PSR_SS_PNS1_23onesweep_lookback_stateEbbT6_jjT7_P12ihipStream_tbENKUlT_T0_SG_SL_E_clIS7_S7_PlSB_EEDaSZ_S10_SG_SL_EUlSZ_E_NS1_11comp_targetILNS1_3genE2ELNS1_11target_archE906ELNS1_3gpuE6ELNS1_3repE0EEENS1_47radix_sort_onesweep_sort_config_static_selectorELNS0_4arch9wavefront6targetE1EEEvSG_
; %bb.0:
	.section	.rodata,"a",@progbits
	.p2align	6, 0x0
	.amdhsa_kernel _ZN7rocprim17ROCPRIM_400000_NS6detail17trampoline_kernelINS0_14default_configENS1_35radix_sort_onesweep_config_selectorIhlEEZZNS1_29radix_sort_onesweep_iterationIS3_Lb0EPhS7_N6thrust23THRUST_200600_302600_NS10device_ptrIlEESB_jNS0_19identity_decomposerENS1_16block_id_wrapperIjLb0EEEEE10hipError_tT1_PNSt15iterator_traitsISG_E10value_typeET2_T3_PNSH_ISM_E10value_typeET4_T5_PSR_SS_PNS1_23onesweep_lookback_stateEbbT6_jjT7_P12ihipStream_tbENKUlT_T0_SG_SL_E_clIS7_S7_PlSB_EEDaSZ_S10_SG_SL_EUlSZ_E_NS1_11comp_targetILNS1_3genE2ELNS1_11target_archE906ELNS1_3gpuE6ELNS1_3repE0EEENS1_47radix_sort_onesweep_sort_config_static_selectorELNS0_4arch9wavefront6targetE1EEEvSG_
		.amdhsa_group_segment_fixed_size 0
		.amdhsa_private_segment_fixed_size 0
		.amdhsa_kernarg_size 88
		.amdhsa_user_sgpr_count 6
		.amdhsa_user_sgpr_private_segment_buffer 1
		.amdhsa_user_sgpr_dispatch_ptr 0
		.amdhsa_user_sgpr_queue_ptr 0
		.amdhsa_user_sgpr_kernarg_segment_ptr 1
		.amdhsa_user_sgpr_dispatch_id 0
		.amdhsa_user_sgpr_flat_scratch_init 0
		.amdhsa_user_sgpr_kernarg_preload_length 0
		.amdhsa_user_sgpr_kernarg_preload_offset 0
		.amdhsa_user_sgpr_private_segment_size 0
		.amdhsa_uses_dynamic_stack 0
		.amdhsa_system_sgpr_private_segment_wavefront_offset 0
		.amdhsa_system_sgpr_workgroup_id_x 1
		.amdhsa_system_sgpr_workgroup_id_y 0
		.amdhsa_system_sgpr_workgroup_id_z 0
		.amdhsa_system_sgpr_workgroup_info 0
		.amdhsa_system_vgpr_workitem_id 0
		.amdhsa_next_free_vgpr 1
		.amdhsa_next_free_sgpr 0
		.amdhsa_accum_offset 4
		.amdhsa_reserve_vcc 0
		.amdhsa_reserve_flat_scratch 0
		.amdhsa_float_round_mode_32 0
		.amdhsa_float_round_mode_16_64 0
		.amdhsa_float_denorm_mode_32 3
		.amdhsa_float_denorm_mode_16_64 3
		.amdhsa_dx10_clamp 1
		.amdhsa_ieee_mode 1
		.amdhsa_fp16_overflow 0
		.amdhsa_tg_split 0
		.amdhsa_exception_fp_ieee_invalid_op 0
		.amdhsa_exception_fp_denorm_src 0
		.amdhsa_exception_fp_ieee_div_zero 0
		.amdhsa_exception_fp_ieee_overflow 0
		.amdhsa_exception_fp_ieee_underflow 0
		.amdhsa_exception_fp_ieee_inexact 0
		.amdhsa_exception_int_div_zero 0
	.end_amdhsa_kernel
	.section	.text._ZN7rocprim17ROCPRIM_400000_NS6detail17trampoline_kernelINS0_14default_configENS1_35radix_sort_onesweep_config_selectorIhlEEZZNS1_29radix_sort_onesweep_iterationIS3_Lb0EPhS7_N6thrust23THRUST_200600_302600_NS10device_ptrIlEESB_jNS0_19identity_decomposerENS1_16block_id_wrapperIjLb0EEEEE10hipError_tT1_PNSt15iterator_traitsISG_E10value_typeET2_T3_PNSH_ISM_E10value_typeET4_T5_PSR_SS_PNS1_23onesweep_lookback_stateEbbT6_jjT7_P12ihipStream_tbENKUlT_T0_SG_SL_E_clIS7_S7_PlSB_EEDaSZ_S10_SG_SL_EUlSZ_E_NS1_11comp_targetILNS1_3genE2ELNS1_11target_archE906ELNS1_3gpuE6ELNS1_3repE0EEENS1_47radix_sort_onesweep_sort_config_static_selectorELNS0_4arch9wavefront6targetE1EEEvSG_,"axG",@progbits,_ZN7rocprim17ROCPRIM_400000_NS6detail17trampoline_kernelINS0_14default_configENS1_35radix_sort_onesweep_config_selectorIhlEEZZNS1_29radix_sort_onesweep_iterationIS3_Lb0EPhS7_N6thrust23THRUST_200600_302600_NS10device_ptrIlEESB_jNS0_19identity_decomposerENS1_16block_id_wrapperIjLb0EEEEE10hipError_tT1_PNSt15iterator_traitsISG_E10value_typeET2_T3_PNSH_ISM_E10value_typeET4_T5_PSR_SS_PNS1_23onesweep_lookback_stateEbbT6_jjT7_P12ihipStream_tbENKUlT_T0_SG_SL_E_clIS7_S7_PlSB_EEDaSZ_S10_SG_SL_EUlSZ_E_NS1_11comp_targetILNS1_3genE2ELNS1_11target_archE906ELNS1_3gpuE6ELNS1_3repE0EEENS1_47radix_sort_onesweep_sort_config_static_selectorELNS0_4arch9wavefront6targetE1EEEvSG_,comdat
.Lfunc_end312:
	.size	_ZN7rocprim17ROCPRIM_400000_NS6detail17trampoline_kernelINS0_14default_configENS1_35radix_sort_onesweep_config_selectorIhlEEZZNS1_29radix_sort_onesweep_iterationIS3_Lb0EPhS7_N6thrust23THRUST_200600_302600_NS10device_ptrIlEESB_jNS0_19identity_decomposerENS1_16block_id_wrapperIjLb0EEEEE10hipError_tT1_PNSt15iterator_traitsISG_E10value_typeET2_T3_PNSH_ISM_E10value_typeET4_T5_PSR_SS_PNS1_23onesweep_lookback_stateEbbT6_jjT7_P12ihipStream_tbENKUlT_T0_SG_SL_E_clIS7_S7_PlSB_EEDaSZ_S10_SG_SL_EUlSZ_E_NS1_11comp_targetILNS1_3genE2ELNS1_11target_archE906ELNS1_3gpuE6ELNS1_3repE0EEENS1_47radix_sort_onesweep_sort_config_static_selectorELNS0_4arch9wavefront6targetE1EEEvSG_, .Lfunc_end312-_ZN7rocprim17ROCPRIM_400000_NS6detail17trampoline_kernelINS0_14default_configENS1_35radix_sort_onesweep_config_selectorIhlEEZZNS1_29radix_sort_onesweep_iterationIS3_Lb0EPhS7_N6thrust23THRUST_200600_302600_NS10device_ptrIlEESB_jNS0_19identity_decomposerENS1_16block_id_wrapperIjLb0EEEEE10hipError_tT1_PNSt15iterator_traitsISG_E10value_typeET2_T3_PNSH_ISM_E10value_typeET4_T5_PSR_SS_PNS1_23onesweep_lookback_stateEbbT6_jjT7_P12ihipStream_tbENKUlT_T0_SG_SL_E_clIS7_S7_PlSB_EEDaSZ_S10_SG_SL_EUlSZ_E_NS1_11comp_targetILNS1_3genE2ELNS1_11target_archE906ELNS1_3gpuE6ELNS1_3repE0EEENS1_47radix_sort_onesweep_sort_config_static_selectorELNS0_4arch9wavefront6targetE1EEEvSG_
                                        ; -- End function
	.section	.AMDGPU.csdata,"",@progbits
; Kernel info:
; codeLenInByte = 0
; NumSgprs: 4
; NumVgprs: 0
; NumAgprs: 0
; TotalNumVgprs: 0
; ScratchSize: 0
; MemoryBound: 0
; FloatMode: 240
; IeeeMode: 1
; LDSByteSize: 0 bytes/workgroup (compile time only)
; SGPRBlocks: 0
; VGPRBlocks: 0
; NumSGPRsForWavesPerEU: 4
; NumVGPRsForWavesPerEU: 1
; AccumOffset: 4
; Occupancy: 8
; WaveLimiterHint : 0
; COMPUTE_PGM_RSRC2:SCRATCH_EN: 0
; COMPUTE_PGM_RSRC2:USER_SGPR: 6
; COMPUTE_PGM_RSRC2:TRAP_HANDLER: 0
; COMPUTE_PGM_RSRC2:TGID_X_EN: 1
; COMPUTE_PGM_RSRC2:TGID_Y_EN: 0
; COMPUTE_PGM_RSRC2:TGID_Z_EN: 0
; COMPUTE_PGM_RSRC2:TIDIG_COMP_CNT: 0
; COMPUTE_PGM_RSRC3_GFX90A:ACCUM_OFFSET: 0
; COMPUTE_PGM_RSRC3_GFX90A:TG_SPLIT: 0
	.section	.text._ZN7rocprim17ROCPRIM_400000_NS6detail17trampoline_kernelINS0_14default_configENS1_35radix_sort_onesweep_config_selectorIhlEEZZNS1_29radix_sort_onesweep_iterationIS3_Lb0EPhS7_N6thrust23THRUST_200600_302600_NS10device_ptrIlEESB_jNS0_19identity_decomposerENS1_16block_id_wrapperIjLb0EEEEE10hipError_tT1_PNSt15iterator_traitsISG_E10value_typeET2_T3_PNSH_ISM_E10value_typeET4_T5_PSR_SS_PNS1_23onesweep_lookback_stateEbbT6_jjT7_P12ihipStream_tbENKUlT_T0_SG_SL_E_clIS7_S7_PlSB_EEDaSZ_S10_SG_SL_EUlSZ_E_NS1_11comp_targetILNS1_3genE4ELNS1_11target_archE910ELNS1_3gpuE8ELNS1_3repE0EEENS1_47radix_sort_onesweep_sort_config_static_selectorELNS0_4arch9wavefront6targetE1EEEvSG_,"axG",@progbits,_ZN7rocprim17ROCPRIM_400000_NS6detail17trampoline_kernelINS0_14default_configENS1_35radix_sort_onesweep_config_selectorIhlEEZZNS1_29radix_sort_onesweep_iterationIS3_Lb0EPhS7_N6thrust23THRUST_200600_302600_NS10device_ptrIlEESB_jNS0_19identity_decomposerENS1_16block_id_wrapperIjLb0EEEEE10hipError_tT1_PNSt15iterator_traitsISG_E10value_typeET2_T3_PNSH_ISM_E10value_typeET4_T5_PSR_SS_PNS1_23onesweep_lookback_stateEbbT6_jjT7_P12ihipStream_tbENKUlT_T0_SG_SL_E_clIS7_S7_PlSB_EEDaSZ_S10_SG_SL_EUlSZ_E_NS1_11comp_targetILNS1_3genE4ELNS1_11target_archE910ELNS1_3gpuE8ELNS1_3repE0EEENS1_47radix_sort_onesweep_sort_config_static_selectorELNS0_4arch9wavefront6targetE1EEEvSG_,comdat
	.protected	_ZN7rocprim17ROCPRIM_400000_NS6detail17trampoline_kernelINS0_14default_configENS1_35radix_sort_onesweep_config_selectorIhlEEZZNS1_29radix_sort_onesweep_iterationIS3_Lb0EPhS7_N6thrust23THRUST_200600_302600_NS10device_ptrIlEESB_jNS0_19identity_decomposerENS1_16block_id_wrapperIjLb0EEEEE10hipError_tT1_PNSt15iterator_traitsISG_E10value_typeET2_T3_PNSH_ISM_E10value_typeET4_T5_PSR_SS_PNS1_23onesweep_lookback_stateEbbT6_jjT7_P12ihipStream_tbENKUlT_T0_SG_SL_E_clIS7_S7_PlSB_EEDaSZ_S10_SG_SL_EUlSZ_E_NS1_11comp_targetILNS1_3genE4ELNS1_11target_archE910ELNS1_3gpuE8ELNS1_3repE0EEENS1_47radix_sort_onesweep_sort_config_static_selectorELNS0_4arch9wavefront6targetE1EEEvSG_ ; -- Begin function _ZN7rocprim17ROCPRIM_400000_NS6detail17trampoline_kernelINS0_14default_configENS1_35radix_sort_onesweep_config_selectorIhlEEZZNS1_29radix_sort_onesweep_iterationIS3_Lb0EPhS7_N6thrust23THRUST_200600_302600_NS10device_ptrIlEESB_jNS0_19identity_decomposerENS1_16block_id_wrapperIjLb0EEEEE10hipError_tT1_PNSt15iterator_traitsISG_E10value_typeET2_T3_PNSH_ISM_E10value_typeET4_T5_PSR_SS_PNS1_23onesweep_lookback_stateEbbT6_jjT7_P12ihipStream_tbENKUlT_T0_SG_SL_E_clIS7_S7_PlSB_EEDaSZ_S10_SG_SL_EUlSZ_E_NS1_11comp_targetILNS1_3genE4ELNS1_11target_archE910ELNS1_3gpuE8ELNS1_3repE0EEENS1_47radix_sort_onesweep_sort_config_static_selectorELNS0_4arch9wavefront6targetE1EEEvSG_
	.globl	_ZN7rocprim17ROCPRIM_400000_NS6detail17trampoline_kernelINS0_14default_configENS1_35radix_sort_onesweep_config_selectorIhlEEZZNS1_29radix_sort_onesweep_iterationIS3_Lb0EPhS7_N6thrust23THRUST_200600_302600_NS10device_ptrIlEESB_jNS0_19identity_decomposerENS1_16block_id_wrapperIjLb0EEEEE10hipError_tT1_PNSt15iterator_traitsISG_E10value_typeET2_T3_PNSH_ISM_E10value_typeET4_T5_PSR_SS_PNS1_23onesweep_lookback_stateEbbT6_jjT7_P12ihipStream_tbENKUlT_T0_SG_SL_E_clIS7_S7_PlSB_EEDaSZ_S10_SG_SL_EUlSZ_E_NS1_11comp_targetILNS1_3genE4ELNS1_11target_archE910ELNS1_3gpuE8ELNS1_3repE0EEENS1_47radix_sort_onesweep_sort_config_static_selectorELNS0_4arch9wavefront6targetE1EEEvSG_
	.p2align	8
	.type	_ZN7rocprim17ROCPRIM_400000_NS6detail17trampoline_kernelINS0_14default_configENS1_35radix_sort_onesweep_config_selectorIhlEEZZNS1_29radix_sort_onesweep_iterationIS3_Lb0EPhS7_N6thrust23THRUST_200600_302600_NS10device_ptrIlEESB_jNS0_19identity_decomposerENS1_16block_id_wrapperIjLb0EEEEE10hipError_tT1_PNSt15iterator_traitsISG_E10value_typeET2_T3_PNSH_ISM_E10value_typeET4_T5_PSR_SS_PNS1_23onesweep_lookback_stateEbbT6_jjT7_P12ihipStream_tbENKUlT_T0_SG_SL_E_clIS7_S7_PlSB_EEDaSZ_S10_SG_SL_EUlSZ_E_NS1_11comp_targetILNS1_3genE4ELNS1_11target_archE910ELNS1_3gpuE8ELNS1_3repE0EEENS1_47radix_sort_onesweep_sort_config_static_selectorELNS0_4arch9wavefront6targetE1EEEvSG_,@function
_ZN7rocprim17ROCPRIM_400000_NS6detail17trampoline_kernelINS0_14default_configENS1_35radix_sort_onesweep_config_selectorIhlEEZZNS1_29radix_sort_onesweep_iterationIS3_Lb0EPhS7_N6thrust23THRUST_200600_302600_NS10device_ptrIlEESB_jNS0_19identity_decomposerENS1_16block_id_wrapperIjLb0EEEEE10hipError_tT1_PNSt15iterator_traitsISG_E10value_typeET2_T3_PNSH_ISM_E10value_typeET4_T5_PSR_SS_PNS1_23onesweep_lookback_stateEbbT6_jjT7_P12ihipStream_tbENKUlT_T0_SG_SL_E_clIS7_S7_PlSB_EEDaSZ_S10_SG_SL_EUlSZ_E_NS1_11comp_targetILNS1_3genE4ELNS1_11target_archE910ELNS1_3gpuE8ELNS1_3repE0EEENS1_47radix_sort_onesweep_sort_config_static_selectorELNS0_4arch9wavefront6targetE1EEEvSG_: ; @_ZN7rocprim17ROCPRIM_400000_NS6detail17trampoline_kernelINS0_14default_configENS1_35radix_sort_onesweep_config_selectorIhlEEZZNS1_29radix_sort_onesweep_iterationIS3_Lb0EPhS7_N6thrust23THRUST_200600_302600_NS10device_ptrIlEESB_jNS0_19identity_decomposerENS1_16block_id_wrapperIjLb0EEEEE10hipError_tT1_PNSt15iterator_traitsISG_E10value_typeET2_T3_PNSH_ISM_E10value_typeET4_T5_PSR_SS_PNS1_23onesweep_lookback_stateEbbT6_jjT7_P12ihipStream_tbENKUlT_T0_SG_SL_E_clIS7_S7_PlSB_EEDaSZ_S10_SG_SL_EUlSZ_E_NS1_11comp_targetILNS1_3genE4ELNS1_11target_archE910ELNS1_3gpuE8ELNS1_3repE0EEENS1_47radix_sort_onesweep_sort_config_static_selectorELNS0_4arch9wavefront6targetE1EEEvSG_
; %bb.0:
	s_load_dwordx8 s[36:43], s[4:5], 0x0
	s_load_dwordx4 s[44:47], s[4:5], 0x44
	s_load_dwordx4 s[28:31], s[4:5], 0x28
	s_load_dwordx2 s[34:35], s[4:5], 0x38
	v_mbcnt_lo_u32_b32 v1, -1, 0
	s_waitcnt lgkmcnt(0)
	s_cmp_ge_u32 s6, s46
	s_cbranch_scc0 .LBB313_84
; %bb.1:
	s_load_dword s0, s[4:5], 0x20
	s_lshl_b32 s1, s46, 13
	s_lshl_b32 s46, s6, 13
	v_mbcnt_hi_u32_b32 v15, -1, v1
	v_and_b32_e32 v10, 0x3ff, v0
	s_waitcnt lgkmcnt(0)
	s_sub_i32 s7, s0, s1
	s_add_u32 s0, s36, s46
	s_addc_u32 s1, s37, 0
	v_and_b32_e32 v14, 63, v15
	v_lshlrev_b32_e32 v11, 3, v10
	v_mov_b32_e32 v2, s1
	v_add_co_u32_e32 v3, vcc, s0, v14
	v_and_b32_e32 v12, 0x1e00, v11
	v_addc_co_u32_e32 v4, vcc, 0, v2, vcc
	v_add_co_u32_e32 v2, vcc, v3, v12
	v_addc_co_u32_e32 v3, vcc, 0, v4, vcc
	v_or_b32_e32 v4, v14, v12
	s_mov_b32 s47, 0
	v_cmp_gt_u32_e32 vcc, s7, v4
	v_mov_b32_e32 v6, 0xff
	v_mov_b32_e32 v7, 0xff
	s_and_saveexec_b64 s[0:1], vcc
	s_cbranch_execz .LBB313_3
; %bb.2:
	global_load_ubyte v7, v[2:3], off
.LBB313_3:
	s_or_b64 exec, exec, s[0:1]
	v_or_b32_e32 v5, 64, v4
	v_cmp_gt_u32_e64 s[0:1], s7, v5
	s_and_saveexec_b64 s[2:3], s[0:1]
	s_cbranch_execz .LBB313_5
; %bb.4:
	global_load_ubyte v6, v[2:3], off offset:64
.LBB313_5:
	s_or_b64 exec, exec, s[2:3]
	v_or_b32_e32 v5, 0x80, v4
	v_cmp_gt_u32_e64 s[2:3], s7, v5
	v_mov_b32_e32 v8, 0xff
	v_mov_b32_e32 v9, 0xff
	s_and_saveexec_b64 s[8:9], s[2:3]
	s_cbranch_execz .LBB313_7
; %bb.6:
	global_load_ubyte v9, v[2:3], off offset:128
.LBB313_7:
	s_or_b64 exec, exec, s[8:9]
	v_or_b32_e32 v5, 0xc0, v4
	v_cmp_gt_u32_e64 s[24:25], s7, v5
	s_and_saveexec_b64 s[8:9], s[24:25]
	s_cbranch_execz .LBB313_9
; %bb.8:
	global_load_ubyte v8, v[2:3], off offset:192
.LBB313_9:
	s_or_b64 exec, exec, s[8:9]
	v_or_b32_e32 v5, 0x100, v4
	v_cmp_gt_u32_e64 s[8:9], s7, v5
	v_mov_b32_e32 v13, 0xff
	v_mov_b32_e32 v16, 0xff
	s_and_saveexec_b64 s[10:11], s[8:9]
	s_cbranch_execz .LBB313_11
; %bb.10:
	global_load_ubyte v16, v[2:3], off offset:256
.LBB313_11:
	s_or_b64 exec, exec, s[10:11]
	v_or_b32_e32 v5, 0x140, v4
	v_cmp_gt_u32_e64 s[10:11], s7, v5
	s_and_saveexec_b64 s[12:13], s[10:11]
	s_cbranch_execz .LBB313_13
; %bb.12:
	global_load_ubyte v13, v[2:3], off offset:320
.LBB313_13:
	s_or_b64 exec, exec, s[12:13]
	v_or_b32_e32 v5, 0x180, v4
	v_cmp_gt_u32_e64 s[12:13], s7, v5
	v_mov_b32_e32 v17, 0xff
	v_mov_b32_e32 v18, 0xff
	s_and_saveexec_b64 s[14:15], s[12:13]
	s_cbranch_execz .LBB313_15
; %bb.14:
	global_load_ubyte v18, v[2:3], off offset:384
.LBB313_15:
	s_or_b64 exec, exec, s[14:15]
	v_or_b32_e32 v4, 0x1c0, v4
	v_cmp_gt_u32_e64 s[14:15], s7, v4
	s_and_saveexec_b64 s[16:17], s[14:15]
	s_cbranch_execz .LBB313_17
; %bb.16:
	global_load_ubyte v17, v[2:3], off offset:448
.LBB313_17:
	s_or_b64 exec, exec, s[16:17]
	s_load_dword s16, s[4:5], 0x64
	s_load_dword s33, s[4:5], 0x58
	s_add_u32 s17, s4, 0x58
	s_addc_u32 s18, s5, 0
	v_mov_b32_e32 v2, 0
	s_waitcnt lgkmcnt(0)
	s_lshr_b32 s19, s16, 16
	s_cmp_lt_u32 s6, s33
	s_cselect_b32 s16, 12, 18
	s_add_u32 s16, s17, s16
	s_addc_u32 s17, s18, 0
	global_load_ushort v4, v2, s[16:17]
	s_lshl_b32 s16, -1, s45
	s_waitcnt vmcnt(1)
	v_lshrrev_b32_sdwa v20, s44, v7 dst_sel:DWORD dst_unused:UNUSED_PAD src0_sel:DWORD src1_sel:BYTE_0
	s_not_b32 s50, s16
	v_and_b32_e32 v20, s50, v20
	v_and_b32_e32 v22, 1, v20
	v_bfe_u32 v3, v0, 10, 10
	v_bfe_u32 v5, v0, 20, 10
	v_add_co_u32_e64 v23, s[16:17], -1, v22
	v_mad_u32_u24 v5, v5, s19, v3
	v_lshlrev_b32_e32 v3, 30, v20
	v_addc_co_u32_e64 v24, s[16:17], 0, -1, s[16:17]
	v_cmp_ne_u32_e64 s[16:17], 0, v22
	v_cmp_gt_i64_e64 s[18:19], 0, v[2:3]
	v_not_b32_e32 v22, v3
	v_lshlrev_b32_e32 v3, 29, v20
	v_xor_b32_e32 v24, s17, v24
	v_xor_b32_e32 v23, s16, v23
	v_ashrrev_i32_e32 v22, 31, v22
	v_cmp_gt_i64_e64 s[16:17], 0, v[2:3]
	v_not_b32_e32 v25, v3
	v_lshlrev_b32_e32 v3, 28, v20
	v_and_b32_e32 v24, exec_hi, v24
	v_and_b32_e32 v23, exec_lo, v23
	v_xor_b32_e32 v26, s19, v22
	v_xor_b32_e32 v22, s18, v22
	v_ashrrev_i32_e32 v25, 31, v25
	v_cmp_gt_i64_e64 s[18:19], 0, v[2:3]
	v_not_b32_e32 v27, v3
	v_lshlrev_b32_e32 v3, 27, v20
	v_and_b32_e32 v24, v24, v26
	v_and_b32_e32 v22, v23, v22
	v_xor_b32_e32 v23, s17, v25
	v_xor_b32_e32 v25, s16, v25
	v_ashrrev_i32_e32 v26, 31, v27
	v_cmp_gt_i64_e64 s[16:17], 0, v[2:3]
	v_not_b32_e32 v27, v3
	v_lshlrev_b32_e32 v3, 26, v20
	v_and_b32_e32 v23, v24, v23
	v_and_b32_e32 v22, v22, v25
	;; [unrolled: 8-line block ×3, first 2 shown]
	v_xor_b32_e32 v24, s17, v26
	v_xor_b32_e32 v25, s16, v26
	v_ashrrev_i32_e32 v26, 31, v27
	v_cmp_gt_i64_e64 s[16:17], 0, v[2:3]
	v_not_b32_e32 v27, v3
	v_lshlrev_b32_e32 v3, 24, v20
	v_mul_u32_u24_e32 v21, 17, v20
	v_and_b32_e32 v20, v23, v24
	v_and_b32_e32 v22, v22, v25
	v_xor_b32_e32 v23, s19, v26
	v_xor_b32_e32 v24, s18, v26
	v_ashrrev_i32_e32 v25, 31, v27
	v_cmp_gt_i64_e64 s[18:19], 0, v[2:3]
	v_not_b32_e32 v3, v3
	v_and_b32_e32 v20, v20, v23
	v_and_b32_e32 v22, v22, v24
	v_xor_b32_e32 v23, s17, v25
	v_xor_b32_e32 v24, s16, v25
	v_ashrrev_i32_e32 v3, 31, v3
	v_and_b32_e32 v20, v20, v23
	v_and_b32_e32 v22, v22, v24
	v_mul_u32_u24_e32 v19, 5, v10
	v_lshlrev_b32_e32 v19, 2, v19
	ds_write2_b32 v19, v2, v2 offset0:16 offset1:17
	ds_write2_b32 v19, v2, v2 offset0:18 offset1:19
	ds_write_b32 v19, v2 offset:80
	s_waitcnt lgkmcnt(0)
	s_barrier
	s_waitcnt lgkmcnt(0)
	; wave barrier
	s_waitcnt vmcnt(0)
	v_mad_u64_u32 v[4:5], s[16:17], v5, v4, v[10:11]
	v_lshrrev_b32_e32 v24, 6, v4
	v_xor_b32_e32 v4, s19, v3
	v_xor_b32_e32 v3, s18, v3
	v_and_b32_e32 v5, v20, v4
	v_and_b32_e32 v4, v22, v3
	v_mbcnt_lo_u32_b32 v3, v4, 0
	v_mbcnt_hi_u32_b32 v20, v5, v3
	v_cmp_eq_u32_e64 s[16:17], 0, v20
	v_cmp_ne_u64_e64 s[18:19], 0, v[4:5]
	v_add_lshl_u32 v21, v24, v21, 2
	s_and_b64 s[18:19], s[18:19], s[16:17]
	s_and_saveexec_b64 s[16:17], s[18:19]
	s_cbranch_execz .LBB313_19
; %bb.18:
	v_bcnt_u32_b32 v3, v4, 0
	v_bcnt_u32_b32 v3, v5, v3
	ds_write_b32 v21, v3 offset:64
.LBB313_19:
	s_or_b64 exec, exec, s[16:17]
	v_lshrrev_b32_sdwa v3, s44, v6 dst_sel:DWORD dst_unused:UNUSED_PAD src0_sel:DWORD src1_sel:BYTE_0
	v_and_b32_e32 v4, s50, v3
	v_mul_u32_u24_e32 v3, 17, v4
	v_add_lshl_u32 v22, v24, v3, 2
	v_and_b32_e32 v3, 1, v4
	v_add_co_u32_e64 v5, s[16:17], -1, v3
	v_addc_co_u32_e64 v23, s[16:17], 0, -1, s[16:17]
	v_cmp_ne_u32_e64 s[16:17], 0, v3
	v_xor_b32_e32 v3, s17, v23
	v_and_b32_e32 v23, exec_hi, v3
	v_lshlrev_b32_e32 v3, 30, v4
	v_xor_b32_e32 v5, s16, v5
	v_cmp_gt_i64_e64 s[16:17], 0, v[2:3]
	v_not_b32_e32 v3, v3
	v_ashrrev_i32_e32 v3, 31, v3
	v_and_b32_e32 v5, exec_lo, v5
	v_xor_b32_e32 v25, s17, v3
	v_xor_b32_e32 v3, s16, v3
	v_and_b32_e32 v5, v5, v3
	v_lshlrev_b32_e32 v3, 29, v4
	v_cmp_gt_i64_e64 s[16:17], 0, v[2:3]
	v_not_b32_e32 v3, v3
	v_ashrrev_i32_e32 v3, 31, v3
	v_and_b32_e32 v23, v23, v25
	v_xor_b32_e32 v25, s17, v3
	v_xor_b32_e32 v3, s16, v3
	v_and_b32_e32 v5, v5, v3
	v_lshlrev_b32_e32 v3, 28, v4
	v_cmp_gt_i64_e64 s[16:17], 0, v[2:3]
	v_not_b32_e32 v3, v3
	v_ashrrev_i32_e32 v3, 31, v3
	v_and_b32_e32 v23, v23, v25
	;; [unrolled: 8-line block ×5, first 2 shown]
	v_xor_b32_e32 v25, s17, v3
	v_xor_b32_e32 v3, s16, v3
	v_and_b32_e32 v5, v5, v3
	v_lshlrev_b32_e32 v3, 24, v4
	v_cmp_gt_i64_e64 s[16:17], 0, v[2:3]
	v_not_b32_e32 v2, v3
	v_ashrrev_i32_e32 v2, 31, v2
	v_xor_b32_e32 v3, s17, v2
	v_xor_b32_e32 v2, s16, v2
	; wave barrier
	ds_read_b32 v30, v22 offset:64
	v_and_b32_e32 v23, v23, v25
	v_and_b32_e32 v2, v5, v2
	;; [unrolled: 1-line block ×3, first 2 shown]
	v_mbcnt_lo_u32_b32 v4, v2, 0
	v_mbcnt_hi_u32_b32 v31, v3, v4
	v_cmp_eq_u32_e64 s[16:17], 0, v31
	v_cmp_ne_u64_e64 s[18:19], 0, v[2:3]
	s_and_b64 s[18:19], s[18:19], s[16:17]
	; wave barrier
	s_and_saveexec_b64 s[16:17], s[18:19]
	s_cbranch_execz .LBB313_21
; %bb.20:
	v_bcnt_u32_b32 v2, v2, 0
	v_bcnt_u32_b32 v2, v3, v2
	s_waitcnt lgkmcnt(0)
	v_add_u32_e32 v2, v30, v2
	ds_write_b32 v22, v2 offset:64
.LBB313_21:
	s_or_b64 exec, exec, s[16:17]
	v_lshrrev_b32_sdwa v2, s44, v9 dst_sel:DWORD dst_unused:UNUSED_PAD src0_sel:DWORD src1_sel:BYTE_0
	v_and_b32_e32 v4, s50, v2
	v_and_b32_e32 v3, 1, v4
	v_add_co_u32_e64 v5, s[16:17], -1, v3
	v_addc_co_u32_e64 v25, s[16:17], 0, -1, s[16:17]
	v_cmp_ne_u32_e64 s[16:17], 0, v3
	v_mul_u32_u24_e32 v2, 17, v4
	v_xor_b32_e32 v3, s17, v25
	v_add_lshl_u32 v23, v24, v2, 2
	v_mov_b32_e32 v2, 0
	v_and_b32_e32 v25, exec_hi, v3
	v_lshlrev_b32_e32 v3, 30, v4
	v_xor_b32_e32 v5, s16, v5
	v_cmp_gt_i64_e64 s[16:17], 0, v[2:3]
	v_not_b32_e32 v3, v3
	v_ashrrev_i32_e32 v3, 31, v3
	v_and_b32_e32 v5, exec_lo, v5
	v_xor_b32_e32 v26, s17, v3
	v_xor_b32_e32 v3, s16, v3
	v_and_b32_e32 v5, v5, v3
	v_lshlrev_b32_e32 v3, 29, v4
	v_cmp_gt_i64_e64 s[16:17], 0, v[2:3]
	v_not_b32_e32 v3, v3
	v_ashrrev_i32_e32 v3, 31, v3
	v_and_b32_e32 v25, v25, v26
	v_xor_b32_e32 v26, s17, v3
	v_xor_b32_e32 v3, s16, v3
	v_and_b32_e32 v5, v5, v3
	v_lshlrev_b32_e32 v3, 28, v4
	v_cmp_gt_i64_e64 s[16:17], 0, v[2:3]
	v_not_b32_e32 v3, v3
	v_ashrrev_i32_e32 v3, 31, v3
	v_and_b32_e32 v25, v25, v26
	;; [unrolled: 8-line block ×5, first 2 shown]
	v_xor_b32_e32 v26, s17, v3
	v_xor_b32_e32 v3, s16, v3
	v_and_b32_e32 v25, v25, v26
	v_and_b32_e32 v26, v5, v3
	v_lshlrev_b32_e32 v3, 24, v4
	v_cmp_gt_i64_e64 s[16:17], 0, v[2:3]
	v_not_b32_e32 v3, v3
	v_ashrrev_i32_e32 v3, 31, v3
	v_xor_b32_e32 v4, s17, v3
	v_xor_b32_e32 v3, s16, v3
	; wave barrier
	ds_read_b32 v32, v23 offset:64
	v_and_b32_e32 v5, v25, v4
	v_and_b32_e32 v4, v26, v3
	v_mbcnt_lo_u32_b32 v3, v4, 0
	v_mbcnt_hi_u32_b32 v33, v5, v3
	v_cmp_eq_u32_e64 s[16:17], 0, v33
	v_cmp_ne_u64_e64 s[18:19], 0, v[4:5]
	s_and_b64 s[18:19], s[18:19], s[16:17]
	; wave barrier
	s_and_saveexec_b64 s[16:17], s[18:19]
	s_cbranch_execz .LBB313_23
; %bb.22:
	v_bcnt_u32_b32 v3, v4, 0
	v_bcnt_u32_b32 v3, v5, v3
	s_waitcnt lgkmcnt(0)
	v_add_u32_e32 v3, v32, v3
	ds_write_b32 v23, v3 offset:64
.LBB313_23:
	s_or_b64 exec, exec, s[16:17]
	v_lshrrev_b32_sdwa v3, s44, v8 dst_sel:DWORD dst_unused:UNUSED_PAD src0_sel:DWORD src1_sel:BYTE_0
	v_and_b32_e32 v4, s50, v3
	v_mul_u32_u24_e32 v3, 17, v4
	v_add_lshl_u32 v25, v24, v3, 2
	v_and_b32_e32 v3, 1, v4
	v_add_co_u32_e64 v5, s[16:17], -1, v3
	v_addc_co_u32_e64 v26, s[16:17], 0, -1, s[16:17]
	v_cmp_ne_u32_e64 s[16:17], 0, v3
	v_xor_b32_e32 v3, s17, v26
	v_and_b32_e32 v26, exec_hi, v3
	v_lshlrev_b32_e32 v3, 30, v4
	v_xor_b32_e32 v5, s16, v5
	v_cmp_gt_i64_e64 s[16:17], 0, v[2:3]
	v_not_b32_e32 v3, v3
	v_ashrrev_i32_e32 v3, 31, v3
	v_and_b32_e32 v5, exec_lo, v5
	v_xor_b32_e32 v27, s17, v3
	v_xor_b32_e32 v3, s16, v3
	v_and_b32_e32 v5, v5, v3
	v_lshlrev_b32_e32 v3, 29, v4
	v_cmp_gt_i64_e64 s[16:17], 0, v[2:3]
	v_not_b32_e32 v3, v3
	v_ashrrev_i32_e32 v3, 31, v3
	v_and_b32_e32 v26, v26, v27
	v_xor_b32_e32 v27, s17, v3
	v_xor_b32_e32 v3, s16, v3
	v_and_b32_e32 v5, v5, v3
	v_lshlrev_b32_e32 v3, 28, v4
	v_cmp_gt_i64_e64 s[16:17], 0, v[2:3]
	v_not_b32_e32 v3, v3
	v_ashrrev_i32_e32 v3, 31, v3
	v_and_b32_e32 v26, v26, v27
	;; [unrolled: 8-line block ×5, first 2 shown]
	v_xor_b32_e32 v27, s17, v3
	v_xor_b32_e32 v3, s16, v3
	v_and_b32_e32 v5, v5, v3
	v_lshlrev_b32_e32 v3, 24, v4
	v_cmp_gt_i64_e64 s[16:17], 0, v[2:3]
	v_not_b32_e32 v2, v3
	v_ashrrev_i32_e32 v2, 31, v2
	v_xor_b32_e32 v3, s17, v2
	v_xor_b32_e32 v2, s16, v2
	; wave barrier
	ds_read_b32 v34, v25 offset:64
	v_and_b32_e32 v26, v26, v27
	v_and_b32_e32 v2, v5, v2
	v_and_b32_e32 v3, v26, v3
	v_mbcnt_lo_u32_b32 v4, v2, 0
	v_mbcnt_hi_u32_b32 v35, v3, v4
	v_cmp_eq_u32_e64 s[16:17], 0, v35
	v_cmp_ne_u64_e64 s[18:19], 0, v[2:3]
	s_and_b64 s[18:19], s[18:19], s[16:17]
	; wave barrier
	s_and_saveexec_b64 s[16:17], s[18:19]
	s_cbranch_execz .LBB313_25
; %bb.24:
	v_bcnt_u32_b32 v2, v2, 0
	v_bcnt_u32_b32 v2, v3, v2
	s_waitcnt lgkmcnt(0)
	v_add_u32_e32 v2, v34, v2
	ds_write_b32 v25, v2 offset:64
.LBB313_25:
	s_or_b64 exec, exec, s[16:17]
	v_lshrrev_b32_sdwa v2, s44, v16 dst_sel:DWORD dst_unused:UNUSED_PAD src0_sel:DWORD src1_sel:BYTE_0
	v_and_b32_e32 v4, s50, v2
	v_and_b32_e32 v3, 1, v4
	v_add_co_u32_e64 v5, s[16:17], -1, v3
	v_addc_co_u32_e64 v27, s[16:17], 0, -1, s[16:17]
	v_cmp_ne_u32_e64 s[16:17], 0, v3
	v_mul_u32_u24_e32 v2, 17, v4
	v_xor_b32_e32 v3, s17, v27
	v_add_lshl_u32 v26, v24, v2, 2
	v_mov_b32_e32 v2, 0
	v_and_b32_e32 v27, exec_hi, v3
	v_lshlrev_b32_e32 v3, 30, v4
	v_xor_b32_e32 v5, s16, v5
	v_cmp_gt_i64_e64 s[16:17], 0, v[2:3]
	v_not_b32_e32 v3, v3
	v_ashrrev_i32_e32 v3, 31, v3
	v_and_b32_e32 v5, exec_lo, v5
	v_xor_b32_e32 v28, s17, v3
	v_xor_b32_e32 v3, s16, v3
	v_and_b32_e32 v5, v5, v3
	v_lshlrev_b32_e32 v3, 29, v4
	v_cmp_gt_i64_e64 s[16:17], 0, v[2:3]
	v_not_b32_e32 v3, v3
	v_ashrrev_i32_e32 v3, 31, v3
	v_and_b32_e32 v27, v27, v28
	v_xor_b32_e32 v28, s17, v3
	v_xor_b32_e32 v3, s16, v3
	v_and_b32_e32 v5, v5, v3
	v_lshlrev_b32_e32 v3, 28, v4
	v_cmp_gt_i64_e64 s[16:17], 0, v[2:3]
	v_not_b32_e32 v3, v3
	v_ashrrev_i32_e32 v3, 31, v3
	v_and_b32_e32 v27, v27, v28
	;; [unrolled: 8-line block ×5, first 2 shown]
	v_xor_b32_e32 v28, s17, v3
	v_xor_b32_e32 v3, s16, v3
	v_and_b32_e32 v27, v27, v28
	v_and_b32_e32 v28, v5, v3
	v_lshlrev_b32_e32 v3, 24, v4
	v_cmp_gt_i64_e64 s[16:17], 0, v[2:3]
	v_not_b32_e32 v3, v3
	v_ashrrev_i32_e32 v3, 31, v3
	v_xor_b32_e32 v4, s17, v3
	v_xor_b32_e32 v3, s16, v3
	; wave barrier
	ds_read_b32 v36, v26 offset:64
	v_and_b32_e32 v5, v27, v4
	v_and_b32_e32 v4, v28, v3
	v_mbcnt_lo_u32_b32 v3, v4, 0
	v_mbcnt_hi_u32_b32 v37, v5, v3
	v_cmp_eq_u32_e64 s[16:17], 0, v37
	v_cmp_ne_u64_e64 s[18:19], 0, v[4:5]
	s_and_b64 s[18:19], s[18:19], s[16:17]
	; wave barrier
	s_and_saveexec_b64 s[16:17], s[18:19]
	s_cbranch_execz .LBB313_27
; %bb.26:
	v_bcnt_u32_b32 v3, v4, 0
	v_bcnt_u32_b32 v3, v5, v3
	s_waitcnt lgkmcnt(0)
	v_add_u32_e32 v3, v36, v3
	ds_write_b32 v26, v3 offset:64
.LBB313_27:
	s_or_b64 exec, exec, s[16:17]
	v_lshrrev_b32_sdwa v3, s44, v13 dst_sel:DWORD dst_unused:UNUSED_PAD src0_sel:DWORD src1_sel:BYTE_0
	v_and_b32_e32 v4, s50, v3
	v_mul_u32_u24_e32 v3, 17, v4
	v_add_lshl_u32 v27, v24, v3, 2
	v_and_b32_e32 v3, 1, v4
	v_add_co_u32_e64 v5, s[16:17], -1, v3
	v_addc_co_u32_e64 v28, s[16:17], 0, -1, s[16:17]
	v_cmp_ne_u32_e64 s[16:17], 0, v3
	v_xor_b32_e32 v3, s17, v28
	v_and_b32_e32 v28, exec_hi, v3
	v_lshlrev_b32_e32 v3, 30, v4
	v_xor_b32_e32 v5, s16, v5
	v_cmp_gt_i64_e64 s[16:17], 0, v[2:3]
	v_not_b32_e32 v3, v3
	v_ashrrev_i32_e32 v3, 31, v3
	v_and_b32_e32 v5, exec_lo, v5
	v_xor_b32_e32 v29, s17, v3
	v_xor_b32_e32 v3, s16, v3
	v_and_b32_e32 v5, v5, v3
	v_lshlrev_b32_e32 v3, 29, v4
	v_cmp_gt_i64_e64 s[16:17], 0, v[2:3]
	v_not_b32_e32 v3, v3
	v_ashrrev_i32_e32 v3, 31, v3
	v_and_b32_e32 v28, v28, v29
	v_xor_b32_e32 v29, s17, v3
	v_xor_b32_e32 v3, s16, v3
	v_and_b32_e32 v5, v5, v3
	v_lshlrev_b32_e32 v3, 28, v4
	v_cmp_gt_i64_e64 s[16:17], 0, v[2:3]
	v_not_b32_e32 v3, v3
	v_ashrrev_i32_e32 v3, 31, v3
	v_and_b32_e32 v28, v28, v29
	;; [unrolled: 8-line block ×5, first 2 shown]
	v_xor_b32_e32 v29, s17, v3
	v_xor_b32_e32 v3, s16, v3
	v_and_b32_e32 v5, v5, v3
	v_lshlrev_b32_e32 v3, 24, v4
	v_cmp_gt_i64_e64 s[16:17], 0, v[2:3]
	v_not_b32_e32 v2, v3
	v_ashrrev_i32_e32 v2, 31, v2
	v_xor_b32_e32 v3, s17, v2
	v_xor_b32_e32 v2, s16, v2
	; wave barrier
	ds_read_b32 v38, v27 offset:64
	v_and_b32_e32 v28, v28, v29
	v_and_b32_e32 v2, v5, v2
	;; [unrolled: 1-line block ×3, first 2 shown]
	v_mbcnt_lo_u32_b32 v4, v2, 0
	v_mbcnt_hi_u32_b32 v39, v3, v4
	v_cmp_eq_u32_e64 s[16:17], 0, v39
	v_cmp_ne_u64_e64 s[18:19], 0, v[2:3]
	s_and_b64 s[18:19], s[18:19], s[16:17]
	; wave barrier
	s_and_saveexec_b64 s[16:17], s[18:19]
	s_cbranch_execz .LBB313_29
; %bb.28:
	v_bcnt_u32_b32 v2, v2, 0
	v_bcnt_u32_b32 v2, v3, v2
	s_waitcnt lgkmcnt(0)
	v_add_u32_e32 v2, v38, v2
	ds_write_b32 v27, v2 offset:64
.LBB313_29:
	s_or_b64 exec, exec, s[16:17]
	v_lshrrev_b32_sdwa v2, s44, v18 dst_sel:DWORD dst_unused:UNUSED_PAD src0_sel:DWORD src1_sel:BYTE_0
	v_and_b32_e32 v4, s50, v2
	v_and_b32_e32 v3, 1, v4
	v_add_co_u32_e64 v5, s[16:17], -1, v3
	v_addc_co_u32_e64 v29, s[16:17], 0, -1, s[16:17]
	v_cmp_ne_u32_e64 s[16:17], 0, v3
	v_mul_u32_u24_e32 v2, 17, v4
	v_xor_b32_e32 v3, s17, v29
	v_add_lshl_u32 v28, v24, v2, 2
	v_mov_b32_e32 v2, 0
	v_and_b32_e32 v29, exec_hi, v3
	v_lshlrev_b32_e32 v3, 30, v4
	v_xor_b32_e32 v5, s16, v5
	v_cmp_gt_i64_e64 s[16:17], 0, v[2:3]
	v_not_b32_e32 v3, v3
	v_ashrrev_i32_e32 v3, 31, v3
	v_and_b32_e32 v5, exec_lo, v5
	v_xor_b32_e32 v41, s17, v3
	v_xor_b32_e32 v3, s16, v3
	v_and_b32_e32 v5, v5, v3
	v_lshlrev_b32_e32 v3, 29, v4
	v_cmp_gt_i64_e64 s[16:17], 0, v[2:3]
	v_not_b32_e32 v3, v3
	v_ashrrev_i32_e32 v3, 31, v3
	v_and_b32_e32 v29, v29, v41
	v_xor_b32_e32 v41, s17, v3
	v_xor_b32_e32 v3, s16, v3
	v_and_b32_e32 v5, v5, v3
	v_lshlrev_b32_e32 v3, 28, v4
	v_cmp_gt_i64_e64 s[16:17], 0, v[2:3]
	v_not_b32_e32 v3, v3
	v_ashrrev_i32_e32 v3, 31, v3
	v_and_b32_e32 v29, v29, v41
	;; [unrolled: 8-line block ×5, first 2 shown]
	v_xor_b32_e32 v41, s17, v3
	v_xor_b32_e32 v3, s16, v3
	v_and_b32_e32 v29, v29, v41
	v_and_b32_e32 v41, v5, v3
	v_lshlrev_b32_e32 v3, 24, v4
	v_cmp_gt_i64_e64 s[16:17], 0, v[2:3]
	v_not_b32_e32 v3, v3
	v_ashrrev_i32_e32 v3, 31, v3
	v_xor_b32_e32 v4, s17, v3
	v_xor_b32_e32 v3, s16, v3
	; wave barrier
	ds_read_b32 v40, v28 offset:64
	v_and_b32_e32 v5, v29, v4
	v_and_b32_e32 v4, v41, v3
	v_mbcnt_lo_u32_b32 v3, v4, 0
	v_mbcnt_hi_u32_b32 v41, v5, v3
	v_cmp_eq_u32_e64 s[16:17], 0, v41
	v_cmp_ne_u64_e64 s[18:19], 0, v[4:5]
	s_and_b64 s[18:19], s[18:19], s[16:17]
	; wave barrier
	s_and_saveexec_b64 s[16:17], s[18:19]
	s_cbranch_execz .LBB313_31
; %bb.30:
	v_bcnt_u32_b32 v3, v4, 0
	v_bcnt_u32_b32 v3, v5, v3
	s_waitcnt lgkmcnt(0)
	v_add_u32_e32 v3, v40, v3
	ds_write_b32 v28, v3 offset:64
.LBB313_31:
	s_or_b64 exec, exec, s[16:17]
	v_lshrrev_b32_sdwa v3, s44, v17 dst_sel:DWORD dst_unused:UNUSED_PAD src0_sel:DWORD src1_sel:BYTE_0
	v_and_b32_e32 v4, s50, v3
	v_mul_u32_u24_e32 v3, 17, v4
	v_add_lshl_u32 v29, v24, v3, 2
	v_and_b32_e32 v3, 1, v4
	v_add_co_u32_e64 v5, s[16:17], -1, v3
	v_addc_co_u32_e64 v24, s[16:17], 0, -1, s[16:17]
	v_cmp_ne_u32_e64 s[16:17], 0, v3
	v_xor_b32_e32 v3, s17, v24
	v_and_b32_e32 v24, exec_hi, v3
	v_lshlrev_b32_e32 v3, 30, v4
	v_xor_b32_e32 v5, s16, v5
	v_cmp_gt_i64_e64 s[16:17], 0, v[2:3]
	v_not_b32_e32 v3, v3
	v_ashrrev_i32_e32 v3, 31, v3
	v_and_b32_e32 v5, exec_lo, v5
	v_xor_b32_e32 v44, s17, v3
	v_xor_b32_e32 v3, s16, v3
	v_and_b32_e32 v5, v5, v3
	v_lshlrev_b32_e32 v3, 29, v4
	v_cmp_gt_i64_e64 s[16:17], 0, v[2:3]
	v_not_b32_e32 v3, v3
	v_ashrrev_i32_e32 v3, 31, v3
	v_and_b32_e32 v24, v24, v44
	v_xor_b32_e32 v44, s17, v3
	v_xor_b32_e32 v3, s16, v3
	v_and_b32_e32 v5, v5, v3
	v_lshlrev_b32_e32 v3, 28, v4
	v_cmp_gt_i64_e64 s[16:17], 0, v[2:3]
	v_not_b32_e32 v3, v3
	v_ashrrev_i32_e32 v3, 31, v3
	v_and_b32_e32 v24, v24, v44
	v_xor_b32_e32 v44, s17, v3
	v_xor_b32_e32 v3, s16, v3
	v_and_b32_e32 v5, v5, v3
	v_lshlrev_b32_e32 v3, 27, v4
	v_cmp_gt_i64_e64 s[16:17], 0, v[2:3]
	v_not_b32_e32 v3, v3
	v_ashrrev_i32_e32 v3, 31, v3
	v_and_b32_e32 v24, v24, v44
	v_xor_b32_e32 v44, s17, v3
	v_xor_b32_e32 v3, s16, v3
	v_and_b32_e32 v5, v5, v3
	v_lshlrev_b32_e32 v3, 26, v4
	v_cmp_gt_i64_e64 s[16:17], 0, v[2:3]
	v_not_b32_e32 v3, v3
	v_ashrrev_i32_e32 v3, 31, v3
	v_and_b32_e32 v24, v24, v44
	v_xor_b32_e32 v44, s17, v3
	v_xor_b32_e32 v3, s16, v3
	v_and_b32_e32 v5, v5, v3
	v_lshlrev_b32_e32 v3, 25, v4
	v_cmp_gt_i64_e64 s[16:17], 0, v[2:3]
	v_not_b32_e32 v3, v3
	v_ashrrev_i32_e32 v3, 31, v3
	v_and_b32_e32 v24, v24, v44
	v_xor_b32_e32 v44, s17, v3
	v_xor_b32_e32 v3, s16, v3
	v_and_b32_e32 v5, v5, v3
	v_lshlrev_b32_e32 v3, 24, v4
	v_cmp_gt_i64_e64 s[16:17], 0, v[2:3]
	v_not_b32_e32 v2, v3
	v_ashrrev_i32_e32 v2, 31, v2
	v_xor_b32_e32 v3, s17, v2
	v_xor_b32_e32 v2, s16, v2
	; wave barrier
	ds_read_b32 v42, v29 offset:64
	v_and_b32_e32 v24, v24, v44
	v_and_b32_e32 v2, v5, v2
	;; [unrolled: 1-line block ×3, first 2 shown]
	v_mbcnt_lo_u32_b32 v4, v2, 0
	v_mbcnt_hi_u32_b32 v45, v3, v4
	v_cmp_eq_u32_e64 s[16:17], 0, v45
	v_cmp_ne_u64_e64 s[18:19], 0, v[2:3]
	v_add_u32_e32 v43, 64, v19
	s_and_b64 s[18:19], s[18:19], s[16:17]
	; wave barrier
	s_and_saveexec_b64 s[16:17], s[18:19]
	s_cbranch_execz .LBB313_33
; %bb.32:
	v_bcnt_u32_b32 v2, v2, 0
	v_bcnt_u32_b32 v2, v3, v2
	s_waitcnt lgkmcnt(0)
	v_add_u32_e32 v2, v42, v2
	ds_write_b32 v29, v2 offset:64
.LBB313_33:
	s_or_b64 exec, exec, s[16:17]
	; wave barrier
	s_waitcnt lgkmcnt(0)
	s_barrier
	ds_read2_b32 v[4:5], v19 offset0:16 offset1:17
	ds_read2_b32 v[2:3], v43 offset0:2 offset1:3
	ds_read_b32 v24, v43 offset:16
	v_cmp_lt_u32_e64 s[26:27], 31, v15
	s_waitcnt lgkmcnt(1)
	v_add3_u32 v44, v5, v4, v2
	s_waitcnt lgkmcnt(0)
	v_add3_u32 v24, v44, v3, v24
	v_and_b32_e32 v44, 15, v15
	v_cmp_eq_u32_e64 s[16:17], 0, v44
	v_mov_b32_dpp v46, v24 row_shr:1 row_mask:0xf bank_mask:0xf
	v_cndmask_b32_e64 v46, v46, 0, s[16:17]
	v_add_u32_e32 v24, v46, v24
	v_cmp_lt_u32_e64 s[18:19], 1, v44
	v_cmp_lt_u32_e64 s[20:21], 3, v44
	v_mov_b32_dpp v46, v24 row_shr:2 row_mask:0xf bank_mask:0xf
	v_cndmask_b32_e64 v46, 0, v46, s[18:19]
	v_add_u32_e32 v24, v24, v46
	v_cmp_lt_u32_e64 s[22:23], 7, v44
	s_nop 0
	v_mov_b32_dpp v46, v24 row_shr:4 row_mask:0xf bank_mask:0xf
	v_cndmask_b32_e64 v46, 0, v46, s[20:21]
	v_add_u32_e32 v24, v24, v46
	s_nop 1
	v_mov_b32_dpp v46, v24 row_shr:8 row_mask:0xf bank_mask:0xf
	v_cndmask_b32_e64 v44, 0, v46, s[22:23]
	v_add_u32_e32 v24, v24, v44
	v_bfe_i32 v46, v15, 4, 1
	s_nop 0
	v_mov_b32_dpp v44, v24 row_bcast:15 row_mask:0xf bank_mask:0xf
	v_and_b32_e32 v44, v46, v44
	v_add_u32_e32 v24, v24, v44
	v_lshrrev_b32_e32 v46, 6, v10
	s_nop 0
	v_mov_b32_dpp v44, v24 row_bcast:31 row_mask:0xf bank_mask:0xf
	v_cndmask_b32_e64 v44, 0, v44, s[26:27]
	v_add_u32_e32 v44, v24, v44
	v_and_b32_e32 v24, 63, v10
	v_cmp_eq_u32_e64 s[26:27], 63, v24
	s_and_saveexec_b64 s[48:49], s[26:27]
	s_cbranch_execz .LBB313_35
; %bb.34:
	v_lshlrev_b32_e32 v24, 2, v46
	ds_write_b32 v24, v44
.LBB313_35:
	s_or_b64 exec, exec, s[48:49]
	v_cmp_gt_u32_e64 s[26:27], 16, v10
	v_lshlrev_b32_e32 v24, 2, v10
	s_waitcnt lgkmcnt(0)
	s_barrier
	s_and_saveexec_b64 s[48:49], s[26:27]
	s_cbranch_execz .LBB313_37
; %bb.36:
	ds_read_b32 v47, v24
	s_waitcnt lgkmcnt(0)
	s_nop 0
	v_mov_b32_dpp v48, v47 row_shr:1 row_mask:0xf bank_mask:0xf
	v_cndmask_b32_e64 v48, v48, 0, s[16:17]
	v_add_u32_e32 v47, v48, v47
	s_nop 1
	v_mov_b32_dpp v48, v47 row_shr:2 row_mask:0xf bank_mask:0xf
	v_cndmask_b32_e64 v48, 0, v48, s[18:19]
	v_add_u32_e32 v47, v47, v48
	;; [unrolled: 4-line block ×4, first 2 shown]
	ds_write_b32 v24, v47
.LBB313_37:
	s_or_b64 exec, exec, s[48:49]
	v_cmp_lt_u32_e64 s[16:17], 63, v10
	v_mov_b32_e32 v47, 0
	s_waitcnt lgkmcnt(0)
	s_barrier
	s_and_saveexec_b64 s[18:19], s[16:17]
	s_cbranch_execz .LBB313_39
; %bb.38:
	v_lshl_add_u32 v46, v46, 2, -4
	ds_read_b32 v47, v46
.LBB313_39:
	s_or_b64 exec, exec, s[18:19]
	v_add_u32_e32 v46, -1, v15
	v_and_b32_e32 v48, 64, v15
	v_cmp_lt_i32_e64 s[16:17], v46, v48
	v_cndmask_b32_e64 v46, v46, v15, s[16:17]
	s_waitcnt lgkmcnt(0)
	v_add_u32_e32 v44, v47, v44
	v_lshlrev_b32_e32 v46, 2, v46
	ds_bpermute_b32 v44, v46, v44
	v_cmp_eq_u32_e64 s[16:17], 0, v15
	s_waitcnt lgkmcnt(0)
	v_cndmask_b32_e64 v15, v44, v47, s[16:17]
	v_cmp_ne_u32_e64 s[16:17], 0, v10
	v_cndmask_b32_e64 v15, 0, v15, s[16:17]
	v_add_u32_e32 v4, v15, v4
	v_add_u32_e32 v5, v4, v5
	;; [unrolled: 1-line block ×4, first 2 shown]
	ds_write2_b32 v19, v15, v4 offset0:16 offset1:17
	ds_write2_b32 v43, v5, v2 offset0:2 offset1:3
	ds_write_b32 v43, v3 offset:16
	s_waitcnt lgkmcnt(0)
	s_barrier
	ds_read_b32 v2, v21 offset:64
	ds_read_b32 v47, v22 offset:64
	;; [unrolled: 1-line block ×8, first 2 shown]
	s_movk_i32 s16, 0x100
	v_cmp_gt_u32_e64 s[16:17], s16, v10
                                        ; implicit-def: $vgpr43
                                        ; implicit-def: $vgpr44
	s_and_saveexec_b64 s[20:21], s[16:17]
	s_cbranch_execz .LBB313_43
; %bb.40:
	v_mul_u32_u24_e32 v3, 17, v10
	v_lshlrev_b32_e32 v4, 2, v3
	ds_read_b32 v43, v4 offset:64
	s_movk_i32 s18, 0xff
	v_cmp_ne_u32_e64 s[18:19], s18, v10
	v_mov_b32_e32 v3, 0x2000
	s_and_saveexec_b64 s[22:23], s[18:19]
	s_cbranch_execz .LBB313_42
; %bb.41:
	ds_read_b32 v3, v4 offset:132
.LBB313_42:
	s_or_b64 exec, exec, s[22:23]
	s_waitcnt lgkmcnt(0)
	v_sub_u32_e32 v44, v3, v43
.LBB313_43:
	s_or_b64 exec, exec, s[20:21]
	s_waitcnt lgkmcnt(7)
	v_add_u32_e32 v46, v2, v20
	s_waitcnt lgkmcnt(6)
	v_add3_u32 v2, v31, v30, v47
	s_waitcnt lgkmcnt(5)
	v_add3_u32 v3, v33, v32, v48
	;; [unrolled: 2-line block ×7, first 2 shown]
	s_barrier
	ds_write_b8 v46, v7 offset:1024
	ds_write_b8 v2, v6 offset:1024
	ds_write_b8 v3, v9 offset:1024
	ds_write_b8 v4, v8 offset:1024
	ds_write_b8 v5, v16 offset:1024
	ds_write_b8 v15, v13 offset:1024
	ds_write_b8 v19, v18 offset:1024
	ds_write_b8 v20, v17 offset:1024
	s_and_saveexec_b64 s[20:21], s[16:17]
	s_cbranch_execz .LBB313_53
; %bb.44:
	v_lshl_or_b32 v2, s6, 8, v10
	v_mov_b32_e32 v3, 0
	v_lshlrev_b64 v[4:5], 2, v[2:3]
	v_mov_b32_e32 v8, s35
	v_add_co_u32_e64 v4, s[18:19], s34, v4
	v_addc_co_u32_e64 v5, s[18:19], v8, v5, s[18:19]
	v_or_b32_e32 v2, 2.0, v44
	s_mov_b64 s[22:23], 0
	s_brev_b32 s51, 1
	s_mov_b32 s52, s6
	v_mov_b32_e32 v9, 0
	global_store_dword v[4:5], v2, off
                                        ; implicit-def: $sgpr18_sgpr19
	s_branch .LBB313_46
.LBB313_45:                             ;   in Loop: Header=BB313_46 Depth=1
	s_or_b64 exec, exec, s[26:27]
	v_and_b32_e32 v6, 0x3fffffff, v13
	v_add_u32_e32 v9, v6, v9
	v_cmp_eq_u32_e64 s[18:19], s51, v2
	s_and_b64 s[26:27], exec, s[18:19]
	s_or_b64 s[22:23], s[26:27], s[22:23]
	s_andn2_b64 exec, exec, s[22:23]
	s_cbranch_execz .LBB313_52
.LBB313_46:                             ; =>This Loop Header: Depth=1
                                        ;     Child Loop BB313_49 Depth 2
	s_or_b64 s[18:19], s[18:19], exec
	s_cmp_eq_u32 s52, 0
	s_cbranch_scc1 .LBB313_51
; %bb.47:                               ;   in Loop: Header=BB313_46 Depth=1
	s_add_i32 s52, s52, -1
	v_lshl_or_b32 v2, s52, 8, v10
	v_lshlrev_b64 v[6:7], 2, v[2:3]
	v_add_co_u32_e64 v6, s[18:19], s34, v6
	v_addc_co_u32_e64 v7, s[18:19], v8, v7, s[18:19]
	global_load_dword v13, v[6:7], off glc
	s_waitcnt vmcnt(0)
	v_and_b32_e32 v2, -2.0, v13
	v_cmp_eq_u32_e64 s[18:19], 0, v2
	s_and_saveexec_b64 s[26:27], s[18:19]
	s_cbranch_execz .LBB313_45
; %bb.48:                               ;   in Loop: Header=BB313_46 Depth=1
	s_mov_b64 s[48:49], 0
.LBB313_49:                             ;   Parent Loop BB313_46 Depth=1
                                        ; =>  This Inner Loop Header: Depth=2
	global_load_dword v13, v[6:7], off glc
	s_waitcnt vmcnt(0)
	v_and_b32_e32 v2, -2.0, v13
	v_cmp_ne_u32_e64 s[18:19], 0, v2
	s_or_b64 s[48:49], s[18:19], s[48:49]
	s_andn2_b64 exec, exec, s[48:49]
	s_cbranch_execnz .LBB313_49
; %bb.50:                               ;   in Loop: Header=BB313_46 Depth=1
	s_or_b64 exec, exec, s[48:49]
	s_branch .LBB313_45
.LBB313_51:                             ;   in Loop: Header=BB313_46 Depth=1
                                        ; implicit-def: $sgpr52
	s_and_b64 s[26:27], exec, s[18:19]
	s_or_b64 s[22:23], s[26:27], s[22:23]
	s_andn2_b64 exec, exec, s[22:23]
	s_cbranch_execnz .LBB313_46
.LBB313_52:
	s_or_b64 exec, exec, s[22:23]
	v_add_u32_e32 v2, v9, v44
	v_or_b32_e32 v2, 0x80000000, v2
	global_store_dword v[4:5], v2, off
	global_load_dword v2, v24, s[28:29]
	v_sub_u32_e32 v3, v9, v43
	s_waitcnt vmcnt(0)
	v_add_u32_e32 v2, v3, v2
	ds_write_b32 v24, v2
.LBB313_53:
	s_or_b64 exec, exec, s[20:21]
	v_cmp_gt_u32_e64 s[18:19], s7, v10
	s_waitcnt lgkmcnt(0)
	s_barrier
	s_waitcnt lgkmcnt(0)
                                        ; implicit-def: $vgpr2_vgpr3_vgpr4_vgpr5_vgpr6_vgpr7_vgpr8_vgpr9
	s_and_saveexec_b64 s[20:21], s[18:19]
	s_cbranch_execz .LBB313_55
; %bb.54:
	ds_read_u8 v3, v10 offset:1024
	s_waitcnt lgkmcnt(0)
	v_lshrrev_b32_sdwa v2, s44, v3 dst_sel:DWORD dst_unused:UNUSED_PAD src0_sel:DWORD src1_sel:BYTE_0
	v_and_b32_e32 v2, s50, v2
	v_lshlrev_b32_e32 v4, 2, v2
	ds_read_b32 v4, v4
	s_waitcnt lgkmcnt(0)
	v_add_u32_e32 v4, v4, v10
	global_store_byte v4, v3, s[38:39]
.LBB313_55:
	s_or_b64 exec, exec, s[20:21]
	v_or_b32_e32 v13, 0x400, v10
	v_cmp_gt_u32_e64 s[18:19], s7, v13
	s_and_saveexec_b64 s[20:21], s[18:19]
	s_cbranch_execz .LBB313_57
; %bb.56:
	ds_read_u8 v15, v10 offset:2048
	s_waitcnt lgkmcnt(0)
	v_lshrrev_b32_sdwa v3, s44, v15 dst_sel:DWORD dst_unused:UNUSED_PAD src0_sel:DWORD src1_sel:BYTE_0
	v_and_b32_e32 v3, s50, v3
	v_lshlrev_b32_e32 v16, 2, v3
	ds_read_b32 v16, v16
	s_waitcnt lgkmcnt(0)
	v_add_u32_e32 v13, v16, v13
	global_store_byte v13, v15, s[38:39]
.LBB313_57:
	s_or_b64 exec, exec, s[20:21]
	v_or_b32_e32 v13, 0x800, v10
	v_cmp_gt_u32_e64 s[18:19], s7, v13
	;; [unrolled: 16-line block ×7, first 2 shown]
	s_and_saveexec_b64 s[20:21], s[18:19]
	s_cbranch_execz .LBB313_69
; %bb.68:
	ds_read_u8 v15, v10 offset:8192
	s_waitcnt lgkmcnt(0)
	v_lshrrev_b32_sdwa v9, s44, v15 dst_sel:DWORD dst_unused:UNUSED_PAD src0_sel:DWORD src1_sel:BYTE_0
	v_and_b32_e32 v9, s50, v9
	v_lshlrev_b32_e32 v16, 2, v9
	ds_read_b32 v16, v16
	s_waitcnt lgkmcnt(0)
	v_add_u32_e32 v13, v16, v13
	global_store_byte v13, v15, s[38:39]
.LBB313_69:
	s_or_b64 exec, exec, s[20:21]
	s_lshl_b64 s[18:19], s[46:47], 3
	s_add_u32 s18, s40, s18
	s_addc_u32 s19, s41, s19
	v_lshlrev_b32_e32 v13, 3, v14
	v_mov_b32_e32 v14, s19
	v_add_co_u32_e64 v13, s[18:19], s18, v13
	v_addc_co_u32_e64 v14, s[18:19], 0, v14, s[18:19]
	v_lshlrev_b32_e32 v12, 3, v12
	v_add_co_u32_e64 v28, s[18:19], v13, v12
	v_addc_co_u32_e64 v29, s[18:19], 0, v14, s[18:19]
                                        ; implicit-def: $vgpr12_vgpr13
	s_and_saveexec_b64 s[18:19], vcc
	s_xor_b64 s[18:19], exec, s[18:19]
	s_cbranch_execnz .LBB313_134
; %bb.70:
	s_or_b64 exec, exec, s[18:19]
                                        ; implicit-def: $vgpr14_vgpr15
	s_and_saveexec_b64 s[18:19], s[0:1]
	s_cbranch_execnz .LBB313_135
.LBB313_71:
	s_or_b64 exec, exec, s[18:19]
                                        ; implicit-def: $vgpr16_vgpr17
	s_and_saveexec_b64 s[0:1], s[2:3]
	s_cbranch_execnz .LBB313_136
.LBB313_72:
	s_or_b64 exec, exec, s[0:1]
                                        ; implicit-def: $vgpr18_vgpr19
	s_and_saveexec_b64 s[0:1], s[24:25]
	s_cbranch_execnz .LBB313_137
.LBB313_73:
	s_or_b64 exec, exec, s[0:1]
                                        ; implicit-def: $vgpr20_vgpr21
	s_and_saveexec_b64 s[0:1], s[8:9]
	s_cbranch_execnz .LBB313_138
.LBB313_74:
	s_or_b64 exec, exec, s[0:1]
                                        ; implicit-def: $vgpr22_vgpr23
	s_and_saveexec_b64 s[0:1], s[10:11]
	s_cbranch_execnz .LBB313_139
.LBB313_75:
	s_or_b64 exec, exec, s[0:1]
                                        ; implicit-def: $vgpr24_vgpr25
	s_and_saveexec_b64 s[0:1], s[12:13]
	s_cbranch_execnz .LBB313_140
.LBB313_76:
	s_or_b64 exec, exec, s[0:1]
                                        ; implicit-def: $vgpr26_vgpr27
	s_and_saveexec_b64 s[0:1], s[14:15]
	s_cbranch_execz .LBB313_78
.LBB313_77:
	global_load_dwordx2 v[26:27], v[28:29], off offset:3584
.LBB313_78:
	s_or_b64 exec, exec, s[0:1]
	s_movk_i32 s2, 0x400
	v_add_u32_e32 v54, 0x400, v11
	v_add3_u32 v42, v45, v53, v42
	v_add3_u32 v40, v41, v52, v40
	;; [unrolled: 1-line block ×7, first 2 shown]
	s_mov_b32 s3, 0
	v_mov_b32_e32 v29, 0
	s_mov_b32 s8, 0
	v_mov_b32_e32 v31, v10
	s_barrier
	s_waitcnt vmcnt(0)
	s_branch .LBB313_80
.LBB313_79:                             ;   in Loop: Header=BB313_80 Depth=1
	s_or_b64 exec, exec, s[0:1]
	s_addk_i32 s8, 0xf800
	s_add_i32 s3, s3, 2
	s_cmpk_eq_i32 s8, 0xe000
	v_add_u32_e32 v31, 0x800, v31
	s_barrier
	s_cbranch_scc1 .LBB313_85
.LBB313_80:                             ; =>This Inner Loop Header: Depth=1
	v_add_u32_e32 v28, s8, v46
	v_min_u32_e32 v28, 0x800, v28
	v_lshlrev_b32_e32 v28, 3, v28
	ds_write_b64 v28, v[12:13] offset:1024
	v_add_u32_e32 v28, s8, v30
	v_min_u32_e32 v28, 0x800, v28
	v_lshlrev_b32_e32 v28, 3, v28
	ds_write_b64 v28, v[14:15] offset:1024
	;; [unrolled: 4-line block ×7, first 2 shown]
	v_add_u32_e32 v28, s8, v42
	v_min_u32_e32 v28, 0x800, v28
	v_lshlrev_b32_e32 v28, 3, v28
	v_cmp_gt_u32_e32 vcc, s7, v31
	ds_write_b64 v28, v[26:27] offset:1024
	s_waitcnt lgkmcnt(0)
	s_barrier
	s_and_saveexec_b64 s[0:1], vcc
	s_cbranch_execz .LBB313_82
; %bb.81:                               ;   in Loop: Header=BB313_80 Depth=1
	s_cmp_eq_u32 s3, 1
	s_cselect_b64 vcc, -1, 0
	s_cmp_eq_u32 s3, 2
	v_cndmask_b32_e32 v28, v2, v3, vcc
	s_cselect_b64 vcc, -1, 0
	s_cmp_eq_u32 s3, 3
	v_cndmask_b32_e32 v28, v28, v4, vcc
	;; [unrolled: 3-line block ×6, first 2 shown]
	s_cselect_b64 vcc, -1, 0
	v_cndmask_b32_e32 v28, v28, v9, vcc
	v_lshlrev_b32_e32 v28, 2, v28
	ds_read_b32 v28, v28
	ds_read_b64 v[48:49], v11 offset:1024
	s_waitcnt lgkmcnt(1)
	v_add_u32_e32 v28, v31, v28
	v_lshlrev_b64 v[50:51], 3, v[28:29]
	v_mov_b32_e32 v28, s43
	v_add_co_u32_e32 v50, vcc, s42, v50
	v_addc_co_u32_e32 v51, vcc, v28, v51, vcc
	s_waitcnt lgkmcnt(0)
	global_store_dwordx2 v[50:51], v[48:49], off
.LBB313_82:                             ;   in Loop: Header=BB313_80 Depth=1
	s_or_b64 exec, exec, s[0:1]
	v_add_u32_e32 v28, 0x400, v31
	v_cmp_gt_u32_e32 vcc, s7, v28
	s_and_saveexec_b64 s[0:1], vcc
	s_cbranch_execz .LBB313_79
; %bb.83:                               ;   in Loop: Header=BB313_80 Depth=1
	s_add_i32 s9, s3, 1
	s_cmp_eq_u32 s9, 1
	s_cselect_b64 vcc, -1, 0
	s_cmp_eq_u32 s9, 2
	v_cndmask_b32_e32 v28, v2, v3, vcc
	s_cselect_b64 vcc, -1, 0
	s_cmp_eq_u32 s9, 3
	v_cndmask_b32_e32 v28, v28, v4, vcc
	;; [unrolled: 3-line block ×6, first 2 shown]
	s_cselect_b64 vcc, -1, 0
	v_cndmask_b32_e32 v28, v28, v9, vcc
	v_lshlrev_b32_e32 v28, 2, v28
	ds_read_b32 v28, v28
	ds_read_b64 v[48:49], v54 offset:8192
	s_waitcnt lgkmcnt(1)
	v_add3_u32 v28, v31, v28, s2
	v_lshlrev_b64 v[50:51], 3, v[28:29]
	v_mov_b32_e32 v28, s43
	v_add_co_u32_e32 v50, vcc, s42, v50
	v_addc_co_u32_e32 v51, vcc, v28, v51, vcc
	s_waitcnt lgkmcnt(0)
	global_store_dwordx2 v[50:51], v[48:49], off
	s_branch .LBB313_79
.LBB313_84:
	s_mov_b64 s[10:11], 0
                                        ; implicit-def: $vgpr2
                                        ; implicit-def: $vgpr10_vgpr11
	s_cbranch_execnz .LBB313_88
	s_branch .LBB313_131
.LBB313_85:
	s_add_i32 s33, s33, -1
	s_cmp_eq_u32 s33, s6
	s_cselect_b64 s[0:1], -1, 0
	s_and_b64 s[2:3], s[16:17], s[0:1]
	s_mov_b64 s[0:1], 0
	s_mov_b64 s[10:11], 0
                                        ; implicit-def: $vgpr2
	s_and_saveexec_b64 s[8:9], s[2:3]
	s_xor_b64 s[2:3], exec, s[8:9]
; %bb.86:
	s_mov_b64 s[10:11], exec
	v_mov_b32_e32 v11, 0
	v_add_u32_e32 v2, v43, v44
; %bb.87:
	s_or_b64 exec, exec, s[2:3]
	s_and_b64 vcc, exec, s[0:1]
	s_cbranch_vccz .LBB313_131
.LBB313_88:
	s_lshl_b32 s12, s6, 13
	v_and_b32_e32 v8, 0x3ff, v0
	s_add_u32 s0, s36, s12
	v_mbcnt_hi_u32_b32 v18, -1, v1
	s_addc_u32 s1, s37, 0
	v_and_b32_e32 v12, 63, v18
	v_lshlrev_b32_e32 v1, 3, v8
	v_and_b32_e32 v14, 0x1e00, v1
	v_mov_b32_e32 v1, s1
	v_add_co_u32_e32 v2, vcc, s0, v12
	v_addc_co_u32_e32 v1, vcc, 0, v1, vcc
	v_add_co_u32_e32 v22, vcc, v2, v14
	v_addc_co_u32_e32 v23, vcc, 0, v1, vcc
	global_load_ubyte v4, v[22:23], off
	s_load_dword s0, s[4:5], 0x64
	s_load_dword s7, s[4:5], 0x58
	s_add_u32 s1, s4, 0x58
	s_addc_u32 s2, s5, 0
	v_mov_b32_e32 v2, 0
	s_waitcnt lgkmcnt(0)
	s_lshr_b32 s3, s0, 16
	s_cmp_lt_u32 s6, s7
	s_cselect_b32 s0, 12, 18
	s_add_u32 s0, s1, s0
	s_addc_u32 s1, s2, 0
	global_load_ushort v1, v2, s[0:1]
	v_mul_u32_u24_e32 v5, 5, v8
	v_lshlrev_b32_e32 v20, 2, v5
	ds_write2_b32 v20, v2, v2 offset0:16 offset1:17
	ds_write2_b32 v20, v2, v2 offset0:18 offset1:19
	ds_write_b32 v20, v2 offset:80
	global_load_ubyte v5, v[22:23], off offset:64
	global_load_ubyte v6, v[22:23], off offset:128
	;; [unrolled: 1-line block ×7, first 2 shown]
	v_bfe_u32 v3, v0, 10, 10
	v_bfe_u32 v0, v0, 20, 10
	s_lshl_b32 s0, -1, s45
	v_mad_u32_u24 v0, v0, s3, v3
	s_not_b32 s16, s0
	s_mov_b32 s13, 0
	s_waitcnt lgkmcnt(0)
	s_barrier
	s_waitcnt lgkmcnt(0)
	; wave barrier
	s_waitcnt vmcnt(8)
	v_lshrrev_b32_sdwa v3, s44, v4 dst_sel:DWORD dst_unused:UNUSED_PAD src0_sel:DWORD src1_sel:BYTE_0
	v_and_b32_e32 v13, s16, v3
	v_and_b32_e32 v16, 1, v13
	v_add_co_u32_e32 v19, vcc, -1, v16
	v_lshlrev_b32_e32 v3, 30, v13
	v_addc_co_u32_e64 v21, s[0:1], 0, -1, vcc
	v_cmp_ne_u32_e32 vcc, 0, v16
	v_cmp_gt_i64_e64 s[0:1], 0, v[2:3]
	v_not_b32_e32 v16, v3
	v_lshlrev_b32_e32 v3, 29, v13
	s_waitcnt vmcnt(3)
	v_mad_u64_u32 v[0:1], s[2:3], v0, v1, v[8:9]
	v_xor_b32_e32 v1, vcc_hi, v21
	v_xor_b32_e32 v19, vcc_lo, v19
	v_ashrrev_i32_e32 v16, 31, v16
	v_cmp_gt_i64_e32 vcc, 0, v[2:3]
	v_not_b32_e32 v21, v3
	v_lshlrev_b32_e32 v3, 28, v13
	v_mul_u32_u24_e32 v15, 17, v13
	v_lshrrev_b32_e32 v30, 6, v0
	v_and_b32_e32 v0, exec_hi, v1
	v_and_b32_e32 v1, exec_lo, v19
	v_xor_b32_e32 v19, s1, v16
	v_xor_b32_e32 v16, s0, v16
	v_ashrrev_i32_e32 v21, 31, v21
	v_cmp_gt_i64_e64 s[0:1], 0, v[2:3]
	v_not_b32_e32 v23, v3
	v_lshlrev_b32_e32 v3, 27, v13
	v_add_lshl_u32 v22, v30, v15, 2
	v_and_b32_e32 v0, v0, v19
	v_and_b32_e32 v1, v1, v16
	v_xor_b32_e32 v15, vcc_hi, v21
	v_xor_b32_e32 v16, vcc_lo, v21
	v_ashrrev_i32_e32 v19, 31, v23
	v_cmp_gt_i64_e32 vcc, 0, v[2:3]
	v_not_b32_e32 v3, v3
	v_and_b32_e32 v0, v0, v15
	v_and_b32_e32 v1, v1, v16
	v_xor_b32_e32 v15, s1, v19
	v_xor_b32_e32 v16, s0, v19
	v_ashrrev_i32_e32 v3, 31, v3
	v_and_b32_e32 v0, v0, v15
	v_and_b32_e32 v1, v1, v16
	v_xor_b32_e32 v15, vcc_hi, v3
	v_xor_b32_e32 v3, vcc_lo, v3
	v_and_b32_e32 v1, v1, v3
	v_lshlrev_b32_e32 v3, 26, v13
	v_cmp_gt_i64_e32 vcc, 0, v[2:3]
	v_not_b32_e32 v3, v3
	v_ashrrev_i32_e32 v3, 31, v3
	v_and_b32_e32 v0, v0, v15
	v_xor_b32_e32 v15, vcc_hi, v3
	v_xor_b32_e32 v3, vcc_lo, v3
	v_and_b32_e32 v1, v1, v3
	v_lshlrev_b32_e32 v3, 25, v13
	v_cmp_gt_i64_e32 vcc, 0, v[2:3]
	v_not_b32_e32 v3, v3
	v_ashrrev_i32_e32 v3, 31, v3
	v_and_b32_e32 v0, v0, v15
	v_xor_b32_e32 v15, vcc_hi, v3
	v_xor_b32_e32 v3, vcc_lo, v3
	v_and_b32_e32 v0, v0, v15
	v_and_b32_e32 v15, v1, v3
	v_lshlrev_b32_e32 v3, 24, v13
	v_not_b32_e32 v1, v3
	v_cmp_gt_i64_e32 vcc, 0, v[2:3]
	v_ashrrev_i32_e32 v1, 31, v1
	v_xor_b32_e32 v3, vcc_hi, v1
	v_xor_b32_e32 v13, vcc_lo, v1
	v_and_b32_e32 v1, v0, v3
	v_and_b32_e32 v0, v15, v13
	v_mbcnt_lo_u32_b32 v3, v0, 0
	v_mbcnt_hi_u32_b32 v23, v1, v3
	v_cmp_eq_u32_e32 vcc, 0, v23
	v_cmp_ne_u64_e64 s[0:1], 0, v[0:1]
	s_and_b64 s[2:3], s[0:1], vcc
	s_and_saveexec_b64 s[0:1], s[2:3]
	s_cbranch_execz .LBB313_90
; %bb.89:
	v_bcnt_u32_b32 v0, v0, 0
	v_bcnt_u32_b32 v0, v1, v0
	ds_write_b32 v22, v0 offset:64
.LBB313_90:
	s_or_b64 exec, exec, s[0:1]
	v_lshrrev_b32_sdwa v0, s44, v5 dst_sel:DWORD dst_unused:UNUSED_PAD src0_sel:DWORD src1_sel:BYTE_0
	v_and_b32_e32 v0, s16, v0
	v_mul_u32_u24_e32 v1, 17, v0
	v_add_lshl_u32 v26, v30, v1, 2
	v_and_b32_e32 v1, 1, v0
	v_add_co_u32_e32 v3, vcc, -1, v1
	v_addc_co_u32_e64 v15, s[0:1], 0, -1, vcc
	v_cmp_ne_u32_e32 vcc, 0, v1
	v_xor_b32_e32 v3, vcc_lo, v3
	v_xor_b32_e32 v1, vcc_hi, v15
	v_and_b32_e32 v15, exec_lo, v3
	v_lshlrev_b32_e32 v3, 30, v0
	v_cmp_gt_i64_e32 vcc, 0, v[2:3]
	v_not_b32_e32 v3, v3
	v_ashrrev_i32_e32 v3, 31, v3
	v_xor_b32_e32 v16, vcc_hi, v3
	v_xor_b32_e32 v3, vcc_lo, v3
	v_and_b32_e32 v15, v15, v3
	v_lshlrev_b32_e32 v3, 29, v0
	v_cmp_gt_i64_e32 vcc, 0, v[2:3]
	v_not_b32_e32 v3, v3
	v_and_b32_e32 v1, exec_hi, v1
	v_ashrrev_i32_e32 v3, 31, v3
	v_and_b32_e32 v1, v1, v16
	v_xor_b32_e32 v16, vcc_hi, v3
	v_xor_b32_e32 v3, vcc_lo, v3
	v_and_b32_e32 v15, v15, v3
	v_lshlrev_b32_e32 v3, 28, v0
	v_cmp_gt_i64_e32 vcc, 0, v[2:3]
	v_not_b32_e32 v3, v3
	v_ashrrev_i32_e32 v3, 31, v3
	v_and_b32_e32 v1, v1, v16
	v_xor_b32_e32 v16, vcc_hi, v3
	v_xor_b32_e32 v3, vcc_lo, v3
	v_and_b32_e32 v15, v15, v3
	v_lshlrev_b32_e32 v3, 27, v0
	v_cmp_gt_i64_e32 vcc, 0, v[2:3]
	v_not_b32_e32 v3, v3
	;; [unrolled: 8-line block ×4, first 2 shown]
	v_ashrrev_i32_e32 v3, 31, v3
	v_and_b32_e32 v1, v1, v16
	v_xor_b32_e32 v16, vcc_hi, v3
	v_xor_b32_e32 v3, vcc_lo, v3
	v_and_b32_e32 v15, v15, v3
	v_lshlrev_b32_e32 v3, 24, v0
	v_not_b32_e32 v0, v3
	v_cmp_gt_i64_e32 vcc, 0, v[2:3]
	v_ashrrev_i32_e32 v0, 31, v0
	v_xor_b32_e32 v2, vcc_hi, v0
	v_xor_b32_e32 v0, vcc_lo, v0
	; wave barrier
	ds_read_b32 v13, v26 offset:64
	v_and_b32_e32 v1, v1, v16
	v_and_b32_e32 v0, v15, v0
	;; [unrolled: 1-line block ×3, first 2 shown]
	v_mbcnt_lo_u32_b32 v2, v0, 0
	v_mbcnt_hi_u32_b32 v15, v1, v2
	v_cmp_eq_u32_e32 vcc, 0, v15
	v_cmp_ne_u64_e64 s[0:1], 0, v[0:1]
	s_and_b64 s[2:3], s[0:1], vcc
	; wave barrier
	s_and_saveexec_b64 s[0:1], s[2:3]
	s_cbranch_execz .LBB313_92
; %bb.91:
	v_bcnt_u32_b32 v0, v0, 0
	v_bcnt_u32_b32 v0, v1, v0
	s_waitcnt lgkmcnt(0)
	v_add_u32_e32 v0, v13, v0
	ds_write_b32 v26, v0 offset:64
.LBB313_92:
	s_or_b64 exec, exec, s[0:1]
	v_lshrrev_b32_sdwa v0, s44, v6 dst_sel:DWORD dst_unused:UNUSED_PAD src0_sel:DWORD src1_sel:BYTE_0
	v_and_b32_e32 v2, s16, v0
	v_and_b32_e32 v1, 1, v2
	v_add_co_u32_e32 v3, vcc, -1, v1
	v_addc_co_u32_e64 v19, s[0:1], 0, -1, vcc
	v_cmp_ne_u32_e32 vcc, 0, v1
	v_mul_u32_u24_e32 v0, 17, v2
	v_xor_b32_e32 v1, vcc_hi, v19
	v_add_lshl_u32 v29, v30, v0, 2
	v_mov_b32_e32 v0, 0
	v_and_b32_e32 v19, exec_hi, v1
	v_lshlrev_b32_e32 v1, 30, v2
	v_xor_b32_e32 v3, vcc_lo, v3
	v_cmp_gt_i64_e32 vcc, 0, v[0:1]
	v_not_b32_e32 v1, v1
	v_ashrrev_i32_e32 v1, 31, v1
	v_and_b32_e32 v3, exec_lo, v3
	v_xor_b32_e32 v21, vcc_hi, v1
	v_xor_b32_e32 v1, vcc_lo, v1
	v_and_b32_e32 v3, v3, v1
	v_lshlrev_b32_e32 v1, 29, v2
	v_cmp_gt_i64_e32 vcc, 0, v[0:1]
	v_not_b32_e32 v1, v1
	v_ashrrev_i32_e32 v1, 31, v1
	v_and_b32_e32 v19, v19, v21
	v_xor_b32_e32 v21, vcc_hi, v1
	v_xor_b32_e32 v1, vcc_lo, v1
	v_and_b32_e32 v3, v3, v1
	v_lshlrev_b32_e32 v1, 28, v2
	v_cmp_gt_i64_e32 vcc, 0, v[0:1]
	v_not_b32_e32 v1, v1
	v_ashrrev_i32_e32 v1, 31, v1
	v_and_b32_e32 v19, v19, v21
	;; [unrolled: 8-line block ×5, first 2 shown]
	v_xor_b32_e32 v21, vcc_hi, v1
	v_xor_b32_e32 v1, vcc_lo, v1
	v_and_b32_e32 v19, v19, v21
	v_and_b32_e32 v21, v3, v1
	v_lshlrev_b32_e32 v1, 24, v2
	v_cmp_gt_i64_e32 vcc, 0, v[0:1]
	v_not_b32_e32 v1, v1
	v_ashrrev_i32_e32 v1, 31, v1
	v_xor_b32_e32 v2, vcc_hi, v1
	v_xor_b32_e32 v1, vcc_lo, v1
	; wave barrier
	ds_read_b32 v16, v29 offset:64
	v_and_b32_e32 v3, v19, v2
	v_and_b32_e32 v2, v21, v1
	v_mbcnt_lo_u32_b32 v1, v2, 0
	v_mbcnt_hi_u32_b32 v19, v3, v1
	v_cmp_eq_u32_e32 vcc, 0, v19
	v_cmp_ne_u64_e64 s[0:1], 0, v[2:3]
	s_and_b64 s[2:3], s[0:1], vcc
	; wave barrier
	s_and_saveexec_b64 s[0:1], s[2:3]
	s_cbranch_execz .LBB313_94
; %bb.93:
	v_bcnt_u32_b32 v1, v2, 0
	v_bcnt_u32_b32 v1, v3, v1
	s_waitcnt lgkmcnt(0)
	v_add_u32_e32 v1, v16, v1
	ds_write_b32 v29, v1 offset:64
.LBB313_94:
	s_or_b64 exec, exec, s[0:1]
	v_lshrrev_b32_sdwa v1, s44, v7 dst_sel:DWORD dst_unused:UNUSED_PAD src0_sel:DWORD src1_sel:BYTE_0
	v_and_b32_e32 v2, s16, v1
	v_mul_u32_u24_e32 v1, 17, v2
	v_add_lshl_u32 v33, v30, v1, 2
	v_and_b32_e32 v1, 1, v2
	v_add_co_u32_e32 v3, vcc, -1, v1
	v_addc_co_u32_e64 v24, s[0:1], 0, -1, vcc
	v_cmp_ne_u32_e32 vcc, 0, v1
	v_xor_b32_e32 v1, vcc_hi, v24
	v_and_b32_e32 v24, exec_hi, v1
	v_lshlrev_b32_e32 v1, 30, v2
	v_xor_b32_e32 v3, vcc_lo, v3
	v_cmp_gt_i64_e32 vcc, 0, v[0:1]
	v_not_b32_e32 v1, v1
	v_ashrrev_i32_e32 v1, 31, v1
	v_and_b32_e32 v3, exec_lo, v3
	v_xor_b32_e32 v25, vcc_hi, v1
	v_xor_b32_e32 v1, vcc_lo, v1
	v_and_b32_e32 v3, v3, v1
	v_lshlrev_b32_e32 v1, 29, v2
	v_cmp_gt_i64_e32 vcc, 0, v[0:1]
	v_not_b32_e32 v1, v1
	v_ashrrev_i32_e32 v1, 31, v1
	v_and_b32_e32 v24, v24, v25
	v_xor_b32_e32 v25, vcc_hi, v1
	v_xor_b32_e32 v1, vcc_lo, v1
	v_and_b32_e32 v3, v3, v1
	v_lshlrev_b32_e32 v1, 28, v2
	v_cmp_gt_i64_e32 vcc, 0, v[0:1]
	v_not_b32_e32 v1, v1
	v_ashrrev_i32_e32 v1, 31, v1
	v_and_b32_e32 v24, v24, v25
	;; [unrolled: 8-line block ×5, first 2 shown]
	v_xor_b32_e32 v25, vcc_hi, v1
	v_xor_b32_e32 v1, vcc_lo, v1
	v_and_b32_e32 v3, v3, v1
	v_lshlrev_b32_e32 v1, 24, v2
	v_cmp_gt_i64_e32 vcc, 0, v[0:1]
	v_not_b32_e32 v0, v1
	v_ashrrev_i32_e32 v0, 31, v0
	v_xor_b32_e32 v1, vcc_hi, v0
	v_xor_b32_e32 v0, vcc_lo, v0
	; wave barrier
	ds_read_b32 v21, v33 offset:64
	v_and_b32_e32 v24, v24, v25
	v_and_b32_e32 v0, v3, v0
	;; [unrolled: 1-line block ×3, first 2 shown]
	v_mbcnt_lo_u32_b32 v2, v0, 0
	v_mbcnt_hi_u32_b32 v24, v1, v2
	v_cmp_eq_u32_e32 vcc, 0, v24
	v_cmp_ne_u64_e64 s[0:1], 0, v[0:1]
	s_and_b64 s[2:3], s[0:1], vcc
	; wave barrier
	s_and_saveexec_b64 s[0:1], s[2:3]
	s_cbranch_execz .LBB313_96
; %bb.95:
	v_bcnt_u32_b32 v0, v0, 0
	v_bcnt_u32_b32 v0, v1, v0
	s_waitcnt lgkmcnt(0)
	v_add_u32_e32 v0, v21, v0
	ds_write_b32 v33, v0 offset:64
.LBB313_96:
	s_or_b64 exec, exec, s[0:1]
	v_lshrrev_b32_sdwa v0, s44, v9 dst_sel:DWORD dst_unused:UNUSED_PAD src0_sel:DWORD src1_sel:BYTE_0
	v_and_b32_e32 v2, s16, v0
	v_and_b32_e32 v1, 1, v2
	v_add_co_u32_e32 v3, vcc, -1, v1
	v_addc_co_u32_e64 v27, s[0:1], 0, -1, vcc
	v_cmp_ne_u32_e32 vcc, 0, v1
	v_mul_u32_u24_e32 v0, 17, v2
	v_xor_b32_e32 v1, vcc_hi, v27
	v_add_lshl_u32 v35, v30, v0, 2
	v_mov_b32_e32 v0, 0
	v_and_b32_e32 v27, exec_hi, v1
	v_lshlrev_b32_e32 v1, 30, v2
	v_xor_b32_e32 v3, vcc_lo, v3
	v_cmp_gt_i64_e32 vcc, 0, v[0:1]
	v_not_b32_e32 v1, v1
	v_ashrrev_i32_e32 v1, 31, v1
	v_and_b32_e32 v3, exec_lo, v3
	v_xor_b32_e32 v28, vcc_hi, v1
	v_xor_b32_e32 v1, vcc_lo, v1
	v_and_b32_e32 v3, v3, v1
	v_lshlrev_b32_e32 v1, 29, v2
	v_cmp_gt_i64_e32 vcc, 0, v[0:1]
	v_not_b32_e32 v1, v1
	v_ashrrev_i32_e32 v1, 31, v1
	v_and_b32_e32 v27, v27, v28
	v_xor_b32_e32 v28, vcc_hi, v1
	v_xor_b32_e32 v1, vcc_lo, v1
	v_and_b32_e32 v3, v3, v1
	v_lshlrev_b32_e32 v1, 28, v2
	v_cmp_gt_i64_e32 vcc, 0, v[0:1]
	v_not_b32_e32 v1, v1
	v_ashrrev_i32_e32 v1, 31, v1
	v_and_b32_e32 v27, v27, v28
	v_xor_b32_e32 v28, vcc_hi, v1
	v_xor_b32_e32 v1, vcc_lo, v1
	v_and_b32_e32 v3, v3, v1
	v_lshlrev_b32_e32 v1, 27, v2
	v_cmp_gt_i64_e32 vcc, 0, v[0:1]
	v_not_b32_e32 v1, v1
	v_ashrrev_i32_e32 v1, 31, v1
	v_and_b32_e32 v27, v27, v28
	v_xor_b32_e32 v28, vcc_hi, v1
	v_xor_b32_e32 v1, vcc_lo, v1
	v_and_b32_e32 v3, v3, v1
	v_lshlrev_b32_e32 v1, 26, v2
	v_cmp_gt_i64_e32 vcc, 0, v[0:1]
	v_not_b32_e32 v1, v1
	v_ashrrev_i32_e32 v1, 31, v1
	v_and_b32_e32 v27, v27, v28
	v_xor_b32_e32 v28, vcc_hi, v1
	v_xor_b32_e32 v1, vcc_lo, v1
	v_and_b32_e32 v3, v3, v1
	v_lshlrev_b32_e32 v1, 25, v2
	v_cmp_gt_i64_e32 vcc, 0, v[0:1]
	v_not_b32_e32 v1, v1
	v_ashrrev_i32_e32 v1, 31, v1
	v_and_b32_e32 v27, v27, v28
	v_xor_b32_e32 v28, vcc_hi, v1
	v_xor_b32_e32 v1, vcc_lo, v1
	v_and_b32_e32 v27, v27, v28
	v_and_b32_e32 v28, v3, v1
	v_lshlrev_b32_e32 v1, 24, v2
	v_cmp_gt_i64_e32 vcc, 0, v[0:1]
	v_not_b32_e32 v1, v1
	v_ashrrev_i32_e32 v1, 31, v1
	v_xor_b32_e32 v2, vcc_hi, v1
	v_xor_b32_e32 v1, vcc_lo, v1
	; wave barrier
	ds_read_b32 v25, v35 offset:64
	v_and_b32_e32 v3, v27, v2
	v_and_b32_e32 v2, v28, v1
	v_mbcnt_lo_u32_b32 v1, v2, 0
	v_mbcnt_hi_u32_b32 v27, v3, v1
	v_cmp_eq_u32_e32 vcc, 0, v27
	v_cmp_ne_u64_e64 s[0:1], 0, v[2:3]
	s_and_b64 s[2:3], s[0:1], vcc
	; wave barrier
	s_and_saveexec_b64 s[0:1], s[2:3]
	s_cbranch_execz .LBB313_98
; %bb.97:
	v_bcnt_u32_b32 v1, v2, 0
	v_bcnt_u32_b32 v1, v3, v1
	s_waitcnt lgkmcnt(0)
	v_add_u32_e32 v1, v25, v1
	ds_write_b32 v35, v1 offset:64
.LBB313_98:
	s_or_b64 exec, exec, s[0:1]
	s_waitcnt vmcnt(2)
	v_lshrrev_b32_sdwa v1, s44, v10 dst_sel:DWORD dst_unused:UNUSED_PAD src0_sel:DWORD src1_sel:BYTE_0
	v_and_b32_e32 v2, s16, v1
	v_mul_u32_u24_e32 v1, 17, v2
	v_add_lshl_u32 v37, v30, v1, 2
	v_and_b32_e32 v1, 1, v2
	v_add_co_u32_e32 v3, vcc, -1, v1
	v_addc_co_u32_e64 v31, s[0:1], 0, -1, vcc
	v_cmp_ne_u32_e32 vcc, 0, v1
	v_xor_b32_e32 v1, vcc_hi, v31
	v_and_b32_e32 v31, exec_hi, v1
	v_lshlrev_b32_e32 v1, 30, v2
	v_xor_b32_e32 v3, vcc_lo, v3
	v_cmp_gt_i64_e32 vcc, 0, v[0:1]
	v_not_b32_e32 v1, v1
	v_ashrrev_i32_e32 v1, 31, v1
	v_and_b32_e32 v3, exec_lo, v3
	v_xor_b32_e32 v32, vcc_hi, v1
	v_xor_b32_e32 v1, vcc_lo, v1
	v_and_b32_e32 v3, v3, v1
	v_lshlrev_b32_e32 v1, 29, v2
	v_cmp_gt_i64_e32 vcc, 0, v[0:1]
	v_not_b32_e32 v1, v1
	v_ashrrev_i32_e32 v1, 31, v1
	v_and_b32_e32 v31, v31, v32
	v_xor_b32_e32 v32, vcc_hi, v1
	v_xor_b32_e32 v1, vcc_lo, v1
	v_and_b32_e32 v3, v3, v1
	v_lshlrev_b32_e32 v1, 28, v2
	v_cmp_gt_i64_e32 vcc, 0, v[0:1]
	v_not_b32_e32 v1, v1
	v_ashrrev_i32_e32 v1, 31, v1
	v_and_b32_e32 v31, v31, v32
	;; [unrolled: 8-line block ×5, first 2 shown]
	v_xor_b32_e32 v32, vcc_hi, v1
	v_xor_b32_e32 v1, vcc_lo, v1
	v_and_b32_e32 v3, v3, v1
	v_lshlrev_b32_e32 v1, 24, v2
	v_cmp_gt_i64_e32 vcc, 0, v[0:1]
	v_not_b32_e32 v0, v1
	v_ashrrev_i32_e32 v0, 31, v0
	v_xor_b32_e32 v1, vcc_hi, v0
	v_xor_b32_e32 v0, vcc_lo, v0
	; wave barrier
	ds_read_b32 v28, v37 offset:64
	v_and_b32_e32 v31, v31, v32
	v_and_b32_e32 v0, v3, v0
	;; [unrolled: 1-line block ×3, first 2 shown]
	v_mbcnt_lo_u32_b32 v2, v0, 0
	v_mbcnt_hi_u32_b32 v31, v1, v2
	v_cmp_eq_u32_e32 vcc, 0, v31
	v_cmp_ne_u64_e64 s[0:1], 0, v[0:1]
	s_and_b64 s[2:3], s[0:1], vcc
	; wave barrier
	s_and_saveexec_b64 s[0:1], s[2:3]
	s_cbranch_execz .LBB313_100
; %bb.99:
	v_bcnt_u32_b32 v0, v0, 0
	v_bcnt_u32_b32 v0, v1, v0
	s_waitcnt lgkmcnt(0)
	v_add_u32_e32 v0, v28, v0
	ds_write_b32 v37, v0 offset:64
.LBB313_100:
	s_or_b64 exec, exec, s[0:1]
	s_waitcnt vmcnt(1)
	v_lshrrev_b32_sdwa v0, s44, v11 dst_sel:DWORD dst_unused:UNUSED_PAD src0_sel:DWORD src1_sel:BYTE_0
	v_and_b32_e32 v2, s16, v0
	v_and_b32_e32 v1, 1, v2
	v_add_co_u32_e32 v3, vcc, -1, v1
	v_addc_co_u32_e64 v34, s[0:1], 0, -1, vcc
	v_cmp_ne_u32_e32 vcc, 0, v1
	v_mul_u32_u24_e32 v0, 17, v2
	v_xor_b32_e32 v1, vcc_hi, v34
	v_add_lshl_u32 v38, v30, v0, 2
	v_mov_b32_e32 v0, 0
	v_and_b32_e32 v34, exec_hi, v1
	v_lshlrev_b32_e32 v1, 30, v2
	v_xor_b32_e32 v3, vcc_lo, v3
	v_cmp_gt_i64_e32 vcc, 0, v[0:1]
	v_not_b32_e32 v1, v1
	v_ashrrev_i32_e32 v1, 31, v1
	v_and_b32_e32 v3, exec_lo, v3
	v_xor_b32_e32 v36, vcc_hi, v1
	v_xor_b32_e32 v1, vcc_lo, v1
	v_and_b32_e32 v3, v3, v1
	v_lshlrev_b32_e32 v1, 29, v2
	v_cmp_gt_i64_e32 vcc, 0, v[0:1]
	v_not_b32_e32 v1, v1
	v_ashrrev_i32_e32 v1, 31, v1
	v_and_b32_e32 v34, v34, v36
	v_xor_b32_e32 v36, vcc_hi, v1
	v_xor_b32_e32 v1, vcc_lo, v1
	v_and_b32_e32 v3, v3, v1
	v_lshlrev_b32_e32 v1, 28, v2
	v_cmp_gt_i64_e32 vcc, 0, v[0:1]
	v_not_b32_e32 v1, v1
	v_ashrrev_i32_e32 v1, 31, v1
	v_and_b32_e32 v34, v34, v36
	;; [unrolled: 8-line block ×5, first 2 shown]
	v_xor_b32_e32 v36, vcc_hi, v1
	v_xor_b32_e32 v1, vcc_lo, v1
	v_and_b32_e32 v34, v34, v36
	v_and_b32_e32 v36, v3, v1
	v_lshlrev_b32_e32 v1, 24, v2
	v_cmp_gt_i64_e32 vcc, 0, v[0:1]
	v_not_b32_e32 v1, v1
	v_ashrrev_i32_e32 v1, 31, v1
	v_xor_b32_e32 v2, vcc_hi, v1
	v_xor_b32_e32 v1, vcc_lo, v1
	; wave barrier
	ds_read_b32 v32, v38 offset:64
	v_and_b32_e32 v3, v34, v2
	v_and_b32_e32 v2, v36, v1
	v_mbcnt_lo_u32_b32 v1, v2, 0
	v_mbcnt_hi_u32_b32 v34, v3, v1
	v_cmp_eq_u32_e32 vcc, 0, v34
	v_cmp_ne_u64_e64 s[0:1], 0, v[2:3]
	s_and_b64 s[2:3], s[0:1], vcc
	; wave barrier
	s_and_saveexec_b64 s[0:1], s[2:3]
	s_cbranch_execz .LBB313_102
; %bb.101:
	v_bcnt_u32_b32 v1, v2, 0
	v_bcnt_u32_b32 v1, v3, v1
	s_waitcnt lgkmcnt(0)
	v_add_u32_e32 v1, v32, v1
	ds_write_b32 v38, v1 offset:64
.LBB313_102:
	s_or_b64 exec, exec, s[0:1]
	s_waitcnt vmcnt(0)
	v_lshrrev_b32_sdwa v1, s44, v17 dst_sel:DWORD dst_unused:UNUSED_PAD src0_sel:DWORD src1_sel:BYTE_0
	v_and_b32_e32 v2, s16, v1
	v_mul_u32_u24_e32 v1, 17, v2
	v_add_lshl_u32 v39, v30, v1, 2
	v_and_b32_e32 v1, 1, v2
	v_add_co_u32_e32 v3, vcc, -1, v1
	v_addc_co_u32_e64 v36, s[0:1], 0, -1, vcc
	v_cmp_ne_u32_e32 vcc, 0, v1
	v_xor_b32_e32 v1, vcc_hi, v36
	v_and_b32_e32 v36, exec_hi, v1
	v_lshlrev_b32_e32 v1, 30, v2
	v_xor_b32_e32 v3, vcc_lo, v3
	v_cmp_gt_i64_e32 vcc, 0, v[0:1]
	v_not_b32_e32 v1, v1
	v_ashrrev_i32_e32 v1, 31, v1
	v_and_b32_e32 v3, exec_lo, v3
	v_xor_b32_e32 v40, vcc_hi, v1
	v_xor_b32_e32 v1, vcc_lo, v1
	v_and_b32_e32 v3, v3, v1
	v_lshlrev_b32_e32 v1, 29, v2
	v_cmp_gt_i64_e32 vcc, 0, v[0:1]
	v_not_b32_e32 v1, v1
	v_ashrrev_i32_e32 v1, 31, v1
	v_and_b32_e32 v36, v36, v40
	v_xor_b32_e32 v40, vcc_hi, v1
	v_xor_b32_e32 v1, vcc_lo, v1
	v_and_b32_e32 v3, v3, v1
	v_lshlrev_b32_e32 v1, 28, v2
	v_cmp_gt_i64_e32 vcc, 0, v[0:1]
	v_not_b32_e32 v1, v1
	v_ashrrev_i32_e32 v1, 31, v1
	v_and_b32_e32 v36, v36, v40
	;; [unrolled: 8-line block ×5, first 2 shown]
	v_xor_b32_e32 v40, vcc_hi, v1
	v_xor_b32_e32 v1, vcc_lo, v1
	v_and_b32_e32 v3, v3, v1
	v_lshlrev_b32_e32 v1, 24, v2
	v_cmp_gt_i64_e32 vcc, 0, v[0:1]
	v_not_b32_e32 v0, v1
	v_ashrrev_i32_e32 v0, 31, v0
	v_xor_b32_e32 v1, vcc_hi, v0
	v_xor_b32_e32 v0, vcc_lo, v0
	; wave barrier
	ds_read_b32 v30, v39 offset:64
	v_and_b32_e32 v36, v36, v40
	v_and_b32_e32 v0, v3, v0
	;; [unrolled: 1-line block ×3, first 2 shown]
	v_mbcnt_lo_u32_b32 v2, v0, 0
	v_mbcnt_hi_u32_b32 v36, v1, v2
	v_cmp_eq_u32_e32 vcc, 0, v36
	v_cmp_ne_u64_e64 s[0:1], 0, v[0:1]
	v_add_u32_e32 v41, 64, v20
	s_and_b64 s[2:3], s[0:1], vcc
	; wave barrier
	s_and_saveexec_b64 s[0:1], s[2:3]
	s_cbranch_execz .LBB313_104
; %bb.103:
	v_bcnt_u32_b32 v0, v0, 0
	v_bcnt_u32_b32 v0, v1, v0
	s_waitcnt lgkmcnt(0)
	v_add_u32_e32 v0, v30, v0
	ds_write_b32 v39, v0 offset:64
.LBB313_104:
	s_or_b64 exec, exec, s[0:1]
	; wave barrier
	s_waitcnt lgkmcnt(0)
	s_barrier
	ds_read2_b32 v[2:3], v20 offset0:16 offset1:17
	ds_read2_b32 v[0:1], v41 offset0:2 offset1:3
	ds_read_b32 v40, v41 offset:16
	v_cmp_lt_u32_e64 s[8:9], 31, v18
	s_waitcnt lgkmcnt(1)
	v_add3_u32 v42, v3, v2, v0
	s_waitcnt lgkmcnt(0)
	v_add3_u32 v40, v42, v1, v40
	v_and_b32_e32 v42, 15, v18
	v_cmp_eq_u32_e32 vcc, 0, v42
	v_mov_b32_dpp v43, v40 row_shr:1 row_mask:0xf bank_mask:0xf
	v_cndmask_b32_e64 v43, v43, 0, vcc
	v_add_u32_e32 v40, v43, v40
	v_cmp_lt_u32_e64 s[0:1], 1, v42
	v_cmp_lt_u32_e64 s[2:3], 3, v42
	v_mov_b32_dpp v43, v40 row_shr:2 row_mask:0xf bank_mask:0xf
	v_cndmask_b32_e64 v43, 0, v43, s[0:1]
	v_add_u32_e32 v40, v40, v43
	v_cmp_lt_u32_e64 s[4:5], 7, v42
	s_nop 0
	v_mov_b32_dpp v43, v40 row_shr:4 row_mask:0xf bank_mask:0xf
	v_cndmask_b32_e64 v43, 0, v43, s[2:3]
	v_add_u32_e32 v40, v40, v43
	s_nop 1
	v_mov_b32_dpp v43, v40 row_shr:8 row_mask:0xf bank_mask:0xf
	v_cndmask_b32_e64 v42, 0, v43, s[4:5]
	v_add_u32_e32 v40, v40, v42
	v_bfe_i32 v43, v18, 4, 1
	s_nop 0
	v_mov_b32_dpp v42, v40 row_bcast:15 row_mask:0xf bank_mask:0xf
	v_and_b32_e32 v42, v43, v42
	v_add_u32_e32 v40, v40, v42
	v_lshrrev_b32_e32 v43, 6, v8
	s_nop 0
	v_mov_b32_dpp v42, v40 row_bcast:31 row_mask:0xf bank_mask:0xf
	v_cndmask_b32_e64 v42, 0, v42, s[8:9]
	v_add_u32_e32 v42, v40, v42
	v_and_b32_e32 v40, 63, v8
	v_cmp_eq_u32_e64 s[8:9], 63, v40
	s_and_saveexec_b64 s[14:15], s[8:9]
	s_cbranch_execz .LBB313_106
; %bb.105:
	v_lshlrev_b32_e32 v40, 2, v43
	ds_write_b32 v40, v42
.LBB313_106:
	s_or_b64 exec, exec, s[14:15]
	v_cmp_gt_u32_e64 s[8:9], 16, v8
	v_lshlrev_b32_e32 v40, 2, v8
	s_waitcnt lgkmcnt(0)
	s_barrier
	s_and_saveexec_b64 s[14:15], s[8:9]
	s_cbranch_execz .LBB313_108
; %bb.107:
	ds_read_b32 v44, v40
	s_waitcnt lgkmcnt(0)
	s_nop 0
	v_mov_b32_dpp v45, v44 row_shr:1 row_mask:0xf bank_mask:0xf
	v_cndmask_b32_e64 v45, v45, 0, vcc
	v_add_u32_e32 v44, v45, v44
	s_nop 1
	v_mov_b32_dpp v45, v44 row_shr:2 row_mask:0xf bank_mask:0xf
	v_cndmask_b32_e64 v45, 0, v45, s[0:1]
	v_add_u32_e32 v44, v44, v45
	s_nop 1
	v_mov_b32_dpp v45, v44 row_shr:4 row_mask:0xf bank_mask:0xf
	v_cndmask_b32_e64 v45, 0, v45, s[2:3]
	;; [unrolled: 4-line block ×3, first 2 shown]
	v_add_u32_e32 v44, v44, v45
	ds_write_b32 v40, v44
.LBB313_108:
	s_or_b64 exec, exec, s[14:15]
	v_cmp_lt_u32_e32 vcc, 63, v8
	v_mov_b32_e32 v44, 0
	s_waitcnt lgkmcnt(0)
	s_barrier
	s_and_saveexec_b64 s[0:1], vcc
	s_cbranch_execz .LBB313_110
; %bb.109:
	v_lshl_add_u32 v43, v43, 2, -4
	ds_read_b32 v44, v43
.LBB313_110:
	s_or_b64 exec, exec, s[0:1]
	v_add_u32_e32 v43, -1, v18
	v_and_b32_e32 v45, 64, v18
	v_cmp_lt_i32_e32 vcc, v43, v45
	v_cndmask_b32_e32 v43, v43, v18, vcc
	s_waitcnt lgkmcnt(0)
	v_add_u32_e32 v42, v44, v42
	v_lshlrev_b32_e32 v43, 2, v43
	ds_bpermute_b32 v42, v43, v42
	v_cmp_eq_u32_e32 vcc, 0, v18
	s_movk_i32 s2, 0xff
	s_movk_i32 s3, 0x100
	v_cmp_lt_u32_e64 s[0:1], s2, v8
	s_waitcnt lgkmcnt(0)
	v_cndmask_b32_e32 v18, v42, v44, vcc
	v_cmp_ne_u32_e32 vcc, 0, v8
	v_cndmask_b32_e32 v18, 0, v18, vcc
	v_add_u32_e32 v2, v18, v2
	v_add_u32_e32 v3, v2, v3
	;; [unrolled: 1-line block ×4, first 2 shown]
	ds_write2_b32 v20, v18, v2 offset0:16 offset1:17
	ds_write2_b32 v41, v3, v0 offset0:2 offset1:3
	ds_write_b32 v41, v1 offset:16
	s_waitcnt lgkmcnt(0)
	s_barrier
	ds_read_b32 v0, v22 offset:64
	ds_read_b32 v18, v26 offset:64
	;; [unrolled: 1-line block ×8, first 2 shown]
	v_cmp_gt_u32_e32 vcc, s3, v8
                                        ; implicit-def: $vgpr33
                                        ; implicit-def: $vgpr35
	s_and_saveexec_b64 s[4:5], vcc
	s_cbranch_execz .LBB313_114
; %bb.111:
	v_mul_u32_u24_e32 v1, 17, v8
	v_lshlrev_b32_e32 v2, 2, v1
	ds_read_b32 v33, v2 offset:64
	v_cmp_ne_u32_e64 s[2:3], s2, v8
	v_mov_b32_e32 v1, 0x2000
	s_and_saveexec_b64 s[8:9], s[2:3]
	s_cbranch_execz .LBB313_113
; %bb.112:
	ds_read_b32 v1, v2 offset:132
.LBB313_113:
	s_or_b64 exec, exec, s[8:9]
	s_waitcnt lgkmcnt(0)
	v_sub_u32_e32 v35, v1, v33
.LBB313_114:
	s_or_b64 exec, exec, s[4:5]
	s_waitcnt lgkmcnt(7)
	v_add_u32_e32 v37, v0, v23
	s_waitcnt lgkmcnt(6)
	v_add3_u32 v0, v15, v13, v18
	s_waitcnt lgkmcnt(5)
	v_add3_u32 v1, v19, v16, v20
	;; [unrolled: 2-line block ×7, first 2 shown]
	s_barrier
	ds_write_b8 v37, v4 offset:1024
	ds_write_b8 v0, v5 offset:1024
	;; [unrolled: 1-line block ×8, first 2 shown]
                                        ; implicit-def: $vgpr10_vgpr11
	s_and_saveexec_b64 s[2:3], s[0:1]
	s_xor_b64 s[0:1], exec, s[2:3]
; %bb.115:
	v_mov_b32_e32 v9, 0
	v_pk_mov_b32 v[10:11], v[8:9], v[8:9] op_sel:[0,1]
                                        ; implicit-def: $vgpr40
; %bb.116:
	s_andn2_saveexec_b64 s[2:3], s[0:1]
	s_cbranch_execz .LBB313_126
; %bb.117:
	v_lshl_or_b32 v0, s6, 8, v8
	v_mov_b32_e32 v1, 0
	v_lshlrev_b64 v[2:3], 2, v[0:1]
	v_mov_b32_e32 v6, s35
	v_add_co_u32_e64 v2, s[0:1], s34, v2
	v_addc_co_u32_e64 v3, s[0:1], v6, v3, s[0:1]
	v_or_b32_e32 v0, 2.0, v35
	s_mov_b64 s[4:5], 0
	s_brev_b32 s17, 1
	s_mov_b32 s18, s6
	v_mov_b32_e32 v7, 0
	global_store_dword v[2:3], v0, off
                                        ; implicit-def: $sgpr0_sgpr1
	s_branch .LBB313_120
.LBB313_118:                            ;   in Loop: Header=BB313_120 Depth=1
	s_or_b64 exec, exec, s[14:15]
.LBB313_119:                            ;   in Loop: Header=BB313_120 Depth=1
	s_or_b64 exec, exec, s[8:9]
	v_and_b32_e32 v4, 0x3fffffff, v9
	v_add_u32_e32 v7, v4, v7
	v_cmp_eq_u32_e64 s[0:1], s17, v0
	s_and_b64 s[8:9], exec, s[0:1]
	s_or_b64 s[4:5], s[8:9], s[4:5]
	s_andn2_b64 exec, exec, s[4:5]
	s_cbranch_execz .LBB313_125
.LBB313_120:                            ; =>This Loop Header: Depth=1
                                        ;     Child Loop BB313_123 Depth 2
	s_or_b64 s[0:1], s[0:1], exec
	s_cmp_eq_u32 s18, 0
	s_cbranch_scc1 .LBB313_124
; %bb.121:                              ;   in Loop: Header=BB313_120 Depth=1
	s_add_i32 s18, s18, -1
	v_lshl_or_b32 v0, s18, 8, v8
	v_lshlrev_b64 v[4:5], 2, v[0:1]
	v_add_co_u32_e64 v4, s[0:1], s34, v4
	v_addc_co_u32_e64 v5, s[0:1], v6, v5, s[0:1]
	global_load_dword v9, v[4:5], off glc
	s_waitcnt vmcnt(0)
	v_and_b32_e32 v0, -2.0, v9
	v_cmp_eq_u32_e64 s[0:1], 0, v0
	s_and_saveexec_b64 s[8:9], s[0:1]
	s_cbranch_execz .LBB313_119
; %bb.122:                              ;   in Loop: Header=BB313_120 Depth=1
	s_mov_b64 s[14:15], 0
.LBB313_123:                            ;   Parent Loop BB313_120 Depth=1
                                        ; =>  This Inner Loop Header: Depth=2
	global_load_dword v9, v[4:5], off glc
	s_waitcnt vmcnt(0)
	v_and_b32_e32 v0, -2.0, v9
	v_cmp_ne_u32_e64 s[0:1], 0, v0
	s_or_b64 s[14:15], s[0:1], s[14:15]
	s_andn2_b64 exec, exec, s[14:15]
	s_cbranch_execnz .LBB313_123
	s_branch .LBB313_118
.LBB313_124:                            ;   in Loop: Header=BB313_120 Depth=1
                                        ; implicit-def: $sgpr18
	s_and_b64 s[8:9], exec, s[0:1]
	s_or_b64 s[4:5], s[8:9], s[4:5]
	s_andn2_b64 exec, exec, s[4:5]
	s_cbranch_execnz .LBB313_120
.LBB313_125:
	s_or_b64 exec, exec, s[4:5]
	v_add_u32_e32 v0, v7, v35
	v_or_b32_e32 v0, 0x80000000, v0
	global_store_dword v[2:3], v0, off
	global_load_dword v0, v40, s[28:29]
	v_mov_b32_e32 v9, 0
	v_sub_u32_e32 v1, v7, v33
	v_pk_mov_b32 v[10:11], v[8:9], v[8:9] op_sel:[0,1]
	s_waitcnt vmcnt(0)
	v_add_u32_e32 v0, v1, v0
	ds_write_b32 v40, v0
.LBB313_126:
	s_or_b64 exec, exec, s[2:3]
	s_waitcnt lgkmcnt(0)
	s_barrier
	ds_read_u8 v9, v10 offset:1024
	ds_read_u8 v17, v8 offset:2048
	ds_read_u8 v23, v8 offset:3072
	ds_read_u8 v40, v8 offset:4096
	ds_read_u8 v41, v8 offset:5120
	ds_read_u8 v42, v8 offset:6144
	ds_read_u8 v43, v8 offset:7168
	ds_read_u8 v44, v8 offset:8192
	s_waitcnt lgkmcnt(7)
	v_lshrrev_b32_sdwa v0, s44, v9 dst_sel:DWORD dst_unused:UNUSED_PAD src0_sel:DWORD src1_sel:BYTE_0
	v_and_b32_e32 v0, s16, v0
	s_waitcnt lgkmcnt(6)
	v_lshrrev_b32_sdwa v1, s44, v17 dst_sel:DWORD dst_unused:UNUSED_PAD src0_sel:DWORD src1_sel:BYTE_0
	v_lshlrev_b32_e32 v2, 2, v0
	v_and_b32_e32 v1, s16, v1
	s_waitcnt lgkmcnt(5)
	v_lshrrev_b32_sdwa v4, s44, v23 dst_sel:DWORD dst_unused:UNUSED_PAD src0_sel:DWORD src1_sel:BYTE_0
	v_lshlrev_b32_e32 v3, 2, v1
	ds_read_b32 v45, v2
	ds_read_b32 v46, v3
	v_and_b32_e32 v2, s16, v4
	v_lshlrev_b32_e32 v3, 2, v2
	ds_read_b32 v47, v3
	s_waitcnt lgkmcnt(7)
	v_lshrrev_b32_sdwa v3, s44, v40 dst_sel:DWORD dst_unused:UNUSED_PAD src0_sel:DWORD src1_sel:BYTE_0
	v_and_b32_e32 v3, s16, v3
	v_lshlrev_b32_e32 v4, 2, v3
	ds_read_b32 v48, v4
	s_waitcnt lgkmcnt(7)
	v_lshrrev_b32_sdwa v4, s44, v41 dst_sel:DWORD dst_unused:UNUSED_PAD src0_sel:DWORD src1_sel:BYTE_0
	;; [unrolled: 5-line block ×5, first 2 shown]
	v_and_b32_e32 v7, s16, v7
	s_waitcnt lgkmcnt(6)
	v_add_u32_e32 v45, v45, v8
	s_movk_i32 s2, 0x400
	v_lshlrev_b32_e32 v52, 2, v7
	global_store_byte v45, v9, s[38:39]
	s_waitcnt lgkmcnt(5)
	v_add3_u32 v9, v46, v8, s2
	s_movk_i32 s0, 0x800
	ds_read_b32 v52, v52
	global_store_byte v9, v17, s[38:39]
	s_waitcnt lgkmcnt(5)
	v_add3_u32 v9, v47, v8, s0
	s_movk_i32 s0, 0xc00
	global_store_byte v9, v23, s[38:39]
	s_waitcnt lgkmcnt(4)
	v_add3_u32 v9, v48, v8, s0
	s_movk_i32 s0, 0x1000
	;; [unrolled: 4-line block ×5, first 2 shown]
	global_store_byte v9, v43, s[38:39]
	s_waitcnt lgkmcnt(0)
	v_add3_u32 v9, v52, v8, s0
	s_lshl_b64 s[0:1], s[12:13], 3
	s_add_u32 s0, s40, s0
	v_lshlrev_b32_e32 v12, 3, v12
	s_addc_u32 s1, s41, s1
	global_store_byte v9, v44, s[38:39]
	v_add3_u32 v9, v36, v39, v30
	v_add3_u32 v30, v34, v38, v32
	;; [unrolled: 1-line block ×3, first 2 shown]
	v_lshlrev_b32_e32 v13, 3, v14
	v_mov_b32_e32 v14, s1
	v_add_co_u32_e64 v12, s[0:1], s0, v12
	v_addc_co_u32_e64 v14, s[0:1], 0, v14, s[0:1]
	v_add3_u32 v31, v31, v29, v28
	v_add_co_u32_e64 v28, s[0:1], v12, v13
	v_addc_co_u32_e64 v29, s[0:1], 0, v14, s[0:1]
	v_or_b32_e32 v12, 0x400, v8
	v_mul_u32_u24_e32 v13, 7, v8
	v_add3_u32 v32, v27, v26, v25
	v_add3_u32 v34, v24, v22, v21
	;; [unrolled: 1-line block ×3, first 2 shown]
	v_add_u32_e32 v39, v12, v13
	global_load_dwordx2 v[12:13], v[28:29], off
	global_load_dwordx2 v[14:15], v[28:29], off offset:512
	global_load_dwordx2 v[16:17], v[28:29], off offset:1024
	;; [unrolled: 1-line block ×7, first 2 shown]
	s_mov_b32 s3, 0
	s_mov_b32 s4, 1
	v_lshlrev_b32_e32 v40, 3, v10
	v_mov_b32_e32 v29, 0
	s_barrier
	s_waitcnt vmcnt(0)
.LBB313_127:                            ; =>This Inner Loop Header: Depth=1
	v_add_u32_e32 v28, s3, v37
	v_min_u32_e32 v28, 0x800, v28
	v_lshlrev_b32_e32 v28, 3, v28
	ds_write_b64 v28, v[12:13] offset:1024
	v_add_u32_e32 v28, s3, v38
	v_min_u32_e32 v28, 0x800, v28
	v_lshlrev_b32_e32 v28, 3, v28
	ds_write_b64 v28, v[14:15] offset:1024
	;; [unrolled: 4-line block ×7, first 2 shown]
	v_add_u32_e32 v28, s3, v9
	s_add_i32 s5, s4, -1
	v_min_u32_e32 v28, 0x800, v28
	s_cmp_eq_u32 s5, 1
	v_lshlrev_b32_e32 v28, 3, v28
	s_cselect_b64 s[0:1], -1, 0
	s_cmp_eq_u32 s5, 2
	ds_write_b64 v28, v[26:27] offset:1024
	v_cndmask_b32_e64 v28, v0, v1, s[0:1]
	s_cselect_b64 s[0:1], -1, 0
	s_cmp_eq_u32 s5, 3
	v_cndmask_b32_e64 v28, v28, v2, s[0:1]
	s_cselect_b64 s[0:1], -1, 0
	s_cmp_eq_u32 s5, 4
	;; [unrolled: 3-line block ×10, first 2 shown]
	v_lshlrev_b32_e32 v28, 2, v28
	v_cndmask_b32_e64 v41, v41, v4, s[0:1]
	s_cselect_b64 s[0:1], -1, 0
	s_cmp_eq_u32 s4, 6
	s_waitcnt lgkmcnt(0)
	s_barrier
	ds_read_b32 v28, v28
	v_cndmask_b32_e64 v41, v41, v5, s[0:1]
	s_cselect_b64 s[0:1], -1, 0
	s_cmp_eq_u32 s4, 7
	v_cndmask_b32_e64 v41, v41, v6, s[0:1]
	s_cselect_b64 s[0:1], -1, 0
	v_cndmask_b32_e64 v41, v41, v7, s[0:1]
	v_lshlrev_b32_e32 v41, 2, v41
	ds_read_b32 v41, v41
	ds_read_b64 v[42:43], v39 offset:8192
	ds_read_b64 v[46:47], v40 offset:1024
	s_waitcnt lgkmcnt(3)
	v_add_u32_e32 v28, v8, v28
	v_lshlrev_b64 v[44:45], 3, v[28:29]
	v_mov_b32_e32 v48, s43
	v_add_co_u32_e64 v44, s[0:1], s42, v44
	v_addc_co_u32_e64 v45, s[0:1], v48, v45, s[0:1]
	s_waitcnt lgkmcnt(2)
	v_add3_u32 v28, v8, v41, s2
	s_waitcnt lgkmcnt(0)
	global_store_dwordx2 v[44:45], v[46:47], off
	v_lshlrev_b64 v[44:45], 3, v[28:29]
	v_add_co_u32_e64 v44, s[0:1], s42, v44
	s_addk_i32 s3, 0xf800
	s_add_i32 s4, s4, 2
	v_addc_co_u32_e64 v45, s[0:1], v48, v45, s[0:1]
	s_cmpk_lg_i32 s3, 0xe000
	v_add_u32_e32 v8, 0x800, v8
	global_store_dwordx2 v[44:45], v[42:43], off
	s_barrier
	s_cbranch_scc1 .LBB313_127
; %bb.128:
	s_add_i32 s7, s7, -1
	s_cmp_eq_u32 s7, s6
	s_cselect_b64 s[0:1], -1, 0
	s_and_b64 s[2:3], vcc, s[0:1]
                                        ; implicit-def: $vgpr2
	s_and_saveexec_b64 s[0:1], s[2:3]
; %bb.129:
	v_add_u32_e32 v2, v33, v35
	s_or_b64 s[10:11], s[10:11], exec
; %bb.130:
	s_or_b64 exec, exec, s[0:1]
.LBB313_131:
	s_and_saveexec_b64 s[0:1], s[10:11]
	s_cbranch_execnz .LBB313_133
; %bb.132:
	s_endpgm
.LBB313_133:
	v_lshlrev_b32_e32 v3, 2, v10
	ds_read_b32 v3, v3
	v_lshlrev_b64 v[0:1], 2, v[10:11]
	v_mov_b32_e32 v4, s31
	v_add_co_u32_e32 v0, vcc, s30, v0
	v_addc_co_u32_e32 v1, vcc, v4, v1, vcc
	s_waitcnt lgkmcnt(0)
	v_add_u32_e32 v2, v3, v2
	global_store_dword v[0:1], v2, off
	s_endpgm
.LBB313_134:
	global_load_dwordx2 v[12:13], v[28:29], off
	s_or_b64 exec, exec, s[18:19]
                                        ; implicit-def: $vgpr14_vgpr15
	s_and_saveexec_b64 s[18:19], s[0:1]
	s_cbranch_execz .LBB313_71
.LBB313_135:
	global_load_dwordx2 v[14:15], v[28:29], off offset:512
	s_or_b64 exec, exec, s[18:19]
                                        ; implicit-def: $vgpr16_vgpr17
	s_and_saveexec_b64 s[0:1], s[2:3]
	s_cbranch_execz .LBB313_72
.LBB313_136:
	global_load_dwordx2 v[16:17], v[28:29], off offset:1024
	s_or_b64 exec, exec, s[0:1]
                                        ; implicit-def: $vgpr18_vgpr19
	s_and_saveexec_b64 s[0:1], s[24:25]
	s_cbranch_execz .LBB313_73
.LBB313_137:
	global_load_dwordx2 v[18:19], v[28:29], off offset:1536
	s_or_b64 exec, exec, s[0:1]
                                        ; implicit-def: $vgpr20_vgpr21
	s_and_saveexec_b64 s[0:1], s[8:9]
	s_cbranch_execz .LBB313_74
.LBB313_138:
	global_load_dwordx2 v[20:21], v[28:29], off offset:2048
	s_or_b64 exec, exec, s[0:1]
                                        ; implicit-def: $vgpr22_vgpr23
	s_and_saveexec_b64 s[0:1], s[10:11]
	s_cbranch_execz .LBB313_75
.LBB313_139:
	global_load_dwordx2 v[22:23], v[28:29], off offset:2560
	s_or_b64 exec, exec, s[0:1]
                                        ; implicit-def: $vgpr24_vgpr25
	s_and_saveexec_b64 s[0:1], s[12:13]
	s_cbranch_execz .LBB313_76
.LBB313_140:
	global_load_dwordx2 v[24:25], v[28:29], off offset:3072
	s_or_b64 exec, exec, s[0:1]
                                        ; implicit-def: $vgpr26_vgpr27
	s_and_saveexec_b64 s[0:1], s[14:15]
	s_cbranch_execnz .LBB313_77
	s_branch .LBB313_78
	.section	.rodata,"a",@progbits
	.p2align	6, 0x0
	.amdhsa_kernel _ZN7rocprim17ROCPRIM_400000_NS6detail17trampoline_kernelINS0_14default_configENS1_35radix_sort_onesweep_config_selectorIhlEEZZNS1_29radix_sort_onesweep_iterationIS3_Lb0EPhS7_N6thrust23THRUST_200600_302600_NS10device_ptrIlEESB_jNS0_19identity_decomposerENS1_16block_id_wrapperIjLb0EEEEE10hipError_tT1_PNSt15iterator_traitsISG_E10value_typeET2_T3_PNSH_ISM_E10value_typeET4_T5_PSR_SS_PNS1_23onesweep_lookback_stateEbbT6_jjT7_P12ihipStream_tbENKUlT_T0_SG_SL_E_clIS7_S7_PlSB_EEDaSZ_S10_SG_SL_EUlSZ_E_NS1_11comp_targetILNS1_3genE4ELNS1_11target_archE910ELNS1_3gpuE8ELNS1_3repE0EEENS1_47radix_sort_onesweep_sort_config_static_selectorELNS0_4arch9wavefront6targetE1EEEvSG_
		.amdhsa_group_segment_fixed_size 20552
		.amdhsa_private_segment_fixed_size 0
		.amdhsa_kernarg_size 344
		.amdhsa_user_sgpr_count 6
		.amdhsa_user_sgpr_private_segment_buffer 1
		.amdhsa_user_sgpr_dispatch_ptr 0
		.amdhsa_user_sgpr_queue_ptr 0
		.amdhsa_user_sgpr_kernarg_segment_ptr 1
		.amdhsa_user_sgpr_dispatch_id 0
		.amdhsa_user_sgpr_flat_scratch_init 0
		.amdhsa_user_sgpr_kernarg_preload_length 0
		.amdhsa_user_sgpr_kernarg_preload_offset 0
		.amdhsa_user_sgpr_private_segment_size 0
		.amdhsa_uses_dynamic_stack 0
		.amdhsa_system_sgpr_private_segment_wavefront_offset 0
		.amdhsa_system_sgpr_workgroup_id_x 1
		.amdhsa_system_sgpr_workgroup_id_y 0
		.amdhsa_system_sgpr_workgroup_id_z 0
		.amdhsa_system_sgpr_workgroup_info 0
		.amdhsa_system_vgpr_workitem_id 2
		.amdhsa_next_free_vgpr 55
		.amdhsa_next_free_sgpr 53
		.amdhsa_accum_offset 56
		.amdhsa_reserve_vcc 1
		.amdhsa_reserve_flat_scratch 0
		.amdhsa_float_round_mode_32 0
		.amdhsa_float_round_mode_16_64 0
		.amdhsa_float_denorm_mode_32 3
		.amdhsa_float_denorm_mode_16_64 3
		.amdhsa_dx10_clamp 1
		.amdhsa_ieee_mode 1
		.amdhsa_fp16_overflow 0
		.amdhsa_tg_split 0
		.amdhsa_exception_fp_ieee_invalid_op 0
		.amdhsa_exception_fp_denorm_src 0
		.amdhsa_exception_fp_ieee_div_zero 0
		.amdhsa_exception_fp_ieee_overflow 0
		.amdhsa_exception_fp_ieee_underflow 0
		.amdhsa_exception_fp_ieee_inexact 0
		.amdhsa_exception_int_div_zero 0
	.end_amdhsa_kernel
	.section	.text._ZN7rocprim17ROCPRIM_400000_NS6detail17trampoline_kernelINS0_14default_configENS1_35radix_sort_onesweep_config_selectorIhlEEZZNS1_29radix_sort_onesweep_iterationIS3_Lb0EPhS7_N6thrust23THRUST_200600_302600_NS10device_ptrIlEESB_jNS0_19identity_decomposerENS1_16block_id_wrapperIjLb0EEEEE10hipError_tT1_PNSt15iterator_traitsISG_E10value_typeET2_T3_PNSH_ISM_E10value_typeET4_T5_PSR_SS_PNS1_23onesweep_lookback_stateEbbT6_jjT7_P12ihipStream_tbENKUlT_T0_SG_SL_E_clIS7_S7_PlSB_EEDaSZ_S10_SG_SL_EUlSZ_E_NS1_11comp_targetILNS1_3genE4ELNS1_11target_archE910ELNS1_3gpuE8ELNS1_3repE0EEENS1_47radix_sort_onesweep_sort_config_static_selectorELNS0_4arch9wavefront6targetE1EEEvSG_,"axG",@progbits,_ZN7rocprim17ROCPRIM_400000_NS6detail17trampoline_kernelINS0_14default_configENS1_35radix_sort_onesweep_config_selectorIhlEEZZNS1_29radix_sort_onesweep_iterationIS3_Lb0EPhS7_N6thrust23THRUST_200600_302600_NS10device_ptrIlEESB_jNS0_19identity_decomposerENS1_16block_id_wrapperIjLb0EEEEE10hipError_tT1_PNSt15iterator_traitsISG_E10value_typeET2_T3_PNSH_ISM_E10value_typeET4_T5_PSR_SS_PNS1_23onesweep_lookback_stateEbbT6_jjT7_P12ihipStream_tbENKUlT_T0_SG_SL_E_clIS7_S7_PlSB_EEDaSZ_S10_SG_SL_EUlSZ_E_NS1_11comp_targetILNS1_3genE4ELNS1_11target_archE910ELNS1_3gpuE8ELNS1_3repE0EEENS1_47radix_sort_onesweep_sort_config_static_selectorELNS0_4arch9wavefront6targetE1EEEvSG_,comdat
.Lfunc_end313:
	.size	_ZN7rocprim17ROCPRIM_400000_NS6detail17trampoline_kernelINS0_14default_configENS1_35radix_sort_onesweep_config_selectorIhlEEZZNS1_29radix_sort_onesweep_iterationIS3_Lb0EPhS7_N6thrust23THRUST_200600_302600_NS10device_ptrIlEESB_jNS0_19identity_decomposerENS1_16block_id_wrapperIjLb0EEEEE10hipError_tT1_PNSt15iterator_traitsISG_E10value_typeET2_T3_PNSH_ISM_E10value_typeET4_T5_PSR_SS_PNS1_23onesweep_lookback_stateEbbT6_jjT7_P12ihipStream_tbENKUlT_T0_SG_SL_E_clIS7_S7_PlSB_EEDaSZ_S10_SG_SL_EUlSZ_E_NS1_11comp_targetILNS1_3genE4ELNS1_11target_archE910ELNS1_3gpuE8ELNS1_3repE0EEENS1_47radix_sort_onesweep_sort_config_static_selectorELNS0_4arch9wavefront6targetE1EEEvSG_, .Lfunc_end313-_ZN7rocprim17ROCPRIM_400000_NS6detail17trampoline_kernelINS0_14default_configENS1_35radix_sort_onesweep_config_selectorIhlEEZZNS1_29radix_sort_onesweep_iterationIS3_Lb0EPhS7_N6thrust23THRUST_200600_302600_NS10device_ptrIlEESB_jNS0_19identity_decomposerENS1_16block_id_wrapperIjLb0EEEEE10hipError_tT1_PNSt15iterator_traitsISG_E10value_typeET2_T3_PNSH_ISM_E10value_typeET4_T5_PSR_SS_PNS1_23onesweep_lookback_stateEbbT6_jjT7_P12ihipStream_tbENKUlT_T0_SG_SL_E_clIS7_S7_PlSB_EEDaSZ_S10_SG_SL_EUlSZ_E_NS1_11comp_targetILNS1_3genE4ELNS1_11target_archE910ELNS1_3gpuE8ELNS1_3repE0EEENS1_47radix_sort_onesweep_sort_config_static_selectorELNS0_4arch9wavefront6targetE1EEEvSG_
                                        ; -- End function
	.section	.AMDGPU.csdata,"",@progbits
; Kernel info:
; codeLenInByte = 12700
; NumSgprs: 57
; NumVgprs: 55
; NumAgprs: 0
; TotalNumVgprs: 55
; ScratchSize: 0
; MemoryBound: 0
; FloatMode: 240
; IeeeMode: 1
; LDSByteSize: 20552 bytes/workgroup (compile time only)
; SGPRBlocks: 7
; VGPRBlocks: 6
; NumSGPRsForWavesPerEU: 57
; NumVGPRsForWavesPerEU: 55
; AccumOffset: 56
; Occupancy: 8
; WaveLimiterHint : 1
; COMPUTE_PGM_RSRC2:SCRATCH_EN: 0
; COMPUTE_PGM_RSRC2:USER_SGPR: 6
; COMPUTE_PGM_RSRC2:TRAP_HANDLER: 0
; COMPUTE_PGM_RSRC2:TGID_X_EN: 1
; COMPUTE_PGM_RSRC2:TGID_Y_EN: 0
; COMPUTE_PGM_RSRC2:TGID_Z_EN: 0
; COMPUTE_PGM_RSRC2:TIDIG_COMP_CNT: 2
; COMPUTE_PGM_RSRC3_GFX90A:ACCUM_OFFSET: 13
; COMPUTE_PGM_RSRC3_GFX90A:TG_SPLIT: 0
	.section	.text._ZN7rocprim17ROCPRIM_400000_NS6detail17trampoline_kernelINS0_14default_configENS1_35radix_sort_onesweep_config_selectorIhlEEZZNS1_29radix_sort_onesweep_iterationIS3_Lb0EPhS7_N6thrust23THRUST_200600_302600_NS10device_ptrIlEESB_jNS0_19identity_decomposerENS1_16block_id_wrapperIjLb0EEEEE10hipError_tT1_PNSt15iterator_traitsISG_E10value_typeET2_T3_PNSH_ISM_E10value_typeET4_T5_PSR_SS_PNS1_23onesweep_lookback_stateEbbT6_jjT7_P12ihipStream_tbENKUlT_T0_SG_SL_E_clIS7_S7_PlSB_EEDaSZ_S10_SG_SL_EUlSZ_E_NS1_11comp_targetILNS1_3genE3ELNS1_11target_archE908ELNS1_3gpuE7ELNS1_3repE0EEENS1_47radix_sort_onesweep_sort_config_static_selectorELNS0_4arch9wavefront6targetE1EEEvSG_,"axG",@progbits,_ZN7rocprim17ROCPRIM_400000_NS6detail17trampoline_kernelINS0_14default_configENS1_35radix_sort_onesweep_config_selectorIhlEEZZNS1_29radix_sort_onesweep_iterationIS3_Lb0EPhS7_N6thrust23THRUST_200600_302600_NS10device_ptrIlEESB_jNS0_19identity_decomposerENS1_16block_id_wrapperIjLb0EEEEE10hipError_tT1_PNSt15iterator_traitsISG_E10value_typeET2_T3_PNSH_ISM_E10value_typeET4_T5_PSR_SS_PNS1_23onesweep_lookback_stateEbbT6_jjT7_P12ihipStream_tbENKUlT_T0_SG_SL_E_clIS7_S7_PlSB_EEDaSZ_S10_SG_SL_EUlSZ_E_NS1_11comp_targetILNS1_3genE3ELNS1_11target_archE908ELNS1_3gpuE7ELNS1_3repE0EEENS1_47radix_sort_onesweep_sort_config_static_selectorELNS0_4arch9wavefront6targetE1EEEvSG_,comdat
	.protected	_ZN7rocprim17ROCPRIM_400000_NS6detail17trampoline_kernelINS0_14default_configENS1_35radix_sort_onesweep_config_selectorIhlEEZZNS1_29radix_sort_onesweep_iterationIS3_Lb0EPhS7_N6thrust23THRUST_200600_302600_NS10device_ptrIlEESB_jNS0_19identity_decomposerENS1_16block_id_wrapperIjLb0EEEEE10hipError_tT1_PNSt15iterator_traitsISG_E10value_typeET2_T3_PNSH_ISM_E10value_typeET4_T5_PSR_SS_PNS1_23onesweep_lookback_stateEbbT6_jjT7_P12ihipStream_tbENKUlT_T0_SG_SL_E_clIS7_S7_PlSB_EEDaSZ_S10_SG_SL_EUlSZ_E_NS1_11comp_targetILNS1_3genE3ELNS1_11target_archE908ELNS1_3gpuE7ELNS1_3repE0EEENS1_47radix_sort_onesweep_sort_config_static_selectorELNS0_4arch9wavefront6targetE1EEEvSG_ ; -- Begin function _ZN7rocprim17ROCPRIM_400000_NS6detail17trampoline_kernelINS0_14default_configENS1_35radix_sort_onesweep_config_selectorIhlEEZZNS1_29radix_sort_onesweep_iterationIS3_Lb0EPhS7_N6thrust23THRUST_200600_302600_NS10device_ptrIlEESB_jNS0_19identity_decomposerENS1_16block_id_wrapperIjLb0EEEEE10hipError_tT1_PNSt15iterator_traitsISG_E10value_typeET2_T3_PNSH_ISM_E10value_typeET4_T5_PSR_SS_PNS1_23onesweep_lookback_stateEbbT6_jjT7_P12ihipStream_tbENKUlT_T0_SG_SL_E_clIS7_S7_PlSB_EEDaSZ_S10_SG_SL_EUlSZ_E_NS1_11comp_targetILNS1_3genE3ELNS1_11target_archE908ELNS1_3gpuE7ELNS1_3repE0EEENS1_47radix_sort_onesweep_sort_config_static_selectorELNS0_4arch9wavefront6targetE1EEEvSG_
	.globl	_ZN7rocprim17ROCPRIM_400000_NS6detail17trampoline_kernelINS0_14default_configENS1_35radix_sort_onesweep_config_selectorIhlEEZZNS1_29radix_sort_onesweep_iterationIS3_Lb0EPhS7_N6thrust23THRUST_200600_302600_NS10device_ptrIlEESB_jNS0_19identity_decomposerENS1_16block_id_wrapperIjLb0EEEEE10hipError_tT1_PNSt15iterator_traitsISG_E10value_typeET2_T3_PNSH_ISM_E10value_typeET4_T5_PSR_SS_PNS1_23onesweep_lookback_stateEbbT6_jjT7_P12ihipStream_tbENKUlT_T0_SG_SL_E_clIS7_S7_PlSB_EEDaSZ_S10_SG_SL_EUlSZ_E_NS1_11comp_targetILNS1_3genE3ELNS1_11target_archE908ELNS1_3gpuE7ELNS1_3repE0EEENS1_47radix_sort_onesweep_sort_config_static_selectorELNS0_4arch9wavefront6targetE1EEEvSG_
	.p2align	8
	.type	_ZN7rocprim17ROCPRIM_400000_NS6detail17trampoline_kernelINS0_14default_configENS1_35radix_sort_onesweep_config_selectorIhlEEZZNS1_29radix_sort_onesweep_iterationIS3_Lb0EPhS7_N6thrust23THRUST_200600_302600_NS10device_ptrIlEESB_jNS0_19identity_decomposerENS1_16block_id_wrapperIjLb0EEEEE10hipError_tT1_PNSt15iterator_traitsISG_E10value_typeET2_T3_PNSH_ISM_E10value_typeET4_T5_PSR_SS_PNS1_23onesweep_lookback_stateEbbT6_jjT7_P12ihipStream_tbENKUlT_T0_SG_SL_E_clIS7_S7_PlSB_EEDaSZ_S10_SG_SL_EUlSZ_E_NS1_11comp_targetILNS1_3genE3ELNS1_11target_archE908ELNS1_3gpuE7ELNS1_3repE0EEENS1_47radix_sort_onesweep_sort_config_static_selectorELNS0_4arch9wavefront6targetE1EEEvSG_,@function
_ZN7rocprim17ROCPRIM_400000_NS6detail17trampoline_kernelINS0_14default_configENS1_35radix_sort_onesweep_config_selectorIhlEEZZNS1_29radix_sort_onesweep_iterationIS3_Lb0EPhS7_N6thrust23THRUST_200600_302600_NS10device_ptrIlEESB_jNS0_19identity_decomposerENS1_16block_id_wrapperIjLb0EEEEE10hipError_tT1_PNSt15iterator_traitsISG_E10value_typeET2_T3_PNSH_ISM_E10value_typeET4_T5_PSR_SS_PNS1_23onesweep_lookback_stateEbbT6_jjT7_P12ihipStream_tbENKUlT_T0_SG_SL_E_clIS7_S7_PlSB_EEDaSZ_S10_SG_SL_EUlSZ_E_NS1_11comp_targetILNS1_3genE3ELNS1_11target_archE908ELNS1_3gpuE7ELNS1_3repE0EEENS1_47radix_sort_onesweep_sort_config_static_selectorELNS0_4arch9wavefront6targetE1EEEvSG_: ; @_ZN7rocprim17ROCPRIM_400000_NS6detail17trampoline_kernelINS0_14default_configENS1_35radix_sort_onesweep_config_selectorIhlEEZZNS1_29radix_sort_onesweep_iterationIS3_Lb0EPhS7_N6thrust23THRUST_200600_302600_NS10device_ptrIlEESB_jNS0_19identity_decomposerENS1_16block_id_wrapperIjLb0EEEEE10hipError_tT1_PNSt15iterator_traitsISG_E10value_typeET2_T3_PNSH_ISM_E10value_typeET4_T5_PSR_SS_PNS1_23onesweep_lookback_stateEbbT6_jjT7_P12ihipStream_tbENKUlT_T0_SG_SL_E_clIS7_S7_PlSB_EEDaSZ_S10_SG_SL_EUlSZ_E_NS1_11comp_targetILNS1_3genE3ELNS1_11target_archE908ELNS1_3gpuE7ELNS1_3repE0EEENS1_47radix_sort_onesweep_sort_config_static_selectorELNS0_4arch9wavefront6targetE1EEEvSG_
; %bb.0:
	.section	.rodata,"a",@progbits
	.p2align	6, 0x0
	.amdhsa_kernel _ZN7rocprim17ROCPRIM_400000_NS6detail17trampoline_kernelINS0_14default_configENS1_35radix_sort_onesweep_config_selectorIhlEEZZNS1_29radix_sort_onesweep_iterationIS3_Lb0EPhS7_N6thrust23THRUST_200600_302600_NS10device_ptrIlEESB_jNS0_19identity_decomposerENS1_16block_id_wrapperIjLb0EEEEE10hipError_tT1_PNSt15iterator_traitsISG_E10value_typeET2_T3_PNSH_ISM_E10value_typeET4_T5_PSR_SS_PNS1_23onesweep_lookback_stateEbbT6_jjT7_P12ihipStream_tbENKUlT_T0_SG_SL_E_clIS7_S7_PlSB_EEDaSZ_S10_SG_SL_EUlSZ_E_NS1_11comp_targetILNS1_3genE3ELNS1_11target_archE908ELNS1_3gpuE7ELNS1_3repE0EEENS1_47radix_sort_onesweep_sort_config_static_selectorELNS0_4arch9wavefront6targetE1EEEvSG_
		.amdhsa_group_segment_fixed_size 0
		.amdhsa_private_segment_fixed_size 0
		.amdhsa_kernarg_size 88
		.amdhsa_user_sgpr_count 6
		.amdhsa_user_sgpr_private_segment_buffer 1
		.amdhsa_user_sgpr_dispatch_ptr 0
		.amdhsa_user_sgpr_queue_ptr 0
		.amdhsa_user_sgpr_kernarg_segment_ptr 1
		.amdhsa_user_sgpr_dispatch_id 0
		.amdhsa_user_sgpr_flat_scratch_init 0
		.amdhsa_user_sgpr_kernarg_preload_length 0
		.amdhsa_user_sgpr_kernarg_preload_offset 0
		.amdhsa_user_sgpr_private_segment_size 0
		.amdhsa_uses_dynamic_stack 0
		.amdhsa_system_sgpr_private_segment_wavefront_offset 0
		.amdhsa_system_sgpr_workgroup_id_x 1
		.amdhsa_system_sgpr_workgroup_id_y 0
		.amdhsa_system_sgpr_workgroup_id_z 0
		.amdhsa_system_sgpr_workgroup_info 0
		.amdhsa_system_vgpr_workitem_id 0
		.amdhsa_next_free_vgpr 1
		.amdhsa_next_free_sgpr 0
		.amdhsa_accum_offset 4
		.amdhsa_reserve_vcc 0
		.amdhsa_reserve_flat_scratch 0
		.amdhsa_float_round_mode_32 0
		.amdhsa_float_round_mode_16_64 0
		.amdhsa_float_denorm_mode_32 3
		.amdhsa_float_denorm_mode_16_64 3
		.amdhsa_dx10_clamp 1
		.amdhsa_ieee_mode 1
		.amdhsa_fp16_overflow 0
		.amdhsa_tg_split 0
		.amdhsa_exception_fp_ieee_invalid_op 0
		.amdhsa_exception_fp_denorm_src 0
		.amdhsa_exception_fp_ieee_div_zero 0
		.amdhsa_exception_fp_ieee_overflow 0
		.amdhsa_exception_fp_ieee_underflow 0
		.amdhsa_exception_fp_ieee_inexact 0
		.amdhsa_exception_int_div_zero 0
	.end_amdhsa_kernel
	.section	.text._ZN7rocprim17ROCPRIM_400000_NS6detail17trampoline_kernelINS0_14default_configENS1_35radix_sort_onesweep_config_selectorIhlEEZZNS1_29radix_sort_onesweep_iterationIS3_Lb0EPhS7_N6thrust23THRUST_200600_302600_NS10device_ptrIlEESB_jNS0_19identity_decomposerENS1_16block_id_wrapperIjLb0EEEEE10hipError_tT1_PNSt15iterator_traitsISG_E10value_typeET2_T3_PNSH_ISM_E10value_typeET4_T5_PSR_SS_PNS1_23onesweep_lookback_stateEbbT6_jjT7_P12ihipStream_tbENKUlT_T0_SG_SL_E_clIS7_S7_PlSB_EEDaSZ_S10_SG_SL_EUlSZ_E_NS1_11comp_targetILNS1_3genE3ELNS1_11target_archE908ELNS1_3gpuE7ELNS1_3repE0EEENS1_47radix_sort_onesweep_sort_config_static_selectorELNS0_4arch9wavefront6targetE1EEEvSG_,"axG",@progbits,_ZN7rocprim17ROCPRIM_400000_NS6detail17trampoline_kernelINS0_14default_configENS1_35radix_sort_onesweep_config_selectorIhlEEZZNS1_29radix_sort_onesweep_iterationIS3_Lb0EPhS7_N6thrust23THRUST_200600_302600_NS10device_ptrIlEESB_jNS0_19identity_decomposerENS1_16block_id_wrapperIjLb0EEEEE10hipError_tT1_PNSt15iterator_traitsISG_E10value_typeET2_T3_PNSH_ISM_E10value_typeET4_T5_PSR_SS_PNS1_23onesweep_lookback_stateEbbT6_jjT7_P12ihipStream_tbENKUlT_T0_SG_SL_E_clIS7_S7_PlSB_EEDaSZ_S10_SG_SL_EUlSZ_E_NS1_11comp_targetILNS1_3genE3ELNS1_11target_archE908ELNS1_3gpuE7ELNS1_3repE0EEENS1_47radix_sort_onesweep_sort_config_static_selectorELNS0_4arch9wavefront6targetE1EEEvSG_,comdat
.Lfunc_end314:
	.size	_ZN7rocprim17ROCPRIM_400000_NS6detail17trampoline_kernelINS0_14default_configENS1_35radix_sort_onesweep_config_selectorIhlEEZZNS1_29radix_sort_onesweep_iterationIS3_Lb0EPhS7_N6thrust23THRUST_200600_302600_NS10device_ptrIlEESB_jNS0_19identity_decomposerENS1_16block_id_wrapperIjLb0EEEEE10hipError_tT1_PNSt15iterator_traitsISG_E10value_typeET2_T3_PNSH_ISM_E10value_typeET4_T5_PSR_SS_PNS1_23onesweep_lookback_stateEbbT6_jjT7_P12ihipStream_tbENKUlT_T0_SG_SL_E_clIS7_S7_PlSB_EEDaSZ_S10_SG_SL_EUlSZ_E_NS1_11comp_targetILNS1_3genE3ELNS1_11target_archE908ELNS1_3gpuE7ELNS1_3repE0EEENS1_47radix_sort_onesweep_sort_config_static_selectorELNS0_4arch9wavefront6targetE1EEEvSG_, .Lfunc_end314-_ZN7rocprim17ROCPRIM_400000_NS6detail17trampoline_kernelINS0_14default_configENS1_35radix_sort_onesweep_config_selectorIhlEEZZNS1_29radix_sort_onesweep_iterationIS3_Lb0EPhS7_N6thrust23THRUST_200600_302600_NS10device_ptrIlEESB_jNS0_19identity_decomposerENS1_16block_id_wrapperIjLb0EEEEE10hipError_tT1_PNSt15iterator_traitsISG_E10value_typeET2_T3_PNSH_ISM_E10value_typeET4_T5_PSR_SS_PNS1_23onesweep_lookback_stateEbbT6_jjT7_P12ihipStream_tbENKUlT_T0_SG_SL_E_clIS7_S7_PlSB_EEDaSZ_S10_SG_SL_EUlSZ_E_NS1_11comp_targetILNS1_3genE3ELNS1_11target_archE908ELNS1_3gpuE7ELNS1_3repE0EEENS1_47radix_sort_onesweep_sort_config_static_selectorELNS0_4arch9wavefront6targetE1EEEvSG_
                                        ; -- End function
	.section	.AMDGPU.csdata,"",@progbits
; Kernel info:
; codeLenInByte = 0
; NumSgprs: 4
; NumVgprs: 0
; NumAgprs: 0
; TotalNumVgprs: 0
; ScratchSize: 0
; MemoryBound: 0
; FloatMode: 240
; IeeeMode: 1
; LDSByteSize: 0 bytes/workgroup (compile time only)
; SGPRBlocks: 0
; VGPRBlocks: 0
; NumSGPRsForWavesPerEU: 4
; NumVGPRsForWavesPerEU: 1
; AccumOffset: 4
; Occupancy: 8
; WaveLimiterHint : 0
; COMPUTE_PGM_RSRC2:SCRATCH_EN: 0
; COMPUTE_PGM_RSRC2:USER_SGPR: 6
; COMPUTE_PGM_RSRC2:TRAP_HANDLER: 0
; COMPUTE_PGM_RSRC2:TGID_X_EN: 1
; COMPUTE_PGM_RSRC2:TGID_Y_EN: 0
; COMPUTE_PGM_RSRC2:TGID_Z_EN: 0
; COMPUTE_PGM_RSRC2:TIDIG_COMP_CNT: 0
; COMPUTE_PGM_RSRC3_GFX90A:ACCUM_OFFSET: 0
; COMPUTE_PGM_RSRC3_GFX90A:TG_SPLIT: 0
	.section	.text._ZN7rocprim17ROCPRIM_400000_NS6detail17trampoline_kernelINS0_14default_configENS1_35radix_sort_onesweep_config_selectorIhlEEZZNS1_29radix_sort_onesweep_iterationIS3_Lb0EPhS7_N6thrust23THRUST_200600_302600_NS10device_ptrIlEESB_jNS0_19identity_decomposerENS1_16block_id_wrapperIjLb0EEEEE10hipError_tT1_PNSt15iterator_traitsISG_E10value_typeET2_T3_PNSH_ISM_E10value_typeET4_T5_PSR_SS_PNS1_23onesweep_lookback_stateEbbT6_jjT7_P12ihipStream_tbENKUlT_T0_SG_SL_E_clIS7_S7_PlSB_EEDaSZ_S10_SG_SL_EUlSZ_E_NS1_11comp_targetILNS1_3genE10ELNS1_11target_archE1201ELNS1_3gpuE5ELNS1_3repE0EEENS1_47radix_sort_onesweep_sort_config_static_selectorELNS0_4arch9wavefront6targetE1EEEvSG_,"axG",@progbits,_ZN7rocprim17ROCPRIM_400000_NS6detail17trampoline_kernelINS0_14default_configENS1_35radix_sort_onesweep_config_selectorIhlEEZZNS1_29radix_sort_onesweep_iterationIS3_Lb0EPhS7_N6thrust23THRUST_200600_302600_NS10device_ptrIlEESB_jNS0_19identity_decomposerENS1_16block_id_wrapperIjLb0EEEEE10hipError_tT1_PNSt15iterator_traitsISG_E10value_typeET2_T3_PNSH_ISM_E10value_typeET4_T5_PSR_SS_PNS1_23onesweep_lookback_stateEbbT6_jjT7_P12ihipStream_tbENKUlT_T0_SG_SL_E_clIS7_S7_PlSB_EEDaSZ_S10_SG_SL_EUlSZ_E_NS1_11comp_targetILNS1_3genE10ELNS1_11target_archE1201ELNS1_3gpuE5ELNS1_3repE0EEENS1_47radix_sort_onesweep_sort_config_static_selectorELNS0_4arch9wavefront6targetE1EEEvSG_,comdat
	.protected	_ZN7rocprim17ROCPRIM_400000_NS6detail17trampoline_kernelINS0_14default_configENS1_35radix_sort_onesweep_config_selectorIhlEEZZNS1_29radix_sort_onesweep_iterationIS3_Lb0EPhS7_N6thrust23THRUST_200600_302600_NS10device_ptrIlEESB_jNS0_19identity_decomposerENS1_16block_id_wrapperIjLb0EEEEE10hipError_tT1_PNSt15iterator_traitsISG_E10value_typeET2_T3_PNSH_ISM_E10value_typeET4_T5_PSR_SS_PNS1_23onesweep_lookback_stateEbbT6_jjT7_P12ihipStream_tbENKUlT_T0_SG_SL_E_clIS7_S7_PlSB_EEDaSZ_S10_SG_SL_EUlSZ_E_NS1_11comp_targetILNS1_3genE10ELNS1_11target_archE1201ELNS1_3gpuE5ELNS1_3repE0EEENS1_47radix_sort_onesweep_sort_config_static_selectorELNS0_4arch9wavefront6targetE1EEEvSG_ ; -- Begin function _ZN7rocprim17ROCPRIM_400000_NS6detail17trampoline_kernelINS0_14default_configENS1_35radix_sort_onesweep_config_selectorIhlEEZZNS1_29radix_sort_onesweep_iterationIS3_Lb0EPhS7_N6thrust23THRUST_200600_302600_NS10device_ptrIlEESB_jNS0_19identity_decomposerENS1_16block_id_wrapperIjLb0EEEEE10hipError_tT1_PNSt15iterator_traitsISG_E10value_typeET2_T3_PNSH_ISM_E10value_typeET4_T5_PSR_SS_PNS1_23onesweep_lookback_stateEbbT6_jjT7_P12ihipStream_tbENKUlT_T0_SG_SL_E_clIS7_S7_PlSB_EEDaSZ_S10_SG_SL_EUlSZ_E_NS1_11comp_targetILNS1_3genE10ELNS1_11target_archE1201ELNS1_3gpuE5ELNS1_3repE0EEENS1_47radix_sort_onesweep_sort_config_static_selectorELNS0_4arch9wavefront6targetE1EEEvSG_
	.globl	_ZN7rocprim17ROCPRIM_400000_NS6detail17trampoline_kernelINS0_14default_configENS1_35radix_sort_onesweep_config_selectorIhlEEZZNS1_29radix_sort_onesweep_iterationIS3_Lb0EPhS7_N6thrust23THRUST_200600_302600_NS10device_ptrIlEESB_jNS0_19identity_decomposerENS1_16block_id_wrapperIjLb0EEEEE10hipError_tT1_PNSt15iterator_traitsISG_E10value_typeET2_T3_PNSH_ISM_E10value_typeET4_T5_PSR_SS_PNS1_23onesweep_lookback_stateEbbT6_jjT7_P12ihipStream_tbENKUlT_T0_SG_SL_E_clIS7_S7_PlSB_EEDaSZ_S10_SG_SL_EUlSZ_E_NS1_11comp_targetILNS1_3genE10ELNS1_11target_archE1201ELNS1_3gpuE5ELNS1_3repE0EEENS1_47radix_sort_onesweep_sort_config_static_selectorELNS0_4arch9wavefront6targetE1EEEvSG_
	.p2align	8
	.type	_ZN7rocprim17ROCPRIM_400000_NS6detail17trampoline_kernelINS0_14default_configENS1_35radix_sort_onesweep_config_selectorIhlEEZZNS1_29radix_sort_onesweep_iterationIS3_Lb0EPhS7_N6thrust23THRUST_200600_302600_NS10device_ptrIlEESB_jNS0_19identity_decomposerENS1_16block_id_wrapperIjLb0EEEEE10hipError_tT1_PNSt15iterator_traitsISG_E10value_typeET2_T3_PNSH_ISM_E10value_typeET4_T5_PSR_SS_PNS1_23onesweep_lookback_stateEbbT6_jjT7_P12ihipStream_tbENKUlT_T0_SG_SL_E_clIS7_S7_PlSB_EEDaSZ_S10_SG_SL_EUlSZ_E_NS1_11comp_targetILNS1_3genE10ELNS1_11target_archE1201ELNS1_3gpuE5ELNS1_3repE0EEENS1_47radix_sort_onesweep_sort_config_static_selectorELNS0_4arch9wavefront6targetE1EEEvSG_,@function
_ZN7rocprim17ROCPRIM_400000_NS6detail17trampoline_kernelINS0_14default_configENS1_35radix_sort_onesweep_config_selectorIhlEEZZNS1_29radix_sort_onesweep_iterationIS3_Lb0EPhS7_N6thrust23THRUST_200600_302600_NS10device_ptrIlEESB_jNS0_19identity_decomposerENS1_16block_id_wrapperIjLb0EEEEE10hipError_tT1_PNSt15iterator_traitsISG_E10value_typeET2_T3_PNSH_ISM_E10value_typeET4_T5_PSR_SS_PNS1_23onesweep_lookback_stateEbbT6_jjT7_P12ihipStream_tbENKUlT_T0_SG_SL_E_clIS7_S7_PlSB_EEDaSZ_S10_SG_SL_EUlSZ_E_NS1_11comp_targetILNS1_3genE10ELNS1_11target_archE1201ELNS1_3gpuE5ELNS1_3repE0EEENS1_47radix_sort_onesweep_sort_config_static_selectorELNS0_4arch9wavefront6targetE1EEEvSG_: ; @_ZN7rocprim17ROCPRIM_400000_NS6detail17trampoline_kernelINS0_14default_configENS1_35radix_sort_onesweep_config_selectorIhlEEZZNS1_29radix_sort_onesweep_iterationIS3_Lb0EPhS7_N6thrust23THRUST_200600_302600_NS10device_ptrIlEESB_jNS0_19identity_decomposerENS1_16block_id_wrapperIjLb0EEEEE10hipError_tT1_PNSt15iterator_traitsISG_E10value_typeET2_T3_PNSH_ISM_E10value_typeET4_T5_PSR_SS_PNS1_23onesweep_lookback_stateEbbT6_jjT7_P12ihipStream_tbENKUlT_T0_SG_SL_E_clIS7_S7_PlSB_EEDaSZ_S10_SG_SL_EUlSZ_E_NS1_11comp_targetILNS1_3genE10ELNS1_11target_archE1201ELNS1_3gpuE5ELNS1_3repE0EEENS1_47radix_sort_onesweep_sort_config_static_selectorELNS0_4arch9wavefront6targetE1EEEvSG_
; %bb.0:
	.section	.rodata,"a",@progbits
	.p2align	6, 0x0
	.amdhsa_kernel _ZN7rocprim17ROCPRIM_400000_NS6detail17trampoline_kernelINS0_14default_configENS1_35radix_sort_onesweep_config_selectorIhlEEZZNS1_29radix_sort_onesweep_iterationIS3_Lb0EPhS7_N6thrust23THRUST_200600_302600_NS10device_ptrIlEESB_jNS0_19identity_decomposerENS1_16block_id_wrapperIjLb0EEEEE10hipError_tT1_PNSt15iterator_traitsISG_E10value_typeET2_T3_PNSH_ISM_E10value_typeET4_T5_PSR_SS_PNS1_23onesweep_lookback_stateEbbT6_jjT7_P12ihipStream_tbENKUlT_T0_SG_SL_E_clIS7_S7_PlSB_EEDaSZ_S10_SG_SL_EUlSZ_E_NS1_11comp_targetILNS1_3genE10ELNS1_11target_archE1201ELNS1_3gpuE5ELNS1_3repE0EEENS1_47radix_sort_onesweep_sort_config_static_selectorELNS0_4arch9wavefront6targetE1EEEvSG_
		.amdhsa_group_segment_fixed_size 0
		.amdhsa_private_segment_fixed_size 0
		.amdhsa_kernarg_size 88
		.amdhsa_user_sgpr_count 6
		.amdhsa_user_sgpr_private_segment_buffer 1
		.amdhsa_user_sgpr_dispatch_ptr 0
		.amdhsa_user_sgpr_queue_ptr 0
		.amdhsa_user_sgpr_kernarg_segment_ptr 1
		.amdhsa_user_sgpr_dispatch_id 0
		.amdhsa_user_sgpr_flat_scratch_init 0
		.amdhsa_user_sgpr_kernarg_preload_length 0
		.amdhsa_user_sgpr_kernarg_preload_offset 0
		.amdhsa_user_sgpr_private_segment_size 0
		.amdhsa_uses_dynamic_stack 0
		.amdhsa_system_sgpr_private_segment_wavefront_offset 0
		.amdhsa_system_sgpr_workgroup_id_x 1
		.amdhsa_system_sgpr_workgroup_id_y 0
		.amdhsa_system_sgpr_workgroup_id_z 0
		.amdhsa_system_sgpr_workgroup_info 0
		.amdhsa_system_vgpr_workitem_id 0
		.amdhsa_next_free_vgpr 1
		.amdhsa_next_free_sgpr 0
		.amdhsa_accum_offset 4
		.amdhsa_reserve_vcc 0
		.amdhsa_reserve_flat_scratch 0
		.amdhsa_float_round_mode_32 0
		.amdhsa_float_round_mode_16_64 0
		.amdhsa_float_denorm_mode_32 3
		.amdhsa_float_denorm_mode_16_64 3
		.amdhsa_dx10_clamp 1
		.amdhsa_ieee_mode 1
		.amdhsa_fp16_overflow 0
		.amdhsa_tg_split 0
		.amdhsa_exception_fp_ieee_invalid_op 0
		.amdhsa_exception_fp_denorm_src 0
		.amdhsa_exception_fp_ieee_div_zero 0
		.amdhsa_exception_fp_ieee_overflow 0
		.amdhsa_exception_fp_ieee_underflow 0
		.amdhsa_exception_fp_ieee_inexact 0
		.amdhsa_exception_int_div_zero 0
	.end_amdhsa_kernel
	.section	.text._ZN7rocprim17ROCPRIM_400000_NS6detail17trampoline_kernelINS0_14default_configENS1_35radix_sort_onesweep_config_selectorIhlEEZZNS1_29radix_sort_onesweep_iterationIS3_Lb0EPhS7_N6thrust23THRUST_200600_302600_NS10device_ptrIlEESB_jNS0_19identity_decomposerENS1_16block_id_wrapperIjLb0EEEEE10hipError_tT1_PNSt15iterator_traitsISG_E10value_typeET2_T3_PNSH_ISM_E10value_typeET4_T5_PSR_SS_PNS1_23onesweep_lookback_stateEbbT6_jjT7_P12ihipStream_tbENKUlT_T0_SG_SL_E_clIS7_S7_PlSB_EEDaSZ_S10_SG_SL_EUlSZ_E_NS1_11comp_targetILNS1_3genE10ELNS1_11target_archE1201ELNS1_3gpuE5ELNS1_3repE0EEENS1_47radix_sort_onesweep_sort_config_static_selectorELNS0_4arch9wavefront6targetE1EEEvSG_,"axG",@progbits,_ZN7rocprim17ROCPRIM_400000_NS6detail17trampoline_kernelINS0_14default_configENS1_35radix_sort_onesweep_config_selectorIhlEEZZNS1_29radix_sort_onesweep_iterationIS3_Lb0EPhS7_N6thrust23THRUST_200600_302600_NS10device_ptrIlEESB_jNS0_19identity_decomposerENS1_16block_id_wrapperIjLb0EEEEE10hipError_tT1_PNSt15iterator_traitsISG_E10value_typeET2_T3_PNSH_ISM_E10value_typeET4_T5_PSR_SS_PNS1_23onesweep_lookback_stateEbbT6_jjT7_P12ihipStream_tbENKUlT_T0_SG_SL_E_clIS7_S7_PlSB_EEDaSZ_S10_SG_SL_EUlSZ_E_NS1_11comp_targetILNS1_3genE10ELNS1_11target_archE1201ELNS1_3gpuE5ELNS1_3repE0EEENS1_47radix_sort_onesweep_sort_config_static_selectorELNS0_4arch9wavefront6targetE1EEEvSG_,comdat
.Lfunc_end315:
	.size	_ZN7rocprim17ROCPRIM_400000_NS6detail17trampoline_kernelINS0_14default_configENS1_35radix_sort_onesweep_config_selectorIhlEEZZNS1_29radix_sort_onesweep_iterationIS3_Lb0EPhS7_N6thrust23THRUST_200600_302600_NS10device_ptrIlEESB_jNS0_19identity_decomposerENS1_16block_id_wrapperIjLb0EEEEE10hipError_tT1_PNSt15iterator_traitsISG_E10value_typeET2_T3_PNSH_ISM_E10value_typeET4_T5_PSR_SS_PNS1_23onesweep_lookback_stateEbbT6_jjT7_P12ihipStream_tbENKUlT_T0_SG_SL_E_clIS7_S7_PlSB_EEDaSZ_S10_SG_SL_EUlSZ_E_NS1_11comp_targetILNS1_3genE10ELNS1_11target_archE1201ELNS1_3gpuE5ELNS1_3repE0EEENS1_47radix_sort_onesweep_sort_config_static_selectorELNS0_4arch9wavefront6targetE1EEEvSG_, .Lfunc_end315-_ZN7rocprim17ROCPRIM_400000_NS6detail17trampoline_kernelINS0_14default_configENS1_35radix_sort_onesweep_config_selectorIhlEEZZNS1_29radix_sort_onesweep_iterationIS3_Lb0EPhS7_N6thrust23THRUST_200600_302600_NS10device_ptrIlEESB_jNS0_19identity_decomposerENS1_16block_id_wrapperIjLb0EEEEE10hipError_tT1_PNSt15iterator_traitsISG_E10value_typeET2_T3_PNSH_ISM_E10value_typeET4_T5_PSR_SS_PNS1_23onesweep_lookback_stateEbbT6_jjT7_P12ihipStream_tbENKUlT_T0_SG_SL_E_clIS7_S7_PlSB_EEDaSZ_S10_SG_SL_EUlSZ_E_NS1_11comp_targetILNS1_3genE10ELNS1_11target_archE1201ELNS1_3gpuE5ELNS1_3repE0EEENS1_47radix_sort_onesweep_sort_config_static_selectorELNS0_4arch9wavefront6targetE1EEEvSG_
                                        ; -- End function
	.section	.AMDGPU.csdata,"",@progbits
; Kernel info:
; codeLenInByte = 0
; NumSgprs: 4
; NumVgprs: 0
; NumAgprs: 0
; TotalNumVgprs: 0
; ScratchSize: 0
; MemoryBound: 0
; FloatMode: 240
; IeeeMode: 1
; LDSByteSize: 0 bytes/workgroup (compile time only)
; SGPRBlocks: 0
; VGPRBlocks: 0
; NumSGPRsForWavesPerEU: 4
; NumVGPRsForWavesPerEU: 1
; AccumOffset: 4
; Occupancy: 8
; WaveLimiterHint : 0
; COMPUTE_PGM_RSRC2:SCRATCH_EN: 0
; COMPUTE_PGM_RSRC2:USER_SGPR: 6
; COMPUTE_PGM_RSRC2:TRAP_HANDLER: 0
; COMPUTE_PGM_RSRC2:TGID_X_EN: 1
; COMPUTE_PGM_RSRC2:TGID_Y_EN: 0
; COMPUTE_PGM_RSRC2:TGID_Z_EN: 0
; COMPUTE_PGM_RSRC2:TIDIG_COMP_CNT: 0
; COMPUTE_PGM_RSRC3_GFX90A:ACCUM_OFFSET: 0
; COMPUTE_PGM_RSRC3_GFX90A:TG_SPLIT: 0
	.section	.text._ZN7rocprim17ROCPRIM_400000_NS6detail17trampoline_kernelINS0_14default_configENS1_35radix_sort_onesweep_config_selectorIhlEEZZNS1_29radix_sort_onesweep_iterationIS3_Lb0EPhS7_N6thrust23THRUST_200600_302600_NS10device_ptrIlEESB_jNS0_19identity_decomposerENS1_16block_id_wrapperIjLb0EEEEE10hipError_tT1_PNSt15iterator_traitsISG_E10value_typeET2_T3_PNSH_ISM_E10value_typeET4_T5_PSR_SS_PNS1_23onesweep_lookback_stateEbbT6_jjT7_P12ihipStream_tbENKUlT_T0_SG_SL_E_clIS7_S7_PlSB_EEDaSZ_S10_SG_SL_EUlSZ_E_NS1_11comp_targetILNS1_3genE9ELNS1_11target_archE1100ELNS1_3gpuE3ELNS1_3repE0EEENS1_47radix_sort_onesweep_sort_config_static_selectorELNS0_4arch9wavefront6targetE1EEEvSG_,"axG",@progbits,_ZN7rocprim17ROCPRIM_400000_NS6detail17trampoline_kernelINS0_14default_configENS1_35radix_sort_onesweep_config_selectorIhlEEZZNS1_29radix_sort_onesweep_iterationIS3_Lb0EPhS7_N6thrust23THRUST_200600_302600_NS10device_ptrIlEESB_jNS0_19identity_decomposerENS1_16block_id_wrapperIjLb0EEEEE10hipError_tT1_PNSt15iterator_traitsISG_E10value_typeET2_T3_PNSH_ISM_E10value_typeET4_T5_PSR_SS_PNS1_23onesweep_lookback_stateEbbT6_jjT7_P12ihipStream_tbENKUlT_T0_SG_SL_E_clIS7_S7_PlSB_EEDaSZ_S10_SG_SL_EUlSZ_E_NS1_11comp_targetILNS1_3genE9ELNS1_11target_archE1100ELNS1_3gpuE3ELNS1_3repE0EEENS1_47radix_sort_onesweep_sort_config_static_selectorELNS0_4arch9wavefront6targetE1EEEvSG_,comdat
	.protected	_ZN7rocprim17ROCPRIM_400000_NS6detail17trampoline_kernelINS0_14default_configENS1_35radix_sort_onesweep_config_selectorIhlEEZZNS1_29radix_sort_onesweep_iterationIS3_Lb0EPhS7_N6thrust23THRUST_200600_302600_NS10device_ptrIlEESB_jNS0_19identity_decomposerENS1_16block_id_wrapperIjLb0EEEEE10hipError_tT1_PNSt15iterator_traitsISG_E10value_typeET2_T3_PNSH_ISM_E10value_typeET4_T5_PSR_SS_PNS1_23onesweep_lookback_stateEbbT6_jjT7_P12ihipStream_tbENKUlT_T0_SG_SL_E_clIS7_S7_PlSB_EEDaSZ_S10_SG_SL_EUlSZ_E_NS1_11comp_targetILNS1_3genE9ELNS1_11target_archE1100ELNS1_3gpuE3ELNS1_3repE0EEENS1_47radix_sort_onesweep_sort_config_static_selectorELNS0_4arch9wavefront6targetE1EEEvSG_ ; -- Begin function _ZN7rocprim17ROCPRIM_400000_NS6detail17trampoline_kernelINS0_14default_configENS1_35radix_sort_onesweep_config_selectorIhlEEZZNS1_29radix_sort_onesweep_iterationIS3_Lb0EPhS7_N6thrust23THRUST_200600_302600_NS10device_ptrIlEESB_jNS0_19identity_decomposerENS1_16block_id_wrapperIjLb0EEEEE10hipError_tT1_PNSt15iterator_traitsISG_E10value_typeET2_T3_PNSH_ISM_E10value_typeET4_T5_PSR_SS_PNS1_23onesweep_lookback_stateEbbT6_jjT7_P12ihipStream_tbENKUlT_T0_SG_SL_E_clIS7_S7_PlSB_EEDaSZ_S10_SG_SL_EUlSZ_E_NS1_11comp_targetILNS1_3genE9ELNS1_11target_archE1100ELNS1_3gpuE3ELNS1_3repE0EEENS1_47radix_sort_onesweep_sort_config_static_selectorELNS0_4arch9wavefront6targetE1EEEvSG_
	.globl	_ZN7rocprim17ROCPRIM_400000_NS6detail17trampoline_kernelINS0_14default_configENS1_35radix_sort_onesweep_config_selectorIhlEEZZNS1_29radix_sort_onesweep_iterationIS3_Lb0EPhS7_N6thrust23THRUST_200600_302600_NS10device_ptrIlEESB_jNS0_19identity_decomposerENS1_16block_id_wrapperIjLb0EEEEE10hipError_tT1_PNSt15iterator_traitsISG_E10value_typeET2_T3_PNSH_ISM_E10value_typeET4_T5_PSR_SS_PNS1_23onesweep_lookback_stateEbbT6_jjT7_P12ihipStream_tbENKUlT_T0_SG_SL_E_clIS7_S7_PlSB_EEDaSZ_S10_SG_SL_EUlSZ_E_NS1_11comp_targetILNS1_3genE9ELNS1_11target_archE1100ELNS1_3gpuE3ELNS1_3repE0EEENS1_47radix_sort_onesweep_sort_config_static_selectorELNS0_4arch9wavefront6targetE1EEEvSG_
	.p2align	8
	.type	_ZN7rocprim17ROCPRIM_400000_NS6detail17trampoline_kernelINS0_14default_configENS1_35radix_sort_onesweep_config_selectorIhlEEZZNS1_29radix_sort_onesweep_iterationIS3_Lb0EPhS7_N6thrust23THRUST_200600_302600_NS10device_ptrIlEESB_jNS0_19identity_decomposerENS1_16block_id_wrapperIjLb0EEEEE10hipError_tT1_PNSt15iterator_traitsISG_E10value_typeET2_T3_PNSH_ISM_E10value_typeET4_T5_PSR_SS_PNS1_23onesweep_lookback_stateEbbT6_jjT7_P12ihipStream_tbENKUlT_T0_SG_SL_E_clIS7_S7_PlSB_EEDaSZ_S10_SG_SL_EUlSZ_E_NS1_11comp_targetILNS1_3genE9ELNS1_11target_archE1100ELNS1_3gpuE3ELNS1_3repE0EEENS1_47radix_sort_onesweep_sort_config_static_selectorELNS0_4arch9wavefront6targetE1EEEvSG_,@function
_ZN7rocprim17ROCPRIM_400000_NS6detail17trampoline_kernelINS0_14default_configENS1_35radix_sort_onesweep_config_selectorIhlEEZZNS1_29radix_sort_onesweep_iterationIS3_Lb0EPhS7_N6thrust23THRUST_200600_302600_NS10device_ptrIlEESB_jNS0_19identity_decomposerENS1_16block_id_wrapperIjLb0EEEEE10hipError_tT1_PNSt15iterator_traitsISG_E10value_typeET2_T3_PNSH_ISM_E10value_typeET4_T5_PSR_SS_PNS1_23onesweep_lookback_stateEbbT6_jjT7_P12ihipStream_tbENKUlT_T0_SG_SL_E_clIS7_S7_PlSB_EEDaSZ_S10_SG_SL_EUlSZ_E_NS1_11comp_targetILNS1_3genE9ELNS1_11target_archE1100ELNS1_3gpuE3ELNS1_3repE0EEENS1_47radix_sort_onesweep_sort_config_static_selectorELNS0_4arch9wavefront6targetE1EEEvSG_: ; @_ZN7rocprim17ROCPRIM_400000_NS6detail17trampoline_kernelINS0_14default_configENS1_35radix_sort_onesweep_config_selectorIhlEEZZNS1_29radix_sort_onesweep_iterationIS3_Lb0EPhS7_N6thrust23THRUST_200600_302600_NS10device_ptrIlEESB_jNS0_19identity_decomposerENS1_16block_id_wrapperIjLb0EEEEE10hipError_tT1_PNSt15iterator_traitsISG_E10value_typeET2_T3_PNSH_ISM_E10value_typeET4_T5_PSR_SS_PNS1_23onesweep_lookback_stateEbbT6_jjT7_P12ihipStream_tbENKUlT_T0_SG_SL_E_clIS7_S7_PlSB_EEDaSZ_S10_SG_SL_EUlSZ_E_NS1_11comp_targetILNS1_3genE9ELNS1_11target_archE1100ELNS1_3gpuE3ELNS1_3repE0EEENS1_47radix_sort_onesweep_sort_config_static_selectorELNS0_4arch9wavefront6targetE1EEEvSG_
; %bb.0:
	.section	.rodata,"a",@progbits
	.p2align	6, 0x0
	.amdhsa_kernel _ZN7rocprim17ROCPRIM_400000_NS6detail17trampoline_kernelINS0_14default_configENS1_35radix_sort_onesweep_config_selectorIhlEEZZNS1_29radix_sort_onesweep_iterationIS3_Lb0EPhS7_N6thrust23THRUST_200600_302600_NS10device_ptrIlEESB_jNS0_19identity_decomposerENS1_16block_id_wrapperIjLb0EEEEE10hipError_tT1_PNSt15iterator_traitsISG_E10value_typeET2_T3_PNSH_ISM_E10value_typeET4_T5_PSR_SS_PNS1_23onesweep_lookback_stateEbbT6_jjT7_P12ihipStream_tbENKUlT_T0_SG_SL_E_clIS7_S7_PlSB_EEDaSZ_S10_SG_SL_EUlSZ_E_NS1_11comp_targetILNS1_3genE9ELNS1_11target_archE1100ELNS1_3gpuE3ELNS1_3repE0EEENS1_47radix_sort_onesweep_sort_config_static_selectorELNS0_4arch9wavefront6targetE1EEEvSG_
		.amdhsa_group_segment_fixed_size 0
		.amdhsa_private_segment_fixed_size 0
		.amdhsa_kernarg_size 88
		.amdhsa_user_sgpr_count 6
		.amdhsa_user_sgpr_private_segment_buffer 1
		.amdhsa_user_sgpr_dispatch_ptr 0
		.amdhsa_user_sgpr_queue_ptr 0
		.amdhsa_user_sgpr_kernarg_segment_ptr 1
		.amdhsa_user_sgpr_dispatch_id 0
		.amdhsa_user_sgpr_flat_scratch_init 0
		.amdhsa_user_sgpr_kernarg_preload_length 0
		.amdhsa_user_sgpr_kernarg_preload_offset 0
		.amdhsa_user_sgpr_private_segment_size 0
		.amdhsa_uses_dynamic_stack 0
		.amdhsa_system_sgpr_private_segment_wavefront_offset 0
		.amdhsa_system_sgpr_workgroup_id_x 1
		.amdhsa_system_sgpr_workgroup_id_y 0
		.amdhsa_system_sgpr_workgroup_id_z 0
		.amdhsa_system_sgpr_workgroup_info 0
		.amdhsa_system_vgpr_workitem_id 0
		.amdhsa_next_free_vgpr 1
		.amdhsa_next_free_sgpr 0
		.amdhsa_accum_offset 4
		.amdhsa_reserve_vcc 0
		.amdhsa_reserve_flat_scratch 0
		.amdhsa_float_round_mode_32 0
		.amdhsa_float_round_mode_16_64 0
		.amdhsa_float_denorm_mode_32 3
		.amdhsa_float_denorm_mode_16_64 3
		.amdhsa_dx10_clamp 1
		.amdhsa_ieee_mode 1
		.amdhsa_fp16_overflow 0
		.amdhsa_tg_split 0
		.amdhsa_exception_fp_ieee_invalid_op 0
		.amdhsa_exception_fp_denorm_src 0
		.amdhsa_exception_fp_ieee_div_zero 0
		.amdhsa_exception_fp_ieee_overflow 0
		.amdhsa_exception_fp_ieee_underflow 0
		.amdhsa_exception_fp_ieee_inexact 0
		.amdhsa_exception_int_div_zero 0
	.end_amdhsa_kernel
	.section	.text._ZN7rocprim17ROCPRIM_400000_NS6detail17trampoline_kernelINS0_14default_configENS1_35radix_sort_onesweep_config_selectorIhlEEZZNS1_29radix_sort_onesweep_iterationIS3_Lb0EPhS7_N6thrust23THRUST_200600_302600_NS10device_ptrIlEESB_jNS0_19identity_decomposerENS1_16block_id_wrapperIjLb0EEEEE10hipError_tT1_PNSt15iterator_traitsISG_E10value_typeET2_T3_PNSH_ISM_E10value_typeET4_T5_PSR_SS_PNS1_23onesweep_lookback_stateEbbT6_jjT7_P12ihipStream_tbENKUlT_T0_SG_SL_E_clIS7_S7_PlSB_EEDaSZ_S10_SG_SL_EUlSZ_E_NS1_11comp_targetILNS1_3genE9ELNS1_11target_archE1100ELNS1_3gpuE3ELNS1_3repE0EEENS1_47radix_sort_onesweep_sort_config_static_selectorELNS0_4arch9wavefront6targetE1EEEvSG_,"axG",@progbits,_ZN7rocprim17ROCPRIM_400000_NS6detail17trampoline_kernelINS0_14default_configENS1_35radix_sort_onesweep_config_selectorIhlEEZZNS1_29radix_sort_onesweep_iterationIS3_Lb0EPhS7_N6thrust23THRUST_200600_302600_NS10device_ptrIlEESB_jNS0_19identity_decomposerENS1_16block_id_wrapperIjLb0EEEEE10hipError_tT1_PNSt15iterator_traitsISG_E10value_typeET2_T3_PNSH_ISM_E10value_typeET4_T5_PSR_SS_PNS1_23onesweep_lookback_stateEbbT6_jjT7_P12ihipStream_tbENKUlT_T0_SG_SL_E_clIS7_S7_PlSB_EEDaSZ_S10_SG_SL_EUlSZ_E_NS1_11comp_targetILNS1_3genE9ELNS1_11target_archE1100ELNS1_3gpuE3ELNS1_3repE0EEENS1_47radix_sort_onesweep_sort_config_static_selectorELNS0_4arch9wavefront6targetE1EEEvSG_,comdat
.Lfunc_end316:
	.size	_ZN7rocprim17ROCPRIM_400000_NS6detail17trampoline_kernelINS0_14default_configENS1_35radix_sort_onesweep_config_selectorIhlEEZZNS1_29radix_sort_onesweep_iterationIS3_Lb0EPhS7_N6thrust23THRUST_200600_302600_NS10device_ptrIlEESB_jNS0_19identity_decomposerENS1_16block_id_wrapperIjLb0EEEEE10hipError_tT1_PNSt15iterator_traitsISG_E10value_typeET2_T3_PNSH_ISM_E10value_typeET4_T5_PSR_SS_PNS1_23onesweep_lookback_stateEbbT6_jjT7_P12ihipStream_tbENKUlT_T0_SG_SL_E_clIS7_S7_PlSB_EEDaSZ_S10_SG_SL_EUlSZ_E_NS1_11comp_targetILNS1_3genE9ELNS1_11target_archE1100ELNS1_3gpuE3ELNS1_3repE0EEENS1_47radix_sort_onesweep_sort_config_static_selectorELNS0_4arch9wavefront6targetE1EEEvSG_, .Lfunc_end316-_ZN7rocprim17ROCPRIM_400000_NS6detail17trampoline_kernelINS0_14default_configENS1_35radix_sort_onesweep_config_selectorIhlEEZZNS1_29radix_sort_onesweep_iterationIS3_Lb0EPhS7_N6thrust23THRUST_200600_302600_NS10device_ptrIlEESB_jNS0_19identity_decomposerENS1_16block_id_wrapperIjLb0EEEEE10hipError_tT1_PNSt15iterator_traitsISG_E10value_typeET2_T3_PNSH_ISM_E10value_typeET4_T5_PSR_SS_PNS1_23onesweep_lookback_stateEbbT6_jjT7_P12ihipStream_tbENKUlT_T0_SG_SL_E_clIS7_S7_PlSB_EEDaSZ_S10_SG_SL_EUlSZ_E_NS1_11comp_targetILNS1_3genE9ELNS1_11target_archE1100ELNS1_3gpuE3ELNS1_3repE0EEENS1_47radix_sort_onesweep_sort_config_static_selectorELNS0_4arch9wavefront6targetE1EEEvSG_
                                        ; -- End function
	.section	.AMDGPU.csdata,"",@progbits
; Kernel info:
; codeLenInByte = 0
; NumSgprs: 4
; NumVgprs: 0
; NumAgprs: 0
; TotalNumVgprs: 0
; ScratchSize: 0
; MemoryBound: 0
; FloatMode: 240
; IeeeMode: 1
; LDSByteSize: 0 bytes/workgroup (compile time only)
; SGPRBlocks: 0
; VGPRBlocks: 0
; NumSGPRsForWavesPerEU: 4
; NumVGPRsForWavesPerEU: 1
; AccumOffset: 4
; Occupancy: 8
; WaveLimiterHint : 0
; COMPUTE_PGM_RSRC2:SCRATCH_EN: 0
; COMPUTE_PGM_RSRC2:USER_SGPR: 6
; COMPUTE_PGM_RSRC2:TRAP_HANDLER: 0
; COMPUTE_PGM_RSRC2:TGID_X_EN: 1
; COMPUTE_PGM_RSRC2:TGID_Y_EN: 0
; COMPUTE_PGM_RSRC2:TGID_Z_EN: 0
; COMPUTE_PGM_RSRC2:TIDIG_COMP_CNT: 0
; COMPUTE_PGM_RSRC3_GFX90A:ACCUM_OFFSET: 0
; COMPUTE_PGM_RSRC3_GFX90A:TG_SPLIT: 0
	.section	.text._ZN7rocprim17ROCPRIM_400000_NS6detail17trampoline_kernelINS0_14default_configENS1_35radix_sort_onesweep_config_selectorIhlEEZZNS1_29radix_sort_onesweep_iterationIS3_Lb0EPhS7_N6thrust23THRUST_200600_302600_NS10device_ptrIlEESB_jNS0_19identity_decomposerENS1_16block_id_wrapperIjLb0EEEEE10hipError_tT1_PNSt15iterator_traitsISG_E10value_typeET2_T3_PNSH_ISM_E10value_typeET4_T5_PSR_SS_PNS1_23onesweep_lookback_stateEbbT6_jjT7_P12ihipStream_tbENKUlT_T0_SG_SL_E_clIS7_S7_PlSB_EEDaSZ_S10_SG_SL_EUlSZ_E_NS1_11comp_targetILNS1_3genE8ELNS1_11target_archE1030ELNS1_3gpuE2ELNS1_3repE0EEENS1_47radix_sort_onesweep_sort_config_static_selectorELNS0_4arch9wavefront6targetE1EEEvSG_,"axG",@progbits,_ZN7rocprim17ROCPRIM_400000_NS6detail17trampoline_kernelINS0_14default_configENS1_35radix_sort_onesweep_config_selectorIhlEEZZNS1_29radix_sort_onesweep_iterationIS3_Lb0EPhS7_N6thrust23THRUST_200600_302600_NS10device_ptrIlEESB_jNS0_19identity_decomposerENS1_16block_id_wrapperIjLb0EEEEE10hipError_tT1_PNSt15iterator_traitsISG_E10value_typeET2_T3_PNSH_ISM_E10value_typeET4_T5_PSR_SS_PNS1_23onesweep_lookback_stateEbbT6_jjT7_P12ihipStream_tbENKUlT_T0_SG_SL_E_clIS7_S7_PlSB_EEDaSZ_S10_SG_SL_EUlSZ_E_NS1_11comp_targetILNS1_3genE8ELNS1_11target_archE1030ELNS1_3gpuE2ELNS1_3repE0EEENS1_47radix_sort_onesweep_sort_config_static_selectorELNS0_4arch9wavefront6targetE1EEEvSG_,comdat
	.protected	_ZN7rocprim17ROCPRIM_400000_NS6detail17trampoline_kernelINS0_14default_configENS1_35radix_sort_onesweep_config_selectorIhlEEZZNS1_29radix_sort_onesweep_iterationIS3_Lb0EPhS7_N6thrust23THRUST_200600_302600_NS10device_ptrIlEESB_jNS0_19identity_decomposerENS1_16block_id_wrapperIjLb0EEEEE10hipError_tT1_PNSt15iterator_traitsISG_E10value_typeET2_T3_PNSH_ISM_E10value_typeET4_T5_PSR_SS_PNS1_23onesweep_lookback_stateEbbT6_jjT7_P12ihipStream_tbENKUlT_T0_SG_SL_E_clIS7_S7_PlSB_EEDaSZ_S10_SG_SL_EUlSZ_E_NS1_11comp_targetILNS1_3genE8ELNS1_11target_archE1030ELNS1_3gpuE2ELNS1_3repE0EEENS1_47radix_sort_onesweep_sort_config_static_selectorELNS0_4arch9wavefront6targetE1EEEvSG_ ; -- Begin function _ZN7rocprim17ROCPRIM_400000_NS6detail17trampoline_kernelINS0_14default_configENS1_35radix_sort_onesweep_config_selectorIhlEEZZNS1_29radix_sort_onesweep_iterationIS3_Lb0EPhS7_N6thrust23THRUST_200600_302600_NS10device_ptrIlEESB_jNS0_19identity_decomposerENS1_16block_id_wrapperIjLb0EEEEE10hipError_tT1_PNSt15iterator_traitsISG_E10value_typeET2_T3_PNSH_ISM_E10value_typeET4_T5_PSR_SS_PNS1_23onesweep_lookback_stateEbbT6_jjT7_P12ihipStream_tbENKUlT_T0_SG_SL_E_clIS7_S7_PlSB_EEDaSZ_S10_SG_SL_EUlSZ_E_NS1_11comp_targetILNS1_3genE8ELNS1_11target_archE1030ELNS1_3gpuE2ELNS1_3repE0EEENS1_47radix_sort_onesweep_sort_config_static_selectorELNS0_4arch9wavefront6targetE1EEEvSG_
	.globl	_ZN7rocprim17ROCPRIM_400000_NS6detail17trampoline_kernelINS0_14default_configENS1_35radix_sort_onesweep_config_selectorIhlEEZZNS1_29radix_sort_onesweep_iterationIS3_Lb0EPhS7_N6thrust23THRUST_200600_302600_NS10device_ptrIlEESB_jNS0_19identity_decomposerENS1_16block_id_wrapperIjLb0EEEEE10hipError_tT1_PNSt15iterator_traitsISG_E10value_typeET2_T3_PNSH_ISM_E10value_typeET4_T5_PSR_SS_PNS1_23onesweep_lookback_stateEbbT6_jjT7_P12ihipStream_tbENKUlT_T0_SG_SL_E_clIS7_S7_PlSB_EEDaSZ_S10_SG_SL_EUlSZ_E_NS1_11comp_targetILNS1_3genE8ELNS1_11target_archE1030ELNS1_3gpuE2ELNS1_3repE0EEENS1_47radix_sort_onesweep_sort_config_static_selectorELNS0_4arch9wavefront6targetE1EEEvSG_
	.p2align	8
	.type	_ZN7rocprim17ROCPRIM_400000_NS6detail17trampoline_kernelINS0_14default_configENS1_35radix_sort_onesweep_config_selectorIhlEEZZNS1_29radix_sort_onesweep_iterationIS3_Lb0EPhS7_N6thrust23THRUST_200600_302600_NS10device_ptrIlEESB_jNS0_19identity_decomposerENS1_16block_id_wrapperIjLb0EEEEE10hipError_tT1_PNSt15iterator_traitsISG_E10value_typeET2_T3_PNSH_ISM_E10value_typeET4_T5_PSR_SS_PNS1_23onesweep_lookback_stateEbbT6_jjT7_P12ihipStream_tbENKUlT_T0_SG_SL_E_clIS7_S7_PlSB_EEDaSZ_S10_SG_SL_EUlSZ_E_NS1_11comp_targetILNS1_3genE8ELNS1_11target_archE1030ELNS1_3gpuE2ELNS1_3repE0EEENS1_47radix_sort_onesweep_sort_config_static_selectorELNS0_4arch9wavefront6targetE1EEEvSG_,@function
_ZN7rocprim17ROCPRIM_400000_NS6detail17trampoline_kernelINS0_14default_configENS1_35radix_sort_onesweep_config_selectorIhlEEZZNS1_29radix_sort_onesweep_iterationIS3_Lb0EPhS7_N6thrust23THRUST_200600_302600_NS10device_ptrIlEESB_jNS0_19identity_decomposerENS1_16block_id_wrapperIjLb0EEEEE10hipError_tT1_PNSt15iterator_traitsISG_E10value_typeET2_T3_PNSH_ISM_E10value_typeET4_T5_PSR_SS_PNS1_23onesweep_lookback_stateEbbT6_jjT7_P12ihipStream_tbENKUlT_T0_SG_SL_E_clIS7_S7_PlSB_EEDaSZ_S10_SG_SL_EUlSZ_E_NS1_11comp_targetILNS1_3genE8ELNS1_11target_archE1030ELNS1_3gpuE2ELNS1_3repE0EEENS1_47radix_sort_onesweep_sort_config_static_selectorELNS0_4arch9wavefront6targetE1EEEvSG_: ; @_ZN7rocprim17ROCPRIM_400000_NS6detail17trampoline_kernelINS0_14default_configENS1_35radix_sort_onesweep_config_selectorIhlEEZZNS1_29radix_sort_onesweep_iterationIS3_Lb0EPhS7_N6thrust23THRUST_200600_302600_NS10device_ptrIlEESB_jNS0_19identity_decomposerENS1_16block_id_wrapperIjLb0EEEEE10hipError_tT1_PNSt15iterator_traitsISG_E10value_typeET2_T3_PNSH_ISM_E10value_typeET4_T5_PSR_SS_PNS1_23onesweep_lookback_stateEbbT6_jjT7_P12ihipStream_tbENKUlT_T0_SG_SL_E_clIS7_S7_PlSB_EEDaSZ_S10_SG_SL_EUlSZ_E_NS1_11comp_targetILNS1_3genE8ELNS1_11target_archE1030ELNS1_3gpuE2ELNS1_3repE0EEENS1_47radix_sort_onesweep_sort_config_static_selectorELNS0_4arch9wavefront6targetE1EEEvSG_
; %bb.0:
	.section	.rodata,"a",@progbits
	.p2align	6, 0x0
	.amdhsa_kernel _ZN7rocprim17ROCPRIM_400000_NS6detail17trampoline_kernelINS0_14default_configENS1_35radix_sort_onesweep_config_selectorIhlEEZZNS1_29radix_sort_onesweep_iterationIS3_Lb0EPhS7_N6thrust23THRUST_200600_302600_NS10device_ptrIlEESB_jNS0_19identity_decomposerENS1_16block_id_wrapperIjLb0EEEEE10hipError_tT1_PNSt15iterator_traitsISG_E10value_typeET2_T3_PNSH_ISM_E10value_typeET4_T5_PSR_SS_PNS1_23onesweep_lookback_stateEbbT6_jjT7_P12ihipStream_tbENKUlT_T0_SG_SL_E_clIS7_S7_PlSB_EEDaSZ_S10_SG_SL_EUlSZ_E_NS1_11comp_targetILNS1_3genE8ELNS1_11target_archE1030ELNS1_3gpuE2ELNS1_3repE0EEENS1_47radix_sort_onesweep_sort_config_static_selectorELNS0_4arch9wavefront6targetE1EEEvSG_
		.amdhsa_group_segment_fixed_size 0
		.amdhsa_private_segment_fixed_size 0
		.amdhsa_kernarg_size 88
		.amdhsa_user_sgpr_count 6
		.amdhsa_user_sgpr_private_segment_buffer 1
		.amdhsa_user_sgpr_dispatch_ptr 0
		.amdhsa_user_sgpr_queue_ptr 0
		.amdhsa_user_sgpr_kernarg_segment_ptr 1
		.amdhsa_user_sgpr_dispatch_id 0
		.amdhsa_user_sgpr_flat_scratch_init 0
		.amdhsa_user_sgpr_kernarg_preload_length 0
		.amdhsa_user_sgpr_kernarg_preload_offset 0
		.amdhsa_user_sgpr_private_segment_size 0
		.amdhsa_uses_dynamic_stack 0
		.amdhsa_system_sgpr_private_segment_wavefront_offset 0
		.amdhsa_system_sgpr_workgroup_id_x 1
		.amdhsa_system_sgpr_workgroup_id_y 0
		.amdhsa_system_sgpr_workgroup_id_z 0
		.amdhsa_system_sgpr_workgroup_info 0
		.amdhsa_system_vgpr_workitem_id 0
		.amdhsa_next_free_vgpr 1
		.amdhsa_next_free_sgpr 0
		.amdhsa_accum_offset 4
		.amdhsa_reserve_vcc 0
		.amdhsa_reserve_flat_scratch 0
		.amdhsa_float_round_mode_32 0
		.amdhsa_float_round_mode_16_64 0
		.amdhsa_float_denorm_mode_32 3
		.amdhsa_float_denorm_mode_16_64 3
		.amdhsa_dx10_clamp 1
		.amdhsa_ieee_mode 1
		.amdhsa_fp16_overflow 0
		.amdhsa_tg_split 0
		.amdhsa_exception_fp_ieee_invalid_op 0
		.amdhsa_exception_fp_denorm_src 0
		.amdhsa_exception_fp_ieee_div_zero 0
		.amdhsa_exception_fp_ieee_overflow 0
		.amdhsa_exception_fp_ieee_underflow 0
		.amdhsa_exception_fp_ieee_inexact 0
		.amdhsa_exception_int_div_zero 0
	.end_amdhsa_kernel
	.section	.text._ZN7rocprim17ROCPRIM_400000_NS6detail17trampoline_kernelINS0_14default_configENS1_35radix_sort_onesweep_config_selectorIhlEEZZNS1_29radix_sort_onesweep_iterationIS3_Lb0EPhS7_N6thrust23THRUST_200600_302600_NS10device_ptrIlEESB_jNS0_19identity_decomposerENS1_16block_id_wrapperIjLb0EEEEE10hipError_tT1_PNSt15iterator_traitsISG_E10value_typeET2_T3_PNSH_ISM_E10value_typeET4_T5_PSR_SS_PNS1_23onesweep_lookback_stateEbbT6_jjT7_P12ihipStream_tbENKUlT_T0_SG_SL_E_clIS7_S7_PlSB_EEDaSZ_S10_SG_SL_EUlSZ_E_NS1_11comp_targetILNS1_3genE8ELNS1_11target_archE1030ELNS1_3gpuE2ELNS1_3repE0EEENS1_47radix_sort_onesweep_sort_config_static_selectorELNS0_4arch9wavefront6targetE1EEEvSG_,"axG",@progbits,_ZN7rocprim17ROCPRIM_400000_NS6detail17trampoline_kernelINS0_14default_configENS1_35radix_sort_onesweep_config_selectorIhlEEZZNS1_29radix_sort_onesweep_iterationIS3_Lb0EPhS7_N6thrust23THRUST_200600_302600_NS10device_ptrIlEESB_jNS0_19identity_decomposerENS1_16block_id_wrapperIjLb0EEEEE10hipError_tT1_PNSt15iterator_traitsISG_E10value_typeET2_T3_PNSH_ISM_E10value_typeET4_T5_PSR_SS_PNS1_23onesweep_lookback_stateEbbT6_jjT7_P12ihipStream_tbENKUlT_T0_SG_SL_E_clIS7_S7_PlSB_EEDaSZ_S10_SG_SL_EUlSZ_E_NS1_11comp_targetILNS1_3genE8ELNS1_11target_archE1030ELNS1_3gpuE2ELNS1_3repE0EEENS1_47radix_sort_onesweep_sort_config_static_selectorELNS0_4arch9wavefront6targetE1EEEvSG_,comdat
.Lfunc_end317:
	.size	_ZN7rocprim17ROCPRIM_400000_NS6detail17trampoline_kernelINS0_14default_configENS1_35radix_sort_onesweep_config_selectorIhlEEZZNS1_29radix_sort_onesweep_iterationIS3_Lb0EPhS7_N6thrust23THRUST_200600_302600_NS10device_ptrIlEESB_jNS0_19identity_decomposerENS1_16block_id_wrapperIjLb0EEEEE10hipError_tT1_PNSt15iterator_traitsISG_E10value_typeET2_T3_PNSH_ISM_E10value_typeET4_T5_PSR_SS_PNS1_23onesweep_lookback_stateEbbT6_jjT7_P12ihipStream_tbENKUlT_T0_SG_SL_E_clIS7_S7_PlSB_EEDaSZ_S10_SG_SL_EUlSZ_E_NS1_11comp_targetILNS1_3genE8ELNS1_11target_archE1030ELNS1_3gpuE2ELNS1_3repE0EEENS1_47radix_sort_onesweep_sort_config_static_selectorELNS0_4arch9wavefront6targetE1EEEvSG_, .Lfunc_end317-_ZN7rocprim17ROCPRIM_400000_NS6detail17trampoline_kernelINS0_14default_configENS1_35radix_sort_onesweep_config_selectorIhlEEZZNS1_29radix_sort_onesweep_iterationIS3_Lb0EPhS7_N6thrust23THRUST_200600_302600_NS10device_ptrIlEESB_jNS0_19identity_decomposerENS1_16block_id_wrapperIjLb0EEEEE10hipError_tT1_PNSt15iterator_traitsISG_E10value_typeET2_T3_PNSH_ISM_E10value_typeET4_T5_PSR_SS_PNS1_23onesweep_lookback_stateEbbT6_jjT7_P12ihipStream_tbENKUlT_T0_SG_SL_E_clIS7_S7_PlSB_EEDaSZ_S10_SG_SL_EUlSZ_E_NS1_11comp_targetILNS1_3genE8ELNS1_11target_archE1030ELNS1_3gpuE2ELNS1_3repE0EEENS1_47radix_sort_onesweep_sort_config_static_selectorELNS0_4arch9wavefront6targetE1EEEvSG_
                                        ; -- End function
	.section	.AMDGPU.csdata,"",@progbits
; Kernel info:
; codeLenInByte = 0
; NumSgprs: 4
; NumVgprs: 0
; NumAgprs: 0
; TotalNumVgprs: 0
; ScratchSize: 0
; MemoryBound: 0
; FloatMode: 240
; IeeeMode: 1
; LDSByteSize: 0 bytes/workgroup (compile time only)
; SGPRBlocks: 0
; VGPRBlocks: 0
; NumSGPRsForWavesPerEU: 4
; NumVGPRsForWavesPerEU: 1
; AccumOffset: 4
; Occupancy: 8
; WaveLimiterHint : 0
; COMPUTE_PGM_RSRC2:SCRATCH_EN: 0
; COMPUTE_PGM_RSRC2:USER_SGPR: 6
; COMPUTE_PGM_RSRC2:TRAP_HANDLER: 0
; COMPUTE_PGM_RSRC2:TGID_X_EN: 1
; COMPUTE_PGM_RSRC2:TGID_Y_EN: 0
; COMPUTE_PGM_RSRC2:TGID_Z_EN: 0
; COMPUTE_PGM_RSRC2:TIDIG_COMP_CNT: 0
; COMPUTE_PGM_RSRC3_GFX90A:ACCUM_OFFSET: 0
; COMPUTE_PGM_RSRC3_GFX90A:TG_SPLIT: 0
	.section	.text._ZN7rocprim17ROCPRIM_400000_NS6detail17trampoline_kernelINS0_14default_configENS1_22reduce_config_selectorIiEEZNS1_11reduce_implILb1ES3_PiS7_iN6thrust23THRUST_200600_302600_NS4plusIiEEEE10hipError_tPvRmT1_T2_T3_mT4_P12ihipStream_tbEUlT_E0_NS1_11comp_targetILNS1_3genE0ELNS1_11target_archE4294967295ELNS1_3gpuE0ELNS1_3repE0EEENS1_30default_config_static_selectorELNS0_4arch9wavefront6targetE1EEEvSF_,"axG",@progbits,_ZN7rocprim17ROCPRIM_400000_NS6detail17trampoline_kernelINS0_14default_configENS1_22reduce_config_selectorIiEEZNS1_11reduce_implILb1ES3_PiS7_iN6thrust23THRUST_200600_302600_NS4plusIiEEEE10hipError_tPvRmT1_T2_T3_mT4_P12ihipStream_tbEUlT_E0_NS1_11comp_targetILNS1_3genE0ELNS1_11target_archE4294967295ELNS1_3gpuE0ELNS1_3repE0EEENS1_30default_config_static_selectorELNS0_4arch9wavefront6targetE1EEEvSF_,comdat
	.protected	_ZN7rocprim17ROCPRIM_400000_NS6detail17trampoline_kernelINS0_14default_configENS1_22reduce_config_selectorIiEEZNS1_11reduce_implILb1ES3_PiS7_iN6thrust23THRUST_200600_302600_NS4plusIiEEEE10hipError_tPvRmT1_T2_T3_mT4_P12ihipStream_tbEUlT_E0_NS1_11comp_targetILNS1_3genE0ELNS1_11target_archE4294967295ELNS1_3gpuE0ELNS1_3repE0EEENS1_30default_config_static_selectorELNS0_4arch9wavefront6targetE1EEEvSF_ ; -- Begin function _ZN7rocprim17ROCPRIM_400000_NS6detail17trampoline_kernelINS0_14default_configENS1_22reduce_config_selectorIiEEZNS1_11reduce_implILb1ES3_PiS7_iN6thrust23THRUST_200600_302600_NS4plusIiEEEE10hipError_tPvRmT1_T2_T3_mT4_P12ihipStream_tbEUlT_E0_NS1_11comp_targetILNS1_3genE0ELNS1_11target_archE4294967295ELNS1_3gpuE0ELNS1_3repE0EEENS1_30default_config_static_selectorELNS0_4arch9wavefront6targetE1EEEvSF_
	.globl	_ZN7rocprim17ROCPRIM_400000_NS6detail17trampoline_kernelINS0_14default_configENS1_22reduce_config_selectorIiEEZNS1_11reduce_implILb1ES3_PiS7_iN6thrust23THRUST_200600_302600_NS4plusIiEEEE10hipError_tPvRmT1_T2_T3_mT4_P12ihipStream_tbEUlT_E0_NS1_11comp_targetILNS1_3genE0ELNS1_11target_archE4294967295ELNS1_3gpuE0ELNS1_3repE0EEENS1_30default_config_static_selectorELNS0_4arch9wavefront6targetE1EEEvSF_
	.p2align	8
	.type	_ZN7rocprim17ROCPRIM_400000_NS6detail17trampoline_kernelINS0_14default_configENS1_22reduce_config_selectorIiEEZNS1_11reduce_implILb1ES3_PiS7_iN6thrust23THRUST_200600_302600_NS4plusIiEEEE10hipError_tPvRmT1_T2_T3_mT4_P12ihipStream_tbEUlT_E0_NS1_11comp_targetILNS1_3genE0ELNS1_11target_archE4294967295ELNS1_3gpuE0ELNS1_3repE0EEENS1_30default_config_static_selectorELNS0_4arch9wavefront6targetE1EEEvSF_,@function
_ZN7rocprim17ROCPRIM_400000_NS6detail17trampoline_kernelINS0_14default_configENS1_22reduce_config_selectorIiEEZNS1_11reduce_implILb1ES3_PiS7_iN6thrust23THRUST_200600_302600_NS4plusIiEEEE10hipError_tPvRmT1_T2_T3_mT4_P12ihipStream_tbEUlT_E0_NS1_11comp_targetILNS1_3genE0ELNS1_11target_archE4294967295ELNS1_3gpuE0ELNS1_3repE0EEENS1_30default_config_static_selectorELNS0_4arch9wavefront6targetE1EEEvSF_: ; @_ZN7rocprim17ROCPRIM_400000_NS6detail17trampoline_kernelINS0_14default_configENS1_22reduce_config_selectorIiEEZNS1_11reduce_implILb1ES3_PiS7_iN6thrust23THRUST_200600_302600_NS4plusIiEEEE10hipError_tPvRmT1_T2_T3_mT4_P12ihipStream_tbEUlT_E0_NS1_11comp_targetILNS1_3genE0ELNS1_11target_archE4294967295ELNS1_3gpuE0ELNS1_3repE0EEENS1_30default_config_static_selectorELNS0_4arch9wavefront6targetE1EEEvSF_
; %bb.0:
	.section	.rodata,"a",@progbits
	.p2align	6, 0x0
	.amdhsa_kernel _ZN7rocprim17ROCPRIM_400000_NS6detail17trampoline_kernelINS0_14default_configENS1_22reduce_config_selectorIiEEZNS1_11reduce_implILb1ES3_PiS7_iN6thrust23THRUST_200600_302600_NS4plusIiEEEE10hipError_tPvRmT1_T2_T3_mT4_P12ihipStream_tbEUlT_E0_NS1_11comp_targetILNS1_3genE0ELNS1_11target_archE4294967295ELNS1_3gpuE0ELNS1_3repE0EEENS1_30default_config_static_selectorELNS0_4arch9wavefront6targetE1EEEvSF_
		.amdhsa_group_segment_fixed_size 0
		.amdhsa_private_segment_fixed_size 0
		.amdhsa_kernarg_size 56
		.amdhsa_user_sgpr_count 6
		.amdhsa_user_sgpr_private_segment_buffer 1
		.amdhsa_user_sgpr_dispatch_ptr 0
		.amdhsa_user_sgpr_queue_ptr 0
		.amdhsa_user_sgpr_kernarg_segment_ptr 1
		.amdhsa_user_sgpr_dispatch_id 0
		.amdhsa_user_sgpr_flat_scratch_init 0
		.amdhsa_user_sgpr_kernarg_preload_length 0
		.amdhsa_user_sgpr_kernarg_preload_offset 0
		.amdhsa_user_sgpr_private_segment_size 0
		.amdhsa_uses_dynamic_stack 0
		.amdhsa_system_sgpr_private_segment_wavefront_offset 0
		.amdhsa_system_sgpr_workgroup_id_x 1
		.amdhsa_system_sgpr_workgroup_id_y 0
		.amdhsa_system_sgpr_workgroup_id_z 0
		.amdhsa_system_sgpr_workgroup_info 0
		.amdhsa_system_vgpr_workitem_id 0
		.amdhsa_next_free_vgpr 1
		.amdhsa_next_free_sgpr 0
		.amdhsa_accum_offset 4
		.amdhsa_reserve_vcc 0
		.amdhsa_reserve_flat_scratch 0
		.amdhsa_float_round_mode_32 0
		.amdhsa_float_round_mode_16_64 0
		.amdhsa_float_denorm_mode_32 3
		.amdhsa_float_denorm_mode_16_64 3
		.amdhsa_dx10_clamp 1
		.amdhsa_ieee_mode 1
		.amdhsa_fp16_overflow 0
		.amdhsa_tg_split 0
		.amdhsa_exception_fp_ieee_invalid_op 0
		.amdhsa_exception_fp_denorm_src 0
		.amdhsa_exception_fp_ieee_div_zero 0
		.amdhsa_exception_fp_ieee_overflow 0
		.amdhsa_exception_fp_ieee_underflow 0
		.amdhsa_exception_fp_ieee_inexact 0
		.amdhsa_exception_int_div_zero 0
	.end_amdhsa_kernel
	.section	.text._ZN7rocprim17ROCPRIM_400000_NS6detail17trampoline_kernelINS0_14default_configENS1_22reduce_config_selectorIiEEZNS1_11reduce_implILb1ES3_PiS7_iN6thrust23THRUST_200600_302600_NS4plusIiEEEE10hipError_tPvRmT1_T2_T3_mT4_P12ihipStream_tbEUlT_E0_NS1_11comp_targetILNS1_3genE0ELNS1_11target_archE4294967295ELNS1_3gpuE0ELNS1_3repE0EEENS1_30default_config_static_selectorELNS0_4arch9wavefront6targetE1EEEvSF_,"axG",@progbits,_ZN7rocprim17ROCPRIM_400000_NS6detail17trampoline_kernelINS0_14default_configENS1_22reduce_config_selectorIiEEZNS1_11reduce_implILb1ES3_PiS7_iN6thrust23THRUST_200600_302600_NS4plusIiEEEE10hipError_tPvRmT1_T2_T3_mT4_P12ihipStream_tbEUlT_E0_NS1_11comp_targetILNS1_3genE0ELNS1_11target_archE4294967295ELNS1_3gpuE0ELNS1_3repE0EEENS1_30default_config_static_selectorELNS0_4arch9wavefront6targetE1EEEvSF_,comdat
.Lfunc_end318:
	.size	_ZN7rocprim17ROCPRIM_400000_NS6detail17trampoline_kernelINS0_14default_configENS1_22reduce_config_selectorIiEEZNS1_11reduce_implILb1ES3_PiS7_iN6thrust23THRUST_200600_302600_NS4plusIiEEEE10hipError_tPvRmT1_T2_T3_mT4_P12ihipStream_tbEUlT_E0_NS1_11comp_targetILNS1_3genE0ELNS1_11target_archE4294967295ELNS1_3gpuE0ELNS1_3repE0EEENS1_30default_config_static_selectorELNS0_4arch9wavefront6targetE1EEEvSF_, .Lfunc_end318-_ZN7rocprim17ROCPRIM_400000_NS6detail17trampoline_kernelINS0_14default_configENS1_22reduce_config_selectorIiEEZNS1_11reduce_implILb1ES3_PiS7_iN6thrust23THRUST_200600_302600_NS4plusIiEEEE10hipError_tPvRmT1_T2_T3_mT4_P12ihipStream_tbEUlT_E0_NS1_11comp_targetILNS1_3genE0ELNS1_11target_archE4294967295ELNS1_3gpuE0ELNS1_3repE0EEENS1_30default_config_static_selectorELNS0_4arch9wavefront6targetE1EEEvSF_
                                        ; -- End function
	.section	.AMDGPU.csdata,"",@progbits
; Kernel info:
; codeLenInByte = 0
; NumSgprs: 4
; NumVgprs: 0
; NumAgprs: 0
; TotalNumVgprs: 0
; ScratchSize: 0
; MemoryBound: 0
; FloatMode: 240
; IeeeMode: 1
; LDSByteSize: 0 bytes/workgroup (compile time only)
; SGPRBlocks: 0
; VGPRBlocks: 0
; NumSGPRsForWavesPerEU: 4
; NumVGPRsForWavesPerEU: 1
; AccumOffset: 4
; Occupancy: 8
; WaveLimiterHint : 0
; COMPUTE_PGM_RSRC2:SCRATCH_EN: 0
; COMPUTE_PGM_RSRC2:USER_SGPR: 6
; COMPUTE_PGM_RSRC2:TRAP_HANDLER: 0
; COMPUTE_PGM_RSRC2:TGID_X_EN: 1
; COMPUTE_PGM_RSRC2:TGID_Y_EN: 0
; COMPUTE_PGM_RSRC2:TGID_Z_EN: 0
; COMPUTE_PGM_RSRC2:TIDIG_COMP_CNT: 0
; COMPUTE_PGM_RSRC3_GFX90A:ACCUM_OFFSET: 0
; COMPUTE_PGM_RSRC3_GFX90A:TG_SPLIT: 0
	.section	.text._ZN7rocprim17ROCPRIM_400000_NS6detail17trampoline_kernelINS0_14default_configENS1_22reduce_config_selectorIiEEZNS1_11reduce_implILb1ES3_PiS7_iN6thrust23THRUST_200600_302600_NS4plusIiEEEE10hipError_tPvRmT1_T2_T3_mT4_P12ihipStream_tbEUlT_E0_NS1_11comp_targetILNS1_3genE5ELNS1_11target_archE942ELNS1_3gpuE9ELNS1_3repE0EEENS1_30default_config_static_selectorELNS0_4arch9wavefront6targetE1EEEvSF_,"axG",@progbits,_ZN7rocprim17ROCPRIM_400000_NS6detail17trampoline_kernelINS0_14default_configENS1_22reduce_config_selectorIiEEZNS1_11reduce_implILb1ES3_PiS7_iN6thrust23THRUST_200600_302600_NS4plusIiEEEE10hipError_tPvRmT1_T2_T3_mT4_P12ihipStream_tbEUlT_E0_NS1_11comp_targetILNS1_3genE5ELNS1_11target_archE942ELNS1_3gpuE9ELNS1_3repE0EEENS1_30default_config_static_selectorELNS0_4arch9wavefront6targetE1EEEvSF_,comdat
	.protected	_ZN7rocprim17ROCPRIM_400000_NS6detail17trampoline_kernelINS0_14default_configENS1_22reduce_config_selectorIiEEZNS1_11reduce_implILb1ES3_PiS7_iN6thrust23THRUST_200600_302600_NS4plusIiEEEE10hipError_tPvRmT1_T2_T3_mT4_P12ihipStream_tbEUlT_E0_NS1_11comp_targetILNS1_3genE5ELNS1_11target_archE942ELNS1_3gpuE9ELNS1_3repE0EEENS1_30default_config_static_selectorELNS0_4arch9wavefront6targetE1EEEvSF_ ; -- Begin function _ZN7rocprim17ROCPRIM_400000_NS6detail17trampoline_kernelINS0_14default_configENS1_22reduce_config_selectorIiEEZNS1_11reduce_implILb1ES3_PiS7_iN6thrust23THRUST_200600_302600_NS4plusIiEEEE10hipError_tPvRmT1_T2_T3_mT4_P12ihipStream_tbEUlT_E0_NS1_11comp_targetILNS1_3genE5ELNS1_11target_archE942ELNS1_3gpuE9ELNS1_3repE0EEENS1_30default_config_static_selectorELNS0_4arch9wavefront6targetE1EEEvSF_
	.globl	_ZN7rocprim17ROCPRIM_400000_NS6detail17trampoline_kernelINS0_14default_configENS1_22reduce_config_selectorIiEEZNS1_11reduce_implILb1ES3_PiS7_iN6thrust23THRUST_200600_302600_NS4plusIiEEEE10hipError_tPvRmT1_T2_T3_mT4_P12ihipStream_tbEUlT_E0_NS1_11comp_targetILNS1_3genE5ELNS1_11target_archE942ELNS1_3gpuE9ELNS1_3repE0EEENS1_30default_config_static_selectorELNS0_4arch9wavefront6targetE1EEEvSF_
	.p2align	8
	.type	_ZN7rocprim17ROCPRIM_400000_NS6detail17trampoline_kernelINS0_14default_configENS1_22reduce_config_selectorIiEEZNS1_11reduce_implILb1ES3_PiS7_iN6thrust23THRUST_200600_302600_NS4plusIiEEEE10hipError_tPvRmT1_T2_T3_mT4_P12ihipStream_tbEUlT_E0_NS1_11comp_targetILNS1_3genE5ELNS1_11target_archE942ELNS1_3gpuE9ELNS1_3repE0EEENS1_30default_config_static_selectorELNS0_4arch9wavefront6targetE1EEEvSF_,@function
_ZN7rocprim17ROCPRIM_400000_NS6detail17trampoline_kernelINS0_14default_configENS1_22reduce_config_selectorIiEEZNS1_11reduce_implILb1ES3_PiS7_iN6thrust23THRUST_200600_302600_NS4plusIiEEEE10hipError_tPvRmT1_T2_T3_mT4_P12ihipStream_tbEUlT_E0_NS1_11comp_targetILNS1_3genE5ELNS1_11target_archE942ELNS1_3gpuE9ELNS1_3repE0EEENS1_30default_config_static_selectorELNS0_4arch9wavefront6targetE1EEEvSF_: ; @_ZN7rocprim17ROCPRIM_400000_NS6detail17trampoline_kernelINS0_14default_configENS1_22reduce_config_selectorIiEEZNS1_11reduce_implILb1ES3_PiS7_iN6thrust23THRUST_200600_302600_NS4plusIiEEEE10hipError_tPvRmT1_T2_T3_mT4_P12ihipStream_tbEUlT_E0_NS1_11comp_targetILNS1_3genE5ELNS1_11target_archE942ELNS1_3gpuE9ELNS1_3repE0EEENS1_30default_config_static_selectorELNS0_4arch9wavefront6targetE1EEEvSF_
; %bb.0:
	.section	.rodata,"a",@progbits
	.p2align	6, 0x0
	.amdhsa_kernel _ZN7rocprim17ROCPRIM_400000_NS6detail17trampoline_kernelINS0_14default_configENS1_22reduce_config_selectorIiEEZNS1_11reduce_implILb1ES3_PiS7_iN6thrust23THRUST_200600_302600_NS4plusIiEEEE10hipError_tPvRmT1_T2_T3_mT4_P12ihipStream_tbEUlT_E0_NS1_11comp_targetILNS1_3genE5ELNS1_11target_archE942ELNS1_3gpuE9ELNS1_3repE0EEENS1_30default_config_static_selectorELNS0_4arch9wavefront6targetE1EEEvSF_
		.amdhsa_group_segment_fixed_size 0
		.amdhsa_private_segment_fixed_size 0
		.amdhsa_kernarg_size 56
		.amdhsa_user_sgpr_count 6
		.amdhsa_user_sgpr_private_segment_buffer 1
		.amdhsa_user_sgpr_dispatch_ptr 0
		.amdhsa_user_sgpr_queue_ptr 0
		.amdhsa_user_sgpr_kernarg_segment_ptr 1
		.amdhsa_user_sgpr_dispatch_id 0
		.amdhsa_user_sgpr_flat_scratch_init 0
		.amdhsa_user_sgpr_kernarg_preload_length 0
		.amdhsa_user_sgpr_kernarg_preload_offset 0
		.amdhsa_user_sgpr_private_segment_size 0
		.amdhsa_uses_dynamic_stack 0
		.amdhsa_system_sgpr_private_segment_wavefront_offset 0
		.amdhsa_system_sgpr_workgroup_id_x 1
		.amdhsa_system_sgpr_workgroup_id_y 0
		.amdhsa_system_sgpr_workgroup_id_z 0
		.amdhsa_system_sgpr_workgroup_info 0
		.amdhsa_system_vgpr_workitem_id 0
		.amdhsa_next_free_vgpr 1
		.amdhsa_next_free_sgpr 0
		.amdhsa_accum_offset 4
		.amdhsa_reserve_vcc 0
		.amdhsa_reserve_flat_scratch 0
		.amdhsa_float_round_mode_32 0
		.amdhsa_float_round_mode_16_64 0
		.amdhsa_float_denorm_mode_32 3
		.amdhsa_float_denorm_mode_16_64 3
		.amdhsa_dx10_clamp 1
		.amdhsa_ieee_mode 1
		.amdhsa_fp16_overflow 0
		.amdhsa_tg_split 0
		.amdhsa_exception_fp_ieee_invalid_op 0
		.amdhsa_exception_fp_denorm_src 0
		.amdhsa_exception_fp_ieee_div_zero 0
		.amdhsa_exception_fp_ieee_overflow 0
		.amdhsa_exception_fp_ieee_underflow 0
		.amdhsa_exception_fp_ieee_inexact 0
		.amdhsa_exception_int_div_zero 0
	.end_amdhsa_kernel
	.section	.text._ZN7rocprim17ROCPRIM_400000_NS6detail17trampoline_kernelINS0_14default_configENS1_22reduce_config_selectorIiEEZNS1_11reduce_implILb1ES3_PiS7_iN6thrust23THRUST_200600_302600_NS4plusIiEEEE10hipError_tPvRmT1_T2_T3_mT4_P12ihipStream_tbEUlT_E0_NS1_11comp_targetILNS1_3genE5ELNS1_11target_archE942ELNS1_3gpuE9ELNS1_3repE0EEENS1_30default_config_static_selectorELNS0_4arch9wavefront6targetE1EEEvSF_,"axG",@progbits,_ZN7rocprim17ROCPRIM_400000_NS6detail17trampoline_kernelINS0_14default_configENS1_22reduce_config_selectorIiEEZNS1_11reduce_implILb1ES3_PiS7_iN6thrust23THRUST_200600_302600_NS4plusIiEEEE10hipError_tPvRmT1_T2_T3_mT4_P12ihipStream_tbEUlT_E0_NS1_11comp_targetILNS1_3genE5ELNS1_11target_archE942ELNS1_3gpuE9ELNS1_3repE0EEENS1_30default_config_static_selectorELNS0_4arch9wavefront6targetE1EEEvSF_,comdat
.Lfunc_end319:
	.size	_ZN7rocprim17ROCPRIM_400000_NS6detail17trampoline_kernelINS0_14default_configENS1_22reduce_config_selectorIiEEZNS1_11reduce_implILb1ES3_PiS7_iN6thrust23THRUST_200600_302600_NS4plusIiEEEE10hipError_tPvRmT1_T2_T3_mT4_P12ihipStream_tbEUlT_E0_NS1_11comp_targetILNS1_3genE5ELNS1_11target_archE942ELNS1_3gpuE9ELNS1_3repE0EEENS1_30default_config_static_selectorELNS0_4arch9wavefront6targetE1EEEvSF_, .Lfunc_end319-_ZN7rocprim17ROCPRIM_400000_NS6detail17trampoline_kernelINS0_14default_configENS1_22reduce_config_selectorIiEEZNS1_11reduce_implILb1ES3_PiS7_iN6thrust23THRUST_200600_302600_NS4plusIiEEEE10hipError_tPvRmT1_T2_T3_mT4_P12ihipStream_tbEUlT_E0_NS1_11comp_targetILNS1_3genE5ELNS1_11target_archE942ELNS1_3gpuE9ELNS1_3repE0EEENS1_30default_config_static_selectorELNS0_4arch9wavefront6targetE1EEEvSF_
                                        ; -- End function
	.section	.AMDGPU.csdata,"",@progbits
; Kernel info:
; codeLenInByte = 0
; NumSgprs: 4
; NumVgprs: 0
; NumAgprs: 0
; TotalNumVgprs: 0
; ScratchSize: 0
; MemoryBound: 0
; FloatMode: 240
; IeeeMode: 1
; LDSByteSize: 0 bytes/workgroup (compile time only)
; SGPRBlocks: 0
; VGPRBlocks: 0
; NumSGPRsForWavesPerEU: 4
; NumVGPRsForWavesPerEU: 1
; AccumOffset: 4
; Occupancy: 8
; WaveLimiterHint : 0
; COMPUTE_PGM_RSRC2:SCRATCH_EN: 0
; COMPUTE_PGM_RSRC2:USER_SGPR: 6
; COMPUTE_PGM_RSRC2:TRAP_HANDLER: 0
; COMPUTE_PGM_RSRC2:TGID_X_EN: 1
; COMPUTE_PGM_RSRC2:TGID_Y_EN: 0
; COMPUTE_PGM_RSRC2:TGID_Z_EN: 0
; COMPUTE_PGM_RSRC2:TIDIG_COMP_CNT: 0
; COMPUTE_PGM_RSRC3_GFX90A:ACCUM_OFFSET: 0
; COMPUTE_PGM_RSRC3_GFX90A:TG_SPLIT: 0
	.section	.text._ZN7rocprim17ROCPRIM_400000_NS6detail17trampoline_kernelINS0_14default_configENS1_22reduce_config_selectorIiEEZNS1_11reduce_implILb1ES3_PiS7_iN6thrust23THRUST_200600_302600_NS4plusIiEEEE10hipError_tPvRmT1_T2_T3_mT4_P12ihipStream_tbEUlT_E0_NS1_11comp_targetILNS1_3genE4ELNS1_11target_archE910ELNS1_3gpuE8ELNS1_3repE0EEENS1_30default_config_static_selectorELNS0_4arch9wavefront6targetE1EEEvSF_,"axG",@progbits,_ZN7rocprim17ROCPRIM_400000_NS6detail17trampoline_kernelINS0_14default_configENS1_22reduce_config_selectorIiEEZNS1_11reduce_implILb1ES3_PiS7_iN6thrust23THRUST_200600_302600_NS4plusIiEEEE10hipError_tPvRmT1_T2_T3_mT4_P12ihipStream_tbEUlT_E0_NS1_11comp_targetILNS1_3genE4ELNS1_11target_archE910ELNS1_3gpuE8ELNS1_3repE0EEENS1_30default_config_static_selectorELNS0_4arch9wavefront6targetE1EEEvSF_,comdat
	.protected	_ZN7rocprim17ROCPRIM_400000_NS6detail17trampoline_kernelINS0_14default_configENS1_22reduce_config_selectorIiEEZNS1_11reduce_implILb1ES3_PiS7_iN6thrust23THRUST_200600_302600_NS4plusIiEEEE10hipError_tPvRmT1_T2_T3_mT4_P12ihipStream_tbEUlT_E0_NS1_11comp_targetILNS1_3genE4ELNS1_11target_archE910ELNS1_3gpuE8ELNS1_3repE0EEENS1_30default_config_static_selectorELNS0_4arch9wavefront6targetE1EEEvSF_ ; -- Begin function _ZN7rocprim17ROCPRIM_400000_NS6detail17trampoline_kernelINS0_14default_configENS1_22reduce_config_selectorIiEEZNS1_11reduce_implILb1ES3_PiS7_iN6thrust23THRUST_200600_302600_NS4plusIiEEEE10hipError_tPvRmT1_T2_T3_mT4_P12ihipStream_tbEUlT_E0_NS1_11comp_targetILNS1_3genE4ELNS1_11target_archE910ELNS1_3gpuE8ELNS1_3repE0EEENS1_30default_config_static_selectorELNS0_4arch9wavefront6targetE1EEEvSF_
	.globl	_ZN7rocprim17ROCPRIM_400000_NS6detail17trampoline_kernelINS0_14default_configENS1_22reduce_config_selectorIiEEZNS1_11reduce_implILb1ES3_PiS7_iN6thrust23THRUST_200600_302600_NS4plusIiEEEE10hipError_tPvRmT1_T2_T3_mT4_P12ihipStream_tbEUlT_E0_NS1_11comp_targetILNS1_3genE4ELNS1_11target_archE910ELNS1_3gpuE8ELNS1_3repE0EEENS1_30default_config_static_selectorELNS0_4arch9wavefront6targetE1EEEvSF_
	.p2align	8
	.type	_ZN7rocprim17ROCPRIM_400000_NS6detail17trampoline_kernelINS0_14default_configENS1_22reduce_config_selectorIiEEZNS1_11reduce_implILb1ES3_PiS7_iN6thrust23THRUST_200600_302600_NS4plusIiEEEE10hipError_tPvRmT1_T2_T3_mT4_P12ihipStream_tbEUlT_E0_NS1_11comp_targetILNS1_3genE4ELNS1_11target_archE910ELNS1_3gpuE8ELNS1_3repE0EEENS1_30default_config_static_selectorELNS0_4arch9wavefront6targetE1EEEvSF_,@function
_ZN7rocprim17ROCPRIM_400000_NS6detail17trampoline_kernelINS0_14default_configENS1_22reduce_config_selectorIiEEZNS1_11reduce_implILb1ES3_PiS7_iN6thrust23THRUST_200600_302600_NS4plusIiEEEE10hipError_tPvRmT1_T2_T3_mT4_P12ihipStream_tbEUlT_E0_NS1_11comp_targetILNS1_3genE4ELNS1_11target_archE910ELNS1_3gpuE8ELNS1_3repE0EEENS1_30default_config_static_selectorELNS0_4arch9wavefront6targetE1EEEvSF_: ; @_ZN7rocprim17ROCPRIM_400000_NS6detail17trampoline_kernelINS0_14default_configENS1_22reduce_config_selectorIiEEZNS1_11reduce_implILb1ES3_PiS7_iN6thrust23THRUST_200600_302600_NS4plusIiEEEE10hipError_tPvRmT1_T2_T3_mT4_P12ihipStream_tbEUlT_E0_NS1_11comp_targetILNS1_3genE4ELNS1_11target_archE910ELNS1_3gpuE8ELNS1_3repE0EEENS1_30default_config_static_selectorELNS0_4arch9wavefront6targetE1EEEvSF_
; %bb.0:
	s_load_dwordx8 s[12:19], s[4:5], 0x0
	s_load_dwordx4 s[20:23], s[4:5], 0x20
	v_lshlrev_b32_e32 v10, 2, v0
	v_mbcnt_lo_u32_b32 v1, -1, 0
	s_waitcnt lgkmcnt(0)
	s_lshl_b64 s[0:1], s[14:15], 2
	s_add_u32 s10, s12, s0
	s_addc_u32 s11, s13, s1
	s_lshl_b32 s0, s6, 10
	s_mov_b32 s1, 0
	s_lshr_b64 s[2:3], s[16:17], 10
	s_lshl_b64 s[8:9], s[0:1], 2
	s_add_u32 s14, s10, s8
	s_mov_b32 s7, s1
	s_addc_u32 s15, s11, s9
	s_cmp_lg_u64 s[2:3], s[6:7]
	s_cbranch_scc0 .LBB320_6
; %bb.1:
	global_load_dword v2, v10, s[14:15]
	global_load_dword v5, v10, s[14:15] offset:512
	global_load_dword v6, v10, s[14:15] offset:1024
	;; [unrolled: 1-line block ×7, first 2 shown]
	v_mbcnt_hi_u32_b32 v3, -1, v1
	v_lshlrev_b32_e32 v4, 2, v3
	v_cmp_eq_u32_e32 vcc, 0, v3
	s_waitcnt vmcnt(6)
	v_add_u32_e32 v2, v5, v2
	v_or_b32_e32 v5, 0xfc, v4
	s_waitcnt vmcnt(4)
	v_add3_u32 v2, v2, v6, v7
	s_waitcnt vmcnt(2)
	v_add3_u32 v2, v2, v8, v9
	s_waitcnt vmcnt(0)
	v_add3_u32 v2, v2, v11, v12
	s_nop 1
	v_add_u32_dpp v2, v2, v2 quad_perm:[1,0,3,2] row_mask:0xf bank_mask:0xf bound_ctrl:1
	s_nop 1
	v_add_u32_dpp v2, v2, v2 quad_perm:[2,3,0,1] row_mask:0xf bank_mask:0xf bound_ctrl:1
	s_nop 1
	v_add_u32_dpp v2, v2, v2 row_ror:4 row_mask:0xf bank_mask:0xf bound_ctrl:1
	s_nop 1
	v_add_u32_dpp v2, v2, v2 row_ror:8 row_mask:0xf bank_mask:0xf bound_ctrl:1
	s_nop 1
	v_add_u32_dpp v2, v2, v2 row_bcast:15 row_mask:0xf bank_mask:0xf bound_ctrl:1
	s_nop 1
	v_add_u32_dpp v2, v2, v2 row_bcast:31 row_mask:0xf bank_mask:0xf bound_ctrl:1
	ds_bpermute_b32 v2, v5, v2
	s_and_saveexec_b64 s[2:3], vcc
	s_cbranch_execz .LBB320_3
; %bb.2:
	v_lshrrev_b32_e32 v5, 4, v0
	v_and_b32_e32 v5, 4, v5
	s_waitcnt lgkmcnt(0)
	ds_write_b32 v5, v2
.LBB320_3:
	s_or_b64 exec, exec, s[2:3]
	v_cmp_gt_u32_e32 vcc, 64, v0
	s_waitcnt lgkmcnt(0)
	s_barrier
	s_and_saveexec_b64 s[2:3], vcc
	s_cbranch_execz .LBB320_5
; %bb.4:
	v_and_b32_e32 v2, 1, v3
	v_lshlrev_b32_e32 v2, 2, v2
	ds_read_b32 v2, v2
	v_or_b32_e32 v3, 4, v4
	s_waitcnt lgkmcnt(0)
	ds_bpermute_b32 v3, v3, v2
	s_waitcnt lgkmcnt(0)
	v_add_u32_e32 v2, v3, v2
.LBB320_5:
	s_or_b64 exec, exec, s[2:3]
	s_load_dword s26, s[4:5], 0x30
	s_branch .LBB320_28
.LBB320_6:
                                        ; implicit-def: $vgpr2
	s_load_dword s26, s[4:5], 0x30
	s_cbranch_execz .LBB320_28
; %bb.7:
	s_sub_i32 s27, s16, s0
	v_cmp_gt_u32_e32 vcc, s27, v0
                                        ; implicit-def: $vgpr2_vgpr3_vgpr4_vgpr5_vgpr6_vgpr7_vgpr8_vgpr9
	s_and_saveexec_b64 s[0:1], vcc
	s_cbranch_execz .LBB320_9
; %bb.8:
	global_load_dword v2, v10, s[14:15]
.LBB320_9:
	s_or_b64 exec, exec, s[0:1]
	v_or_b32_e32 v11, 0x80, v0
	v_cmp_gt_u32_e32 vcc, s27, v11
	s_and_saveexec_b64 s[0:1], vcc
	s_cbranch_execz .LBB320_11
; %bb.10:
	global_load_dword v3, v10, s[14:15] offset:512
.LBB320_11:
	s_or_b64 exec, exec, s[0:1]
	v_or_b32_e32 v11, 0x100, v0
	v_cmp_gt_u32_e64 s[0:1], s27, v11
	s_and_saveexec_b64 s[2:3], s[0:1]
	s_cbranch_execz .LBB320_13
; %bb.12:
	global_load_dword v4, v10, s[14:15] offset:1024
.LBB320_13:
	s_or_b64 exec, exec, s[2:3]
	v_or_b32_e32 v11, 0x180, v0
	v_cmp_gt_u32_e64 s[2:3], s27, v11
	s_and_saveexec_b64 s[4:5], s[2:3]
	;; [unrolled: 8-line block ×6, first 2 shown]
	s_cbranch_execz .LBB320_23
; %bb.22:
	global_load_dword v9, v10, s[14:15] offset:3584
.LBB320_23:
	s_or_b64 exec, exec, s[24:25]
	s_waitcnt vmcnt(0)
	v_cndmask_b32_e32 v3, 0, v3, vcc
	v_add_u32_e32 v2, v3, v2
	v_cndmask_b32_e64 v3, 0, v4, s[0:1]
	v_cndmask_b32_e64 v4, 0, v5, s[2:3]
	v_add3_u32 v2, v2, v3, v4
	v_cndmask_b32_e64 v3, 0, v6, s[4:5]
	v_cndmask_b32_e64 v4, 0, v7, s[8:9]
	v_add3_u32 v2, v2, v3, v4
	v_cndmask_b32_e64 v3, 0, v8, s[10:11]
	v_cndmask_b32_e64 v4, 0, v9, s[12:13]
	v_mbcnt_hi_u32_b32 v1, -1, v1
	v_add3_u32 v2, v2, v3, v4
	v_and_b32_e32 v3, 63, v1
	v_cmp_ne_u32_e32 vcc, 63, v3
	v_addc_co_u32_e32 v4, vcc, 0, v1, vcc
	v_lshlrev_b32_e32 v4, 2, v4
	ds_bpermute_b32 v4, v4, v2
	s_min_u32 s2, s27, 0x80
	v_and_b32_e32 v5, 64, v0
	v_sub_u32_e64 v5, s2, v5 clamp
	v_add_u32_e32 v6, 1, v3
	v_cmp_lt_u32_e32 vcc, v6, v5
	s_waitcnt lgkmcnt(0)
	v_cndmask_b32_e32 v4, 0, v4, vcc
	v_cmp_gt_u32_e32 vcc, 62, v3
	v_add_u32_e32 v2, v2, v4
	v_cndmask_b32_e64 v4, 0, 1, vcc
	v_lshlrev_b32_e32 v4, 1, v4
	v_add_lshl_u32 v4, v4, v1, 2
	ds_bpermute_b32 v4, v4, v2
	v_add_u32_e32 v6, 2, v3
	v_cmp_lt_u32_e32 vcc, v6, v5
	v_add_u32_e32 v6, 4, v3
	s_waitcnt lgkmcnt(0)
	v_cndmask_b32_e32 v4, 0, v4, vcc
	v_cmp_gt_u32_e32 vcc, 60, v3
	v_add_u32_e32 v2, v2, v4
	v_cndmask_b32_e64 v4, 0, 1, vcc
	v_lshlrev_b32_e32 v4, 2, v4
	v_add_lshl_u32 v4, v4, v1, 2
	ds_bpermute_b32 v4, v4, v2
	v_cmp_lt_u32_e32 vcc, v6, v5
	v_add_u32_e32 v6, 8, v3
	s_waitcnt lgkmcnt(0)
	v_cndmask_b32_e32 v4, 0, v4, vcc
	v_cmp_gt_u32_e32 vcc, 56, v3
	v_add_u32_e32 v2, v2, v4
	v_cndmask_b32_e64 v4, 0, 1, vcc
	v_lshlrev_b32_e32 v4, 3, v4
	v_add_lshl_u32 v4, v4, v1, 2
	ds_bpermute_b32 v4, v4, v2
	;; [unrolled: 10-line block ×3, first 2 shown]
	v_cmp_lt_u32_e32 vcc, v6, v5
	s_waitcnt lgkmcnt(0)
	v_cndmask_b32_e32 v4, 0, v4, vcc
	v_cmp_gt_u32_e32 vcc, 32, v3
	v_add_u32_e32 v2, v2, v4
	v_cndmask_b32_e64 v4, 0, 1, vcc
	v_lshlrev_b32_e32 v4, 5, v4
	v_add_lshl_u32 v4, v4, v1, 2
	ds_bpermute_b32 v4, v4, v2
	v_add_u32_e32 v3, 32, v3
	v_cmp_lt_u32_e32 vcc, v3, v5
	s_waitcnt lgkmcnt(0)
	v_cndmask_b32_e32 v3, 0, v4, vcc
	v_add_u32_e32 v2, v2, v3
	v_cmp_eq_u32_e32 vcc, 0, v1
	s_and_saveexec_b64 s[0:1], vcc
	s_cbranch_execz .LBB320_25
; %bb.24:
	v_lshrrev_b32_e32 v3, 4, v0
	v_and_b32_e32 v3, 4, v3
	ds_write_b32 v3, v2 offset:8
.LBB320_25:
	s_or_b64 exec, exec, s[0:1]
	v_cmp_gt_u32_e32 vcc, 2, v0
	s_waitcnt lgkmcnt(0)
	s_barrier
	s_and_saveexec_b64 s[0:1], vcc
	s_cbranch_execz .LBB320_27
; %bb.26:
	v_lshlrev_b32_e32 v2, 2, v1
	ds_read_b32 v3, v2 offset:8
	v_or_b32_e32 v2, 4, v2
	s_add_i32 s2, s2, 63
	v_and_b32_e32 v1, 1, v1
	s_lshr_b32 s2, s2, 6
	s_waitcnt lgkmcnt(0)
	ds_bpermute_b32 v2, v2, v3
	v_add_u32_e32 v1, 1, v1
	v_cmp_gt_u32_e32 vcc, s2, v1
	s_waitcnt lgkmcnt(0)
	v_cndmask_b32_e32 v1, 0, v2, vcc
	v_add_u32_e32 v2, v1, v3
.LBB320_27:
	s_or_b64 exec, exec, s[0:1]
.LBB320_28:
	v_cmp_eq_u32_e32 vcc, 0, v0
	s_and_saveexec_b64 s[0:1], vcc
	s_cbranch_execnz .LBB320_30
; %bb.29:
	s_endpgm
.LBB320_30:
	s_mul_i32 s0, s22, s21
	s_mul_hi_u32 s1, s22, s20
	s_add_i32 s0, s1, s0
	s_mul_i32 s1, s23, s20
	s_add_i32 s1, s0, s1
	s_mul_i32 s0, s22, s20
	s_lshl_b64 s[0:1], s[0:1], 2
	s_add_u32 s2, s18, s0
	s_addc_u32 s3, s19, s1
	s_cmp_eq_u64 s[16:17], 0
	s_cselect_b64 vcc, -1, 0
	s_lshl_b64 s[0:1], s[6:7], 2
	s_waitcnt lgkmcnt(0)
	v_mov_b32_e32 v0, s26
	s_add_u32 s0, s2, s0
	v_cndmask_b32_e32 v0, v2, v0, vcc
	s_addc_u32 s1, s3, s1
	v_mov_b32_e32 v1, 0
	global_store_dword v1, v0, s[0:1]
	s_endpgm
	.section	.rodata,"a",@progbits
	.p2align	6, 0x0
	.amdhsa_kernel _ZN7rocprim17ROCPRIM_400000_NS6detail17trampoline_kernelINS0_14default_configENS1_22reduce_config_selectorIiEEZNS1_11reduce_implILb1ES3_PiS7_iN6thrust23THRUST_200600_302600_NS4plusIiEEEE10hipError_tPvRmT1_T2_T3_mT4_P12ihipStream_tbEUlT_E0_NS1_11comp_targetILNS1_3genE4ELNS1_11target_archE910ELNS1_3gpuE8ELNS1_3repE0EEENS1_30default_config_static_selectorELNS0_4arch9wavefront6targetE1EEEvSF_
		.amdhsa_group_segment_fixed_size 16
		.amdhsa_private_segment_fixed_size 0
		.amdhsa_kernarg_size 56
		.amdhsa_user_sgpr_count 6
		.amdhsa_user_sgpr_private_segment_buffer 1
		.amdhsa_user_sgpr_dispatch_ptr 0
		.amdhsa_user_sgpr_queue_ptr 0
		.amdhsa_user_sgpr_kernarg_segment_ptr 1
		.amdhsa_user_sgpr_dispatch_id 0
		.amdhsa_user_sgpr_flat_scratch_init 0
		.amdhsa_user_sgpr_kernarg_preload_length 0
		.amdhsa_user_sgpr_kernarg_preload_offset 0
		.amdhsa_user_sgpr_private_segment_size 0
		.amdhsa_uses_dynamic_stack 0
		.amdhsa_system_sgpr_private_segment_wavefront_offset 0
		.amdhsa_system_sgpr_workgroup_id_x 1
		.amdhsa_system_sgpr_workgroup_id_y 0
		.amdhsa_system_sgpr_workgroup_id_z 0
		.amdhsa_system_sgpr_workgroup_info 0
		.amdhsa_system_vgpr_workitem_id 0
		.amdhsa_next_free_vgpr 13
		.amdhsa_next_free_sgpr 28
		.amdhsa_accum_offset 16
		.amdhsa_reserve_vcc 1
		.amdhsa_reserve_flat_scratch 0
		.amdhsa_float_round_mode_32 0
		.amdhsa_float_round_mode_16_64 0
		.amdhsa_float_denorm_mode_32 3
		.amdhsa_float_denorm_mode_16_64 3
		.amdhsa_dx10_clamp 1
		.amdhsa_ieee_mode 1
		.amdhsa_fp16_overflow 0
		.amdhsa_tg_split 0
		.amdhsa_exception_fp_ieee_invalid_op 0
		.amdhsa_exception_fp_denorm_src 0
		.amdhsa_exception_fp_ieee_div_zero 0
		.amdhsa_exception_fp_ieee_overflow 0
		.amdhsa_exception_fp_ieee_underflow 0
		.amdhsa_exception_fp_ieee_inexact 0
		.amdhsa_exception_int_div_zero 0
	.end_amdhsa_kernel
	.section	.text._ZN7rocprim17ROCPRIM_400000_NS6detail17trampoline_kernelINS0_14default_configENS1_22reduce_config_selectorIiEEZNS1_11reduce_implILb1ES3_PiS7_iN6thrust23THRUST_200600_302600_NS4plusIiEEEE10hipError_tPvRmT1_T2_T3_mT4_P12ihipStream_tbEUlT_E0_NS1_11comp_targetILNS1_3genE4ELNS1_11target_archE910ELNS1_3gpuE8ELNS1_3repE0EEENS1_30default_config_static_selectorELNS0_4arch9wavefront6targetE1EEEvSF_,"axG",@progbits,_ZN7rocprim17ROCPRIM_400000_NS6detail17trampoline_kernelINS0_14default_configENS1_22reduce_config_selectorIiEEZNS1_11reduce_implILb1ES3_PiS7_iN6thrust23THRUST_200600_302600_NS4plusIiEEEE10hipError_tPvRmT1_T2_T3_mT4_P12ihipStream_tbEUlT_E0_NS1_11comp_targetILNS1_3genE4ELNS1_11target_archE910ELNS1_3gpuE8ELNS1_3repE0EEENS1_30default_config_static_selectorELNS0_4arch9wavefront6targetE1EEEvSF_,comdat
.Lfunc_end320:
	.size	_ZN7rocprim17ROCPRIM_400000_NS6detail17trampoline_kernelINS0_14default_configENS1_22reduce_config_selectorIiEEZNS1_11reduce_implILb1ES3_PiS7_iN6thrust23THRUST_200600_302600_NS4plusIiEEEE10hipError_tPvRmT1_T2_T3_mT4_P12ihipStream_tbEUlT_E0_NS1_11comp_targetILNS1_3genE4ELNS1_11target_archE910ELNS1_3gpuE8ELNS1_3repE0EEENS1_30default_config_static_selectorELNS0_4arch9wavefront6targetE1EEEvSF_, .Lfunc_end320-_ZN7rocprim17ROCPRIM_400000_NS6detail17trampoline_kernelINS0_14default_configENS1_22reduce_config_selectorIiEEZNS1_11reduce_implILb1ES3_PiS7_iN6thrust23THRUST_200600_302600_NS4plusIiEEEE10hipError_tPvRmT1_T2_T3_mT4_P12ihipStream_tbEUlT_E0_NS1_11comp_targetILNS1_3genE4ELNS1_11target_archE910ELNS1_3gpuE8ELNS1_3repE0EEENS1_30default_config_static_selectorELNS0_4arch9wavefront6targetE1EEEvSF_
                                        ; -- End function
	.section	.AMDGPU.csdata,"",@progbits
; Kernel info:
; codeLenInByte = 1320
; NumSgprs: 32
; NumVgprs: 13
; NumAgprs: 0
; TotalNumVgprs: 13
; ScratchSize: 0
; MemoryBound: 0
; FloatMode: 240
; IeeeMode: 1
; LDSByteSize: 16 bytes/workgroup (compile time only)
; SGPRBlocks: 3
; VGPRBlocks: 1
; NumSGPRsForWavesPerEU: 32
; NumVGPRsForWavesPerEU: 13
; AccumOffset: 16
; Occupancy: 8
; WaveLimiterHint : 1
; COMPUTE_PGM_RSRC2:SCRATCH_EN: 0
; COMPUTE_PGM_RSRC2:USER_SGPR: 6
; COMPUTE_PGM_RSRC2:TRAP_HANDLER: 0
; COMPUTE_PGM_RSRC2:TGID_X_EN: 1
; COMPUTE_PGM_RSRC2:TGID_Y_EN: 0
; COMPUTE_PGM_RSRC2:TGID_Z_EN: 0
; COMPUTE_PGM_RSRC2:TIDIG_COMP_CNT: 0
; COMPUTE_PGM_RSRC3_GFX90A:ACCUM_OFFSET: 3
; COMPUTE_PGM_RSRC3_GFX90A:TG_SPLIT: 0
	.section	.text._ZN7rocprim17ROCPRIM_400000_NS6detail17trampoline_kernelINS0_14default_configENS1_22reduce_config_selectorIiEEZNS1_11reduce_implILb1ES3_PiS7_iN6thrust23THRUST_200600_302600_NS4plusIiEEEE10hipError_tPvRmT1_T2_T3_mT4_P12ihipStream_tbEUlT_E0_NS1_11comp_targetILNS1_3genE3ELNS1_11target_archE908ELNS1_3gpuE7ELNS1_3repE0EEENS1_30default_config_static_selectorELNS0_4arch9wavefront6targetE1EEEvSF_,"axG",@progbits,_ZN7rocprim17ROCPRIM_400000_NS6detail17trampoline_kernelINS0_14default_configENS1_22reduce_config_selectorIiEEZNS1_11reduce_implILb1ES3_PiS7_iN6thrust23THRUST_200600_302600_NS4plusIiEEEE10hipError_tPvRmT1_T2_T3_mT4_P12ihipStream_tbEUlT_E0_NS1_11comp_targetILNS1_3genE3ELNS1_11target_archE908ELNS1_3gpuE7ELNS1_3repE0EEENS1_30default_config_static_selectorELNS0_4arch9wavefront6targetE1EEEvSF_,comdat
	.protected	_ZN7rocprim17ROCPRIM_400000_NS6detail17trampoline_kernelINS0_14default_configENS1_22reduce_config_selectorIiEEZNS1_11reduce_implILb1ES3_PiS7_iN6thrust23THRUST_200600_302600_NS4plusIiEEEE10hipError_tPvRmT1_T2_T3_mT4_P12ihipStream_tbEUlT_E0_NS1_11comp_targetILNS1_3genE3ELNS1_11target_archE908ELNS1_3gpuE7ELNS1_3repE0EEENS1_30default_config_static_selectorELNS0_4arch9wavefront6targetE1EEEvSF_ ; -- Begin function _ZN7rocprim17ROCPRIM_400000_NS6detail17trampoline_kernelINS0_14default_configENS1_22reduce_config_selectorIiEEZNS1_11reduce_implILb1ES3_PiS7_iN6thrust23THRUST_200600_302600_NS4plusIiEEEE10hipError_tPvRmT1_T2_T3_mT4_P12ihipStream_tbEUlT_E0_NS1_11comp_targetILNS1_3genE3ELNS1_11target_archE908ELNS1_3gpuE7ELNS1_3repE0EEENS1_30default_config_static_selectorELNS0_4arch9wavefront6targetE1EEEvSF_
	.globl	_ZN7rocprim17ROCPRIM_400000_NS6detail17trampoline_kernelINS0_14default_configENS1_22reduce_config_selectorIiEEZNS1_11reduce_implILb1ES3_PiS7_iN6thrust23THRUST_200600_302600_NS4plusIiEEEE10hipError_tPvRmT1_T2_T3_mT4_P12ihipStream_tbEUlT_E0_NS1_11comp_targetILNS1_3genE3ELNS1_11target_archE908ELNS1_3gpuE7ELNS1_3repE0EEENS1_30default_config_static_selectorELNS0_4arch9wavefront6targetE1EEEvSF_
	.p2align	8
	.type	_ZN7rocprim17ROCPRIM_400000_NS6detail17trampoline_kernelINS0_14default_configENS1_22reduce_config_selectorIiEEZNS1_11reduce_implILb1ES3_PiS7_iN6thrust23THRUST_200600_302600_NS4plusIiEEEE10hipError_tPvRmT1_T2_T3_mT4_P12ihipStream_tbEUlT_E0_NS1_11comp_targetILNS1_3genE3ELNS1_11target_archE908ELNS1_3gpuE7ELNS1_3repE0EEENS1_30default_config_static_selectorELNS0_4arch9wavefront6targetE1EEEvSF_,@function
_ZN7rocprim17ROCPRIM_400000_NS6detail17trampoline_kernelINS0_14default_configENS1_22reduce_config_selectorIiEEZNS1_11reduce_implILb1ES3_PiS7_iN6thrust23THRUST_200600_302600_NS4plusIiEEEE10hipError_tPvRmT1_T2_T3_mT4_P12ihipStream_tbEUlT_E0_NS1_11comp_targetILNS1_3genE3ELNS1_11target_archE908ELNS1_3gpuE7ELNS1_3repE0EEENS1_30default_config_static_selectorELNS0_4arch9wavefront6targetE1EEEvSF_: ; @_ZN7rocprim17ROCPRIM_400000_NS6detail17trampoline_kernelINS0_14default_configENS1_22reduce_config_selectorIiEEZNS1_11reduce_implILb1ES3_PiS7_iN6thrust23THRUST_200600_302600_NS4plusIiEEEE10hipError_tPvRmT1_T2_T3_mT4_P12ihipStream_tbEUlT_E0_NS1_11comp_targetILNS1_3genE3ELNS1_11target_archE908ELNS1_3gpuE7ELNS1_3repE0EEENS1_30default_config_static_selectorELNS0_4arch9wavefront6targetE1EEEvSF_
; %bb.0:
	.section	.rodata,"a",@progbits
	.p2align	6, 0x0
	.amdhsa_kernel _ZN7rocprim17ROCPRIM_400000_NS6detail17trampoline_kernelINS0_14default_configENS1_22reduce_config_selectorIiEEZNS1_11reduce_implILb1ES3_PiS7_iN6thrust23THRUST_200600_302600_NS4plusIiEEEE10hipError_tPvRmT1_T2_T3_mT4_P12ihipStream_tbEUlT_E0_NS1_11comp_targetILNS1_3genE3ELNS1_11target_archE908ELNS1_3gpuE7ELNS1_3repE0EEENS1_30default_config_static_selectorELNS0_4arch9wavefront6targetE1EEEvSF_
		.amdhsa_group_segment_fixed_size 0
		.amdhsa_private_segment_fixed_size 0
		.amdhsa_kernarg_size 56
		.amdhsa_user_sgpr_count 6
		.amdhsa_user_sgpr_private_segment_buffer 1
		.amdhsa_user_sgpr_dispatch_ptr 0
		.amdhsa_user_sgpr_queue_ptr 0
		.amdhsa_user_sgpr_kernarg_segment_ptr 1
		.amdhsa_user_sgpr_dispatch_id 0
		.amdhsa_user_sgpr_flat_scratch_init 0
		.amdhsa_user_sgpr_kernarg_preload_length 0
		.amdhsa_user_sgpr_kernarg_preload_offset 0
		.amdhsa_user_sgpr_private_segment_size 0
		.amdhsa_uses_dynamic_stack 0
		.amdhsa_system_sgpr_private_segment_wavefront_offset 0
		.amdhsa_system_sgpr_workgroup_id_x 1
		.amdhsa_system_sgpr_workgroup_id_y 0
		.amdhsa_system_sgpr_workgroup_id_z 0
		.amdhsa_system_sgpr_workgroup_info 0
		.amdhsa_system_vgpr_workitem_id 0
		.amdhsa_next_free_vgpr 1
		.amdhsa_next_free_sgpr 0
		.amdhsa_accum_offset 4
		.amdhsa_reserve_vcc 0
		.amdhsa_reserve_flat_scratch 0
		.amdhsa_float_round_mode_32 0
		.amdhsa_float_round_mode_16_64 0
		.amdhsa_float_denorm_mode_32 3
		.amdhsa_float_denorm_mode_16_64 3
		.amdhsa_dx10_clamp 1
		.amdhsa_ieee_mode 1
		.amdhsa_fp16_overflow 0
		.amdhsa_tg_split 0
		.amdhsa_exception_fp_ieee_invalid_op 0
		.amdhsa_exception_fp_denorm_src 0
		.amdhsa_exception_fp_ieee_div_zero 0
		.amdhsa_exception_fp_ieee_overflow 0
		.amdhsa_exception_fp_ieee_underflow 0
		.amdhsa_exception_fp_ieee_inexact 0
		.amdhsa_exception_int_div_zero 0
	.end_amdhsa_kernel
	.section	.text._ZN7rocprim17ROCPRIM_400000_NS6detail17trampoline_kernelINS0_14default_configENS1_22reduce_config_selectorIiEEZNS1_11reduce_implILb1ES3_PiS7_iN6thrust23THRUST_200600_302600_NS4plusIiEEEE10hipError_tPvRmT1_T2_T3_mT4_P12ihipStream_tbEUlT_E0_NS1_11comp_targetILNS1_3genE3ELNS1_11target_archE908ELNS1_3gpuE7ELNS1_3repE0EEENS1_30default_config_static_selectorELNS0_4arch9wavefront6targetE1EEEvSF_,"axG",@progbits,_ZN7rocprim17ROCPRIM_400000_NS6detail17trampoline_kernelINS0_14default_configENS1_22reduce_config_selectorIiEEZNS1_11reduce_implILb1ES3_PiS7_iN6thrust23THRUST_200600_302600_NS4plusIiEEEE10hipError_tPvRmT1_T2_T3_mT4_P12ihipStream_tbEUlT_E0_NS1_11comp_targetILNS1_3genE3ELNS1_11target_archE908ELNS1_3gpuE7ELNS1_3repE0EEENS1_30default_config_static_selectorELNS0_4arch9wavefront6targetE1EEEvSF_,comdat
.Lfunc_end321:
	.size	_ZN7rocprim17ROCPRIM_400000_NS6detail17trampoline_kernelINS0_14default_configENS1_22reduce_config_selectorIiEEZNS1_11reduce_implILb1ES3_PiS7_iN6thrust23THRUST_200600_302600_NS4plusIiEEEE10hipError_tPvRmT1_T2_T3_mT4_P12ihipStream_tbEUlT_E0_NS1_11comp_targetILNS1_3genE3ELNS1_11target_archE908ELNS1_3gpuE7ELNS1_3repE0EEENS1_30default_config_static_selectorELNS0_4arch9wavefront6targetE1EEEvSF_, .Lfunc_end321-_ZN7rocprim17ROCPRIM_400000_NS6detail17trampoline_kernelINS0_14default_configENS1_22reduce_config_selectorIiEEZNS1_11reduce_implILb1ES3_PiS7_iN6thrust23THRUST_200600_302600_NS4plusIiEEEE10hipError_tPvRmT1_T2_T3_mT4_P12ihipStream_tbEUlT_E0_NS1_11comp_targetILNS1_3genE3ELNS1_11target_archE908ELNS1_3gpuE7ELNS1_3repE0EEENS1_30default_config_static_selectorELNS0_4arch9wavefront6targetE1EEEvSF_
                                        ; -- End function
	.section	.AMDGPU.csdata,"",@progbits
; Kernel info:
; codeLenInByte = 0
; NumSgprs: 4
; NumVgprs: 0
; NumAgprs: 0
; TotalNumVgprs: 0
; ScratchSize: 0
; MemoryBound: 0
; FloatMode: 240
; IeeeMode: 1
; LDSByteSize: 0 bytes/workgroup (compile time only)
; SGPRBlocks: 0
; VGPRBlocks: 0
; NumSGPRsForWavesPerEU: 4
; NumVGPRsForWavesPerEU: 1
; AccumOffset: 4
; Occupancy: 8
; WaveLimiterHint : 0
; COMPUTE_PGM_RSRC2:SCRATCH_EN: 0
; COMPUTE_PGM_RSRC2:USER_SGPR: 6
; COMPUTE_PGM_RSRC2:TRAP_HANDLER: 0
; COMPUTE_PGM_RSRC2:TGID_X_EN: 1
; COMPUTE_PGM_RSRC2:TGID_Y_EN: 0
; COMPUTE_PGM_RSRC2:TGID_Z_EN: 0
; COMPUTE_PGM_RSRC2:TIDIG_COMP_CNT: 0
; COMPUTE_PGM_RSRC3_GFX90A:ACCUM_OFFSET: 0
; COMPUTE_PGM_RSRC3_GFX90A:TG_SPLIT: 0
	.section	.text._ZN7rocprim17ROCPRIM_400000_NS6detail17trampoline_kernelINS0_14default_configENS1_22reduce_config_selectorIiEEZNS1_11reduce_implILb1ES3_PiS7_iN6thrust23THRUST_200600_302600_NS4plusIiEEEE10hipError_tPvRmT1_T2_T3_mT4_P12ihipStream_tbEUlT_E0_NS1_11comp_targetILNS1_3genE2ELNS1_11target_archE906ELNS1_3gpuE6ELNS1_3repE0EEENS1_30default_config_static_selectorELNS0_4arch9wavefront6targetE1EEEvSF_,"axG",@progbits,_ZN7rocprim17ROCPRIM_400000_NS6detail17trampoline_kernelINS0_14default_configENS1_22reduce_config_selectorIiEEZNS1_11reduce_implILb1ES3_PiS7_iN6thrust23THRUST_200600_302600_NS4plusIiEEEE10hipError_tPvRmT1_T2_T3_mT4_P12ihipStream_tbEUlT_E0_NS1_11comp_targetILNS1_3genE2ELNS1_11target_archE906ELNS1_3gpuE6ELNS1_3repE0EEENS1_30default_config_static_selectorELNS0_4arch9wavefront6targetE1EEEvSF_,comdat
	.protected	_ZN7rocprim17ROCPRIM_400000_NS6detail17trampoline_kernelINS0_14default_configENS1_22reduce_config_selectorIiEEZNS1_11reduce_implILb1ES3_PiS7_iN6thrust23THRUST_200600_302600_NS4plusIiEEEE10hipError_tPvRmT1_T2_T3_mT4_P12ihipStream_tbEUlT_E0_NS1_11comp_targetILNS1_3genE2ELNS1_11target_archE906ELNS1_3gpuE6ELNS1_3repE0EEENS1_30default_config_static_selectorELNS0_4arch9wavefront6targetE1EEEvSF_ ; -- Begin function _ZN7rocprim17ROCPRIM_400000_NS6detail17trampoline_kernelINS0_14default_configENS1_22reduce_config_selectorIiEEZNS1_11reduce_implILb1ES3_PiS7_iN6thrust23THRUST_200600_302600_NS4plusIiEEEE10hipError_tPvRmT1_T2_T3_mT4_P12ihipStream_tbEUlT_E0_NS1_11comp_targetILNS1_3genE2ELNS1_11target_archE906ELNS1_3gpuE6ELNS1_3repE0EEENS1_30default_config_static_selectorELNS0_4arch9wavefront6targetE1EEEvSF_
	.globl	_ZN7rocprim17ROCPRIM_400000_NS6detail17trampoline_kernelINS0_14default_configENS1_22reduce_config_selectorIiEEZNS1_11reduce_implILb1ES3_PiS7_iN6thrust23THRUST_200600_302600_NS4plusIiEEEE10hipError_tPvRmT1_T2_T3_mT4_P12ihipStream_tbEUlT_E0_NS1_11comp_targetILNS1_3genE2ELNS1_11target_archE906ELNS1_3gpuE6ELNS1_3repE0EEENS1_30default_config_static_selectorELNS0_4arch9wavefront6targetE1EEEvSF_
	.p2align	8
	.type	_ZN7rocprim17ROCPRIM_400000_NS6detail17trampoline_kernelINS0_14default_configENS1_22reduce_config_selectorIiEEZNS1_11reduce_implILb1ES3_PiS7_iN6thrust23THRUST_200600_302600_NS4plusIiEEEE10hipError_tPvRmT1_T2_T3_mT4_P12ihipStream_tbEUlT_E0_NS1_11comp_targetILNS1_3genE2ELNS1_11target_archE906ELNS1_3gpuE6ELNS1_3repE0EEENS1_30default_config_static_selectorELNS0_4arch9wavefront6targetE1EEEvSF_,@function
_ZN7rocprim17ROCPRIM_400000_NS6detail17trampoline_kernelINS0_14default_configENS1_22reduce_config_selectorIiEEZNS1_11reduce_implILb1ES3_PiS7_iN6thrust23THRUST_200600_302600_NS4plusIiEEEE10hipError_tPvRmT1_T2_T3_mT4_P12ihipStream_tbEUlT_E0_NS1_11comp_targetILNS1_3genE2ELNS1_11target_archE906ELNS1_3gpuE6ELNS1_3repE0EEENS1_30default_config_static_selectorELNS0_4arch9wavefront6targetE1EEEvSF_: ; @_ZN7rocprim17ROCPRIM_400000_NS6detail17trampoline_kernelINS0_14default_configENS1_22reduce_config_selectorIiEEZNS1_11reduce_implILb1ES3_PiS7_iN6thrust23THRUST_200600_302600_NS4plusIiEEEE10hipError_tPvRmT1_T2_T3_mT4_P12ihipStream_tbEUlT_E0_NS1_11comp_targetILNS1_3genE2ELNS1_11target_archE906ELNS1_3gpuE6ELNS1_3repE0EEENS1_30default_config_static_selectorELNS0_4arch9wavefront6targetE1EEEvSF_
; %bb.0:
	.section	.rodata,"a",@progbits
	.p2align	6, 0x0
	.amdhsa_kernel _ZN7rocprim17ROCPRIM_400000_NS6detail17trampoline_kernelINS0_14default_configENS1_22reduce_config_selectorIiEEZNS1_11reduce_implILb1ES3_PiS7_iN6thrust23THRUST_200600_302600_NS4plusIiEEEE10hipError_tPvRmT1_T2_T3_mT4_P12ihipStream_tbEUlT_E0_NS1_11comp_targetILNS1_3genE2ELNS1_11target_archE906ELNS1_3gpuE6ELNS1_3repE0EEENS1_30default_config_static_selectorELNS0_4arch9wavefront6targetE1EEEvSF_
		.amdhsa_group_segment_fixed_size 0
		.amdhsa_private_segment_fixed_size 0
		.amdhsa_kernarg_size 56
		.amdhsa_user_sgpr_count 6
		.amdhsa_user_sgpr_private_segment_buffer 1
		.amdhsa_user_sgpr_dispatch_ptr 0
		.amdhsa_user_sgpr_queue_ptr 0
		.amdhsa_user_sgpr_kernarg_segment_ptr 1
		.amdhsa_user_sgpr_dispatch_id 0
		.amdhsa_user_sgpr_flat_scratch_init 0
		.amdhsa_user_sgpr_kernarg_preload_length 0
		.amdhsa_user_sgpr_kernarg_preload_offset 0
		.amdhsa_user_sgpr_private_segment_size 0
		.amdhsa_uses_dynamic_stack 0
		.amdhsa_system_sgpr_private_segment_wavefront_offset 0
		.amdhsa_system_sgpr_workgroup_id_x 1
		.amdhsa_system_sgpr_workgroup_id_y 0
		.amdhsa_system_sgpr_workgroup_id_z 0
		.amdhsa_system_sgpr_workgroup_info 0
		.amdhsa_system_vgpr_workitem_id 0
		.amdhsa_next_free_vgpr 1
		.amdhsa_next_free_sgpr 0
		.amdhsa_accum_offset 4
		.amdhsa_reserve_vcc 0
		.amdhsa_reserve_flat_scratch 0
		.amdhsa_float_round_mode_32 0
		.amdhsa_float_round_mode_16_64 0
		.amdhsa_float_denorm_mode_32 3
		.amdhsa_float_denorm_mode_16_64 3
		.amdhsa_dx10_clamp 1
		.amdhsa_ieee_mode 1
		.amdhsa_fp16_overflow 0
		.amdhsa_tg_split 0
		.amdhsa_exception_fp_ieee_invalid_op 0
		.amdhsa_exception_fp_denorm_src 0
		.amdhsa_exception_fp_ieee_div_zero 0
		.amdhsa_exception_fp_ieee_overflow 0
		.amdhsa_exception_fp_ieee_underflow 0
		.amdhsa_exception_fp_ieee_inexact 0
		.amdhsa_exception_int_div_zero 0
	.end_amdhsa_kernel
	.section	.text._ZN7rocprim17ROCPRIM_400000_NS6detail17trampoline_kernelINS0_14default_configENS1_22reduce_config_selectorIiEEZNS1_11reduce_implILb1ES3_PiS7_iN6thrust23THRUST_200600_302600_NS4plusIiEEEE10hipError_tPvRmT1_T2_T3_mT4_P12ihipStream_tbEUlT_E0_NS1_11comp_targetILNS1_3genE2ELNS1_11target_archE906ELNS1_3gpuE6ELNS1_3repE0EEENS1_30default_config_static_selectorELNS0_4arch9wavefront6targetE1EEEvSF_,"axG",@progbits,_ZN7rocprim17ROCPRIM_400000_NS6detail17trampoline_kernelINS0_14default_configENS1_22reduce_config_selectorIiEEZNS1_11reduce_implILb1ES3_PiS7_iN6thrust23THRUST_200600_302600_NS4plusIiEEEE10hipError_tPvRmT1_T2_T3_mT4_P12ihipStream_tbEUlT_E0_NS1_11comp_targetILNS1_3genE2ELNS1_11target_archE906ELNS1_3gpuE6ELNS1_3repE0EEENS1_30default_config_static_selectorELNS0_4arch9wavefront6targetE1EEEvSF_,comdat
.Lfunc_end322:
	.size	_ZN7rocprim17ROCPRIM_400000_NS6detail17trampoline_kernelINS0_14default_configENS1_22reduce_config_selectorIiEEZNS1_11reduce_implILb1ES3_PiS7_iN6thrust23THRUST_200600_302600_NS4plusIiEEEE10hipError_tPvRmT1_T2_T3_mT4_P12ihipStream_tbEUlT_E0_NS1_11comp_targetILNS1_3genE2ELNS1_11target_archE906ELNS1_3gpuE6ELNS1_3repE0EEENS1_30default_config_static_selectorELNS0_4arch9wavefront6targetE1EEEvSF_, .Lfunc_end322-_ZN7rocprim17ROCPRIM_400000_NS6detail17trampoline_kernelINS0_14default_configENS1_22reduce_config_selectorIiEEZNS1_11reduce_implILb1ES3_PiS7_iN6thrust23THRUST_200600_302600_NS4plusIiEEEE10hipError_tPvRmT1_T2_T3_mT4_P12ihipStream_tbEUlT_E0_NS1_11comp_targetILNS1_3genE2ELNS1_11target_archE906ELNS1_3gpuE6ELNS1_3repE0EEENS1_30default_config_static_selectorELNS0_4arch9wavefront6targetE1EEEvSF_
                                        ; -- End function
	.section	.AMDGPU.csdata,"",@progbits
; Kernel info:
; codeLenInByte = 0
; NumSgprs: 4
; NumVgprs: 0
; NumAgprs: 0
; TotalNumVgprs: 0
; ScratchSize: 0
; MemoryBound: 0
; FloatMode: 240
; IeeeMode: 1
; LDSByteSize: 0 bytes/workgroup (compile time only)
; SGPRBlocks: 0
; VGPRBlocks: 0
; NumSGPRsForWavesPerEU: 4
; NumVGPRsForWavesPerEU: 1
; AccumOffset: 4
; Occupancy: 8
; WaveLimiterHint : 0
; COMPUTE_PGM_RSRC2:SCRATCH_EN: 0
; COMPUTE_PGM_RSRC2:USER_SGPR: 6
; COMPUTE_PGM_RSRC2:TRAP_HANDLER: 0
; COMPUTE_PGM_RSRC2:TGID_X_EN: 1
; COMPUTE_PGM_RSRC2:TGID_Y_EN: 0
; COMPUTE_PGM_RSRC2:TGID_Z_EN: 0
; COMPUTE_PGM_RSRC2:TIDIG_COMP_CNT: 0
; COMPUTE_PGM_RSRC3_GFX90A:ACCUM_OFFSET: 0
; COMPUTE_PGM_RSRC3_GFX90A:TG_SPLIT: 0
	.section	.text._ZN7rocprim17ROCPRIM_400000_NS6detail17trampoline_kernelINS0_14default_configENS1_22reduce_config_selectorIiEEZNS1_11reduce_implILb1ES3_PiS7_iN6thrust23THRUST_200600_302600_NS4plusIiEEEE10hipError_tPvRmT1_T2_T3_mT4_P12ihipStream_tbEUlT_E0_NS1_11comp_targetILNS1_3genE10ELNS1_11target_archE1201ELNS1_3gpuE5ELNS1_3repE0EEENS1_30default_config_static_selectorELNS0_4arch9wavefront6targetE1EEEvSF_,"axG",@progbits,_ZN7rocprim17ROCPRIM_400000_NS6detail17trampoline_kernelINS0_14default_configENS1_22reduce_config_selectorIiEEZNS1_11reduce_implILb1ES3_PiS7_iN6thrust23THRUST_200600_302600_NS4plusIiEEEE10hipError_tPvRmT1_T2_T3_mT4_P12ihipStream_tbEUlT_E0_NS1_11comp_targetILNS1_3genE10ELNS1_11target_archE1201ELNS1_3gpuE5ELNS1_3repE0EEENS1_30default_config_static_selectorELNS0_4arch9wavefront6targetE1EEEvSF_,comdat
	.protected	_ZN7rocprim17ROCPRIM_400000_NS6detail17trampoline_kernelINS0_14default_configENS1_22reduce_config_selectorIiEEZNS1_11reduce_implILb1ES3_PiS7_iN6thrust23THRUST_200600_302600_NS4plusIiEEEE10hipError_tPvRmT1_T2_T3_mT4_P12ihipStream_tbEUlT_E0_NS1_11comp_targetILNS1_3genE10ELNS1_11target_archE1201ELNS1_3gpuE5ELNS1_3repE0EEENS1_30default_config_static_selectorELNS0_4arch9wavefront6targetE1EEEvSF_ ; -- Begin function _ZN7rocprim17ROCPRIM_400000_NS6detail17trampoline_kernelINS0_14default_configENS1_22reduce_config_selectorIiEEZNS1_11reduce_implILb1ES3_PiS7_iN6thrust23THRUST_200600_302600_NS4plusIiEEEE10hipError_tPvRmT1_T2_T3_mT4_P12ihipStream_tbEUlT_E0_NS1_11comp_targetILNS1_3genE10ELNS1_11target_archE1201ELNS1_3gpuE5ELNS1_3repE0EEENS1_30default_config_static_selectorELNS0_4arch9wavefront6targetE1EEEvSF_
	.globl	_ZN7rocprim17ROCPRIM_400000_NS6detail17trampoline_kernelINS0_14default_configENS1_22reduce_config_selectorIiEEZNS1_11reduce_implILb1ES3_PiS7_iN6thrust23THRUST_200600_302600_NS4plusIiEEEE10hipError_tPvRmT1_T2_T3_mT4_P12ihipStream_tbEUlT_E0_NS1_11comp_targetILNS1_3genE10ELNS1_11target_archE1201ELNS1_3gpuE5ELNS1_3repE0EEENS1_30default_config_static_selectorELNS0_4arch9wavefront6targetE1EEEvSF_
	.p2align	8
	.type	_ZN7rocprim17ROCPRIM_400000_NS6detail17trampoline_kernelINS0_14default_configENS1_22reduce_config_selectorIiEEZNS1_11reduce_implILb1ES3_PiS7_iN6thrust23THRUST_200600_302600_NS4plusIiEEEE10hipError_tPvRmT1_T2_T3_mT4_P12ihipStream_tbEUlT_E0_NS1_11comp_targetILNS1_3genE10ELNS1_11target_archE1201ELNS1_3gpuE5ELNS1_3repE0EEENS1_30default_config_static_selectorELNS0_4arch9wavefront6targetE1EEEvSF_,@function
_ZN7rocprim17ROCPRIM_400000_NS6detail17trampoline_kernelINS0_14default_configENS1_22reduce_config_selectorIiEEZNS1_11reduce_implILb1ES3_PiS7_iN6thrust23THRUST_200600_302600_NS4plusIiEEEE10hipError_tPvRmT1_T2_T3_mT4_P12ihipStream_tbEUlT_E0_NS1_11comp_targetILNS1_3genE10ELNS1_11target_archE1201ELNS1_3gpuE5ELNS1_3repE0EEENS1_30default_config_static_selectorELNS0_4arch9wavefront6targetE1EEEvSF_: ; @_ZN7rocprim17ROCPRIM_400000_NS6detail17trampoline_kernelINS0_14default_configENS1_22reduce_config_selectorIiEEZNS1_11reduce_implILb1ES3_PiS7_iN6thrust23THRUST_200600_302600_NS4plusIiEEEE10hipError_tPvRmT1_T2_T3_mT4_P12ihipStream_tbEUlT_E0_NS1_11comp_targetILNS1_3genE10ELNS1_11target_archE1201ELNS1_3gpuE5ELNS1_3repE0EEENS1_30default_config_static_selectorELNS0_4arch9wavefront6targetE1EEEvSF_
; %bb.0:
	.section	.rodata,"a",@progbits
	.p2align	6, 0x0
	.amdhsa_kernel _ZN7rocprim17ROCPRIM_400000_NS6detail17trampoline_kernelINS0_14default_configENS1_22reduce_config_selectorIiEEZNS1_11reduce_implILb1ES3_PiS7_iN6thrust23THRUST_200600_302600_NS4plusIiEEEE10hipError_tPvRmT1_T2_T3_mT4_P12ihipStream_tbEUlT_E0_NS1_11comp_targetILNS1_3genE10ELNS1_11target_archE1201ELNS1_3gpuE5ELNS1_3repE0EEENS1_30default_config_static_selectorELNS0_4arch9wavefront6targetE1EEEvSF_
		.amdhsa_group_segment_fixed_size 0
		.amdhsa_private_segment_fixed_size 0
		.amdhsa_kernarg_size 56
		.amdhsa_user_sgpr_count 6
		.amdhsa_user_sgpr_private_segment_buffer 1
		.amdhsa_user_sgpr_dispatch_ptr 0
		.amdhsa_user_sgpr_queue_ptr 0
		.amdhsa_user_sgpr_kernarg_segment_ptr 1
		.amdhsa_user_sgpr_dispatch_id 0
		.amdhsa_user_sgpr_flat_scratch_init 0
		.amdhsa_user_sgpr_kernarg_preload_length 0
		.amdhsa_user_sgpr_kernarg_preload_offset 0
		.amdhsa_user_sgpr_private_segment_size 0
		.amdhsa_uses_dynamic_stack 0
		.amdhsa_system_sgpr_private_segment_wavefront_offset 0
		.amdhsa_system_sgpr_workgroup_id_x 1
		.amdhsa_system_sgpr_workgroup_id_y 0
		.amdhsa_system_sgpr_workgroup_id_z 0
		.amdhsa_system_sgpr_workgroup_info 0
		.amdhsa_system_vgpr_workitem_id 0
		.amdhsa_next_free_vgpr 1
		.amdhsa_next_free_sgpr 0
		.amdhsa_accum_offset 4
		.amdhsa_reserve_vcc 0
		.amdhsa_reserve_flat_scratch 0
		.amdhsa_float_round_mode_32 0
		.amdhsa_float_round_mode_16_64 0
		.amdhsa_float_denorm_mode_32 3
		.amdhsa_float_denorm_mode_16_64 3
		.amdhsa_dx10_clamp 1
		.amdhsa_ieee_mode 1
		.amdhsa_fp16_overflow 0
		.amdhsa_tg_split 0
		.amdhsa_exception_fp_ieee_invalid_op 0
		.amdhsa_exception_fp_denorm_src 0
		.amdhsa_exception_fp_ieee_div_zero 0
		.amdhsa_exception_fp_ieee_overflow 0
		.amdhsa_exception_fp_ieee_underflow 0
		.amdhsa_exception_fp_ieee_inexact 0
		.amdhsa_exception_int_div_zero 0
	.end_amdhsa_kernel
	.section	.text._ZN7rocprim17ROCPRIM_400000_NS6detail17trampoline_kernelINS0_14default_configENS1_22reduce_config_selectorIiEEZNS1_11reduce_implILb1ES3_PiS7_iN6thrust23THRUST_200600_302600_NS4plusIiEEEE10hipError_tPvRmT1_T2_T3_mT4_P12ihipStream_tbEUlT_E0_NS1_11comp_targetILNS1_3genE10ELNS1_11target_archE1201ELNS1_3gpuE5ELNS1_3repE0EEENS1_30default_config_static_selectorELNS0_4arch9wavefront6targetE1EEEvSF_,"axG",@progbits,_ZN7rocprim17ROCPRIM_400000_NS6detail17trampoline_kernelINS0_14default_configENS1_22reduce_config_selectorIiEEZNS1_11reduce_implILb1ES3_PiS7_iN6thrust23THRUST_200600_302600_NS4plusIiEEEE10hipError_tPvRmT1_T2_T3_mT4_P12ihipStream_tbEUlT_E0_NS1_11comp_targetILNS1_3genE10ELNS1_11target_archE1201ELNS1_3gpuE5ELNS1_3repE0EEENS1_30default_config_static_selectorELNS0_4arch9wavefront6targetE1EEEvSF_,comdat
.Lfunc_end323:
	.size	_ZN7rocprim17ROCPRIM_400000_NS6detail17trampoline_kernelINS0_14default_configENS1_22reduce_config_selectorIiEEZNS1_11reduce_implILb1ES3_PiS7_iN6thrust23THRUST_200600_302600_NS4plusIiEEEE10hipError_tPvRmT1_T2_T3_mT4_P12ihipStream_tbEUlT_E0_NS1_11comp_targetILNS1_3genE10ELNS1_11target_archE1201ELNS1_3gpuE5ELNS1_3repE0EEENS1_30default_config_static_selectorELNS0_4arch9wavefront6targetE1EEEvSF_, .Lfunc_end323-_ZN7rocprim17ROCPRIM_400000_NS6detail17trampoline_kernelINS0_14default_configENS1_22reduce_config_selectorIiEEZNS1_11reduce_implILb1ES3_PiS7_iN6thrust23THRUST_200600_302600_NS4plusIiEEEE10hipError_tPvRmT1_T2_T3_mT4_P12ihipStream_tbEUlT_E0_NS1_11comp_targetILNS1_3genE10ELNS1_11target_archE1201ELNS1_3gpuE5ELNS1_3repE0EEENS1_30default_config_static_selectorELNS0_4arch9wavefront6targetE1EEEvSF_
                                        ; -- End function
	.section	.AMDGPU.csdata,"",@progbits
; Kernel info:
; codeLenInByte = 0
; NumSgprs: 4
; NumVgprs: 0
; NumAgprs: 0
; TotalNumVgprs: 0
; ScratchSize: 0
; MemoryBound: 0
; FloatMode: 240
; IeeeMode: 1
; LDSByteSize: 0 bytes/workgroup (compile time only)
; SGPRBlocks: 0
; VGPRBlocks: 0
; NumSGPRsForWavesPerEU: 4
; NumVGPRsForWavesPerEU: 1
; AccumOffset: 4
; Occupancy: 8
; WaveLimiterHint : 0
; COMPUTE_PGM_RSRC2:SCRATCH_EN: 0
; COMPUTE_PGM_RSRC2:USER_SGPR: 6
; COMPUTE_PGM_RSRC2:TRAP_HANDLER: 0
; COMPUTE_PGM_RSRC2:TGID_X_EN: 1
; COMPUTE_PGM_RSRC2:TGID_Y_EN: 0
; COMPUTE_PGM_RSRC2:TGID_Z_EN: 0
; COMPUTE_PGM_RSRC2:TIDIG_COMP_CNT: 0
; COMPUTE_PGM_RSRC3_GFX90A:ACCUM_OFFSET: 0
; COMPUTE_PGM_RSRC3_GFX90A:TG_SPLIT: 0
	.section	.text._ZN7rocprim17ROCPRIM_400000_NS6detail17trampoline_kernelINS0_14default_configENS1_22reduce_config_selectorIiEEZNS1_11reduce_implILb1ES3_PiS7_iN6thrust23THRUST_200600_302600_NS4plusIiEEEE10hipError_tPvRmT1_T2_T3_mT4_P12ihipStream_tbEUlT_E0_NS1_11comp_targetILNS1_3genE10ELNS1_11target_archE1200ELNS1_3gpuE4ELNS1_3repE0EEENS1_30default_config_static_selectorELNS0_4arch9wavefront6targetE1EEEvSF_,"axG",@progbits,_ZN7rocprim17ROCPRIM_400000_NS6detail17trampoline_kernelINS0_14default_configENS1_22reduce_config_selectorIiEEZNS1_11reduce_implILb1ES3_PiS7_iN6thrust23THRUST_200600_302600_NS4plusIiEEEE10hipError_tPvRmT1_T2_T3_mT4_P12ihipStream_tbEUlT_E0_NS1_11comp_targetILNS1_3genE10ELNS1_11target_archE1200ELNS1_3gpuE4ELNS1_3repE0EEENS1_30default_config_static_selectorELNS0_4arch9wavefront6targetE1EEEvSF_,comdat
	.protected	_ZN7rocprim17ROCPRIM_400000_NS6detail17trampoline_kernelINS0_14default_configENS1_22reduce_config_selectorIiEEZNS1_11reduce_implILb1ES3_PiS7_iN6thrust23THRUST_200600_302600_NS4plusIiEEEE10hipError_tPvRmT1_T2_T3_mT4_P12ihipStream_tbEUlT_E0_NS1_11comp_targetILNS1_3genE10ELNS1_11target_archE1200ELNS1_3gpuE4ELNS1_3repE0EEENS1_30default_config_static_selectorELNS0_4arch9wavefront6targetE1EEEvSF_ ; -- Begin function _ZN7rocprim17ROCPRIM_400000_NS6detail17trampoline_kernelINS0_14default_configENS1_22reduce_config_selectorIiEEZNS1_11reduce_implILb1ES3_PiS7_iN6thrust23THRUST_200600_302600_NS4plusIiEEEE10hipError_tPvRmT1_T2_T3_mT4_P12ihipStream_tbEUlT_E0_NS1_11comp_targetILNS1_3genE10ELNS1_11target_archE1200ELNS1_3gpuE4ELNS1_3repE0EEENS1_30default_config_static_selectorELNS0_4arch9wavefront6targetE1EEEvSF_
	.globl	_ZN7rocprim17ROCPRIM_400000_NS6detail17trampoline_kernelINS0_14default_configENS1_22reduce_config_selectorIiEEZNS1_11reduce_implILb1ES3_PiS7_iN6thrust23THRUST_200600_302600_NS4plusIiEEEE10hipError_tPvRmT1_T2_T3_mT4_P12ihipStream_tbEUlT_E0_NS1_11comp_targetILNS1_3genE10ELNS1_11target_archE1200ELNS1_3gpuE4ELNS1_3repE0EEENS1_30default_config_static_selectorELNS0_4arch9wavefront6targetE1EEEvSF_
	.p2align	8
	.type	_ZN7rocprim17ROCPRIM_400000_NS6detail17trampoline_kernelINS0_14default_configENS1_22reduce_config_selectorIiEEZNS1_11reduce_implILb1ES3_PiS7_iN6thrust23THRUST_200600_302600_NS4plusIiEEEE10hipError_tPvRmT1_T2_T3_mT4_P12ihipStream_tbEUlT_E0_NS1_11comp_targetILNS1_3genE10ELNS1_11target_archE1200ELNS1_3gpuE4ELNS1_3repE0EEENS1_30default_config_static_selectorELNS0_4arch9wavefront6targetE1EEEvSF_,@function
_ZN7rocprim17ROCPRIM_400000_NS6detail17trampoline_kernelINS0_14default_configENS1_22reduce_config_selectorIiEEZNS1_11reduce_implILb1ES3_PiS7_iN6thrust23THRUST_200600_302600_NS4plusIiEEEE10hipError_tPvRmT1_T2_T3_mT4_P12ihipStream_tbEUlT_E0_NS1_11comp_targetILNS1_3genE10ELNS1_11target_archE1200ELNS1_3gpuE4ELNS1_3repE0EEENS1_30default_config_static_selectorELNS0_4arch9wavefront6targetE1EEEvSF_: ; @_ZN7rocprim17ROCPRIM_400000_NS6detail17trampoline_kernelINS0_14default_configENS1_22reduce_config_selectorIiEEZNS1_11reduce_implILb1ES3_PiS7_iN6thrust23THRUST_200600_302600_NS4plusIiEEEE10hipError_tPvRmT1_T2_T3_mT4_P12ihipStream_tbEUlT_E0_NS1_11comp_targetILNS1_3genE10ELNS1_11target_archE1200ELNS1_3gpuE4ELNS1_3repE0EEENS1_30default_config_static_selectorELNS0_4arch9wavefront6targetE1EEEvSF_
; %bb.0:
	.section	.rodata,"a",@progbits
	.p2align	6, 0x0
	.amdhsa_kernel _ZN7rocprim17ROCPRIM_400000_NS6detail17trampoline_kernelINS0_14default_configENS1_22reduce_config_selectorIiEEZNS1_11reduce_implILb1ES3_PiS7_iN6thrust23THRUST_200600_302600_NS4plusIiEEEE10hipError_tPvRmT1_T2_T3_mT4_P12ihipStream_tbEUlT_E0_NS1_11comp_targetILNS1_3genE10ELNS1_11target_archE1200ELNS1_3gpuE4ELNS1_3repE0EEENS1_30default_config_static_selectorELNS0_4arch9wavefront6targetE1EEEvSF_
		.amdhsa_group_segment_fixed_size 0
		.amdhsa_private_segment_fixed_size 0
		.amdhsa_kernarg_size 56
		.amdhsa_user_sgpr_count 6
		.amdhsa_user_sgpr_private_segment_buffer 1
		.amdhsa_user_sgpr_dispatch_ptr 0
		.amdhsa_user_sgpr_queue_ptr 0
		.amdhsa_user_sgpr_kernarg_segment_ptr 1
		.amdhsa_user_sgpr_dispatch_id 0
		.amdhsa_user_sgpr_flat_scratch_init 0
		.amdhsa_user_sgpr_kernarg_preload_length 0
		.amdhsa_user_sgpr_kernarg_preload_offset 0
		.amdhsa_user_sgpr_private_segment_size 0
		.amdhsa_uses_dynamic_stack 0
		.amdhsa_system_sgpr_private_segment_wavefront_offset 0
		.amdhsa_system_sgpr_workgroup_id_x 1
		.amdhsa_system_sgpr_workgroup_id_y 0
		.amdhsa_system_sgpr_workgroup_id_z 0
		.amdhsa_system_sgpr_workgroup_info 0
		.amdhsa_system_vgpr_workitem_id 0
		.amdhsa_next_free_vgpr 1
		.amdhsa_next_free_sgpr 0
		.amdhsa_accum_offset 4
		.amdhsa_reserve_vcc 0
		.amdhsa_reserve_flat_scratch 0
		.amdhsa_float_round_mode_32 0
		.amdhsa_float_round_mode_16_64 0
		.amdhsa_float_denorm_mode_32 3
		.amdhsa_float_denorm_mode_16_64 3
		.amdhsa_dx10_clamp 1
		.amdhsa_ieee_mode 1
		.amdhsa_fp16_overflow 0
		.amdhsa_tg_split 0
		.amdhsa_exception_fp_ieee_invalid_op 0
		.amdhsa_exception_fp_denorm_src 0
		.amdhsa_exception_fp_ieee_div_zero 0
		.amdhsa_exception_fp_ieee_overflow 0
		.amdhsa_exception_fp_ieee_underflow 0
		.amdhsa_exception_fp_ieee_inexact 0
		.amdhsa_exception_int_div_zero 0
	.end_amdhsa_kernel
	.section	.text._ZN7rocprim17ROCPRIM_400000_NS6detail17trampoline_kernelINS0_14default_configENS1_22reduce_config_selectorIiEEZNS1_11reduce_implILb1ES3_PiS7_iN6thrust23THRUST_200600_302600_NS4plusIiEEEE10hipError_tPvRmT1_T2_T3_mT4_P12ihipStream_tbEUlT_E0_NS1_11comp_targetILNS1_3genE10ELNS1_11target_archE1200ELNS1_3gpuE4ELNS1_3repE0EEENS1_30default_config_static_selectorELNS0_4arch9wavefront6targetE1EEEvSF_,"axG",@progbits,_ZN7rocprim17ROCPRIM_400000_NS6detail17trampoline_kernelINS0_14default_configENS1_22reduce_config_selectorIiEEZNS1_11reduce_implILb1ES3_PiS7_iN6thrust23THRUST_200600_302600_NS4plusIiEEEE10hipError_tPvRmT1_T2_T3_mT4_P12ihipStream_tbEUlT_E0_NS1_11comp_targetILNS1_3genE10ELNS1_11target_archE1200ELNS1_3gpuE4ELNS1_3repE0EEENS1_30default_config_static_selectorELNS0_4arch9wavefront6targetE1EEEvSF_,comdat
.Lfunc_end324:
	.size	_ZN7rocprim17ROCPRIM_400000_NS6detail17trampoline_kernelINS0_14default_configENS1_22reduce_config_selectorIiEEZNS1_11reduce_implILb1ES3_PiS7_iN6thrust23THRUST_200600_302600_NS4plusIiEEEE10hipError_tPvRmT1_T2_T3_mT4_P12ihipStream_tbEUlT_E0_NS1_11comp_targetILNS1_3genE10ELNS1_11target_archE1200ELNS1_3gpuE4ELNS1_3repE0EEENS1_30default_config_static_selectorELNS0_4arch9wavefront6targetE1EEEvSF_, .Lfunc_end324-_ZN7rocprim17ROCPRIM_400000_NS6detail17trampoline_kernelINS0_14default_configENS1_22reduce_config_selectorIiEEZNS1_11reduce_implILb1ES3_PiS7_iN6thrust23THRUST_200600_302600_NS4plusIiEEEE10hipError_tPvRmT1_T2_T3_mT4_P12ihipStream_tbEUlT_E0_NS1_11comp_targetILNS1_3genE10ELNS1_11target_archE1200ELNS1_3gpuE4ELNS1_3repE0EEENS1_30default_config_static_selectorELNS0_4arch9wavefront6targetE1EEEvSF_
                                        ; -- End function
	.section	.AMDGPU.csdata,"",@progbits
; Kernel info:
; codeLenInByte = 0
; NumSgprs: 4
; NumVgprs: 0
; NumAgprs: 0
; TotalNumVgprs: 0
; ScratchSize: 0
; MemoryBound: 0
; FloatMode: 240
; IeeeMode: 1
; LDSByteSize: 0 bytes/workgroup (compile time only)
; SGPRBlocks: 0
; VGPRBlocks: 0
; NumSGPRsForWavesPerEU: 4
; NumVGPRsForWavesPerEU: 1
; AccumOffset: 4
; Occupancy: 8
; WaveLimiterHint : 0
; COMPUTE_PGM_RSRC2:SCRATCH_EN: 0
; COMPUTE_PGM_RSRC2:USER_SGPR: 6
; COMPUTE_PGM_RSRC2:TRAP_HANDLER: 0
; COMPUTE_PGM_RSRC2:TGID_X_EN: 1
; COMPUTE_PGM_RSRC2:TGID_Y_EN: 0
; COMPUTE_PGM_RSRC2:TGID_Z_EN: 0
; COMPUTE_PGM_RSRC2:TIDIG_COMP_CNT: 0
; COMPUTE_PGM_RSRC3_GFX90A:ACCUM_OFFSET: 0
; COMPUTE_PGM_RSRC3_GFX90A:TG_SPLIT: 0
	.section	.text._ZN7rocprim17ROCPRIM_400000_NS6detail17trampoline_kernelINS0_14default_configENS1_22reduce_config_selectorIiEEZNS1_11reduce_implILb1ES3_PiS7_iN6thrust23THRUST_200600_302600_NS4plusIiEEEE10hipError_tPvRmT1_T2_T3_mT4_P12ihipStream_tbEUlT_E0_NS1_11comp_targetILNS1_3genE9ELNS1_11target_archE1100ELNS1_3gpuE3ELNS1_3repE0EEENS1_30default_config_static_selectorELNS0_4arch9wavefront6targetE1EEEvSF_,"axG",@progbits,_ZN7rocprim17ROCPRIM_400000_NS6detail17trampoline_kernelINS0_14default_configENS1_22reduce_config_selectorIiEEZNS1_11reduce_implILb1ES3_PiS7_iN6thrust23THRUST_200600_302600_NS4plusIiEEEE10hipError_tPvRmT1_T2_T3_mT4_P12ihipStream_tbEUlT_E0_NS1_11comp_targetILNS1_3genE9ELNS1_11target_archE1100ELNS1_3gpuE3ELNS1_3repE0EEENS1_30default_config_static_selectorELNS0_4arch9wavefront6targetE1EEEvSF_,comdat
	.protected	_ZN7rocprim17ROCPRIM_400000_NS6detail17trampoline_kernelINS0_14default_configENS1_22reduce_config_selectorIiEEZNS1_11reduce_implILb1ES3_PiS7_iN6thrust23THRUST_200600_302600_NS4plusIiEEEE10hipError_tPvRmT1_T2_T3_mT4_P12ihipStream_tbEUlT_E0_NS1_11comp_targetILNS1_3genE9ELNS1_11target_archE1100ELNS1_3gpuE3ELNS1_3repE0EEENS1_30default_config_static_selectorELNS0_4arch9wavefront6targetE1EEEvSF_ ; -- Begin function _ZN7rocprim17ROCPRIM_400000_NS6detail17trampoline_kernelINS0_14default_configENS1_22reduce_config_selectorIiEEZNS1_11reduce_implILb1ES3_PiS7_iN6thrust23THRUST_200600_302600_NS4plusIiEEEE10hipError_tPvRmT1_T2_T3_mT4_P12ihipStream_tbEUlT_E0_NS1_11comp_targetILNS1_3genE9ELNS1_11target_archE1100ELNS1_3gpuE3ELNS1_3repE0EEENS1_30default_config_static_selectorELNS0_4arch9wavefront6targetE1EEEvSF_
	.globl	_ZN7rocprim17ROCPRIM_400000_NS6detail17trampoline_kernelINS0_14default_configENS1_22reduce_config_selectorIiEEZNS1_11reduce_implILb1ES3_PiS7_iN6thrust23THRUST_200600_302600_NS4plusIiEEEE10hipError_tPvRmT1_T2_T3_mT4_P12ihipStream_tbEUlT_E0_NS1_11comp_targetILNS1_3genE9ELNS1_11target_archE1100ELNS1_3gpuE3ELNS1_3repE0EEENS1_30default_config_static_selectorELNS0_4arch9wavefront6targetE1EEEvSF_
	.p2align	8
	.type	_ZN7rocprim17ROCPRIM_400000_NS6detail17trampoline_kernelINS0_14default_configENS1_22reduce_config_selectorIiEEZNS1_11reduce_implILb1ES3_PiS7_iN6thrust23THRUST_200600_302600_NS4plusIiEEEE10hipError_tPvRmT1_T2_T3_mT4_P12ihipStream_tbEUlT_E0_NS1_11comp_targetILNS1_3genE9ELNS1_11target_archE1100ELNS1_3gpuE3ELNS1_3repE0EEENS1_30default_config_static_selectorELNS0_4arch9wavefront6targetE1EEEvSF_,@function
_ZN7rocprim17ROCPRIM_400000_NS6detail17trampoline_kernelINS0_14default_configENS1_22reduce_config_selectorIiEEZNS1_11reduce_implILb1ES3_PiS7_iN6thrust23THRUST_200600_302600_NS4plusIiEEEE10hipError_tPvRmT1_T2_T3_mT4_P12ihipStream_tbEUlT_E0_NS1_11comp_targetILNS1_3genE9ELNS1_11target_archE1100ELNS1_3gpuE3ELNS1_3repE0EEENS1_30default_config_static_selectorELNS0_4arch9wavefront6targetE1EEEvSF_: ; @_ZN7rocprim17ROCPRIM_400000_NS6detail17trampoline_kernelINS0_14default_configENS1_22reduce_config_selectorIiEEZNS1_11reduce_implILb1ES3_PiS7_iN6thrust23THRUST_200600_302600_NS4plusIiEEEE10hipError_tPvRmT1_T2_T3_mT4_P12ihipStream_tbEUlT_E0_NS1_11comp_targetILNS1_3genE9ELNS1_11target_archE1100ELNS1_3gpuE3ELNS1_3repE0EEENS1_30default_config_static_selectorELNS0_4arch9wavefront6targetE1EEEvSF_
; %bb.0:
	.section	.rodata,"a",@progbits
	.p2align	6, 0x0
	.amdhsa_kernel _ZN7rocprim17ROCPRIM_400000_NS6detail17trampoline_kernelINS0_14default_configENS1_22reduce_config_selectorIiEEZNS1_11reduce_implILb1ES3_PiS7_iN6thrust23THRUST_200600_302600_NS4plusIiEEEE10hipError_tPvRmT1_T2_T3_mT4_P12ihipStream_tbEUlT_E0_NS1_11comp_targetILNS1_3genE9ELNS1_11target_archE1100ELNS1_3gpuE3ELNS1_3repE0EEENS1_30default_config_static_selectorELNS0_4arch9wavefront6targetE1EEEvSF_
		.amdhsa_group_segment_fixed_size 0
		.amdhsa_private_segment_fixed_size 0
		.amdhsa_kernarg_size 56
		.amdhsa_user_sgpr_count 6
		.amdhsa_user_sgpr_private_segment_buffer 1
		.amdhsa_user_sgpr_dispatch_ptr 0
		.amdhsa_user_sgpr_queue_ptr 0
		.amdhsa_user_sgpr_kernarg_segment_ptr 1
		.amdhsa_user_sgpr_dispatch_id 0
		.amdhsa_user_sgpr_flat_scratch_init 0
		.amdhsa_user_sgpr_kernarg_preload_length 0
		.amdhsa_user_sgpr_kernarg_preload_offset 0
		.amdhsa_user_sgpr_private_segment_size 0
		.amdhsa_uses_dynamic_stack 0
		.amdhsa_system_sgpr_private_segment_wavefront_offset 0
		.amdhsa_system_sgpr_workgroup_id_x 1
		.amdhsa_system_sgpr_workgroup_id_y 0
		.amdhsa_system_sgpr_workgroup_id_z 0
		.amdhsa_system_sgpr_workgroup_info 0
		.amdhsa_system_vgpr_workitem_id 0
		.amdhsa_next_free_vgpr 1
		.amdhsa_next_free_sgpr 0
		.amdhsa_accum_offset 4
		.amdhsa_reserve_vcc 0
		.amdhsa_reserve_flat_scratch 0
		.amdhsa_float_round_mode_32 0
		.amdhsa_float_round_mode_16_64 0
		.amdhsa_float_denorm_mode_32 3
		.amdhsa_float_denorm_mode_16_64 3
		.amdhsa_dx10_clamp 1
		.amdhsa_ieee_mode 1
		.amdhsa_fp16_overflow 0
		.amdhsa_tg_split 0
		.amdhsa_exception_fp_ieee_invalid_op 0
		.amdhsa_exception_fp_denorm_src 0
		.amdhsa_exception_fp_ieee_div_zero 0
		.amdhsa_exception_fp_ieee_overflow 0
		.amdhsa_exception_fp_ieee_underflow 0
		.amdhsa_exception_fp_ieee_inexact 0
		.amdhsa_exception_int_div_zero 0
	.end_amdhsa_kernel
	.section	.text._ZN7rocprim17ROCPRIM_400000_NS6detail17trampoline_kernelINS0_14default_configENS1_22reduce_config_selectorIiEEZNS1_11reduce_implILb1ES3_PiS7_iN6thrust23THRUST_200600_302600_NS4plusIiEEEE10hipError_tPvRmT1_T2_T3_mT4_P12ihipStream_tbEUlT_E0_NS1_11comp_targetILNS1_3genE9ELNS1_11target_archE1100ELNS1_3gpuE3ELNS1_3repE0EEENS1_30default_config_static_selectorELNS0_4arch9wavefront6targetE1EEEvSF_,"axG",@progbits,_ZN7rocprim17ROCPRIM_400000_NS6detail17trampoline_kernelINS0_14default_configENS1_22reduce_config_selectorIiEEZNS1_11reduce_implILb1ES3_PiS7_iN6thrust23THRUST_200600_302600_NS4plusIiEEEE10hipError_tPvRmT1_T2_T3_mT4_P12ihipStream_tbEUlT_E0_NS1_11comp_targetILNS1_3genE9ELNS1_11target_archE1100ELNS1_3gpuE3ELNS1_3repE0EEENS1_30default_config_static_selectorELNS0_4arch9wavefront6targetE1EEEvSF_,comdat
.Lfunc_end325:
	.size	_ZN7rocprim17ROCPRIM_400000_NS6detail17trampoline_kernelINS0_14default_configENS1_22reduce_config_selectorIiEEZNS1_11reduce_implILb1ES3_PiS7_iN6thrust23THRUST_200600_302600_NS4plusIiEEEE10hipError_tPvRmT1_T2_T3_mT4_P12ihipStream_tbEUlT_E0_NS1_11comp_targetILNS1_3genE9ELNS1_11target_archE1100ELNS1_3gpuE3ELNS1_3repE0EEENS1_30default_config_static_selectorELNS0_4arch9wavefront6targetE1EEEvSF_, .Lfunc_end325-_ZN7rocprim17ROCPRIM_400000_NS6detail17trampoline_kernelINS0_14default_configENS1_22reduce_config_selectorIiEEZNS1_11reduce_implILb1ES3_PiS7_iN6thrust23THRUST_200600_302600_NS4plusIiEEEE10hipError_tPvRmT1_T2_T3_mT4_P12ihipStream_tbEUlT_E0_NS1_11comp_targetILNS1_3genE9ELNS1_11target_archE1100ELNS1_3gpuE3ELNS1_3repE0EEENS1_30default_config_static_selectorELNS0_4arch9wavefront6targetE1EEEvSF_
                                        ; -- End function
	.section	.AMDGPU.csdata,"",@progbits
; Kernel info:
; codeLenInByte = 0
; NumSgprs: 4
; NumVgprs: 0
; NumAgprs: 0
; TotalNumVgprs: 0
; ScratchSize: 0
; MemoryBound: 0
; FloatMode: 240
; IeeeMode: 1
; LDSByteSize: 0 bytes/workgroup (compile time only)
; SGPRBlocks: 0
; VGPRBlocks: 0
; NumSGPRsForWavesPerEU: 4
; NumVGPRsForWavesPerEU: 1
; AccumOffset: 4
; Occupancy: 8
; WaveLimiterHint : 0
; COMPUTE_PGM_RSRC2:SCRATCH_EN: 0
; COMPUTE_PGM_RSRC2:USER_SGPR: 6
; COMPUTE_PGM_RSRC2:TRAP_HANDLER: 0
; COMPUTE_PGM_RSRC2:TGID_X_EN: 1
; COMPUTE_PGM_RSRC2:TGID_Y_EN: 0
; COMPUTE_PGM_RSRC2:TGID_Z_EN: 0
; COMPUTE_PGM_RSRC2:TIDIG_COMP_CNT: 0
; COMPUTE_PGM_RSRC3_GFX90A:ACCUM_OFFSET: 0
; COMPUTE_PGM_RSRC3_GFX90A:TG_SPLIT: 0
	.section	.text._ZN7rocprim17ROCPRIM_400000_NS6detail17trampoline_kernelINS0_14default_configENS1_22reduce_config_selectorIiEEZNS1_11reduce_implILb1ES3_PiS7_iN6thrust23THRUST_200600_302600_NS4plusIiEEEE10hipError_tPvRmT1_T2_T3_mT4_P12ihipStream_tbEUlT_E0_NS1_11comp_targetILNS1_3genE8ELNS1_11target_archE1030ELNS1_3gpuE2ELNS1_3repE0EEENS1_30default_config_static_selectorELNS0_4arch9wavefront6targetE1EEEvSF_,"axG",@progbits,_ZN7rocprim17ROCPRIM_400000_NS6detail17trampoline_kernelINS0_14default_configENS1_22reduce_config_selectorIiEEZNS1_11reduce_implILb1ES3_PiS7_iN6thrust23THRUST_200600_302600_NS4plusIiEEEE10hipError_tPvRmT1_T2_T3_mT4_P12ihipStream_tbEUlT_E0_NS1_11comp_targetILNS1_3genE8ELNS1_11target_archE1030ELNS1_3gpuE2ELNS1_3repE0EEENS1_30default_config_static_selectorELNS0_4arch9wavefront6targetE1EEEvSF_,comdat
	.protected	_ZN7rocprim17ROCPRIM_400000_NS6detail17trampoline_kernelINS0_14default_configENS1_22reduce_config_selectorIiEEZNS1_11reduce_implILb1ES3_PiS7_iN6thrust23THRUST_200600_302600_NS4plusIiEEEE10hipError_tPvRmT1_T2_T3_mT4_P12ihipStream_tbEUlT_E0_NS1_11comp_targetILNS1_3genE8ELNS1_11target_archE1030ELNS1_3gpuE2ELNS1_3repE0EEENS1_30default_config_static_selectorELNS0_4arch9wavefront6targetE1EEEvSF_ ; -- Begin function _ZN7rocprim17ROCPRIM_400000_NS6detail17trampoline_kernelINS0_14default_configENS1_22reduce_config_selectorIiEEZNS1_11reduce_implILb1ES3_PiS7_iN6thrust23THRUST_200600_302600_NS4plusIiEEEE10hipError_tPvRmT1_T2_T3_mT4_P12ihipStream_tbEUlT_E0_NS1_11comp_targetILNS1_3genE8ELNS1_11target_archE1030ELNS1_3gpuE2ELNS1_3repE0EEENS1_30default_config_static_selectorELNS0_4arch9wavefront6targetE1EEEvSF_
	.globl	_ZN7rocprim17ROCPRIM_400000_NS6detail17trampoline_kernelINS0_14default_configENS1_22reduce_config_selectorIiEEZNS1_11reduce_implILb1ES3_PiS7_iN6thrust23THRUST_200600_302600_NS4plusIiEEEE10hipError_tPvRmT1_T2_T3_mT4_P12ihipStream_tbEUlT_E0_NS1_11comp_targetILNS1_3genE8ELNS1_11target_archE1030ELNS1_3gpuE2ELNS1_3repE0EEENS1_30default_config_static_selectorELNS0_4arch9wavefront6targetE1EEEvSF_
	.p2align	8
	.type	_ZN7rocprim17ROCPRIM_400000_NS6detail17trampoline_kernelINS0_14default_configENS1_22reduce_config_selectorIiEEZNS1_11reduce_implILb1ES3_PiS7_iN6thrust23THRUST_200600_302600_NS4plusIiEEEE10hipError_tPvRmT1_T2_T3_mT4_P12ihipStream_tbEUlT_E0_NS1_11comp_targetILNS1_3genE8ELNS1_11target_archE1030ELNS1_3gpuE2ELNS1_3repE0EEENS1_30default_config_static_selectorELNS0_4arch9wavefront6targetE1EEEvSF_,@function
_ZN7rocprim17ROCPRIM_400000_NS6detail17trampoline_kernelINS0_14default_configENS1_22reduce_config_selectorIiEEZNS1_11reduce_implILb1ES3_PiS7_iN6thrust23THRUST_200600_302600_NS4plusIiEEEE10hipError_tPvRmT1_T2_T3_mT4_P12ihipStream_tbEUlT_E0_NS1_11comp_targetILNS1_3genE8ELNS1_11target_archE1030ELNS1_3gpuE2ELNS1_3repE0EEENS1_30default_config_static_selectorELNS0_4arch9wavefront6targetE1EEEvSF_: ; @_ZN7rocprim17ROCPRIM_400000_NS6detail17trampoline_kernelINS0_14default_configENS1_22reduce_config_selectorIiEEZNS1_11reduce_implILb1ES3_PiS7_iN6thrust23THRUST_200600_302600_NS4plusIiEEEE10hipError_tPvRmT1_T2_T3_mT4_P12ihipStream_tbEUlT_E0_NS1_11comp_targetILNS1_3genE8ELNS1_11target_archE1030ELNS1_3gpuE2ELNS1_3repE0EEENS1_30default_config_static_selectorELNS0_4arch9wavefront6targetE1EEEvSF_
; %bb.0:
	.section	.rodata,"a",@progbits
	.p2align	6, 0x0
	.amdhsa_kernel _ZN7rocprim17ROCPRIM_400000_NS6detail17trampoline_kernelINS0_14default_configENS1_22reduce_config_selectorIiEEZNS1_11reduce_implILb1ES3_PiS7_iN6thrust23THRUST_200600_302600_NS4plusIiEEEE10hipError_tPvRmT1_T2_T3_mT4_P12ihipStream_tbEUlT_E0_NS1_11comp_targetILNS1_3genE8ELNS1_11target_archE1030ELNS1_3gpuE2ELNS1_3repE0EEENS1_30default_config_static_selectorELNS0_4arch9wavefront6targetE1EEEvSF_
		.amdhsa_group_segment_fixed_size 0
		.amdhsa_private_segment_fixed_size 0
		.amdhsa_kernarg_size 56
		.amdhsa_user_sgpr_count 6
		.amdhsa_user_sgpr_private_segment_buffer 1
		.amdhsa_user_sgpr_dispatch_ptr 0
		.amdhsa_user_sgpr_queue_ptr 0
		.amdhsa_user_sgpr_kernarg_segment_ptr 1
		.amdhsa_user_sgpr_dispatch_id 0
		.amdhsa_user_sgpr_flat_scratch_init 0
		.amdhsa_user_sgpr_kernarg_preload_length 0
		.amdhsa_user_sgpr_kernarg_preload_offset 0
		.amdhsa_user_sgpr_private_segment_size 0
		.amdhsa_uses_dynamic_stack 0
		.amdhsa_system_sgpr_private_segment_wavefront_offset 0
		.amdhsa_system_sgpr_workgroup_id_x 1
		.amdhsa_system_sgpr_workgroup_id_y 0
		.amdhsa_system_sgpr_workgroup_id_z 0
		.amdhsa_system_sgpr_workgroup_info 0
		.amdhsa_system_vgpr_workitem_id 0
		.amdhsa_next_free_vgpr 1
		.amdhsa_next_free_sgpr 0
		.amdhsa_accum_offset 4
		.amdhsa_reserve_vcc 0
		.amdhsa_reserve_flat_scratch 0
		.amdhsa_float_round_mode_32 0
		.amdhsa_float_round_mode_16_64 0
		.amdhsa_float_denorm_mode_32 3
		.amdhsa_float_denorm_mode_16_64 3
		.amdhsa_dx10_clamp 1
		.amdhsa_ieee_mode 1
		.amdhsa_fp16_overflow 0
		.amdhsa_tg_split 0
		.amdhsa_exception_fp_ieee_invalid_op 0
		.amdhsa_exception_fp_denorm_src 0
		.amdhsa_exception_fp_ieee_div_zero 0
		.amdhsa_exception_fp_ieee_overflow 0
		.amdhsa_exception_fp_ieee_underflow 0
		.amdhsa_exception_fp_ieee_inexact 0
		.amdhsa_exception_int_div_zero 0
	.end_amdhsa_kernel
	.section	.text._ZN7rocprim17ROCPRIM_400000_NS6detail17trampoline_kernelINS0_14default_configENS1_22reduce_config_selectorIiEEZNS1_11reduce_implILb1ES3_PiS7_iN6thrust23THRUST_200600_302600_NS4plusIiEEEE10hipError_tPvRmT1_T2_T3_mT4_P12ihipStream_tbEUlT_E0_NS1_11comp_targetILNS1_3genE8ELNS1_11target_archE1030ELNS1_3gpuE2ELNS1_3repE0EEENS1_30default_config_static_selectorELNS0_4arch9wavefront6targetE1EEEvSF_,"axG",@progbits,_ZN7rocprim17ROCPRIM_400000_NS6detail17trampoline_kernelINS0_14default_configENS1_22reduce_config_selectorIiEEZNS1_11reduce_implILb1ES3_PiS7_iN6thrust23THRUST_200600_302600_NS4plusIiEEEE10hipError_tPvRmT1_T2_T3_mT4_P12ihipStream_tbEUlT_E0_NS1_11comp_targetILNS1_3genE8ELNS1_11target_archE1030ELNS1_3gpuE2ELNS1_3repE0EEENS1_30default_config_static_selectorELNS0_4arch9wavefront6targetE1EEEvSF_,comdat
.Lfunc_end326:
	.size	_ZN7rocprim17ROCPRIM_400000_NS6detail17trampoline_kernelINS0_14default_configENS1_22reduce_config_selectorIiEEZNS1_11reduce_implILb1ES3_PiS7_iN6thrust23THRUST_200600_302600_NS4plusIiEEEE10hipError_tPvRmT1_T2_T3_mT4_P12ihipStream_tbEUlT_E0_NS1_11comp_targetILNS1_3genE8ELNS1_11target_archE1030ELNS1_3gpuE2ELNS1_3repE0EEENS1_30default_config_static_selectorELNS0_4arch9wavefront6targetE1EEEvSF_, .Lfunc_end326-_ZN7rocprim17ROCPRIM_400000_NS6detail17trampoline_kernelINS0_14default_configENS1_22reduce_config_selectorIiEEZNS1_11reduce_implILb1ES3_PiS7_iN6thrust23THRUST_200600_302600_NS4plusIiEEEE10hipError_tPvRmT1_T2_T3_mT4_P12ihipStream_tbEUlT_E0_NS1_11comp_targetILNS1_3genE8ELNS1_11target_archE1030ELNS1_3gpuE2ELNS1_3repE0EEENS1_30default_config_static_selectorELNS0_4arch9wavefront6targetE1EEEvSF_
                                        ; -- End function
	.section	.AMDGPU.csdata,"",@progbits
; Kernel info:
; codeLenInByte = 0
; NumSgprs: 4
; NumVgprs: 0
; NumAgprs: 0
; TotalNumVgprs: 0
; ScratchSize: 0
; MemoryBound: 0
; FloatMode: 240
; IeeeMode: 1
; LDSByteSize: 0 bytes/workgroup (compile time only)
; SGPRBlocks: 0
; VGPRBlocks: 0
; NumSGPRsForWavesPerEU: 4
; NumVGPRsForWavesPerEU: 1
; AccumOffset: 4
; Occupancy: 8
; WaveLimiterHint : 0
; COMPUTE_PGM_RSRC2:SCRATCH_EN: 0
; COMPUTE_PGM_RSRC2:USER_SGPR: 6
; COMPUTE_PGM_RSRC2:TRAP_HANDLER: 0
; COMPUTE_PGM_RSRC2:TGID_X_EN: 1
; COMPUTE_PGM_RSRC2:TGID_Y_EN: 0
; COMPUTE_PGM_RSRC2:TGID_Z_EN: 0
; COMPUTE_PGM_RSRC2:TIDIG_COMP_CNT: 0
; COMPUTE_PGM_RSRC3_GFX90A:ACCUM_OFFSET: 0
; COMPUTE_PGM_RSRC3_GFX90A:TG_SPLIT: 0
	.section	.text._ZN7rocprim17ROCPRIM_400000_NS6detail17trampoline_kernelINS0_14default_configENS1_22reduce_config_selectorIiEEZNS1_11reduce_implILb1ES3_PiS7_iN6thrust23THRUST_200600_302600_NS4plusIiEEEE10hipError_tPvRmT1_T2_T3_mT4_P12ihipStream_tbEUlT_E1_NS1_11comp_targetILNS1_3genE0ELNS1_11target_archE4294967295ELNS1_3gpuE0ELNS1_3repE0EEENS1_30default_config_static_selectorELNS0_4arch9wavefront6targetE1EEEvSF_,"axG",@progbits,_ZN7rocprim17ROCPRIM_400000_NS6detail17trampoline_kernelINS0_14default_configENS1_22reduce_config_selectorIiEEZNS1_11reduce_implILb1ES3_PiS7_iN6thrust23THRUST_200600_302600_NS4plusIiEEEE10hipError_tPvRmT1_T2_T3_mT4_P12ihipStream_tbEUlT_E1_NS1_11comp_targetILNS1_3genE0ELNS1_11target_archE4294967295ELNS1_3gpuE0ELNS1_3repE0EEENS1_30default_config_static_selectorELNS0_4arch9wavefront6targetE1EEEvSF_,comdat
	.protected	_ZN7rocprim17ROCPRIM_400000_NS6detail17trampoline_kernelINS0_14default_configENS1_22reduce_config_selectorIiEEZNS1_11reduce_implILb1ES3_PiS7_iN6thrust23THRUST_200600_302600_NS4plusIiEEEE10hipError_tPvRmT1_T2_T3_mT4_P12ihipStream_tbEUlT_E1_NS1_11comp_targetILNS1_3genE0ELNS1_11target_archE4294967295ELNS1_3gpuE0ELNS1_3repE0EEENS1_30default_config_static_selectorELNS0_4arch9wavefront6targetE1EEEvSF_ ; -- Begin function _ZN7rocprim17ROCPRIM_400000_NS6detail17trampoline_kernelINS0_14default_configENS1_22reduce_config_selectorIiEEZNS1_11reduce_implILb1ES3_PiS7_iN6thrust23THRUST_200600_302600_NS4plusIiEEEE10hipError_tPvRmT1_T2_T3_mT4_P12ihipStream_tbEUlT_E1_NS1_11comp_targetILNS1_3genE0ELNS1_11target_archE4294967295ELNS1_3gpuE0ELNS1_3repE0EEENS1_30default_config_static_selectorELNS0_4arch9wavefront6targetE1EEEvSF_
	.globl	_ZN7rocprim17ROCPRIM_400000_NS6detail17trampoline_kernelINS0_14default_configENS1_22reduce_config_selectorIiEEZNS1_11reduce_implILb1ES3_PiS7_iN6thrust23THRUST_200600_302600_NS4plusIiEEEE10hipError_tPvRmT1_T2_T3_mT4_P12ihipStream_tbEUlT_E1_NS1_11comp_targetILNS1_3genE0ELNS1_11target_archE4294967295ELNS1_3gpuE0ELNS1_3repE0EEENS1_30default_config_static_selectorELNS0_4arch9wavefront6targetE1EEEvSF_
	.p2align	8
	.type	_ZN7rocprim17ROCPRIM_400000_NS6detail17trampoline_kernelINS0_14default_configENS1_22reduce_config_selectorIiEEZNS1_11reduce_implILb1ES3_PiS7_iN6thrust23THRUST_200600_302600_NS4plusIiEEEE10hipError_tPvRmT1_T2_T3_mT4_P12ihipStream_tbEUlT_E1_NS1_11comp_targetILNS1_3genE0ELNS1_11target_archE4294967295ELNS1_3gpuE0ELNS1_3repE0EEENS1_30default_config_static_selectorELNS0_4arch9wavefront6targetE1EEEvSF_,@function
_ZN7rocprim17ROCPRIM_400000_NS6detail17trampoline_kernelINS0_14default_configENS1_22reduce_config_selectorIiEEZNS1_11reduce_implILb1ES3_PiS7_iN6thrust23THRUST_200600_302600_NS4plusIiEEEE10hipError_tPvRmT1_T2_T3_mT4_P12ihipStream_tbEUlT_E1_NS1_11comp_targetILNS1_3genE0ELNS1_11target_archE4294967295ELNS1_3gpuE0ELNS1_3repE0EEENS1_30default_config_static_selectorELNS0_4arch9wavefront6targetE1EEEvSF_: ; @_ZN7rocprim17ROCPRIM_400000_NS6detail17trampoline_kernelINS0_14default_configENS1_22reduce_config_selectorIiEEZNS1_11reduce_implILb1ES3_PiS7_iN6thrust23THRUST_200600_302600_NS4plusIiEEEE10hipError_tPvRmT1_T2_T3_mT4_P12ihipStream_tbEUlT_E1_NS1_11comp_targetILNS1_3genE0ELNS1_11target_archE4294967295ELNS1_3gpuE0ELNS1_3repE0EEENS1_30default_config_static_selectorELNS0_4arch9wavefront6targetE1EEEvSF_
; %bb.0:
	.section	.rodata,"a",@progbits
	.p2align	6, 0x0
	.amdhsa_kernel _ZN7rocprim17ROCPRIM_400000_NS6detail17trampoline_kernelINS0_14default_configENS1_22reduce_config_selectorIiEEZNS1_11reduce_implILb1ES3_PiS7_iN6thrust23THRUST_200600_302600_NS4plusIiEEEE10hipError_tPvRmT1_T2_T3_mT4_P12ihipStream_tbEUlT_E1_NS1_11comp_targetILNS1_3genE0ELNS1_11target_archE4294967295ELNS1_3gpuE0ELNS1_3repE0EEENS1_30default_config_static_selectorELNS0_4arch9wavefront6targetE1EEEvSF_
		.amdhsa_group_segment_fixed_size 0
		.amdhsa_private_segment_fixed_size 0
		.amdhsa_kernarg_size 40
		.amdhsa_user_sgpr_count 6
		.amdhsa_user_sgpr_private_segment_buffer 1
		.amdhsa_user_sgpr_dispatch_ptr 0
		.amdhsa_user_sgpr_queue_ptr 0
		.amdhsa_user_sgpr_kernarg_segment_ptr 1
		.amdhsa_user_sgpr_dispatch_id 0
		.amdhsa_user_sgpr_flat_scratch_init 0
		.amdhsa_user_sgpr_kernarg_preload_length 0
		.amdhsa_user_sgpr_kernarg_preload_offset 0
		.amdhsa_user_sgpr_private_segment_size 0
		.amdhsa_uses_dynamic_stack 0
		.amdhsa_system_sgpr_private_segment_wavefront_offset 0
		.amdhsa_system_sgpr_workgroup_id_x 1
		.amdhsa_system_sgpr_workgroup_id_y 0
		.amdhsa_system_sgpr_workgroup_id_z 0
		.amdhsa_system_sgpr_workgroup_info 0
		.amdhsa_system_vgpr_workitem_id 0
		.amdhsa_next_free_vgpr 1
		.amdhsa_next_free_sgpr 0
		.amdhsa_accum_offset 4
		.amdhsa_reserve_vcc 0
		.amdhsa_reserve_flat_scratch 0
		.amdhsa_float_round_mode_32 0
		.amdhsa_float_round_mode_16_64 0
		.amdhsa_float_denorm_mode_32 3
		.amdhsa_float_denorm_mode_16_64 3
		.amdhsa_dx10_clamp 1
		.amdhsa_ieee_mode 1
		.amdhsa_fp16_overflow 0
		.amdhsa_tg_split 0
		.amdhsa_exception_fp_ieee_invalid_op 0
		.amdhsa_exception_fp_denorm_src 0
		.amdhsa_exception_fp_ieee_div_zero 0
		.amdhsa_exception_fp_ieee_overflow 0
		.amdhsa_exception_fp_ieee_underflow 0
		.amdhsa_exception_fp_ieee_inexact 0
		.amdhsa_exception_int_div_zero 0
	.end_amdhsa_kernel
	.section	.text._ZN7rocprim17ROCPRIM_400000_NS6detail17trampoline_kernelINS0_14default_configENS1_22reduce_config_selectorIiEEZNS1_11reduce_implILb1ES3_PiS7_iN6thrust23THRUST_200600_302600_NS4plusIiEEEE10hipError_tPvRmT1_T2_T3_mT4_P12ihipStream_tbEUlT_E1_NS1_11comp_targetILNS1_3genE0ELNS1_11target_archE4294967295ELNS1_3gpuE0ELNS1_3repE0EEENS1_30default_config_static_selectorELNS0_4arch9wavefront6targetE1EEEvSF_,"axG",@progbits,_ZN7rocprim17ROCPRIM_400000_NS6detail17trampoline_kernelINS0_14default_configENS1_22reduce_config_selectorIiEEZNS1_11reduce_implILb1ES3_PiS7_iN6thrust23THRUST_200600_302600_NS4plusIiEEEE10hipError_tPvRmT1_T2_T3_mT4_P12ihipStream_tbEUlT_E1_NS1_11comp_targetILNS1_3genE0ELNS1_11target_archE4294967295ELNS1_3gpuE0ELNS1_3repE0EEENS1_30default_config_static_selectorELNS0_4arch9wavefront6targetE1EEEvSF_,comdat
.Lfunc_end327:
	.size	_ZN7rocprim17ROCPRIM_400000_NS6detail17trampoline_kernelINS0_14default_configENS1_22reduce_config_selectorIiEEZNS1_11reduce_implILb1ES3_PiS7_iN6thrust23THRUST_200600_302600_NS4plusIiEEEE10hipError_tPvRmT1_T2_T3_mT4_P12ihipStream_tbEUlT_E1_NS1_11comp_targetILNS1_3genE0ELNS1_11target_archE4294967295ELNS1_3gpuE0ELNS1_3repE0EEENS1_30default_config_static_selectorELNS0_4arch9wavefront6targetE1EEEvSF_, .Lfunc_end327-_ZN7rocprim17ROCPRIM_400000_NS6detail17trampoline_kernelINS0_14default_configENS1_22reduce_config_selectorIiEEZNS1_11reduce_implILb1ES3_PiS7_iN6thrust23THRUST_200600_302600_NS4plusIiEEEE10hipError_tPvRmT1_T2_T3_mT4_P12ihipStream_tbEUlT_E1_NS1_11comp_targetILNS1_3genE0ELNS1_11target_archE4294967295ELNS1_3gpuE0ELNS1_3repE0EEENS1_30default_config_static_selectorELNS0_4arch9wavefront6targetE1EEEvSF_
                                        ; -- End function
	.section	.AMDGPU.csdata,"",@progbits
; Kernel info:
; codeLenInByte = 0
; NumSgprs: 4
; NumVgprs: 0
; NumAgprs: 0
; TotalNumVgprs: 0
; ScratchSize: 0
; MemoryBound: 0
; FloatMode: 240
; IeeeMode: 1
; LDSByteSize: 0 bytes/workgroup (compile time only)
; SGPRBlocks: 0
; VGPRBlocks: 0
; NumSGPRsForWavesPerEU: 4
; NumVGPRsForWavesPerEU: 1
; AccumOffset: 4
; Occupancy: 8
; WaveLimiterHint : 0
; COMPUTE_PGM_RSRC2:SCRATCH_EN: 0
; COMPUTE_PGM_RSRC2:USER_SGPR: 6
; COMPUTE_PGM_RSRC2:TRAP_HANDLER: 0
; COMPUTE_PGM_RSRC2:TGID_X_EN: 1
; COMPUTE_PGM_RSRC2:TGID_Y_EN: 0
; COMPUTE_PGM_RSRC2:TGID_Z_EN: 0
; COMPUTE_PGM_RSRC2:TIDIG_COMP_CNT: 0
; COMPUTE_PGM_RSRC3_GFX90A:ACCUM_OFFSET: 0
; COMPUTE_PGM_RSRC3_GFX90A:TG_SPLIT: 0
	.section	.text._ZN7rocprim17ROCPRIM_400000_NS6detail17trampoline_kernelINS0_14default_configENS1_22reduce_config_selectorIiEEZNS1_11reduce_implILb1ES3_PiS7_iN6thrust23THRUST_200600_302600_NS4plusIiEEEE10hipError_tPvRmT1_T2_T3_mT4_P12ihipStream_tbEUlT_E1_NS1_11comp_targetILNS1_3genE5ELNS1_11target_archE942ELNS1_3gpuE9ELNS1_3repE0EEENS1_30default_config_static_selectorELNS0_4arch9wavefront6targetE1EEEvSF_,"axG",@progbits,_ZN7rocprim17ROCPRIM_400000_NS6detail17trampoline_kernelINS0_14default_configENS1_22reduce_config_selectorIiEEZNS1_11reduce_implILb1ES3_PiS7_iN6thrust23THRUST_200600_302600_NS4plusIiEEEE10hipError_tPvRmT1_T2_T3_mT4_P12ihipStream_tbEUlT_E1_NS1_11comp_targetILNS1_3genE5ELNS1_11target_archE942ELNS1_3gpuE9ELNS1_3repE0EEENS1_30default_config_static_selectorELNS0_4arch9wavefront6targetE1EEEvSF_,comdat
	.protected	_ZN7rocprim17ROCPRIM_400000_NS6detail17trampoline_kernelINS0_14default_configENS1_22reduce_config_selectorIiEEZNS1_11reduce_implILb1ES3_PiS7_iN6thrust23THRUST_200600_302600_NS4plusIiEEEE10hipError_tPvRmT1_T2_T3_mT4_P12ihipStream_tbEUlT_E1_NS1_11comp_targetILNS1_3genE5ELNS1_11target_archE942ELNS1_3gpuE9ELNS1_3repE0EEENS1_30default_config_static_selectorELNS0_4arch9wavefront6targetE1EEEvSF_ ; -- Begin function _ZN7rocprim17ROCPRIM_400000_NS6detail17trampoline_kernelINS0_14default_configENS1_22reduce_config_selectorIiEEZNS1_11reduce_implILb1ES3_PiS7_iN6thrust23THRUST_200600_302600_NS4plusIiEEEE10hipError_tPvRmT1_T2_T3_mT4_P12ihipStream_tbEUlT_E1_NS1_11comp_targetILNS1_3genE5ELNS1_11target_archE942ELNS1_3gpuE9ELNS1_3repE0EEENS1_30default_config_static_selectorELNS0_4arch9wavefront6targetE1EEEvSF_
	.globl	_ZN7rocprim17ROCPRIM_400000_NS6detail17trampoline_kernelINS0_14default_configENS1_22reduce_config_selectorIiEEZNS1_11reduce_implILb1ES3_PiS7_iN6thrust23THRUST_200600_302600_NS4plusIiEEEE10hipError_tPvRmT1_T2_T3_mT4_P12ihipStream_tbEUlT_E1_NS1_11comp_targetILNS1_3genE5ELNS1_11target_archE942ELNS1_3gpuE9ELNS1_3repE0EEENS1_30default_config_static_selectorELNS0_4arch9wavefront6targetE1EEEvSF_
	.p2align	8
	.type	_ZN7rocprim17ROCPRIM_400000_NS6detail17trampoline_kernelINS0_14default_configENS1_22reduce_config_selectorIiEEZNS1_11reduce_implILb1ES3_PiS7_iN6thrust23THRUST_200600_302600_NS4plusIiEEEE10hipError_tPvRmT1_T2_T3_mT4_P12ihipStream_tbEUlT_E1_NS1_11comp_targetILNS1_3genE5ELNS1_11target_archE942ELNS1_3gpuE9ELNS1_3repE0EEENS1_30default_config_static_selectorELNS0_4arch9wavefront6targetE1EEEvSF_,@function
_ZN7rocprim17ROCPRIM_400000_NS6detail17trampoline_kernelINS0_14default_configENS1_22reduce_config_selectorIiEEZNS1_11reduce_implILb1ES3_PiS7_iN6thrust23THRUST_200600_302600_NS4plusIiEEEE10hipError_tPvRmT1_T2_T3_mT4_P12ihipStream_tbEUlT_E1_NS1_11comp_targetILNS1_3genE5ELNS1_11target_archE942ELNS1_3gpuE9ELNS1_3repE0EEENS1_30default_config_static_selectorELNS0_4arch9wavefront6targetE1EEEvSF_: ; @_ZN7rocprim17ROCPRIM_400000_NS6detail17trampoline_kernelINS0_14default_configENS1_22reduce_config_selectorIiEEZNS1_11reduce_implILb1ES3_PiS7_iN6thrust23THRUST_200600_302600_NS4plusIiEEEE10hipError_tPvRmT1_T2_T3_mT4_P12ihipStream_tbEUlT_E1_NS1_11comp_targetILNS1_3genE5ELNS1_11target_archE942ELNS1_3gpuE9ELNS1_3repE0EEENS1_30default_config_static_selectorELNS0_4arch9wavefront6targetE1EEEvSF_
; %bb.0:
	.section	.rodata,"a",@progbits
	.p2align	6, 0x0
	.amdhsa_kernel _ZN7rocprim17ROCPRIM_400000_NS6detail17trampoline_kernelINS0_14default_configENS1_22reduce_config_selectorIiEEZNS1_11reduce_implILb1ES3_PiS7_iN6thrust23THRUST_200600_302600_NS4plusIiEEEE10hipError_tPvRmT1_T2_T3_mT4_P12ihipStream_tbEUlT_E1_NS1_11comp_targetILNS1_3genE5ELNS1_11target_archE942ELNS1_3gpuE9ELNS1_3repE0EEENS1_30default_config_static_selectorELNS0_4arch9wavefront6targetE1EEEvSF_
		.amdhsa_group_segment_fixed_size 0
		.amdhsa_private_segment_fixed_size 0
		.amdhsa_kernarg_size 40
		.amdhsa_user_sgpr_count 6
		.amdhsa_user_sgpr_private_segment_buffer 1
		.amdhsa_user_sgpr_dispatch_ptr 0
		.amdhsa_user_sgpr_queue_ptr 0
		.amdhsa_user_sgpr_kernarg_segment_ptr 1
		.amdhsa_user_sgpr_dispatch_id 0
		.amdhsa_user_sgpr_flat_scratch_init 0
		.amdhsa_user_sgpr_kernarg_preload_length 0
		.amdhsa_user_sgpr_kernarg_preload_offset 0
		.amdhsa_user_sgpr_private_segment_size 0
		.amdhsa_uses_dynamic_stack 0
		.amdhsa_system_sgpr_private_segment_wavefront_offset 0
		.amdhsa_system_sgpr_workgroup_id_x 1
		.amdhsa_system_sgpr_workgroup_id_y 0
		.amdhsa_system_sgpr_workgroup_id_z 0
		.amdhsa_system_sgpr_workgroup_info 0
		.amdhsa_system_vgpr_workitem_id 0
		.amdhsa_next_free_vgpr 1
		.amdhsa_next_free_sgpr 0
		.amdhsa_accum_offset 4
		.amdhsa_reserve_vcc 0
		.amdhsa_reserve_flat_scratch 0
		.amdhsa_float_round_mode_32 0
		.amdhsa_float_round_mode_16_64 0
		.amdhsa_float_denorm_mode_32 3
		.amdhsa_float_denorm_mode_16_64 3
		.amdhsa_dx10_clamp 1
		.amdhsa_ieee_mode 1
		.amdhsa_fp16_overflow 0
		.amdhsa_tg_split 0
		.amdhsa_exception_fp_ieee_invalid_op 0
		.amdhsa_exception_fp_denorm_src 0
		.amdhsa_exception_fp_ieee_div_zero 0
		.amdhsa_exception_fp_ieee_overflow 0
		.amdhsa_exception_fp_ieee_underflow 0
		.amdhsa_exception_fp_ieee_inexact 0
		.amdhsa_exception_int_div_zero 0
	.end_amdhsa_kernel
	.section	.text._ZN7rocprim17ROCPRIM_400000_NS6detail17trampoline_kernelINS0_14default_configENS1_22reduce_config_selectorIiEEZNS1_11reduce_implILb1ES3_PiS7_iN6thrust23THRUST_200600_302600_NS4plusIiEEEE10hipError_tPvRmT1_T2_T3_mT4_P12ihipStream_tbEUlT_E1_NS1_11comp_targetILNS1_3genE5ELNS1_11target_archE942ELNS1_3gpuE9ELNS1_3repE0EEENS1_30default_config_static_selectorELNS0_4arch9wavefront6targetE1EEEvSF_,"axG",@progbits,_ZN7rocprim17ROCPRIM_400000_NS6detail17trampoline_kernelINS0_14default_configENS1_22reduce_config_selectorIiEEZNS1_11reduce_implILb1ES3_PiS7_iN6thrust23THRUST_200600_302600_NS4plusIiEEEE10hipError_tPvRmT1_T2_T3_mT4_P12ihipStream_tbEUlT_E1_NS1_11comp_targetILNS1_3genE5ELNS1_11target_archE942ELNS1_3gpuE9ELNS1_3repE0EEENS1_30default_config_static_selectorELNS0_4arch9wavefront6targetE1EEEvSF_,comdat
.Lfunc_end328:
	.size	_ZN7rocprim17ROCPRIM_400000_NS6detail17trampoline_kernelINS0_14default_configENS1_22reduce_config_selectorIiEEZNS1_11reduce_implILb1ES3_PiS7_iN6thrust23THRUST_200600_302600_NS4plusIiEEEE10hipError_tPvRmT1_T2_T3_mT4_P12ihipStream_tbEUlT_E1_NS1_11comp_targetILNS1_3genE5ELNS1_11target_archE942ELNS1_3gpuE9ELNS1_3repE0EEENS1_30default_config_static_selectorELNS0_4arch9wavefront6targetE1EEEvSF_, .Lfunc_end328-_ZN7rocprim17ROCPRIM_400000_NS6detail17trampoline_kernelINS0_14default_configENS1_22reduce_config_selectorIiEEZNS1_11reduce_implILb1ES3_PiS7_iN6thrust23THRUST_200600_302600_NS4plusIiEEEE10hipError_tPvRmT1_T2_T3_mT4_P12ihipStream_tbEUlT_E1_NS1_11comp_targetILNS1_3genE5ELNS1_11target_archE942ELNS1_3gpuE9ELNS1_3repE0EEENS1_30default_config_static_selectorELNS0_4arch9wavefront6targetE1EEEvSF_
                                        ; -- End function
	.section	.AMDGPU.csdata,"",@progbits
; Kernel info:
; codeLenInByte = 0
; NumSgprs: 4
; NumVgprs: 0
; NumAgprs: 0
; TotalNumVgprs: 0
; ScratchSize: 0
; MemoryBound: 0
; FloatMode: 240
; IeeeMode: 1
; LDSByteSize: 0 bytes/workgroup (compile time only)
; SGPRBlocks: 0
; VGPRBlocks: 0
; NumSGPRsForWavesPerEU: 4
; NumVGPRsForWavesPerEU: 1
; AccumOffset: 4
; Occupancy: 8
; WaveLimiterHint : 0
; COMPUTE_PGM_RSRC2:SCRATCH_EN: 0
; COMPUTE_PGM_RSRC2:USER_SGPR: 6
; COMPUTE_PGM_RSRC2:TRAP_HANDLER: 0
; COMPUTE_PGM_RSRC2:TGID_X_EN: 1
; COMPUTE_PGM_RSRC2:TGID_Y_EN: 0
; COMPUTE_PGM_RSRC2:TGID_Z_EN: 0
; COMPUTE_PGM_RSRC2:TIDIG_COMP_CNT: 0
; COMPUTE_PGM_RSRC3_GFX90A:ACCUM_OFFSET: 0
; COMPUTE_PGM_RSRC3_GFX90A:TG_SPLIT: 0
	.section	.text._ZN7rocprim17ROCPRIM_400000_NS6detail17trampoline_kernelINS0_14default_configENS1_22reduce_config_selectorIiEEZNS1_11reduce_implILb1ES3_PiS7_iN6thrust23THRUST_200600_302600_NS4plusIiEEEE10hipError_tPvRmT1_T2_T3_mT4_P12ihipStream_tbEUlT_E1_NS1_11comp_targetILNS1_3genE4ELNS1_11target_archE910ELNS1_3gpuE8ELNS1_3repE0EEENS1_30default_config_static_selectorELNS0_4arch9wavefront6targetE1EEEvSF_,"axG",@progbits,_ZN7rocprim17ROCPRIM_400000_NS6detail17trampoline_kernelINS0_14default_configENS1_22reduce_config_selectorIiEEZNS1_11reduce_implILb1ES3_PiS7_iN6thrust23THRUST_200600_302600_NS4plusIiEEEE10hipError_tPvRmT1_T2_T3_mT4_P12ihipStream_tbEUlT_E1_NS1_11comp_targetILNS1_3genE4ELNS1_11target_archE910ELNS1_3gpuE8ELNS1_3repE0EEENS1_30default_config_static_selectorELNS0_4arch9wavefront6targetE1EEEvSF_,comdat
	.protected	_ZN7rocprim17ROCPRIM_400000_NS6detail17trampoline_kernelINS0_14default_configENS1_22reduce_config_selectorIiEEZNS1_11reduce_implILb1ES3_PiS7_iN6thrust23THRUST_200600_302600_NS4plusIiEEEE10hipError_tPvRmT1_T2_T3_mT4_P12ihipStream_tbEUlT_E1_NS1_11comp_targetILNS1_3genE4ELNS1_11target_archE910ELNS1_3gpuE8ELNS1_3repE0EEENS1_30default_config_static_selectorELNS0_4arch9wavefront6targetE1EEEvSF_ ; -- Begin function _ZN7rocprim17ROCPRIM_400000_NS6detail17trampoline_kernelINS0_14default_configENS1_22reduce_config_selectorIiEEZNS1_11reduce_implILb1ES3_PiS7_iN6thrust23THRUST_200600_302600_NS4plusIiEEEE10hipError_tPvRmT1_T2_T3_mT4_P12ihipStream_tbEUlT_E1_NS1_11comp_targetILNS1_3genE4ELNS1_11target_archE910ELNS1_3gpuE8ELNS1_3repE0EEENS1_30default_config_static_selectorELNS0_4arch9wavefront6targetE1EEEvSF_
	.globl	_ZN7rocprim17ROCPRIM_400000_NS6detail17trampoline_kernelINS0_14default_configENS1_22reduce_config_selectorIiEEZNS1_11reduce_implILb1ES3_PiS7_iN6thrust23THRUST_200600_302600_NS4plusIiEEEE10hipError_tPvRmT1_T2_T3_mT4_P12ihipStream_tbEUlT_E1_NS1_11comp_targetILNS1_3genE4ELNS1_11target_archE910ELNS1_3gpuE8ELNS1_3repE0EEENS1_30default_config_static_selectorELNS0_4arch9wavefront6targetE1EEEvSF_
	.p2align	8
	.type	_ZN7rocprim17ROCPRIM_400000_NS6detail17trampoline_kernelINS0_14default_configENS1_22reduce_config_selectorIiEEZNS1_11reduce_implILb1ES3_PiS7_iN6thrust23THRUST_200600_302600_NS4plusIiEEEE10hipError_tPvRmT1_T2_T3_mT4_P12ihipStream_tbEUlT_E1_NS1_11comp_targetILNS1_3genE4ELNS1_11target_archE910ELNS1_3gpuE8ELNS1_3repE0EEENS1_30default_config_static_selectorELNS0_4arch9wavefront6targetE1EEEvSF_,@function
_ZN7rocprim17ROCPRIM_400000_NS6detail17trampoline_kernelINS0_14default_configENS1_22reduce_config_selectorIiEEZNS1_11reduce_implILb1ES3_PiS7_iN6thrust23THRUST_200600_302600_NS4plusIiEEEE10hipError_tPvRmT1_T2_T3_mT4_P12ihipStream_tbEUlT_E1_NS1_11comp_targetILNS1_3genE4ELNS1_11target_archE910ELNS1_3gpuE8ELNS1_3repE0EEENS1_30default_config_static_selectorELNS0_4arch9wavefront6targetE1EEEvSF_: ; @_ZN7rocprim17ROCPRIM_400000_NS6detail17trampoline_kernelINS0_14default_configENS1_22reduce_config_selectorIiEEZNS1_11reduce_implILb1ES3_PiS7_iN6thrust23THRUST_200600_302600_NS4plusIiEEEE10hipError_tPvRmT1_T2_T3_mT4_P12ihipStream_tbEUlT_E1_NS1_11comp_targetILNS1_3genE4ELNS1_11target_archE910ELNS1_3gpuE8ELNS1_3repE0EEENS1_30default_config_static_selectorELNS0_4arch9wavefront6targetE1EEEvSF_
; %bb.0:
	s_load_dword s33, s[4:5], 0x4
	s_load_dwordx4 s[36:39], s[4:5], 0x8
	s_waitcnt lgkmcnt(0)
	s_cmp_lt_i32 s33, 8
	s_cbranch_scc1 .LBB329_11
; %bb.1:
	s_cmp_gt_i32 s33, 15
	s_cbranch_scc0 .LBB329_12
; %bb.2:
	s_cmp_gt_i32 s33, 31
	s_cbranch_scc0 .LBB329_13
; %bb.3:
	s_cmp_eq_u32 s33, 32
	s_mov_b64 s[0:1], 0
	s_cbranch_scc0 .LBB329_14
; %bb.4:
	s_mov_b32 s7, 0
	s_lshl_b32 s8, s6, 12
	s_mov_b32 s9, s7
	s_lshr_b64 s[10:11], s[38:39], 12
	s_lshl_b64 s[2:3], s[8:9], 2
	s_add_u32 s2, s36, s2
	s_addc_u32 s3, s37, s3
	s_cmp_lg_u64 s[10:11], s[6:7]
	s_cbranch_scc0 .LBB329_23
; %bb.5:
	v_lshlrev_b32_e32 v1, 2, v0
	v_mov_b32_e32 v2, s3
	v_add_co_u32_e32 v4, vcc, s2, v1
	global_load_dword v6, v1, s[2:3]
	global_load_dword v7, v1, s[2:3] offset:512
	global_load_dword v8, v1, s[2:3] offset:1024
	;; [unrolled: 1-line block ×7, first 2 shown]
	v_addc_co_u32_e32 v5, vcc, 0, v2, vcc
	v_add_co_u32_e32 v2, vcc, 0x1000, v4
	v_addc_co_u32_e32 v3, vcc, 0, v5, vcc
	global_load_dword v1, v[2:3], off
	global_load_dword v14, v[2:3], off offset:512
	global_load_dword v15, v[2:3], off offset:1024
	global_load_dword v16, v[2:3], off offset:1536
	global_load_dword v17, v[2:3], off offset:2048
	global_load_dword v18, v[2:3], off offset:2560
	global_load_dword v19, v[2:3], off offset:3072
	global_load_dword v20, v[2:3], off offset:3584
	v_add_co_u32_e32 v2, vcc, 0x2000, v4
	v_addc_co_u32_e32 v3, vcc, 0, v5, vcc
	global_load_dword v21, v[2:3], off
	global_load_dword v22, v[2:3], off offset:512
	global_load_dword v23, v[2:3], off offset:1024
	global_load_dword v24, v[2:3], off offset:1536
	global_load_dword v25, v[2:3], off offset:2048
	global_load_dword v26, v[2:3], off offset:2560
	global_load_dword v27, v[2:3], off offset:3072
	global_load_dword v28, v[2:3], off offset:3584
	;; [unrolled: 10-line block ×3, first 2 shown]
	v_mbcnt_lo_u32_b32 v2, -1, 0
	v_mbcnt_hi_u32_b32 v2, -1, v2
	v_lshlrev_b32_e32 v3, 2, v2
	v_cmp_eq_u32_e32 vcc, 0, v2
	s_waitcnt vmcnt(30)
	v_add_u32_e32 v6, v7, v6
	s_waitcnt vmcnt(28)
	v_add3_u32 v6, v6, v8, v9
	s_waitcnt vmcnt(26)
	v_add3_u32 v6, v6, v10, v11
	;; [unrolled: 2-line block ×14, first 2 shown]
	v_or_b32_e32 v4, 0xfc, v3
	s_waitcnt vmcnt(0)
	v_add3_u32 v1, v1, v33, v34
	s_nop 1
	v_add_u32_dpp v1, v1, v1 quad_perm:[1,0,3,2] row_mask:0xf bank_mask:0xf bound_ctrl:1
	s_nop 1
	v_add_u32_dpp v1, v1, v1 quad_perm:[2,3,0,1] row_mask:0xf bank_mask:0xf bound_ctrl:1
	s_nop 1
	v_add_u32_dpp v1, v1, v1 row_ror:4 row_mask:0xf bank_mask:0xf bound_ctrl:1
	s_nop 1
	v_add_u32_dpp v1, v1, v1 row_ror:8 row_mask:0xf bank_mask:0xf bound_ctrl:1
	s_nop 1
	v_add_u32_dpp v1, v1, v1 row_bcast:15 row_mask:0xf bank_mask:0xf bound_ctrl:1
	s_nop 1
	v_add_u32_dpp v1, v1, v1 row_bcast:31 row_mask:0xf bank_mask:0xf bound_ctrl:1
	ds_bpermute_b32 v1, v4, v1
	s_and_saveexec_b64 s[10:11], vcc
	s_cbranch_execz .LBB329_7
; %bb.6:
	v_lshrrev_b32_e32 v4, 4, v0
	v_and_b32_e32 v4, 4, v4
	s_waitcnt lgkmcnt(0)
	ds_write_b32 v4, v1 offset:24
.LBB329_7:
	s_or_b64 exec, exec, s[10:11]
	v_cmp_gt_u32_e32 vcc, 64, v0
	s_waitcnt lgkmcnt(0)
	s_barrier
	s_and_saveexec_b64 s[10:11], vcc
	s_cbranch_execz .LBB329_9
; %bb.8:
	v_and_b32_e32 v1, 1, v2
	v_lshlrev_b32_e32 v1, 2, v1
	ds_read_b32 v1, v1 offset:24
	v_or_b32_e32 v2, 4, v3
	s_waitcnt lgkmcnt(0)
	ds_bpermute_b32 v2, v2, v1
	s_waitcnt lgkmcnt(0)
	v_add_u32_e32 v1, v2, v1
.LBB329_9:
	s_or_b64 exec, exec, s[10:11]
.LBB329_10:
	v_cmp_eq_u32_e64 s[2:3], 0, v0
	s_and_b64 vcc, exec, s[0:1]
	s_cbranch_vccnz .LBB329_15
	s_branch .LBB329_93
.LBB329_11:
	s_mov_b64 s[2:3], 0
                                        ; implicit-def: $vgpr1
	s_cbranch_execnz .LBB329_166
	s_branch .LBB329_224
.LBB329_12:
	s_mov_b64 s[2:3], 0
                                        ; implicit-def: $vgpr1
	s_cbranch_execnz .LBB329_134
	s_branch .LBB329_142
.LBB329_13:
	s_mov_b64 s[0:1], -1
.LBB329_14:
	s_mov_b64 s[2:3], 0
                                        ; implicit-def: $vgpr1
	s_and_b64 vcc, exec, s[0:1]
	s_cbranch_vccz .LBB329_93
.LBB329_15:
	s_cmp_eq_u32 s33, 16
	s_cbranch_scc0 .LBB329_22
; %bb.16:
	s_mov_b32 s7, 0
	s_lshl_b32 s0, s6, 11
	s_mov_b32 s1, s7
	s_lshr_b64 s[2:3], s[38:39], 11
	s_lshl_b64 s[8:9], s[0:1], 2
	s_add_u32 s34, s36, s8
	s_addc_u32 s35, s37, s9
	s_cmp_lg_u64 s[2:3], s[6:7]
	s_cbranch_scc0 .LBB329_94
; %bb.17:
	v_lshlrev_b32_e32 v1, 2, v0
	v_mov_b32_e32 v2, s35
	v_add_co_u32_e32 v3, vcc, s34, v1
	global_load_dword v5, v1, s[34:35]
	global_load_dword v6, v1, s[34:35] offset:512
	global_load_dword v7, v1, s[34:35] offset:1024
	;; [unrolled: 1-line block ×7, first 2 shown]
	v_addc_co_u32_e32 v4, vcc, 0, v2, vcc
	v_add_co_u32_e32 v2, vcc, 0x1000, v3
	v_addc_co_u32_e32 v3, vcc, 0, v4, vcc
	global_load_dword v1, v[2:3], off
	global_load_dword v4, v[2:3], off offset:512
	global_load_dword v13, v[2:3], off offset:1024
	;; [unrolled: 1-line block ×7, first 2 shown]
	v_mbcnt_lo_u32_b32 v2, -1, 0
	v_mbcnt_hi_u32_b32 v2, -1, v2
	v_lshlrev_b32_e32 v3, 2, v2
	v_cmp_eq_u32_e32 vcc, 0, v2
	s_waitcnt vmcnt(14)
	v_add_u32_e32 v5, v6, v5
	s_waitcnt vmcnt(12)
	v_add3_u32 v5, v5, v7, v8
	s_waitcnt vmcnt(10)
	v_add3_u32 v5, v5, v9, v10
	;; [unrolled: 2-line block ×4, first 2 shown]
	v_or_b32_e32 v4, 0xfc, v3
	s_waitcnt vmcnt(4)
	v_add3_u32 v1, v1, v13, v14
	s_waitcnt vmcnt(2)
	v_add3_u32 v1, v1, v15, v16
	;; [unrolled: 2-line block ×3, first 2 shown]
	s_nop 1
	v_add_u32_dpp v1, v1, v1 quad_perm:[1,0,3,2] row_mask:0xf bank_mask:0xf bound_ctrl:1
	s_nop 1
	v_add_u32_dpp v1, v1, v1 quad_perm:[2,3,0,1] row_mask:0xf bank_mask:0xf bound_ctrl:1
	s_nop 1
	v_add_u32_dpp v1, v1, v1 row_ror:4 row_mask:0xf bank_mask:0xf bound_ctrl:1
	s_nop 1
	v_add_u32_dpp v1, v1, v1 row_ror:8 row_mask:0xf bank_mask:0xf bound_ctrl:1
	s_nop 1
	v_add_u32_dpp v1, v1, v1 row_bcast:15 row_mask:0xf bank_mask:0xf bound_ctrl:1
	s_nop 1
	v_add_u32_dpp v1, v1, v1 row_bcast:31 row_mask:0xf bank_mask:0xf bound_ctrl:1
	ds_bpermute_b32 v1, v4, v1
	s_and_saveexec_b64 s[2:3], vcc
	s_cbranch_execz .LBB329_19
; %bb.18:
	v_lshrrev_b32_e32 v4, 4, v0
	v_and_b32_e32 v4, 4, v4
	s_waitcnt lgkmcnt(0)
	ds_write_b32 v4, v1
.LBB329_19:
	s_or_b64 exec, exec, s[2:3]
	v_cmp_gt_u32_e32 vcc, 64, v0
	s_waitcnt lgkmcnt(0)
	s_barrier
	s_and_saveexec_b64 s[2:3], vcc
	s_cbranch_execz .LBB329_21
; %bb.20:
	v_and_b32_e32 v1, 1, v2
	v_lshlrev_b32_e32 v1, 2, v1
	ds_read_b32 v1, v1
	v_or_b32_e32 v2, 4, v3
	s_waitcnt lgkmcnt(0)
	ds_bpermute_b32 v2, v2, v1
	s_waitcnt lgkmcnt(0)
	v_add_u32_e32 v1, v2, v1
.LBB329_21:
	s_or_b64 exec, exec, s[2:3]
	s_mov_b64 s[2:3], 0
	s_branch .LBB329_95
.LBB329_22:
                                        ; implicit-def: $vgpr1
	s_branch .LBB329_142
.LBB329_23:
                                        ; implicit-def: $vgpr1
	s_cbranch_execz .LBB329_10
; %bb.24:
	s_sub_i32 s10, s38, s8
	v_cmp_gt_u32_e32 vcc, s10, v0
                                        ; implicit-def: $vgpr1
	s_and_saveexec_b64 s[8:9], vcc
	s_cbranch_execz .LBB329_26
; %bb.25:
	v_lshlrev_b32_e32 v1, 2, v0
	global_load_dword v1, v1, s[2:3]
.LBB329_26:
	s_or_b64 exec, exec, s[8:9]
	v_or_b32_e32 v2, 0x80, v0
	v_cmp_gt_u32_e32 vcc, s10, v2
	v_mov_b32_e32 v2, 0
	v_mov_b32_e32 v3, 0
	s_and_saveexec_b64 s[8:9], vcc
	s_cbranch_execz .LBB329_28
; %bb.27:
	v_lshlrev_b32_e32 v3, 2, v0
	global_load_dword v3, v3, s[2:3] offset:512
.LBB329_28:
	s_or_b64 exec, exec, s[8:9]
	v_or_b32_e32 v4, 0x100, v0
	v_cmp_gt_u32_e32 vcc, s10, v4
	s_and_saveexec_b64 s[8:9], vcc
	s_cbranch_execz .LBB329_30
; %bb.29:
	v_lshlrev_b32_e32 v2, 2, v0
	global_load_dword v2, v2, s[2:3] offset:1024
.LBB329_30:
	s_or_b64 exec, exec, s[8:9]
	v_or_b32_e32 v4, 0x180, v0
	v_cmp_gt_u32_e32 vcc, s10, v4
	v_mov_b32_e32 v4, 0
	v_mov_b32_e32 v5, 0
	s_and_saveexec_b64 s[8:9], vcc
	s_cbranch_execz .LBB329_32
; %bb.31:
	v_lshlrev_b32_e32 v5, 2, v0
	global_load_dword v5, v5, s[2:3] offset:1536
.LBB329_32:
	s_or_b64 exec, exec, s[8:9]
	v_or_b32_e32 v6, 0x200, v0
	v_cmp_gt_u32_e32 vcc, s10, v6
	s_and_saveexec_b64 s[8:9], vcc
	s_cbranch_execz .LBB329_34
; %bb.33:
	v_lshlrev_b32_e32 v4, 2, v0
	global_load_dword v4, v4, s[2:3] offset:2048
.LBB329_34:
	;; [unrolled: 20-line block ×3, first 2 shown]
	s_or_b64 exec, exec, s[8:9]
	v_or_b32_e32 v8, 0x380, v0
	v_cmp_gt_u32_e32 vcc, s10, v8
	v_mov_b32_e32 v8, 0
	v_mov_b32_e32 v9, 0
	s_and_saveexec_b64 s[8:9], vcc
	s_cbranch_execz .LBB329_40
; %bb.39:
	v_lshlrev_b32_e32 v9, 2, v0
	global_load_dword v9, v9, s[2:3] offset:3584
.LBB329_40:
	s_or_b64 exec, exec, s[8:9]
	v_or_b32_e32 v10, 0x400, v0
	v_cmp_gt_u32_e32 vcc, s10, v10
	s_and_saveexec_b64 s[8:9], vcc
	s_cbranch_execz .LBB329_42
; %bb.41:
	v_lshlrev_b32_e32 v8, 2, v10
	global_load_dword v8, v8, s[2:3]
.LBB329_42:
	s_or_b64 exec, exec, s[8:9]
	v_or_b32_e32 v12, 0x480, v0
	v_cmp_gt_u32_e32 vcc, s10, v12
	v_mov_b32_e32 v10, 0
	v_mov_b32_e32 v11, 0
	s_and_saveexec_b64 s[8:9], vcc
	s_cbranch_execz .LBB329_44
; %bb.43:
	v_lshlrev_b32_e32 v11, 2, v12
	global_load_dword v11, v11, s[2:3]
.LBB329_44:
	s_or_b64 exec, exec, s[8:9]
	v_or_b32_e32 v12, 0x500, v0
	v_cmp_gt_u32_e32 vcc, s10, v12
	s_and_saveexec_b64 s[8:9], vcc
	s_cbranch_execz .LBB329_46
; %bb.45:
	v_lshlrev_b32_e32 v10, 2, v12
	global_load_dword v10, v10, s[2:3]
.LBB329_46:
	s_or_b64 exec, exec, s[8:9]
	v_or_b32_e32 v14, 0x580, v0
	v_cmp_gt_u32_e32 vcc, s10, v14
	v_mov_b32_e32 v12, 0
	v_mov_b32_e32 v13, 0
	s_and_saveexec_b64 s[8:9], vcc
	s_cbranch_execz .LBB329_48
; %bb.47:
	v_lshlrev_b32_e32 v13, 2, v14
	global_load_dword v13, v13, s[2:3]
.LBB329_48:
	;; [unrolled: 20-line block ×11, first 2 shown]
	s_or_b64 exec, exec, s[8:9]
	v_or_b32_e32 v32, 0xf00, v0
	v_cmp_gt_u32_e32 vcc, s10, v32
	s_and_saveexec_b64 s[8:9], vcc
	s_cbranch_execz .LBB329_86
; %bb.85:
	v_lshlrev_b32_e32 v30, 2, v32
	global_load_dword v30, v30, s[2:3]
.LBB329_86:
	s_or_b64 exec, exec, s[8:9]
	v_or_b32_e32 v33, 0xf80, v0
	v_cmp_gt_u32_e32 vcc, s10, v33
	v_mov_b32_e32 v32, 0
	s_and_saveexec_b64 s[8:9], vcc
	s_cbranch_execz .LBB329_88
; %bb.87:
	v_lshlrev_b32_e32 v32, 2, v33
	global_load_dword v32, v32, s[2:3]
.LBB329_88:
	s_or_b64 exec, exec, s[8:9]
	s_waitcnt vmcnt(0)
	v_add_u32_e32 v1, v3, v1
	v_add3_u32 v1, v1, v2, v5
	v_add3_u32 v1, v1, v4, v7
	;; [unrolled: 1-line block ×10, first 2 shown]
	v_mbcnt_lo_u32_b32 v2, -1, 0
	v_add3_u32 v1, v1, v22, v25
	v_mbcnt_hi_u32_b32 v2, -1, v2
	v_add3_u32 v1, v1, v24, v27
	v_and_b32_e32 v3, 63, v2
	v_add3_u32 v1, v1, v26, v29
	v_cmp_ne_u32_e32 vcc, 63, v3
	v_add3_u32 v1, v1, v28, v31
	v_addc_co_u32_e32 v4, vcc, 0, v2, vcc
	v_add3_u32 v1, v1, v30, v32
	v_lshlrev_b32_e32 v4, 2, v4
	ds_bpermute_b32 v4, v4, v1
	s_min_u32 s8, s10, 0x80
	v_and_b32_e32 v5, 64, v0
	v_sub_u32_e64 v5, s8, v5 clamp
	v_add_u32_e32 v6, 1, v3
	v_cmp_lt_u32_e32 vcc, v6, v5
	s_waitcnt lgkmcnt(0)
	v_cndmask_b32_e32 v4, 0, v4, vcc
	v_cmp_gt_u32_e32 vcc, 62, v3
	v_add_u32_e32 v1, v4, v1
	v_cndmask_b32_e64 v4, 0, 1, vcc
	v_lshlrev_b32_e32 v4, 1, v4
	v_add_lshl_u32 v4, v4, v2, 2
	ds_bpermute_b32 v4, v4, v1
	v_add_u32_e32 v6, 2, v3
	v_cmp_lt_u32_e32 vcc, v6, v5
	v_add_u32_e32 v6, 4, v3
	s_waitcnt lgkmcnt(0)
	v_cndmask_b32_e32 v4, 0, v4, vcc
	v_cmp_gt_u32_e32 vcc, 60, v3
	v_add_u32_e32 v1, v1, v4
	v_cndmask_b32_e64 v4, 0, 1, vcc
	v_lshlrev_b32_e32 v4, 2, v4
	v_add_lshl_u32 v4, v4, v2, 2
	ds_bpermute_b32 v4, v4, v1
	v_cmp_lt_u32_e32 vcc, v6, v5
	v_add_u32_e32 v6, 8, v3
	s_waitcnt lgkmcnt(0)
	v_cndmask_b32_e32 v4, 0, v4, vcc
	v_cmp_gt_u32_e32 vcc, 56, v3
	v_add_u32_e32 v1, v1, v4
	v_cndmask_b32_e64 v4, 0, 1, vcc
	v_lshlrev_b32_e32 v4, 3, v4
	v_add_lshl_u32 v4, v4, v2, 2
	ds_bpermute_b32 v4, v4, v1
	;; [unrolled: 10-line block ×3, first 2 shown]
	v_cmp_lt_u32_e32 vcc, v6, v5
	s_waitcnt lgkmcnt(0)
	v_cndmask_b32_e32 v4, 0, v4, vcc
	v_cmp_gt_u32_e32 vcc, 32, v3
	v_add_u32_e32 v1, v1, v4
	v_cndmask_b32_e64 v4, 0, 1, vcc
	v_lshlrev_b32_e32 v4, 5, v4
	v_add_lshl_u32 v4, v4, v2, 2
	ds_bpermute_b32 v4, v4, v1
	v_add_u32_e32 v3, 32, v3
	v_cmp_lt_u32_e32 vcc, v3, v5
	s_waitcnt lgkmcnt(0)
	v_cndmask_b32_e32 v3, 0, v4, vcc
	v_add_u32_e32 v1, v1, v3
	v_cmp_eq_u32_e32 vcc, 0, v2
	s_and_saveexec_b64 s[2:3], vcc
	s_cbranch_execz .LBB329_90
; %bb.89:
	v_lshrrev_b32_e32 v3, 4, v0
	v_and_b32_e32 v3, 4, v3
	ds_write_b32 v3, v1 offset:48
.LBB329_90:
	s_or_b64 exec, exec, s[2:3]
	v_cmp_gt_u32_e32 vcc, 2, v0
	s_waitcnt lgkmcnt(0)
	s_barrier
	s_and_saveexec_b64 s[2:3], vcc
	s_cbranch_execz .LBB329_92
; %bb.91:
	v_lshlrev_b32_e32 v1, 2, v2
	ds_read_b32 v3, v1 offset:48
	v_or_b32_e32 v1, 4, v1
	s_add_i32 s8, s8, 63
	v_and_b32_e32 v2, 1, v2
	s_lshr_b32 s8, s8, 6
	s_waitcnt lgkmcnt(0)
	ds_bpermute_b32 v1, v1, v3
	v_add_u32_e32 v2, 1, v2
	v_cmp_gt_u32_e32 vcc, s8, v2
	s_waitcnt lgkmcnt(0)
	v_cndmask_b32_e32 v1, 0, v1, vcc
	v_add_u32_e32 v1, v1, v3
.LBB329_92:
	s_or_b64 exec, exec, s[2:3]
	v_cmp_eq_u32_e64 s[2:3], 0, v0
	s_and_b64 vcc, exec, s[0:1]
	s_cbranch_vccnz .LBB329_15
.LBB329_93:
	s_branch .LBB329_142
.LBB329_94:
	s_mov_b64 s[2:3], -1
                                        ; implicit-def: $vgpr1
.LBB329_95:
	s_and_b64 vcc, exec, s[2:3]
	s_cbranch_vccz .LBB329_133
; %bb.96:
	s_sub_i32 s42, s38, s0
	v_cmp_gt_u32_e32 vcc, s42, v0
                                        ; implicit-def: $vgpr2_vgpr3_vgpr4_vgpr5_vgpr6_vgpr7_vgpr8_vgpr9_vgpr10_vgpr11_vgpr12_vgpr13_vgpr14_vgpr15_vgpr16_vgpr17
	s_and_saveexec_b64 s[0:1], vcc
	s_cbranch_execz .LBB329_98
; %bb.97:
	v_lshlrev_b32_e32 v1, 2, v0
	global_load_dword v2, v1, s[34:35]
.LBB329_98:
	s_or_b64 exec, exec, s[0:1]
	v_or_b32_e32 v1, 0x80, v0
	v_cmp_gt_u32_e32 vcc, s42, v1
	s_and_saveexec_b64 s[0:1], vcc
	s_cbranch_execz .LBB329_100
; %bb.99:
	v_lshlrev_b32_e32 v1, 2, v0
	global_load_dword v3, v1, s[34:35] offset:512
.LBB329_100:
	s_or_b64 exec, exec, s[0:1]
	v_or_b32_e32 v1, 0x100, v0
	v_cmp_gt_u32_e64 s[0:1], s42, v1
	s_and_saveexec_b64 s[2:3], s[0:1]
	s_cbranch_execz .LBB329_102
; %bb.101:
	v_lshlrev_b32_e32 v1, 2, v0
	global_load_dword v4, v1, s[34:35] offset:1024
.LBB329_102:
	s_or_b64 exec, exec, s[2:3]
	v_or_b32_e32 v1, 0x180, v0
	v_cmp_gt_u32_e64 s[2:3], s42, v1
	s_and_saveexec_b64 s[8:9], s[2:3]
	;; [unrolled: 9-line block ×7, first 2 shown]
	s_cbranch_execz .LBB329_114
; %bb.113:
	v_lshlrev_b32_e32 v1, 2, v1
	global_load_dword v10, v1, s[34:35]
.LBB329_114:
	s_or_b64 exec, exec, s[18:19]
	v_or_b32_e32 v1, 0x480, v0
	v_cmp_gt_u32_e64 s[18:19], s42, v1
	s_and_saveexec_b64 s[20:21], s[18:19]
	s_cbranch_execz .LBB329_116
; %bb.115:
	v_lshlrev_b32_e32 v1, 2, v1
	global_load_dword v11, v1, s[34:35]
.LBB329_116:
	s_or_b64 exec, exec, s[20:21]
	v_or_b32_e32 v1, 0x500, v0
	v_cmp_gt_u32_e64 s[20:21], s42, v1
	s_and_saveexec_b64 s[22:23], s[20:21]
	;; [unrolled: 9-line block ×7, first 2 shown]
	s_cbranch_execz .LBB329_128
; %bb.127:
	v_lshlrev_b32_e32 v1, 2, v1
	global_load_dword v17, v1, s[34:35]
.LBB329_128:
	s_or_b64 exec, exec, s[40:41]
	s_waitcnt vmcnt(0)
	v_cndmask_b32_e32 v1, 0, v3, vcc
	v_add_u32_e32 v1, v1, v2
	v_cndmask_b32_e64 v2, 0, v4, s[0:1]
	v_cndmask_b32_e64 v3, 0, v5, s[2:3]
	v_add3_u32 v1, v1, v2, v3
	v_cndmask_b32_e64 v2, 0, v6, s[8:9]
	v_cndmask_b32_e64 v3, 0, v7, s[10:11]
	v_add3_u32 v1, v1, v2, v3
	;; [unrolled: 3-line block ×7, first 2 shown]
	v_mbcnt_lo_u32_b32 v2, -1, 0
	v_mbcnt_hi_u32_b32 v2, -1, v2
	v_and_b32_e32 v3, 63, v2
	v_cmp_ne_u32_e32 vcc, 63, v3
	v_addc_co_u32_e32 v4, vcc, 0, v2, vcc
	v_lshlrev_b32_e32 v4, 2, v4
	ds_bpermute_b32 v4, v4, v1
	s_min_u32 s2, s42, 0x80
	v_and_b32_e32 v5, 64, v0
	v_sub_u32_e64 v5, s2, v5 clamp
	v_add_u32_e32 v6, 1, v3
	v_cmp_lt_u32_e32 vcc, v6, v5
	s_waitcnt lgkmcnt(0)
	v_cndmask_b32_e32 v4, 0, v4, vcc
	v_cmp_gt_u32_e32 vcc, 62, v3
	v_add_u32_e32 v1, v1, v4
	v_cndmask_b32_e64 v4, 0, 1, vcc
	v_lshlrev_b32_e32 v4, 1, v4
	v_add_lshl_u32 v4, v4, v2, 2
	ds_bpermute_b32 v4, v4, v1
	v_add_u32_e32 v6, 2, v3
	v_cmp_lt_u32_e32 vcc, v6, v5
	v_add_u32_e32 v6, 4, v3
	s_waitcnt lgkmcnt(0)
	v_cndmask_b32_e32 v4, 0, v4, vcc
	v_cmp_gt_u32_e32 vcc, 60, v3
	v_add_u32_e32 v1, v1, v4
	v_cndmask_b32_e64 v4, 0, 1, vcc
	v_lshlrev_b32_e32 v4, 2, v4
	v_add_lshl_u32 v4, v4, v2, 2
	ds_bpermute_b32 v4, v4, v1
	v_cmp_lt_u32_e32 vcc, v6, v5
	v_add_u32_e32 v6, 8, v3
	s_waitcnt lgkmcnt(0)
	v_cndmask_b32_e32 v4, 0, v4, vcc
	v_cmp_gt_u32_e32 vcc, 56, v3
	v_add_u32_e32 v1, v1, v4
	v_cndmask_b32_e64 v4, 0, 1, vcc
	v_lshlrev_b32_e32 v4, 3, v4
	v_add_lshl_u32 v4, v4, v2, 2
	ds_bpermute_b32 v4, v4, v1
	;; [unrolled: 10-line block ×3, first 2 shown]
	v_cmp_lt_u32_e32 vcc, v6, v5
	s_waitcnt lgkmcnt(0)
	v_cndmask_b32_e32 v4, 0, v4, vcc
	v_cmp_gt_u32_e32 vcc, 32, v3
	v_add_u32_e32 v1, v1, v4
	v_cndmask_b32_e64 v4, 0, 1, vcc
	v_lshlrev_b32_e32 v4, 5, v4
	v_add_lshl_u32 v4, v4, v2, 2
	ds_bpermute_b32 v4, v4, v1
	v_add_u32_e32 v3, 32, v3
	v_cmp_lt_u32_e32 vcc, v3, v5
	s_waitcnt lgkmcnt(0)
	v_cndmask_b32_e32 v3, 0, v4, vcc
	v_add_u32_e32 v1, v1, v3
	v_cmp_eq_u32_e32 vcc, 0, v2
	s_and_saveexec_b64 s[0:1], vcc
	s_cbranch_execz .LBB329_130
; %bb.129:
	v_lshrrev_b32_e32 v3, 4, v0
	v_and_b32_e32 v3, 4, v3
	ds_write_b32 v3, v1 offset:48
.LBB329_130:
	s_or_b64 exec, exec, s[0:1]
	v_cmp_gt_u32_e32 vcc, 2, v0
	s_waitcnt lgkmcnt(0)
	s_barrier
	s_and_saveexec_b64 s[0:1], vcc
	s_cbranch_execz .LBB329_132
; %bb.131:
	v_lshlrev_b32_e32 v1, 2, v2
	ds_read_b32 v3, v1 offset:48
	v_or_b32_e32 v1, 4, v1
	s_add_i32 s2, s2, 63
	v_and_b32_e32 v2, 1, v2
	s_lshr_b32 s2, s2, 6
	s_waitcnt lgkmcnt(0)
	ds_bpermute_b32 v1, v1, v3
	v_add_u32_e32 v2, 1, v2
	v_cmp_gt_u32_e32 vcc, s2, v2
	s_waitcnt lgkmcnt(0)
	v_cndmask_b32_e32 v1, 0, v1, vcc
	v_add_u32_e32 v1, v1, v3
.LBB329_132:
	s_or_b64 exec, exec, s[0:1]
.LBB329_133:
	v_cmp_eq_u32_e64 s[2:3], 0, v0
	s_branch .LBB329_142
.LBB329_134:
	s_cmp_eq_u32 s33, 8
	s_cbranch_scc0 .LBB329_141
; %bb.135:
	s_mov_b32 s7, 0
	s_lshl_b32 s0, s6, 10
	s_mov_b32 s1, s7
	s_lshr_b64 s[2:3], s[38:39], 10
	s_lshl_b64 s[8:9], s[0:1], 2
	s_add_u32 s16, s36, s8
	s_addc_u32 s17, s37, s9
	s_cmp_lg_u64 s[2:3], s[6:7]
	s_cbranch_scc0 .LBB329_143
; %bb.136:
	v_lshlrev_b32_e32 v1, 2, v0
	global_load_dword v4, v1, s[16:17]
	global_load_dword v5, v1, s[16:17] offset:512
	global_load_dword v6, v1, s[16:17] offset:1024
	;; [unrolled: 1-line block ×7, first 2 shown]
	v_mbcnt_lo_u32_b32 v1, -1, 0
	v_mbcnt_hi_u32_b32 v2, -1, v1
	v_lshlrev_b32_e32 v3, 2, v2
	v_cmp_eq_u32_e32 vcc, 0, v2
	s_waitcnt vmcnt(6)
	v_add_u32_e32 v1, v5, v4
	v_or_b32_e32 v4, 0xfc, v3
	s_waitcnt vmcnt(4)
	v_add3_u32 v1, v1, v6, v7
	s_waitcnt vmcnt(2)
	v_add3_u32 v1, v1, v8, v9
	;; [unrolled: 2-line block ×3, first 2 shown]
	s_nop 1
	v_add_u32_dpp v1, v1, v1 quad_perm:[1,0,3,2] row_mask:0xf bank_mask:0xf bound_ctrl:1
	s_nop 1
	v_add_u32_dpp v1, v1, v1 quad_perm:[2,3,0,1] row_mask:0xf bank_mask:0xf bound_ctrl:1
	s_nop 1
	v_add_u32_dpp v1, v1, v1 row_ror:4 row_mask:0xf bank_mask:0xf bound_ctrl:1
	s_nop 1
	v_add_u32_dpp v1, v1, v1 row_ror:8 row_mask:0xf bank_mask:0xf bound_ctrl:1
	s_nop 1
	v_add_u32_dpp v1, v1, v1 row_bcast:15 row_mask:0xf bank_mask:0xf bound_ctrl:1
	s_nop 1
	v_add_u32_dpp v1, v1, v1 row_bcast:31 row_mask:0xf bank_mask:0xf bound_ctrl:1
	ds_bpermute_b32 v1, v4, v1
	s_and_saveexec_b64 s[2:3], vcc
	s_cbranch_execz .LBB329_138
; %bb.137:
	v_lshrrev_b32_e32 v4, 4, v0
	v_and_b32_e32 v4, 4, v4
	s_waitcnt lgkmcnt(0)
	ds_write_b32 v4, v1 offset:40
.LBB329_138:
	s_or_b64 exec, exec, s[2:3]
	v_cmp_gt_u32_e32 vcc, 64, v0
	s_waitcnt lgkmcnt(0)
	s_barrier
	s_and_saveexec_b64 s[2:3], vcc
	s_cbranch_execz .LBB329_140
; %bb.139:
	v_and_b32_e32 v1, 1, v2
	v_lshlrev_b32_e32 v1, 2, v1
	ds_read_b32 v1, v1 offset:40
	v_or_b32_e32 v2, 4, v3
	s_waitcnt lgkmcnt(0)
	ds_bpermute_b32 v2, v2, v1
	s_waitcnt lgkmcnt(0)
	v_add_u32_e32 v1, v2, v1
.LBB329_140:
	s_or_b64 exec, exec, s[2:3]
	s_branch .LBB329_165
.LBB329_141:
                                        ; implicit-def: $vgpr1
.LBB329_142:
	s_branch .LBB329_224
.LBB329_143:
                                        ; implicit-def: $vgpr1
	s_cbranch_execz .LBB329_165
; %bb.144:
	s_sub_i32 s20, s38, s0
	v_cmp_gt_u32_e32 vcc, s20, v0
                                        ; implicit-def: $vgpr2_vgpr3_vgpr4_vgpr5_vgpr6_vgpr7_vgpr8_vgpr9
	s_and_saveexec_b64 s[0:1], vcc
	s_cbranch_execz .LBB329_146
; %bb.145:
	v_lshlrev_b32_e32 v1, 2, v0
	global_load_dword v2, v1, s[16:17]
.LBB329_146:
	s_or_b64 exec, exec, s[0:1]
	v_or_b32_e32 v1, 0x80, v0
	v_cmp_gt_u32_e32 vcc, s20, v1
	s_and_saveexec_b64 s[0:1], vcc
	s_cbranch_execz .LBB329_148
; %bb.147:
	v_lshlrev_b32_e32 v1, 2, v0
	global_load_dword v3, v1, s[16:17] offset:512
.LBB329_148:
	s_or_b64 exec, exec, s[0:1]
	v_or_b32_e32 v1, 0x100, v0
	v_cmp_gt_u32_e64 s[0:1], s20, v1
	s_and_saveexec_b64 s[2:3], s[0:1]
	s_cbranch_execz .LBB329_150
; %bb.149:
	v_lshlrev_b32_e32 v1, 2, v0
	global_load_dword v4, v1, s[16:17] offset:1024
.LBB329_150:
	s_or_b64 exec, exec, s[2:3]
	v_or_b32_e32 v1, 0x180, v0
	v_cmp_gt_u32_e64 s[2:3], s20, v1
	s_and_saveexec_b64 s[8:9], s[2:3]
	;; [unrolled: 9-line block ×6, first 2 shown]
	s_cbranch_execz .LBB329_160
; %bb.159:
	v_lshlrev_b32_e32 v1, 2, v0
	global_load_dword v9, v1, s[16:17] offset:3584
.LBB329_160:
	s_or_b64 exec, exec, s[18:19]
	s_waitcnt vmcnt(0)
	v_cndmask_b32_e32 v1, 0, v3, vcc
	v_add_u32_e32 v1, v1, v2
	v_cndmask_b32_e64 v2, 0, v4, s[0:1]
	v_cndmask_b32_e64 v3, 0, v5, s[2:3]
	v_add3_u32 v1, v1, v2, v3
	v_cndmask_b32_e64 v2, 0, v6, s[8:9]
	v_cndmask_b32_e64 v3, 0, v7, s[10:11]
	v_add3_u32 v1, v1, v2, v3
	;; [unrolled: 3-line block ×3, first 2 shown]
	v_mbcnt_lo_u32_b32 v2, -1, 0
	v_mbcnt_hi_u32_b32 v2, -1, v2
	v_and_b32_e32 v3, 63, v2
	v_cmp_ne_u32_e32 vcc, 63, v3
	v_addc_co_u32_e32 v4, vcc, 0, v2, vcc
	v_lshlrev_b32_e32 v4, 2, v4
	ds_bpermute_b32 v4, v4, v1
	s_min_u32 s2, s20, 0x80
	v_and_b32_e32 v5, 64, v0
	v_sub_u32_e64 v5, s2, v5 clamp
	v_add_u32_e32 v6, 1, v3
	v_cmp_lt_u32_e32 vcc, v6, v5
	s_waitcnt lgkmcnt(0)
	v_cndmask_b32_e32 v4, 0, v4, vcc
	v_cmp_gt_u32_e32 vcc, 62, v3
	v_add_u32_e32 v1, v1, v4
	v_cndmask_b32_e64 v4, 0, 1, vcc
	v_lshlrev_b32_e32 v4, 1, v4
	v_add_lshl_u32 v4, v4, v2, 2
	ds_bpermute_b32 v4, v4, v1
	v_add_u32_e32 v6, 2, v3
	v_cmp_lt_u32_e32 vcc, v6, v5
	v_add_u32_e32 v6, 4, v3
	s_waitcnt lgkmcnt(0)
	v_cndmask_b32_e32 v4, 0, v4, vcc
	v_cmp_gt_u32_e32 vcc, 60, v3
	v_add_u32_e32 v1, v1, v4
	v_cndmask_b32_e64 v4, 0, 1, vcc
	v_lshlrev_b32_e32 v4, 2, v4
	v_add_lshl_u32 v4, v4, v2, 2
	ds_bpermute_b32 v4, v4, v1
	v_cmp_lt_u32_e32 vcc, v6, v5
	v_add_u32_e32 v6, 8, v3
	s_waitcnt lgkmcnt(0)
	v_cndmask_b32_e32 v4, 0, v4, vcc
	v_cmp_gt_u32_e32 vcc, 56, v3
	v_add_u32_e32 v1, v1, v4
	v_cndmask_b32_e64 v4, 0, 1, vcc
	v_lshlrev_b32_e32 v4, 3, v4
	v_add_lshl_u32 v4, v4, v2, 2
	ds_bpermute_b32 v4, v4, v1
	;; [unrolled: 10-line block ×3, first 2 shown]
	v_cmp_lt_u32_e32 vcc, v6, v5
	s_waitcnt lgkmcnt(0)
	v_cndmask_b32_e32 v4, 0, v4, vcc
	v_cmp_gt_u32_e32 vcc, 32, v3
	v_add_u32_e32 v1, v1, v4
	v_cndmask_b32_e64 v4, 0, 1, vcc
	v_lshlrev_b32_e32 v4, 5, v4
	v_add_lshl_u32 v4, v4, v2, 2
	ds_bpermute_b32 v4, v4, v1
	v_add_u32_e32 v3, 32, v3
	v_cmp_lt_u32_e32 vcc, v3, v5
	s_waitcnt lgkmcnt(0)
	v_cndmask_b32_e32 v3, 0, v4, vcc
	v_add_u32_e32 v1, v1, v3
	v_cmp_eq_u32_e32 vcc, 0, v2
	s_and_saveexec_b64 s[0:1], vcc
	s_cbranch_execz .LBB329_162
; %bb.161:
	v_lshrrev_b32_e32 v3, 4, v0
	v_and_b32_e32 v3, 4, v3
	ds_write_b32 v3, v1 offset:48
.LBB329_162:
	s_or_b64 exec, exec, s[0:1]
	v_cmp_gt_u32_e32 vcc, 2, v0
	s_waitcnt lgkmcnt(0)
	s_barrier
	s_and_saveexec_b64 s[0:1], vcc
	s_cbranch_execz .LBB329_164
; %bb.163:
	v_lshlrev_b32_e32 v1, 2, v2
	ds_read_b32 v3, v1 offset:48
	v_or_b32_e32 v1, 4, v1
	s_add_i32 s2, s2, 63
	v_and_b32_e32 v2, 1, v2
	s_lshr_b32 s2, s2, 6
	s_waitcnt lgkmcnt(0)
	ds_bpermute_b32 v1, v1, v3
	v_add_u32_e32 v2, 1, v2
	v_cmp_gt_u32_e32 vcc, s2, v2
	s_waitcnt lgkmcnt(0)
	v_cndmask_b32_e32 v1, 0, v1, vcc
	v_add_u32_e32 v1, v1, v3
.LBB329_164:
	s_or_b64 exec, exec, s[0:1]
.LBB329_165:
	v_cmp_eq_u32_e64 s[2:3], 0, v0
	s_branch .LBB329_224
.LBB329_166:
	s_cmp_gt_i32 s33, 1
	s_cbranch_scc0 .LBB329_175
; %bb.167:
	s_cmp_gt_i32 s33, 3
	s_cbranch_scc0 .LBB329_176
; %bb.168:
	s_cmp_eq_u32 s33, 4
	s_cbranch_scc0 .LBB329_177
; %bb.169:
	s_mov_b32 s7, 0
	s_lshl_b32 s0, s6, 9
	s_mov_b32 s1, s7
	s_lshr_b64 s[2:3], s[38:39], 9
	s_lshl_b64 s[8:9], s[0:1], 2
	s_add_u32 s8, s36, s8
	s_addc_u32 s9, s37, s9
	s_cmp_lg_u64 s[2:3], s[6:7]
	s_cbranch_scc0 .LBB329_179
; %bb.170:
	v_lshlrev_b32_e32 v1, 2, v0
	global_load_dword v4, v1, s[8:9]
	global_load_dword v5, v1, s[8:9] offset:512
	global_load_dword v6, v1, s[8:9] offset:1024
	;; [unrolled: 1-line block ×3, first 2 shown]
	v_mbcnt_lo_u32_b32 v1, -1, 0
	v_mbcnt_hi_u32_b32 v2, -1, v1
	v_lshlrev_b32_e32 v3, 2, v2
	v_cmp_eq_u32_e32 vcc, 0, v2
	s_waitcnt vmcnt(2)
	v_add_u32_e32 v1, v5, v4
	v_or_b32_e32 v4, 0xfc, v3
	s_waitcnt vmcnt(0)
	v_add3_u32 v1, v1, v6, v7
	s_nop 1
	v_add_u32_dpp v1, v1, v1 quad_perm:[1,0,3,2] row_mask:0xf bank_mask:0xf bound_ctrl:1
	s_nop 1
	v_add_u32_dpp v1, v1, v1 quad_perm:[2,3,0,1] row_mask:0xf bank_mask:0xf bound_ctrl:1
	s_nop 1
	v_add_u32_dpp v1, v1, v1 row_ror:4 row_mask:0xf bank_mask:0xf bound_ctrl:1
	s_nop 1
	v_add_u32_dpp v1, v1, v1 row_ror:8 row_mask:0xf bank_mask:0xf bound_ctrl:1
	s_nop 1
	v_add_u32_dpp v1, v1, v1 row_bcast:15 row_mask:0xf bank_mask:0xf bound_ctrl:1
	s_nop 1
	v_add_u32_dpp v1, v1, v1 row_bcast:31 row_mask:0xf bank_mask:0xf bound_ctrl:1
	ds_bpermute_b32 v1, v4, v1
	s_and_saveexec_b64 s[2:3], vcc
	s_cbranch_execz .LBB329_172
; %bb.171:
	v_lshrrev_b32_e32 v4, 4, v0
	v_and_b32_e32 v4, 4, v4
	s_waitcnt lgkmcnt(0)
	ds_write_b32 v4, v1 offset:32
.LBB329_172:
	s_or_b64 exec, exec, s[2:3]
	v_cmp_gt_u32_e32 vcc, 64, v0
	s_waitcnt lgkmcnt(0)
	s_barrier
	s_and_saveexec_b64 s[2:3], vcc
	s_cbranch_execz .LBB329_174
; %bb.173:
	v_and_b32_e32 v1, 1, v2
	v_lshlrev_b32_e32 v1, 2, v1
	ds_read_b32 v1, v1 offset:32
	v_or_b32_e32 v2, 4, v3
	s_waitcnt lgkmcnt(0)
	ds_bpermute_b32 v2, v2, v1
	s_waitcnt lgkmcnt(0)
	v_add_u32_e32 v1, v2, v1
.LBB329_174:
	s_or_b64 exec, exec, s[2:3]
	s_mov_b64 s[2:3], 0
	s_branch .LBB329_180
.LBB329_175:
                                        ; implicit-def: $vgpr1
	s_cbranch_execnz .LBB329_215
	s_branch .LBB329_224
.LBB329_176:
                                        ; implicit-def: $vgpr1
	s_cbranch_execz .LBB329_178
	s_branch .LBB329_195
.LBB329_177:
                                        ; implicit-def: $vgpr1
.LBB329_178:
	s_branch .LBB329_224
.LBB329_179:
	s_mov_b64 s[2:3], -1
                                        ; implicit-def: $vgpr1
.LBB329_180:
	s_and_b64 vcc, exec, s[2:3]
	s_cbranch_vccz .LBB329_194
; %bb.181:
	s_sub_i32 s12, s38, s0
	v_cmp_gt_u32_e32 vcc, s12, v0
                                        ; implicit-def: $vgpr2_vgpr3_vgpr4_vgpr5
	s_and_saveexec_b64 s[0:1], vcc
	s_cbranch_execz .LBB329_183
; %bb.182:
	v_lshlrev_b32_e32 v1, 2, v0
	global_load_dword v2, v1, s[8:9]
.LBB329_183:
	s_or_b64 exec, exec, s[0:1]
	v_or_b32_e32 v1, 0x80, v0
	v_cmp_gt_u32_e32 vcc, s12, v1
	s_and_saveexec_b64 s[0:1], vcc
	s_cbranch_execz .LBB329_185
; %bb.184:
	v_lshlrev_b32_e32 v1, 2, v0
	global_load_dword v3, v1, s[8:9] offset:512
.LBB329_185:
	s_or_b64 exec, exec, s[0:1]
	v_or_b32_e32 v1, 0x100, v0
	v_cmp_gt_u32_e64 s[0:1], s12, v1
	s_and_saveexec_b64 s[2:3], s[0:1]
	s_cbranch_execz .LBB329_187
; %bb.186:
	v_lshlrev_b32_e32 v1, 2, v0
	global_load_dword v4, v1, s[8:9] offset:1024
.LBB329_187:
	s_or_b64 exec, exec, s[2:3]
	v_or_b32_e32 v1, 0x180, v0
	v_cmp_gt_u32_e64 s[2:3], s12, v1
	s_and_saveexec_b64 s[10:11], s[2:3]
	s_cbranch_execz .LBB329_189
; %bb.188:
	v_lshlrev_b32_e32 v1, 2, v0
	global_load_dword v5, v1, s[8:9] offset:1536
.LBB329_189:
	s_or_b64 exec, exec, s[10:11]
	s_waitcnt vmcnt(0)
	v_cndmask_b32_e32 v1, 0, v3, vcc
	v_add_u32_e32 v1, v1, v2
	v_cndmask_b32_e64 v2, 0, v4, s[0:1]
	v_cndmask_b32_e64 v3, 0, v5, s[2:3]
	v_add3_u32 v1, v1, v2, v3
	v_mbcnt_lo_u32_b32 v2, -1, 0
	v_mbcnt_hi_u32_b32 v2, -1, v2
	v_and_b32_e32 v3, 63, v2
	v_cmp_ne_u32_e32 vcc, 63, v3
	v_addc_co_u32_e32 v4, vcc, 0, v2, vcc
	v_lshlrev_b32_e32 v4, 2, v4
	ds_bpermute_b32 v4, v4, v1
	s_min_u32 s2, s12, 0x80
	v_and_b32_e32 v5, 64, v0
	v_sub_u32_e64 v5, s2, v5 clamp
	v_add_u32_e32 v6, 1, v3
	v_cmp_lt_u32_e32 vcc, v6, v5
	s_waitcnt lgkmcnt(0)
	v_cndmask_b32_e32 v4, 0, v4, vcc
	v_cmp_gt_u32_e32 vcc, 62, v3
	v_add_u32_e32 v1, v4, v1
	v_cndmask_b32_e64 v4, 0, 1, vcc
	v_lshlrev_b32_e32 v4, 1, v4
	v_add_lshl_u32 v4, v4, v2, 2
	ds_bpermute_b32 v4, v4, v1
	v_add_u32_e32 v6, 2, v3
	v_cmp_lt_u32_e32 vcc, v6, v5
	v_add_u32_e32 v6, 4, v3
	s_waitcnt lgkmcnt(0)
	v_cndmask_b32_e32 v4, 0, v4, vcc
	v_cmp_gt_u32_e32 vcc, 60, v3
	v_add_u32_e32 v1, v1, v4
	v_cndmask_b32_e64 v4, 0, 1, vcc
	v_lshlrev_b32_e32 v4, 2, v4
	v_add_lshl_u32 v4, v4, v2, 2
	ds_bpermute_b32 v4, v4, v1
	v_cmp_lt_u32_e32 vcc, v6, v5
	v_add_u32_e32 v6, 8, v3
	s_waitcnt lgkmcnt(0)
	v_cndmask_b32_e32 v4, 0, v4, vcc
	v_cmp_gt_u32_e32 vcc, 56, v3
	v_add_u32_e32 v1, v1, v4
	v_cndmask_b32_e64 v4, 0, 1, vcc
	v_lshlrev_b32_e32 v4, 3, v4
	v_add_lshl_u32 v4, v4, v2, 2
	ds_bpermute_b32 v4, v4, v1
	;; [unrolled: 10-line block ×3, first 2 shown]
	v_cmp_lt_u32_e32 vcc, v6, v5
	s_waitcnt lgkmcnt(0)
	v_cndmask_b32_e32 v4, 0, v4, vcc
	v_cmp_gt_u32_e32 vcc, 32, v3
	v_add_u32_e32 v1, v1, v4
	v_cndmask_b32_e64 v4, 0, 1, vcc
	v_lshlrev_b32_e32 v4, 5, v4
	v_add_lshl_u32 v4, v4, v2, 2
	ds_bpermute_b32 v4, v4, v1
	v_add_u32_e32 v3, 32, v3
	v_cmp_lt_u32_e32 vcc, v3, v5
	s_waitcnt lgkmcnt(0)
	v_cndmask_b32_e32 v3, 0, v4, vcc
	v_add_u32_e32 v1, v1, v3
	v_cmp_eq_u32_e32 vcc, 0, v2
	s_and_saveexec_b64 s[0:1], vcc
	s_cbranch_execz .LBB329_191
; %bb.190:
	v_lshrrev_b32_e32 v3, 4, v0
	v_and_b32_e32 v3, 4, v3
	ds_write_b32 v3, v1 offset:48
.LBB329_191:
	s_or_b64 exec, exec, s[0:1]
	v_cmp_gt_u32_e32 vcc, 2, v0
	s_waitcnt lgkmcnt(0)
	s_barrier
	s_and_saveexec_b64 s[0:1], vcc
	s_cbranch_execz .LBB329_193
; %bb.192:
	v_lshlrev_b32_e32 v1, 2, v2
	ds_read_b32 v3, v1 offset:48
	v_or_b32_e32 v1, 4, v1
	s_add_i32 s2, s2, 63
	v_and_b32_e32 v2, 1, v2
	s_lshr_b32 s2, s2, 6
	s_waitcnt lgkmcnt(0)
	ds_bpermute_b32 v1, v1, v3
	v_add_u32_e32 v2, 1, v2
	v_cmp_gt_u32_e32 vcc, s2, v2
	s_waitcnt lgkmcnt(0)
	v_cndmask_b32_e32 v1, 0, v1, vcc
	v_add_u32_e32 v1, v1, v3
.LBB329_193:
	s_or_b64 exec, exec, s[0:1]
.LBB329_194:
	v_cmp_eq_u32_e64 s[2:3], 0, v0
	s_branch .LBB329_178
.LBB329_195:
	s_cmp_eq_u32 s33, 2
	s_cbranch_scc0 .LBB329_202
; %bb.196:
	s_mov_b32 s7, 0
	s_lshl_b32 s2, s6, 8
	s_mov_b32 s3, s7
	s_lshr_b64 s[8:9], s[38:39], 8
	s_lshl_b64 s[0:1], s[2:3], 2
	s_add_u32 s0, s36, s0
	s_addc_u32 s1, s37, s1
	s_cmp_lg_u64 s[8:9], s[6:7]
	s_cbranch_scc0 .LBB329_203
; %bb.197:
	v_lshlrev_b32_e32 v1, 2, v0
	global_load_dword v4, v1, s[0:1]
	global_load_dword v5, v1, s[0:1] offset:512
	v_mbcnt_lo_u32_b32 v1, -1, 0
	v_mbcnt_hi_u32_b32 v2, -1, v1
	v_lshlrev_b32_e32 v3, 2, v2
	v_cmp_eq_u32_e32 vcc, 0, v2
	s_waitcnt vmcnt(0)
	v_add_u32_e32 v1, v5, v4
	s_nop 1
	v_add_u32_dpp v1, v1, v1 quad_perm:[1,0,3,2] row_mask:0xf bank_mask:0xf bound_ctrl:1
	v_or_b32_e32 v4, 0xfc, v3
	s_nop 0
	v_add_u32_dpp v1, v1, v1 quad_perm:[2,3,0,1] row_mask:0xf bank_mask:0xf bound_ctrl:1
	s_nop 1
	v_add_u32_dpp v1, v1, v1 row_ror:4 row_mask:0xf bank_mask:0xf bound_ctrl:1
	s_nop 1
	v_add_u32_dpp v1, v1, v1 row_ror:8 row_mask:0xf bank_mask:0xf bound_ctrl:1
	s_nop 1
	v_add_u32_dpp v1, v1, v1 row_bcast:15 row_mask:0xf bank_mask:0xf bound_ctrl:1
	s_nop 1
	v_add_u32_dpp v1, v1, v1 row_bcast:31 row_mask:0xf bank_mask:0xf bound_ctrl:1
	ds_bpermute_b32 v1, v4, v1
	s_and_saveexec_b64 s[8:9], vcc
	s_cbranch_execz .LBB329_199
; %bb.198:
	v_lshrrev_b32_e32 v4, 4, v0
	v_and_b32_e32 v4, 4, v4
	s_waitcnt lgkmcnt(0)
	ds_write_b32 v4, v1 offset:16
.LBB329_199:
	s_or_b64 exec, exec, s[8:9]
	v_cmp_gt_u32_e32 vcc, 64, v0
	s_waitcnt lgkmcnt(0)
	s_barrier
	s_and_saveexec_b64 s[8:9], vcc
	s_cbranch_execz .LBB329_201
; %bb.200:
	v_and_b32_e32 v1, 1, v2
	v_lshlrev_b32_e32 v1, 2, v1
	ds_read_b32 v1, v1 offset:16
	v_or_b32_e32 v2, 4, v3
	s_waitcnt lgkmcnt(0)
	ds_bpermute_b32 v2, v2, v1
	s_waitcnt lgkmcnt(0)
	v_add_u32_e32 v1, v2, v1
.LBB329_201:
	s_or_b64 exec, exec, s[8:9]
	s_mov_b64 s[8:9], 0
	s_branch .LBB329_204
.LBB329_202:
                                        ; implicit-def: $vgpr1
	s_branch .LBB329_224
.LBB329_203:
	s_mov_b64 s[8:9], -1
                                        ; implicit-def: $vgpr1
.LBB329_204:
	s_and_b64 vcc, exec, s[8:9]
	s_cbranch_vccz .LBB329_214
; %bb.205:
	s_sub_i32 s8, s38, s2
	v_cmp_gt_u32_e32 vcc, s8, v0
                                        ; implicit-def: $vgpr2_vgpr3
	s_and_saveexec_b64 s[2:3], vcc
	s_cbranch_execz .LBB329_207
; %bb.206:
	v_lshlrev_b32_e32 v1, 2, v0
	global_load_dword v2, v1, s[0:1]
.LBB329_207:
	s_or_b64 exec, exec, s[2:3]
	v_or_b32_e32 v1, 0x80, v0
	v_cmp_gt_u32_e32 vcc, s8, v1
	s_and_saveexec_b64 s[2:3], vcc
	s_cbranch_execz .LBB329_209
; %bb.208:
	v_lshlrev_b32_e32 v1, 2, v0
	global_load_dword v3, v1, s[0:1] offset:512
.LBB329_209:
	s_or_b64 exec, exec, s[2:3]
	s_waitcnt vmcnt(0)
	v_cndmask_b32_e32 v1, 0, v3, vcc
	v_add_u32_e32 v1, v1, v2
	v_mbcnt_lo_u32_b32 v2, -1, 0
	v_mbcnt_hi_u32_b32 v2, -1, v2
	v_and_b32_e32 v3, 63, v2
	v_cmp_ne_u32_e32 vcc, 63, v3
	v_addc_co_u32_e32 v4, vcc, 0, v2, vcc
	v_lshlrev_b32_e32 v4, 2, v4
	ds_bpermute_b32 v4, v4, v1
	s_min_u32 s2, s8, 0x80
	v_and_b32_e32 v5, 64, v0
	v_sub_u32_e64 v5, s2, v5 clamp
	v_add_u32_e32 v6, 1, v3
	v_cmp_lt_u32_e32 vcc, v6, v5
	s_waitcnt lgkmcnt(0)
	v_cndmask_b32_e32 v4, 0, v4, vcc
	v_cmp_gt_u32_e32 vcc, 62, v3
	v_add_u32_e32 v1, v4, v1
	v_cndmask_b32_e64 v4, 0, 1, vcc
	v_lshlrev_b32_e32 v4, 1, v4
	v_add_lshl_u32 v4, v4, v2, 2
	ds_bpermute_b32 v4, v4, v1
	v_add_u32_e32 v6, 2, v3
	v_cmp_lt_u32_e32 vcc, v6, v5
	v_add_u32_e32 v6, 4, v3
	s_waitcnt lgkmcnt(0)
	v_cndmask_b32_e32 v4, 0, v4, vcc
	v_cmp_gt_u32_e32 vcc, 60, v3
	v_add_u32_e32 v1, v1, v4
	v_cndmask_b32_e64 v4, 0, 1, vcc
	v_lshlrev_b32_e32 v4, 2, v4
	v_add_lshl_u32 v4, v4, v2, 2
	ds_bpermute_b32 v4, v4, v1
	v_cmp_lt_u32_e32 vcc, v6, v5
	v_add_u32_e32 v6, 8, v3
	s_waitcnt lgkmcnt(0)
	v_cndmask_b32_e32 v4, 0, v4, vcc
	v_cmp_gt_u32_e32 vcc, 56, v3
	v_add_u32_e32 v1, v1, v4
	v_cndmask_b32_e64 v4, 0, 1, vcc
	v_lshlrev_b32_e32 v4, 3, v4
	v_add_lshl_u32 v4, v4, v2, 2
	ds_bpermute_b32 v4, v4, v1
	;; [unrolled: 10-line block ×3, first 2 shown]
	v_cmp_lt_u32_e32 vcc, v6, v5
	s_waitcnt lgkmcnt(0)
	v_cndmask_b32_e32 v4, 0, v4, vcc
	v_cmp_gt_u32_e32 vcc, 32, v3
	v_add_u32_e32 v1, v1, v4
	v_cndmask_b32_e64 v4, 0, 1, vcc
	v_lshlrev_b32_e32 v4, 5, v4
	v_add_lshl_u32 v4, v4, v2, 2
	ds_bpermute_b32 v4, v4, v1
	v_add_u32_e32 v3, 32, v3
	v_cmp_lt_u32_e32 vcc, v3, v5
	s_waitcnt lgkmcnt(0)
	v_cndmask_b32_e32 v3, 0, v4, vcc
	v_add_u32_e32 v1, v1, v3
	v_cmp_eq_u32_e32 vcc, 0, v2
	s_and_saveexec_b64 s[0:1], vcc
	s_cbranch_execz .LBB329_211
; %bb.210:
	v_lshrrev_b32_e32 v3, 4, v0
	v_and_b32_e32 v3, 4, v3
	ds_write_b32 v3, v1 offset:48
.LBB329_211:
	s_or_b64 exec, exec, s[0:1]
	v_cmp_gt_u32_e32 vcc, 2, v0
	s_waitcnt lgkmcnt(0)
	s_barrier
	s_and_saveexec_b64 s[0:1], vcc
	s_cbranch_execz .LBB329_213
; %bb.212:
	v_lshlrev_b32_e32 v1, 2, v2
	ds_read_b32 v3, v1 offset:48
	v_or_b32_e32 v1, 4, v1
	s_add_i32 s2, s2, 63
	v_and_b32_e32 v2, 1, v2
	s_lshr_b32 s2, s2, 6
	s_waitcnt lgkmcnt(0)
	ds_bpermute_b32 v1, v1, v3
	v_add_u32_e32 v2, 1, v2
	v_cmp_gt_u32_e32 vcc, s2, v2
	s_waitcnt lgkmcnt(0)
	v_cndmask_b32_e32 v1, 0, v1, vcc
	v_add_u32_e32 v1, v1, v3
.LBB329_213:
	s_or_b64 exec, exec, s[0:1]
.LBB329_214:
	v_cmp_eq_u32_e64 s[2:3], 0, v0
	s_branch .LBB329_224
.LBB329_215:
	s_cmp_eq_u32 s33, 1
	s_cbranch_scc0 .LBB329_223
; %bb.216:
	s_mov_b32 s1, 0
	s_lshl_b32 s0, s6, 7
	s_mov_b32 s7, s1
	s_lshr_b64 s[2:3], s[38:39], 7
	s_cmp_lg_u64 s[2:3], s[6:7]
	v_mbcnt_lo_u32_b32 v2, -1, 0
	s_cbranch_scc0 .LBB329_227
; %bb.217:
	s_lshl_b64 s[2:3], s[0:1], 2
	s_add_u32 s2, s36, s2
	s_addc_u32 s3, s37, s3
	v_lshlrev_b32_e32 v1, 2, v0
	global_load_dword v1, v1, s[2:3]
	v_mbcnt_hi_u32_b32 v3, -1, v2
	v_lshlrev_b32_e32 v4, 2, v3
	v_or_b32_e32 v5, 0xfc, v4
	v_cmp_eq_u32_e32 vcc, 0, v3
	s_waitcnt vmcnt(0)
	v_add_u32_dpp v1, v1, v1 quad_perm:[1,0,3,2] row_mask:0xf bank_mask:0xf bound_ctrl:1
	s_nop 1
	v_add_u32_dpp v1, v1, v1 quad_perm:[2,3,0,1] row_mask:0xf bank_mask:0xf bound_ctrl:1
	s_nop 1
	v_add_u32_dpp v1, v1, v1 row_ror:4 row_mask:0xf bank_mask:0xf bound_ctrl:1
	s_nop 1
	v_add_u32_dpp v1, v1, v1 row_ror:8 row_mask:0xf bank_mask:0xf bound_ctrl:1
	s_nop 1
	v_add_u32_dpp v1, v1, v1 row_bcast:15 row_mask:0xf bank_mask:0xf bound_ctrl:1
	s_nop 1
	v_add_u32_dpp v1, v1, v1 row_bcast:31 row_mask:0xf bank_mask:0xf bound_ctrl:1
	ds_bpermute_b32 v1, v5, v1
	s_and_saveexec_b64 s[2:3], vcc
	s_cbranch_execz .LBB329_219
; %bb.218:
	v_lshrrev_b32_e32 v5, 4, v0
	v_and_b32_e32 v5, 4, v5
	s_waitcnt lgkmcnt(0)
	ds_write_b32 v5, v1 offset:8
.LBB329_219:
	s_or_b64 exec, exec, s[2:3]
	v_cmp_gt_u32_e32 vcc, 64, v0
	s_waitcnt lgkmcnt(0)
	s_barrier
	s_and_saveexec_b64 s[2:3], vcc
	s_cbranch_execz .LBB329_221
; %bb.220:
	v_and_b32_e32 v1, 1, v3
	v_lshlrev_b32_e32 v1, 2, v1
	ds_read_b32 v1, v1 offset:8
	v_or_b32_e32 v3, 4, v4
	s_waitcnt lgkmcnt(0)
	ds_bpermute_b32 v3, v3, v1
	s_waitcnt lgkmcnt(0)
	v_add_u32_e32 v1, v3, v1
.LBB329_221:
	s_or_b64 exec, exec, s[2:3]
.LBB329_222:
	v_cmp_eq_u32_e64 s[2:3], 0, v0
	s_and_saveexec_b64 s[0:1], s[2:3]
	s_cbranch_execnz .LBB329_225
	s_branch .LBB329_226
.LBB329_223:
                                        ; implicit-def: $vgpr1
                                        ; implicit-def: $sgpr6_sgpr7
.LBB329_224:
	s_and_saveexec_b64 s[0:1], s[2:3]
	s_cbranch_execz .LBB329_226
.LBB329_225:
	s_load_dwordx2 s[0:1], s[4:5], 0x18
	s_load_dword s8, s[4:5], 0x20
	s_lshl_b64 s[2:3], s[6:7], 2
	v_mov_b32_e32 v0, 0
	s_waitcnt lgkmcnt(0)
	s_add_u32 s0, s0, s2
	s_addc_u32 s1, s1, s3
	s_cmp_lg_u64 s[38:39], 0
	s_cselect_b64 vcc, -1, 0
	v_cndmask_b32_e32 v1, 0, v1, vcc
	v_add_u32_e32 v1, s8, v1
	global_store_dword v0, v1, s[0:1]
.LBB329_226:
	s_endpgm
.LBB329_227:
                                        ; implicit-def: $vgpr1
	s_cbranch_execz .LBB329_222
; %bb.228:
	s_sub_i32 s8, s38, s0
	v_cmp_gt_u32_e32 vcc, s8, v0
                                        ; implicit-def: $vgpr1
	s_and_saveexec_b64 s[2:3], vcc
	s_cbranch_execz .LBB329_230
; %bb.229:
	s_lshl_b64 s[0:1], s[0:1], 2
	s_add_u32 s0, s36, s0
	s_addc_u32 s1, s37, s1
	v_lshlrev_b32_e32 v1, 2, v0
	global_load_dword v1, v1, s[0:1]
.LBB329_230:
	s_or_b64 exec, exec, s[2:3]
	v_mbcnt_hi_u32_b32 v2, -1, v2
	v_and_b32_e32 v3, 63, v2
	v_cmp_ne_u32_e32 vcc, 63, v3
	v_addc_co_u32_e32 v4, vcc, 0, v2, vcc
	v_lshlrev_b32_e32 v4, 2, v4
	s_waitcnt vmcnt(0)
	ds_bpermute_b32 v4, v4, v1
	s_min_u32 s2, s8, 0x80
	v_and_b32_e32 v5, 64, v0
	v_sub_u32_e64 v5, s2, v5 clamp
	v_add_u32_e32 v6, 1, v3
	v_cmp_lt_u32_e32 vcc, v6, v5
	s_waitcnt lgkmcnt(0)
	v_cndmask_b32_e32 v4, 0, v4, vcc
	v_cmp_gt_u32_e32 vcc, 62, v3
	v_add_u32_e32 v1, v4, v1
	v_cndmask_b32_e64 v4, 0, 1, vcc
	v_lshlrev_b32_e32 v4, 1, v4
	v_add_lshl_u32 v4, v4, v2, 2
	ds_bpermute_b32 v4, v4, v1
	v_add_u32_e32 v6, 2, v3
	v_cmp_lt_u32_e32 vcc, v6, v5
	v_add_u32_e32 v6, 4, v3
	s_waitcnt lgkmcnt(0)
	v_cndmask_b32_e32 v4, 0, v4, vcc
	v_cmp_gt_u32_e32 vcc, 60, v3
	v_add_u32_e32 v1, v1, v4
	v_cndmask_b32_e64 v4, 0, 1, vcc
	v_lshlrev_b32_e32 v4, 2, v4
	v_add_lshl_u32 v4, v4, v2, 2
	ds_bpermute_b32 v4, v4, v1
	v_cmp_lt_u32_e32 vcc, v6, v5
	v_add_u32_e32 v6, 8, v3
	s_waitcnt lgkmcnt(0)
	v_cndmask_b32_e32 v4, 0, v4, vcc
	v_cmp_gt_u32_e32 vcc, 56, v3
	v_add_u32_e32 v1, v1, v4
	v_cndmask_b32_e64 v4, 0, 1, vcc
	v_lshlrev_b32_e32 v4, 3, v4
	v_add_lshl_u32 v4, v4, v2, 2
	ds_bpermute_b32 v4, v4, v1
	;; [unrolled: 10-line block ×3, first 2 shown]
	v_cmp_lt_u32_e32 vcc, v6, v5
	s_waitcnt lgkmcnt(0)
	v_cndmask_b32_e32 v4, 0, v4, vcc
	v_cmp_gt_u32_e32 vcc, 32, v3
	v_add_u32_e32 v1, v1, v4
	v_cndmask_b32_e64 v4, 0, 1, vcc
	v_lshlrev_b32_e32 v4, 5, v4
	v_add_lshl_u32 v4, v4, v2, 2
	ds_bpermute_b32 v4, v4, v1
	v_add_u32_e32 v3, 32, v3
	v_cmp_lt_u32_e32 vcc, v3, v5
	s_waitcnt lgkmcnt(0)
	v_cndmask_b32_e32 v3, 0, v4, vcc
	v_add_u32_e32 v1, v1, v3
	v_cmp_eq_u32_e32 vcc, 0, v2
	s_and_saveexec_b64 s[0:1], vcc
	s_cbranch_execz .LBB329_232
; %bb.231:
	v_lshrrev_b32_e32 v3, 4, v0
	v_and_b32_e32 v3, 4, v3
	ds_write_b32 v3, v1 offset:48
.LBB329_232:
	s_or_b64 exec, exec, s[0:1]
	v_cmp_gt_u32_e32 vcc, 2, v0
	s_waitcnt lgkmcnt(0)
	s_barrier
	s_and_saveexec_b64 s[0:1], vcc
	s_cbranch_execz .LBB329_234
; %bb.233:
	v_lshlrev_b32_e32 v1, 2, v2
	ds_read_b32 v3, v1 offset:48
	v_or_b32_e32 v1, 4, v1
	s_add_i32 s2, s2, 63
	v_and_b32_e32 v2, 1, v2
	s_lshr_b32 s2, s2, 6
	s_waitcnt lgkmcnt(0)
	ds_bpermute_b32 v1, v1, v3
	v_add_u32_e32 v2, 1, v2
	v_cmp_gt_u32_e32 vcc, s2, v2
	s_waitcnt lgkmcnt(0)
	v_cndmask_b32_e32 v1, 0, v1, vcc
	v_add_u32_e32 v1, v1, v3
.LBB329_234:
	s_or_b64 exec, exec, s[0:1]
	v_cmp_eq_u32_e64 s[2:3], 0, v0
	s_and_saveexec_b64 s[0:1], s[2:3]
	s_cbranch_execnz .LBB329_225
	s_branch .LBB329_226
	.section	.rodata,"a",@progbits
	.p2align	6, 0x0
	.amdhsa_kernel _ZN7rocprim17ROCPRIM_400000_NS6detail17trampoline_kernelINS0_14default_configENS1_22reduce_config_selectorIiEEZNS1_11reduce_implILb1ES3_PiS7_iN6thrust23THRUST_200600_302600_NS4plusIiEEEE10hipError_tPvRmT1_T2_T3_mT4_P12ihipStream_tbEUlT_E1_NS1_11comp_targetILNS1_3genE4ELNS1_11target_archE910ELNS1_3gpuE8ELNS1_3repE0EEENS1_30default_config_static_selectorELNS0_4arch9wavefront6targetE1EEEvSF_
		.amdhsa_group_segment_fixed_size 56
		.amdhsa_private_segment_fixed_size 0
		.amdhsa_kernarg_size 40
		.amdhsa_user_sgpr_count 6
		.amdhsa_user_sgpr_private_segment_buffer 1
		.amdhsa_user_sgpr_dispatch_ptr 0
		.amdhsa_user_sgpr_queue_ptr 0
		.amdhsa_user_sgpr_kernarg_segment_ptr 1
		.amdhsa_user_sgpr_dispatch_id 0
		.amdhsa_user_sgpr_flat_scratch_init 0
		.amdhsa_user_sgpr_kernarg_preload_length 0
		.amdhsa_user_sgpr_kernarg_preload_offset 0
		.amdhsa_user_sgpr_private_segment_size 0
		.amdhsa_uses_dynamic_stack 0
		.amdhsa_system_sgpr_private_segment_wavefront_offset 0
		.amdhsa_system_sgpr_workgroup_id_x 1
		.amdhsa_system_sgpr_workgroup_id_y 0
		.amdhsa_system_sgpr_workgroup_id_z 0
		.amdhsa_system_sgpr_workgroup_info 0
		.amdhsa_system_vgpr_workitem_id 0
		.amdhsa_next_free_vgpr 35
		.amdhsa_next_free_sgpr 43
		.amdhsa_accum_offset 36
		.amdhsa_reserve_vcc 1
		.amdhsa_reserve_flat_scratch 0
		.amdhsa_float_round_mode_32 0
		.amdhsa_float_round_mode_16_64 0
		.amdhsa_float_denorm_mode_32 3
		.amdhsa_float_denorm_mode_16_64 3
		.amdhsa_dx10_clamp 1
		.amdhsa_ieee_mode 1
		.amdhsa_fp16_overflow 0
		.amdhsa_tg_split 0
		.amdhsa_exception_fp_ieee_invalid_op 0
		.amdhsa_exception_fp_denorm_src 0
		.amdhsa_exception_fp_ieee_div_zero 0
		.amdhsa_exception_fp_ieee_overflow 0
		.amdhsa_exception_fp_ieee_underflow 0
		.amdhsa_exception_fp_ieee_inexact 0
		.amdhsa_exception_int_div_zero 0
	.end_amdhsa_kernel
	.section	.text._ZN7rocprim17ROCPRIM_400000_NS6detail17trampoline_kernelINS0_14default_configENS1_22reduce_config_selectorIiEEZNS1_11reduce_implILb1ES3_PiS7_iN6thrust23THRUST_200600_302600_NS4plusIiEEEE10hipError_tPvRmT1_T2_T3_mT4_P12ihipStream_tbEUlT_E1_NS1_11comp_targetILNS1_3genE4ELNS1_11target_archE910ELNS1_3gpuE8ELNS1_3repE0EEENS1_30default_config_static_selectorELNS0_4arch9wavefront6targetE1EEEvSF_,"axG",@progbits,_ZN7rocprim17ROCPRIM_400000_NS6detail17trampoline_kernelINS0_14default_configENS1_22reduce_config_selectorIiEEZNS1_11reduce_implILb1ES3_PiS7_iN6thrust23THRUST_200600_302600_NS4plusIiEEEE10hipError_tPvRmT1_T2_T3_mT4_P12ihipStream_tbEUlT_E1_NS1_11comp_targetILNS1_3genE4ELNS1_11target_archE910ELNS1_3gpuE8ELNS1_3repE0EEENS1_30default_config_static_selectorELNS0_4arch9wavefront6targetE1EEEvSF_,comdat
.Lfunc_end329:
	.size	_ZN7rocprim17ROCPRIM_400000_NS6detail17trampoline_kernelINS0_14default_configENS1_22reduce_config_selectorIiEEZNS1_11reduce_implILb1ES3_PiS7_iN6thrust23THRUST_200600_302600_NS4plusIiEEEE10hipError_tPvRmT1_T2_T3_mT4_P12ihipStream_tbEUlT_E1_NS1_11comp_targetILNS1_3genE4ELNS1_11target_archE910ELNS1_3gpuE8ELNS1_3repE0EEENS1_30default_config_static_selectorELNS0_4arch9wavefront6targetE1EEEvSF_, .Lfunc_end329-_ZN7rocprim17ROCPRIM_400000_NS6detail17trampoline_kernelINS0_14default_configENS1_22reduce_config_selectorIiEEZNS1_11reduce_implILb1ES3_PiS7_iN6thrust23THRUST_200600_302600_NS4plusIiEEEE10hipError_tPvRmT1_T2_T3_mT4_P12ihipStream_tbEUlT_E1_NS1_11comp_targetILNS1_3genE4ELNS1_11target_archE910ELNS1_3gpuE8ELNS1_3repE0EEENS1_30default_config_static_selectorELNS0_4arch9wavefront6targetE1EEEvSF_
                                        ; -- End function
	.section	.AMDGPU.csdata,"",@progbits
; Kernel info:
; codeLenInByte = 8516
; NumSgprs: 47
; NumVgprs: 35
; NumAgprs: 0
; TotalNumVgprs: 35
; ScratchSize: 0
; MemoryBound: 0
; FloatMode: 240
; IeeeMode: 1
; LDSByteSize: 56 bytes/workgroup (compile time only)
; SGPRBlocks: 5
; VGPRBlocks: 4
; NumSGPRsForWavesPerEU: 47
; NumVGPRsForWavesPerEU: 35
; AccumOffset: 36
; Occupancy: 8
; WaveLimiterHint : 1
; COMPUTE_PGM_RSRC2:SCRATCH_EN: 0
; COMPUTE_PGM_RSRC2:USER_SGPR: 6
; COMPUTE_PGM_RSRC2:TRAP_HANDLER: 0
; COMPUTE_PGM_RSRC2:TGID_X_EN: 1
; COMPUTE_PGM_RSRC2:TGID_Y_EN: 0
; COMPUTE_PGM_RSRC2:TGID_Z_EN: 0
; COMPUTE_PGM_RSRC2:TIDIG_COMP_CNT: 0
; COMPUTE_PGM_RSRC3_GFX90A:ACCUM_OFFSET: 8
; COMPUTE_PGM_RSRC3_GFX90A:TG_SPLIT: 0
	.section	.text._ZN7rocprim17ROCPRIM_400000_NS6detail17trampoline_kernelINS0_14default_configENS1_22reduce_config_selectorIiEEZNS1_11reduce_implILb1ES3_PiS7_iN6thrust23THRUST_200600_302600_NS4plusIiEEEE10hipError_tPvRmT1_T2_T3_mT4_P12ihipStream_tbEUlT_E1_NS1_11comp_targetILNS1_3genE3ELNS1_11target_archE908ELNS1_3gpuE7ELNS1_3repE0EEENS1_30default_config_static_selectorELNS0_4arch9wavefront6targetE1EEEvSF_,"axG",@progbits,_ZN7rocprim17ROCPRIM_400000_NS6detail17trampoline_kernelINS0_14default_configENS1_22reduce_config_selectorIiEEZNS1_11reduce_implILb1ES3_PiS7_iN6thrust23THRUST_200600_302600_NS4plusIiEEEE10hipError_tPvRmT1_T2_T3_mT4_P12ihipStream_tbEUlT_E1_NS1_11comp_targetILNS1_3genE3ELNS1_11target_archE908ELNS1_3gpuE7ELNS1_3repE0EEENS1_30default_config_static_selectorELNS0_4arch9wavefront6targetE1EEEvSF_,comdat
	.protected	_ZN7rocprim17ROCPRIM_400000_NS6detail17trampoline_kernelINS0_14default_configENS1_22reduce_config_selectorIiEEZNS1_11reduce_implILb1ES3_PiS7_iN6thrust23THRUST_200600_302600_NS4plusIiEEEE10hipError_tPvRmT1_T2_T3_mT4_P12ihipStream_tbEUlT_E1_NS1_11comp_targetILNS1_3genE3ELNS1_11target_archE908ELNS1_3gpuE7ELNS1_3repE0EEENS1_30default_config_static_selectorELNS0_4arch9wavefront6targetE1EEEvSF_ ; -- Begin function _ZN7rocprim17ROCPRIM_400000_NS6detail17trampoline_kernelINS0_14default_configENS1_22reduce_config_selectorIiEEZNS1_11reduce_implILb1ES3_PiS7_iN6thrust23THRUST_200600_302600_NS4plusIiEEEE10hipError_tPvRmT1_T2_T3_mT4_P12ihipStream_tbEUlT_E1_NS1_11comp_targetILNS1_3genE3ELNS1_11target_archE908ELNS1_3gpuE7ELNS1_3repE0EEENS1_30default_config_static_selectorELNS0_4arch9wavefront6targetE1EEEvSF_
	.globl	_ZN7rocprim17ROCPRIM_400000_NS6detail17trampoline_kernelINS0_14default_configENS1_22reduce_config_selectorIiEEZNS1_11reduce_implILb1ES3_PiS7_iN6thrust23THRUST_200600_302600_NS4plusIiEEEE10hipError_tPvRmT1_T2_T3_mT4_P12ihipStream_tbEUlT_E1_NS1_11comp_targetILNS1_3genE3ELNS1_11target_archE908ELNS1_3gpuE7ELNS1_3repE0EEENS1_30default_config_static_selectorELNS0_4arch9wavefront6targetE1EEEvSF_
	.p2align	8
	.type	_ZN7rocprim17ROCPRIM_400000_NS6detail17trampoline_kernelINS0_14default_configENS1_22reduce_config_selectorIiEEZNS1_11reduce_implILb1ES3_PiS7_iN6thrust23THRUST_200600_302600_NS4plusIiEEEE10hipError_tPvRmT1_T2_T3_mT4_P12ihipStream_tbEUlT_E1_NS1_11comp_targetILNS1_3genE3ELNS1_11target_archE908ELNS1_3gpuE7ELNS1_3repE0EEENS1_30default_config_static_selectorELNS0_4arch9wavefront6targetE1EEEvSF_,@function
_ZN7rocprim17ROCPRIM_400000_NS6detail17trampoline_kernelINS0_14default_configENS1_22reduce_config_selectorIiEEZNS1_11reduce_implILb1ES3_PiS7_iN6thrust23THRUST_200600_302600_NS4plusIiEEEE10hipError_tPvRmT1_T2_T3_mT4_P12ihipStream_tbEUlT_E1_NS1_11comp_targetILNS1_3genE3ELNS1_11target_archE908ELNS1_3gpuE7ELNS1_3repE0EEENS1_30default_config_static_selectorELNS0_4arch9wavefront6targetE1EEEvSF_: ; @_ZN7rocprim17ROCPRIM_400000_NS6detail17trampoline_kernelINS0_14default_configENS1_22reduce_config_selectorIiEEZNS1_11reduce_implILb1ES3_PiS7_iN6thrust23THRUST_200600_302600_NS4plusIiEEEE10hipError_tPvRmT1_T2_T3_mT4_P12ihipStream_tbEUlT_E1_NS1_11comp_targetILNS1_3genE3ELNS1_11target_archE908ELNS1_3gpuE7ELNS1_3repE0EEENS1_30default_config_static_selectorELNS0_4arch9wavefront6targetE1EEEvSF_
; %bb.0:
	.section	.rodata,"a",@progbits
	.p2align	6, 0x0
	.amdhsa_kernel _ZN7rocprim17ROCPRIM_400000_NS6detail17trampoline_kernelINS0_14default_configENS1_22reduce_config_selectorIiEEZNS1_11reduce_implILb1ES3_PiS7_iN6thrust23THRUST_200600_302600_NS4plusIiEEEE10hipError_tPvRmT1_T2_T3_mT4_P12ihipStream_tbEUlT_E1_NS1_11comp_targetILNS1_3genE3ELNS1_11target_archE908ELNS1_3gpuE7ELNS1_3repE0EEENS1_30default_config_static_selectorELNS0_4arch9wavefront6targetE1EEEvSF_
		.amdhsa_group_segment_fixed_size 0
		.amdhsa_private_segment_fixed_size 0
		.amdhsa_kernarg_size 40
		.amdhsa_user_sgpr_count 6
		.amdhsa_user_sgpr_private_segment_buffer 1
		.amdhsa_user_sgpr_dispatch_ptr 0
		.amdhsa_user_sgpr_queue_ptr 0
		.amdhsa_user_sgpr_kernarg_segment_ptr 1
		.amdhsa_user_sgpr_dispatch_id 0
		.amdhsa_user_sgpr_flat_scratch_init 0
		.amdhsa_user_sgpr_kernarg_preload_length 0
		.amdhsa_user_sgpr_kernarg_preload_offset 0
		.amdhsa_user_sgpr_private_segment_size 0
		.amdhsa_uses_dynamic_stack 0
		.amdhsa_system_sgpr_private_segment_wavefront_offset 0
		.amdhsa_system_sgpr_workgroup_id_x 1
		.amdhsa_system_sgpr_workgroup_id_y 0
		.amdhsa_system_sgpr_workgroup_id_z 0
		.amdhsa_system_sgpr_workgroup_info 0
		.amdhsa_system_vgpr_workitem_id 0
		.amdhsa_next_free_vgpr 1
		.amdhsa_next_free_sgpr 0
		.amdhsa_accum_offset 4
		.amdhsa_reserve_vcc 0
		.amdhsa_reserve_flat_scratch 0
		.amdhsa_float_round_mode_32 0
		.amdhsa_float_round_mode_16_64 0
		.amdhsa_float_denorm_mode_32 3
		.amdhsa_float_denorm_mode_16_64 3
		.amdhsa_dx10_clamp 1
		.amdhsa_ieee_mode 1
		.amdhsa_fp16_overflow 0
		.amdhsa_tg_split 0
		.amdhsa_exception_fp_ieee_invalid_op 0
		.amdhsa_exception_fp_denorm_src 0
		.amdhsa_exception_fp_ieee_div_zero 0
		.amdhsa_exception_fp_ieee_overflow 0
		.amdhsa_exception_fp_ieee_underflow 0
		.amdhsa_exception_fp_ieee_inexact 0
		.amdhsa_exception_int_div_zero 0
	.end_amdhsa_kernel
	.section	.text._ZN7rocprim17ROCPRIM_400000_NS6detail17trampoline_kernelINS0_14default_configENS1_22reduce_config_selectorIiEEZNS1_11reduce_implILb1ES3_PiS7_iN6thrust23THRUST_200600_302600_NS4plusIiEEEE10hipError_tPvRmT1_T2_T3_mT4_P12ihipStream_tbEUlT_E1_NS1_11comp_targetILNS1_3genE3ELNS1_11target_archE908ELNS1_3gpuE7ELNS1_3repE0EEENS1_30default_config_static_selectorELNS0_4arch9wavefront6targetE1EEEvSF_,"axG",@progbits,_ZN7rocprim17ROCPRIM_400000_NS6detail17trampoline_kernelINS0_14default_configENS1_22reduce_config_selectorIiEEZNS1_11reduce_implILb1ES3_PiS7_iN6thrust23THRUST_200600_302600_NS4plusIiEEEE10hipError_tPvRmT1_T2_T3_mT4_P12ihipStream_tbEUlT_E1_NS1_11comp_targetILNS1_3genE3ELNS1_11target_archE908ELNS1_3gpuE7ELNS1_3repE0EEENS1_30default_config_static_selectorELNS0_4arch9wavefront6targetE1EEEvSF_,comdat
.Lfunc_end330:
	.size	_ZN7rocprim17ROCPRIM_400000_NS6detail17trampoline_kernelINS0_14default_configENS1_22reduce_config_selectorIiEEZNS1_11reduce_implILb1ES3_PiS7_iN6thrust23THRUST_200600_302600_NS4plusIiEEEE10hipError_tPvRmT1_T2_T3_mT4_P12ihipStream_tbEUlT_E1_NS1_11comp_targetILNS1_3genE3ELNS1_11target_archE908ELNS1_3gpuE7ELNS1_3repE0EEENS1_30default_config_static_selectorELNS0_4arch9wavefront6targetE1EEEvSF_, .Lfunc_end330-_ZN7rocprim17ROCPRIM_400000_NS6detail17trampoline_kernelINS0_14default_configENS1_22reduce_config_selectorIiEEZNS1_11reduce_implILb1ES3_PiS7_iN6thrust23THRUST_200600_302600_NS4plusIiEEEE10hipError_tPvRmT1_T2_T3_mT4_P12ihipStream_tbEUlT_E1_NS1_11comp_targetILNS1_3genE3ELNS1_11target_archE908ELNS1_3gpuE7ELNS1_3repE0EEENS1_30default_config_static_selectorELNS0_4arch9wavefront6targetE1EEEvSF_
                                        ; -- End function
	.section	.AMDGPU.csdata,"",@progbits
; Kernel info:
; codeLenInByte = 0
; NumSgprs: 4
; NumVgprs: 0
; NumAgprs: 0
; TotalNumVgprs: 0
; ScratchSize: 0
; MemoryBound: 0
; FloatMode: 240
; IeeeMode: 1
; LDSByteSize: 0 bytes/workgroup (compile time only)
; SGPRBlocks: 0
; VGPRBlocks: 0
; NumSGPRsForWavesPerEU: 4
; NumVGPRsForWavesPerEU: 1
; AccumOffset: 4
; Occupancy: 8
; WaveLimiterHint : 0
; COMPUTE_PGM_RSRC2:SCRATCH_EN: 0
; COMPUTE_PGM_RSRC2:USER_SGPR: 6
; COMPUTE_PGM_RSRC2:TRAP_HANDLER: 0
; COMPUTE_PGM_RSRC2:TGID_X_EN: 1
; COMPUTE_PGM_RSRC2:TGID_Y_EN: 0
; COMPUTE_PGM_RSRC2:TGID_Z_EN: 0
; COMPUTE_PGM_RSRC2:TIDIG_COMP_CNT: 0
; COMPUTE_PGM_RSRC3_GFX90A:ACCUM_OFFSET: 0
; COMPUTE_PGM_RSRC3_GFX90A:TG_SPLIT: 0
	.section	.text._ZN7rocprim17ROCPRIM_400000_NS6detail17trampoline_kernelINS0_14default_configENS1_22reduce_config_selectorIiEEZNS1_11reduce_implILb1ES3_PiS7_iN6thrust23THRUST_200600_302600_NS4plusIiEEEE10hipError_tPvRmT1_T2_T3_mT4_P12ihipStream_tbEUlT_E1_NS1_11comp_targetILNS1_3genE2ELNS1_11target_archE906ELNS1_3gpuE6ELNS1_3repE0EEENS1_30default_config_static_selectorELNS0_4arch9wavefront6targetE1EEEvSF_,"axG",@progbits,_ZN7rocprim17ROCPRIM_400000_NS6detail17trampoline_kernelINS0_14default_configENS1_22reduce_config_selectorIiEEZNS1_11reduce_implILb1ES3_PiS7_iN6thrust23THRUST_200600_302600_NS4plusIiEEEE10hipError_tPvRmT1_T2_T3_mT4_P12ihipStream_tbEUlT_E1_NS1_11comp_targetILNS1_3genE2ELNS1_11target_archE906ELNS1_3gpuE6ELNS1_3repE0EEENS1_30default_config_static_selectorELNS0_4arch9wavefront6targetE1EEEvSF_,comdat
	.protected	_ZN7rocprim17ROCPRIM_400000_NS6detail17trampoline_kernelINS0_14default_configENS1_22reduce_config_selectorIiEEZNS1_11reduce_implILb1ES3_PiS7_iN6thrust23THRUST_200600_302600_NS4plusIiEEEE10hipError_tPvRmT1_T2_T3_mT4_P12ihipStream_tbEUlT_E1_NS1_11comp_targetILNS1_3genE2ELNS1_11target_archE906ELNS1_3gpuE6ELNS1_3repE0EEENS1_30default_config_static_selectorELNS0_4arch9wavefront6targetE1EEEvSF_ ; -- Begin function _ZN7rocprim17ROCPRIM_400000_NS6detail17trampoline_kernelINS0_14default_configENS1_22reduce_config_selectorIiEEZNS1_11reduce_implILb1ES3_PiS7_iN6thrust23THRUST_200600_302600_NS4plusIiEEEE10hipError_tPvRmT1_T2_T3_mT4_P12ihipStream_tbEUlT_E1_NS1_11comp_targetILNS1_3genE2ELNS1_11target_archE906ELNS1_3gpuE6ELNS1_3repE0EEENS1_30default_config_static_selectorELNS0_4arch9wavefront6targetE1EEEvSF_
	.globl	_ZN7rocprim17ROCPRIM_400000_NS6detail17trampoline_kernelINS0_14default_configENS1_22reduce_config_selectorIiEEZNS1_11reduce_implILb1ES3_PiS7_iN6thrust23THRUST_200600_302600_NS4plusIiEEEE10hipError_tPvRmT1_T2_T3_mT4_P12ihipStream_tbEUlT_E1_NS1_11comp_targetILNS1_3genE2ELNS1_11target_archE906ELNS1_3gpuE6ELNS1_3repE0EEENS1_30default_config_static_selectorELNS0_4arch9wavefront6targetE1EEEvSF_
	.p2align	8
	.type	_ZN7rocprim17ROCPRIM_400000_NS6detail17trampoline_kernelINS0_14default_configENS1_22reduce_config_selectorIiEEZNS1_11reduce_implILb1ES3_PiS7_iN6thrust23THRUST_200600_302600_NS4plusIiEEEE10hipError_tPvRmT1_T2_T3_mT4_P12ihipStream_tbEUlT_E1_NS1_11comp_targetILNS1_3genE2ELNS1_11target_archE906ELNS1_3gpuE6ELNS1_3repE0EEENS1_30default_config_static_selectorELNS0_4arch9wavefront6targetE1EEEvSF_,@function
_ZN7rocprim17ROCPRIM_400000_NS6detail17trampoline_kernelINS0_14default_configENS1_22reduce_config_selectorIiEEZNS1_11reduce_implILb1ES3_PiS7_iN6thrust23THRUST_200600_302600_NS4plusIiEEEE10hipError_tPvRmT1_T2_T3_mT4_P12ihipStream_tbEUlT_E1_NS1_11comp_targetILNS1_3genE2ELNS1_11target_archE906ELNS1_3gpuE6ELNS1_3repE0EEENS1_30default_config_static_selectorELNS0_4arch9wavefront6targetE1EEEvSF_: ; @_ZN7rocprim17ROCPRIM_400000_NS6detail17trampoline_kernelINS0_14default_configENS1_22reduce_config_selectorIiEEZNS1_11reduce_implILb1ES3_PiS7_iN6thrust23THRUST_200600_302600_NS4plusIiEEEE10hipError_tPvRmT1_T2_T3_mT4_P12ihipStream_tbEUlT_E1_NS1_11comp_targetILNS1_3genE2ELNS1_11target_archE906ELNS1_3gpuE6ELNS1_3repE0EEENS1_30default_config_static_selectorELNS0_4arch9wavefront6targetE1EEEvSF_
; %bb.0:
	.section	.rodata,"a",@progbits
	.p2align	6, 0x0
	.amdhsa_kernel _ZN7rocprim17ROCPRIM_400000_NS6detail17trampoline_kernelINS0_14default_configENS1_22reduce_config_selectorIiEEZNS1_11reduce_implILb1ES3_PiS7_iN6thrust23THRUST_200600_302600_NS4plusIiEEEE10hipError_tPvRmT1_T2_T3_mT4_P12ihipStream_tbEUlT_E1_NS1_11comp_targetILNS1_3genE2ELNS1_11target_archE906ELNS1_3gpuE6ELNS1_3repE0EEENS1_30default_config_static_selectorELNS0_4arch9wavefront6targetE1EEEvSF_
		.amdhsa_group_segment_fixed_size 0
		.amdhsa_private_segment_fixed_size 0
		.amdhsa_kernarg_size 40
		.amdhsa_user_sgpr_count 6
		.amdhsa_user_sgpr_private_segment_buffer 1
		.amdhsa_user_sgpr_dispatch_ptr 0
		.amdhsa_user_sgpr_queue_ptr 0
		.amdhsa_user_sgpr_kernarg_segment_ptr 1
		.amdhsa_user_sgpr_dispatch_id 0
		.amdhsa_user_sgpr_flat_scratch_init 0
		.amdhsa_user_sgpr_kernarg_preload_length 0
		.amdhsa_user_sgpr_kernarg_preload_offset 0
		.amdhsa_user_sgpr_private_segment_size 0
		.amdhsa_uses_dynamic_stack 0
		.amdhsa_system_sgpr_private_segment_wavefront_offset 0
		.amdhsa_system_sgpr_workgroup_id_x 1
		.amdhsa_system_sgpr_workgroup_id_y 0
		.amdhsa_system_sgpr_workgroup_id_z 0
		.amdhsa_system_sgpr_workgroup_info 0
		.amdhsa_system_vgpr_workitem_id 0
		.amdhsa_next_free_vgpr 1
		.amdhsa_next_free_sgpr 0
		.amdhsa_accum_offset 4
		.amdhsa_reserve_vcc 0
		.amdhsa_reserve_flat_scratch 0
		.amdhsa_float_round_mode_32 0
		.amdhsa_float_round_mode_16_64 0
		.amdhsa_float_denorm_mode_32 3
		.amdhsa_float_denorm_mode_16_64 3
		.amdhsa_dx10_clamp 1
		.amdhsa_ieee_mode 1
		.amdhsa_fp16_overflow 0
		.amdhsa_tg_split 0
		.amdhsa_exception_fp_ieee_invalid_op 0
		.amdhsa_exception_fp_denorm_src 0
		.amdhsa_exception_fp_ieee_div_zero 0
		.amdhsa_exception_fp_ieee_overflow 0
		.amdhsa_exception_fp_ieee_underflow 0
		.amdhsa_exception_fp_ieee_inexact 0
		.amdhsa_exception_int_div_zero 0
	.end_amdhsa_kernel
	.section	.text._ZN7rocprim17ROCPRIM_400000_NS6detail17trampoline_kernelINS0_14default_configENS1_22reduce_config_selectorIiEEZNS1_11reduce_implILb1ES3_PiS7_iN6thrust23THRUST_200600_302600_NS4plusIiEEEE10hipError_tPvRmT1_T2_T3_mT4_P12ihipStream_tbEUlT_E1_NS1_11comp_targetILNS1_3genE2ELNS1_11target_archE906ELNS1_3gpuE6ELNS1_3repE0EEENS1_30default_config_static_selectorELNS0_4arch9wavefront6targetE1EEEvSF_,"axG",@progbits,_ZN7rocprim17ROCPRIM_400000_NS6detail17trampoline_kernelINS0_14default_configENS1_22reduce_config_selectorIiEEZNS1_11reduce_implILb1ES3_PiS7_iN6thrust23THRUST_200600_302600_NS4plusIiEEEE10hipError_tPvRmT1_T2_T3_mT4_P12ihipStream_tbEUlT_E1_NS1_11comp_targetILNS1_3genE2ELNS1_11target_archE906ELNS1_3gpuE6ELNS1_3repE0EEENS1_30default_config_static_selectorELNS0_4arch9wavefront6targetE1EEEvSF_,comdat
.Lfunc_end331:
	.size	_ZN7rocprim17ROCPRIM_400000_NS6detail17trampoline_kernelINS0_14default_configENS1_22reduce_config_selectorIiEEZNS1_11reduce_implILb1ES3_PiS7_iN6thrust23THRUST_200600_302600_NS4plusIiEEEE10hipError_tPvRmT1_T2_T3_mT4_P12ihipStream_tbEUlT_E1_NS1_11comp_targetILNS1_3genE2ELNS1_11target_archE906ELNS1_3gpuE6ELNS1_3repE0EEENS1_30default_config_static_selectorELNS0_4arch9wavefront6targetE1EEEvSF_, .Lfunc_end331-_ZN7rocprim17ROCPRIM_400000_NS6detail17trampoline_kernelINS0_14default_configENS1_22reduce_config_selectorIiEEZNS1_11reduce_implILb1ES3_PiS7_iN6thrust23THRUST_200600_302600_NS4plusIiEEEE10hipError_tPvRmT1_T2_T3_mT4_P12ihipStream_tbEUlT_E1_NS1_11comp_targetILNS1_3genE2ELNS1_11target_archE906ELNS1_3gpuE6ELNS1_3repE0EEENS1_30default_config_static_selectorELNS0_4arch9wavefront6targetE1EEEvSF_
                                        ; -- End function
	.section	.AMDGPU.csdata,"",@progbits
; Kernel info:
; codeLenInByte = 0
; NumSgprs: 4
; NumVgprs: 0
; NumAgprs: 0
; TotalNumVgprs: 0
; ScratchSize: 0
; MemoryBound: 0
; FloatMode: 240
; IeeeMode: 1
; LDSByteSize: 0 bytes/workgroup (compile time only)
; SGPRBlocks: 0
; VGPRBlocks: 0
; NumSGPRsForWavesPerEU: 4
; NumVGPRsForWavesPerEU: 1
; AccumOffset: 4
; Occupancy: 8
; WaveLimiterHint : 0
; COMPUTE_PGM_RSRC2:SCRATCH_EN: 0
; COMPUTE_PGM_RSRC2:USER_SGPR: 6
; COMPUTE_PGM_RSRC2:TRAP_HANDLER: 0
; COMPUTE_PGM_RSRC2:TGID_X_EN: 1
; COMPUTE_PGM_RSRC2:TGID_Y_EN: 0
; COMPUTE_PGM_RSRC2:TGID_Z_EN: 0
; COMPUTE_PGM_RSRC2:TIDIG_COMP_CNT: 0
; COMPUTE_PGM_RSRC3_GFX90A:ACCUM_OFFSET: 0
; COMPUTE_PGM_RSRC3_GFX90A:TG_SPLIT: 0
	.section	.text._ZN7rocprim17ROCPRIM_400000_NS6detail17trampoline_kernelINS0_14default_configENS1_22reduce_config_selectorIiEEZNS1_11reduce_implILb1ES3_PiS7_iN6thrust23THRUST_200600_302600_NS4plusIiEEEE10hipError_tPvRmT1_T2_T3_mT4_P12ihipStream_tbEUlT_E1_NS1_11comp_targetILNS1_3genE10ELNS1_11target_archE1201ELNS1_3gpuE5ELNS1_3repE0EEENS1_30default_config_static_selectorELNS0_4arch9wavefront6targetE1EEEvSF_,"axG",@progbits,_ZN7rocprim17ROCPRIM_400000_NS6detail17trampoline_kernelINS0_14default_configENS1_22reduce_config_selectorIiEEZNS1_11reduce_implILb1ES3_PiS7_iN6thrust23THRUST_200600_302600_NS4plusIiEEEE10hipError_tPvRmT1_T2_T3_mT4_P12ihipStream_tbEUlT_E1_NS1_11comp_targetILNS1_3genE10ELNS1_11target_archE1201ELNS1_3gpuE5ELNS1_3repE0EEENS1_30default_config_static_selectorELNS0_4arch9wavefront6targetE1EEEvSF_,comdat
	.protected	_ZN7rocprim17ROCPRIM_400000_NS6detail17trampoline_kernelINS0_14default_configENS1_22reduce_config_selectorIiEEZNS1_11reduce_implILb1ES3_PiS7_iN6thrust23THRUST_200600_302600_NS4plusIiEEEE10hipError_tPvRmT1_T2_T3_mT4_P12ihipStream_tbEUlT_E1_NS1_11comp_targetILNS1_3genE10ELNS1_11target_archE1201ELNS1_3gpuE5ELNS1_3repE0EEENS1_30default_config_static_selectorELNS0_4arch9wavefront6targetE1EEEvSF_ ; -- Begin function _ZN7rocprim17ROCPRIM_400000_NS6detail17trampoline_kernelINS0_14default_configENS1_22reduce_config_selectorIiEEZNS1_11reduce_implILb1ES3_PiS7_iN6thrust23THRUST_200600_302600_NS4plusIiEEEE10hipError_tPvRmT1_T2_T3_mT4_P12ihipStream_tbEUlT_E1_NS1_11comp_targetILNS1_3genE10ELNS1_11target_archE1201ELNS1_3gpuE5ELNS1_3repE0EEENS1_30default_config_static_selectorELNS0_4arch9wavefront6targetE1EEEvSF_
	.globl	_ZN7rocprim17ROCPRIM_400000_NS6detail17trampoline_kernelINS0_14default_configENS1_22reduce_config_selectorIiEEZNS1_11reduce_implILb1ES3_PiS7_iN6thrust23THRUST_200600_302600_NS4plusIiEEEE10hipError_tPvRmT1_T2_T3_mT4_P12ihipStream_tbEUlT_E1_NS1_11comp_targetILNS1_3genE10ELNS1_11target_archE1201ELNS1_3gpuE5ELNS1_3repE0EEENS1_30default_config_static_selectorELNS0_4arch9wavefront6targetE1EEEvSF_
	.p2align	8
	.type	_ZN7rocprim17ROCPRIM_400000_NS6detail17trampoline_kernelINS0_14default_configENS1_22reduce_config_selectorIiEEZNS1_11reduce_implILb1ES3_PiS7_iN6thrust23THRUST_200600_302600_NS4plusIiEEEE10hipError_tPvRmT1_T2_T3_mT4_P12ihipStream_tbEUlT_E1_NS1_11comp_targetILNS1_3genE10ELNS1_11target_archE1201ELNS1_3gpuE5ELNS1_3repE0EEENS1_30default_config_static_selectorELNS0_4arch9wavefront6targetE1EEEvSF_,@function
_ZN7rocprim17ROCPRIM_400000_NS6detail17trampoline_kernelINS0_14default_configENS1_22reduce_config_selectorIiEEZNS1_11reduce_implILb1ES3_PiS7_iN6thrust23THRUST_200600_302600_NS4plusIiEEEE10hipError_tPvRmT1_T2_T3_mT4_P12ihipStream_tbEUlT_E1_NS1_11comp_targetILNS1_3genE10ELNS1_11target_archE1201ELNS1_3gpuE5ELNS1_3repE0EEENS1_30default_config_static_selectorELNS0_4arch9wavefront6targetE1EEEvSF_: ; @_ZN7rocprim17ROCPRIM_400000_NS6detail17trampoline_kernelINS0_14default_configENS1_22reduce_config_selectorIiEEZNS1_11reduce_implILb1ES3_PiS7_iN6thrust23THRUST_200600_302600_NS4plusIiEEEE10hipError_tPvRmT1_T2_T3_mT4_P12ihipStream_tbEUlT_E1_NS1_11comp_targetILNS1_3genE10ELNS1_11target_archE1201ELNS1_3gpuE5ELNS1_3repE0EEENS1_30default_config_static_selectorELNS0_4arch9wavefront6targetE1EEEvSF_
; %bb.0:
	.section	.rodata,"a",@progbits
	.p2align	6, 0x0
	.amdhsa_kernel _ZN7rocprim17ROCPRIM_400000_NS6detail17trampoline_kernelINS0_14default_configENS1_22reduce_config_selectorIiEEZNS1_11reduce_implILb1ES3_PiS7_iN6thrust23THRUST_200600_302600_NS4plusIiEEEE10hipError_tPvRmT1_T2_T3_mT4_P12ihipStream_tbEUlT_E1_NS1_11comp_targetILNS1_3genE10ELNS1_11target_archE1201ELNS1_3gpuE5ELNS1_3repE0EEENS1_30default_config_static_selectorELNS0_4arch9wavefront6targetE1EEEvSF_
		.amdhsa_group_segment_fixed_size 0
		.amdhsa_private_segment_fixed_size 0
		.amdhsa_kernarg_size 40
		.amdhsa_user_sgpr_count 6
		.amdhsa_user_sgpr_private_segment_buffer 1
		.amdhsa_user_sgpr_dispatch_ptr 0
		.amdhsa_user_sgpr_queue_ptr 0
		.amdhsa_user_sgpr_kernarg_segment_ptr 1
		.amdhsa_user_sgpr_dispatch_id 0
		.amdhsa_user_sgpr_flat_scratch_init 0
		.amdhsa_user_sgpr_kernarg_preload_length 0
		.amdhsa_user_sgpr_kernarg_preload_offset 0
		.amdhsa_user_sgpr_private_segment_size 0
		.amdhsa_uses_dynamic_stack 0
		.amdhsa_system_sgpr_private_segment_wavefront_offset 0
		.amdhsa_system_sgpr_workgroup_id_x 1
		.amdhsa_system_sgpr_workgroup_id_y 0
		.amdhsa_system_sgpr_workgroup_id_z 0
		.amdhsa_system_sgpr_workgroup_info 0
		.amdhsa_system_vgpr_workitem_id 0
		.amdhsa_next_free_vgpr 1
		.amdhsa_next_free_sgpr 0
		.amdhsa_accum_offset 4
		.amdhsa_reserve_vcc 0
		.amdhsa_reserve_flat_scratch 0
		.amdhsa_float_round_mode_32 0
		.amdhsa_float_round_mode_16_64 0
		.amdhsa_float_denorm_mode_32 3
		.amdhsa_float_denorm_mode_16_64 3
		.amdhsa_dx10_clamp 1
		.amdhsa_ieee_mode 1
		.amdhsa_fp16_overflow 0
		.amdhsa_tg_split 0
		.amdhsa_exception_fp_ieee_invalid_op 0
		.amdhsa_exception_fp_denorm_src 0
		.amdhsa_exception_fp_ieee_div_zero 0
		.amdhsa_exception_fp_ieee_overflow 0
		.amdhsa_exception_fp_ieee_underflow 0
		.amdhsa_exception_fp_ieee_inexact 0
		.amdhsa_exception_int_div_zero 0
	.end_amdhsa_kernel
	.section	.text._ZN7rocprim17ROCPRIM_400000_NS6detail17trampoline_kernelINS0_14default_configENS1_22reduce_config_selectorIiEEZNS1_11reduce_implILb1ES3_PiS7_iN6thrust23THRUST_200600_302600_NS4plusIiEEEE10hipError_tPvRmT1_T2_T3_mT4_P12ihipStream_tbEUlT_E1_NS1_11comp_targetILNS1_3genE10ELNS1_11target_archE1201ELNS1_3gpuE5ELNS1_3repE0EEENS1_30default_config_static_selectorELNS0_4arch9wavefront6targetE1EEEvSF_,"axG",@progbits,_ZN7rocprim17ROCPRIM_400000_NS6detail17trampoline_kernelINS0_14default_configENS1_22reduce_config_selectorIiEEZNS1_11reduce_implILb1ES3_PiS7_iN6thrust23THRUST_200600_302600_NS4plusIiEEEE10hipError_tPvRmT1_T2_T3_mT4_P12ihipStream_tbEUlT_E1_NS1_11comp_targetILNS1_3genE10ELNS1_11target_archE1201ELNS1_3gpuE5ELNS1_3repE0EEENS1_30default_config_static_selectorELNS0_4arch9wavefront6targetE1EEEvSF_,comdat
.Lfunc_end332:
	.size	_ZN7rocprim17ROCPRIM_400000_NS6detail17trampoline_kernelINS0_14default_configENS1_22reduce_config_selectorIiEEZNS1_11reduce_implILb1ES3_PiS7_iN6thrust23THRUST_200600_302600_NS4plusIiEEEE10hipError_tPvRmT1_T2_T3_mT4_P12ihipStream_tbEUlT_E1_NS1_11comp_targetILNS1_3genE10ELNS1_11target_archE1201ELNS1_3gpuE5ELNS1_3repE0EEENS1_30default_config_static_selectorELNS0_4arch9wavefront6targetE1EEEvSF_, .Lfunc_end332-_ZN7rocprim17ROCPRIM_400000_NS6detail17trampoline_kernelINS0_14default_configENS1_22reduce_config_selectorIiEEZNS1_11reduce_implILb1ES3_PiS7_iN6thrust23THRUST_200600_302600_NS4plusIiEEEE10hipError_tPvRmT1_T2_T3_mT4_P12ihipStream_tbEUlT_E1_NS1_11comp_targetILNS1_3genE10ELNS1_11target_archE1201ELNS1_3gpuE5ELNS1_3repE0EEENS1_30default_config_static_selectorELNS0_4arch9wavefront6targetE1EEEvSF_
                                        ; -- End function
	.section	.AMDGPU.csdata,"",@progbits
; Kernel info:
; codeLenInByte = 0
; NumSgprs: 4
; NumVgprs: 0
; NumAgprs: 0
; TotalNumVgprs: 0
; ScratchSize: 0
; MemoryBound: 0
; FloatMode: 240
; IeeeMode: 1
; LDSByteSize: 0 bytes/workgroup (compile time only)
; SGPRBlocks: 0
; VGPRBlocks: 0
; NumSGPRsForWavesPerEU: 4
; NumVGPRsForWavesPerEU: 1
; AccumOffset: 4
; Occupancy: 8
; WaveLimiterHint : 0
; COMPUTE_PGM_RSRC2:SCRATCH_EN: 0
; COMPUTE_PGM_RSRC2:USER_SGPR: 6
; COMPUTE_PGM_RSRC2:TRAP_HANDLER: 0
; COMPUTE_PGM_RSRC2:TGID_X_EN: 1
; COMPUTE_PGM_RSRC2:TGID_Y_EN: 0
; COMPUTE_PGM_RSRC2:TGID_Z_EN: 0
; COMPUTE_PGM_RSRC2:TIDIG_COMP_CNT: 0
; COMPUTE_PGM_RSRC3_GFX90A:ACCUM_OFFSET: 0
; COMPUTE_PGM_RSRC3_GFX90A:TG_SPLIT: 0
	.section	.text._ZN7rocprim17ROCPRIM_400000_NS6detail17trampoline_kernelINS0_14default_configENS1_22reduce_config_selectorIiEEZNS1_11reduce_implILb1ES3_PiS7_iN6thrust23THRUST_200600_302600_NS4plusIiEEEE10hipError_tPvRmT1_T2_T3_mT4_P12ihipStream_tbEUlT_E1_NS1_11comp_targetILNS1_3genE10ELNS1_11target_archE1200ELNS1_3gpuE4ELNS1_3repE0EEENS1_30default_config_static_selectorELNS0_4arch9wavefront6targetE1EEEvSF_,"axG",@progbits,_ZN7rocprim17ROCPRIM_400000_NS6detail17trampoline_kernelINS0_14default_configENS1_22reduce_config_selectorIiEEZNS1_11reduce_implILb1ES3_PiS7_iN6thrust23THRUST_200600_302600_NS4plusIiEEEE10hipError_tPvRmT1_T2_T3_mT4_P12ihipStream_tbEUlT_E1_NS1_11comp_targetILNS1_3genE10ELNS1_11target_archE1200ELNS1_3gpuE4ELNS1_3repE0EEENS1_30default_config_static_selectorELNS0_4arch9wavefront6targetE1EEEvSF_,comdat
	.protected	_ZN7rocprim17ROCPRIM_400000_NS6detail17trampoline_kernelINS0_14default_configENS1_22reduce_config_selectorIiEEZNS1_11reduce_implILb1ES3_PiS7_iN6thrust23THRUST_200600_302600_NS4plusIiEEEE10hipError_tPvRmT1_T2_T3_mT4_P12ihipStream_tbEUlT_E1_NS1_11comp_targetILNS1_3genE10ELNS1_11target_archE1200ELNS1_3gpuE4ELNS1_3repE0EEENS1_30default_config_static_selectorELNS0_4arch9wavefront6targetE1EEEvSF_ ; -- Begin function _ZN7rocprim17ROCPRIM_400000_NS6detail17trampoline_kernelINS0_14default_configENS1_22reduce_config_selectorIiEEZNS1_11reduce_implILb1ES3_PiS7_iN6thrust23THRUST_200600_302600_NS4plusIiEEEE10hipError_tPvRmT1_T2_T3_mT4_P12ihipStream_tbEUlT_E1_NS1_11comp_targetILNS1_3genE10ELNS1_11target_archE1200ELNS1_3gpuE4ELNS1_3repE0EEENS1_30default_config_static_selectorELNS0_4arch9wavefront6targetE1EEEvSF_
	.globl	_ZN7rocprim17ROCPRIM_400000_NS6detail17trampoline_kernelINS0_14default_configENS1_22reduce_config_selectorIiEEZNS1_11reduce_implILb1ES3_PiS7_iN6thrust23THRUST_200600_302600_NS4plusIiEEEE10hipError_tPvRmT1_T2_T3_mT4_P12ihipStream_tbEUlT_E1_NS1_11comp_targetILNS1_3genE10ELNS1_11target_archE1200ELNS1_3gpuE4ELNS1_3repE0EEENS1_30default_config_static_selectorELNS0_4arch9wavefront6targetE1EEEvSF_
	.p2align	8
	.type	_ZN7rocprim17ROCPRIM_400000_NS6detail17trampoline_kernelINS0_14default_configENS1_22reduce_config_selectorIiEEZNS1_11reduce_implILb1ES3_PiS7_iN6thrust23THRUST_200600_302600_NS4plusIiEEEE10hipError_tPvRmT1_T2_T3_mT4_P12ihipStream_tbEUlT_E1_NS1_11comp_targetILNS1_3genE10ELNS1_11target_archE1200ELNS1_3gpuE4ELNS1_3repE0EEENS1_30default_config_static_selectorELNS0_4arch9wavefront6targetE1EEEvSF_,@function
_ZN7rocprim17ROCPRIM_400000_NS6detail17trampoline_kernelINS0_14default_configENS1_22reduce_config_selectorIiEEZNS1_11reduce_implILb1ES3_PiS7_iN6thrust23THRUST_200600_302600_NS4plusIiEEEE10hipError_tPvRmT1_T2_T3_mT4_P12ihipStream_tbEUlT_E1_NS1_11comp_targetILNS1_3genE10ELNS1_11target_archE1200ELNS1_3gpuE4ELNS1_3repE0EEENS1_30default_config_static_selectorELNS0_4arch9wavefront6targetE1EEEvSF_: ; @_ZN7rocprim17ROCPRIM_400000_NS6detail17trampoline_kernelINS0_14default_configENS1_22reduce_config_selectorIiEEZNS1_11reduce_implILb1ES3_PiS7_iN6thrust23THRUST_200600_302600_NS4plusIiEEEE10hipError_tPvRmT1_T2_T3_mT4_P12ihipStream_tbEUlT_E1_NS1_11comp_targetILNS1_3genE10ELNS1_11target_archE1200ELNS1_3gpuE4ELNS1_3repE0EEENS1_30default_config_static_selectorELNS0_4arch9wavefront6targetE1EEEvSF_
; %bb.0:
	.section	.rodata,"a",@progbits
	.p2align	6, 0x0
	.amdhsa_kernel _ZN7rocprim17ROCPRIM_400000_NS6detail17trampoline_kernelINS0_14default_configENS1_22reduce_config_selectorIiEEZNS1_11reduce_implILb1ES3_PiS7_iN6thrust23THRUST_200600_302600_NS4plusIiEEEE10hipError_tPvRmT1_T2_T3_mT4_P12ihipStream_tbEUlT_E1_NS1_11comp_targetILNS1_3genE10ELNS1_11target_archE1200ELNS1_3gpuE4ELNS1_3repE0EEENS1_30default_config_static_selectorELNS0_4arch9wavefront6targetE1EEEvSF_
		.amdhsa_group_segment_fixed_size 0
		.amdhsa_private_segment_fixed_size 0
		.amdhsa_kernarg_size 40
		.amdhsa_user_sgpr_count 6
		.amdhsa_user_sgpr_private_segment_buffer 1
		.amdhsa_user_sgpr_dispatch_ptr 0
		.amdhsa_user_sgpr_queue_ptr 0
		.amdhsa_user_sgpr_kernarg_segment_ptr 1
		.amdhsa_user_sgpr_dispatch_id 0
		.amdhsa_user_sgpr_flat_scratch_init 0
		.amdhsa_user_sgpr_kernarg_preload_length 0
		.amdhsa_user_sgpr_kernarg_preload_offset 0
		.amdhsa_user_sgpr_private_segment_size 0
		.amdhsa_uses_dynamic_stack 0
		.amdhsa_system_sgpr_private_segment_wavefront_offset 0
		.amdhsa_system_sgpr_workgroup_id_x 1
		.amdhsa_system_sgpr_workgroup_id_y 0
		.amdhsa_system_sgpr_workgroup_id_z 0
		.amdhsa_system_sgpr_workgroup_info 0
		.amdhsa_system_vgpr_workitem_id 0
		.amdhsa_next_free_vgpr 1
		.amdhsa_next_free_sgpr 0
		.amdhsa_accum_offset 4
		.amdhsa_reserve_vcc 0
		.amdhsa_reserve_flat_scratch 0
		.amdhsa_float_round_mode_32 0
		.amdhsa_float_round_mode_16_64 0
		.amdhsa_float_denorm_mode_32 3
		.amdhsa_float_denorm_mode_16_64 3
		.amdhsa_dx10_clamp 1
		.amdhsa_ieee_mode 1
		.amdhsa_fp16_overflow 0
		.amdhsa_tg_split 0
		.amdhsa_exception_fp_ieee_invalid_op 0
		.amdhsa_exception_fp_denorm_src 0
		.amdhsa_exception_fp_ieee_div_zero 0
		.amdhsa_exception_fp_ieee_overflow 0
		.amdhsa_exception_fp_ieee_underflow 0
		.amdhsa_exception_fp_ieee_inexact 0
		.amdhsa_exception_int_div_zero 0
	.end_amdhsa_kernel
	.section	.text._ZN7rocprim17ROCPRIM_400000_NS6detail17trampoline_kernelINS0_14default_configENS1_22reduce_config_selectorIiEEZNS1_11reduce_implILb1ES3_PiS7_iN6thrust23THRUST_200600_302600_NS4plusIiEEEE10hipError_tPvRmT1_T2_T3_mT4_P12ihipStream_tbEUlT_E1_NS1_11comp_targetILNS1_3genE10ELNS1_11target_archE1200ELNS1_3gpuE4ELNS1_3repE0EEENS1_30default_config_static_selectorELNS0_4arch9wavefront6targetE1EEEvSF_,"axG",@progbits,_ZN7rocprim17ROCPRIM_400000_NS6detail17trampoline_kernelINS0_14default_configENS1_22reduce_config_selectorIiEEZNS1_11reduce_implILb1ES3_PiS7_iN6thrust23THRUST_200600_302600_NS4plusIiEEEE10hipError_tPvRmT1_T2_T3_mT4_P12ihipStream_tbEUlT_E1_NS1_11comp_targetILNS1_3genE10ELNS1_11target_archE1200ELNS1_3gpuE4ELNS1_3repE0EEENS1_30default_config_static_selectorELNS0_4arch9wavefront6targetE1EEEvSF_,comdat
.Lfunc_end333:
	.size	_ZN7rocprim17ROCPRIM_400000_NS6detail17trampoline_kernelINS0_14default_configENS1_22reduce_config_selectorIiEEZNS1_11reduce_implILb1ES3_PiS7_iN6thrust23THRUST_200600_302600_NS4plusIiEEEE10hipError_tPvRmT1_T2_T3_mT4_P12ihipStream_tbEUlT_E1_NS1_11comp_targetILNS1_3genE10ELNS1_11target_archE1200ELNS1_3gpuE4ELNS1_3repE0EEENS1_30default_config_static_selectorELNS0_4arch9wavefront6targetE1EEEvSF_, .Lfunc_end333-_ZN7rocprim17ROCPRIM_400000_NS6detail17trampoline_kernelINS0_14default_configENS1_22reduce_config_selectorIiEEZNS1_11reduce_implILb1ES3_PiS7_iN6thrust23THRUST_200600_302600_NS4plusIiEEEE10hipError_tPvRmT1_T2_T3_mT4_P12ihipStream_tbEUlT_E1_NS1_11comp_targetILNS1_3genE10ELNS1_11target_archE1200ELNS1_3gpuE4ELNS1_3repE0EEENS1_30default_config_static_selectorELNS0_4arch9wavefront6targetE1EEEvSF_
                                        ; -- End function
	.section	.AMDGPU.csdata,"",@progbits
; Kernel info:
; codeLenInByte = 0
; NumSgprs: 4
; NumVgprs: 0
; NumAgprs: 0
; TotalNumVgprs: 0
; ScratchSize: 0
; MemoryBound: 0
; FloatMode: 240
; IeeeMode: 1
; LDSByteSize: 0 bytes/workgroup (compile time only)
; SGPRBlocks: 0
; VGPRBlocks: 0
; NumSGPRsForWavesPerEU: 4
; NumVGPRsForWavesPerEU: 1
; AccumOffset: 4
; Occupancy: 8
; WaveLimiterHint : 0
; COMPUTE_PGM_RSRC2:SCRATCH_EN: 0
; COMPUTE_PGM_RSRC2:USER_SGPR: 6
; COMPUTE_PGM_RSRC2:TRAP_HANDLER: 0
; COMPUTE_PGM_RSRC2:TGID_X_EN: 1
; COMPUTE_PGM_RSRC2:TGID_Y_EN: 0
; COMPUTE_PGM_RSRC2:TGID_Z_EN: 0
; COMPUTE_PGM_RSRC2:TIDIG_COMP_CNT: 0
; COMPUTE_PGM_RSRC3_GFX90A:ACCUM_OFFSET: 0
; COMPUTE_PGM_RSRC3_GFX90A:TG_SPLIT: 0
	.section	.text._ZN7rocprim17ROCPRIM_400000_NS6detail17trampoline_kernelINS0_14default_configENS1_22reduce_config_selectorIiEEZNS1_11reduce_implILb1ES3_PiS7_iN6thrust23THRUST_200600_302600_NS4plusIiEEEE10hipError_tPvRmT1_T2_T3_mT4_P12ihipStream_tbEUlT_E1_NS1_11comp_targetILNS1_3genE9ELNS1_11target_archE1100ELNS1_3gpuE3ELNS1_3repE0EEENS1_30default_config_static_selectorELNS0_4arch9wavefront6targetE1EEEvSF_,"axG",@progbits,_ZN7rocprim17ROCPRIM_400000_NS6detail17trampoline_kernelINS0_14default_configENS1_22reduce_config_selectorIiEEZNS1_11reduce_implILb1ES3_PiS7_iN6thrust23THRUST_200600_302600_NS4plusIiEEEE10hipError_tPvRmT1_T2_T3_mT4_P12ihipStream_tbEUlT_E1_NS1_11comp_targetILNS1_3genE9ELNS1_11target_archE1100ELNS1_3gpuE3ELNS1_3repE0EEENS1_30default_config_static_selectorELNS0_4arch9wavefront6targetE1EEEvSF_,comdat
	.protected	_ZN7rocprim17ROCPRIM_400000_NS6detail17trampoline_kernelINS0_14default_configENS1_22reduce_config_selectorIiEEZNS1_11reduce_implILb1ES3_PiS7_iN6thrust23THRUST_200600_302600_NS4plusIiEEEE10hipError_tPvRmT1_T2_T3_mT4_P12ihipStream_tbEUlT_E1_NS1_11comp_targetILNS1_3genE9ELNS1_11target_archE1100ELNS1_3gpuE3ELNS1_3repE0EEENS1_30default_config_static_selectorELNS0_4arch9wavefront6targetE1EEEvSF_ ; -- Begin function _ZN7rocprim17ROCPRIM_400000_NS6detail17trampoline_kernelINS0_14default_configENS1_22reduce_config_selectorIiEEZNS1_11reduce_implILb1ES3_PiS7_iN6thrust23THRUST_200600_302600_NS4plusIiEEEE10hipError_tPvRmT1_T2_T3_mT4_P12ihipStream_tbEUlT_E1_NS1_11comp_targetILNS1_3genE9ELNS1_11target_archE1100ELNS1_3gpuE3ELNS1_3repE0EEENS1_30default_config_static_selectorELNS0_4arch9wavefront6targetE1EEEvSF_
	.globl	_ZN7rocprim17ROCPRIM_400000_NS6detail17trampoline_kernelINS0_14default_configENS1_22reduce_config_selectorIiEEZNS1_11reduce_implILb1ES3_PiS7_iN6thrust23THRUST_200600_302600_NS4plusIiEEEE10hipError_tPvRmT1_T2_T3_mT4_P12ihipStream_tbEUlT_E1_NS1_11comp_targetILNS1_3genE9ELNS1_11target_archE1100ELNS1_3gpuE3ELNS1_3repE0EEENS1_30default_config_static_selectorELNS0_4arch9wavefront6targetE1EEEvSF_
	.p2align	8
	.type	_ZN7rocprim17ROCPRIM_400000_NS6detail17trampoline_kernelINS0_14default_configENS1_22reduce_config_selectorIiEEZNS1_11reduce_implILb1ES3_PiS7_iN6thrust23THRUST_200600_302600_NS4plusIiEEEE10hipError_tPvRmT1_T2_T3_mT4_P12ihipStream_tbEUlT_E1_NS1_11comp_targetILNS1_3genE9ELNS1_11target_archE1100ELNS1_3gpuE3ELNS1_3repE0EEENS1_30default_config_static_selectorELNS0_4arch9wavefront6targetE1EEEvSF_,@function
_ZN7rocprim17ROCPRIM_400000_NS6detail17trampoline_kernelINS0_14default_configENS1_22reduce_config_selectorIiEEZNS1_11reduce_implILb1ES3_PiS7_iN6thrust23THRUST_200600_302600_NS4plusIiEEEE10hipError_tPvRmT1_T2_T3_mT4_P12ihipStream_tbEUlT_E1_NS1_11comp_targetILNS1_3genE9ELNS1_11target_archE1100ELNS1_3gpuE3ELNS1_3repE0EEENS1_30default_config_static_selectorELNS0_4arch9wavefront6targetE1EEEvSF_: ; @_ZN7rocprim17ROCPRIM_400000_NS6detail17trampoline_kernelINS0_14default_configENS1_22reduce_config_selectorIiEEZNS1_11reduce_implILb1ES3_PiS7_iN6thrust23THRUST_200600_302600_NS4plusIiEEEE10hipError_tPvRmT1_T2_T3_mT4_P12ihipStream_tbEUlT_E1_NS1_11comp_targetILNS1_3genE9ELNS1_11target_archE1100ELNS1_3gpuE3ELNS1_3repE0EEENS1_30default_config_static_selectorELNS0_4arch9wavefront6targetE1EEEvSF_
; %bb.0:
	.section	.rodata,"a",@progbits
	.p2align	6, 0x0
	.amdhsa_kernel _ZN7rocprim17ROCPRIM_400000_NS6detail17trampoline_kernelINS0_14default_configENS1_22reduce_config_selectorIiEEZNS1_11reduce_implILb1ES3_PiS7_iN6thrust23THRUST_200600_302600_NS4plusIiEEEE10hipError_tPvRmT1_T2_T3_mT4_P12ihipStream_tbEUlT_E1_NS1_11comp_targetILNS1_3genE9ELNS1_11target_archE1100ELNS1_3gpuE3ELNS1_3repE0EEENS1_30default_config_static_selectorELNS0_4arch9wavefront6targetE1EEEvSF_
		.amdhsa_group_segment_fixed_size 0
		.amdhsa_private_segment_fixed_size 0
		.amdhsa_kernarg_size 40
		.amdhsa_user_sgpr_count 6
		.amdhsa_user_sgpr_private_segment_buffer 1
		.amdhsa_user_sgpr_dispatch_ptr 0
		.amdhsa_user_sgpr_queue_ptr 0
		.amdhsa_user_sgpr_kernarg_segment_ptr 1
		.amdhsa_user_sgpr_dispatch_id 0
		.amdhsa_user_sgpr_flat_scratch_init 0
		.amdhsa_user_sgpr_kernarg_preload_length 0
		.amdhsa_user_sgpr_kernarg_preload_offset 0
		.amdhsa_user_sgpr_private_segment_size 0
		.amdhsa_uses_dynamic_stack 0
		.amdhsa_system_sgpr_private_segment_wavefront_offset 0
		.amdhsa_system_sgpr_workgroup_id_x 1
		.amdhsa_system_sgpr_workgroup_id_y 0
		.amdhsa_system_sgpr_workgroup_id_z 0
		.amdhsa_system_sgpr_workgroup_info 0
		.amdhsa_system_vgpr_workitem_id 0
		.amdhsa_next_free_vgpr 1
		.amdhsa_next_free_sgpr 0
		.amdhsa_accum_offset 4
		.amdhsa_reserve_vcc 0
		.amdhsa_reserve_flat_scratch 0
		.amdhsa_float_round_mode_32 0
		.amdhsa_float_round_mode_16_64 0
		.amdhsa_float_denorm_mode_32 3
		.amdhsa_float_denorm_mode_16_64 3
		.amdhsa_dx10_clamp 1
		.amdhsa_ieee_mode 1
		.amdhsa_fp16_overflow 0
		.amdhsa_tg_split 0
		.amdhsa_exception_fp_ieee_invalid_op 0
		.amdhsa_exception_fp_denorm_src 0
		.amdhsa_exception_fp_ieee_div_zero 0
		.amdhsa_exception_fp_ieee_overflow 0
		.amdhsa_exception_fp_ieee_underflow 0
		.amdhsa_exception_fp_ieee_inexact 0
		.amdhsa_exception_int_div_zero 0
	.end_amdhsa_kernel
	.section	.text._ZN7rocprim17ROCPRIM_400000_NS6detail17trampoline_kernelINS0_14default_configENS1_22reduce_config_selectorIiEEZNS1_11reduce_implILb1ES3_PiS7_iN6thrust23THRUST_200600_302600_NS4plusIiEEEE10hipError_tPvRmT1_T2_T3_mT4_P12ihipStream_tbEUlT_E1_NS1_11comp_targetILNS1_3genE9ELNS1_11target_archE1100ELNS1_3gpuE3ELNS1_3repE0EEENS1_30default_config_static_selectorELNS0_4arch9wavefront6targetE1EEEvSF_,"axG",@progbits,_ZN7rocprim17ROCPRIM_400000_NS6detail17trampoline_kernelINS0_14default_configENS1_22reduce_config_selectorIiEEZNS1_11reduce_implILb1ES3_PiS7_iN6thrust23THRUST_200600_302600_NS4plusIiEEEE10hipError_tPvRmT1_T2_T3_mT4_P12ihipStream_tbEUlT_E1_NS1_11comp_targetILNS1_3genE9ELNS1_11target_archE1100ELNS1_3gpuE3ELNS1_3repE0EEENS1_30default_config_static_selectorELNS0_4arch9wavefront6targetE1EEEvSF_,comdat
.Lfunc_end334:
	.size	_ZN7rocprim17ROCPRIM_400000_NS6detail17trampoline_kernelINS0_14default_configENS1_22reduce_config_selectorIiEEZNS1_11reduce_implILb1ES3_PiS7_iN6thrust23THRUST_200600_302600_NS4plusIiEEEE10hipError_tPvRmT1_T2_T3_mT4_P12ihipStream_tbEUlT_E1_NS1_11comp_targetILNS1_3genE9ELNS1_11target_archE1100ELNS1_3gpuE3ELNS1_3repE0EEENS1_30default_config_static_selectorELNS0_4arch9wavefront6targetE1EEEvSF_, .Lfunc_end334-_ZN7rocprim17ROCPRIM_400000_NS6detail17trampoline_kernelINS0_14default_configENS1_22reduce_config_selectorIiEEZNS1_11reduce_implILb1ES3_PiS7_iN6thrust23THRUST_200600_302600_NS4plusIiEEEE10hipError_tPvRmT1_T2_T3_mT4_P12ihipStream_tbEUlT_E1_NS1_11comp_targetILNS1_3genE9ELNS1_11target_archE1100ELNS1_3gpuE3ELNS1_3repE0EEENS1_30default_config_static_selectorELNS0_4arch9wavefront6targetE1EEEvSF_
                                        ; -- End function
	.section	.AMDGPU.csdata,"",@progbits
; Kernel info:
; codeLenInByte = 0
; NumSgprs: 4
; NumVgprs: 0
; NumAgprs: 0
; TotalNumVgprs: 0
; ScratchSize: 0
; MemoryBound: 0
; FloatMode: 240
; IeeeMode: 1
; LDSByteSize: 0 bytes/workgroup (compile time only)
; SGPRBlocks: 0
; VGPRBlocks: 0
; NumSGPRsForWavesPerEU: 4
; NumVGPRsForWavesPerEU: 1
; AccumOffset: 4
; Occupancy: 8
; WaveLimiterHint : 0
; COMPUTE_PGM_RSRC2:SCRATCH_EN: 0
; COMPUTE_PGM_RSRC2:USER_SGPR: 6
; COMPUTE_PGM_RSRC2:TRAP_HANDLER: 0
; COMPUTE_PGM_RSRC2:TGID_X_EN: 1
; COMPUTE_PGM_RSRC2:TGID_Y_EN: 0
; COMPUTE_PGM_RSRC2:TGID_Z_EN: 0
; COMPUTE_PGM_RSRC2:TIDIG_COMP_CNT: 0
; COMPUTE_PGM_RSRC3_GFX90A:ACCUM_OFFSET: 0
; COMPUTE_PGM_RSRC3_GFX90A:TG_SPLIT: 0
	.section	.text._ZN7rocprim17ROCPRIM_400000_NS6detail17trampoline_kernelINS0_14default_configENS1_22reduce_config_selectorIiEEZNS1_11reduce_implILb1ES3_PiS7_iN6thrust23THRUST_200600_302600_NS4plusIiEEEE10hipError_tPvRmT1_T2_T3_mT4_P12ihipStream_tbEUlT_E1_NS1_11comp_targetILNS1_3genE8ELNS1_11target_archE1030ELNS1_3gpuE2ELNS1_3repE0EEENS1_30default_config_static_selectorELNS0_4arch9wavefront6targetE1EEEvSF_,"axG",@progbits,_ZN7rocprim17ROCPRIM_400000_NS6detail17trampoline_kernelINS0_14default_configENS1_22reduce_config_selectorIiEEZNS1_11reduce_implILb1ES3_PiS7_iN6thrust23THRUST_200600_302600_NS4plusIiEEEE10hipError_tPvRmT1_T2_T3_mT4_P12ihipStream_tbEUlT_E1_NS1_11comp_targetILNS1_3genE8ELNS1_11target_archE1030ELNS1_3gpuE2ELNS1_3repE0EEENS1_30default_config_static_selectorELNS0_4arch9wavefront6targetE1EEEvSF_,comdat
	.protected	_ZN7rocprim17ROCPRIM_400000_NS6detail17trampoline_kernelINS0_14default_configENS1_22reduce_config_selectorIiEEZNS1_11reduce_implILb1ES3_PiS7_iN6thrust23THRUST_200600_302600_NS4plusIiEEEE10hipError_tPvRmT1_T2_T3_mT4_P12ihipStream_tbEUlT_E1_NS1_11comp_targetILNS1_3genE8ELNS1_11target_archE1030ELNS1_3gpuE2ELNS1_3repE0EEENS1_30default_config_static_selectorELNS0_4arch9wavefront6targetE1EEEvSF_ ; -- Begin function _ZN7rocprim17ROCPRIM_400000_NS6detail17trampoline_kernelINS0_14default_configENS1_22reduce_config_selectorIiEEZNS1_11reduce_implILb1ES3_PiS7_iN6thrust23THRUST_200600_302600_NS4plusIiEEEE10hipError_tPvRmT1_T2_T3_mT4_P12ihipStream_tbEUlT_E1_NS1_11comp_targetILNS1_3genE8ELNS1_11target_archE1030ELNS1_3gpuE2ELNS1_3repE0EEENS1_30default_config_static_selectorELNS0_4arch9wavefront6targetE1EEEvSF_
	.globl	_ZN7rocprim17ROCPRIM_400000_NS6detail17trampoline_kernelINS0_14default_configENS1_22reduce_config_selectorIiEEZNS1_11reduce_implILb1ES3_PiS7_iN6thrust23THRUST_200600_302600_NS4plusIiEEEE10hipError_tPvRmT1_T2_T3_mT4_P12ihipStream_tbEUlT_E1_NS1_11comp_targetILNS1_3genE8ELNS1_11target_archE1030ELNS1_3gpuE2ELNS1_3repE0EEENS1_30default_config_static_selectorELNS0_4arch9wavefront6targetE1EEEvSF_
	.p2align	8
	.type	_ZN7rocprim17ROCPRIM_400000_NS6detail17trampoline_kernelINS0_14default_configENS1_22reduce_config_selectorIiEEZNS1_11reduce_implILb1ES3_PiS7_iN6thrust23THRUST_200600_302600_NS4plusIiEEEE10hipError_tPvRmT1_T2_T3_mT4_P12ihipStream_tbEUlT_E1_NS1_11comp_targetILNS1_3genE8ELNS1_11target_archE1030ELNS1_3gpuE2ELNS1_3repE0EEENS1_30default_config_static_selectorELNS0_4arch9wavefront6targetE1EEEvSF_,@function
_ZN7rocprim17ROCPRIM_400000_NS6detail17trampoline_kernelINS0_14default_configENS1_22reduce_config_selectorIiEEZNS1_11reduce_implILb1ES3_PiS7_iN6thrust23THRUST_200600_302600_NS4plusIiEEEE10hipError_tPvRmT1_T2_T3_mT4_P12ihipStream_tbEUlT_E1_NS1_11comp_targetILNS1_3genE8ELNS1_11target_archE1030ELNS1_3gpuE2ELNS1_3repE0EEENS1_30default_config_static_selectorELNS0_4arch9wavefront6targetE1EEEvSF_: ; @_ZN7rocprim17ROCPRIM_400000_NS6detail17trampoline_kernelINS0_14default_configENS1_22reduce_config_selectorIiEEZNS1_11reduce_implILb1ES3_PiS7_iN6thrust23THRUST_200600_302600_NS4plusIiEEEE10hipError_tPvRmT1_T2_T3_mT4_P12ihipStream_tbEUlT_E1_NS1_11comp_targetILNS1_3genE8ELNS1_11target_archE1030ELNS1_3gpuE2ELNS1_3repE0EEENS1_30default_config_static_selectorELNS0_4arch9wavefront6targetE1EEEvSF_
; %bb.0:
	.section	.rodata,"a",@progbits
	.p2align	6, 0x0
	.amdhsa_kernel _ZN7rocprim17ROCPRIM_400000_NS6detail17trampoline_kernelINS0_14default_configENS1_22reduce_config_selectorIiEEZNS1_11reduce_implILb1ES3_PiS7_iN6thrust23THRUST_200600_302600_NS4plusIiEEEE10hipError_tPvRmT1_T2_T3_mT4_P12ihipStream_tbEUlT_E1_NS1_11comp_targetILNS1_3genE8ELNS1_11target_archE1030ELNS1_3gpuE2ELNS1_3repE0EEENS1_30default_config_static_selectorELNS0_4arch9wavefront6targetE1EEEvSF_
		.amdhsa_group_segment_fixed_size 0
		.amdhsa_private_segment_fixed_size 0
		.amdhsa_kernarg_size 40
		.amdhsa_user_sgpr_count 6
		.amdhsa_user_sgpr_private_segment_buffer 1
		.amdhsa_user_sgpr_dispatch_ptr 0
		.amdhsa_user_sgpr_queue_ptr 0
		.amdhsa_user_sgpr_kernarg_segment_ptr 1
		.amdhsa_user_sgpr_dispatch_id 0
		.amdhsa_user_sgpr_flat_scratch_init 0
		.amdhsa_user_sgpr_kernarg_preload_length 0
		.amdhsa_user_sgpr_kernarg_preload_offset 0
		.amdhsa_user_sgpr_private_segment_size 0
		.amdhsa_uses_dynamic_stack 0
		.amdhsa_system_sgpr_private_segment_wavefront_offset 0
		.amdhsa_system_sgpr_workgroup_id_x 1
		.amdhsa_system_sgpr_workgroup_id_y 0
		.amdhsa_system_sgpr_workgroup_id_z 0
		.amdhsa_system_sgpr_workgroup_info 0
		.amdhsa_system_vgpr_workitem_id 0
		.amdhsa_next_free_vgpr 1
		.amdhsa_next_free_sgpr 0
		.amdhsa_accum_offset 4
		.amdhsa_reserve_vcc 0
		.amdhsa_reserve_flat_scratch 0
		.amdhsa_float_round_mode_32 0
		.amdhsa_float_round_mode_16_64 0
		.amdhsa_float_denorm_mode_32 3
		.amdhsa_float_denorm_mode_16_64 3
		.amdhsa_dx10_clamp 1
		.amdhsa_ieee_mode 1
		.amdhsa_fp16_overflow 0
		.amdhsa_tg_split 0
		.amdhsa_exception_fp_ieee_invalid_op 0
		.amdhsa_exception_fp_denorm_src 0
		.amdhsa_exception_fp_ieee_div_zero 0
		.amdhsa_exception_fp_ieee_overflow 0
		.amdhsa_exception_fp_ieee_underflow 0
		.amdhsa_exception_fp_ieee_inexact 0
		.amdhsa_exception_int_div_zero 0
	.end_amdhsa_kernel
	.section	.text._ZN7rocprim17ROCPRIM_400000_NS6detail17trampoline_kernelINS0_14default_configENS1_22reduce_config_selectorIiEEZNS1_11reduce_implILb1ES3_PiS7_iN6thrust23THRUST_200600_302600_NS4plusIiEEEE10hipError_tPvRmT1_T2_T3_mT4_P12ihipStream_tbEUlT_E1_NS1_11comp_targetILNS1_3genE8ELNS1_11target_archE1030ELNS1_3gpuE2ELNS1_3repE0EEENS1_30default_config_static_selectorELNS0_4arch9wavefront6targetE1EEEvSF_,"axG",@progbits,_ZN7rocprim17ROCPRIM_400000_NS6detail17trampoline_kernelINS0_14default_configENS1_22reduce_config_selectorIiEEZNS1_11reduce_implILb1ES3_PiS7_iN6thrust23THRUST_200600_302600_NS4plusIiEEEE10hipError_tPvRmT1_T2_T3_mT4_P12ihipStream_tbEUlT_E1_NS1_11comp_targetILNS1_3genE8ELNS1_11target_archE1030ELNS1_3gpuE2ELNS1_3repE0EEENS1_30default_config_static_selectorELNS0_4arch9wavefront6targetE1EEEvSF_,comdat
.Lfunc_end335:
	.size	_ZN7rocprim17ROCPRIM_400000_NS6detail17trampoline_kernelINS0_14default_configENS1_22reduce_config_selectorIiEEZNS1_11reduce_implILb1ES3_PiS7_iN6thrust23THRUST_200600_302600_NS4plusIiEEEE10hipError_tPvRmT1_T2_T3_mT4_P12ihipStream_tbEUlT_E1_NS1_11comp_targetILNS1_3genE8ELNS1_11target_archE1030ELNS1_3gpuE2ELNS1_3repE0EEENS1_30default_config_static_selectorELNS0_4arch9wavefront6targetE1EEEvSF_, .Lfunc_end335-_ZN7rocprim17ROCPRIM_400000_NS6detail17trampoline_kernelINS0_14default_configENS1_22reduce_config_selectorIiEEZNS1_11reduce_implILb1ES3_PiS7_iN6thrust23THRUST_200600_302600_NS4plusIiEEEE10hipError_tPvRmT1_T2_T3_mT4_P12ihipStream_tbEUlT_E1_NS1_11comp_targetILNS1_3genE8ELNS1_11target_archE1030ELNS1_3gpuE2ELNS1_3repE0EEENS1_30default_config_static_selectorELNS0_4arch9wavefront6targetE1EEEvSF_
                                        ; -- End function
	.section	.AMDGPU.csdata,"",@progbits
; Kernel info:
; codeLenInByte = 0
; NumSgprs: 4
; NumVgprs: 0
; NumAgprs: 0
; TotalNumVgprs: 0
; ScratchSize: 0
; MemoryBound: 0
; FloatMode: 240
; IeeeMode: 1
; LDSByteSize: 0 bytes/workgroup (compile time only)
; SGPRBlocks: 0
; VGPRBlocks: 0
; NumSGPRsForWavesPerEU: 4
; NumVGPRsForWavesPerEU: 1
; AccumOffset: 4
; Occupancy: 8
; WaveLimiterHint : 0
; COMPUTE_PGM_RSRC2:SCRATCH_EN: 0
; COMPUTE_PGM_RSRC2:USER_SGPR: 6
; COMPUTE_PGM_RSRC2:TRAP_HANDLER: 0
; COMPUTE_PGM_RSRC2:TGID_X_EN: 1
; COMPUTE_PGM_RSRC2:TGID_Y_EN: 0
; COMPUTE_PGM_RSRC2:TGID_Z_EN: 0
; COMPUTE_PGM_RSRC2:TIDIG_COMP_CNT: 0
; COMPUTE_PGM_RSRC3_GFX90A:ACCUM_OFFSET: 0
; COMPUTE_PGM_RSRC3_GFX90A:TG_SPLIT: 0
	.section	.text._ZN7rocprim17ROCPRIM_400000_NS6detail17trampoline_kernelINS0_14default_configENS1_22reduce_config_selectorIiEEZNS1_11reduce_implILb1ES3_N6thrust23THRUST_200600_302600_NS11hip_rocprim35transform_pair_of_input_iterators_tIiPhSB_NS8_12not_equal_toIhEEEEPiiNS8_4plusIiEEEE10hipError_tPvRmT1_T2_T3_mT4_P12ihipStream_tbEUlT_E0_NS1_11comp_targetILNS1_3genE0ELNS1_11target_archE4294967295ELNS1_3gpuE0ELNS1_3repE0EEENS1_30default_config_static_selectorELNS0_4arch9wavefront6targetE1EEEvSL_,"axG",@progbits,_ZN7rocprim17ROCPRIM_400000_NS6detail17trampoline_kernelINS0_14default_configENS1_22reduce_config_selectorIiEEZNS1_11reduce_implILb1ES3_N6thrust23THRUST_200600_302600_NS11hip_rocprim35transform_pair_of_input_iterators_tIiPhSB_NS8_12not_equal_toIhEEEEPiiNS8_4plusIiEEEE10hipError_tPvRmT1_T2_T3_mT4_P12ihipStream_tbEUlT_E0_NS1_11comp_targetILNS1_3genE0ELNS1_11target_archE4294967295ELNS1_3gpuE0ELNS1_3repE0EEENS1_30default_config_static_selectorELNS0_4arch9wavefront6targetE1EEEvSL_,comdat
	.protected	_ZN7rocprim17ROCPRIM_400000_NS6detail17trampoline_kernelINS0_14default_configENS1_22reduce_config_selectorIiEEZNS1_11reduce_implILb1ES3_N6thrust23THRUST_200600_302600_NS11hip_rocprim35transform_pair_of_input_iterators_tIiPhSB_NS8_12not_equal_toIhEEEEPiiNS8_4plusIiEEEE10hipError_tPvRmT1_T2_T3_mT4_P12ihipStream_tbEUlT_E0_NS1_11comp_targetILNS1_3genE0ELNS1_11target_archE4294967295ELNS1_3gpuE0ELNS1_3repE0EEENS1_30default_config_static_selectorELNS0_4arch9wavefront6targetE1EEEvSL_ ; -- Begin function _ZN7rocprim17ROCPRIM_400000_NS6detail17trampoline_kernelINS0_14default_configENS1_22reduce_config_selectorIiEEZNS1_11reduce_implILb1ES3_N6thrust23THRUST_200600_302600_NS11hip_rocprim35transform_pair_of_input_iterators_tIiPhSB_NS8_12not_equal_toIhEEEEPiiNS8_4plusIiEEEE10hipError_tPvRmT1_T2_T3_mT4_P12ihipStream_tbEUlT_E0_NS1_11comp_targetILNS1_3genE0ELNS1_11target_archE4294967295ELNS1_3gpuE0ELNS1_3repE0EEENS1_30default_config_static_selectorELNS0_4arch9wavefront6targetE1EEEvSL_
	.globl	_ZN7rocprim17ROCPRIM_400000_NS6detail17trampoline_kernelINS0_14default_configENS1_22reduce_config_selectorIiEEZNS1_11reduce_implILb1ES3_N6thrust23THRUST_200600_302600_NS11hip_rocprim35transform_pair_of_input_iterators_tIiPhSB_NS8_12not_equal_toIhEEEEPiiNS8_4plusIiEEEE10hipError_tPvRmT1_T2_T3_mT4_P12ihipStream_tbEUlT_E0_NS1_11comp_targetILNS1_3genE0ELNS1_11target_archE4294967295ELNS1_3gpuE0ELNS1_3repE0EEENS1_30default_config_static_selectorELNS0_4arch9wavefront6targetE1EEEvSL_
	.p2align	8
	.type	_ZN7rocprim17ROCPRIM_400000_NS6detail17trampoline_kernelINS0_14default_configENS1_22reduce_config_selectorIiEEZNS1_11reduce_implILb1ES3_N6thrust23THRUST_200600_302600_NS11hip_rocprim35transform_pair_of_input_iterators_tIiPhSB_NS8_12not_equal_toIhEEEEPiiNS8_4plusIiEEEE10hipError_tPvRmT1_T2_T3_mT4_P12ihipStream_tbEUlT_E0_NS1_11comp_targetILNS1_3genE0ELNS1_11target_archE4294967295ELNS1_3gpuE0ELNS1_3repE0EEENS1_30default_config_static_selectorELNS0_4arch9wavefront6targetE1EEEvSL_,@function
_ZN7rocprim17ROCPRIM_400000_NS6detail17trampoline_kernelINS0_14default_configENS1_22reduce_config_selectorIiEEZNS1_11reduce_implILb1ES3_N6thrust23THRUST_200600_302600_NS11hip_rocprim35transform_pair_of_input_iterators_tIiPhSB_NS8_12not_equal_toIhEEEEPiiNS8_4plusIiEEEE10hipError_tPvRmT1_T2_T3_mT4_P12ihipStream_tbEUlT_E0_NS1_11comp_targetILNS1_3genE0ELNS1_11target_archE4294967295ELNS1_3gpuE0ELNS1_3repE0EEENS1_30default_config_static_selectorELNS0_4arch9wavefront6targetE1EEEvSL_: ; @_ZN7rocprim17ROCPRIM_400000_NS6detail17trampoline_kernelINS0_14default_configENS1_22reduce_config_selectorIiEEZNS1_11reduce_implILb1ES3_N6thrust23THRUST_200600_302600_NS11hip_rocprim35transform_pair_of_input_iterators_tIiPhSB_NS8_12not_equal_toIhEEEEPiiNS8_4plusIiEEEE10hipError_tPvRmT1_T2_T3_mT4_P12ihipStream_tbEUlT_E0_NS1_11comp_targetILNS1_3genE0ELNS1_11target_archE4294967295ELNS1_3gpuE0ELNS1_3repE0EEENS1_30default_config_static_selectorELNS0_4arch9wavefront6targetE1EEEvSL_
; %bb.0:
	.section	.rodata,"a",@progbits
	.p2align	6, 0x0
	.amdhsa_kernel _ZN7rocprim17ROCPRIM_400000_NS6detail17trampoline_kernelINS0_14default_configENS1_22reduce_config_selectorIiEEZNS1_11reduce_implILb1ES3_N6thrust23THRUST_200600_302600_NS11hip_rocprim35transform_pair_of_input_iterators_tIiPhSB_NS8_12not_equal_toIhEEEEPiiNS8_4plusIiEEEE10hipError_tPvRmT1_T2_T3_mT4_P12ihipStream_tbEUlT_E0_NS1_11comp_targetILNS1_3genE0ELNS1_11target_archE4294967295ELNS1_3gpuE0ELNS1_3repE0EEENS1_30default_config_static_selectorELNS0_4arch9wavefront6targetE1EEEvSL_
		.amdhsa_group_segment_fixed_size 0
		.amdhsa_private_segment_fixed_size 0
		.amdhsa_kernarg_size 72
		.amdhsa_user_sgpr_count 6
		.amdhsa_user_sgpr_private_segment_buffer 1
		.amdhsa_user_sgpr_dispatch_ptr 0
		.amdhsa_user_sgpr_queue_ptr 0
		.amdhsa_user_sgpr_kernarg_segment_ptr 1
		.amdhsa_user_sgpr_dispatch_id 0
		.amdhsa_user_sgpr_flat_scratch_init 0
		.amdhsa_user_sgpr_kernarg_preload_length 0
		.amdhsa_user_sgpr_kernarg_preload_offset 0
		.amdhsa_user_sgpr_private_segment_size 0
		.amdhsa_uses_dynamic_stack 0
		.amdhsa_system_sgpr_private_segment_wavefront_offset 0
		.amdhsa_system_sgpr_workgroup_id_x 1
		.amdhsa_system_sgpr_workgroup_id_y 0
		.amdhsa_system_sgpr_workgroup_id_z 0
		.amdhsa_system_sgpr_workgroup_info 0
		.amdhsa_system_vgpr_workitem_id 0
		.amdhsa_next_free_vgpr 1
		.amdhsa_next_free_sgpr 0
		.amdhsa_accum_offset 4
		.amdhsa_reserve_vcc 0
		.amdhsa_reserve_flat_scratch 0
		.amdhsa_float_round_mode_32 0
		.amdhsa_float_round_mode_16_64 0
		.amdhsa_float_denorm_mode_32 3
		.amdhsa_float_denorm_mode_16_64 3
		.amdhsa_dx10_clamp 1
		.amdhsa_ieee_mode 1
		.amdhsa_fp16_overflow 0
		.amdhsa_tg_split 0
		.amdhsa_exception_fp_ieee_invalid_op 0
		.amdhsa_exception_fp_denorm_src 0
		.amdhsa_exception_fp_ieee_div_zero 0
		.amdhsa_exception_fp_ieee_overflow 0
		.amdhsa_exception_fp_ieee_underflow 0
		.amdhsa_exception_fp_ieee_inexact 0
		.amdhsa_exception_int_div_zero 0
	.end_amdhsa_kernel
	.section	.text._ZN7rocprim17ROCPRIM_400000_NS6detail17trampoline_kernelINS0_14default_configENS1_22reduce_config_selectorIiEEZNS1_11reduce_implILb1ES3_N6thrust23THRUST_200600_302600_NS11hip_rocprim35transform_pair_of_input_iterators_tIiPhSB_NS8_12not_equal_toIhEEEEPiiNS8_4plusIiEEEE10hipError_tPvRmT1_T2_T3_mT4_P12ihipStream_tbEUlT_E0_NS1_11comp_targetILNS1_3genE0ELNS1_11target_archE4294967295ELNS1_3gpuE0ELNS1_3repE0EEENS1_30default_config_static_selectorELNS0_4arch9wavefront6targetE1EEEvSL_,"axG",@progbits,_ZN7rocprim17ROCPRIM_400000_NS6detail17trampoline_kernelINS0_14default_configENS1_22reduce_config_selectorIiEEZNS1_11reduce_implILb1ES3_N6thrust23THRUST_200600_302600_NS11hip_rocprim35transform_pair_of_input_iterators_tIiPhSB_NS8_12not_equal_toIhEEEEPiiNS8_4plusIiEEEE10hipError_tPvRmT1_T2_T3_mT4_P12ihipStream_tbEUlT_E0_NS1_11comp_targetILNS1_3genE0ELNS1_11target_archE4294967295ELNS1_3gpuE0ELNS1_3repE0EEENS1_30default_config_static_selectorELNS0_4arch9wavefront6targetE1EEEvSL_,comdat
.Lfunc_end336:
	.size	_ZN7rocprim17ROCPRIM_400000_NS6detail17trampoline_kernelINS0_14default_configENS1_22reduce_config_selectorIiEEZNS1_11reduce_implILb1ES3_N6thrust23THRUST_200600_302600_NS11hip_rocprim35transform_pair_of_input_iterators_tIiPhSB_NS8_12not_equal_toIhEEEEPiiNS8_4plusIiEEEE10hipError_tPvRmT1_T2_T3_mT4_P12ihipStream_tbEUlT_E0_NS1_11comp_targetILNS1_3genE0ELNS1_11target_archE4294967295ELNS1_3gpuE0ELNS1_3repE0EEENS1_30default_config_static_selectorELNS0_4arch9wavefront6targetE1EEEvSL_, .Lfunc_end336-_ZN7rocprim17ROCPRIM_400000_NS6detail17trampoline_kernelINS0_14default_configENS1_22reduce_config_selectorIiEEZNS1_11reduce_implILb1ES3_N6thrust23THRUST_200600_302600_NS11hip_rocprim35transform_pair_of_input_iterators_tIiPhSB_NS8_12not_equal_toIhEEEEPiiNS8_4plusIiEEEE10hipError_tPvRmT1_T2_T3_mT4_P12ihipStream_tbEUlT_E0_NS1_11comp_targetILNS1_3genE0ELNS1_11target_archE4294967295ELNS1_3gpuE0ELNS1_3repE0EEENS1_30default_config_static_selectorELNS0_4arch9wavefront6targetE1EEEvSL_
                                        ; -- End function
	.section	.AMDGPU.csdata,"",@progbits
; Kernel info:
; codeLenInByte = 0
; NumSgprs: 4
; NumVgprs: 0
; NumAgprs: 0
; TotalNumVgprs: 0
; ScratchSize: 0
; MemoryBound: 0
; FloatMode: 240
; IeeeMode: 1
; LDSByteSize: 0 bytes/workgroup (compile time only)
; SGPRBlocks: 0
; VGPRBlocks: 0
; NumSGPRsForWavesPerEU: 4
; NumVGPRsForWavesPerEU: 1
; AccumOffset: 4
; Occupancy: 8
; WaveLimiterHint : 0
; COMPUTE_PGM_RSRC2:SCRATCH_EN: 0
; COMPUTE_PGM_RSRC2:USER_SGPR: 6
; COMPUTE_PGM_RSRC2:TRAP_HANDLER: 0
; COMPUTE_PGM_RSRC2:TGID_X_EN: 1
; COMPUTE_PGM_RSRC2:TGID_Y_EN: 0
; COMPUTE_PGM_RSRC2:TGID_Z_EN: 0
; COMPUTE_PGM_RSRC2:TIDIG_COMP_CNT: 0
; COMPUTE_PGM_RSRC3_GFX90A:ACCUM_OFFSET: 0
; COMPUTE_PGM_RSRC3_GFX90A:TG_SPLIT: 0
	.section	.text._ZN7rocprim17ROCPRIM_400000_NS6detail17trampoline_kernelINS0_14default_configENS1_22reduce_config_selectorIiEEZNS1_11reduce_implILb1ES3_N6thrust23THRUST_200600_302600_NS11hip_rocprim35transform_pair_of_input_iterators_tIiPhSB_NS8_12not_equal_toIhEEEEPiiNS8_4plusIiEEEE10hipError_tPvRmT1_T2_T3_mT4_P12ihipStream_tbEUlT_E0_NS1_11comp_targetILNS1_3genE5ELNS1_11target_archE942ELNS1_3gpuE9ELNS1_3repE0EEENS1_30default_config_static_selectorELNS0_4arch9wavefront6targetE1EEEvSL_,"axG",@progbits,_ZN7rocprim17ROCPRIM_400000_NS6detail17trampoline_kernelINS0_14default_configENS1_22reduce_config_selectorIiEEZNS1_11reduce_implILb1ES3_N6thrust23THRUST_200600_302600_NS11hip_rocprim35transform_pair_of_input_iterators_tIiPhSB_NS8_12not_equal_toIhEEEEPiiNS8_4plusIiEEEE10hipError_tPvRmT1_T2_T3_mT4_P12ihipStream_tbEUlT_E0_NS1_11comp_targetILNS1_3genE5ELNS1_11target_archE942ELNS1_3gpuE9ELNS1_3repE0EEENS1_30default_config_static_selectorELNS0_4arch9wavefront6targetE1EEEvSL_,comdat
	.protected	_ZN7rocprim17ROCPRIM_400000_NS6detail17trampoline_kernelINS0_14default_configENS1_22reduce_config_selectorIiEEZNS1_11reduce_implILb1ES3_N6thrust23THRUST_200600_302600_NS11hip_rocprim35transform_pair_of_input_iterators_tIiPhSB_NS8_12not_equal_toIhEEEEPiiNS8_4plusIiEEEE10hipError_tPvRmT1_T2_T3_mT4_P12ihipStream_tbEUlT_E0_NS1_11comp_targetILNS1_3genE5ELNS1_11target_archE942ELNS1_3gpuE9ELNS1_3repE0EEENS1_30default_config_static_selectorELNS0_4arch9wavefront6targetE1EEEvSL_ ; -- Begin function _ZN7rocprim17ROCPRIM_400000_NS6detail17trampoline_kernelINS0_14default_configENS1_22reduce_config_selectorIiEEZNS1_11reduce_implILb1ES3_N6thrust23THRUST_200600_302600_NS11hip_rocprim35transform_pair_of_input_iterators_tIiPhSB_NS8_12not_equal_toIhEEEEPiiNS8_4plusIiEEEE10hipError_tPvRmT1_T2_T3_mT4_P12ihipStream_tbEUlT_E0_NS1_11comp_targetILNS1_3genE5ELNS1_11target_archE942ELNS1_3gpuE9ELNS1_3repE0EEENS1_30default_config_static_selectorELNS0_4arch9wavefront6targetE1EEEvSL_
	.globl	_ZN7rocprim17ROCPRIM_400000_NS6detail17trampoline_kernelINS0_14default_configENS1_22reduce_config_selectorIiEEZNS1_11reduce_implILb1ES3_N6thrust23THRUST_200600_302600_NS11hip_rocprim35transform_pair_of_input_iterators_tIiPhSB_NS8_12not_equal_toIhEEEEPiiNS8_4plusIiEEEE10hipError_tPvRmT1_T2_T3_mT4_P12ihipStream_tbEUlT_E0_NS1_11comp_targetILNS1_3genE5ELNS1_11target_archE942ELNS1_3gpuE9ELNS1_3repE0EEENS1_30default_config_static_selectorELNS0_4arch9wavefront6targetE1EEEvSL_
	.p2align	8
	.type	_ZN7rocprim17ROCPRIM_400000_NS6detail17trampoline_kernelINS0_14default_configENS1_22reduce_config_selectorIiEEZNS1_11reduce_implILb1ES3_N6thrust23THRUST_200600_302600_NS11hip_rocprim35transform_pair_of_input_iterators_tIiPhSB_NS8_12not_equal_toIhEEEEPiiNS8_4plusIiEEEE10hipError_tPvRmT1_T2_T3_mT4_P12ihipStream_tbEUlT_E0_NS1_11comp_targetILNS1_3genE5ELNS1_11target_archE942ELNS1_3gpuE9ELNS1_3repE0EEENS1_30default_config_static_selectorELNS0_4arch9wavefront6targetE1EEEvSL_,@function
_ZN7rocprim17ROCPRIM_400000_NS6detail17trampoline_kernelINS0_14default_configENS1_22reduce_config_selectorIiEEZNS1_11reduce_implILb1ES3_N6thrust23THRUST_200600_302600_NS11hip_rocprim35transform_pair_of_input_iterators_tIiPhSB_NS8_12not_equal_toIhEEEEPiiNS8_4plusIiEEEE10hipError_tPvRmT1_T2_T3_mT4_P12ihipStream_tbEUlT_E0_NS1_11comp_targetILNS1_3genE5ELNS1_11target_archE942ELNS1_3gpuE9ELNS1_3repE0EEENS1_30default_config_static_selectorELNS0_4arch9wavefront6targetE1EEEvSL_: ; @_ZN7rocprim17ROCPRIM_400000_NS6detail17trampoline_kernelINS0_14default_configENS1_22reduce_config_selectorIiEEZNS1_11reduce_implILb1ES3_N6thrust23THRUST_200600_302600_NS11hip_rocprim35transform_pair_of_input_iterators_tIiPhSB_NS8_12not_equal_toIhEEEEPiiNS8_4plusIiEEEE10hipError_tPvRmT1_T2_T3_mT4_P12ihipStream_tbEUlT_E0_NS1_11comp_targetILNS1_3genE5ELNS1_11target_archE942ELNS1_3gpuE9ELNS1_3repE0EEENS1_30default_config_static_selectorELNS0_4arch9wavefront6targetE1EEEvSL_
; %bb.0:
	.section	.rodata,"a",@progbits
	.p2align	6, 0x0
	.amdhsa_kernel _ZN7rocprim17ROCPRIM_400000_NS6detail17trampoline_kernelINS0_14default_configENS1_22reduce_config_selectorIiEEZNS1_11reduce_implILb1ES3_N6thrust23THRUST_200600_302600_NS11hip_rocprim35transform_pair_of_input_iterators_tIiPhSB_NS8_12not_equal_toIhEEEEPiiNS8_4plusIiEEEE10hipError_tPvRmT1_T2_T3_mT4_P12ihipStream_tbEUlT_E0_NS1_11comp_targetILNS1_3genE5ELNS1_11target_archE942ELNS1_3gpuE9ELNS1_3repE0EEENS1_30default_config_static_selectorELNS0_4arch9wavefront6targetE1EEEvSL_
		.amdhsa_group_segment_fixed_size 0
		.amdhsa_private_segment_fixed_size 0
		.amdhsa_kernarg_size 72
		.amdhsa_user_sgpr_count 6
		.amdhsa_user_sgpr_private_segment_buffer 1
		.amdhsa_user_sgpr_dispatch_ptr 0
		.amdhsa_user_sgpr_queue_ptr 0
		.amdhsa_user_sgpr_kernarg_segment_ptr 1
		.amdhsa_user_sgpr_dispatch_id 0
		.amdhsa_user_sgpr_flat_scratch_init 0
		.amdhsa_user_sgpr_kernarg_preload_length 0
		.amdhsa_user_sgpr_kernarg_preload_offset 0
		.amdhsa_user_sgpr_private_segment_size 0
		.amdhsa_uses_dynamic_stack 0
		.amdhsa_system_sgpr_private_segment_wavefront_offset 0
		.amdhsa_system_sgpr_workgroup_id_x 1
		.amdhsa_system_sgpr_workgroup_id_y 0
		.amdhsa_system_sgpr_workgroup_id_z 0
		.amdhsa_system_sgpr_workgroup_info 0
		.amdhsa_system_vgpr_workitem_id 0
		.amdhsa_next_free_vgpr 1
		.amdhsa_next_free_sgpr 0
		.amdhsa_accum_offset 4
		.amdhsa_reserve_vcc 0
		.amdhsa_reserve_flat_scratch 0
		.amdhsa_float_round_mode_32 0
		.amdhsa_float_round_mode_16_64 0
		.amdhsa_float_denorm_mode_32 3
		.amdhsa_float_denorm_mode_16_64 3
		.amdhsa_dx10_clamp 1
		.amdhsa_ieee_mode 1
		.amdhsa_fp16_overflow 0
		.amdhsa_tg_split 0
		.amdhsa_exception_fp_ieee_invalid_op 0
		.amdhsa_exception_fp_denorm_src 0
		.amdhsa_exception_fp_ieee_div_zero 0
		.amdhsa_exception_fp_ieee_overflow 0
		.amdhsa_exception_fp_ieee_underflow 0
		.amdhsa_exception_fp_ieee_inexact 0
		.amdhsa_exception_int_div_zero 0
	.end_amdhsa_kernel
	.section	.text._ZN7rocprim17ROCPRIM_400000_NS6detail17trampoline_kernelINS0_14default_configENS1_22reduce_config_selectorIiEEZNS1_11reduce_implILb1ES3_N6thrust23THRUST_200600_302600_NS11hip_rocprim35transform_pair_of_input_iterators_tIiPhSB_NS8_12not_equal_toIhEEEEPiiNS8_4plusIiEEEE10hipError_tPvRmT1_T2_T3_mT4_P12ihipStream_tbEUlT_E0_NS1_11comp_targetILNS1_3genE5ELNS1_11target_archE942ELNS1_3gpuE9ELNS1_3repE0EEENS1_30default_config_static_selectorELNS0_4arch9wavefront6targetE1EEEvSL_,"axG",@progbits,_ZN7rocprim17ROCPRIM_400000_NS6detail17trampoline_kernelINS0_14default_configENS1_22reduce_config_selectorIiEEZNS1_11reduce_implILb1ES3_N6thrust23THRUST_200600_302600_NS11hip_rocprim35transform_pair_of_input_iterators_tIiPhSB_NS8_12not_equal_toIhEEEEPiiNS8_4plusIiEEEE10hipError_tPvRmT1_T2_T3_mT4_P12ihipStream_tbEUlT_E0_NS1_11comp_targetILNS1_3genE5ELNS1_11target_archE942ELNS1_3gpuE9ELNS1_3repE0EEENS1_30default_config_static_selectorELNS0_4arch9wavefront6targetE1EEEvSL_,comdat
.Lfunc_end337:
	.size	_ZN7rocprim17ROCPRIM_400000_NS6detail17trampoline_kernelINS0_14default_configENS1_22reduce_config_selectorIiEEZNS1_11reduce_implILb1ES3_N6thrust23THRUST_200600_302600_NS11hip_rocprim35transform_pair_of_input_iterators_tIiPhSB_NS8_12not_equal_toIhEEEEPiiNS8_4plusIiEEEE10hipError_tPvRmT1_T2_T3_mT4_P12ihipStream_tbEUlT_E0_NS1_11comp_targetILNS1_3genE5ELNS1_11target_archE942ELNS1_3gpuE9ELNS1_3repE0EEENS1_30default_config_static_selectorELNS0_4arch9wavefront6targetE1EEEvSL_, .Lfunc_end337-_ZN7rocprim17ROCPRIM_400000_NS6detail17trampoline_kernelINS0_14default_configENS1_22reduce_config_selectorIiEEZNS1_11reduce_implILb1ES3_N6thrust23THRUST_200600_302600_NS11hip_rocprim35transform_pair_of_input_iterators_tIiPhSB_NS8_12not_equal_toIhEEEEPiiNS8_4plusIiEEEE10hipError_tPvRmT1_T2_T3_mT4_P12ihipStream_tbEUlT_E0_NS1_11comp_targetILNS1_3genE5ELNS1_11target_archE942ELNS1_3gpuE9ELNS1_3repE0EEENS1_30default_config_static_selectorELNS0_4arch9wavefront6targetE1EEEvSL_
                                        ; -- End function
	.section	.AMDGPU.csdata,"",@progbits
; Kernel info:
; codeLenInByte = 0
; NumSgprs: 4
; NumVgprs: 0
; NumAgprs: 0
; TotalNumVgprs: 0
; ScratchSize: 0
; MemoryBound: 0
; FloatMode: 240
; IeeeMode: 1
; LDSByteSize: 0 bytes/workgroup (compile time only)
; SGPRBlocks: 0
; VGPRBlocks: 0
; NumSGPRsForWavesPerEU: 4
; NumVGPRsForWavesPerEU: 1
; AccumOffset: 4
; Occupancy: 8
; WaveLimiterHint : 0
; COMPUTE_PGM_RSRC2:SCRATCH_EN: 0
; COMPUTE_PGM_RSRC2:USER_SGPR: 6
; COMPUTE_PGM_RSRC2:TRAP_HANDLER: 0
; COMPUTE_PGM_RSRC2:TGID_X_EN: 1
; COMPUTE_PGM_RSRC2:TGID_Y_EN: 0
; COMPUTE_PGM_RSRC2:TGID_Z_EN: 0
; COMPUTE_PGM_RSRC2:TIDIG_COMP_CNT: 0
; COMPUTE_PGM_RSRC3_GFX90A:ACCUM_OFFSET: 0
; COMPUTE_PGM_RSRC3_GFX90A:TG_SPLIT: 0
	.section	.text._ZN7rocprim17ROCPRIM_400000_NS6detail17trampoline_kernelINS0_14default_configENS1_22reduce_config_selectorIiEEZNS1_11reduce_implILb1ES3_N6thrust23THRUST_200600_302600_NS11hip_rocprim35transform_pair_of_input_iterators_tIiPhSB_NS8_12not_equal_toIhEEEEPiiNS8_4plusIiEEEE10hipError_tPvRmT1_T2_T3_mT4_P12ihipStream_tbEUlT_E0_NS1_11comp_targetILNS1_3genE4ELNS1_11target_archE910ELNS1_3gpuE8ELNS1_3repE0EEENS1_30default_config_static_selectorELNS0_4arch9wavefront6targetE1EEEvSL_,"axG",@progbits,_ZN7rocprim17ROCPRIM_400000_NS6detail17trampoline_kernelINS0_14default_configENS1_22reduce_config_selectorIiEEZNS1_11reduce_implILb1ES3_N6thrust23THRUST_200600_302600_NS11hip_rocprim35transform_pair_of_input_iterators_tIiPhSB_NS8_12not_equal_toIhEEEEPiiNS8_4plusIiEEEE10hipError_tPvRmT1_T2_T3_mT4_P12ihipStream_tbEUlT_E0_NS1_11comp_targetILNS1_3genE4ELNS1_11target_archE910ELNS1_3gpuE8ELNS1_3repE0EEENS1_30default_config_static_selectorELNS0_4arch9wavefront6targetE1EEEvSL_,comdat
	.protected	_ZN7rocprim17ROCPRIM_400000_NS6detail17trampoline_kernelINS0_14default_configENS1_22reduce_config_selectorIiEEZNS1_11reduce_implILb1ES3_N6thrust23THRUST_200600_302600_NS11hip_rocprim35transform_pair_of_input_iterators_tIiPhSB_NS8_12not_equal_toIhEEEEPiiNS8_4plusIiEEEE10hipError_tPvRmT1_T2_T3_mT4_P12ihipStream_tbEUlT_E0_NS1_11comp_targetILNS1_3genE4ELNS1_11target_archE910ELNS1_3gpuE8ELNS1_3repE0EEENS1_30default_config_static_selectorELNS0_4arch9wavefront6targetE1EEEvSL_ ; -- Begin function _ZN7rocprim17ROCPRIM_400000_NS6detail17trampoline_kernelINS0_14default_configENS1_22reduce_config_selectorIiEEZNS1_11reduce_implILb1ES3_N6thrust23THRUST_200600_302600_NS11hip_rocprim35transform_pair_of_input_iterators_tIiPhSB_NS8_12not_equal_toIhEEEEPiiNS8_4plusIiEEEE10hipError_tPvRmT1_T2_T3_mT4_P12ihipStream_tbEUlT_E0_NS1_11comp_targetILNS1_3genE4ELNS1_11target_archE910ELNS1_3gpuE8ELNS1_3repE0EEENS1_30default_config_static_selectorELNS0_4arch9wavefront6targetE1EEEvSL_
	.globl	_ZN7rocprim17ROCPRIM_400000_NS6detail17trampoline_kernelINS0_14default_configENS1_22reduce_config_selectorIiEEZNS1_11reduce_implILb1ES3_N6thrust23THRUST_200600_302600_NS11hip_rocprim35transform_pair_of_input_iterators_tIiPhSB_NS8_12not_equal_toIhEEEEPiiNS8_4plusIiEEEE10hipError_tPvRmT1_T2_T3_mT4_P12ihipStream_tbEUlT_E0_NS1_11comp_targetILNS1_3genE4ELNS1_11target_archE910ELNS1_3gpuE8ELNS1_3repE0EEENS1_30default_config_static_selectorELNS0_4arch9wavefront6targetE1EEEvSL_
	.p2align	8
	.type	_ZN7rocprim17ROCPRIM_400000_NS6detail17trampoline_kernelINS0_14default_configENS1_22reduce_config_selectorIiEEZNS1_11reduce_implILb1ES3_N6thrust23THRUST_200600_302600_NS11hip_rocprim35transform_pair_of_input_iterators_tIiPhSB_NS8_12not_equal_toIhEEEEPiiNS8_4plusIiEEEE10hipError_tPvRmT1_T2_T3_mT4_P12ihipStream_tbEUlT_E0_NS1_11comp_targetILNS1_3genE4ELNS1_11target_archE910ELNS1_3gpuE8ELNS1_3repE0EEENS1_30default_config_static_selectorELNS0_4arch9wavefront6targetE1EEEvSL_,@function
_ZN7rocprim17ROCPRIM_400000_NS6detail17trampoline_kernelINS0_14default_configENS1_22reduce_config_selectorIiEEZNS1_11reduce_implILb1ES3_N6thrust23THRUST_200600_302600_NS11hip_rocprim35transform_pair_of_input_iterators_tIiPhSB_NS8_12not_equal_toIhEEEEPiiNS8_4plusIiEEEE10hipError_tPvRmT1_T2_T3_mT4_P12ihipStream_tbEUlT_E0_NS1_11comp_targetILNS1_3genE4ELNS1_11target_archE910ELNS1_3gpuE8ELNS1_3repE0EEENS1_30default_config_static_selectorELNS0_4arch9wavefront6targetE1EEEvSL_: ; @_ZN7rocprim17ROCPRIM_400000_NS6detail17trampoline_kernelINS0_14default_configENS1_22reduce_config_selectorIiEEZNS1_11reduce_implILb1ES3_N6thrust23THRUST_200600_302600_NS11hip_rocprim35transform_pair_of_input_iterators_tIiPhSB_NS8_12not_equal_toIhEEEEPiiNS8_4plusIiEEEE10hipError_tPvRmT1_T2_T3_mT4_P12ihipStream_tbEUlT_E0_NS1_11comp_targetILNS1_3genE4ELNS1_11target_archE910ELNS1_3gpuE8ELNS1_3repE0EEENS1_30default_config_static_selectorELNS0_4arch9wavefront6targetE1EEEvSL_
; %bb.0:
	s_load_dwordx4 s[0:3], s[4:5], 0x0
	s_load_dwordx8 s[16:23], s[4:5], 0x18
	s_load_dwordx2 s[24:25], s[4:5], 0x38
	s_mov_b32 s7, 0
	v_mbcnt_lo_u32_b32 v1, -1, 0
	s_waitcnt lgkmcnt(0)
	s_add_u32 s8, s0, s16
	s_addc_u32 s9, s1, s17
	s_add_u32 s10, s2, s16
	s_addc_u32 s3, s3, s17
	s_lshl_b32 s2, s6, 10
	s_lshr_b64 s[0:1], s[18:19], 10
	s_add_u32 s14, s8, s2
	s_addc_u32 s15, s9, 0
	s_add_u32 s16, s10, s2
	s_addc_u32 s17, s3, 0
	s_cmp_lg_u64 s[0:1], s[6:7]
	s_cbranch_scc0 .LBB338_6
; %bb.1:
	global_load_ubyte v2, v0, s[14:15]
	global_load_ubyte v5, v0, s[16:17]
	global_load_ubyte v6, v0, s[14:15] offset:256
	global_load_ubyte v7, v0, s[16:17] offset:256
	;; [unrolled: 1-line block ×14, first 2 shown]
	v_mbcnt_hi_u32_b32 v3, -1, v1
	v_lshlrev_b32_e32 v4, 2, v3
	s_waitcnt vmcnt(14)
	v_cmp_ne_u16_e32 vcc, v2, v5
	v_cndmask_b32_e64 v2, 0, 1, vcc
	s_waitcnt vmcnt(12)
	v_cmp_ne_u16_e32 vcc, v6, v7
	v_cndmask_b32_e64 v5, 0, 1, vcc
	;; [unrolled: 3-line block ×4, first 2 shown]
	s_waitcnt vmcnt(6)
	v_cmp_ne_u16_e32 vcc, v12, v13
	v_addc_co_u32_e32 v2, vcc, 0, v2, vcc
	s_waitcnt vmcnt(4)
	v_cmp_ne_u16_e32 vcc, v14, v15
	v_addc_co_u32_e32 v2, vcc, v2, v5, vcc
	;; [unrolled: 3-line block ×4, first 2 shown]
	v_or_b32_e32 v5, 0xfc, v4
	s_nop 0
	v_add_u32_dpp v2, v2, v2 quad_perm:[1,0,3,2] row_mask:0xf bank_mask:0xf bound_ctrl:1
	v_cmp_eq_u32_e32 vcc, 0, v3
	s_nop 0
	v_add_u32_dpp v2, v2, v2 quad_perm:[2,3,0,1] row_mask:0xf bank_mask:0xf bound_ctrl:1
	s_nop 1
	v_add_u32_dpp v2, v2, v2 row_ror:4 row_mask:0xf bank_mask:0xf bound_ctrl:1
	s_nop 1
	v_add_u32_dpp v2, v2, v2 row_ror:8 row_mask:0xf bank_mask:0xf bound_ctrl:1
	s_nop 1
	v_add_u32_dpp v2, v2, v2 row_bcast:15 row_mask:0xf bank_mask:0xf bound_ctrl:1
	s_nop 1
	v_add_u32_dpp v2, v2, v2 row_bcast:31 row_mask:0xf bank_mask:0xf bound_ctrl:1
	ds_bpermute_b32 v2, v5, v2
	s_and_saveexec_b64 s[0:1], vcc
	s_cbranch_execz .LBB338_3
; %bb.2:
	v_lshrrev_b32_e32 v5, 4, v0
	v_and_b32_e32 v5, 4, v5
	s_waitcnt lgkmcnt(0)
	ds_write_b32 v5, v2
.LBB338_3:
	s_or_b64 exec, exec, s[0:1]
	v_cmp_gt_u32_e32 vcc, 64, v0
	s_waitcnt lgkmcnt(0)
	s_barrier
	s_and_saveexec_b64 s[0:1], vcc
	s_cbranch_execz .LBB338_5
; %bb.4:
	v_and_b32_e32 v2, 1, v3
	v_lshlrev_b32_e32 v2, 2, v2
	ds_read_b32 v2, v2
	v_or_b32_e32 v3, 4, v4
	s_waitcnt lgkmcnt(0)
	ds_bpermute_b32 v3, v3, v2
	s_waitcnt lgkmcnt(0)
	v_add_u32_e32 v2, v3, v2
.LBB338_5:
	s_or_b64 exec, exec, s[0:1]
	s_load_dword s28, s[4:5], 0x40
	s_branch .LBB338_28
.LBB338_6:
                                        ; implicit-def: $vgpr2
	s_load_dword s28, s[4:5], 0x40
	s_cbranch_execz .LBB338_28
; %bb.7:
	s_sub_i32 s29, s18, s2
	v_cmp_gt_u32_e32 vcc, s29, v0
                                        ; implicit-def: $vgpr2_vgpr3_vgpr4_vgpr5_vgpr6_vgpr7_vgpr8_vgpr9
	s_and_saveexec_b64 s[0:1], vcc
	s_cbranch_execz .LBB338_9
; %bb.8:
	global_load_ubyte v2, v0, s[14:15]
	global_load_ubyte v3, v0, s[16:17]
	s_waitcnt vmcnt(0)
	v_cmp_ne_u16_e32 vcc, v2, v3
	v_cndmask_b32_e64 v2, 0, 1, vcc
.LBB338_9:
	s_or_b64 exec, exec, s[0:1]
	v_or_b32_e32 v10, 0x80, v0
	v_cmp_gt_u32_e32 vcc, s29, v10
	s_and_saveexec_b64 s[2:3], vcc
	s_cbranch_execz .LBB338_11
; %bb.10:
	global_load_ubyte v3, v0, s[14:15] offset:128
	global_load_ubyte v10, v0, s[16:17] offset:128
	s_waitcnt vmcnt(0)
	v_cmp_ne_u16_e64 s[0:1], v3, v10
	v_cndmask_b32_e64 v3, 0, 1, s[0:1]
.LBB338_11:
	s_or_b64 exec, exec, s[2:3]
	v_or_b32_e32 v10, 0x100, v0
	v_cmp_gt_u32_e64 s[0:1], s29, v10
	s_and_saveexec_b64 s[4:5], s[0:1]
	s_cbranch_execz .LBB338_13
; %bb.12:
	global_load_ubyte v4, v0, s[14:15] offset:256
	global_load_ubyte v10, v0, s[16:17] offset:256
	s_waitcnt vmcnt(0)
	v_cmp_ne_u16_e64 s[2:3], v4, v10
	v_cndmask_b32_e64 v4, 0, 1, s[2:3]
.LBB338_13:
	s_or_b64 exec, exec, s[4:5]
	v_or_b32_e32 v10, 0x180, v0
	v_cmp_gt_u32_e64 s[2:3], s29, v10
	s_and_saveexec_b64 s[8:9], s[2:3]
	;; [unrolled: 12-line block ×6, first 2 shown]
	s_cbranch_execz .LBB338_23
; %bb.22:
	global_load_ubyte v9, v0, s[14:15] offset:896
	global_load_ubyte v10, v0, s[16:17] offset:896
	s_waitcnt vmcnt(0)
	v_cmp_ne_u16_e64 s[14:15], v9, v10
	v_cndmask_b32_e64 v9, 0, 1, s[14:15]
.LBB338_23:
	s_or_b64 exec, exec, s[26:27]
	v_cndmask_b32_e32 v3, 0, v3, vcc
	v_add_u32_e32 v2, v3, v2
	v_cndmask_b32_e64 v3, 0, v4, s[0:1]
	v_cndmask_b32_e64 v4, 0, v5, s[2:3]
	v_add3_u32 v2, v2, v3, v4
	v_cndmask_b32_e64 v3, 0, v6, s[4:5]
	v_cndmask_b32_e64 v4, 0, v7, s[8:9]
	v_add3_u32 v2, v2, v3, v4
	v_cndmask_b32_e64 v3, 0, v8, s[10:11]
	v_cndmask_b32_e64 v4, 0, v9, s[12:13]
	v_mbcnt_hi_u32_b32 v1, -1, v1
	v_add3_u32 v2, v2, v3, v4
	v_and_b32_e32 v3, 63, v1
	v_cmp_ne_u32_e32 vcc, 63, v3
	v_addc_co_u32_e32 v4, vcc, 0, v1, vcc
	v_lshlrev_b32_e32 v4, 2, v4
	ds_bpermute_b32 v4, v4, v2
	s_min_u32 s2, s29, 0x80
	v_and_b32_e32 v5, 64, v0
	v_sub_u32_e64 v5, s2, v5 clamp
	v_add_u32_e32 v6, 1, v3
	v_cmp_lt_u32_e32 vcc, v6, v5
	s_waitcnt lgkmcnt(0)
	v_cndmask_b32_e32 v4, 0, v4, vcc
	v_cmp_gt_u32_e32 vcc, 62, v3
	v_add_u32_e32 v2, v2, v4
	v_cndmask_b32_e64 v4, 0, 1, vcc
	v_lshlrev_b32_e32 v4, 1, v4
	v_add_lshl_u32 v4, v4, v1, 2
	ds_bpermute_b32 v4, v4, v2
	v_add_u32_e32 v6, 2, v3
	v_cmp_lt_u32_e32 vcc, v6, v5
	v_add_u32_e32 v6, 4, v3
	s_waitcnt lgkmcnt(0)
	v_cndmask_b32_e32 v4, 0, v4, vcc
	v_cmp_gt_u32_e32 vcc, 60, v3
	v_add_u32_e32 v2, v2, v4
	v_cndmask_b32_e64 v4, 0, 1, vcc
	v_lshlrev_b32_e32 v4, 2, v4
	v_add_lshl_u32 v4, v4, v1, 2
	ds_bpermute_b32 v4, v4, v2
	v_cmp_lt_u32_e32 vcc, v6, v5
	v_add_u32_e32 v6, 8, v3
	s_waitcnt lgkmcnt(0)
	v_cndmask_b32_e32 v4, 0, v4, vcc
	v_cmp_gt_u32_e32 vcc, 56, v3
	v_add_u32_e32 v2, v2, v4
	v_cndmask_b32_e64 v4, 0, 1, vcc
	v_lshlrev_b32_e32 v4, 3, v4
	v_add_lshl_u32 v4, v4, v1, 2
	ds_bpermute_b32 v4, v4, v2
	;; [unrolled: 10-line block ×3, first 2 shown]
	v_cmp_lt_u32_e32 vcc, v6, v5
	s_waitcnt lgkmcnt(0)
	v_cndmask_b32_e32 v4, 0, v4, vcc
	v_cmp_gt_u32_e32 vcc, 32, v3
	v_add_u32_e32 v2, v2, v4
	v_cndmask_b32_e64 v4, 0, 1, vcc
	v_lshlrev_b32_e32 v4, 5, v4
	v_add_lshl_u32 v4, v4, v1, 2
	ds_bpermute_b32 v4, v4, v2
	v_add_u32_e32 v3, 32, v3
	v_cmp_lt_u32_e32 vcc, v3, v5
	s_waitcnt lgkmcnt(0)
	v_cndmask_b32_e32 v3, 0, v4, vcc
	v_add_u32_e32 v2, v2, v3
	v_cmp_eq_u32_e32 vcc, 0, v1
	s_and_saveexec_b64 s[0:1], vcc
	s_cbranch_execz .LBB338_25
; %bb.24:
	v_lshrrev_b32_e32 v3, 4, v0
	v_and_b32_e32 v3, 4, v3
	ds_write_b32 v3, v2 offset:8
.LBB338_25:
	s_or_b64 exec, exec, s[0:1]
	v_cmp_gt_u32_e32 vcc, 2, v0
	s_waitcnt lgkmcnt(0)
	s_barrier
	s_and_saveexec_b64 s[0:1], vcc
	s_cbranch_execz .LBB338_27
; %bb.26:
	v_lshlrev_b32_e32 v2, 2, v1
	ds_read_b32 v3, v2 offset:8
	v_or_b32_e32 v2, 4, v2
	s_add_i32 s2, s2, 63
	v_and_b32_e32 v1, 1, v1
	s_lshr_b32 s2, s2, 6
	s_waitcnt lgkmcnt(0)
	ds_bpermute_b32 v2, v2, v3
	v_add_u32_e32 v1, 1, v1
	v_cmp_gt_u32_e32 vcc, s2, v1
	s_waitcnt lgkmcnt(0)
	v_cndmask_b32_e32 v1, 0, v2, vcc
	v_add_u32_e32 v2, v1, v3
.LBB338_27:
	s_or_b64 exec, exec, s[0:1]
.LBB338_28:
	v_cmp_eq_u32_e32 vcc, 0, v0
	s_and_saveexec_b64 s[0:1], vcc
	s_cbranch_execnz .LBB338_30
; %bb.29:
	s_endpgm
.LBB338_30:
	s_mul_i32 s0, s24, s23
	s_mul_hi_u32 s1, s24, s22
	s_add_i32 s0, s1, s0
	s_mul_i32 s1, s25, s22
	s_add_i32 s1, s0, s1
	s_mul_i32 s0, s24, s22
	s_lshl_b64 s[0:1], s[0:1], 2
	s_add_u32 s2, s20, s0
	s_addc_u32 s3, s21, s1
	s_cmp_eq_u64 s[18:19], 0
	s_cselect_b64 vcc, -1, 0
	s_lshl_b64 s[0:1], s[6:7], 2
	s_waitcnt lgkmcnt(0)
	v_mov_b32_e32 v0, s28
	s_add_u32 s0, s2, s0
	v_cndmask_b32_e32 v0, v2, v0, vcc
	s_addc_u32 s1, s3, s1
	v_mov_b32_e32 v1, 0
	global_store_dword v1, v0, s[0:1]
	s_endpgm
	.section	.rodata,"a",@progbits
	.p2align	6, 0x0
	.amdhsa_kernel _ZN7rocprim17ROCPRIM_400000_NS6detail17trampoline_kernelINS0_14default_configENS1_22reduce_config_selectorIiEEZNS1_11reduce_implILb1ES3_N6thrust23THRUST_200600_302600_NS11hip_rocprim35transform_pair_of_input_iterators_tIiPhSB_NS8_12not_equal_toIhEEEEPiiNS8_4plusIiEEEE10hipError_tPvRmT1_T2_T3_mT4_P12ihipStream_tbEUlT_E0_NS1_11comp_targetILNS1_3genE4ELNS1_11target_archE910ELNS1_3gpuE8ELNS1_3repE0EEENS1_30default_config_static_selectorELNS0_4arch9wavefront6targetE1EEEvSL_
		.amdhsa_group_segment_fixed_size 16
		.amdhsa_private_segment_fixed_size 0
		.amdhsa_kernarg_size 72
		.amdhsa_user_sgpr_count 6
		.amdhsa_user_sgpr_private_segment_buffer 1
		.amdhsa_user_sgpr_dispatch_ptr 0
		.amdhsa_user_sgpr_queue_ptr 0
		.amdhsa_user_sgpr_kernarg_segment_ptr 1
		.amdhsa_user_sgpr_dispatch_id 0
		.amdhsa_user_sgpr_flat_scratch_init 0
		.amdhsa_user_sgpr_kernarg_preload_length 0
		.amdhsa_user_sgpr_kernarg_preload_offset 0
		.amdhsa_user_sgpr_private_segment_size 0
		.amdhsa_uses_dynamic_stack 0
		.amdhsa_system_sgpr_private_segment_wavefront_offset 0
		.amdhsa_system_sgpr_workgroup_id_x 1
		.amdhsa_system_sgpr_workgroup_id_y 0
		.amdhsa_system_sgpr_workgroup_id_z 0
		.amdhsa_system_sgpr_workgroup_info 0
		.amdhsa_system_vgpr_workitem_id 0
		.amdhsa_next_free_vgpr 20
		.amdhsa_next_free_sgpr 30
		.amdhsa_accum_offset 20
		.amdhsa_reserve_vcc 1
		.amdhsa_reserve_flat_scratch 0
		.amdhsa_float_round_mode_32 0
		.amdhsa_float_round_mode_16_64 0
		.amdhsa_float_denorm_mode_32 3
		.amdhsa_float_denorm_mode_16_64 3
		.amdhsa_dx10_clamp 1
		.amdhsa_ieee_mode 1
		.amdhsa_fp16_overflow 0
		.amdhsa_tg_split 0
		.amdhsa_exception_fp_ieee_invalid_op 0
		.amdhsa_exception_fp_denorm_src 0
		.amdhsa_exception_fp_ieee_div_zero 0
		.amdhsa_exception_fp_ieee_overflow 0
		.amdhsa_exception_fp_ieee_underflow 0
		.amdhsa_exception_fp_ieee_inexact 0
		.amdhsa_exception_int_div_zero 0
	.end_amdhsa_kernel
	.section	.text._ZN7rocprim17ROCPRIM_400000_NS6detail17trampoline_kernelINS0_14default_configENS1_22reduce_config_selectorIiEEZNS1_11reduce_implILb1ES3_N6thrust23THRUST_200600_302600_NS11hip_rocprim35transform_pair_of_input_iterators_tIiPhSB_NS8_12not_equal_toIhEEEEPiiNS8_4plusIiEEEE10hipError_tPvRmT1_T2_T3_mT4_P12ihipStream_tbEUlT_E0_NS1_11comp_targetILNS1_3genE4ELNS1_11target_archE910ELNS1_3gpuE8ELNS1_3repE0EEENS1_30default_config_static_selectorELNS0_4arch9wavefront6targetE1EEEvSL_,"axG",@progbits,_ZN7rocprim17ROCPRIM_400000_NS6detail17trampoline_kernelINS0_14default_configENS1_22reduce_config_selectorIiEEZNS1_11reduce_implILb1ES3_N6thrust23THRUST_200600_302600_NS11hip_rocprim35transform_pair_of_input_iterators_tIiPhSB_NS8_12not_equal_toIhEEEEPiiNS8_4plusIiEEEE10hipError_tPvRmT1_T2_T3_mT4_P12ihipStream_tbEUlT_E0_NS1_11comp_targetILNS1_3genE4ELNS1_11target_archE910ELNS1_3gpuE8ELNS1_3repE0EEENS1_30default_config_static_selectorELNS0_4arch9wavefront6targetE1EEEvSL_,comdat
.Lfunc_end338:
	.size	_ZN7rocprim17ROCPRIM_400000_NS6detail17trampoline_kernelINS0_14default_configENS1_22reduce_config_selectorIiEEZNS1_11reduce_implILb1ES3_N6thrust23THRUST_200600_302600_NS11hip_rocprim35transform_pair_of_input_iterators_tIiPhSB_NS8_12not_equal_toIhEEEEPiiNS8_4plusIiEEEE10hipError_tPvRmT1_T2_T3_mT4_P12ihipStream_tbEUlT_E0_NS1_11comp_targetILNS1_3genE4ELNS1_11target_archE910ELNS1_3gpuE8ELNS1_3repE0EEENS1_30default_config_static_selectorELNS0_4arch9wavefront6targetE1EEEvSL_, .Lfunc_end338-_ZN7rocprim17ROCPRIM_400000_NS6detail17trampoline_kernelINS0_14default_configENS1_22reduce_config_selectorIiEEZNS1_11reduce_implILb1ES3_N6thrust23THRUST_200600_302600_NS11hip_rocprim35transform_pair_of_input_iterators_tIiPhSB_NS8_12not_equal_toIhEEEEPiiNS8_4plusIiEEEE10hipError_tPvRmT1_T2_T3_mT4_P12ihipStream_tbEUlT_E0_NS1_11comp_targetILNS1_3genE4ELNS1_11target_archE910ELNS1_3gpuE8ELNS1_3repE0EEENS1_30default_config_static_selectorELNS0_4arch9wavefront6targetE1EEEvSL_
                                        ; -- End function
	.section	.AMDGPU.csdata,"",@progbits
; Kernel info:
; codeLenInByte = 1676
; NumSgprs: 34
; NumVgprs: 20
; NumAgprs: 0
; TotalNumVgprs: 20
; ScratchSize: 0
; MemoryBound: 0
; FloatMode: 240
; IeeeMode: 1
; LDSByteSize: 16 bytes/workgroup (compile time only)
; SGPRBlocks: 4
; VGPRBlocks: 2
; NumSGPRsForWavesPerEU: 34
; NumVGPRsForWavesPerEU: 20
; AccumOffset: 20
; Occupancy: 8
; WaveLimiterHint : 0
; COMPUTE_PGM_RSRC2:SCRATCH_EN: 0
; COMPUTE_PGM_RSRC2:USER_SGPR: 6
; COMPUTE_PGM_RSRC2:TRAP_HANDLER: 0
; COMPUTE_PGM_RSRC2:TGID_X_EN: 1
; COMPUTE_PGM_RSRC2:TGID_Y_EN: 0
; COMPUTE_PGM_RSRC2:TGID_Z_EN: 0
; COMPUTE_PGM_RSRC2:TIDIG_COMP_CNT: 0
; COMPUTE_PGM_RSRC3_GFX90A:ACCUM_OFFSET: 4
; COMPUTE_PGM_RSRC3_GFX90A:TG_SPLIT: 0
	.section	.text._ZN7rocprim17ROCPRIM_400000_NS6detail17trampoline_kernelINS0_14default_configENS1_22reduce_config_selectorIiEEZNS1_11reduce_implILb1ES3_N6thrust23THRUST_200600_302600_NS11hip_rocprim35transform_pair_of_input_iterators_tIiPhSB_NS8_12not_equal_toIhEEEEPiiNS8_4plusIiEEEE10hipError_tPvRmT1_T2_T3_mT4_P12ihipStream_tbEUlT_E0_NS1_11comp_targetILNS1_3genE3ELNS1_11target_archE908ELNS1_3gpuE7ELNS1_3repE0EEENS1_30default_config_static_selectorELNS0_4arch9wavefront6targetE1EEEvSL_,"axG",@progbits,_ZN7rocprim17ROCPRIM_400000_NS6detail17trampoline_kernelINS0_14default_configENS1_22reduce_config_selectorIiEEZNS1_11reduce_implILb1ES3_N6thrust23THRUST_200600_302600_NS11hip_rocprim35transform_pair_of_input_iterators_tIiPhSB_NS8_12not_equal_toIhEEEEPiiNS8_4plusIiEEEE10hipError_tPvRmT1_T2_T3_mT4_P12ihipStream_tbEUlT_E0_NS1_11comp_targetILNS1_3genE3ELNS1_11target_archE908ELNS1_3gpuE7ELNS1_3repE0EEENS1_30default_config_static_selectorELNS0_4arch9wavefront6targetE1EEEvSL_,comdat
	.protected	_ZN7rocprim17ROCPRIM_400000_NS6detail17trampoline_kernelINS0_14default_configENS1_22reduce_config_selectorIiEEZNS1_11reduce_implILb1ES3_N6thrust23THRUST_200600_302600_NS11hip_rocprim35transform_pair_of_input_iterators_tIiPhSB_NS8_12not_equal_toIhEEEEPiiNS8_4plusIiEEEE10hipError_tPvRmT1_T2_T3_mT4_P12ihipStream_tbEUlT_E0_NS1_11comp_targetILNS1_3genE3ELNS1_11target_archE908ELNS1_3gpuE7ELNS1_3repE0EEENS1_30default_config_static_selectorELNS0_4arch9wavefront6targetE1EEEvSL_ ; -- Begin function _ZN7rocprim17ROCPRIM_400000_NS6detail17trampoline_kernelINS0_14default_configENS1_22reduce_config_selectorIiEEZNS1_11reduce_implILb1ES3_N6thrust23THRUST_200600_302600_NS11hip_rocprim35transform_pair_of_input_iterators_tIiPhSB_NS8_12not_equal_toIhEEEEPiiNS8_4plusIiEEEE10hipError_tPvRmT1_T2_T3_mT4_P12ihipStream_tbEUlT_E0_NS1_11comp_targetILNS1_3genE3ELNS1_11target_archE908ELNS1_3gpuE7ELNS1_3repE0EEENS1_30default_config_static_selectorELNS0_4arch9wavefront6targetE1EEEvSL_
	.globl	_ZN7rocprim17ROCPRIM_400000_NS6detail17trampoline_kernelINS0_14default_configENS1_22reduce_config_selectorIiEEZNS1_11reduce_implILb1ES3_N6thrust23THRUST_200600_302600_NS11hip_rocprim35transform_pair_of_input_iterators_tIiPhSB_NS8_12not_equal_toIhEEEEPiiNS8_4plusIiEEEE10hipError_tPvRmT1_T2_T3_mT4_P12ihipStream_tbEUlT_E0_NS1_11comp_targetILNS1_3genE3ELNS1_11target_archE908ELNS1_3gpuE7ELNS1_3repE0EEENS1_30default_config_static_selectorELNS0_4arch9wavefront6targetE1EEEvSL_
	.p2align	8
	.type	_ZN7rocprim17ROCPRIM_400000_NS6detail17trampoline_kernelINS0_14default_configENS1_22reduce_config_selectorIiEEZNS1_11reduce_implILb1ES3_N6thrust23THRUST_200600_302600_NS11hip_rocprim35transform_pair_of_input_iterators_tIiPhSB_NS8_12not_equal_toIhEEEEPiiNS8_4plusIiEEEE10hipError_tPvRmT1_T2_T3_mT4_P12ihipStream_tbEUlT_E0_NS1_11comp_targetILNS1_3genE3ELNS1_11target_archE908ELNS1_3gpuE7ELNS1_3repE0EEENS1_30default_config_static_selectorELNS0_4arch9wavefront6targetE1EEEvSL_,@function
_ZN7rocprim17ROCPRIM_400000_NS6detail17trampoline_kernelINS0_14default_configENS1_22reduce_config_selectorIiEEZNS1_11reduce_implILb1ES3_N6thrust23THRUST_200600_302600_NS11hip_rocprim35transform_pair_of_input_iterators_tIiPhSB_NS8_12not_equal_toIhEEEEPiiNS8_4plusIiEEEE10hipError_tPvRmT1_T2_T3_mT4_P12ihipStream_tbEUlT_E0_NS1_11comp_targetILNS1_3genE3ELNS1_11target_archE908ELNS1_3gpuE7ELNS1_3repE0EEENS1_30default_config_static_selectorELNS0_4arch9wavefront6targetE1EEEvSL_: ; @_ZN7rocprim17ROCPRIM_400000_NS6detail17trampoline_kernelINS0_14default_configENS1_22reduce_config_selectorIiEEZNS1_11reduce_implILb1ES3_N6thrust23THRUST_200600_302600_NS11hip_rocprim35transform_pair_of_input_iterators_tIiPhSB_NS8_12not_equal_toIhEEEEPiiNS8_4plusIiEEEE10hipError_tPvRmT1_T2_T3_mT4_P12ihipStream_tbEUlT_E0_NS1_11comp_targetILNS1_3genE3ELNS1_11target_archE908ELNS1_3gpuE7ELNS1_3repE0EEENS1_30default_config_static_selectorELNS0_4arch9wavefront6targetE1EEEvSL_
; %bb.0:
	.section	.rodata,"a",@progbits
	.p2align	6, 0x0
	.amdhsa_kernel _ZN7rocprim17ROCPRIM_400000_NS6detail17trampoline_kernelINS0_14default_configENS1_22reduce_config_selectorIiEEZNS1_11reduce_implILb1ES3_N6thrust23THRUST_200600_302600_NS11hip_rocprim35transform_pair_of_input_iterators_tIiPhSB_NS8_12not_equal_toIhEEEEPiiNS8_4plusIiEEEE10hipError_tPvRmT1_T2_T3_mT4_P12ihipStream_tbEUlT_E0_NS1_11comp_targetILNS1_3genE3ELNS1_11target_archE908ELNS1_3gpuE7ELNS1_3repE0EEENS1_30default_config_static_selectorELNS0_4arch9wavefront6targetE1EEEvSL_
		.amdhsa_group_segment_fixed_size 0
		.amdhsa_private_segment_fixed_size 0
		.amdhsa_kernarg_size 72
		.amdhsa_user_sgpr_count 6
		.amdhsa_user_sgpr_private_segment_buffer 1
		.amdhsa_user_sgpr_dispatch_ptr 0
		.amdhsa_user_sgpr_queue_ptr 0
		.amdhsa_user_sgpr_kernarg_segment_ptr 1
		.amdhsa_user_sgpr_dispatch_id 0
		.amdhsa_user_sgpr_flat_scratch_init 0
		.amdhsa_user_sgpr_kernarg_preload_length 0
		.amdhsa_user_sgpr_kernarg_preload_offset 0
		.amdhsa_user_sgpr_private_segment_size 0
		.amdhsa_uses_dynamic_stack 0
		.amdhsa_system_sgpr_private_segment_wavefront_offset 0
		.amdhsa_system_sgpr_workgroup_id_x 1
		.amdhsa_system_sgpr_workgroup_id_y 0
		.amdhsa_system_sgpr_workgroup_id_z 0
		.amdhsa_system_sgpr_workgroup_info 0
		.amdhsa_system_vgpr_workitem_id 0
		.amdhsa_next_free_vgpr 1
		.amdhsa_next_free_sgpr 0
		.amdhsa_accum_offset 4
		.amdhsa_reserve_vcc 0
		.amdhsa_reserve_flat_scratch 0
		.amdhsa_float_round_mode_32 0
		.amdhsa_float_round_mode_16_64 0
		.amdhsa_float_denorm_mode_32 3
		.amdhsa_float_denorm_mode_16_64 3
		.amdhsa_dx10_clamp 1
		.amdhsa_ieee_mode 1
		.amdhsa_fp16_overflow 0
		.amdhsa_tg_split 0
		.amdhsa_exception_fp_ieee_invalid_op 0
		.amdhsa_exception_fp_denorm_src 0
		.amdhsa_exception_fp_ieee_div_zero 0
		.amdhsa_exception_fp_ieee_overflow 0
		.amdhsa_exception_fp_ieee_underflow 0
		.amdhsa_exception_fp_ieee_inexact 0
		.amdhsa_exception_int_div_zero 0
	.end_amdhsa_kernel
	.section	.text._ZN7rocprim17ROCPRIM_400000_NS6detail17trampoline_kernelINS0_14default_configENS1_22reduce_config_selectorIiEEZNS1_11reduce_implILb1ES3_N6thrust23THRUST_200600_302600_NS11hip_rocprim35transform_pair_of_input_iterators_tIiPhSB_NS8_12not_equal_toIhEEEEPiiNS8_4plusIiEEEE10hipError_tPvRmT1_T2_T3_mT4_P12ihipStream_tbEUlT_E0_NS1_11comp_targetILNS1_3genE3ELNS1_11target_archE908ELNS1_3gpuE7ELNS1_3repE0EEENS1_30default_config_static_selectorELNS0_4arch9wavefront6targetE1EEEvSL_,"axG",@progbits,_ZN7rocprim17ROCPRIM_400000_NS6detail17trampoline_kernelINS0_14default_configENS1_22reduce_config_selectorIiEEZNS1_11reduce_implILb1ES3_N6thrust23THRUST_200600_302600_NS11hip_rocprim35transform_pair_of_input_iterators_tIiPhSB_NS8_12not_equal_toIhEEEEPiiNS8_4plusIiEEEE10hipError_tPvRmT1_T2_T3_mT4_P12ihipStream_tbEUlT_E0_NS1_11comp_targetILNS1_3genE3ELNS1_11target_archE908ELNS1_3gpuE7ELNS1_3repE0EEENS1_30default_config_static_selectorELNS0_4arch9wavefront6targetE1EEEvSL_,comdat
.Lfunc_end339:
	.size	_ZN7rocprim17ROCPRIM_400000_NS6detail17trampoline_kernelINS0_14default_configENS1_22reduce_config_selectorIiEEZNS1_11reduce_implILb1ES3_N6thrust23THRUST_200600_302600_NS11hip_rocprim35transform_pair_of_input_iterators_tIiPhSB_NS8_12not_equal_toIhEEEEPiiNS8_4plusIiEEEE10hipError_tPvRmT1_T2_T3_mT4_P12ihipStream_tbEUlT_E0_NS1_11comp_targetILNS1_3genE3ELNS1_11target_archE908ELNS1_3gpuE7ELNS1_3repE0EEENS1_30default_config_static_selectorELNS0_4arch9wavefront6targetE1EEEvSL_, .Lfunc_end339-_ZN7rocprim17ROCPRIM_400000_NS6detail17trampoline_kernelINS0_14default_configENS1_22reduce_config_selectorIiEEZNS1_11reduce_implILb1ES3_N6thrust23THRUST_200600_302600_NS11hip_rocprim35transform_pair_of_input_iterators_tIiPhSB_NS8_12not_equal_toIhEEEEPiiNS8_4plusIiEEEE10hipError_tPvRmT1_T2_T3_mT4_P12ihipStream_tbEUlT_E0_NS1_11comp_targetILNS1_3genE3ELNS1_11target_archE908ELNS1_3gpuE7ELNS1_3repE0EEENS1_30default_config_static_selectorELNS0_4arch9wavefront6targetE1EEEvSL_
                                        ; -- End function
	.section	.AMDGPU.csdata,"",@progbits
; Kernel info:
; codeLenInByte = 0
; NumSgprs: 4
; NumVgprs: 0
; NumAgprs: 0
; TotalNumVgprs: 0
; ScratchSize: 0
; MemoryBound: 0
; FloatMode: 240
; IeeeMode: 1
; LDSByteSize: 0 bytes/workgroup (compile time only)
; SGPRBlocks: 0
; VGPRBlocks: 0
; NumSGPRsForWavesPerEU: 4
; NumVGPRsForWavesPerEU: 1
; AccumOffset: 4
; Occupancy: 8
; WaveLimiterHint : 0
; COMPUTE_PGM_RSRC2:SCRATCH_EN: 0
; COMPUTE_PGM_RSRC2:USER_SGPR: 6
; COMPUTE_PGM_RSRC2:TRAP_HANDLER: 0
; COMPUTE_PGM_RSRC2:TGID_X_EN: 1
; COMPUTE_PGM_RSRC2:TGID_Y_EN: 0
; COMPUTE_PGM_RSRC2:TGID_Z_EN: 0
; COMPUTE_PGM_RSRC2:TIDIG_COMP_CNT: 0
; COMPUTE_PGM_RSRC3_GFX90A:ACCUM_OFFSET: 0
; COMPUTE_PGM_RSRC3_GFX90A:TG_SPLIT: 0
	.section	.text._ZN7rocprim17ROCPRIM_400000_NS6detail17trampoline_kernelINS0_14default_configENS1_22reduce_config_selectorIiEEZNS1_11reduce_implILb1ES3_N6thrust23THRUST_200600_302600_NS11hip_rocprim35transform_pair_of_input_iterators_tIiPhSB_NS8_12not_equal_toIhEEEEPiiNS8_4plusIiEEEE10hipError_tPvRmT1_T2_T3_mT4_P12ihipStream_tbEUlT_E0_NS1_11comp_targetILNS1_3genE2ELNS1_11target_archE906ELNS1_3gpuE6ELNS1_3repE0EEENS1_30default_config_static_selectorELNS0_4arch9wavefront6targetE1EEEvSL_,"axG",@progbits,_ZN7rocprim17ROCPRIM_400000_NS6detail17trampoline_kernelINS0_14default_configENS1_22reduce_config_selectorIiEEZNS1_11reduce_implILb1ES3_N6thrust23THRUST_200600_302600_NS11hip_rocprim35transform_pair_of_input_iterators_tIiPhSB_NS8_12not_equal_toIhEEEEPiiNS8_4plusIiEEEE10hipError_tPvRmT1_T2_T3_mT4_P12ihipStream_tbEUlT_E0_NS1_11comp_targetILNS1_3genE2ELNS1_11target_archE906ELNS1_3gpuE6ELNS1_3repE0EEENS1_30default_config_static_selectorELNS0_4arch9wavefront6targetE1EEEvSL_,comdat
	.protected	_ZN7rocprim17ROCPRIM_400000_NS6detail17trampoline_kernelINS0_14default_configENS1_22reduce_config_selectorIiEEZNS1_11reduce_implILb1ES3_N6thrust23THRUST_200600_302600_NS11hip_rocprim35transform_pair_of_input_iterators_tIiPhSB_NS8_12not_equal_toIhEEEEPiiNS8_4plusIiEEEE10hipError_tPvRmT1_T2_T3_mT4_P12ihipStream_tbEUlT_E0_NS1_11comp_targetILNS1_3genE2ELNS1_11target_archE906ELNS1_3gpuE6ELNS1_3repE0EEENS1_30default_config_static_selectorELNS0_4arch9wavefront6targetE1EEEvSL_ ; -- Begin function _ZN7rocprim17ROCPRIM_400000_NS6detail17trampoline_kernelINS0_14default_configENS1_22reduce_config_selectorIiEEZNS1_11reduce_implILb1ES3_N6thrust23THRUST_200600_302600_NS11hip_rocprim35transform_pair_of_input_iterators_tIiPhSB_NS8_12not_equal_toIhEEEEPiiNS8_4plusIiEEEE10hipError_tPvRmT1_T2_T3_mT4_P12ihipStream_tbEUlT_E0_NS1_11comp_targetILNS1_3genE2ELNS1_11target_archE906ELNS1_3gpuE6ELNS1_3repE0EEENS1_30default_config_static_selectorELNS0_4arch9wavefront6targetE1EEEvSL_
	.globl	_ZN7rocprim17ROCPRIM_400000_NS6detail17trampoline_kernelINS0_14default_configENS1_22reduce_config_selectorIiEEZNS1_11reduce_implILb1ES3_N6thrust23THRUST_200600_302600_NS11hip_rocprim35transform_pair_of_input_iterators_tIiPhSB_NS8_12not_equal_toIhEEEEPiiNS8_4plusIiEEEE10hipError_tPvRmT1_T2_T3_mT4_P12ihipStream_tbEUlT_E0_NS1_11comp_targetILNS1_3genE2ELNS1_11target_archE906ELNS1_3gpuE6ELNS1_3repE0EEENS1_30default_config_static_selectorELNS0_4arch9wavefront6targetE1EEEvSL_
	.p2align	8
	.type	_ZN7rocprim17ROCPRIM_400000_NS6detail17trampoline_kernelINS0_14default_configENS1_22reduce_config_selectorIiEEZNS1_11reduce_implILb1ES3_N6thrust23THRUST_200600_302600_NS11hip_rocprim35transform_pair_of_input_iterators_tIiPhSB_NS8_12not_equal_toIhEEEEPiiNS8_4plusIiEEEE10hipError_tPvRmT1_T2_T3_mT4_P12ihipStream_tbEUlT_E0_NS1_11comp_targetILNS1_3genE2ELNS1_11target_archE906ELNS1_3gpuE6ELNS1_3repE0EEENS1_30default_config_static_selectorELNS0_4arch9wavefront6targetE1EEEvSL_,@function
_ZN7rocprim17ROCPRIM_400000_NS6detail17trampoline_kernelINS0_14default_configENS1_22reduce_config_selectorIiEEZNS1_11reduce_implILb1ES3_N6thrust23THRUST_200600_302600_NS11hip_rocprim35transform_pair_of_input_iterators_tIiPhSB_NS8_12not_equal_toIhEEEEPiiNS8_4plusIiEEEE10hipError_tPvRmT1_T2_T3_mT4_P12ihipStream_tbEUlT_E0_NS1_11comp_targetILNS1_3genE2ELNS1_11target_archE906ELNS1_3gpuE6ELNS1_3repE0EEENS1_30default_config_static_selectorELNS0_4arch9wavefront6targetE1EEEvSL_: ; @_ZN7rocprim17ROCPRIM_400000_NS6detail17trampoline_kernelINS0_14default_configENS1_22reduce_config_selectorIiEEZNS1_11reduce_implILb1ES3_N6thrust23THRUST_200600_302600_NS11hip_rocprim35transform_pair_of_input_iterators_tIiPhSB_NS8_12not_equal_toIhEEEEPiiNS8_4plusIiEEEE10hipError_tPvRmT1_T2_T3_mT4_P12ihipStream_tbEUlT_E0_NS1_11comp_targetILNS1_3genE2ELNS1_11target_archE906ELNS1_3gpuE6ELNS1_3repE0EEENS1_30default_config_static_selectorELNS0_4arch9wavefront6targetE1EEEvSL_
; %bb.0:
	.section	.rodata,"a",@progbits
	.p2align	6, 0x0
	.amdhsa_kernel _ZN7rocprim17ROCPRIM_400000_NS6detail17trampoline_kernelINS0_14default_configENS1_22reduce_config_selectorIiEEZNS1_11reduce_implILb1ES3_N6thrust23THRUST_200600_302600_NS11hip_rocprim35transform_pair_of_input_iterators_tIiPhSB_NS8_12not_equal_toIhEEEEPiiNS8_4plusIiEEEE10hipError_tPvRmT1_T2_T3_mT4_P12ihipStream_tbEUlT_E0_NS1_11comp_targetILNS1_3genE2ELNS1_11target_archE906ELNS1_3gpuE6ELNS1_3repE0EEENS1_30default_config_static_selectorELNS0_4arch9wavefront6targetE1EEEvSL_
		.amdhsa_group_segment_fixed_size 0
		.amdhsa_private_segment_fixed_size 0
		.amdhsa_kernarg_size 72
		.amdhsa_user_sgpr_count 6
		.amdhsa_user_sgpr_private_segment_buffer 1
		.amdhsa_user_sgpr_dispatch_ptr 0
		.amdhsa_user_sgpr_queue_ptr 0
		.amdhsa_user_sgpr_kernarg_segment_ptr 1
		.amdhsa_user_sgpr_dispatch_id 0
		.amdhsa_user_sgpr_flat_scratch_init 0
		.amdhsa_user_sgpr_kernarg_preload_length 0
		.amdhsa_user_sgpr_kernarg_preload_offset 0
		.amdhsa_user_sgpr_private_segment_size 0
		.amdhsa_uses_dynamic_stack 0
		.amdhsa_system_sgpr_private_segment_wavefront_offset 0
		.amdhsa_system_sgpr_workgroup_id_x 1
		.amdhsa_system_sgpr_workgroup_id_y 0
		.amdhsa_system_sgpr_workgroup_id_z 0
		.amdhsa_system_sgpr_workgroup_info 0
		.amdhsa_system_vgpr_workitem_id 0
		.amdhsa_next_free_vgpr 1
		.amdhsa_next_free_sgpr 0
		.amdhsa_accum_offset 4
		.amdhsa_reserve_vcc 0
		.amdhsa_reserve_flat_scratch 0
		.amdhsa_float_round_mode_32 0
		.amdhsa_float_round_mode_16_64 0
		.amdhsa_float_denorm_mode_32 3
		.amdhsa_float_denorm_mode_16_64 3
		.amdhsa_dx10_clamp 1
		.amdhsa_ieee_mode 1
		.amdhsa_fp16_overflow 0
		.amdhsa_tg_split 0
		.amdhsa_exception_fp_ieee_invalid_op 0
		.amdhsa_exception_fp_denorm_src 0
		.amdhsa_exception_fp_ieee_div_zero 0
		.amdhsa_exception_fp_ieee_overflow 0
		.amdhsa_exception_fp_ieee_underflow 0
		.amdhsa_exception_fp_ieee_inexact 0
		.amdhsa_exception_int_div_zero 0
	.end_amdhsa_kernel
	.section	.text._ZN7rocprim17ROCPRIM_400000_NS6detail17trampoline_kernelINS0_14default_configENS1_22reduce_config_selectorIiEEZNS1_11reduce_implILb1ES3_N6thrust23THRUST_200600_302600_NS11hip_rocprim35transform_pair_of_input_iterators_tIiPhSB_NS8_12not_equal_toIhEEEEPiiNS8_4plusIiEEEE10hipError_tPvRmT1_T2_T3_mT4_P12ihipStream_tbEUlT_E0_NS1_11comp_targetILNS1_3genE2ELNS1_11target_archE906ELNS1_3gpuE6ELNS1_3repE0EEENS1_30default_config_static_selectorELNS0_4arch9wavefront6targetE1EEEvSL_,"axG",@progbits,_ZN7rocprim17ROCPRIM_400000_NS6detail17trampoline_kernelINS0_14default_configENS1_22reduce_config_selectorIiEEZNS1_11reduce_implILb1ES3_N6thrust23THRUST_200600_302600_NS11hip_rocprim35transform_pair_of_input_iterators_tIiPhSB_NS8_12not_equal_toIhEEEEPiiNS8_4plusIiEEEE10hipError_tPvRmT1_T2_T3_mT4_P12ihipStream_tbEUlT_E0_NS1_11comp_targetILNS1_3genE2ELNS1_11target_archE906ELNS1_3gpuE6ELNS1_3repE0EEENS1_30default_config_static_selectorELNS0_4arch9wavefront6targetE1EEEvSL_,comdat
.Lfunc_end340:
	.size	_ZN7rocprim17ROCPRIM_400000_NS6detail17trampoline_kernelINS0_14default_configENS1_22reduce_config_selectorIiEEZNS1_11reduce_implILb1ES3_N6thrust23THRUST_200600_302600_NS11hip_rocprim35transform_pair_of_input_iterators_tIiPhSB_NS8_12not_equal_toIhEEEEPiiNS8_4plusIiEEEE10hipError_tPvRmT1_T2_T3_mT4_P12ihipStream_tbEUlT_E0_NS1_11comp_targetILNS1_3genE2ELNS1_11target_archE906ELNS1_3gpuE6ELNS1_3repE0EEENS1_30default_config_static_selectorELNS0_4arch9wavefront6targetE1EEEvSL_, .Lfunc_end340-_ZN7rocprim17ROCPRIM_400000_NS6detail17trampoline_kernelINS0_14default_configENS1_22reduce_config_selectorIiEEZNS1_11reduce_implILb1ES3_N6thrust23THRUST_200600_302600_NS11hip_rocprim35transform_pair_of_input_iterators_tIiPhSB_NS8_12not_equal_toIhEEEEPiiNS8_4plusIiEEEE10hipError_tPvRmT1_T2_T3_mT4_P12ihipStream_tbEUlT_E0_NS1_11comp_targetILNS1_3genE2ELNS1_11target_archE906ELNS1_3gpuE6ELNS1_3repE0EEENS1_30default_config_static_selectorELNS0_4arch9wavefront6targetE1EEEvSL_
                                        ; -- End function
	.section	.AMDGPU.csdata,"",@progbits
; Kernel info:
; codeLenInByte = 0
; NumSgprs: 4
; NumVgprs: 0
; NumAgprs: 0
; TotalNumVgprs: 0
; ScratchSize: 0
; MemoryBound: 0
; FloatMode: 240
; IeeeMode: 1
; LDSByteSize: 0 bytes/workgroup (compile time only)
; SGPRBlocks: 0
; VGPRBlocks: 0
; NumSGPRsForWavesPerEU: 4
; NumVGPRsForWavesPerEU: 1
; AccumOffset: 4
; Occupancy: 8
; WaveLimiterHint : 0
; COMPUTE_PGM_RSRC2:SCRATCH_EN: 0
; COMPUTE_PGM_RSRC2:USER_SGPR: 6
; COMPUTE_PGM_RSRC2:TRAP_HANDLER: 0
; COMPUTE_PGM_RSRC2:TGID_X_EN: 1
; COMPUTE_PGM_RSRC2:TGID_Y_EN: 0
; COMPUTE_PGM_RSRC2:TGID_Z_EN: 0
; COMPUTE_PGM_RSRC2:TIDIG_COMP_CNT: 0
; COMPUTE_PGM_RSRC3_GFX90A:ACCUM_OFFSET: 0
; COMPUTE_PGM_RSRC3_GFX90A:TG_SPLIT: 0
	.section	.text._ZN7rocprim17ROCPRIM_400000_NS6detail17trampoline_kernelINS0_14default_configENS1_22reduce_config_selectorIiEEZNS1_11reduce_implILb1ES3_N6thrust23THRUST_200600_302600_NS11hip_rocprim35transform_pair_of_input_iterators_tIiPhSB_NS8_12not_equal_toIhEEEEPiiNS8_4plusIiEEEE10hipError_tPvRmT1_T2_T3_mT4_P12ihipStream_tbEUlT_E0_NS1_11comp_targetILNS1_3genE10ELNS1_11target_archE1201ELNS1_3gpuE5ELNS1_3repE0EEENS1_30default_config_static_selectorELNS0_4arch9wavefront6targetE1EEEvSL_,"axG",@progbits,_ZN7rocprim17ROCPRIM_400000_NS6detail17trampoline_kernelINS0_14default_configENS1_22reduce_config_selectorIiEEZNS1_11reduce_implILb1ES3_N6thrust23THRUST_200600_302600_NS11hip_rocprim35transform_pair_of_input_iterators_tIiPhSB_NS8_12not_equal_toIhEEEEPiiNS8_4plusIiEEEE10hipError_tPvRmT1_T2_T3_mT4_P12ihipStream_tbEUlT_E0_NS1_11comp_targetILNS1_3genE10ELNS1_11target_archE1201ELNS1_3gpuE5ELNS1_3repE0EEENS1_30default_config_static_selectorELNS0_4arch9wavefront6targetE1EEEvSL_,comdat
	.protected	_ZN7rocprim17ROCPRIM_400000_NS6detail17trampoline_kernelINS0_14default_configENS1_22reduce_config_selectorIiEEZNS1_11reduce_implILb1ES3_N6thrust23THRUST_200600_302600_NS11hip_rocprim35transform_pair_of_input_iterators_tIiPhSB_NS8_12not_equal_toIhEEEEPiiNS8_4plusIiEEEE10hipError_tPvRmT1_T2_T3_mT4_P12ihipStream_tbEUlT_E0_NS1_11comp_targetILNS1_3genE10ELNS1_11target_archE1201ELNS1_3gpuE5ELNS1_3repE0EEENS1_30default_config_static_selectorELNS0_4arch9wavefront6targetE1EEEvSL_ ; -- Begin function _ZN7rocprim17ROCPRIM_400000_NS6detail17trampoline_kernelINS0_14default_configENS1_22reduce_config_selectorIiEEZNS1_11reduce_implILb1ES3_N6thrust23THRUST_200600_302600_NS11hip_rocprim35transform_pair_of_input_iterators_tIiPhSB_NS8_12not_equal_toIhEEEEPiiNS8_4plusIiEEEE10hipError_tPvRmT1_T2_T3_mT4_P12ihipStream_tbEUlT_E0_NS1_11comp_targetILNS1_3genE10ELNS1_11target_archE1201ELNS1_3gpuE5ELNS1_3repE0EEENS1_30default_config_static_selectorELNS0_4arch9wavefront6targetE1EEEvSL_
	.globl	_ZN7rocprim17ROCPRIM_400000_NS6detail17trampoline_kernelINS0_14default_configENS1_22reduce_config_selectorIiEEZNS1_11reduce_implILb1ES3_N6thrust23THRUST_200600_302600_NS11hip_rocprim35transform_pair_of_input_iterators_tIiPhSB_NS8_12not_equal_toIhEEEEPiiNS8_4plusIiEEEE10hipError_tPvRmT1_T2_T3_mT4_P12ihipStream_tbEUlT_E0_NS1_11comp_targetILNS1_3genE10ELNS1_11target_archE1201ELNS1_3gpuE5ELNS1_3repE0EEENS1_30default_config_static_selectorELNS0_4arch9wavefront6targetE1EEEvSL_
	.p2align	8
	.type	_ZN7rocprim17ROCPRIM_400000_NS6detail17trampoline_kernelINS0_14default_configENS1_22reduce_config_selectorIiEEZNS1_11reduce_implILb1ES3_N6thrust23THRUST_200600_302600_NS11hip_rocprim35transform_pair_of_input_iterators_tIiPhSB_NS8_12not_equal_toIhEEEEPiiNS8_4plusIiEEEE10hipError_tPvRmT1_T2_T3_mT4_P12ihipStream_tbEUlT_E0_NS1_11comp_targetILNS1_3genE10ELNS1_11target_archE1201ELNS1_3gpuE5ELNS1_3repE0EEENS1_30default_config_static_selectorELNS0_4arch9wavefront6targetE1EEEvSL_,@function
_ZN7rocprim17ROCPRIM_400000_NS6detail17trampoline_kernelINS0_14default_configENS1_22reduce_config_selectorIiEEZNS1_11reduce_implILb1ES3_N6thrust23THRUST_200600_302600_NS11hip_rocprim35transform_pair_of_input_iterators_tIiPhSB_NS8_12not_equal_toIhEEEEPiiNS8_4plusIiEEEE10hipError_tPvRmT1_T2_T3_mT4_P12ihipStream_tbEUlT_E0_NS1_11comp_targetILNS1_3genE10ELNS1_11target_archE1201ELNS1_3gpuE5ELNS1_3repE0EEENS1_30default_config_static_selectorELNS0_4arch9wavefront6targetE1EEEvSL_: ; @_ZN7rocprim17ROCPRIM_400000_NS6detail17trampoline_kernelINS0_14default_configENS1_22reduce_config_selectorIiEEZNS1_11reduce_implILb1ES3_N6thrust23THRUST_200600_302600_NS11hip_rocprim35transform_pair_of_input_iterators_tIiPhSB_NS8_12not_equal_toIhEEEEPiiNS8_4plusIiEEEE10hipError_tPvRmT1_T2_T3_mT4_P12ihipStream_tbEUlT_E0_NS1_11comp_targetILNS1_3genE10ELNS1_11target_archE1201ELNS1_3gpuE5ELNS1_3repE0EEENS1_30default_config_static_selectorELNS0_4arch9wavefront6targetE1EEEvSL_
; %bb.0:
	.section	.rodata,"a",@progbits
	.p2align	6, 0x0
	.amdhsa_kernel _ZN7rocprim17ROCPRIM_400000_NS6detail17trampoline_kernelINS0_14default_configENS1_22reduce_config_selectorIiEEZNS1_11reduce_implILb1ES3_N6thrust23THRUST_200600_302600_NS11hip_rocprim35transform_pair_of_input_iterators_tIiPhSB_NS8_12not_equal_toIhEEEEPiiNS8_4plusIiEEEE10hipError_tPvRmT1_T2_T3_mT4_P12ihipStream_tbEUlT_E0_NS1_11comp_targetILNS1_3genE10ELNS1_11target_archE1201ELNS1_3gpuE5ELNS1_3repE0EEENS1_30default_config_static_selectorELNS0_4arch9wavefront6targetE1EEEvSL_
		.amdhsa_group_segment_fixed_size 0
		.amdhsa_private_segment_fixed_size 0
		.amdhsa_kernarg_size 72
		.amdhsa_user_sgpr_count 6
		.amdhsa_user_sgpr_private_segment_buffer 1
		.amdhsa_user_sgpr_dispatch_ptr 0
		.amdhsa_user_sgpr_queue_ptr 0
		.amdhsa_user_sgpr_kernarg_segment_ptr 1
		.amdhsa_user_sgpr_dispatch_id 0
		.amdhsa_user_sgpr_flat_scratch_init 0
		.amdhsa_user_sgpr_kernarg_preload_length 0
		.amdhsa_user_sgpr_kernarg_preload_offset 0
		.amdhsa_user_sgpr_private_segment_size 0
		.amdhsa_uses_dynamic_stack 0
		.amdhsa_system_sgpr_private_segment_wavefront_offset 0
		.amdhsa_system_sgpr_workgroup_id_x 1
		.amdhsa_system_sgpr_workgroup_id_y 0
		.amdhsa_system_sgpr_workgroup_id_z 0
		.amdhsa_system_sgpr_workgroup_info 0
		.amdhsa_system_vgpr_workitem_id 0
		.amdhsa_next_free_vgpr 1
		.amdhsa_next_free_sgpr 0
		.amdhsa_accum_offset 4
		.amdhsa_reserve_vcc 0
		.amdhsa_reserve_flat_scratch 0
		.amdhsa_float_round_mode_32 0
		.amdhsa_float_round_mode_16_64 0
		.amdhsa_float_denorm_mode_32 3
		.amdhsa_float_denorm_mode_16_64 3
		.amdhsa_dx10_clamp 1
		.amdhsa_ieee_mode 1
		.amdhsa_fp16_overflow 0
		.amdhsa_tg_split 0
		.amdhsa_exception_fp_ieee_invalid_op 0
		.amdhsa_exception_fp_denorm_src 0
		.amdhsa_exception_fp_ieee_div_zero 0
		.amdhsa_exception_fp_ieee_overflow 0
		.amdhsa_exception_fp_ieee_underflow 0
		.amdhsa_exception_fp_ieee_inexact 0
		.amdhsa_exception_int_div_zero 0
	.end_amdhsa_kernel
	.section	.text._ZN7rocprim17ROCPRIM_400000_NS6detail17trampoline_kernelINS0_14default_configENS1_22reduce_config_selectorIiEEZNS1_11reduce_implILb1ES3_N6thrust23THRUST_200600_302600_NS11hip_rocprim35transform_pair_of_input_iterators_tIiPhSB_NS8_12not_equal_toIhEEEEPiiNS8_4plusIiEEEE10hipError_tPvRmT1_T2_T3_mT4_P12ihipStream_tbEUlT_E0_NS1_11comp_targetILNS1_3genE10ELNS1_11target_archE1201ELNS1_3gpuE5ELNS1_3repE0EEENS1_30default_config_static_selectorELNS0_4arch9wavefront6targetE1EEEvSL_,"axG",@progbits,_ZN7rocprim17ROCPRIM_400000_NS6detail17trampoline_kernelINS0_14default_configENS1_22reduce_config_selectorIiEEZNS1_11reduce_implILb1ES3_N6thrust23THRUST_200600_302600_NS11hip_rocprim35transform_pair_of_input_iterators_tIiPhSB_NS8_12not_equal_toIhEEEEPiiNS8_4plusIiEEEE10hipError_tPvRmT1_T2_T3_mT4_P12ihipStream_tbEUlT_E0_NS1_11comp_targetILNS1_3genE10ELNS1_11target_archE1201ELNS1_3gpuE5ELNS1_3repE0EEENS1_30default_config_static_selectorELNS0_4arch9wavefront6targetE1EEEvSL_,comdat
.Lfunc_end341:
	.size	_ZN7rocprim17ROCPRIM_400000_NS6detail17trampoline_kernelINS0_14default_configENS1_22reduce_config_selectorIiEEZNS1_11reduce_implILb1ES3_N6thrust23THRUST_200600_302600_NS11hip_rocprim35transform_pair_of_input_iterators_tIiPhSB_NS8_12not_equal_toIhEEEEPiiNS8_4plusIiEEEE10hipError_tPvRmT1_T2_T3_mT4_P12ihipStream_tbEUlT_E0_NS1_11comp_targetILNS1_3genE10ELNS1_11target_archE1201ELNS1_3gpuE5ELNS1_3repE0EEENS1_30default_config_static_selectorELNS0_4arch9wavefront6targetE1EEEvSL_, .Lfunc_end341-_ZN7rocprim17ROCPRIM_400000_NS6detail17trampoline_kernelINS0_14default_configENS1_22reduce_config_selectorIiEEZNS1_11reduce_implILb1ES3_N6thrust23THRUST_200600_302600_NS11hip_rocprim35transform_pair_of_input_iterators_tIiPhSB_NS8_12not_equal_toIhEEEEPiiNS8_4plusIiEEEE10hipError_tPvRmT1_T2_T3_mT4_P12ihipStream_tbEUlT_E0_NS1_11comp_targetILNS1_3genE10ELNS1_11target_archE1201ELNS1_3gpuE5ELNS1_3repE0EEENS1_30default_config_static_selectorELNS0_4arch9wavefront6targetE1EEEvSL_
                                        ; -- End function
	.section	.AMDGPU.csdata,"",@progbits
; Kernel info:
; codeLenInByte = 0
; NumSgprs: 4
; NumVgprs: 0
; NumAgprs: 0
; TotalNumVgprs: 0
; ScratchSize: 0
; MemoryBound: 0
; FloatMode: 240
; IeeeMode: 1
; LDSByteSize: 0 bytes/workgroup (compile time only)
; SGPRBlocks: 0
; VGPRBlocks: 0
; NumSGPRsForWavesPerEU: 4
; NumVGPRsForWavesPerEU: 1
; AccumOffset: 4
; Occupancy: 8
; WaveLimiterHint : 0
; COMPUTE_PGM_RSRC2:SCRATCH_EN: 0
; COMPUTE_PGM_RSRC2:USER_SGPR: 6
; COMPUTE_PGM_RSRC2:TRAP_HANDLER: 0
; COMPUTE_PGM_RSRC2:TGID_X_EN: 1
; COMPUTE_PGM_RSRC2:TGID_Y_EN: 0
; COMPUTE_PGM_RSRC2:TGID_Z_EN: 0
; COMPUTE_PGM_RSRC2:TIDIG_COMP_CNT: 0
; COMPUTE_PGM_RSRC3_GFX90A:ACCUM_OFFSET: 0
; COMPUTE_PGM_RSRC3_GFX90A:TG_SPLIT: 0
	.section	.text._ZN7rocprim17ROCPRIM_400000_NS6detail17trampoline_kernelINS0_14default_configENS1_22reduce_config_selectorIiEEZNS1_11reduce_implILb1ES3_N6thrust23THRUST_200600_302600_NS11hip_rocprim35transform_pair_of_input_iterators_tIiPhSB_NS8_12not_equal_toIhEEEEPiiNS8_4plusIiEEEE10hipError_tPvRmT1_T2_T3_mT4_P12ihipStream_tbEUlT_E0_NS1_11comp_targetILNS1_3genE10ELNS1_11target_archE1200ELNS1_3gpuE4ELNS1_3repE0EEENS1_30default_config_static_selectorELNS0_4arch9wavefront6targetE1EEEvSL_,"axG",@progbits,_ZN7rocprim17ROCPRIM_400000_NS6detail17trampoline_kernelINS0_14default_configENS1_22reduce_config_selectorIiEEZNS1_11reduce_implILb1ES3_N6thrust23THRUST_200600_302600_NS11hip_rocprim35transform_pair_of_input_iterators_tIiPhSB_NS8_12not_equal_toIhEEEEPiiNS8_4plusIiEEEE10hipError_tPvRmT1_T2_T3_mT4_P12ihipStream_tbEUlT_E0_NS1_11comp_targetILNS1_3genE10ELNS1_11target_archE1200ELNS1_3gpuE4ELNS1_3repE0EEENS1_30default_config_static_selectorELNS0_4arch9wavefront6targetE1EEEvSL_,comdat
	.protected	_ZN7rocprim17ROCPRIM_400000_NS6detail17trampoline_kernelINS0_14default_configENS1_22reduce_config_selectorIiEEZNS1_11reduce_implILb1ES3_N6thrust23THRUST_200600_302600_NS11hip_rocprim35transform_pair_of_input_iterators_tIiPhSB_NS8_12not_equal_toIhEEEEPiiNS8_4plusIiEEEE10hipError_tPvRmT1_T2_T3_mT4_P12ihipStream_tbEUlT_E0_NS1_11comp_targetILNS1_3genE10ELNS1_11target_archE1200ELNS1_3gpuE4ELNS1_3repE0EEENS1_30default_config_static_selectorELNS0_4arch9wavefront6targetE1EEEvSL_ ; -- Begin function _ZN7rocprim17ROCPRIM_400000_NS6detail17trampoline_kernelINS0_14default_configENS1_22reduce_config_selectorIiEEZNS1_11reduce_implILb1ES3_N6thrust23THRUST_200600_302600_NS11hip_rocprim35transform_pair_of_input_iterators_tIiPhSB_NS8_12not_equal_toIhEEEEPiiNS8_4plusIiEEEE10hipError_tPvRmT1_T2_T3_mT4_P12ihipStream_tbEUlT_E0_NS1_11comp_targetILNS1_3genE10ELNS1_11target_archE1200ELNS1_3gpuE4ELNS1_3repE0EEENS1_30default_config_static_selectorELNS0_4arch9wavefront6targetE1EEEvSL_
	.globl	_ZN7rocprim17ROCPRIM_400000_NS6detail17trampoline_kernelINS0_14default_configENS1_22reduce_config_selectorIiEEZNS1_11reduce_implILb1ES3_N6thrust23THRUST_200600_302600_NS11hip_rocprim35transform_pair_of_input_iterators_tIiPhSB_NS8_12not_equal_toIhEEEEPiiNS8_4plusIiEEEE10hipError_tPvRmT1_T2_T3_mT4_P12ihipStream_tbEUlT_E0_NS1_11comp_targetILNS1_3genE10ELNS1_11target_archE1200ELNS1_3gpuE4ELNS1_3repE0EEENS1_30default_config_static_selectorELNS0_4arch9wavefront6targetE1EEEvSL_
	.p2align	8
	.type	_ZN7rocprim17ROCPRIM_400000_NS6detail17trampoline_kernelINS0_14default_configENS1_22reduce_config_selectorIiEEZNS1_11reduce_implILb1ES3_N6thrust23THRUST_200600_302600_NS11hip_rocprim35transform_pair_of_input_iterators_tIiPhSB_NS8_12not_equal_toIhEEEEPiiNS8_4plusIiEEEE10hipError_tPvRmT1_T2_T3_mT4_P12ihipStream_tbEUlT_E0_NS1_11comp_targetILNS1_3genE10ELNS1_11target_archE1200ELNS1_3gpuE4ELNS1_3repE0EEENS1_30default_config_static_selectorELNS0_4arch9wavefront6targetE1EEEvSL_,@function
_ZN7rocprim17ROCPRIM_400000_NS6detail17trampoline_kernelINS0_14default_configENS1_22reduce_config_selectorIiEEZNS1_11reduce_implILb1ES3_N6thrust23THRUST_200600_302600_NS11hip_rocprim35transform_pair_of_input_iterators_tIiPhSB_NS8_12not_equal_toIhEEEEPiiNS8_4plusIiEEEE10hipError_tPvRmT1_T2_T3_mT4_P12ihipStream_tbEUlT_E0_NS1_11comp_targetILNS1_3genE10ELNS1_11target_archE1200ELNS1_3gpuE4ELNS1_3repE0EEENS1_30default_config_static_selectorELNS0_4arch9wavefront6targetE1EEEvSL_: ; @_ZN7rocprim17ROCPRIM_400000_NS6detail17trampoline_kernelINS0_14default_configENS1_22reduce_config_selectorIiEEZNS1_11reduce_implILb1ES3_N6thrust23THRUST_200600_302600_NS11hip_rocprim35transform_pair_of_input_iterators_tIiPhSB_NS8_12not_equal_toIhEEEEPiiNS8_4plusIiEEEE10hipError_tPvRmT1_T2_T3_mT4_P12ihipStream_tbEUlT_E0_NS1_11comp_targetILNS1_3genE10ELNS1_11target_archE1200ELNS1_3gpuE4ELNS1_3repE0EEENS1_30default_config_static_selectorELNS0_4arch9wavefront6targetE1EEEvSL_
; %bb.0:
	.section	.rodata,"a",@progbits
	.p2align	6, 0x0
	.amdhsa_kernel _ZN7rocprim17ROCPRIM_400000_NS6detail17trampoline_kernelINS0_14default_configENS1_22reduce_config_selectorIiEEZNS1_11reduce_implILb1ES3_N6thrust23THRUST_200600_302600_NS11hip_rocprim35transform_pair_of_input_iterators_tIiPhSB_NS8_12not_equal_toIhEEEEPiiNS8_4plusIiEEEE10hipError_tPvRmT1_T2_T3_mT4_P12ihipStream_tbEUlT_E0_NS1_11comp_targetILNS1_3genE10ELNS1_11target_archE1200ELNS1_3gpuE4ELNS1_3repE0EEENS1_30default_config_static_selectorELNS0_4arch9wavefront6targetE1EEEvSL_
		.amdhsa_group_segment_fixed_size 0
		.amdhsa_private_segment_fixed_size 0
		.amdhsa_kernarg_size 72
		.amdhsa_user_sgpr_count 6
		.amdhsa_user_sgpr_private_segment_buffer 1
		.amdhsa_user_sgpr_dispatch_ptr 0
		.amdhsa_user_sgpr_queue_ptr 0
		.amdhsa_user_sgpr_kernarg_segment_ptr 1
		.amdhsa_user_sgpr_dispatch_id 0
		.amdhsa_user_sgpr_flat_scratch_init 0
		.amdhsa_user_sgpr_kernarg_preload_length 0
		.amdhsa_user_sgpr_kernarg_preload_offset 0
		.amdhsa_user_sgpr_private_segment_size 0
		.amdhsa_uses_dynamic_stack 0
		.amdhsa_system_sgpr_private_segment_wavefront_offset 0
		.amdhsa_system_sgpr_workgroup_id_x 1
		.amdhsa_system_sgpr_workgroup_id_y 0
		.amdhsa_system_sgpr_workgroup_id_z 0
		.amdhsa_system_sgpr_workgroup_info 0
		.amdhsa_system_vgpr_workitem_id 0
		.amdhsa_next_free_vgpr 1
		.amdhsa_next_free_sgpr 0
		.amdhsa_accum_offset 4
		.amdhsa_reserve_vcc 0
		.amdhsa_reserve_flat_scratch 0
		.amdhsa_float_round_mode_32 0
		.amdhsa_float_round_mode_16_64 0
		.amdhsa_float_denorm_mode_32 3
		.amdhsa_float_denorm_mode_16_64 3
		.amdhsa_dx10_clamp 1
		.amdhsa_ieee_mode 1
		.amdhsa_fp16_overflow 0
		.amdhsa_tg_split 0
		.amdhsa_exception_fp_ieee_invalid_op 0
		.amdhsa_exception_fp_denorm_src 0
		.amdhsa_exception_fp_ieee_div_zero 0
		.amdhsa_exception_fp_ieee_overflow 0
		.amdhsa_exception_fp_ieee_underflow 0
		.amdhsa_exception_fp_ieee_inexact 0
		.amdhsa_exception_int_div_zero 0
	.end_amdhsa_kernel
	.section	.text._ZN7rocprim17ROCPRIM_400000_NS6detail17trampoline_kernelINS0_14default_configENS1_22reduce_config_selectorIiEEZNS1_11reduce_implILb1ES3_N6thrust23THRUST_200600_302600_NS11hip_rocprim35transform_pair_of_input_iterators_tIiPhSB_NS8_12not_equal_toIhEEEEPiiNS8_4plusIiEEEE10hipError_tPvRmT1_T2_T3_mT4_P12ihipStream_tbEUlT_E0_NS1_11comp_targetILNS1_3genE10ELNS1_11target_archE1200ELNS1_3gpuE4ELNS1_3repE0EEENS1_30default_config_static_selectorELNS0_4arch9wavefront6targetE1EEEvSL_,"axG",@progbits,_ZN7rocprim17ROCPRIM_400000_NS6detail17trampoline_kernelINS0_14default_configENS1_22reduce_config_selectorIiEEZNS1_11reduce_implILb1ES3_N6thrust23THRUST_200600_302600_NS11hip_rocprim35transform_pair_of_input_iterators_tIiPhSB_NS8_12not_equal_toIhEEEEPiiNS8_4plusIiEEEE10hipError_tPvRmT1_T2_T3_mT4_P12ihipStream_tbEUlT_E0_NS1_11comp_targetILNS1_3genE10ELNS1_11target_archE1200ELNS1_3gpuE4ELNS1_3repE0EEENS1_30default_config_static_selectorELNS0_4arch9wavefront6targetE1EEEvSL_,comdat
.Lfunc_end342:
	.size	_ZN7rocprim17ROCPRIM_400000_NS6detail17trampoline_kernelINS0_14default_configENS1_22reduce_config_selectorIiEEZNS1_11reduce_implILb1ES3_N6thrust23THRUST_200600_302600_NS11hip_rocprim35transform_pair_of_input_iterators_tIiPhSB_NS8_12not_equal_toIhEEEEPiiNS8_4plusIiEEEE10hipError_tPvRmT1_T2_T3_mT4_P12ihipStream_tbEUlT_E0_NS1_11comp_targetILNS1_3genE10ELNS1_11target_archE1200ELNS1_3gpuE4ELNS1_3repE0EEENS1_30default_config_static_selectorELNS0_4arch9wavefront6targetE1EEEvSL_, .Lfunc_end342-_ZN7rocprim17ROCPRIM_400000_NS6detail17trampoline_kernelINS0_14default_configENS1_22reduce_config_selectorIiEEZNS1_11reduce_implILb1ES3_N6thrust23THRUST_200600_302600_NS11hip_rocprim35transform_pair_of_input_iterators_tIiPhSB_NS8_12not_equal_toIhEEEEPiiNS8_4plusIiEEEE10hipError_tPvRmT1_T2_T3_mT4_P12ihipStream_tbEUlT_E0_NS1_11comp_targetILNS1_3genE10ELNS1_11target_archE1200ELNS1_3gpuE4ELNS1_3repE0EEENS1_30default_config_static_selectorELNS0_4arch9wavefront6targetE1EEEvSL_
                                        ; -- End function
	.section	.AMDGPU.csdata,"",@progbits
; Kernel info:
; codeLenInByte = 0
; NumSgprs: 4
; NumVgprs: 0
; NumAgprs: 0
; TotalNumVgprs: 0
; ScratchSize: 0
; MemoryBound: 0
; FloatMode: 240
; IeeeMode: 1
; LDSByteSize: 0 bytes/workgroup (compile time only)
; SGPRBlocks: 0
; VGPRBlocks: 0
; NumSGPRsForWavesPerEU: 4
; NumVGPRsForWavesPerEU: 1
; AccumOffset: 4
; Occupancy: 8
; WaveLimiterHint : 0
; COMPUTE_PGM_RSRC2:SCRATCH_EN: 0
; COMPUTE_PGM_RSRC2:USER_SGPR: 6
; COMPUTE_PGM_RSRC2:TRAP_HANDLER: 0
; COMPUTE_PGM_RSRC2:TGID_X_EN: 1
; COMPUTE_PGM_RSRC2:TGID_Y_EN: 0
; COMPUTE_PGM_RSRC2:TGID_Z_EN: 0
; COMPUTE_PGM_RSRC2:TIDIG_COMP_CNT: 0
; COMPUTE_PGM_RSRC3_GFX90A:ACCUM_OFFSET: 0
; COMPUTE_PGM_RSRC3_GFX90A:TG_SPLIT: 0
	.section	.text._ZN7rocprim17ROCPRIM_400000_NS6detail17trampoline_kernelINS0_14default_configENS1_22reduce_config_selectorIiEEZNS1_11reduce_implILb1ES3_N6thrust23THRUST_200600_302600_NS11hip_rocprim35transform_pair_of_input_iterators_tIiPhSB_NS8_12not_equal_toIhEEEEPiiNS8_4plusIiEEEE10hipError_tPvRmT1_T2_T3_mT4_P12ihipStream_tbEUlT_E0_NS1_11comp_targetILNS1_3genE9ELNS1_11target_archE1100ELNS1_3gpuE3ELNS1_3repE0EEENS1_30default_config_static_selectorELNS0_4arch9wavefront6targetE1EEEvSL_,"axG",@progbits,_ZN7rocprim17ROCPRIM_400000_NS6detail17trampoline_kernelINS0_14default_configENS1_22reduce_config_selectorIiEEZNS1_11reduce_implILb1ES3_N6thrust23THRUST_200600_302600_NS11hip_rocprim35transform_pair_of_input_iterators_tIiPhSB_NS8_12not_equal_toIhEEEEPiiNS8_4plusIiEEEE10hipError_tPvRmT1_T2_T3_mT4_P12ihipStream_tbEUlT_E0_NS1_11comp_targetILNS1_3genE9ELNS1_11target_archE1100ELNS1_3gpuE3ELNS1_3repE0EEENS1_30default_config_static_selectorELNS0_4arch9wavefront6targetE1EEEvSL_,comdat
	.protected	_ZN7rocprim17ROCPRIM_400000_NS6detail17trampoline_kernelINS0_14default_configENS1_22reduce_config_selectorIiEEZNS1_11reduce_implILb1ES3_N6thrust23THRUST_200600_302600_NS11hip_rocprim35transform_pair_of_input_iterators_tIiPhSB_NS8_12not_equal_toIhEEEEPiiNS8_4plusIiEEEE10hipError_tPvRmT1_T2_T3_mT4_P12ihipStream_tbEUlT_E0_NS1_11comp_targetILNS1_3genE9ELNS1_11target_archE1100ELNS1_3gpuE3ELNS1_3repE0EEENS1_30default_config_static_selectorELNS0_4arch9wavefront6targetE1EEEvSL_ ; -- Begin function _ZN7rocprim17ROCPRIM_400000_NS6detail17trampoline_kernelINS0_14default_configENS1_22reduce_config_selectorIiEEZNS1_11reduce_implILb1ES3_N6thrust23THRUST_200600_302600_NS11hip_rocprim35transform_pair_of_input_iterators_tIiPhSB_NS8_12not_equal_toIhEEEEPiiNS8_4plusIiEEEE10hipError_tPvRmT1_T2_T3_mT4_P12ihipStream_tbEUlT_E0_NS1_11comp_targetILNS1_3genE9ELNS1_11target_archE1100ELNS1_3gpuE3ELNS1_3repE0EEENS1_30default_config_static_selectorELNS0_4arch9wavefront6targetE1EEEvSL_
	.globl	_ZN7rocprim17ROCPRIM_400000_NS6detail17trampoline_kernelINS0_14default_configENS1_22reduce_config_selectorIiEEZNS1_11reduce_implILb1ES3_N6thrust23THRUST_200600_302600_NS11hip_rocprim35transform_pair_of_input_iterators_tIiPhSB_NS8_12not_equal_toIhEEEEPiiNS8_4plusIiEEEE10hipError_tPvRmT1_T2_T3_mT4_P12ihipStream_tbEUlT_E0_NS1_11comp_targetILNS1_3genE9ELNS1_11target_archE1100ELNS1_3gpuE3ELNS1_3repE0EEENS1_30default_config_static_selectorELNS0_4arch9wavefront6targetE1EEEvSL_
	.p2align	8
	.type	_ZN7rocprim17ROCPRIM_400000_NS6detail17trampoline_kernelINS0_14default_configENS1_22reduce_config_selectorIiEEZNS1_11reduce_implILb1ES3_N6thrust23THRUST_200600_302600_NS11hip_rocprim35transform_pair_of_input_iterators_tIiPhSB_NS8_12not_equal_toIhEEEEPiiNS8_4plusIiEEEE10hipError_tPvRmT1_T2_T3_mT4_P12ihipStream_tbEUlT_E0_NS1_11comp_targetILNS1_3genE9ELNS1_11target_archE1100ELNS1_3gpuE3ELNS1_3repE0EEENS1_30default_config_static_selectorELNS0_4arch9wavefront6targetE1EEEvSL_,@function
_ZN7rocprim17ROCPRIM_400000_NS6detail17trampoline_kernelINS0_14default_configENS1_22reduce_config_selectorIiEEZNS1_11reduce_implILb1ES3_N6thrust23THRUST_200600_302600_NS11hip_rocprim35transform_pair_of_input_iterators_tIiPhSB_NS8_12not_equal_toIhEEEEPiiNS8_4plusIiEEEE10hipError_tPvRmT1_T2_T3_mT4_P12ihipStream_tbEUlT_E0_NS1_11comp_targetILNS1_3genE9ELNS1_11target_archE1100ELNS1_3gpuE3ELNS1_3repE0EEENS1_30default_config_static_selectorELNS0_4arch9wavefront6targetE1EEEvSL_: ; @_ZN7rocprim17ROCPRIM_400000_NS6detail17trampoline_kernelINS0_14default_configENS1_22reduce_config_selectorIiEEZNS1_11reduce_implILb1ES3_N6thrust23THRUST_200600_302600_NS11hip_rocprim35transform_pair_of_input_iterators_tIiPhSB_NS8_12not_equal_toIhEEEEPiiNS8_4plusIiEEEE10hipError_tPvRmT1_T2_T3_mT4_P12ihipStream_tbEUlT_E0_NS1_11comp_targetILNS1_3genE9ELNS1_11target_archE1100ELNS1_3gpuE3ELNS1_3repE0EEENS1_30default_config_static_selectorELNS0_4arch9wavefront6targetE1EEEvSL_
; %bb.0:
	.section	.rodata,"a",@progbits
	.p2align	6, 0x0
	.amdhsa_kernel _ZN7rocprim17ROCPRIM_400000_NS6detail17trampoline_kernelINS0_14default_configENS1_22reduce_config_selectorIiEEZNS1_11reduce_implILb1ES3_N6thrust23THRUST_200600_302600_NS11hip_rocprim35transform_pair_of_input_iterators_tIiPhSB_NS8_12not_equal_toIhEEEEPiiNS8_4plusIiEEEE10hipError_tPvRmT1_T2_T3_mT4_P12ihipStream_tbEUlT_E0_NS1_11comp_targetILNS1_3genE9ELNS1_11target_archE1100ELNS1_3gpuE3ELNS1_3repE0EEENS1_30default_config_static_selectorELNS0_4arch9wavefront6targetE1EEEvSL_
		.amdhsa_group_segment_fixed_size 0
		.amdhsa_private_segment_fixed_size 0
		.amdhsa_kernarg_size 72
		.amdhsa_user_sgpr_count 6
		.amdhsa_user_sgpr_private_segment_buffer 1
		.amdhsa_user_sgpr_dispatch_ptr 0
		.amdhsa_user_sgpr_queue_ptr 0
		.amdhsa_user_sgpr_kernarg_segment_ptr 1
		.amdhsa_user_sgpr_dispatch_id 0
		.amdhsa_user_sgpr_flat_scratch_init 0
		.amdhsa_user_sgpr_kernarg_preload_length 0
		.amdhsa_user_sgpr_kernarg_preload_offset 0
		.amdhsa_user_sgpr_private_segment_size 0
		.amdhsa_uses_dynamic_stack 0
		.amdhsa_system_sgpr_private_segment_wavefront_offset 0
		.amdhsa_system_sgpr_workgroup_id_x 1
		.amdhsa_system_sgpr_workgroup_id_y 0
		.amdhsa_system_sgpr_workgroup_id_z 0
		.amdhsa_system_sgpr_workgroup_info 0
		.amdhsa_system_vgpr_workitem_id 0
		.amdhsa_next_free_vgpr 1
		.amdhsa_next_free_sgpr 0
		.amdhsa_accum_offset 4
		.amdhsa_reserve_vcc 0
		.amdhsa_reserve_flat_scratch 0
		.amdhsa_float_round_mode_32 0
		.amdhsa_float_round_mode_16_64 0
		.amdhsa_float_denorm_mode_32 3
		.amdhsa_float_denorm_mode_16_64 3
		.amdhsa_dx10_clamp 1
		.amdhsa_ieee_mode 1
		.amdhsa_fp16_overflow 0
		.amdhsa_tg_split 0
		.amdhsa_exception_fp_ieee_invalid_op 0
		.amdhsa_exception_fp_denorm_src 0
		.amdhsa_exception_fp_ieee_div_zero 0
		.amdhsa_exception_fp_ieee_overflow 0
		.amdhsa_exception_fp_ieee_underflow 0
		.amdhsa_exception_fp_ieee_inexact 0
		.amdhsa_exception_int_div_zero 0
	.end_amdhsa_kernel
	.section	.text._ZN7rocprim17ROCPRIM_400000_NS6detail17trampoline_kernelINS0_14default_configENS1_22reduce_config_selectorIiEEZNS1_11reduce_implILb1ES3_N6thrust23THRUST_200600_302600_NS11hip_rocprim35transform_pair_of_input_iterators_tIiPhSB_NS8_12not_equal_toIhEEEEPiiNS8_4plusIiEEEE10hipError_tPvRmT1_T2_T3_mT4_P12ihipStream_tbEUlT_E0_NS1_11comp_targetILNS1_3genE9ELNS1_11target_archE1100ELNS1_3gpuE3ELNS1_3repE0EEENS1_30default_config_static_selectorELNS0_4arch9wavefront6targetE1EEEvSL_,"axG",@progbits,_ZN7rocprim17ROCPRIM_400000_NS6detail17trampoline_kernelINS0_14default_configENS1_22reduce_config_selectorIiEEZNS1_11reduce_implILb1ES3_N6thrust23THRUST_200600_302600_NS11hip_rocprim35transform_pair_of_input_iterators_tIiPhSB_NS8_12not_equal_toIhEEEEPiiNS8_4plusIiEEEE10hipError_tPvRmT1_T2_T3_mT4_P12ihipStream_tbEUlT_E0_NS1_11comp_targetILNS1_3genE9ELNS1_11target_archE1100ELNS1_3gpuE3ELNS1_3repE0EEENS1_30default_config_static_selectorELNS0_4arch9wavefront6targetE1EEEvSL_,comdat
.Lfunc_end343:
	.size	_ZN7rocprim17ROCPRIM_400000_NS6detail17trampoline_kernelINS0_14default_configENS1_22reduce_config_selectorIiEEZNS1_11reduce_implILb1ES3_N6thrust23THRUST_200600_302600_NS11hip_rocprim35transform_pair_of_input_iterators_tIiPhSB_NS8_12not_equal_toIhEEEEPiiNS8_4plusIiEEEE10hipError_tPvRmT1_T2_T3_mT4_P12ihipStream_tbEUlT_E0_NS1_11comp_targetILNS1_3genE9ELNS1_11target_archE1100ELNS1_3gpuE3ELNS1_3repE0EEENS1_30default_config_static_selectorELNS0_4arch9wavefront6targetE1EEEvSL_, .Lfunc_end343-_ZN7rocprim17ROCPRIM_400000_NS6detail17trampoline_kernelINS0_14default_configENS1_22reduce_config_selectorIiEEZNS1_11reduce_implILb1ES3_N6thrust23THRUST_200600_302600_NS11hip_rocprim35transform_pair_of_input_iterators_tIiPhSB_NS8_12not_equal_toIhEEEEPiiNS8_4plusIiEEEE10hipError_tPvRmT1_T2_T3_mT4_P12ihipStream_tbEUlT_E0_NS1_11comp_targetILNS1_3genE9ELNS1_11target_archE1100ELNS1_3gpuE3ELNS1_3repE0EEENS1_30default_config_static_selectorELNS0_4arch9wavefront6targetE1EEEvSL_
                                        ; -- End function
	.section	.AMDGPU.csdata,"",@progbits
; Kernel info:
; codeLenInByte = 0
; NumSgprs: 4
; NumVgprs: 0
; NumAgprs: 0
; TotalNumVgprs: 0
; ScratchSize: 0
; MemoryBound: 0
; FloatMode: 240
; IeeeMode: 1
; LDSByteSize: 0 bytes/workgroup (compile time only)
; SGPRBlocks: 0
; VGPRBlocks: 0
; NumSGPRsForWavesPerEU: 4
; NumVGPRsForWavesPerEU: 1
; AccumOffset: 4
; Occupancy: 8
; WaveLimiterHint : 0
; COMPUTE_PGM_RSRC2:SCRATCH_EN: 0
; COMPUTE_PGM_RSRC2:USER_SGPR: 6
; COMPUTE_PGM_RSRC2:TRAP_HANDLER: 0
; COMPUTE_PGM_RSRC2:TGID_X_EN: 1
; COMPUTE_PGM_RSRC2:TGID_Y_EN: 0
; COMPUTE_PGM_RSRC2:TGID_Z_EN: 0
; COMPUTE_PGM_RSRC2:TIDIG_COMP_CNT: 0
; COMPUTE_PGM_RSRC3_GFX90A:ACCUM_OFFSET: 0
; COMPUTE_PGM_RSRC3_GFX90A:TG_SPLIT: 0
	.section	.text._ZN7rocprim17ROCPRIM_400000_NS6detail17trampoline_kernelINS0_14default_configENS1_22reduce_config_selectorIiEEZNS1_11reduce_implILb1ES3_N6thrust23THRUST_200600_302600_NS11hip_rocprim35transform_pair_of_input_iterators_tIiPhSB_NS8_12not_equal_toIhEEEEPiiNS8_4plusIiEEEE10hipError_tPvRmT1_T2_T3_mT4_P12ihipStream_tbEUlT_E0_NS1_11comp_targetILNS1_3genE8ELNS1_11target_archE1030ELNS1_3gpuE2ELNS1_3repE0EEENS1_30default_config_static_selectorELNS0_4arch9wavefront6targetE1EEEvSL_,"axG",@progbits,_ZN7rocprim17ROCPRIM_400000_NS6detail17trampoline_kernelINS0_14default_configENS1_22reduce_config_selectorIiEEZNS1_11reduce_implILb1ES3_N6thrust23THRUST_200600_302600_NS11hip_rocprim35transform_pair_of_input_iterators_tIiPhSB_NS8_12not_equal_toIhEEEEPiiNS8_4plusIiEEEE10hipError_tPvRmT1_T2_T3_mT4_P12ihipStream_tbEUlT_E0_NS1_11comp_targetILNS1_3genE8ELNS1_11target_archE1030ELNS1_3gpuE2ELNS1_3repE0EEENS1_30default_config_static_selectorELNS0_4arch9wavefront6targetE1EEEvSL_,comdat
	.protected	_ZN7rocprim17ROCPRIM_400000_NS6detail17trampoline_kernelINS0_14default_configENS1_22reduce_config_selectorIiEEZNS1_11reduce_implILb1ES3_N6thrust23THRUST_200600_302600_NS11hip_rocprim35transform_pair_of_input_iterators_tIiPhSB_NS8_12not_equal_toIhEEEEPiiNS8_4plusIiEEEE10hipError_tPvRmT1_T2_T3_mT4_P12ihipStream_tbEUlT_E0_NS1_11comp_targetILNS1_3genE8ELNS1_11target_archE1030ELNS1_3gpuE2ELNS1_3repE0EEENS1_30default_config_static_selectorELNS0_4arch9wavefront6targetE1EEEvSL_ ; -- Begin function _ZN7rocprim17ROCPRIM_400000_NS6detail17trampoline_kernelINS0_14default_configENS1_22reduce_config_selectorIiEEZNS1_11reduce_implILb1ES3_N6thrust23THRUST_200600_302600_NS11hip_rocprim35transform_pair_of_input_iterators_tIiPhSB_NS8_12not_equal_toIhEEEEPiiNS8_4plusIiEEEE10hipError_tPvRmT1_T2_T3_mT4_P12ihipStream_tbEUlT_E0_NS1_11comp_targetILNS1_3genE8ELNS1_11target_archE1030ELNS1_3gpuE2ELNS1_3repE0EEENS1_30default_config_static_selectorELNS0_4arch9wavefront6targetE1EEEvSL_
	.globl	_ZN7rocprim17ROCPRIM_400000_NS6detail17trampoline_kernelINS0_14default_configENS1_22reduce_config_selectorIiEEZNS1_11reduce_implILb1ES3_N6thrust23THRUST_200600_302600_NS11hip_rocprim35transform_pair_of_input_iterators_tIiPhSB_NS8_12not_equal_toIhEEEEPiiNS8_4plusIiEEEE10hipError_tPvRmT1_T2_T3_mT4_P12ihipStream_tbEUlT_E0_NS1_11comp_targetILNS1_3genE8ELNS1_11target_archE1030ELNS1_3gpuE2ELNS1_3repE0EEENS1_30default_config_static_selectorELNS0_4arch9wavefront6targetE1EEEvSL_
	.p2align	8
	.type	_ZN7rocprim17ROCPRIM_400000_NS6detail17trampoline_kernelINS0_14default_configENS1_22reduce_config_selectorIiEEZNS1_11reduce_implILb1ES3_N6thrust23THRUST_200600_302600_NS11hip_rocprim35transform_pair_of_input_iterators_tIiPhSB_NS8_12not_equal_toIhEEEEPiiNS8_4plusIiEEEE10hipError_tPvRmT1_T2_T3_mT4_P12ihipStream_tbEUlT_E0_NS1_11comp_targetILNS1_3genE8ELNS1_11target_archE1030ELNS1_3gpuE2ELNS1_3repE0EEENS1_30default_config_static_selectorELNS0_4arch9wavefront6targetE1EEEvSL_,@function
_ZN7rocprim17ROCPRIM_400000_NS6detail17trampoline_kernelINS0_14default_configENS1_22reduce_config_selectorIiEEZNS1_11reduce_implILb1ES3_N6thrust23THRUST_200600_302600_NS11hip_rocprim35transform_pair_of_input_iterators_tIiPhSB_NS8_12not_equal_toIhEEEEPiiNS8_4plusIiEEEE10hipError_tPvRmT1_T2_T3_mT4_P12ihipStream_tbEUlT_E0_NS1_11comp_targetILNS1_3genE8ELNS1_11target_archE1030ELNS1_3gpuE2ELNS1_3repE0EEENS1_30default_config_static_selectorELNS0_4arch9wavefront6targetE1EEEvSL_: ; @_ZN7rocprim17ROCPRIM_400000_NS6detail17trampoline_kernelINS0_14default_configENS1_22reduce_config_selectorIiEEZNS1_11reduce_implILb1ES3_N6thrust23THRUST_200600_302600_NS11hip_rocprim35transform_pair_of_input_iterators_tIiPhSB_NS8_12not_equal_toIhEEEEPiiNS8_4plusIiEEEE10hipError_tPvRmT1_T2_T3_mT4_P12ihipStream_tbEUlT_E0_NS1_11comp_targetILNS1_3genE8ELNS1_11target_archE1030ELNS1_3gpuE2ELNS1_3repE0EEENS1_30default_config_static_selectorELNS0_4arch9wavefront6targetE1EEEvSL_
; %bb.0:
	.section	.rodata,"a",@progbits
	.p2align	6, 0x0
	.amdhsa_kernel _ZN7rocprim17ROCPRIM_400000_NS6detail17trampoline_kernelINS0_14default_configENS1_22reduce_config_selectorIiEEZNS1_11reduce_implILb1ES3_N6thrust23THRUST_200600_302600_NS11hip_rocprim35transform_pair_of_input_iterators_tIiPhSB_NS8_12not_equal_toIhEEEEPiiNS8_4plusIiEEEE10hipError_tPvRmT1_T2_T3_mT4_P12ihipStream_tbEUlT_E0_NS1_11comp_targetILNS1_3genE8ELNS1_11target_archE1030ELNS1_3gpuE2ELNS1_3repE0EEENS1_30default_config_static_selectorELNS0_4arch9wavefront6targetE1EEEvSL_
		.amdhsa_group_segment_fixed_size 0
		.amdhsa_private_segment_fixed_size 0
		.amdhsa_kernarg_size 72
		.amdhsa_user_sgpr_count 6
		.amdhsa_user_sgpr_private_segment_buffer 1
		.amdhsa_user_sgpr_dispatch_ptr 0
		.amdhsa_user_sgpr_queue_ptr 0
		.amdhsa_user_sgpr_kernarg_segment_ptr 1
		.amdhsa_user_sgpr_dispatch_id 0
		.amdhsa_user_sgpr_flat_scratch_init 0
		.amdhsa_user_sgpr_kernarg_preload_length 0
		.amdhsa_user_sgpr_kernarg_preload_offset 0
		.amdhsa_user_sgpr_private_segment_size 0
		.amdhsa_uses_dynamic_stack 0
		.amdhsa_system_sgpr_private_segment_wavefront_offset 0
		.amdhsa_system_sgpr_workgroup_id_x 1
		.amdhsa_system_sgpr_workgroup_id_y 0
		.amdhsa_system_sgpr_workgroup_id_z 0
		.amdhsa_system_sgpr_workgroup_info 0
		.amdhsa_system_vgpr_workitem_id 0
		.amdhsa_next_free_vgpr 1
		.amdhsa_next_free_sgpr 0
		.amdhsa_accum_offset 4
		.amdhsa_reserve_vcc 0
		.amdhsa_reserve_flat_scratch 0
		.amdhsa_float_round_mode_32 0
		.amdhsa_float_round_mode_16_64 0
		.amdhsa_float_denorm_mode_32 3
		.amdhsa_float_denorm_mode_16_64 3
		.amdhsa_dx10_clamp 1
		.amdhsa_ieee_mode 1
		.amdhsa_fp16_overflow 0
		.amdhsa_tg_split 0
		.amdhsa_exception_fp_ieee_invalid_op 0
		.amdhsa_exception_fp_denorm_src 0
		.amdhsa_exception_fp_ieee_div_zero 0
		.amdhsa_exception_fp_ieee_overflow 0
		.amdhsa_exception_fp_ieee_underflow 0
		.amdhsa_exception_fp_ieee_inexact 0
		.amdhsa_exception_int_div_zero 0
	.end_amdhsa_kernel
	.section	.text._ZN7rocprim17ROCPRIM_400000_NS6detail17trampoline_kernelINS0_14default_configENS1_22reduce_config_selectorIiEEZNS1_11reduce_implILb1ES3_N6thrust23THRUST_200600_302600_NS11hip_rocprim35transform_pair_of_input_iterators_tIiPhSB_NS8_12not_equal_toIhEEEEPiiNS8_4plusIiEEEE10hipError_tPvRmT1_T2_T3_mT4_P12ihipStream_tbEUlT_E0_NS1_11comp_targetILNS1_3genE8ELNS1_11target_archE1030ELNS1_3gpuE2ELNS1_3repE0EEENS1_30default_config_static_selectorELNS0_4arch9wavefront6targetE1EEEvSL_,"axG",@progbits,_ZN7rocprim17ROCPRIM_400000_NS6detail17trampoline_kernelINS0_14default_configENS1_22reduce_config_selectorIiEEZNS1_11reduce_implILb1ES3_N6thrust23THRUST_200600_302600_NS11hip_rocprim35transform_pair_of_input_iterators_tIiPhSB_NS8_12not_equal_toIhEEEEPiiNS8_4plusIiEEEE10hipError_tPvRmT1_T2_T3_mT4_P12ihipStream_tbEUlT_E0_NS1_11comp_targetILNS1_3genE8ELNS1_11target_archE1030ELNS1_3gpuE2ELNS1_3repE0EEENS1_30default_config_static_selectorELNS0_4arch9wavefront6targetE1EEEvSL_,comdat
.Lfunc_end344:
	.size	_ZN7rocprim17ROCPRIM_400000_NS6detail17trampoline_kernelINS0_14default_configENS1_22reduce_config_selectorIiEEZNS1_11reduce_implILb1ES3_N6thrust23THRUST_200600_302600_NS11hip_rocprim35transform_pair_of_input_iterators_tIiPhSB_NS8_12not_equal_toIhEEEEPiiNS8_4plusIiEEEE10hipError_tPvRmT1_T2_T3_mT4_P12ihipStream_tbEUlT_E0_NS1_11comp_targetILNS1_3genE8ELNS1_11target_archE1030ELNS1_3gpuE2ELNS1_3repE0EEENS1_30default_config_static_selectorELNS0_4arch9wavefront6targetE1EEEvSL_, .Lfunc_end344-_ZN7rocprim17ROCPRIM_400000_NS6detail17trampoline_kernelINS0_14default_configENS1_22reduce_config_selectorIiEEZNS1_11reduce_implILb1ES3_N6thrust23THRUST_200600_302600_NS11hip_rocprim35transform_pair_of_input_iterators_tIiPhSB_NS8_12not_equal_toIhEEEEPiiNS8_4plusIiEEEE10hipError_tPvRmT1_T2_T3_mT4_P12ihipStream_tbEUlT_E0_NS1_11comp_targetILNS1_3genE8ELNS1_11target_archE1030ELNS1_3gpuE2ELNS1_3repE0EEENS1_30default_config_static_selectorELNS0_4arch9wavefront6targetE1EEEvSL_
                                        ; -- End function
	.section	.AMDGPU.csdata,"",@progbits
; Kernel info:
; codeLenInByte = 0
; NumSgprs: 4
; NumVgprs: 0
; NumAgprs: 0
; TotalNumVgprs: 0
; ScratchSize: 0
; MemoryBound: 0
; FloatMode: 240
; IeeeMode: 1
; LDSByteSize: 0 bytes/workgroup (compile time only)
; SGPRBlocks: 0
; VGPRBlocks: 0
; NumSGPRsForWavesPerEU: 4
; NumVGPRsForWavesPerEU: 1
; AccumOffset: 4
; Occupancy: 8
; WaveLimiterHint : 0
; COMPUTE_PGM_RSRC2:SCRATCH_EN: 0
; COMPUTE_PGM_RSRC2:USER_SGPR: 6
; COMPUTE_PGM_RSRC2:TRAP_HANDLER: 0
; COMPUTE_PGM_RSRC2:TGID_X_EN: 1
; COMPUTE_PGM_RSRC2:TGID_Y_EN: 0
; COMPUTE_PGM_RSRC2:TGID_Z_EN: 0
; COMPUTE_PGM_RSRC2:TIDIG_COMP_CNT: 0
; COMPUTE_PGM_RSRC3_GFX90A:ACCUM_OFFSET: 0
; COMPUTE_PGM_RSRC3_GFX90A:TG_SPLIT: 0
	.section	.text._ZN7rocprim17ROCPRIM_400000_NS6detail17trampoline_kernelINS0_14default_configENS1_22reduce_config_selectorIiEEZNS1_11reduce_implILb1ES3_N6thrust23THRUST_200600_302600_NS11hip_rocprim35transform_pair_of_input_iterators_tIiPhSB_NS8_12not_equal_toIhEEEEPiiNS8_4plusIiEEEE10hipError_tPvRmT1_T2_T3_mT4_P12ihipStream_tbEUlT_E1_NS1_11comp_targetILNS1_3genE0ELNS1_11target_archE4294967295ELNS1_3gpuE0ELNS1_3repE0EEENS1_30default_config_static_selectorELNS0_4arch9wavefront6targetE1EEEvSL_,"axG",@progbits,_ZN7rocprim17ROCPRIM_400000_NS6detail17trampoline_kernelINS0_14default_configENS1_22reduce_config_selectorIiEEZNS1_11reduce_implILb1ES3_N6thrust23THRUST_200600_302600_NS11hip_rocprim35transform_pair_of_input_iterators_tIiPhSB_NS8_12not_equal_toIhEEEEPiiNS8_4plusIiEEEE10hipError_tPvRmT1_T2_T3_mT4_P12ihipStream_tbEUlT_E1_NS1_11comp_targetILNS1_3genE0ELNS1_11target_archE4294967295ELNS1_3gpuE0ELNS1_3repE0EEENS1_30default_config_static_selectorELNS0_4arch9wavefront6targetE1EEEvSL_,comdat
	.protected	_ZN7rocprim17ROCPRIM_400000_NS6detail17trampoline_kernelINS0_14default_configENS1_22reduce_config_selectorIiEEZNS1_11reduce_implILb1ES3_N6thrust23THRUST_200600_302600_NS11hip_rocprim35transform_pair_of_input_iterators_tIiPhSB_NS8_12not_equal_toIhEEEEPiiNS8_4plusIiEEEE10hipError_tPvRmT1_T2_T3_mT4_P12ihipStream_tbEUlT_E1_NS1_11comp_targetILNS1_3genE0ELNS1_11target_archE4294967295ELNS1_3gpuE0ELNS1_3repE0EEENS1_30default_config_static_selectorELNS0_4arch9wavefront6targetE1EEEvSL_ ; -- Begin function _ZN7rocprim17ROCPRIM_400000_NS6detail17trampoline_kernelINS0_14default_configENS1_22reduce_config_selectorIiEEZNS1_11reduce_implILb1ES3_N6thrust23THRUST_200600_302600_NS11hip_rocprim35transform_pair_of_input_iterators_tIiPhSB_NS8_12not_equal_toIhEEEEPiiNS8_4plusIiEEEE10hipError_tPvRmT1_T2_T3_mT4_P12ihipStream_tbEUlT_E1_NS1_11comp_targetILNS1_3genE0ELNS1_11target_archE4294967295ELNS1_3gpuE0ELNS1_3repE0EEENS1_30default_config_static_selectorELNS0_4arch9wavefront6targetE1EEEvSL_
	.globl	_ZN7rocprim17ROCPRIM_400000_NS6detail17trampoline_kernelINS0_14default_configENS1_22reduce_config_selectorIiEEZNS1_11reduce_implILb1ES3_N6thrust23THRUST_200600_302600_NS11hip_rocprim35transform_pair_of_input_iterators_tIiPhSB_NS8_12not_equal_toIhEEEEPiiNS8_4plusIiEEEE10hipError_tPvRmT1_T2_T3_mT4_P12ihipStream_tbEUlT_E1_NS1_11comp_targetILNS1_3genE0ELNS1_11target_archE4294967295ELNS1_3gpuE0ELNS1_3repE0EEENS1_30default_config_static_selectorELNS0_4arch9wavefront6targetE1EEEvSL_
	.p2align	8
	.type	_ZN7rocprim17ROCPRIM_400000_NS6detail17trampoline_kernelINS0_14default_configENS1_22reduce_config_selectorIiEEZNS1_11reduce_implILb1ES3_N6thrust23THRUST_200600_302600_NS11hip_rocprim35transform_pair_of_input_iterators_tIiPhSB_NS8_12not_equal_toIhEEEEPiiNS8_4plusIiEEEE10hipError_tPvRmT1_T2_T3_mT4_P12ihipStream_tbEUlT_E1_NS1_11comp_targetILNS1_3genE0ELNS1_11target_archE4294967295ELNS1_3gpuE0ELNS1_3repE0EEENS1_30default_config_static_selectorELNS0_4arch9wavefront6targetE1EEEvSL_,@function
_ZN7rocprim17ROCPRIM_400000_NS6detail17trampoline_kernelINS0_14default_configENS1_22reduce_config_selectorIiEEZNS1_11reduce_implILb1ES3_N6thrust23THRUST_200600_302600_NS11hip_rocprim35transform_pair_of_input_iterators_tIiPhSB_NS8_12not_equal_toIhEEEEPiiNS8_4plusIiEEEE10hipError_tPvRmT1_T2_T3_mT4_P12ihipStream_tbEUlT_E1_NS1_11comp_targetILNS1_3genE0ELNS1_11target_archE4294967295ELNS1_3gpuE0ELNS1_3repE0EEENS1_30default_config_static_selectorELNS0_4arch9wavefront6targetE1EEEvSL_: ; @_ZN7rocprim17ROCPRIM_400000_NS6detail17trampoline_kernelINS0_14default_configENS1_22reduce_config_selectorIiEEZNS1_11reduce_implILb1ES3_N6thrust23THRUST_200600_302600_NS11hip_rocprim35transform_pair_of_input_iterators_tIiPhSB_NS8_12not_equal_toIhEEEEPiiNS8_4plusIiEEEE10hipError_tPvRmT1_T2_T3_mT4_P12ihipStream_tbEUlT_E1_NS1_11comp_targetILNS1_3genE0ELNS1_11target_archE4294967295ELNS1_3gpuE0ELNS1_3repE0EEENS1_30default_config_static_selectorELNS0_4arch9wavefront6targetE1EEEvSL_
; %bb.0:
	.section	.rodata,"a",@progbits
	.p2align	6, 0x0
	.amdhsa_kernel _ZN7rocprim17ROCPRIM_400000_NS6detail17trampoline_kernelINS0_14default_configENS1_22reduce_config_selectorIiEEZNS1_11reduce_implILb1ES3_N6thrust23THRUST_200600_302600_NS11hip_rocprim35transform_pair_of_input_iterators_tIiPhSB_NS8_12not_equal_toIhEEEEPiiNS8_4plusIiEEEE10hipError_tPvRmT1_T2_T3_mT4_P12ihipStream_tbEUlT_E1_NS1_11comp_targetILNS1_3genE0ELNS1_11target_archE4294967295ELNS1_3gpuE0ELNS1_3repE0EEENS1_30default_config_static_selectorELNS0_4arch9wavefront6targetE1EEEvSL_
		.amdhsa_group_segment_fixed_size 0
		.amdhsa_private_segment_fixed_size 0
		.amdhsa_kernarg_size 56
		.amdhsa_user_sgpr_count 6
		.amdhsa_user_sgpr_private_segment_buffer 1
		.amdhsa_user_sgpr_dispatch_ptr 0
		.amdhsa_user_sgpr_queue_ptr 0
		.amdhsa_user_sgpr_kernarg_segment_ptr 1
		.amdhsa_user_sgpr_dispatch_id 0
		.amdhsa_user_sgpr_flat_scratch_init 0
		.amdhsa_user_sgpr_kernarg_preload_length 0
		.amdhsa_user_sgpr_kernarg_preload_offset 0
		.amdhsa_user_sgpr_private_segment_size 0
		.amdhsa_uses_dynamic_stack 0
		.amdhsa_system_sgpr_private_segment_wavefront_offset 0
		.amdhsa_system_sgpr_workgroup_id_x 1
		.amdhsa_system_sgpr_workgroup_id_y 0
		.amdhsa_system_sgpr_workgroup_id_z 0
		.amdhsa_system_sgpr_workgroup_info 0
		.amdhsa_system_vgpr_workitem_id 0
		.amdhsa_next_free_vgpr 1
		.amdhsa_next_free_sgpr 0
		.amdhsa_accum_offset 4
		.amdhsa_reserve_vcc 0
		.amdhsa_reserve_flat_scratch 0
		.amdhsa_float_round_mode_32 0
		.amdhsa_float_round_mode_16_64 0
		.amdhsa_float_denorm_mode_32 3
		.amdhsa_float_denorm_mode_16_64 3
		.amdhsa_dx10_clamp 1
		.amdhsa_ieee_mode 1
		.amdhsa_fp16_overflow 0
		.amdhsa_tg_split 0
		.amdhsa_exception_fp_ieee_invalid_op 0
		.amdhsa_exception_fp_denorm_src 0
		.amdhsa_exception_fp_ieee_div_zero 0
		.amdhsa_exception_fp_ieee_overflow 0
		.amdhsa_exception_fp_ieee_underflow 0
		.amdhsa_exception_fp_ieee_inexact 0
		.amdhsa_exception_int_div_zero 0
	.end_amdhsa_kernel
	.section	.text._ZN7rocprim17ROCPRIM_400000_NS6detail17trampoline_kernelINS0_14default_configENS1_22reduce_config_selectorIiEEZNS1_11reduce_implILb1ES3_N6thrust23THRUST_200600_302600_NS11hip_rocprim35transform_pair_of_input_iterators_tIiPhSB_NS8_12not_equal_toIhEEEEPiiNS8_4plusIiEEEE10hipError_tPvRmT1_T2_T3_mT4_P12ihipStream_tbEUlT_E1_NS1_11comp_targetILNS1_3genE0ELNS1_11target_archE4294967295ELNS1_3gpuE0ELNS1_3repE0EEENS1_30default_config_static_selectorELNS0_4arch9wavefront6targetE1EEEvSL_,"axG",@progbits,_ZN7rocprim17ROCPRIM_400000_NS6detail17trampoline_kernelINS0_14default_configENS1_22reduce_config_selectorIiEEZNS1_11reduce_implILb1ES3_N6thrust23THRUST_200600_302600_NS11hip_rocprim35transform_pair_of_input_iterators_tIiPhSB_NS8_12not_equal_toIhEEEEPiiNS8_4plusIiEEEE10hipError_tPvRmT1_T2_T3_mT4_P12ihipStream_tbEUlT_E1_NS1_11comp_targetILNS1_3genE0ELNS1_11target_archE4294967295ELNS1_3gpuE0ELNS1_3repE0EEENS1_30default_config_static_selectorELNS0_4arch9wavefront6targetE1EEEvSL_,comdat
.Lfunc_end345:
	.size	_ZN7rocprim17ROCPRIM_400000_NS6detail17trampoline_kernelINS0_14default_configENS1_22reduce_config_selectorIiEEZNS1_11reduce_implILb1ES3_N6thrust23THRUST_200600_302600_NS11hip_rocprim35transform_pair_of_input_iterators_tIiPhSB_NS8_12not_equal_toIhEEEEPiiNS8_4plusIiEEEE10hipError_tPvRmT1_T2_T3_mT4_P12ihipStream_tbEUlT_E1_NS1_11comp_targetILNS1_3genE0ELNS1_11target_archE4294967295ELNS1_3gpuE0ELNS1_3repE0EEENS1_30default_config_static_selectorELNS0_4arch9wavefront6targetE1EEEvSL_, .Lfunc_end345-_ZN7rocprim17ROCPRIM_400000_NS6detail17trampoline_kernelINS0_14default_configENS1_22reduce_config_selectorIiEEZNS1_11reduce_implILb1ES3_N6thrust23THRUST_200600_302600_NS11hip_rocprim35transform_pair_of_input_iterators_tIiPhSB_NS8_12not_equal_toIhEEEEPiiNS8_4plusIiEEEE10hipError_tPvRmT1_T2_T3_mT4_P12ihipStream_tbEUlT_E1_NS1_11comp_targetILNS1_3genE0ELNS1_11target_archE4294967295ELNS1_3gpuE0ELNS1_3repE0EEENS1_30default_config_static_selectorELNS0_4arch9wavefront6targetE1EEEvSL_
                                        ; -- End function
	.section	.AMDGPU.csdata,"",@progbits
; Kernel info:
; codeLenInByte = 0
; NumSgprs: 4
; NumVgprs: 0
; NumAgprs: 0
; TotalNumVgprs: 0
; ScratchSize: 0
; MemoryBound: 0
; FloatMode: 240
; IeeeMode: 1
; LDSByteSize: 0 bytes/workgroup (compile time only)
; SGPRBlocks: 0
; VGPRBlocks: 0
; NumSGPRsForWavesPerEU: 4
; NumVGPRsForWavesPerEU: 1
; AccumOffset: 4
; Occupancy: 8
; WaveLimiterHint : 0
; COMPUTE_PGM_RSRC2:SCRATCH_EN: 0
; COMPUTE_PGM_RSRC2:USER_SGPR: 6
; COMPUTE_PGM_RSRC2:TRAP_HANDLER: 0
; COMPUTE_PGM_RSRC2:TGID_X_EN: 1
; COMPUTE_PGM_RSRC2:TGID_Y_EN: 0
; COMPUTE_PGM_RSRC2:TGID_Z_EN: 0
; COMPUTE_PGM_RSRC2:TIDIG_COMP_CNT: 0
; COMPUTE_PGM_RSRC3_GFX90A:ACCUM_OFFSET: 0
; COMPUTE_PGM_RSRC3_GFX90A:TG_SPLIT: 0
	.section	.text._ZN7rocprim17ROCPRIM_400000_NS6detail17trampoline_kernelINS0_14default_configENS1_22reduce_config_selectorIiEEZNS1_11reduce_implILb1ES3_N6thrust23THRUST_200600_302600_NS11hip_rocprim35transform_pair_of_input_iterators_tIiPhSB_NS8_12not_equal_toIhEEEEPiiNS8_4plusIiEEEE10hipError_tPvRmT1_T2_T3_mT4_P12ihipStream_tbEUlT_E1_NS1_11comp_targetILNS1_3genE5ELNS1_11target_archE942ELNS1_3gpuE9ELNS1_3repE0EEENS1_30default_config_static_selectorELNS0_4arch9wavefront6targetE1EEEvSL_,"axG",@progbits,_ZN7rocprim17ROCPRIM_400000_NS6detail17trampoline_kernelINS0_14default_configENS1_22reduce_config_selectorIiEEZNS1_11reduce_implILb1ES3_N6thrust23THRUST_200600_302600_NS11hip_rocprim35transform_pair_of_input_iterators_tIiPhSB_NS8_12not_equal_toIhEEEEPiiNS8_4plusIiEEEE10hipError_tPvRmT1_T2_T3_mT4_P12ihipStream_tbEUlT_E1_NS1_11comp_targetILNS1_3genE5ELNS1_11target_archE942ELNS1_3gpuE9ELNS1_3repE0EEENS1_30default_config_static_selectorELNS0_4arch9wavefront6targetE1EEEvSL_,comdat
	.protected	_ZN7rocprim17ROCPRIM_400000_NS6detail17trampoline_kernelINS0_14default_configENS1_22reduce_config_selectorIiEEZNS1_11reduce_implILb1ES3_N6thrust23THRUST_200600_302600_NS11hip_rocprim35transform_pair_of_input_iterators_tIiPhSB_NS8_12not_equal_toIhEEEEPiiNS8_4plusIiEEEE10hipError_tPvRmT1_T2_T3_mT4_P12ihipStream_tbEUlT_E1_NS1_11comp_targetILNS1_3genE5ELNS1_11target_archE942ELNS1_3gpuE9ELNS1_3repE0EEENS1_30default_config_static_selectorELNS0_4arch9wavefront6targetE1EEEvSL_ ; -- Begin function _ZN7rocprim17ROCPRIM_400000_NS6detail17trampoline_kernelINS0_14default_configENS1_22reduce_config_selectorIiEEZNS1_11reduce_implILb1ES3_N6thrust23THRUST_200600_302600_NS11hip_rocprim35transform_pair_of_input_iterators_tIiPhSB_NS8_12not_equal_toIhEEEEPiiNS8_4plusIiEEEE10hipError_tPvRmT1_T2_T3_mT4_P12ihipStream_tbEUlT_E1_NS1_11comp_targetILNS1_3genE5ELNS1_11target_archE942ELNS1_3gpuE9ELNS1_3repE0EEENS1_30default_config_static_selectorELNS0_4arch9wavefront6targetE1EEEvSL_
	.globl	_ZN7rocprim17ROCPRIM_400000_NS6detail17trampoline_kernelINS0_14default_configENS1_22reduce_config_selectorIiEEZNS1_11reduce_implILb1ES3_N6thrust23THRUST_200600_302600_NS11hip_rocprim35transform_pair_of_input_iterators_tIiPhSB_NS8_12not_equal_toIhEEEEPiiNS8_4plusIiEEEE10hipError_tPvRmT1_T2_T3_mT4_P12ihipStream_tbEUlT_E1_NS1_11comp_targetILNS1_3genE5ELNS1_11target_archE942ELNS1_3gpuE9ELNS1_3repE0EEENS1_30default_config_static_selectorELNS0_4arch9wavefront6targetE1EEEvSL_
	.p2align	8
	.type	_ZN7rocprim17ROCPRIM_400000_NS6detail17trampoline_kernelINS0_14default_configENS1_22reduce_config_selectorIiEEZNS1_11reduce_implILb1ES3_N6thrust23THRUST_200600_302600_NS11hip_rocprim35transform_pair_of_input_iterators_tIiPhSB_NS8_12not_equal_toIhEEEEPiiNS8_4plusIiEEEE10hipError_tPvRmT1_T2_T3_mT4_P12ihipStream_tbEUlT_E1_NS1_11comp_targetILNS1_3genE5ELNS1_11target_archE942ELNS1_3gpuE9ELNS1_3repE0EEENS1_30default_config_static_selectorELNS0_4arch9wavefront6targetE1EEEvSL_,@function
_ZN7rocprim17ROCPRIM_400000_NS6detail17trampoline_kernelINS0_14default_configENS1_22reduce_config_selectorIiEEZNS1_11reduce_implILb1ES3_N6thrust23THRUST_200600_302600_NS11hip_rocprim35transform_pair_of_input_iterators_tIiPhSB_NS8_12not_equal_toIhEEEEPiiNS8_4plusIiEEEE10hipError_tPvRmT1_T2_T3_mT4_P12ihipStream_tbEUlT_E1_NS1_11comp_targetILNS1_3genE5ELNS1_11target_archE942ELNS1_3gpuE9ELNS1_3repE0EEENS1_30default_config_static_selectorELNS0_4arch9wavefront6targetE1EEEvSL_: ; @_ZN7rocprim17ROCPRIM_400000_NS6detail17trampoline_kernelINS0_14default_configENS1_22reduce_config_selectorIiEEZNS1_11reduce_implILb1ES3_N6thrust23THRUST_200600_302600_NS11hip_rocprim35transform_pair_of_input_iterators_tIiPhSB_NS8_12not_equal_toIhEEEEPiiNS8_4plusIiEEEE10hipError_tPvRmT1_T2_T3_mT4_P12ihipStream_tbEUlT_E1_NS1_11comp_targetILNS1_3genE5ELNS1_11target_archE942ELNS1_3gpuE9ELNS1_3repE0EEENS1_30default_config_static_selectorELNS0_4arch9wavefront6targetE1EEEvSL_
; %bb.0:
	.section	.rodata,"a",@progbits
	.p2align	6, 0x0
	.amdhsa_kernel _ZN7rocprim17ROCPRIM_400000_NS6detail17trampoline_kernelINS0_14default_configENS1_22reduce_config_selectorIiEEZNS1_11reduce_implILb1ES3_N6thrust23THRUST_200600_302600_NS11hip_rocprim35transform_pair_of_input_iterators_tIiPhSB_NS8_12not_equal_toIhEEEEPiiNS8_4plusIiEEEE10hipError_tPvRmT1_T2_T3_mT4_P12ihipStream_tbEUlT_E1_NS1_11comp_targetILNS1_3genE5ELNS1_11target_archE942ELNS1_3gpuE9ELNS1_3repE0EEENS1_30default_config_static_selectorELNS0_4arch9wavefront6targetE1EEEvSL_
		.amdhsa_group_segment_fixed_size 0
		.amdhsa_private_segment_fixed_size 0
		.amdhsa_kernarg_size 56
		.amdhsa_user_sgpr_count 6
		.amdhsa_user_sgpr_private_segment_buffer 1
		.amdhsa_user_sgpr_dispatch_ptr 0
		.amdhsa_user_sgpr_queue_ptr 0
		.amdhsa_user_sgpr_kernarg_segment_ptr 1
		.amdhsa_user_sgpr_dispatch_id 0
		.amdhsa_user_sgpr_flat_scratch_init 0
		.amdhsa_user_sgpr_kernarg_preload_length 0
		.amdhsa_user_sgpr_kernarg_preload_offset 0
		.amdhsa_user_sgpr_private_segment_size 0
		.amdhsa_uses_dynamic_stack 0
		.amdhsa_system_sgpr_private_segment_wavefront_offset 0
		.amdhsa_system_sgpr_workgroup_id_x 1
		.amdhsa_system_sgpr_workgroup_id_y 0
		.amdhsa_system_sgpr_workgroup_id_z 0
		.amdhsa_system_sgpr_workgroup_info 0
		.amdhsa_system_vgpr_workitem_id 0
		.amdhsa_next_free_vgpr 1
		.amdhsa_next_free_sgpr 0
		.amdhsa_accum_offset 4
		.amdhsa_reserve_vcc 0
		.amdhsa_reserve_flat_scratch 0
		.amdhsa_float_round_mode_32 0
		.amdhsa_float_round_mode_16_64 0
		.amdhsa_float_denorm_mode_32 3
		.amdhsa_float_denorm_mode_16_64 3
		.amdhsa_dx10_clamp 1
		.amdhsa_ieee_mode 1
		.amdhsa_fp16_overflow 0
		.amdhsa_tg_split 0
		.amdhsa_exception_fp_ieee_invalid_op 0
		.amdhsa_exception_fp_denorm_src 0
		.amdhsa_exception_fp_ieee_div_zero 0
		.amdhsa_exception_fp_ieee_overflow 0
		.amdhsa_exception_fp_ieee_underflow 0
		.amdhsa_exception_fp_ieee_inexact 0
		.amdhsa_exception_int_div_zero 0
	.end_amdhsa_kernel
	.section	.text._ZN7rocprim17ROCPRIM_400000_NS6detail17trampoline_kernelINS0_14default_configENS1_22reduce_config_selectorIiEEZNS1_11reduce_implILb1ES3_N6thrust23THRUST_200600_302600_NS11hip_rocprim35transform_pair_of_input_iterators_tIiPhSB_NS8_12not_equal_toIhEEEEPiiNS8_4plusIiEEEE10hipError_tPvRmT1_T2_T3_mT4_P12ihipStream_tbEUlT_E1_NS1_11comp_targetILNS1_3genE5ELNS1_11target_archE942ELNS1_3gpuE9ELNS1_3repE0EEENS1_30default_config_static_selectorELNS0_4arch9wavefront6targetE1EEEvSL_,"axG",@progbits,_ZN7rocprim17ROCPRIM_400000_NS6detail17trampoline_kernelINS0_14default_configENS1_22reduce_config_selectorIiEEZNS1_11reduce_implILb1ES3_N6thrust23THRUST_200600_302600_NS11hip_rocprim35transform_pair_of_input_iterators_tIiPhSB_NS8_12not_equal_toIhEEEEPiiNS8_4plusIiEEEE10hipError_tPvRmT1_T2_T3_mT4_P12ihipStream_tbEUlT_E1_NS1_11comp_targetILNS1_3genE5ELNS1_11target_archE942ELNS1_3gpuE9ELNS1_3repE0EEENS1_30default_config_static_selectorELNS0_4arch9wavefront6targetE1EEEvSL_,comdat
.Lfunc_end346:
	.size	_ZN7rocprim17ROCPRIM_400000_NS6detail17trampoline_kernelINS0_14default_configENS1_22reduce_config_selectorIiEEZNS1_11reduce_implILb1ES3_N6thrust23THRUST_200600_302600_NS11hip_rocprim35transform_pair_of_input_iterators_tIiPhSB_NS8_12not_equal_toIhEEEEPiiNS8_4plusIiEEEE10hipError_tPvRmT1_T2_T3_mT4_P12ihipStream_tbEUlT_E1_NS1_11comp_targetILNS1_3genE5ELNS1_11target_archE942ELNS1_3gpuE9ELNS1_3repE0EEENS1_30default_config_static_selectorELNS0_4arch9wavefront6targetE1EEEvSL_, .Lfunc_end346-_ZN7rocprim17ROCPRIM_400000_NS6detail17trampoline_kernelINS0_14default_configENS1_22reduce_config_selectorIiEEZNS1_11reduce_implILb1ES3_N6thrust23THRUST_200600_302600_NS11hip_rocprim35transform_pair_of_input_iterators_tIiPhSB_NS8_12not_equal_toIhEEEEPiiNS8_4plusIiEEEE10hipError_tPvRmT1_T2_T3_mT4_P12ihipStream_tbEUlT_E1_NS1_11comp_targetILNS1_3genE5ELNS1_11target_archE942ELNS1_3gpuE9ELNS1_3repE0EEENS1_30default_config_static_selectorELNS0_4arch9wavefront6targetE1EEEvSL_
                                        ; -- End function
	.section	.AMDGPU.csdata,"",@progbits
; Kernel info:
; codeLenInByte = 0
; NumSgprs: 4
; NumVgprs: 0
; NumAgprs: 0
; TotalNumVgprs: 0
; ScratchSize: 0
; MemoryBound: 0
; FloatMode: 240
; IeeeMode: 1
; LDSByteSize: 0 bytes/workgroup (compile time only)
; SGPRBlocks: 0
; VGPRBlocks: 0
; NumSGPRsForWavesPerEU: 4
; NumVGPRsForWavesPerEU: 1
; AccumOffset: 4
; Occupancy: 8
; WaveLimiterHint : 0
; COMPUTE_PGM_RSRC2:SCRATCH_EN: 0
; COMPUTE_PGM_RSRC2:USER_SGPR: 6
; COMPUTE_PGM_RSRC2:TRAP_HANDLER: 0
; COMPUTE_PGM_RSRC2:TGID_X_EN: 1
; COMPUTE_PGM_RSRC2:TGID_Y_EN: 0
; COMPUTE_PGM_RSRC2:TGID_Z_EN: 0
; COMPUTE_PGM_RSRC2:TIDIG_COMP_CNT: 0
; COMPUTE_PGM_RSRC3_GFX90A:ACCUM_OFFSET: 0
; COMPUTE_PGM_RSRC3_GFX90A:TG_SPLIT: 0
	.section	.text._ZN7rocprim17ROCPRIM_400000_NS6detail17trampoline_kernelINS0_14default_configENS1_22reduce_config_selectorIiEEZNS1_11reduce_implILb1ES3_N6thrust23THRUST_200600_302600_NS11hip_rocprim35transform_pair_of_input_iterators_tIiPhSB_NS8_12not_equal_toIhEEEEPiiNS8_4plusIiEEEE10hipError_tPvRmT1_T2_T3_mT4_P12ihipStream_tbEUlT_E1_NS1_11comp_targetILNS1_3genE4ELNS1_11target_archE910ELNS1_3gpuE8ELNS1_3repE0EEENS1_30default_config_static_selectorELNS0_4arch9wavefront6targetE1EEEvSL_,"axG",@progbits,_ZN7rocprim17ROCPRIM_400000_NS6detail17trampoline_kernelINS0_14default_configENS1_22reduce_config_selectorIiEEZNS1_11reduce_implILb1ES3_N6thrust23THRUST_200600_302600_NS11hip_rocprim35transform_pair_of_input_iterators_tIiPhSB_NS8_12not_equal_toIhEEEEPiiNS8_4plusIiEEEE10hipError_tPvRmT1_T2_T3_mT4_P12ihipStream_tbEUlT_E1_NS1_11comp_targetILNS1_3genE4ELNS1_11target_archE910ELNS1_3gpuE8ELNS1_3repE0EEENS1_30default_config_static_selectorELNS0_4arch9wavefront6targetE1EEEvSL_,comdat
	.protected	_ZN7rocprim17ROCPRIM_400000_NS6detail17trampoline_kernelINS0_14default_configENS1_22reduce_config_selectorIiEEZNS1_11reduce_implILb1ES3_N6thrust23THRUST_200600_302600_NS11hip_rocprim35transform_pair_of_input_iterators_tIiPhSB_NS8_12not_equal_toIhEEEEPiiNS8_4plusIiEEEE10hipError_tPvRmT1_T2_T3_mT4_P12ihipStream_tbEUlT_E1_NS1_11comp_targetILNS1_3genE4ELNS1_11target_archE910ELNS1_3gpuE8ELNS1_3repE0EEENS1_30default_config_static_selectorELNS0_4arch9wavefront6targetE1EEEvSL_ ; -- Begin function _ZN7rocprim17ROCPRIM_400000_NS6detail17trampoline_kernelINS0_14default_configENS1_22reduce_config_selectorIiEEZNS1_11reduce_implILb1ES3_N6thrust23THRUST_200600_302600_NS11hip_rocprim35transform_pair_of_input_iterators_tIiPhSB_NS8_12not_equal_toIhEEEEPiiNS8_4plusIiEEEE10hipError_tPvRmT1_T2_T3_mT4_P12ihipStream_tbEUlT_E1_NS1_11comp_targetILNS1_3genE4ELNS1_11target_archE910ELNS1_3gpuE8ELNS1_3repE0EEENS1_30default_config_static_selectorELNS0_4arch9wavefront6targetE1EEEvSL_
	.globl	_ZN7rocprim17ROCPRIM_400000_NS6detail17trampoline_kernelINS0_14default_configENS1_22reduce_config_selectorIiEEZNS1_11reduce_implILb1ES3_N6thrust23THRUST_200600_302600_NS11hip_rocprim35transform_pair_of_input_iterators_tIiPhSB_NS8_12not_equal_toIhEEEEPiiNS8_4plusIiEEEE10hipError_tPvRmT1_T2_T3_mT4_P12ihipStream_tbEUlT_E1_NS1_11comp_targetILNS1_3genE4ELNS1_11target_archE910ELNS1_3gpuE8ELNS1_3repE0EEENS1_30default_config_static_selectorELNS0_4arch9wavefront6targetE1EEEvSL_
	.p2align	8
	.type	_ZN7rocprim17ROCPRIM_400000_NS6detail17trampoline_kernelINS0_14default_configENS1_22reduce_config_selectorIiEEZNS1_11reduce_implILb1ES3_N6thrust23THRUST_200600_302600_NS11hip_rocprim35transform_pair_of_input_iterators_tIiPhSB_NS8_12not_equal_toIhEEEEPiiNS8_4plusIiEEEE10hipError_tPvRmT1_T2_T3_mT4_P12ihipStream_tbEUlT_E1_NS1_11comp_targetILNS1_3genE4ELNS1_11target_archE910ELNS1_3gpuE8ELNS1_3repE0EEENS1_30default_config_static_selectorELNS0_4arch9wavefront6targetE1EEEvSL_,@function
_ZN7rocprim17ROCPRIM_400000_NS6detail17trampoline_kernelINS0_14default_configENS1_22reduce_config_selectorIiEEZNS1_11reduce_implILb1ES3_N6thrust23THRUST_200600_302600_NS11hip_rocprim35transform_pair_of_input_iterators_tIiPhSB_NS8_12not_equal_toIhEEEEPiiNS8_4plusIiEEEE10hipError_tPvRmT1_T2_T3_mT4_P12ihipStream_tbEUlT_E1_NS1_11comp_targetILNS1_3genE4ELNS1_11target_archE910ELNS1_3gpuE8ELNS1_3repE0EEENS1_30default_config_static_selectorELNS0_4arch9wavefront6targetE1EEEvSL_: ; @_ZN7rocprim17ROCPRIM_400000_NS6detail17trampoline_kernelINS0_14default_configENS1_22reduce_config_selectorIiEEZNS1_11reduce_implILb1ES3_N6thrust23THRUST_200600_302600_NS11hip_rocprim35transform_pair_of_input_iterators_tIiPhSB_NS8_12not_equal_toIhEEEEPiiNS8_4plusIiEEEE10hipError_tPvRmT1_T2_T3_mT4_P12ihipStream_tbEUlT_E1_NS1_11comp_targetILNS1_3genE4ELNS1_11target_archE910ELNS1_3gpuE8ELNS1_3repE0EEENS1_30default_config_static_selectorELNS0_4arch9wavefront6targetE1EEEvSL_
; %bb.0:
	s_load_dword s33, s[4:5], 0x4
	s_load_dwordx4 s[40:43], s[4:5], 0x8
	s_load_dwordx4 s[36:39], s[4:5], 0x20
	s_waitcnt lgkmcnt(0)
	s_cmp_lt_i32 s33, 8
	s_cbranch_scc1 .LBB347_11
; %bb.1:
	s_cmp_gt_i32 s33, 15
	s_cbranch_scc0 .LBB347_12
; %bb.2:
	s_cmp_gt_i32 s33, 31
	s_cbranch_scc0 .LBB347_13
; %bb.3:
	s_cmp_eq_u32 s33, 32
	s_mov_b64 s[8:9], 0
	s_cbranch_scc0 .LBB347_14
; %bb.4:
	s_lshl_b32 s14, s6, 12
	s_lshr_b64 s[0:1], s[36:37], 12
	s_add_u32 s10, s40, s14
	s_addc_u32 s11, s41, 0
	s_add_u32 s12, s42, s14
	s_mov_b32 s7, 0
	s_addc_u32 s13, s43, 0
	s_cmp_lg_u64 s[0:1], s[6:7]
	s_cbranch_scc0 .LBB347_23
; %bb.5:
	global_load_ubyte v1, v0, s[10:11]
	global_load_ubyte v2, v0, s[12:13]
	global_load_ubyte v3, v0, s[10:11] offset:512
	global_load_ubyte v4, v0, s[12:13] offset:512
	;; [unrolled: 1-line block ×57, first 2 shown]
	s_waitcnt vmcnt(57)
	v_cmp_ne_u16_e32 vcc, v1, v2
	global_load_ubyte v1, v0, s[12:13] offset:3456
	global_load_ubyte v2, v0, s[10:11] offset:3712
	s_waitcnt vmcnt(57)
	v_cmp_ne_u16_e64 s[0:1], v3, v4
	global_load_ubyte v3, v0, s[12:13] offset:3712
	global_load_ubyte v4, v0, s[10:11] offset:3968
	s_waitcnt vmcnt(57)
	v_cmp_ne_u16_e64 s[2:3], v5, v6
	global_load_ubyte v5, v0, s[12:13] offset:3968
	v_cndmask_b32_e64 v6, 0, 1, vcc
	s_waitcnt vmcnt(56)
	v_cmp_ne_u16_e32 vcc, v7, v8
	v_cndmask_b32_e64 v7, 0, 1, vcc
	s_waitcnt vmcnt(54)
	v_cmp_ne_u16_e32 vcc, v9, v10
	;; [unrolled: 3-line block ×14, first 2 shown]
	v_addc_co_u32_e32 v6, vcc, 0, v6, vcc
	s_waitcnt vmcnt(28)
	v_cmp_ne_u16_e32 vcc, v35, v36
	v_addc_co_u32_e32 v6, vcc, v6, v7, vcc
	v_cndmask_b32_e64 v8, 0, 1, s[0:1]
	s_waitcnt vmcnt(26)
	v_cmp_ne_u16_e32 vcc, v37, v38
	v_addc_co_u32_e32 v6, vcc, v6, v8, vcc
	s_waitcnt vmcnt(24)
	v_cmp_ne_u16_e32 vcc, v39, v40
	v_addc_co_u32_e32 v6, vcc, v6, v9, vcc
	v_cndmask_b32_e64 v10, 0, 1, s[2:3]
	s_waitcnt vmcnt(22)
	v_cmp_ne_u16_e32 vcc, v41, v42
	v_addc_co_u32_e32 v6, vcc, v6, v10, vcc
	s_waitcnt vmcnt(20)
	v_cmp_ne_u16_e32 vcc, v43, v44
	v_addc_co_u32_e32 v6, vcc, v6, v11, vcc
	;; [unrolled: 3-line block ×12, first 2 shown]
	v_mbcnt_lo_u32_b32 v2, -1, 0
	s_nop 0
	v_add_u32_dpp v1, v1, v1 quad_perm:[1,0,3,2] row_mask:0xf bank_mask:0xf bound_ctrl:1
	v_mbcnt_hi_u32_b32 v2, -1, v2
	v_lshlrev_b32_e32 v3, 2, v2
	v_add_u32_dpp v1, v1, v1 quad_perm:[2,3,0,1] row_mask:0xf bank_mask:0xf bound_ctrl:1
	v_or_b32_e32 v4, 0xfc, v3
	v_cmp_eq_u32_e32 vcc, 0, v2
	v_add_u32_dpp v1, v1, v1 row_ror:4 row_mask:0xf bank_mask:0xf bound_ctrl:1
	s_nop 1
	v_add_u32_dpp v1, v1, v1 row_ror:8 row_mask:0xf bank_mask:0xf bound_ctrl:1
	s_nop 1
	v_add_u32_dpp v1, v1, v1 row_bcast:15 row_mask:0xf bank_mask:0xf bound_ctrl:1
	s_nop 1
	v_add_u32_dpp v1, v1, v1 row_bcast:31 row_mask:0xf bank_mask:0xf bound_ctrl:1
	ds_bpermute_b32 v1, v4, v1
	s_and_saveexec_b64 s[0:1], vcc
	s_cbranch_execz .LBB347_7
; %bb.6:
	v_lshrrev_b32_e32 v4, 4, v0
	v_and_b32_e32 v4, 4, v4
	s_waitcnt lgkmcnt(0)
	ds_write_b32 v4, v1 offset:24
.LBB347_7:
	s_or_b64 exec, exec, s[0:1]
	v_cmp_gt_u32_e32 vcc, 64, v0
	s_waitcnt lgkmcnt(0)
	s_barrier
	s_and_saveexec_b64 s[0:1], vcc
	s_cbranch_execz .LBB347_9
; %bb.8:
	v_and_b32_e32 v1, 1, v2
	v_lshlrev_b32_e32 v1, 2, v1
	ds_read_b32 v1, v1 offset:24
	v_or_b32_e32 v2, 4, v3
	s_waitcnt lgkmcnt(0)
	ds_bpermute_b32 v2, v2, v1
	s_waitcnt lgkmcnt(0)
	v_add_u32_e32 v1, v2, v1
.LBB347_9:
	s_or_b64 exec, exec, s[0:1]
.LBB347_10:
	v_cmp_eq_u32_e64 s[0:1], 0, v0
	s_and_b64 vcc, exec, s[8:9]
	s_cbranch_vccnz .LBB347_15
	s_branch .LBB347_93
.LBB347_11:
	s_mov_b64 s[0:1], 0
                                        ; implicit-def: $vgpr1
	s_cbranch_execnz .LBB347_166
	s_branch .LBB347_224
.LBB347_12:
	s_mov_b64 s[0:1], 0
                                        ; implicit-def: $vgpr1
	s_cbranch_execnz .LBB347_134
	s_branch .LBB347_142
.LBB347_13:
	s_mov_b64 s[8:9], -1
.LBB347_14:
	s_mov_b64 s[0:1], 0
                                        ; implicit-def: $vgpr1
	s_and_b64 vcc, exec, s[8:9]
	s_cbranch_vccz .LBB347_93
.LBB347_15:
	s_cmp_eq_u32 s33, 16
	s_cbranch_scc0 .LBB347_22
; %bb.16:
	s_lshl_b32 s2, s6, 11
	s_lshr_b64 s[0:1], s[36:37], 11
	s_add_u32 s34, s40, s2
	s_addc_u32 s35, s41, 0
	s_add_u32 s44, s42, s2
	s_mov_b32 s7, 0
	s_addc_u32 s45, s43, 0
	s_cmp_lg_u64 s[0:1], s[6:7]
	s_cbranch_scc0 .LBB347_94
; %bb.17:
	global_load_ubyte v1, v0, s[34:35]
	global_load_ubyte v4, v0, s[44:45]
	global_load_ubyte v5, v0, s[34:35] offset:256
	global_load_ubyte v6, v0, s[44:45] offset:256
	;; [unrolled: 1-line block ×30, first 2 shown]
	v_mbcnt_lo_u32_b32 v2, -1, 0
	v_mbcnt_hi_u32_b32 v2, -1, v2
	v_lshlrev_b32_e32 v3, 2, v2
	s_waitcnt vmcnt(30)
	v_cmp_ne_u16_e32 vcc, v1, v4
	v_cndmask_b32_e64 v1, 0, 1, vcc
	s_waitcnt vmcnt(28)
	v_cmp_ne_u16_e32 vcc, v5, v6
	v_cndmask_b32_e64 v4, 0, 1, vcc
	;; [unrolled: 3-line block ×8, first 2 shown]
	s_waitcnt vmcnt(14)
	v_cmp_ne_u16_e32 vcc, v19, v20
	v_addc_co_u32_e32 v1, vcc, 0, v1, vcc
	s_waitcnt vmcnt(12)
	v_cmp_ne_u16_e32 vcc, v21, v22
	v_addc_co_u32_e32 v1, vcc, v1, v4, vcc
	s_waitcnt vmcnt(10)
	v_cmp_ne_u16_e32 vcc, v23, v24
	v_addc_co_u32_e32 v1, vcc, v1, v5, vcc
	s_waitcnt vmcnt(8)
	v_cmp_ne_u16_e32 vcc, v25, v26
	v_addc_co_u32_e32 v1, vcc, v1, v6, vcc
	s_waitcnt vmcnt(6)
	v_cmp_ne_u16_e32 vcc, v27, v28
	v_addc_co_u32_e32 v1, vcc, v1, v7, vcc
	s_waitcnt vmcnt(4)
	v_cmp_ne_u16_e32 vcc, v29, v30
	v_addc_co_u32_e32 v1, vcc, v1, v8, vcc
	s_waitcnt vmcnt(2)
	v_cmp_ne_u16_e32 vcc, v31, v32
	v_addc_co_u32_e32 v1, vcc, v1, v9, vcc
	s_waitcnt vmcnt(0)
	v_cmp_ne_u16_e32 vcc, v33, v34
	v_addc_co_u32_e32 v1, vcc, v1, v10, vcc
	v_or_b32_e32 v4, 0xfc, v3
	s_nop 0
	v_add_u32_dpp v1, v1, v1 quad_perm:[1,0,3,2] row_mask:0xf bank_mask:0xf bound_ctrl:1
	v_cmp_eq_u32_e32 vcc, 0, v2
	s_nop 0
	v_add_u32_dpp v1, v1, v1 quad_perm:[2,3,0,1] row_mask:0xf bank_mask:0xf bound_ctrl:1
	s_nop 1
	v_add_u32_dpp v1, v1, v1 row_ror:4 row_mask:0xf bank_mask:0xf bound_ctrl:1
	s_nop 1
	v_add_u32_dpp v1, v1, v1 row_ror:8 row_mask:0xf bank_mask:0xf bound_ctrl:1
	s_nop 1
	v_add_u32_dpp v1, v1, v1 row_bcast:15 row_mask:0xf bank_mask:0xf bound_ctrl:1
	s_nop 1
	v_add_u32_dpp v1, v1, v1 row_bcast:31 row_mask:0xf bank_mask:0xf bound_ctrl:1
	ds_bpermute_b32 v1, v4, v1
	s_and_saveexec_b64 s[0:1], vcc
	s_cbranch_execz .LBB347_19
; %bb.18:
	v_lshrrev_b32_e32 v4, 4, v0
	v_and_b32_e32 v4, 4, v4
	s_waitcnt lgkmcnt(0)
	ds_write_b32 v4, v1
.LBB347_19:
	s_or_b64 exec, exec, s[0:1]
	v_cmp_gt_u32_e32 vcc, 64, v0
	s_waitcnt lgkmcnt(0)
	s_barrier
	s_and_saveexec_b64 s[0:1], vcc
	s_cbranch_execz .LBB347_21
; %bb.20:
	v_and_b32_e32 v1, 1, v2
	v_lshlrev_b32_e32 v1, 2, v1
	ds_read_b32 v1, v1
	v_or_b32_e32 v2, 4, v3
	s_waitcnt lgkmcnt(0)
	ds_bpermute_b32 v2, v2, v1
	s_waitcnt lgkmcnt(0)
	v_add_u32_e32 v1, v2, v1
.LBB347_21:
	s_or_b64 exec, exec, s[0:1]
	s_mov_b64 s[0:1], 0
	s_branch .LBB347_95
.LBB347_22:
                                        ; implicit-def: $vgpr1
	s_branch .LBB347_142
.LBB347_23:
                                        ; implicit-def: $vgpr1
	s_cbranch_execz .LBB347_10
; %bb.24:
	s_sub_i32 s2, s36, s14
	v_cmp_gt_u32_e32 vcc, s2, v0
                                        ; implicit-def: $vgpr1
	s_and_saveexec_b64 s[0:1], vcc
	s_cbranch_execz .LBB347_26
; %bb.25:
	global_load_ubyte v1, v0, s[10:11]
	global_load_ubyte v2, v0, s[12:13]
	s_waitcnt vmcnt(0)
	v_cmp_ne_u16_e32 vcc, v1, v2
	v_cndmask_b32_e64 v1, 0, 1, vcc
.LBB347_26:
	s_or_b64 exec, exec, s[0:1]
	v_or_b32_e32 v2, 0x80, v0
	v_cmp_gt_u32_e32 vcc, s2, v2
	v_mov_b32_e32 v2, 0
	v_mov_b32_e32 v3, 0
	s_and_saveexec_b64 s[0:1], vcc
	s_cbranch_execz .LBB347_28
; %bb.27:
	global_load_ubyte v3, v0, s[10:11] offset:128
	global_load_ubyte v4, v0, s[12:13] offset:128
	s_waitcnt vmcnt(0)
	v_cmp_ne_u16_e32 vcc, v3, v4
	v_cndmask_b32_e64 v3, 0, 1, vcc
.LBB347_28:
	s_or_b64 exec, exec, s[0:1]
	v_or_b32_e32 v4, 0x100, v0
	v_cmp_gt_u32_e32 vcc, s2, v4
	s_and_saveexec_b64 s[0:1], vcc
	s_cbranch_execz .LBB347_30
; %bb.29:
	global_load_ubyte v2, v0, s[10:11] offset:256
	global_load_ubyte v4, v0, s[12:13] offset:256
	s_waitcnt vmcnt(0)
	v_cmp_ne_u16_e32 vcc, v2, v4
	v_cndmask_b32_e64 v2, 0, 1, vcc
.LBB347_30:
	s_or_b64 exec, exec, s[0:1]
	v_or_b32_e32 v4, 0x180, v0
	v_cmp_gt_u32_e32 vcc, s2, v4
	v_mov_b32_e32 v4, 0
	v_mov_b32_e32 v5, 0
	s_and_saveexec_b64 s[0:1], vcc
	s_cbranch_execz .LBB347_32
; %bb.31:
	global_load_ubyte v5, v0, s[10:11] offset:384
	global_load_ubyte v6, v0, s[12:13] offset:384
	s_waitcnt vmcnt(0)
	v_cmp_ne_u16_e32 vcc, v5, v6
	v_cndmask_b32_e64 v5, 0, 1, vcc
.LBB347_32:
	s_or_b64 exec, exec, s[0:1]
	v_or_b32_e32 v6, 0x200, v0
	v_cmp_gt_u32_e32 vcc, s2, v6
	s_and_saveexec_b64 s[0:1], vcc
	s_cbranch_execz .LBB347_34
; %bb.33:
	global_load_ubyte v4, v0, s[10:11] offset:512
	global_load_ubyte v6, v0, s[12:13] offset:512
	s_waitcnt vmcnt(0)
	v_cmp_ne_u16_e32 vcc, v4, v6
	v_cndmask_b32_e64 v4, 0, 1, vcc
.LBB347_34:
	;; [unrolled: 26-line block ×15, first 2 shown]
	s_or_b64 exec, exec, s[0:1]
	v_or_b32_e32 v32, 0xf80, v0
	v_cmp_gt_u32_e32 vcc, s2, v32
	v_mov_b32_e32 v32, 0
	s_and_saveexec_b64 s[0:1], vcc
	s_cbranch_execz .LBB347_88
; %bb.87:
	global_load_ubyte v32, v0, s[10:11] offset:3968
	global_load_ubyte v33, v0, s[12:13] offset:3968
	s_waitcnt vmcnt(0)
	v_cmp_ne_u16_e32 vcc, v32, v33
	v_cndmask_b32_e64 v32, 0, 1, vcc
.LBB347_88:
	s_or_b64 exec, exec, s[0:1]
	v_add_u32_e32 v1, v3, v1
	v_add3_u32 v1, v1, v2, v5
	v_add3_u32 v1, v1, v4, v7
	;; [unrolled: 1-line block ×10, first 2 shown]
	v_mbcnt_lo_u32_b32 v2, -1, 0
	v_add3_u32 v1, v1, v22, v25
	v_mbcnt_hi_u32_b32 v2, -1, v2
	v_add3_u32 v1, v1, v24, v27
	v_and_b32_e32 v3, 63, v2
	v_add3_u32 v1, v1, v26, v29
	v_cmp_ne_u32_e32 vcc, 63, v3
	v_add3_u32 v1, v1, v28, v31
	v_addc_co_u32_e32 v4, vcc, 0, v2, vcc
	v_add3_u32 v1, v1, v30, v32
	v_lshlrev_b32_e32 v4, 2, v4
	ds_bpermute_b32 v4, v4, v1
	s_min_u32 s2, s2, 0x80
	v_and_b32_e32 v5, 64, v0
	v_sub_u32_e64 v5, s2, v5 clamp
	v_add_u32_e32 v6, 1, v3
	v_cmp_lt_u32_e32 vcc, v6, v5
	s_waitcnt lgkmcnt(0)
	v_cndmask_b32_e32 v4, 0, v4, vcc
	v_cmp_gt_u32_e32 vcc, 62, v3
	v_add_u32_e32 v1, v4, v1
	v_cndmask_b32_e64 v4, 0, 1, vcc
	v_lshlrev_b32_e32 v4, 1, v4
	v_add_lshl_u32 v4, v4, v2, 2
	ds_bpermute_b32 v4, v4, v1
	v_add_u32_e32 v6, 2, v3
	v_cmp_lt_u32_e32 vcc, v6, v5
	v_add_u32_e32 v6, 4, v3
	s_waitcnt lgkmcnt(0)
	v_cndmask_b32_e32 v4, 0, v4, vcc
	v_cmp_gt_u32_e32 vcc, 60, v3
	v_add_u32_e32 v1, v1, v4
	v_cndmask_b32_e64 v4, 0, 1, vcc
	v_lshlrev_b32_e32 v4, 2, v4
	v_add_lshl_u32 v4, v4, v2, 2
	ds_bpermute_b32 v4, v4, v1
	v_cmp_lt_u32_e32 vcc, v6, v5
	v_add_u32_e32 v6, 8, v3
	s_waitcnt lgkmcnt(0)
	v_cndmask_b32_e32 v4, 0, v4, vcc
	v_cmp_gt_u32_e32 vcc, 56, v3
	v_add_u32_e32 v1, v1, v4
	v_cndmask_b32_e64 v4, 0, 1, vcc
	v_lshlrev_b32_e32 v4, 3, v4
	v_add_lshl_u32 v4, v4, v2, 2
	ds_bpermute_b32 v4, v4, v1
	;; [unrolled: 10-line block ×3, first 2 shown]
	v_cmp_lt_u32_e32 vcc, v6, v5
	s_waitcnt lgkmcnt(0)
	v_cndmask_b32_e32 v4, 0, v4, vcc
	v_cmp_gt_u32_e32 vcc, 32, v3
	v_add_u32_e32 v1, v1, v4
	v_cndmask_b32_e64 v4, 0, 1, vcc
	v_lshlrev_b32_e32 v4, 5, v4
	v_add_lshl_u32 v4, v4, v2, 2
	ds_bpermute_b32 v4, v4, v1
	v_add_u32_e32 v3, 32, v3
	v_cmp_lt_u32_e32 vcc, v3, v5
	s_waitcnt lgkmcnt(0)
	v_cndmask_b32_e32 v3, 0, v4, vcc
	v_add_u32_e32 v1, v1, v3
	v_cmp_eq_u32_e32 vcc, 0, v2
	s_and_saveexec_b64 s[0:1], vcc
	s_cbranch_execz .LBB347_90
; %bb.89:
	v_lshrrev_b32_e32 v3, 4, v0
	v_and_b32_e32 v3, 4, v3
	ds_write_b32 v3, v1 offset:48
.LBB347_90:
	s_or_b64 exec, exec, s[0:1]
	v_cmp_gt_u32_e32 vcc, 2, v0
	s_waitcnt lgkmcnt(0)
	s_barrier
	s_and_saveexec_b64 s[0:1], vcc
	s_cbranch_execz .LBB347_92
; %bb.91:
	v_lshlrev_b32_e32 v1, 2, v2
	ds_read_b32 v3, v1 offset:48
	v_or_b32_e32 v1, 4, v1
	s_add_i32 s2, s2, 63
	v_and_b32_e32 v2, 1, v2
	s_lshr_b32 s2, s2, 6
	s_waitcnt lgkmcnt(0)
	ds_bpermute_b32 v1, v1, v3
	v_add_u32_e32 v2, 1, v2
	v_cmp_gt_u32_e32 vcc, s2, v2
	s_waitcnt lgkmcnt(0)
	v_cndmask_b32_e32 v1, 0, v1, vcc
	v_add_u32_e32 v1, v1, v3
.LBB347_92:
	s_or_b64 exec, exec, s[0:1]
	v_cmp_eq_u32_e64 s[0:1], 0, v0
	s_and_b64 vcc, exec, s[8:9]
	s_cbranch_vccnz .LBB347_15
.LBB347_93:
	s_branch .LBB347_142
.LBB347_94:
	s_mov_b64 s[0:1], -1
                                        ; implicit-def: $vgpr1
.LBB347_95:
	s_and_b64 vcc, exec, s[0:1]
	s_cbranch_vccz .LBB347_133
; %bb.96:
	s_sub_i32 s48, s36, s2
	v_cmp_gt_u32_e32 vcc, s48, v0
                                        ; implicit-def: $vgpr2_vgpr3_vgpr4_vgpr5_vgpr6_vgpr7_vgpr8_vgpr9_vgpr10_vgpr11_vgpr12_vgpr13_vgpr14_vgpr15_vgpr16_vgpr17
	s_and_saveexec_b64 s[0:1], vcc
	s_cbranch_execz .LBB347_98
; %bb.97:
	global_load_ubyte v1, v0, s[34:35]
	global_load_ubyte v2, v0, s[44:45]
	s_waitcnt vmcnt(0)
	v_cmp_ne_u16_e32 vcc, v1, v2
	v_cndmask_b32_e64 v2, 0, 1, vcc
.LBB347_98:
	s_or_b64 exec, exec, s[0:1]
	v_or_b32_e32 v1, 0x80, v0
	v_cmp_gt_u32_e32 vcc, s48, v1
	s_and_saveexec_b64 s[2:3], vcc
	s_cbranch_execz .LBB347_100
; %bb.99:
	global_load_ubyte v1, v0, s[34:35] offset:128
	global_load_ubyte v3, v0, s[44:45] offset:128
	s_waitcnt vmcnt(0)
	v_cmp_ne_u16_e64 s[0:1], v1, v3
	v_cndmask_b32_e64 v3, 0, 1, s[0:1]
.LBB347_100:
	s_or_b64 exec, exec, s[2:3]
	v_or_b32_e32 v1, 0x100, v0
	v_cmp_gt_u32_e64 s[0:1], s48, v1
	s_and_saveexec_b64 s[8:9], s[0:1]
	s_cbranch_execz .LBB347_102
; %bb.101:
	global_load_ubyte v1, v0, s[34:35] offset:256
	global_load_ubyte v4, v0, s[44:45] offset:256
	s_waitcnt vmcnt(0)
	v_cmp_ne_u16_e64 s[2:3], v1, v4
	v_cndmask_b32_e64 v4, 0, 1, s[2:3]
.LBB347_102:
	s_or_b64 exec, exec, s[8:9]
	v_or_b32_e32 v1, 0x180, v0
	v_cmp_gt_u32_e64 s[2:3], s48, v1
	s_and_saveexec_b64 s[10:11], s[2:3]
	;; [unrolled: 12-line block ×14, first 2 shown]
	s_cbranch_execz .LBB347_128
; %bb.127:
	global_load_ubyte v1, v0, s[34:35] offset:1920
	global_load_ubyte v17, v0, s[44:45] offset:1920
	s_waitcnt vmcnt(0)
	v_cmp_ne_u16_e64 s[34:35], v1, v17
	v_cndmask_b32_e64 v17, 0, 1, s[34:35]
.LBB347_128:
	s_or_b64 exec, exec, s[46:47]
	v_cndmask_b32_e32 v1, 0, v3, vcc
	v_add_u32_e32 v1, v1, v2
	v_cndmask_b32_e64 v2, 0, v4, s[0:1]
	v_cndmask_b32_e64 v3, 0, v5, s[2:3]
	v_add3_u32 v1, v1, v2, v3
	v_cndmask_b32_e64 v2, 0, v6, s[8:9]
	v_cndmask_b32_e64 v3, 0, v7, s[10:11]
	v_add3_u32 v1, v1, v2, v3
	;; [unrolled: 3-line block ×7, first 2 shown]
	v_mbcnt_lo_u32_b32 v2, -1, 0
	v_mbcnt_hi_u32_b32 v2, -1, v2
	v_and_b32_e32 v3, 63, v2
	v_cmp_ne_u32_e32 vcc, 63, v3
	v_addc_co_u32_e32 v4, vcc, 0, v2, vcc
	v_lshlrev_b32_e32 v4, 2, v4
	ds_bpermute_b32 v4, v4, v1
	s_min_u32 s2, s48, 0x80
	v_and_b32_e32 v5, 64, v0
	v_sub_u32_e64 v5, s2, v5 clamp
	v_add_u32_e32 v6, 1, v3
	v_cmp_lt_u32_e32 vcc, v6, v5
	s_waitcnt lgkmcnt(0)
	v_cndmask_b32_e32 v4, 0, v4, vcc
	v_cmp_gt_u32_e32 vcc, 62, v3
	v_add_u32_e32 v1, v1, v4
	v_cndmask_b32_e64 v4, 0, 1, vcc
	v_lshlrev_b32_e32 v4, 1, v4
	v_add_lshl_u32 v4, v4, v2, 2
	ds_bpermute_b32 v4, v4, v1
	v_add_u32_e32 v6, 2, v3
	v_cmp_lt_u32_e32 vcc, v6, v5
	v_add_u32_e32 v6, 4, v3
	s_waitcnt lgkmcnt(0)
	v_cndmask_b32_e32 v4, 0, v4, vcc
	v_cmp_gt_u32_e32 vcc, 60, v3
	v_add_u32_e32 v1, v1, v4
	v_cndmask_b32_e64 v4, 0, 1, vcc
	v_lshlrev_b32_e32 v4, 2, v4
	v_add_lshl_u32 v4, v4, v2, 2
	ds_bpermute_b32 v4, v4, v1
	v_cmp_lt_u32_e32 vcc, v6, v5
	v_add_u32_e32 v6, 8, v3
	s_waitcnt lgkmcnt(0)
	v_cndmask_b32_e32 v4, 0, v4, vcc
	v_cmp_gt_u32_e32 vcc, 56, v3
	v_add_u32_e32 v1, v1, v4
	v_cndmask_b32_e64 v4, 0, 1, vcc
	v_lshlrev_b32_e32 v4, 3, v4
	v_add_lshl_u32 v4, v4, v2, 2
	ds_bpermute_b32 v4, v4, v1
	;; [unrolled: 10-line block ×3, first 2 shown]
	v_cmp_lt_u32_e32 vcc, v6, v5
	s_waitcnt lgkmcnt(0)
	v_cndmask_b32_e32 v4, 0, v4, vcc
	v_cmp_gt_u32_e32 vcc, 32, v3
	v_add_u32_e32 v1, v1, v4
	v_cndmask_b32_e64 v4, 0, 1, vcc
	v_lshlrev_b32_e32 v4, 5, v4
	v_add_lshl_u32 v4, v4, v2, 2
	ds_bpermute_b32 v4, v4, v1
	v_add_u32_e32 v3, 32, v3
	v_cmp_lt_u32_e32 vcc, v3, v5
	s_waitcnt lgkmcnt(0)
	v_cndmask_b32_e32 v3, 0, v4, vcc
	v_add_u32_e32 v1, v1, v3
	v_cmp_eq_u32_e32 vcc, 0, v2
	s_and_saveexec_b64 s[0:1], vcc
	s_cbranch_execz .LBB347_130
; %bb.129:
	v_lshrrev_b32_e32 v3, 4, v0
	v_and_b32_e32 v3, 4, v3
	ds_write_b32 v3, v1 offset:48
.LBB347_130:
	s_or_b64 exec, exec, s[0:1]
	v_cmp_gt_u32_e32 vcc, 2, v0
	s_waitcnt lgkmcnt(0)
	s_barrier
	s_and_saveexec_b64 s[0:1], vcc
	s_cbranch_execz .LBB347_132
; %bb.131:
	v_lshlrev_b32_e32 v1, 2, v2
	ds_read_b32 v3, v1 offset:48
	v_or_b32_e32 v1, 4, v1
	s_add_i32 s2, s2, 63
	v_and_b32_e32 v2, 1, v2
	s_lshr_b32 s2, s2, 6
	s_waitcnt lgkmcnt(0)
	ds_bpermute_b32 v1, v1, v3
	v_add_u32_e32 v2, 1, v2
	v_cmp_gt_u32_e32 vcc, s2, v2
	s_waitcnt lgkmcnt(0)
	v_cndmask_b32_e32 v1, 0, v1, vcc
	v_add_u32_e32 v1, v1, v3
.LBB347_132:
	s_or_b64 exec, exec, s[0:1]
.LBB347_133:
	v_cmp_eq_u32_e64 s[0:1], 0, v0
	s_branch .LBB347_142
.LBB347_134:
	s_cmp_eq_u32 s33, 8
	s_cbranch_scc0 .LBB347_141
; %bb.135:
	s_lshl_b32 s2, s6, 10
	s_lshr_b64 s[0:1], s[36:37], 10
	s_add_u32 s16, s40, s2
	s_addc_u32 s17, s41, 0
	s_add_u32 s18, s42, s2
	s_mov_b32 s7, 0
	s_addc_u32 s19, s43, 0
	s_cmp_lg_u64 s[0:1], s[6:7]
	s_cbranch_scc0 .LBB347_143
; %bb.136:
	global_load_ubyte v1, v0, s[16:17]
	global_load_ubyte v4, v0, s[18:19]
	global_load_ubyte v5, v0, s[16:17] offset:256
	global_load_ubyte v6, v0, s[18:19] offset:256
	;; [unrolled: 1-line block ×14, first 2 shown]
	v_mbcnt_lo_u32_b32 v2, -1, 0
	v_mbcnt_hi_u32_b32 v2, -1, v2
	v_lshlrev_b32_e32 v3, 2, v2
	s_waitcnt vmcnt(14)
	v_cmp_ne_u16_e32 vcc, v1, v4
	v_cndmask_b32_e64 v1, 0, 1, vcc
	s_waitcnt vmcnt(12)
	v_cmp_ne_u16_e32 vcc, v5, v6
	v_cndmask_b32_e64 v4, 0, 1, vcc
	;; [unrolled: 3-line block ×4, first 2 shown]
	s_waitcnt vmcnt(6)
	v_cmp_ne_u16_e32 vcc, v11, v12
	v_addc_co_u32_e32 v1, vcc, 0, v1, vcc
	s_waitcnt vmcnt(4)
	v_cmp_ne_u16_e32 vcc, v13, v14
	v_addc_co_u32_e32 v1, vcc, v1, v4, vcc
	;; [unrolled: 3-line block ×4, first 2 shown]
	v_or_b32_e32 v4, 0xfc, v3
	s_nop 0
	v_add_u32_dpp v1, v1, v1 quad_perm:[1,0,3,2] row_mask:0xf bank_mask:0xf bound_ctrl:1
	v_cmp_eq_u32_e32 vcc, 0, v2
	s_nop 0
	v_add_u32_dpp v1, v1, v1 quad_perm:[2,3,0,1] row_mask:0xf bank_mask:0xf bound_ctrl:1
	s_nop 1
	v_add_u32_dpp v1, v1, v1 row_ror:4 row_mask:0xf bank_mask:0xf bound_ctrl:1
	s_nop 1
	v_add_u32_dpp v1, v1, v1 row_ror:8 row_mask:0xf bank_mask:0xf bound_ctrl:1
	s_nop 1
	v_add_u32_dpp v1, v1, v1 row_bcast:15 row_mask:0xf bank_mask:0xf bound_ctrl:1
	s_nop 1
	v_add_u32_dpp v1, v1, v1 row_bcast:31 row_mask:0xf bank_mask:0xf bound_ctrl:1
	ds_bpermute_b32 v1, v4, v1
	s_and_saveexec_b64 s[0:1], vcc
	s_cbranch_execz .LBB347_138
; %bb.137:
	v_lshrrev_b32_e32 v4, 4, v0
	v_and_b32_e32 v4, 4, v4
	s_waitcnt lgkmcnt(0)
	ds_write_b32 v4, v1 offset:40
.LBB347_138:
	s_or_b64 exec, exec, s[0:1]
	v_cmp_gt_u32_e32 vcc, 64, v0
	s_waitcnt lgkmcnt(0)
	s_barrier
	s_and_saveexec_b64 s[0:1], vcc
	s_cbranch_execz .LBB347_140
; %bb.139:
	v_and_b32_e32 v1, 1, v2
	v_lshlrev_b32_e32 v1, 2, v1
	ds_read_b32 v1, v1 offset:40
	v_or_b32_e32 v2, 4, v3
	s_waitcnt lgkmcnt(0)
	ds_bpermute_b32 v2, v2, v1
	s_waitcnt lgkmcnt(0)
	v_add_u32_e32 v1, v2, v1
.LBB347_140:
	s_or_b64 exec, exec, s[0:1]
	s_branch .LBB347_165
.LBB347_141:
                                        ; implicit-def: $vgpr1
.LBB347_142:
	s_branch .LBB347_224
.LBB347_143:
                                        ; implicit-def: $vgpr1
	s_cbranch_execz .LBB347_165
; %bb.144:
	s_sub_i32 s22, s36, s2
	v_cmp_gt_u32_e32 vcc, s22, v0
                                        ; implicit-def: $vgpr2_vgpr3_vgpr4_vgpr5_vgpr6_vgpr7_vgpr8_vgpr9
	s_and_saveexec_b64 s[0:1], vcc
	s_cbranch_execz .LBB347_146
; %bb.145:
	global_load_ubyte v1, v0, s[16:17]
	global_load_ubyte v2, v0, s[18:19]
	s_waitcnt vmcnt(0)
	v_cmp_ne_u16_e32 vcc, v1, v2
	v_cndmask_b32_e64 v2, 0, 1, vcc
.LBB347_146:
	s_or_b64 exec, exec, s[0:1]
	v_or_b32_e32 v1, 0x80, v0
	v_cmp_gt_u32_e32 vcc, s22, v1
	s_and_saveexec_b64 s[2:3], vcc
	s_cbranch_execz .LBB347_148
; %bb.147:
	global_load_ubyte v1, v0, s[16:17] offset:128
	global_load_ubyte v3, v0, s[18:19] offset:128
	s_waitcnt vmcnt(0)
	v_cmp_ne_u16_e64 s[0:1], v1, v3
	v_cndmask_b32_e64 v3, 0, 1, s[0:1]
.LBB347_148:
	s_or_b64 exec, exec, s[2:3]
	v_or_b32_e32 v1, 0x100, v0
	v_cmp_gt_u32_e64 s[0:1], s22, v1
	s_and_saveexec_b64 s[8:9], s[0:1]
	s_cbranch_execz .LBB347_150
; %bb.149:
	global_load_ubyte v1, v0, s[16:17] offset:256
	global_load_ubyte v4, v0, s[18:19] offset:256
	s_waitcnt vmcnt(0)
	v_cmp_ne_u16_e64 s[2:3], v1, v4
	v_cndmask_b32_e64 v4, 0, 1, s[2:3]
.LBB347_150:
	s_or_b64 exec, exec, s[8:9]
	v_or_b32_e32 v1, 0x180, v0
	v_cmp_gt_u32_e64 s[2:3], s22, v1
	s_and_saveexec_b64 s[10:11], s[2:3]
	;; [unrolled: 12-line block ×6, first 2 shown]
	s_cbranch_execz .LBB347_160
; %bb.159:
	global_load_ubyte v1, v0, s[16:17] offset:896
	global_load_ubyte v9, v0, s[18:19] offset:896
	s_waitcnt vmcnt(0)
	v_cmp_ne_u16_e64 s[16:17], v1, v9
	v_cndmask_b32_e64 v9, 0, 1, s[16:17]
.LBB347_160:
	s_or_b64 exec, exec, s[20:21]
	v_cndmask_b32_e32 v1, 0, v3, vcc
	v_add_u32_e32 v1, v1, v2
	v_cndmask_b32_e64 v2, 0, v4, s[0:1]
	v_cndmask_b32_e64 v3, 0, v5, s[2:3]
	v_add3_u32 v1, v1, v2, v3
	v_cndmask_b32_e64 v2, 0, v6, s[8:9]
	v_cndmask_b32_e64 v3, 0, v7, s[10:11]
	v_add3_u32 v1, v1, v2, v3
	;; [unrolled: 3-line block ×3, first 2 shown]
	v_mbcnt_lo_u32_b32 v2, -1, 0
	v_mbcnt_hi_u32_b32 v2, -1, v2
	v_and_b32_e32 v3, 63, v2
	v_cmp_ne_u32_e32 vcc, 63, v3
	v_addc_co_u32_e32 v4, vcc, 0, v2, vcc
	v_lshlrev_b32_e32 v4, 2, v4
	ds_bpermute_b32 v4, v4, v1
	s_min_u32 s2, s22, 0x80
	v_and_b32_e32 v5, 64, v0
	v_sub_u32_e64 v5, s2, v5 clamp
	v_add_u32_e32 v6, 1, v3
	v_cmp_lt_u32_e32 vcc, v6, v5
	s_waitcnt lgkmcnt(0)
	v_cndmask_b32_e32 v4, 0, v4, vcc
	v_cmp_gt_u32_e32 vcc, 62, v3
	v_add_u32_e32 v1, v1, v4
	v_cndmask_b32_e64 v4, 0, 1, vcc
	v_lshlrev_b32_e32 v4, 1, v4
	v_add_lshl_u32 v4, v4, v2, 2
	ds_bpermute_b32 v4, v4, v1
	v_add_u32_e32 v6, 2, v3
	v_cmp_lt_u32_e32 vcc, v6, v5
	v_add_u32_e32 v6, 4, v3
	s_waitcnt lgkmcnt(0)
	v_cndmask_b32_e32 v4, 0, v4, vcc
	v_cmp_gt_u32_e32 vcc, 60, v3
	v_add_u32_e32 v1, v1, v4
	v_cndmask_b32_e64 v4, 0, 1, vcc
	v_lshlrev_b32_e32 v4, 2, v4
	v_add_lshl_u32 v4, v4, v2, 2
	ds_bpermute_b32 v4, v4, v1
	v_cmp_lt_u32_e32 vcc, v6, v5
	v_add_u32_e32 v6, 8, v3
	s_waitcnt lgkmcnt(0)
	v_cndmask_b32_e32 v4, 0, v4, vcc
	v_cmp_gt_u32_e32 vcc, 56, v3
	v_add_u32_e32 v1, v1, v4
	v_cndmask_b32_e64 v4, 0, 1, vcc
	v_lshlrev_b32_e32 v4, 3, v4
	v_add_lshl_u32 v4, v4, v2, 2
	ds_bpermute_b32 v4, v4, v1
	;; [unrolled: 10-line block ×3, first 2 shown]
	v_cmp_lt_u32_e32 vcc, v6, v5
	s_waitcnt lgkmcnt(0)
	v_cndmask_b32_e32 v4, 0, v4, vcc
	v_cmp_gt_u32_e32 vcc, 32, v3
	v_add_u32_e32 v1, v1, v4
	v_cndmask_b32_e64 v4, 0, 1, vcc
	v_lshlrev_b32_e32 v4, 5, v4
	v_add_lshl_u32 v4, v4, v2, 2
	ds_bpermute_b32 v4, v4, v1
	v_add_u32_e32 v3, 32, v3
	v_cmp_lt_u32_e32 vcc, v3, v5
	s_waitcnt lgkmcnt(0)
	v_cndmask_b32_e32 v3, 0, v4, vcc
	v_add_u32_e32 v1, v1, v3
	v_cmp_eq_u32_e32 vcc, 0, v2
	s_and_saveexec_b64 s[0:1], vcc
	s_cbranch_execz .LBB347_162
; %bb.161:
	v_lshrrev_b32_e32 v3, 4, v0
	v_and_b32_e32 v3, 4, v3
	ds_write_b32 v3, v1 offset:48
.LBB347_162:
	s_or_b64 exec, exec, s[0:1]
	v_cmp_gt_u32_e32 vcc, 2, v0
	s_waitcnt lgkmcnt(0)
	s_barrier
	s_and_saveexec_b64 s[0:1], vcc
	s_cbranch_execz .LBB347_164
; %bb.163:
	v_lshlrev_b32_e32 v1, 2, v2
	ds_read_b32 v3, v1 offset:48
	v_or_b32_e32 v1, 4, v1
	s_add_i32 s2, s2, 63
	v_and_b32_e32 v2, 1, v2
	s_lshr_b32 s2, s2, 6
	s_waitcnt lgkmcnt(0)
	ds_bpermute_b32 v1, v1, v3
	v_add_u32_e32 v2, 1, v2
	v_cmp_gt_u32_e32 vcc, s2, v2
	s_waitcnt lgkmcnt(0)
	v_cndmask_b32_e32 v1, 0, v1, vcc
	v_add_u32_e32 v1, v1, v3
.LBB347_164:
	s_or_b64 exec, exec, s[0:1]
.LBB347_165:
	v_cmp_eq_u32_e64 s[0:1], 0, v0
	s_branch .LBB347_224
.LBB347_166:
	s_cmp_gt_i32 s33, 1
	s_cbranch_scc0 .LBB347_175
; %bb.167:
	s_cmp_gt_i32 s33, 3
	s_cbranch_scc0 .LBB347_176
; %bb.168:
	s_cmp_eq_u32 s33, 4
	s_cbranch_scc0 .LBB347_177
; %bb.169:
	s_lshl_b32 s2, s6, 9
	s_lshr_b64 s[0:1], s[36:37], 9
	s_add_u32 s8, s40, s2
	s_addc_u32 s9, s41, 0
	s_add_u32 s10, s42, s2
	s_mov_b32 s7, 0
	s_addc_u32 s11, s43, 0
	s_cmp_lg_u64 s[0:1], s[6:7]
	s_cbranch_scc0 .LBB347_179
; %bb.170:
	global_load_ubyte v1, v0, s[8:9]
	global_load_ubyte v4, v0, s[10:11]
	global_load_ubyte v5, v0, s[8:9] offset:256
	global_load_ubyte v6, v0, s[10:11] offset:256
	;; [unrolled: 1-line block ×6, first 2 shown]
	v_mbcnt_lo_u32_b32 v2, -1, 0
	v_mbcnt_hi_u32_b32 v2, -1, v2
	v_lshlrev_b32_e32 v3, 2, v2
	s_waitcnt vmcnt(6)
	v_cmp_ne_u16_e32 vcc, v1, v4
	v_cndmask_b32_e64 v1, 0, 1, vcc
	s_waitcnt vmcnt(4)
	v_cmp_ne_u16_e32 vcc, v5, v6
	v_cndmask_b32_e64 v4, 0, 1, vcc
	s_waitcnt vmcnt(2)
	v_cmp_ne_u16_e32 vcc, v7, v8
	v_addc_co_u32_e32 v1, vcc, 0, v1, vcc
	s_waitcnt vmcnt(0)
	v_cmp_ne_u16_e32 vcc, v10, v9
	v_addc_co_u32_e32 v1, vcc, v1, v4, vcc
	v_or_b32_e32 v4, 0xfc, v3
	s_nop 0
	v_add_u32_dpp v1, v1, v1 quad_perm:[1,0,3,2] row_mask:0xf bank_mask:0xf bound_ctrl:1
	v_cmp_eq_u32_e32 vcc, 0, v2
	s_nop 0
	v_add_u32_dpp v1, v1, v1 quad_perm:[2,3,0,1] row_mask:0xf bank_mask:0xf bound_ctrl:1
	s_nop 1
	v_add_u32_dpp v1, v1, v1 row_ror:4 row_mask:0xf bank_mask:0xf bound_ctrl:1
	s_nop 1
	v_add_u32_dpp v1, v1, v1 row_ror:8 row_mask:0xf bank_mask:0xf bound_ctrl:1
	s_nop 1
	v_add_u32_dpp v1, v1, v1 row_bcast:15 row_mask:0xf bank_mask:0xf bound_ctrl:1
	s_nop 1
	v_add_u32_dpp v1, v1, v1 row_bcast:31 row_mask:0xf bank_mask:0xf bound_ctrl:1
	ds_bpermute_b32 v1, v4, v1
	s_and_saveexec_b64 s[0:1], vcc
	s_cbranch_execz .LBB347_172
; %bb.171:
	v_lshrrev_b32_e32 v4, 4, v0
	v_and_b32_e32 v4, 4, v4
	s_waitcnt lgkmcnt(0)
	ds_write_b32 v4, v1 offset:32
.LBB347_172:
	s_or_b64 exec, exec, s[0:1]
	v_cmp_gt_u32_e32 vcc, 64, v0
	s_waitcnt lgkmcnt(0)
	s_barrier
	s_and_saveexec_b64 s[0:1], vcc
	s_cbranch_execz .LBB347_174
; %bb.173:
	v_and_b32_e32 v1, 1, v2
	v_lshlrev_b32_e32 v1, 2, v1
	ds_read_b32 v1, v1 offset:32
	v_or_b32_e32 v2, 4, v3
	s_waitcnt lgkmcnt(0)
	ds_bpermute_b32 v2, v2, v1
	s_waitcnt lgkmcnt(0)
	v_add_u32_e32 v1, v2, v1
.LBB347_174:
	s_or_b64 exec, exec, s[0:1]
	s_mov_b64 s[0:1], 0
	s_branch .LBB347_180
.LBB347_175:
                                        ; implicit-def: $vgpr1
	s_cbranch_execnz .LBB347_215
	s_branch .LBB347_224
.LBB347_176:
                                        ; implicit-def: $vgpr1
	s_cbranch_execz .LBB347_178
	s_branch .LBB347_195
.LBB347_177:
                                        ; implicit-def: $vgpr1
.LBB347_178:
	s_branch .LBB347_224
.LBB347_179:
	s_mov_b64 s[0:1], -1
                                        ; implicit-def: $vgpr1
.LBB347_180:
	s_and_b64 vcc, exec, s[0:1]
	s_cbranch_vccz .LBB347_194
; %bb.181:
	s_sub_i32 s14, s36, s2
	v_cmp_gt_u32_e32 vcc, s14, v0
                                        ; implicit-def: $vgpr2_vgpr3_vgpr4_vgpr5
	s_and_saveexec_b64 s[0:1], vcc
	s_cbranch_execz .LBB347_183
; %bb.182:
	global_load_ubyte v1, v0, s[8:9]
	global_load_ubyte v2, v0, s[10:11]
	s_waitcnt vmcnt(0)
	v_cmp_ne_u16_e32 vcc, v1, v2
	v_cndmask_b32_e64 v2, 0, 1, vcc
.LBB347_183:
	s_or_b64 exec, exec, s[0:1]
	v_or_b32_e32 v1, 0x80, v0
	v_cmp_gt_u32_e32 vcc, s14, v1
	s_and_saveexec_b64 s[2:3], vcc
	s_cbranch_execz .LBB347_185
; %bb.184:
	global_load_ubyte v1, v0, s[8:9] offset:128
	global_load_ubyte v3, v0, s[10:11] offset:128
	s_waitcnt vmcnt(0)
	v_cmp_ne_u16_e64 s[0:1], v1, v3
	v_cndmask_b32_e64 v3, 0, 1, s[0:1]
.LBB347_185:
	s_or_b64 exec, exec, s[2:3]
	v_or_b32_e32 v1, 0x100, v0
	v_cmp_gt_u32_e64 s[0:1], s14, v1
	s_and_saveexec_b64 s[12:13], s[0:1]
	s_cbranch_execz .LBB347_187
; %bb.186:
	global_load_ubyte v1, v0, s[8:9] offset:256
	global_load_ubyte v4, v0, s[10:11] offset:256
	s_waitcnt vmcnt(0)
	v_cmp_ne_u16_e64 s[2:3], v1, v4
	v_cndmask_b32_e64 v4, 0, 1, s[2:3]
.LBB347_187:
	s_or_b64 exec, exec, s[12:13]
	v_or_b32_e32 v1, 0x180, v0
	v_cmp_gt_u32_e64 s[2:3], s14, v1
	s_and_saveexec_b64 s[12:13], s[2:3]
	s_cbranch_execz .LBB347_189
; %bb.188:
	global_load_ubyte v1, v0, s[8:9] offset:384
	global_load_ubyte v5, v0, s[10:11] offset:384
	s_waitcnt vmcnt(0)
	v_cmp_ne_u16_e64 s[8:9], v1, v5
	v_cndmask_b32_e64 v5, 0, 1, s[8:9]
.LBB347_189:
	s_or_b64 exec, exec, s[12:13]
	v_cndmask_b32_e32 v1, 0, v3, vcc
	v_add_u32_e32 v1, v1, v2
	v_cndmask_b32_e64 v2, 0, v4, s[0:1]
	v_cndmask_b32_e64 v3, 0, v5, s[2:3]
	v_add3_u32 v1, v1, v2, v3
	v_mbcnt_lo_u32_b32 v2, -1, 0
	v_mbcnt_hi_u32_b32 v2, -1, v2
	v_and_b32_e32 v3, 63, v2
	v_cmp_ne_u32_e32 vcc, 63, v3
	v_addc_co_u32_e32 v4, vcc, 0, v2, vcc
	v_lshlrev_b32_e32 v4, 2, v4
	ds_bpermute_b32 v4, v4, v1
	s_min_u32 s2, s14, 0x80
	v_and_b32_e32 v5, 64, v0
	v_sub_u32_e64 v5, s2, v5 clamp
	v_add_u32_e32 v6, 1, v3
	v_cmp_lt_u32_e32 vcc, v6, v5
	s_waitcnt lgkmcnt(0)
	v_cndmask_b32_e32 v4, 0, v4, vcc
	v_cmp_gt_u32_e32 vcc, 62, v3
	v_add_u32_e32 v1, v4, v1
	v_cndmask_b32_e64 v4, 0, 1, vcc
	v_lshlrev_b32_e32 v4, 1, v4
	v_add_lshl_u32 v4, v4, v2, 2
	ds_bpermute_b32 v4, v4, v1
	v_add_u32_e32 v6, 2, v3
	v_cmp_lt_u32_e32 vcc, v6, v5
	v_add_u32_e32 v6, 4, v3
	s_waitcnt lgkmcnt(0)
	v_cndmask_b32_e32 v4, 0, v4, vcc
	v_cmp_gt_u32_e32 vcc, 60, v3
	v_add_u32_e32 v1, v1, v4
	v_cndmask_b32_e64 v4, 0, 1, vcc
	v_lshlrev_b32_e32 v4, 2, v4
	v_add_lshl_u32 v4, v4, v2, 2
	ds_bpermute_b32 v4, v4, v1
	v_cmp_lt_u32_e32 vcc, v6, v5
	v_add_u32_e32 v6, 8, v3
	s_waitcnt lgkmcnt(0)
	v_cndmask_b32_e32 v4, 0, v4, vcc
	v_cmp_gt_u32_e32 vcc, 56, v3
	v_add_u32_e32 v1, v1, v4
	v_cndmask_b32_e64 v4, 0, 1, vcc
	v_lshlrev_b32_e32 v4, 3, v4
	v_add_lshl_u32 v4, v4, v2, 2
	ds_bpermute_b32 v4, v4, v1
	;; [unrolled: 10-line block ×3, first 2 shown]
	v_cmp_lt_u32_e32 vcc, v6, v5
	s_waitcnt lgkmcnt(0)
	v_cndmask_b32_e32 v4, 0, v4, vcc
	v_cmp_gt_u32_e32 vcc, 32, v3
	v_add_u32_e32 v1, v1, v4
	v_cndmask_b32_e64 v4, 0, 1, vcc
	v_lshlrev_b32_e32 v4, 5, v4
	v_add_lshl_u32 v4, v4, v2, 2
	ds_bpermute_b32 v4, v4, v1
	v_add_u32_e32 v3, 32, v3
	v_cmp_lt_u32_e32 vcc, v3, v5
	s_waitcnt lgkmcnt(0)
	v_cndmask_b32_e32 v3, 0, v4, vcc
	v_add_u32_e32 v1, v1, v3
	v_cmp_eq_u32_e32 vcc, 0, v2
	s_and_saveexec_b64 s[0:1], vcc
	s_cbranch_execz .LBB347_191
; %bb.190:
	v_lshrrev_b32_e32 v3, 4, v0
	v_and_b32_e32 v3, 4, v3
	ds_write_b32 v3, v1 offset:48
.LBB347_191:
	s_or_b64 exec, exec, s[0:1]
	v_cmp_gt_u32_e32 vcc, 2, v0
	s_waitcnt lgkmcnt(0)
	s_barrier
	s_and_saveexec_b64 s[0:1], vcc
	s_cbranch_execz .LBB347_193
; %bb.192:
	v_lshlrev_b32_e32 v1, 2, v2
	ds_read_b32 v3, v1 offset:48
	v_or_b32_e32 v1, 4, v1
	s_add_i32 s2, s2, 63
	v_and_b32_e32 v2, 1, v2
	s_lshr_b32 s2, s2, 6
	s_waitcnt lgkmcnt(0)
	ds_bpermute_b32 v1, v1, v3
	v_add_u32_e32 v2, 1, v2
	v_cmp_gt_u32_e32 vcc, s2, v2
	s_waitcnt lgkmcnt(0)
	v_cndmask_b32_e32 v1, 0, v1, vcc
	v_add_u32_e32 v1, v1, v3
.LBB347_193:
	s_or_b64 exec, exec, s[0:1]
.LBB347_194:
	v_cmp_eq_u32_e64 s[0:1], 0, v0
	s_branch .LBB347_178
.LBB347_195:
	s_cmp_eq_u32 s33, 2
	s_cbranch_scc0 .LBB347_202
; %bb.196:
	s_lshl_b32 s10, s6, 8
	s_lshr_b64 s[0:1], s[36:37], 8
	s_add_u32 s2, s40, s10
	s_addc_u32 s3, s41, 0
	s_add_u32 s8, s42, s10
	s_mov_b32 s7, 0
	s_addc_u32 s9, s43, 0
	s_cmp_lg_u64 s[0:1], s[6:7]
	s_cbranch_scc0 .LBB347_203
; %bb.197:
	global_load_ubyte v1, v0, s[2:3]
	global_load_ubyte v4, v0, s[8:9]
	global_load_ubyte v5, v0, s[8:9] offset:128
	global_load_ubyte v6, v0, s[2:3] offset:128
	v_mbcnt_lo_u32_b32 v2, -1, 0
	v_mbcnt_hi_u32_b32 v2, -1, v2
	v_lshlrev_b32_e32 v3, 2, v2
	s_waitcnt vmcnt(2)
	v_cmp_ne_u16_e32 vcc, v1, v4
	v_cndmask_b32_e64 v1, 0, 1, vcc
	s_waitcnt vmcnt(0)
	v_cmp_ne_u16_e32 vcc, v6, v5
	v_addc_co_u32_e64 v4, s[0:1], 0, v1, vcc
	s_nop 1
	v_mov_b32_dpp v4, v4 quad_perm:[1,0,3,2] row_mask:0xf bank_mask:0xf bound_ctrl:1
	v_addc_co_u32_e32 v1, vcc, v4, v1, vcc
	v_or_b32_e32 v4, 0xfc, v3
	s_nop 0
	v_add_u32_dpp v1, v1, v1 quad_perm:[2,3,0,1] row_mask:0xf bank_mask:0xf bound_ctrl:1
	v_cmp_eq_u32_e32 vcc, 0, v2
	s_nop 0
	v_add_u32_dpp v1, v1, v1 row_ror:4 row_mask:0xf bank_mask:0xf bound_ctrl:1
	s_nop 1
	v_add_u32_dpp v1, v1, v1 row_ror:8 row_mask:0xf bank_mask:0xf bound_ctrl:1
	s_nop 1
	v_add_u32_dpp v1, v1, v1 row_bcast:15 row_mask:0xf bank_mask:0xf bound_ctrl:1
	s_nop 1
	v_add_u32_dpp v1, v1, v1 row_bcast:31 row_mask:0xf bank_mask:0xf bound_ctrl:1
	ds_bpermute_b32 v1, v4, v1
	s_and_saveexec_b64 s[0:1], vcc
	s_cbranch_execz .LBB347_199
; %bb.198:
	v_lshrrev_b32_e32 v4, 4, v0
	v_and_b32_e32 v4, 4, v4
	s_waitcnt lgkmcnt(0)
	ds_write_b32 v4, v1 offset:16
.LBB347_199:
	s_or_b64 exec, exec, s[0:1]
	v_cmp_gt_u32_e32 vcc, 64, v0
	s_waitcnt lgkmcnt(0)
	s_barrier
	s_and_saveexec_b64 s[0:1], vcc
	s_cbranch_execz .LBB347_201
; %bb.200:
	v_and_b32_e32 v1, 1, v2
	v_lshlrev_b32_e32 v1, 2, v1
	ds_read_b32 v1, v1 offset:16
	v_or_b32_e32 v2, 4, v3
	s_waitcnt lgkmcnt(0)
	ds_bpermute_b32 v2, v2, v1
	s_waitcnt lgkmcnt(0)
	v_add_u32_e32 v1, v2, v1
.LBB347_201:
	s_or_b64 exec, exec, s[0:1]
	s_mov_b64 s[0:1], 0
	s_branch .LBB347_204
.LBB347_202:
                                        ; implicit-def: $vgpr1
	s_branch .LBB347_224
.LBB347_203:
	s_mov_b64 s[0:1], -1
                                        ; implicit-def: $vgpr1
.LBB347_204:
	s_and_b64 vcc, exec, s[0:1]
	s_cbranch_vccz .LBB347_214
; %bb.205:
	s_sub_i32 s12, s36, s10
	v_cmp_gt_u32_e32 vcc, s12, v0
                                        ; implicit-def: $vgpr2_vgpr3
	s_and_saveexec_b64 s[0:1], vcc
	s_cbranch_execz .LBB347_207
; %bb.206:
	global_load_ubyte v1, v0, s[2:3]
	global_load_ubyte v2, v0, s[8:9]
	s_waitcnt vmcnt(0)
	v_cmp_ne_u16_e32 vcc, v1, v2
	v_cndmask_b32_e64 v2, 0, 1, vcc
.LBB347_207:
	s_or_b64 exec, exec, s[0:1]
	v_or_b32_e32 v1, 0x80, v0
	v_cmp_gt_u32_e32 vcc, s12, v1
	s_and_saveexec_b64 s[10:11], vcc
	s_cbranch_execz .LBB347_209
; %bb.208:
	global_load_ubyte v1, v0, s[2:3] offset:128
	global_load_ubyte v3, v0, s[8:9] offset:128
	s_waitcnt vmcnt(0)
	v_cmp_ne_u16_e64 s[0:1], v1, v3
	v_cndmask_b32_e64 v3, 0, 1, s[0:1]
.LBB347_209:
	s_or_b64 exec, exec, s[10:11]
	v_cndmask_b32_e32 v1, 0, v3, vcc
	v_add_u32_e32 v1, v1, v2
	v_mbcnt_lo_u32_b32 v2, -1, 0
	v_mbcnt_hi_u32_b32 v2, -1, v2
	v_and_b32_e32 v3, 63, v2
	v_cmp_ne_u32_e32 vcc, 63, v3
	v_addc_co_u32_e32 v4, vcc, 0, v2, vcc
	v_lshlrev_b32_e32 v4, 2, v4
	ds_bpermute_b32 v4, v4, v1
	s_min_u32 s2, s12, 0x80
	v_and_b32_e32 v5, 64, v0
	v_sub_u32_e64 v5, s2, v5 clamp
	v_add_u32_e32 v6, 1, v3
	v_cmp_lt_u32_e32 vcc, v6, v5
	s_waitcnt lgkmcnt(0)
	v_cndmask_b32_e32 v4, 0, v4, vcc
	v_cmp_gt_u32_e32 vcc, 62, v3
	v_add_u32_e32 v1, v4, v1
	v_cndmask_b32_e64 v4, 0, 1, vcc
	v_lshlrev_b32_e32 v4, 1, v4
	v_add_lshl_u32 v4, v4, v2, 2
	ds_bpermute_b32 v4, v4, v1
	v_add_u32_e32 v6, 2, v3
	v_cmp_lt_u32_e32 vcc, v6, v5
	v_add_u32_e32 v6, 4, v3
	s_waitcnt lgkmcnt(0)
	v_cndmask_b32_e32 v4, 0, v4, vcc
	v_cmp_gt_u32_e32 vcc, 60, v3
	v_add_u32_e32 v1, v1, v4
	v_cndmask_b32_e64 v4, 0, 1, vcc
	v_lshlrev_b32_e32 v4, 2, v4
	v_add_lshl_u32 v4, v4, v2, 2
	ds_bpermute_b32 v4, v4, v1
	v_cmp_lt_u32_e32 vcc, v6, v5
	v_add_u32_e32 v6, 8, v3
	s_waitcnt lgkmcnt(0)
	v_cndmask_b32_e32 v4, 0, v4, vcc
	v_cmp_gt_u32_e32 vcc, 56, v3
	v_add_u32_e32 v1, v1, v4
	v_cndmask_b32_e64 v4, 0, 1, vcc
	v_lshlrev_b32_e32 v4, 3, v4
	v_add_lshl_u32 v4, v4, v2, 2
	ds_bpermute_b32 v4, v4, v1
	;; [unrolled: 10-line block ×3, first 2 shown]
	v_cmp_lt_u32_e32 vcc, v6, v5
	s_waitcnt lgkmcnt(0)
	v_cndmask_b32_e32 v4, 0, v4, vcc
	v_cmp_gt_u32_e32 vcc, 32, v3
	v_add_u32_e32 v1, v1, v4
	v_cndmask_b32_e64 v4, 0, 1, vcc
	v_lshlrev_b32_e32 v4, 5, v4
	v_add_lshl_u32 v4, v4, v2, 2
	ds_bpermute_b32 v4, v4, v1
	v_add_u32_e32 v3, 32, v3
	v_cmp_lt_u32_e32 vcc, v3, v5
	s_waitcnt lgkmcnt(0)
	v_cndmask_b32_e32 v3, 0, v4, vcc
	v_add_u32_e32 v1, v1, v3
	v_cmp_eq_u32_e32 vcc, 0, v2
	s_and_saveexec_b64 s[0:1], vcc
	s_cbranch_execz .LBB347_211
; %bb.210:
	v_lshrrev_b32_e32 v3, 4, v0
	v_and_b32_e32 v3, 4, v3
	ds_write_b32 v3, v1 offset:48
.LBB347_211:
	s_or_b64 exec, exec, s[0:1]
	v_cmp_gt_u32_e32 vcc, 2, v0
	s_waitcnt lgkmcnt(0)
	s_barrier
	s_and_saveexec_b64 s[0:1], vcc
	s_cbranch_execz .LBB347_213
; %bb.212:
	v_lshlrev_b32_e32 v1, 2, v2
	ds_read_b32 v3, v1 offset:48
	v_or_b32_e32 v1, 4, v1
	s_add_i32 s2, s2, 63
	v_and_b32_e32 v2, 1, v2
	s_lshr_b32 s2, s2, 6
	s_waitcnt lgkmcnt(0)
	ds_bpermute_b32 v1, v1, v3
	v_add_u32_e32 v2, 1, v2
	v_cmp_gt_u32_e32 vcc, s2, v2
	s_waitcnt lgkmcnt(0)
	v_cndmask_b32_e32 v1, 0, v1, vcc
	v_add_u32_e32 v1, v1, v3
.LBB347_213:
	s_or_b64 exec, exec, s[0:1]
.LBB347_214:
	v_cmp_eq_u32_e64 s[0:1], 0, v0
	s_branch .LBB347_224
.LBB347_215:
	s_cmp_eq_u32 s33, 1
	s_cbranch_scc0 .LBB347_223
; %bb.216:
	s_lshl_b32 s2, s6, 7
	s_mov_b32 s7, 0
	s_lshr_b64 s[0:1], s[36:37], 7
	s_cmp_lg_u64 s[0:1], s[6:7]
	v_mbcnt_lo_u32_b32 v2, -1, 0
	s_cbranch_scc0 .LBB347_227
; %bb.217:
	s_add_u32 s0, s40, s2
	s_addc_u32 s1, s41, 0
	s_add_u32 s8, s42, s2
	s_addc_u32 s9, s43, 0
	global_load_ubyte v1, v0, s[0:1]
	global_load_ubyte v5, v0, s[8:9]
	v_mbcnt_hi_u32_b32 v3, -1, v2
	v_lshlrev_b32_e32 v4, 2, v3
	s_waitcnt vmcnt(0)
	v_cmp_ne_u16_e32 vcc, v1, v5
	v_cndmask_b32_e64 v1, 0, 1, vcc
	s_nop 1
	v_mov_b32_dpp v1, v1 quad_perm:[1,0,3,2] row_mask:0xf bank_mask:0xf bound_ctrl:1
	v_addc_co_u32_e64 v5, s[0:1], 0, v1, vcc
	s_nop 1
	v_mov_b32_dpp v5, v5 quad_perm:[2,3,0,1] row_mask:0xf bank_mask:0xf bound_ctrl:1
	v_addc_co_u32_e32 v1, vcc, v5, v1, vcc
	v_or_b32_e32 v5, 0xfc, v4
	s_nop 0
	v_add_u32_dpp v1, v1, v1 row_ror:4 row_mask:0xf bank_mask:0xf bound_ctrl:1
	v_cmp_eq_u32_e32 vcc, 0, v3
	s_nop 0
	v_add_u32_dpp v1, v1, v1 row_ror:8 row_mask:0xf bank_mask:0xf bound_ctrl:1
	s_nop 1
	v_add_u32_dpp v1, v1, v1 row_bcast:15 row_mask:0xf bank_mask:0xf bound_ctrl:1
	s_nop 1
	v_add_u32_dpp v1, v1, v1 row_bcast:31 row_mask:0xf bank_mask:0xf bound_ctrl:1
	ds_bpermute_b32 v1, v5, v1
	s_and_saveexec_b64 s[0:1], vcc
	s_cbranch_execz .LBB347_219
; %bb.218:
	v_lshrrev_b32_e32 v5, 4, v0
	v_and_b32_e32 v5, 4, v5
	s_waitcnt lgkmcnt(0)
	ds_write_b32 v5, v1 offset:8
.LBB347_219:
	s_or_b64 exec, exec, s[0:1]
	v_cmp_gt_u32_e32 vcc, 64, v0
	s_waitcnt lgkmcnt(0)
	s_barrier
	s_and_saveexec_b64 s[0:1], vcc
	s_cbranch_execz .LBB347_221
; %bb.220:
	v_and_b32_e32 v1, 1, v3
	v_lshlrev_b32_e32 v1, 2, v1
	ds_read_b32 v1, v1 offset:8
	v_or_b32_e32 v3, 4, v4
	s_waitcnt lgkmcnt(0)
	ds_bpermute_b32 v3, v3, v1
	s_waitcnt lgkmcnt(0)
	v_add_u32_e32 v1, v3, v1
.LBB347_221:
	s_or_b64 exec, exec, s[0:1]
.LBB347_222:
	v_cmp_eq_u32_e64 s[0:1], 0, v0
	s_and_saveexec_b64 s[2:3], s[0:1]
	s_cbranch_execnz .LBB347_225
	s_branch .LBB347_226
.LBB347_223:
                                        ; implicit-def: $vgpr1
                                        ; implicit-def: $sgpr6_sgpr7
.LBB347_224:
	s_and_saveexec_b64 s[2:3], s[0:1]
	s_cbranch_execz .LBB347_226
.LBB347_225:
	s_lshl_b64 s[0:1], s[6:7], 2
	s_load_dword s2, s[4:5], 0x30
	s_add_u32 s0, s38, s0
	s_addc_u32 s1, s39, s1
	s_cmp_lg_u64 s[36:37], 0
	s_cselect_b64 vcc, -1, 0
	v_cndmask_b32_e32 v1, 0, v1, vcc
	v_mov_b32_e32 v0, 0
	s_waitcnt lgkmcnt(0)
	v_add_u32_e32 v1, s2, v1
	global_store_dword v0, v1, s[0:1]
.LBB347_226:
	s_endpgm
.LBB347_227:
                                        ; implicit-def: $vgpr1
	s_cbranch_execz .LBB347_222
; %bb.228:
	s_sub_i32 s3, s36, s2
	v_cmp_gt_u32_e32 vcc, s3, v0
                                        ; implicit-def: $vgpr1
	s_and_saveexec_b64 s[0:1], vcc
	s_cbranch_execz .LBB347_230
; %bb.229:
	s_add_u32 s8, s40, s2
	s_addc_u32 s9, s41, 0
	s_add_u32 s10, s42, s2
	s_addc_u32 s11, s43, 0
	global_load_ubyte v1, v0, s[8:9]
	global_load_ubyte v3, v0, s[10:11]
	s_waitcnt vmcnt(0)
	v_cmp_ne_u16_e32 vcc, v1, v3
	v_cndmask_b32_e64 v1, 0, 1, vcc
.LBB347_230:
	s_or_b64 exec, exec, s[0:1]
	v_mbcnt_hi_u32_b32 v2, -1, v2
	v_and_b32_e32 v3, 63, v2
	v_cmp_ne_u32_e32 vcc, 63, v3
	v_addc_co_u32_e32 v4, vcc, 0, v2, vcc
	v_lshlrev_b32_e32 v4, 2, v4
	ds_bpermute_b32 v4, v4, v1
	s_min_u32 s2, s3, 0x80
	v_and_b32_e32 v5, 64, v0
	v_sub_u32_e64 v5, s2, v5 clamp
	v_add_u32_e32 v6, 1, v3
	v_cmp_lt_u32_e32 vcc, v6, v5
	s_waitcnt lgkmcnt(0)
	v_cndmask_b32_e32 v4, 0, v4, vcc
	v_cmp_gt_u32_e32 vcc, 62, v3
	v_add_u32_e32 v1, v4, v1
	v_cndmask_b32_e64 v4, 0, 1, vcc
	v_lshlrev_b32_e32 v4, 1, v4
	v_add_lshl_u32 v4, v4, v2, 2
	ds_bpermute_b32 v4, v4, v1
	v_add_u32_e32 v6, 2, v3
	v_cmp_lt_u32_e32 vcc, v6, v5
	v_add_u32_e32 v6, 4, v3
	s_waitcnt lgkmcnt(0)
	v_cndmask_b32_e32 v4, 0, v4, vcc
	v_cmp_gt_u32_e32 vcc, 60, v3
	v_add_u32_e32 v1, v1, v4
	v_cndmask_b32_e64 v4, 0, 1, vcc
	v_lshlrev_b32_e32 v4, 2, v4
	v_add_lshl_u32 v4, v4, v2, 2
	ds_bpermute_b32 v4, v4, v1
	v_cmp_lt_u32_e32 vcc, v6, v5
	v_add_u32_e32 v6, 8, v3
	s_waitcnt lgkmcnt(0)
	v_cndmask_b32_e32 v4, 0, v4, vcc
	v_cmp_gt_u32_e32 vcc, 56, v3
	v_add_u32_e32 v1, v1, v4
	v_cndmask_b32_e64 v4, 0, 1, vcc
	v_lshlrev_b32_e32 v4, 3, v4
	v_add_lshl_u32 v4, v4, v2, 2
	ds_bpermute_b32 v4, v4, v1
	;; [unrolled: 10-line block ×3, first 2 shown]
	v_cmp_lt_u32_e32 vcc, v6, v5
	s_waitcnt lgkmcnt(0)
	v_cndmask_b32_e32 v4, 0, v4, vcc
	v_cmp_gt_u32_e32 vcc, 32, v3
	v_add_u32_e32 v1, v1, v4
	v_cndmask_b32_e64 v4, 0, 1, vcc
	v_lshlrev_b32_e32 v4, 5, v4
	v_add_lshl_u32 v4, v4, v2, 2
	ds_bpermute_b32 v4, v4, v1
	v_add_u32_e32 v3, 32, v3
	v_cmp_lt_u32_e32 vcc, v3, v5
	s_waitcnt lgkmcnt(0)
	v_cndmask_b32_e32 v3, 0, v4, vcc
	v_add_u32_e32 v1, v1, v3
	v_cmp_eq_u32_e32 vcc, 0, v2
	s_and_saveexec_b64 s[0:1], vcc
	s_cbranch_execz .LBB347_232
; %bb.231:
	v_lshrrev_b32_e32 v3, 4, v0
	v_and_b32_e32 v3, 4, v3
	ds_write_b32 v3, v1 offset:48
.LBB347_232:
	s_or_b64 exec, exec, s[0:1]
	v_cmp_gt_u32_e32 vcc, 2, v0
	s_waitcnt lgkmcnt(0)
	s_barrier
	s_and_saveexec_b64 s[0:1], vcc
	s_cbranch_execz .LBB347_234
; %bb.233:
	v_lshlrev_b32_e32 v1, 2, v2
	ds_read_b32 v3, v1 offset:48
	v_or_b32_e32 v1, 4, v1
	s_add_i32 s2, s2, 63
	v_and_b32_e32 v2, 1, v2
	s_lshr_b32 s2, s2, 6
	s_waitcnt lgkmcnt(0)
	ds_bpermute_b32 v1, v1, v3
	v_add_u32_e32 v2, 1, v2
	v_cmp_gt_u32_e32 vcc, s2, v2
	s_waitcnt lgkmcnt(0)
	v_cndmask_b32_e32 v1, 0, v1, vcc
	v_add_u32_e32 v1, v1, v3
.LBB347_234:
	s_or_b64 exec, exec, s[0:1]
	v_cmp_eq_u32_e64 s[0:1], 0, v0
	s_and_saveexec_b64 s[2:3], s[0:1]
	s_cbranch_execnz .LBB347_225
	s_branch .LBB347_226
	.section	.rodata,"a",@progbits
	.p2align	6, 0x0
	.amdhsa_kernel _ZN7rocprim17ROCPRIM_400000_NS6detail17trampoline_kernelINS0_14default_configENS1_22reduce_config_selectorIiEEZNS1_11reduce_implILb1ES3_N6thrust23THRUST_200600_302600_NS11hip_rocprim35transform_pair_of_input_iterators_tIiPhSB_NS8_12not_equal_toIhEEEEPiiNS8_4plusIiEEEE10hipError_tPvRmT1_T2_T3_mT4_P12ihipStream_tbEUlT_E1_NS1_11comp_targetILNS1_3genE4ELNS1_11target_archE910ELNS1_3gpuE8ELNS1_3repE0EEENS1_30default_config_static_selectorELNS0_4arch9wavefront6targetE1EEEvSL_
		.amdhsa_group_segment_fixed_size 56
		.amdhsa_private_segment_fixed_size 0
		.amdhsa_kernarg_size 56
		.amdhsa_user_sgpr_count 6
		.amdhsa_user_sgpr_private_segment_buffer 1
		.amdhsa_user_sgpr_dispatch_ptr 0
		.amdhsa_user_sgpr_queue_ptr 0
		.amdhsa_user_sgpr_kernarg_segment_ptr 1
		.amdhsa_user_sgpr_dispatch_id 0
		.amdhsa_user_sgpr_flat_scratch_init 0
		.amdhsa_user_sgpr_kernarg_preload_length 0
		.amdhsa_user_sgpr_kernarg_preload_offset 0
		.amdhsa_user_sgpr_private_segment_size 0
		.amdhsa_uses_dynamic_stack 0
		.amdhsa_system_sgpr_private_segment_wavefront_offset 0
		.amdhsa_system_sgpr_workgroup_id_x 1
		.amdhsa_system_sgpr_workgroup_id_y 0
		.amdhsa_system_sgpr_workgroup_id_z 0
		.amdhsa_system_sgpr_workgroup_info 0
		.amdhsa_system_vgpr_workitem_id 0
		.amdhsa_next_free_vgpr 60
		.amdhsa_next_free_sgpr 49
		.amdhsa_accum_offset 60
		.amdhsa_reserve_vcc 1
		.amdhsa_reserve_flat_scratch 0
		.amdhsa_float_round_mode_32 0
		.amdhsa_float_round_mode_16_64 0
		.amdhsa_float_denorm_mode_32 3
		.amdhsa_float_denorm_mode_16_64 3
		.amdhsa_dx10_clamp 1
		.amdhsa_ieee_mode 1
		.amdhsa_fp16_overflow 0
		.amdhsa_tg_split 0
		.amdhsa_exception_fp_ieee_invalid_op 0
		.amdhsa_exception_fp_denorm_src 0
		.amdhsa_exception_fp_ieee_div_zero 0
		.amdhsa_exception_fp_ieee_overflow 0
		.amdhsa_exception_fp_ieee_underflow 0
		.amdhsa_exception_fp_ieee_inexact 0
		.amdhsa_exception_int_div_zero 0
	.end_amdhsa_kernel
	.section	.text._ZN7rocprim17ROCPRIM_400000_NS6detail17trampoline_kernelINS0_14default_configENS1_22reduce_config_selectorIiEEZNS1_11reduce_implILb1ES3_N6thrust23THRUST_200600_302600_NS11hip_rocprim35transform_pair_of_input_iterators_tIiPhSB_NS8_12not_equal_toIhEEEEPiiNS8_4plusIiEEEE10hipError_tPvRmT1_T2_T3_mT4_P12ihipStream_tbEUlT_E1_NS1_11comp_targetILNS1_3genE4ELNS1_11target_archE910ELNS1_3gpuE8ELNS1_3repE0EEENS1_30default_config_static_selectorELNS0_4arch9wavefront6targetE1EEEvSL_,"axG",@progbits,_ZN7rocprim17ROCPRIM_400000_NS6detail17trampoline_kernelINS0_14default_configENS1_22reduce_config_selectorIiEEZNS1_11reduce_implILb1ES3_N6thrust23THRUST_200600_302600_NS11hip_rocprim35transform_pair_of_input_iterators_tIiPhSB_NS8_12not_equal_toIhEEEEPiiNS8_4plusIiEEEE10hipError_tPvRmT1_T2_T3_mT4_P12ihipStream_tbEUlT_E1_NS1_11comp_targetILNS1_3genE4ELNS1_11target_archE910ELNS1_3gpuE8ELNS1_3repE0EEENS1_30default_config_static_selectorELNS0_4arch9wavefront6targetE1EEEvSL_,comdat
.Lfunc_end347:
	.size	_ZN7rocprim17ROCPRIM_400000_NS6detail17trampoline_kernelINS0_14default_configENS1_22reduce_config_selectorIiEEZNS1_11reduce_implILb1ES3_N6thrust23THRUST_200600_302600_NS11hip_rocprim35transform_pair_of_input_iterators_tIiPhSB_NS8_12not_equal_toIhEEEEPiiNS8_4plusIiEEEE10hipError_tPvRmT1_T2_T3_mT4_P12ihipStream_tbEUlT_E1_NS1_11comp_targetILNS1_3genE4ELNS1_11target_archE910ELNS1_3gpuE8ELNS1_3repE0EEENS1_30default_config_static_selectorELNS0_4arch9wavefront6targetE1EEEvSL_, .Lfunc_end347-_ZN7rocprim17ROCPRIM_400000_NS6detail17trampoline_kernelINS0_14default_configENS1_22reduce_config_selectorIiEEZNS1_11reduce_implILb1ES3_N6thrust23THRUST_200600_302600_NS11hip_rocprim35transform_pair_of_input_iterators_tIiPhSB_NS8_12not_equal_toIhEEEEPiiNS8_4plusIiEEEE10hipError_tPvRmT1_T2_T3_mT4_P12ihipStream_tbEUlT_E1_NS1_11comp_targetILNS1_3genE4ELNS1_11target_archE910ELNS1_3gpuE8ELNS1_3repE0EEENS1_30default_config_static_selectorELNS0_4arch9wavefront6targetE1EEEvSL_
                                        ; -- End function
	.section	.AMDGPU.csdata,"",@progbits
; Kernel info:
; codeLenInByte = 10820
; NumSgprs: 53
; NumVgprs: 60
; NumAgprs: 0
; TotalNumVgprs: 60
; ScratchSize: 0
; MemoryBound: 0
; FloatMode: 240
; IeeeMode: 1
; LDSByteSize: 56 bytes/workgroup (compile time only)
; SGPRBlocks: 6
; VGPRBlocks: 7
; NumSGPRsForWavesPerEU: 53
; NumVGPRsForWavesPerEU: 60
; AccumOffset: 60
; Occupancy: 8
; WaveLimiterHint : 0
; COMPUTE_PGM_RSRC2:SCRATCH_EN: 0
; COMPUTE_PGM_RSRC2:USER_SGPR: 6
; COMPUTE_PGM_RSRC2:TRAP_HANDLER: 0
; COMPUTE_PGM_RSRC2:TGID_X_EN: 1
; COMPUTE_PGM_RSRC2:TGID_Y_EN: 0
; COMPUTE_PGM_RSRC2:TGID_Z_EN: 0
; COMPUTE_PGM_RSRC2:TIDIG_COMP_CNT: 0
; COMPUTE_PGM_RSRC3_GFX90A:ACCUM_OFFSET: 14
; COMPUTE_PGM_RSRC3_GFX90A:TG_SPLIT: 0
	.section	.text._ZN7rocprim17ROCPRIM_400000_NS6detail17trampoline_kernelINS0_14default_configENS1_22reduce_config_selectorIiEEZNS1_11reduce_implILb1ES3_N6thrust23THRUST_200600_302600_NS11hip_rocprim35transform_pair_of_input_iterators_tIiPhSB_NS8_12not_equal_toIhEEEEPiiNS8_4plusIiEEEE10hipError_tPvRmT1_T2_T3_mT4_P12ihipStream_tbEUlT_E1_NS1_11comp_targetILNS1_3genE3ELNS1_11target_archE908ELNS1_3gpuE7ELNS1_3repE0EEENS1_30default_config_static_selectorELNS0_4arch9wavefront6targetE1EEEvSL_,"axG",@progbits,_ZN7rocprim17ROCPRIM_400000_NS6detail17trampoline_kernelINS0_14default_configENS1_22reduce_config_selectorIiEEZNS1_11reduce_implILb1ES3_N6thrust23THRUST_200600_302600_NS11hip_rocprim35transform_pair_of_input_iterators_tIiPhSB_NS8_12not_equal_toIhEEEEPiiNS8_4plusIiEEEE10hipError_tPvRmT1_T2_T3_mT4_P12ihipStream_tbEUlT_E1_NS1_11comp_targetILNS1_3genE3ELNS1_11target_archE908ELNS1_3gpuE7ELNS1_3repE0EEENS1_30default_config_static_selectorELNS0_4arch9wavefront6targetE1EEEvSL_,comdat
	.protected	_ZN7rocprim17ROCPRIM_400000_NS6detail17trampoline_kernelINS0_14default_configENS1_22reduce_config_selectorIiEEZNS1_11reduce_implILb1ES3_N6thrust23THRUST_200600_302600_NS11hip_rocprim35transform_pair_of_input_iterators_tIiPhSB_NS8_12not_equal_toIhEEEEPiiNS8_4plusIiEEEE10hipError_tPvRmT1_T2_T3_mT4_P12ihipStream_tbEUlT_E1_NS1_11comp_targetILNS1_3genE3ELNS1_11target_archE908ELNS1_3gpuE7ELNS1_3repE0EEENS1_30default_config_static_selectorELNS0_4arch9wavefront6targetE1EEEvSL_ ; -- Begin function _ZN7rocprim17ROCPRIM_400000_NS6detail17trampoline_kernelINS0_14default_configENS1_22reduce_config_selectorIiEEZNS1_11reduce_implILb1ES3_N6thrust23THRUST_200600_302600_NS11hip_rocprim35transform_pair_of_input_iterators_tIiPhSB_NS8_12not_equal_toIhEEEEPiiNS8_4plusIiEEEE10hipError_tPvRmT1_T2_T3_mT4_P12ihipStream_tbEUlT_E1_NS1_11comp_targetILNS1_3genE3ELNS1_11target_archE908ELNS1_3gpuE7ELNS1_3repE0EEENS1_30default_config_static_selectorELNS0_4arch9wavefront6targetE1EEEvSL_
	.globl	_ZN7rocprim17ROCPRIM_400000_NS6detail17trampoline_kernelINS0_14default_configENS1_22reduce_config_selectorIiEEZNS1_11reduce_implILb1ES3_N6thrust23THRUST_200600_302600_NS11hip_rocprim35transform_pair_of_input_iterators_tIiPhSB_NS8_12not_equal_toIhEEEEPiiNS8_4plusIiEEEE10hipError_tPvRmT1_T2_T3_mT4_P12ihipStream_tbEUlT_E1_NS1_11comp_targetILNS1_3genE3ELNS1_11target_archE908ELNS1_3gpuE7ELNS1_3repE0EEENS1_30default_config_static_selectorELNS0_4arch9wavefront6targetE1EEEvSL_
	.p2align	8
	.type	_ZN7rocprim17ROCPRIM_400000_NS6detail17trampoline_kernelINS0_14default_configENS1_22reduce_config_selectorIiEEZNS1_11reduce_implILb1ES3_N6thrust23THRUST_200600_302600_NS11hip_rocprim35transform_pair_of_input_iterators_tIiPhSB_NS8_12not_equal_toIhEEEEPiiNS8_4plusIiEEEE10hipError_tPvRmT1_T2_T3_mT4_P12ihipStream_tbEUlT_E1_NS1_11comp_targetILNS1_3genE3ELNS1_11target_archE908ELNS1_3gpuE7ELNS1_3repE0EEENS1_30default_config_static_selectorELNS0_4arch9wavefront6targetE1EEEvSL_,@function
_ZN7rocprim17ROCPRIM_400000_NS6detail17trampoline_kernelINS0_14default_configENS1_22reduce_config_selectorIiEEZNS1_11reduce_implILb1ES3_N6thrust23THRUST_200600_302600_NS11hip_rocprim35transform_pair_of_input_iterators_tIiPhSB_NS8_12not_equal_toIhEEEEPiiNS8_4plusIiEEEE10hipError_tPvRmT1_T2_T3_mT4_P12ihipStream_tbEUlT_E1_NS1_11comp_targetILNS1_3genE3ELNS1_11target_archE908ELNS1_3gpuE7ELNS1_3repE0EEENS1_30default_config_static_selectorELNS0_4arch9wavefront6targetE1EEEvSL_: ; @_ZN7rocprim17ROCPRIM_400000_NS6detail17trampoline_kernelINS0_14default_configENS1_22reduce_config_selectorIiEEZNS1_11reduce_implILb1ES3_N6thrust23THRUST_200600_302600_NS11hip_rocprim35transform_pair_of_input_iterators_tIiPhSB_NS8_12not_equal_toIhEEEEPiiNS8_4plusIiEEEE10hipError_tPvRmT1_T2_T3_mT4_P12ihipStream_tbEUlT_E1_NS1_11comp_targetILNS1_3genE3ELNS1_11target_archE908ELNS1_3gpuE7ELNS1_3repE0EEENS1_30default_config_static_selectorELNS0_4arch9wavefront6targetE1EEEvSL_
; %bb.0:
	.section	.rodata,"a",@progbits
	.p2align	6, 0x0
	.amdhsa_kernel _ZN7rocprim17ROCPRIM_400000_NS6detail17trampoline_kernelINS0_14default_configENS1_22reduce_config_selectorIiEEZNS1_11reduce_implILb1ES3_N6thrust23THRUST_200600_302600_NS11hip_rocprim35transform_pair_of_input_iterators_tIiPhSB_NS8_12not_equal_toIhEEEEPiiNS8_4plusIiEEEE10hipError_tPvRmT1_T2_T3_mT4_P12ihipStream_tbEUlT_E1_NS1_11comp_targetILNS1_3genE3ELNS1_11target_archE908ELNS1_3gpuE7ELNS1_3repE0EEENS1_30default_config_static_selectorELNS0_4arch9wavefront6targetE1EEEvSL_
		.amdhsa_group_segment_fixed_size 0
		.amdhsa_private_segment_fixed_size 0
		.amdhsa_kernarg_size 56
		.amdhsa_user_sgpr_count 6
		.amdhsa_user_sgpr_private_segment_buffer 1
		.amdhsa_user_sgpr_dispatch_ptr 0
		.amdhsa_user_sgpr_queue_ptr 0
		.amdhsa_user_sgpr_kernarg_segment_ptr 1
		.amdhsa_user_sgpr_dispatch_id 0
		.amdhsa_user_sgpr_flat_scratch_init 0
		.amdhsa_user_sgpr_kernarg_preload_length 0
		.amdhsa_user_sgpr_kernarg_preload_offset 0
		.amdhsa_user_sgpr_private_segment_size 0
		.amdhsa_uses_dynamic_stack 0
		.amdhsa_system_sgpr_private_segment_wavefront_offset 0
		.amdhsa_system_sgpr_workgroup_id_x 1
		.amdhsa_system_sgpr_workgroup_id_y 0
		.amdhsa_system_sgpr_workgroup_id_z 0
		.amdhsa_system_sgpr_workgroup_info 0
		.amdhsa_system_vgpr_workitem_id 0
		.amdhsa_next_free_vgpr 1
		.amdhsa_next_free_sgpr 0
		.amdhsa_accum_offset 4
		.amdhsa_reserve_vcc 0
		.amdhsa_reserve_flat_scratch 0
		.amdhsa_float_round_mode_32 0
		.amdhsa_float_round_mode_16_64 0
		.amdhsa_float_denorm_mode_32 3
		.amdhsa_float_denorm_mode_16_64 3
		.amdhsa_dx10_clamp 1
		.amdhsa_ieee_mode 1
		.amdhsa_fp16_overflow 0
		.amdhsa_tg_split 0
		.amdhsa_exception_fp_ieee_invalid_op 0
		.amdhsa_exception_fp_denorm_src 0
		.amdhsa_exception_fp_ieee_div_zero 0
		.amdhsa_exception_fp_ieee_overflow 0
		.amdhsa_exception_fp_ieee_underflow 0
		.amdhsa_exception_fp_ieee_inexact 0
		.amdhsa_exception_int_div_zero 0
	.end_amdhsa_kernel
	.section	.text._ZN7rocprim17ROCPRIM_400000_NS6detail17trampoline_kernelINS0_14default_configENS1_22reduce_config_selectorIiEEZNS1_11reduce_implILb1ES3_N6thrust23THRUST_200600_302600_NS11hip_rocprim35transform_pair_of_input_iterators_tIiPhSB_NS8_12not_equal_toIhEEEEPiiNS8_4plusIiEEEE10hipError_tPvRmT1_T2_T3_mT4_P12ihipStream_tbEUlT_E1_NS1_11comp_targetILNS1_3genE3ELNS1_11target_archE908ELNS1_3gpuE7ELNS1_3repE0EEENS1_30default_config_static_selectorELNS0_4arch9wavefront6targetE1EEEvSL_,"axG",@progbits,_ZN7rocprim17ROCPRIM_400000_NS6detail17trampoline_kernelINS0_14default_configENS1_22reduce_config_selectorIiEEZNS1_11reduce_implILb1ES3_N6thrust23THRUST_200600_302600_NS11hip_rocprim35transform_pair_of_input_iterators_tIiPhSB_NS8_12not_equal_toIhEEEEPiiNS8_4plusIiEEEE10hipError_tPvRmT1_T2_T3_mT4_P12ihipStream_tbEUlT_E1_NS1_11comp_targetILNS1_3genE3ELNS1_11target_archE908ELNS1_3gpuE7ELNS1_3repE0EEENS1_30default_config_static_selectorELNS0_4arch9wavefront6targetE1EEEvSL_,comdat
.Lfunc_end348:
	.size	_ZN7rocprim17ROCPRIM_400000_NS6detail17trampoline_kernelINS0_14default_configENS1_22reduce_config_selectorIiEEZNS1_11reduce_implILb1ES3_N6thrust23THRUST_200600_302600_NS11hip_rocprim35transform_pair_of_input_iterators_tIiPhSB_NS8_12not_equal_toIhEEEEPiiNS8_4plusIiEEEE10hipError_tPvRmT1_T2_T3_mT4_P12ihipStream_tbEUlT_E1_NS1_11comp_targetILNS1_3genE3ELNS1_11target_archE908ELNS1_3gpuE7ELNS1_3repE0EEENS1_30default_config_static_selectorELNS0_4arch9wavefront6targetE1EEEvSL_, .Lfunc_end348-_ZN7rocprim17ROCPRIM_400000_NS6detail17trampoline_kernelINS0_14default_configENS1_22reduce_config_selectorIiEEZNS1_11reduce_implILb1ES3_N6thrust23THRUST_200600_302600_NS11hip_rocprim35transform_pair_of_input_iterators_tIiPhSB_NS8_12not_equal_toIhEEEEPiiNS8_4plusIiEEEE10hipError_tPvRmT1_T2_T3_mT4_P12ihipStream_tbEUlT_E1_NS1_11comp_targetILNS1_3genE3ELNS1_11target_archE908ELNS1_3gpuE7ELNS1_3repE0EEENS1_30default_config_static_selectorELNS0_4arch9wavefront6targetE1EEEvSL_
                                        ; -- End function
	.section	.AMDGPU.csdata,"",@progbits
; Kernel info:
; codeLenInByte = 0
; NumSgprs: 4
; NumVgprs: 0
; NumAgprs: 0
; TotalNumVgprs: 0
; ScratchSize: 0
; MemoryBound: 0
; FloatMode: 240
; IeeeMode: 1
; LDSByteSize: 0 bytes/workgroup (compile time only)
; SGPRBlocks: 0
; VGPRBlocks: 0
; NumSGPRsForWavesPerEU: 4
; NumVGPRsForWavesPerEU: 1
; AccumOffset: 4
; Occupancy: 8
; WaveLimiterHint : 0
; COMPUTE_PGM_RSRC2:SCRATCH_EN: 0
; COMPUTE_PGM_RSRC2:USER_SGPR: 6
; COMPUTE_PGM_RSRC2:TRAP_HANDLER: 0
; COMPUTE_PGM_RSRC2:TGID_X_EN: 1
; COMPUTE_PGM_RSRC2:TGID_Y_EN: 0
; COMPUTE_PGM_RSRC2:TGID_Z_EN: 0
; COMPUTE_PGM_RSRC2:TIDIG_COMP_CNT: 0
; COMPUTE_PGM_RSRC3_GFX90A:ACCUM_OFFSET: 0
; COMPUTE_PGM_RSRC3_GFX90A:TG_SPLIT: 0
	.section	.text._ZN7rocprim17ROCPRIM_400000_NS6detail17trampoline_kernelINS0_14default_configENS1_22reduce_config_selectorIiEEZNS1_11reduce_implILb1ES3_N6thrust23THRUST_200600_302600_NS11hip_rocprim35transform_pair_of_input_iterators_tIiPhSB_NS8_12not_equal_toIhEEEEPiiNS8_4plusIiEEEE10hipError_tPvRmT1_T2_T3_mT4_P12ihipStream_tbEUlT_E1_NS1_11comp_targetILNS1_3genE2ELNS1_11target_archE906ELNS1_3gpuE6ELNS1_3repE0EEENS1_30default_config_static_selectorELNS0_4arch9wavefront6targetE1EEEvSL_,"axG",@progbits,_ZN7rocprim17ROCPRIM_400000_NS6detail17trampoline_kernelINS0_14default_configENS1_22reduce_config_selectorIiEEZNS1_11reduce_implILb1ES3_N6thrust23THRUST_200600_302600_NS11hip_rocprim35transform_pair_of_input_iterators_tIiPhSB_NS8_12not_equal_toIhEEEEPiiNS8_4plusIiEEEE10hipError_tPvRmT1_T2_T3_mT4_P12ihipStream_tbEUlT_E1_NS1_11comp_targetILNS1_3genE2ELNS1_11target_archE906ELNS1_3gpuE6ELNS1_3repE0EEENS1_30default_config_static_selectorELNS0_4arch9wavefront6targetE1EEEvSL_,comdat
	.protected	_ZN7rocprim17ROCPRIM_400000_NS6detail17trampoline_kernelINS0_14default_configENS1_22reduce_config_selectorIiEEZNS1_11reduce_implILb1ES3_N6thrust23THRUST_200600_302600_NS11hip_rocprim35transform_pair_of_input_iterators_tIiPhSB_NS8_12not_equal_toIhEEEEPiiNS8_4plusIiEEEE10hipError_tPvRmT1_T2_T3_mT4_P12ihipStream_tbEUlT_E1_NS1_11comp_targetILNS1_3genE2ELNS1_11target_archE906ELNS1_3gpuE6ELNS1_3repE0EEENS1_30default_config_static_selectorELNS0_4arch9wavefront6targetE1EEEvSL_ ; -- Begin function _ZN7rocprim17ROCPRIM_400000_NS6detail17trampoline_kernelINS0_14default_configENS1_22reduce_config_selectorIiEEZNS1_11reduce_implILb1ES3_N6thrust23THRUST_200600_302600_NS11hip_rocprim35transform_pair_of_input_iterators_tIiPhSB_NS8_12not_equal_toIhEEEEPiiNS8_4plusIiEEEE10hipError_tPvRmT1_T2_T3_mT4_P12ihipStream_tbEUlT_E1_NS1_11comp_targetILNS1_3genE2ELNS1_11target_archE906ELNS1_3gpuE6ELNS1_3repE0EEENS1_30default_config_static_selectorELNS0_4arch9wavefront6targetE1EEEvSL_
	.globl	_ZN7rocprim17ROCPRIM_400000_NS6detail17trampoline_kernelINS0_14default_configENS1_22reduce_config_selectorIiEEZNS1_11reduce_implILb1ES3_N6thrust23THRUST_200600_302600_NS11hip_rocprim35transform_pair_of_input_iterators_tIiPhSB_NS8_12not_equal_toIhEEEEPiiNS8_4plusIiEEEE10hipError_tPvRmT1_T2_T3_mT4_P12ihipStream_tbEUlT_E1_NS1_11comp_targetILNS1_3genE2ELNS1_11target_archE906ELNS1_3gpuE6ELNS1_3repE0EEENS1_30default_config_static_selectorELNS0_4arch9wavefront6targetE1EEEvSL_
	.p2align	8
	.type	_ZN7rocprim17ROCPRIM_400000_NS6detail17trampoline_kernelINS0_14default_configENS1_22reduce_config_selectorIiEEZNS1_11reduce_implILb1ES3_N6thrust23THRUST_200600_302600_NS11hip_rocprim35transform_pair_of_input_iterators_tIiPhSB_NS8_12not_equal_toIhEEEEPiiNS8_4plusIiEEEE10hipError_tPvRmT1_T2_T3_mT4_P12ihipStream_tbEUlT_E1_NS1_11comp_targetILNS1_3genE2ELNS1_11target_archE906ELNS1_3gpuE6ELNS1_3repE0EEENS1_30default_config_static_selectorELNS0_4arch9wavefront6targetE1EEEvSL_,@function
_ZN7rocprim17ROCPRIM_400000_NS6detail17trampoline_kernelINS0_14default_configENS1_22reduce_config_selectorIiEEZNS1_11reduce_implILb1ES3_N6thrust23THRUST_200600_302600_NS11hip_rocprim35transform_pair_of_input_iterators_tIiPhSB_NS8_12not_equal_toIhEEEEPiiNS8_4plusIiEEEE10hipError_tPvRmT1_T2_T3_mT4_P12ihipStream_tbEUlT_E1_NS1_11comp_targetILNS1_3genE2ELNS1_11target_archE906ELNS1_3gpuE6ELNS1_3repE0EEENS1_30default_config_static_selectorELNS0_4arch9wavefront6targetE1EEEvSL_: ; @_ZN7rocprim17ROCPRIM_400000_NS6detail17trampoline_kernelINS0_14default_configENS1_22reduce_config_selectorIiEEZNS1_11reduce_implILb1ES3_N6thrust23THRUST_200600_302600_NS11hip_rocprim35transform_pair_of_input_iterators_tIiPhSB_NS8_12not_equal_toIhEEEEPiiNS8_4plusIiEEEE10hipError_tPvRmT1_T2_T3_mT4_P12ihipStream_tbEUlT_E1_NS1_11comp_targetILNS1_3genE2ELNS1_11target_archE906ELNS1_3gpuE6ELNS1_3repE0EEENS1_30default_config_static_selectorELNS0_4arch9wavefront6targetE1EEEvSL_
; %bb.0:
	.section	.rodata,"a",@progbits
	.p2align	6, 0x0
	.amdhsa_kernel _ZN7rocprim17ROCPRIM_400000_NS6detail17trampoline_kernelINS0_14default_configENS1_22reduce_config_selectorIiEEZNS1_11reduce_implILb1ES3_N6thrust23THRUST_200600_302600_NS11hip_rocprim35transform_pair_of_input_iterators_tIiPhSB_NS8_12not_equal_toIhEEEEPiiNS8_4plusIiEEEE10hipError_tPvRmT1_T2_T3_mT4_P12ihipStream_tbEUlT_E1_NS1_11comp_targetILNS1_3genE2ELNS1_11target_archE906ELNS1_3gpuE6ELNS1_3repE0EEENS1_30default_config_static_selectorELNS0_4arch9wavefront6targetE1EEEvSL_
		.amdhsa_group_segment_fixed_size 0
		.amdhsa_private_segment_fixed_size 0
		.amdhsa_kernarg_size 56
		.amdhsa_user_sgpr_count 6
		.amdhsa_user_sgpr_private_segment_buffer 1
		.amdhsa_user_sgpr_dispatch_ptr 0
		.amdhsa_user_sgpr_queue_ptr 0
		.amdhsa_user_sgpr_kernarg_segment_ptr 1
		.amdhsa_user_sgpr_dispatch_id 0
		.amdhsa_user_sgpr_flat_scratch_init 0
		.amdhsa_user_sgpr_kernarg_preload_length 0
		.amdhsa_user_sgpr_kernarg_preload_offset 0
		.amdhsa_user_sgpr_private_segment_size 0
		.amdhsa_uses_dynamic_stack 0
		.amdhsa_system_sgpr_private_segment_wavefront_offset 0
		.amdhsa_system_sgpr_workgroup_id_x 1
		.amdhsa_system_sgpr_workgroup_id_y 0
		.amdhsa_system_sgpr_workgroup_id_z 0
		.amdhsa_system_sgpr_workgroup_info 0
		.amdhsa_system_vgpr_workitem_id 0
		.amdhsa_next_free_vgpr 1
		.amdhsa_next_free_sgpr 0
		.amdhsa_accum_offset 4
		.amdhsa_reserve_vcc 0
		.amdhsa_reserve_flat_scratch 0
		.amdhsa_float_round_mode_32 0
		.amdhsa_float_round_mode_16_64 0
		.amdhsa_float_denorm_mode_32 3
		.amdhsa_float_denorm_mode_16_64 3
		.amdhsa_dx10_clamp 1
		.amdhsa_ieee_mode 1
		.amdhsa_fp16_overflow 0
		.amdhsa_tg_split 0
		.amdhsa_exception_fp_ieee_invalid_op 0
		.amdhsa_exception_fp_denorm_src 0
		.amdhsa_exception_fp_ieee_div_zero 0
		.amdhsa_exception_fp_ieee_overflow 0
		.amdhsa_exception_fp_ieee_underflow 0
		.amdhsa_exception_fp_ieee_inexact 0
		.amdhsa_exception_int_div_zero 0
	.end_amdhsa_kernel
	.section	.text._ZN7rocprim17ROCPRIM_400000_NS6detail17trampoline_kernelINS0_14default_configENS1_22reduce_config_selectorIiEEZNS1_11reduce_implILb1ES3_N6thrust23THRUST_200600_302600_NS11hip_rocprim35transform_pair_of_input_iterators_tIiPhSB_NS8_12not_equal_toIhEEEEPiiNS8_4plusIiEEEE10hipError_tPvRmT1_T2_T3_mT4_P12ihipStream_tbEUlT_E1_NS1_11comp_targetILNS1_3genE2ELNS1_11target_archE906ELNS1_3gpuE6ELNS1_3repE0EEENS1_30default_config_static_selectorELNS0_4arch9wavefront6targetE1EEEvSL_,"axG",@progbits,_ZN7rocprim17ROCPRIM_400000_NS6detail17trampoline_kernelINS0_14default_configENS1_22reduce_config_selectorIiEEZNS1_11reduce_implILb1ES3_N6thrust23THRUST_200600_302600_NS11hip_rocprim35transform_pair_of_input_iterators_tIiPhSB_NS8_12not_equal_toIhEEEEPiiNS8_4plusIiEEEE10hipError_tPvRmT1_T2_T3_mT4_P12ihipStream_tbEUlT_E1_NS1_11comp_targetILNS1_3genE2ELNS1_11target_archE906ELNS1_3gpuE6ELNS1_3repE0EEENS1_30default_config_static_selectorELNS0_4arch9wavefront6targetE1EEEvSL_,comdat
.Lfunc_end349:
	.size	_ZN7rocprim17ROCPRIM_400000_NS6detail17trampoline_kernelINS0_14default_configENS1_22reduce_config_selectorIiEEZNS1_11reduce_implILb1ES3_N6thrust23THRUST_200600_302600_NS11hip_rocprim35transform_pair_of_input_iterators_tIiPhSB_NS8_12not_equal_toIhEEEEPiiNS8_4plusIiEEEE10hipError_tPvRmT1_T2_T3_mT4_P12ihipStream_tbEUlT_E1_NS1_11comp_targetILNS1_3genE2ELNS1_11target_archE906ELNS1_3gpuE6ELNS1_3repE0EEENS1_30default_config_static_selectorELNS0_4arch9wavefront6targetE1EEEvSL_, .Lfunc_end349-_ZN7rocprim17ROCPRIM_400000_NS6detail17trampoline_kernelINS0_14default_configENS1_22reduce_config_selectorIiEEZNS1_11reduce_implILb1ES3_N6thrust23THRUST_200600_302600_NS11hip_rocprim35transform_pair_of_input_iterators_tIiPhSB_NS8_12not_equal_toIhEEEEPiiNS8_4plusIiEEEE10hipError_tPvRmT1_T2_T3_mT4_P12ihipStream_tbEUlT_E1_NS1_11comp_targetILNS1_3genE2ELNS1_11target_archE906ELNS1_3gpuE6ELNS1_3repE0EEENS1_30default_config_static_selectorELNS0_4arch9wavefront6targetE1EEEvSL_
                                        ; -- End function
	.section	.AMDGPU.csdata,"",@progbits
; Kernel info:
; codeLenInByte = 0
; NumSgprs: 4
; NumVgprs: 0
; NumAgprs: 0
; TotalNumVgprs: 0
; ScratchSize: 0
; MemoryBound: 0
; FloatMode: 240
; IeeeMode: 1
; LDSByteSize: 0 bytes/workgroup (compile time only)
; SGPRBlocks: 0
; VGPRBlocks: 0
; NumSGPRsForWavesPerEU: 4
; NumVGPRsForWavesPerEU: 1
; AccumOffset: 4
; Occupancy: 8
; WaveLimiterHint : 0
; COMPUTE_PGM_RSRC2:SCRATCH_EN: 0
; COMPUTE_PGM_RSRC2:USER_SGPR: 6
; COMPUTE_PGM_RSRC2:TRAP_HANDLER: 0
; COMPUTE_PGM_RSRC2:TGID_X_EN: 1
; COMPUTE_PGM_RSRC2:TGID_Y_EN: 0
; COMPUTE_PGM_RSRC2:TGID_Z_EN: 0
; COMPUTE_PGM_RSRC2:TIDIG_COMP_CNT: 0
; COMPUTE_PGM_RSRC3_GFX90A:ACCUM_OFFSET: 0
; COMPUTE_PGM_RSRC3_GFX90A:TG_SPLIT: 0
	.section	.text._ZN7rocprim17ROCPRIM_400000_NS6detail17trampoline_kernelINS0_14default_configENS1_22reduce_config_selectorIiEEZNS1_11reduce_implILb1ES3_N6thrust23THRUST_200600_302600_NS11hip_rocprim35transform_pair_of_input_iterators_tIiPhSB_NS8_12not_equal_toIhEEEEPiiNS8_4plusIiEEEE10hipError_tPvRmT1_T2_T3_mT4_P12ihipStream_tbEUlT_E1_NS1_11comp_targetILNS1_3genE10ELNS1_11target_archE1201ELNS1_3gpuE5ELNS1_3repE0EEENS1_30default_config_static_selectorELNS0_4arch9wavefront6targetE1EEEvSL_,"axG",@progbits,_ZN7rocprim17ROCPRIM_400000_NS6detail17trampoline_kernelINS0_14default_configENS1_22reduce_config_selectorIiEEZNS1_11reduce_implILb1ES3_N6thrust23THRUST_200600_302600_NS11hip_rocprim35transform_pair_of_input_iterators_tIiPhSB_NS8_12not_equal_toIhEEEEPiiNS8_4plusIiEEEE10hipError_tPvRmT1_T2_T3_mT4_P12ihipStream_tbEUlT_E1_NS1_11comp_targetILNS1_3genE10ELNS1_11target_archE1201ELNS1_3gpuE5ELNS1_3repE0EEENS1_30default_config_static_selectorELNS0_4arch9wavefront6targetE1EEEvSL_,comdat
	.protected	_ZN7rocprim17ROCPRIM_400000_NS6detail17trampoline_kernelINS0_14default_configENS1_22reduce_config_selectorIiEEZNS1_11reduce_implILb1ES3_N6thrust23THRUST_200600_302600_NS11hip_rocprim35transform_pair_of_input_iterators_tIiPhSB_NS8_12not_equal_toIhEEEEPiiNS8_4plusIiEEEE10hipError_tPvRmT1_T2_T3_mT4_P12ihipStream_tbEUlT_E1_NS1_11comp_targetILNS1_3genE10ELNS1_11target_archE1201ELNS1_3gpuE5ELNS1_3repE0EEENS1_30default_config_static_selectorELNS0_4arch9wavefront6targetE1EEEvSL_ ; -- Begin function _ZN7rocprim17ROCPRIM_400000_NS6detail17trampoline_kernelINS0_14default_configENS1_22reduce_config_selectorIiEEZNS1_11reduce_implILb1ES3_N6thrust23THRUST_200600_302600_NS11hip_rocprim35transform_pair_of_input_iterators_tIiPhSB_NS8_12not_equal_toIhEEEEPiiNS8_4plusIiEEEE10hipError_tPvRmT1_T2_T3_mT4_P12ihipStream_tbEUlT_E1_NS1_11comp_targetILNS1_3genE10ELNS1_11target_archE1201ELNS1_3gpuE5ELNS1_3repE0EEENS1_30default_config_static_selectorELNS0_4arch9wavefront6targetE1EEEvSL_
	.globl	_ZN7rocprim17ROCPRIM_400000_NS6detail17trampoline_kernelINS0_14default_configENS1_22reduce_config_selectorIiEEZNS1_11reduce_implILb1ES3_N6thrust23THRUST_200600_302600_NS11hip_rocprim35transform_pair_of_input_iterators_tIiPhSB_NS8_12not_equal_toIhEEEEPiiNS8_4plusIiEEEE10hipError_tPvRmT1_T2_T3_mT4_P12ihipStream_tbEUlT_E1_NS1_11comp_targetILNS1_3genE10ELNS1_11target_archE1201ELNS1_3gpuE5ELNS1_3repE0EEENS1_30default_config_static_selectorELNS0_4arch9wavefront6targetE1EEEvSL_
	.p2align	8
	.type	_ZN7rocprim17ROCPRIM_400000_NS6detail17trampoline_kernelINS0_14default_configENS1_22reduce_config_selectorIiEEZNS1_11reduce_implILb1ES3_N6thrust23THRUST_200600_302600_NS11hip_rocprim35transform_pair_of_input_iterators_tIiPhSB_NS8_12not_equal_toIhEEEEPiiNS8_4plusIiEEEE10hipError_tPvRmT1_T2_T3_mT4_P12ihipStream_tbEUlT_E1_NS1_11comp_targetILNS1_3genE10ELNS1_11target_archE1201ELNS1_3gpuE5ELNS1_3repE0EEENS1_30default_config_static_selectorELNS0_4arch9wavefront6targetE1EEEvSL_,@function
_ZN7rocprim17ROCPRIM_400000_NS6detail17trampoline_kernelINS0_14default_configENS1_22reduce_config_selectorIiEEZNS1_11reduce_implILb1ES3_N6thrust23THRUST_200600_302600_NS11hip_rocprim35transform_pair_of_input_iterators_tIiPhSB_NS8_12not_equal_toIhEEEEPiiNS8_4plusIiEEEE10hipError_tPvRmT1_T2_T3_mT4_P12ihipStream_tbEUlT_E1_NS1_11comp_targetILNS1_3genE10ELNS1_11target_archE1201ELNS1_3gpuE5ELNS1_3repE0EEENS1_30default_config_static_selectorELNS0_4arch9wavefront6targetE1EEEvSL_: ; @_ZN7rocprim17ROCPRIM_400000_NS6detail17trampoline_kernelINS0_14default_configENS1_22reduce_config_selectorIiEEZNS1_11reduce_implILb1ES3_N6thrust23THRUST_200600_302600_NS11hip_rocprim35transform_pair_of_input_iterators_tIiPhSB_NS8_12not_equal_toIhEEEEPiiNS8_4plusIiEEEE10hipError_tPvRmT1_T2_T3_mT4_P12ihipStream_tbEUlT_E1_NS1_11comp_targetILNS1_3genE10ELNS1_11target_archE1201ELNS1_3gpuE5ELNS1_3repE0EEENS1_30default_config_static_selectorELNS0_4arch9wavefront6targetE1EEEvSL_
; %bb.0:
	.section	.rodata,"a",@progbits
	.p2align	6, 0x0
	.amdhsa_kernel _ZN7rocprim17ROCPRIM_400000_NS6detail17trampoline_kernelINS0_14default_configENS1_22reduce_config_selectorIiEEZNS1_11reduce_implILb1ES3_N6thrust23THRUST_200600_302600_NS11hip_rocprim35transform_pair_of_input_iterators_tIiPhSB_NS8_12not_equal_toIhEEEEPiiNS8_4plusIiEEEE10hipError_tPvRmT1_T2_T3_mT4_P12ihipStream_tbEUlT_E1_NS1_11comp_targetILNS1_3genE10ELNS1_11target_archE1201ELNS1_3gpuE5ELNS1_3repE0EEENS1_30default_config_static_selectorELNS0_4arch9wavefront6targetE1EEEvSL_
		.amdhsa_group_segment_fixed_size 0
		.amdhsa_private_segment_fixed_size 0
		.amdhsa_kernarg_size 56
		.amdhsa_user_sgpr_count 6
		.amdhsa_user_sgpr_private_segment_buffer 1
		.amdhsa_user_sgpr_dispatch_ptr 0
		.amdhsa_user_sgpr_queue_ptr 0
		.amdhsa_user_sgpr_kernarg_segment_ptr 1
		.amdhsa_user_sgpr_dispatch_id 0
		.amdhsa_user_sgpr_flat_scratch_init 0
		.amdhsa_user_sgpr_kernarg_preload_length 0
		.amdhsa_user_sgpr_kernarg_preload_offset 0
		.amdhsa_user_sgpr_private_segment_size 0
		.amdhsa_uses_dynamic_stack 0
		.amdhsa_system_sgpr_private_segment_wavefront_offset 0
		.amdhsa_system_sgpr_workgroup_id_x 1
		.amdhsa_system_sgpr_workgroup_id_y 0
		.amdhsa_system_sgpr_workgroup_id_z 0
		.amdhsa_system_sgpr_workgroup_info 0
		.amdhsa_system_vgpr_workitem_id 0
		.amdhsa_next_free_vgpr 1
		.amdhsa_next_free_sgpr 0
		.amdhsa_accum_offset 4
		.amdhsa_reserve_vcc 0
		.amdhsa_reserve_flat_scratch 0
		.amdhsa_float_round_mode_32 0
		.amdhsa_float_round_mode_16_64 0
		.amdhsa_float_denorm_mode_32 3
		.amdhsa_float_denorm_mode_16_64 3
		.amdhsa_dx10_clamp 1
		.amdhsa_ieee_mode 1
		.amdhsa_fp16_overflow 0
		.amdhsa_tg_split 0
		.amdhsa_exception_fp_ieee_invalid_op 0
		.amdhsa_exception_fp_denorm_src 0
		.amdhsa_exception_fp_ieee_div_zero 0
		.amdhsa_exception_fp_ieee_overflow 0
		.amdhsa_exception_fp_ieee_underflow 0
		.amdhsa_exception_fp_ieee_inexact 0
		.amdhsa_exception_int_div_zero 0
	.end_amdhsa_kernel
	.section	.text._ZN7rocprim17ROCPRIM_400000_NS6detail17trampoline_kernelINS0_14default_configENS1_22reduce_config_selectorIiEEZNS1_11reduce_implILb1ES3_N6thrust23THRUST_200600_302600_NS11hip_rocprim35transform_pair_of_input_iterators_tIiPhSB_NS8_12not_equal_toIhEEEEPiiNS8_4plusIiEEEE10hipError_tPvRmT1_T2_T3_mT4_P12ihipStream_tbEUlT_E1_NS1_11comp_targetILNS1_3genE10ELNS1_11target_archE1201ELNS1_3gpuE5ELNS1_3repE0EEENS1_30default_config_static_selectorELNS0_4arch9wavefront6targetE1EEEvSL_,"axG",@progbits,_ZN7rocprim17ROCPRIM_400000_NS6detail17trampoline_kernelINS0_14default_configENS1_22reduce_config_selectorIiEEZNS1_11reduce_implILb1ES3_N6thrust23THRUST_200600_302600_NS11hip_rocprim35transform_pair_of_input_iterators_tIiPhSB_NS8_12not_equal_toIhEEEEPiiNS8_4plusIiEEEE10hipError_tPvRmT1_T2_T3_mT4_P12ihipStream_tbEUlT_E1_NS1_11comp_targetILNS1_3genE10ELNS1_11target_archE1201ELNS1_3gpuE5ELNS1_3repE0EEENS1_30default_config_static_selectorELNS0_4arch9wavefront6targetE1EEEvSL_,comdat
.Lfunc_end350:
	.size	_ZN7rocprim17ROCPRIM_400000_NS6detail17trampoline_kernelINS0_14default_configENS1_22reduce_config_selectorIiEEZNS1_11reduce_implILb1ES3_N6thrust23THRUST_200600_302600_NS11hip_rocprim35transform_pair_of_input_iterators_tIiPhSB_NS8_12not_equal_toIhEEEEPiiNS8_4plusIiEEEE10hipError_tPvRmT1_T2_T3_mT4_P12ihipStream_tbEUlT_E1_NS1_11comp_targetILNS1_3genE10ELNS1_11target_archE1201ELNS1_3gpuE5ELNS1_3repE0EEENS1_30default_config_static_selectorELNS0_4arch9wavefront6targetE1EEEvSL_, .Lfunc_end350-_ZN7rocprim17ROCPRIM_400000_NS6detail17trampoline_kernelINS0_14default_configENS1_22reduce_config_selectorIiEEZNS1_11reduce_implILb1ES3_N6thrust23THRUST_200600_302600_NS11hip_rocprim35transform_pair_of_input_iterators_tIiPhSB_NS8_12not_equal_toIhEEEEPiiNS8_4plusIiEEEE10hipError_tPvRmT1_T2_T3_mT4_P12ihipStream_tbEUlT_E1_NS1_11comp_targetILNS1_3genE10ELNS1_11target_archE1201ELNS1_3gpuE5ELNS1_3repE0EEENS1_30default_config_static_selectorELNS0_4arch9wavefront6targetE1EEEvSL_
                                        ; -- End function
	.section	.AMDGPU.csdata,"",@progbits
; Kernel info:
; codeLenInByte = 0
; NumSgprs: 4
; NumVgprs: 0
; NumAgprs: 0
; TotalNumVgprs: 0
; ScratchSize: 0
; MemoryBound: 0
; FloatMode: 240
; IeeeMode: 1
; LDSByteSize: 0 bytes/workgroup (compile time only)
; SGPRBlocks: 0
; VGPRBlocks: 0
; NumSGPRsForWavesPerEU: 4
; NumVGPRsForWavesPerEU: 1
; AccumOffset: 4
; Occupancy: 8
; WaveLimiterHint : 0
; COMPUTE_PGM_RSRC2:SCRATCH_EN: 0
; COMPUTE_PGM_RSRC2:USER_SGPR: 6
; COMPUTE_PGM_RSRC2:TRAP_HANDLER: 0
; COMPUTE_PGM_RSRC2:TGID_X_EN: 1
; COMPUTE_PGM_RSRC2:TGID_Y_EN: 0
; COMPUTE_PGM_RSRC2:TGID_Z_EN: 0
; COMPUTE_PGM_RSRC2:TIDIG_COMP_CNT: 0
; COMPUTE_PGM_RSRC3_GFX90A:ACCUM_OFFSET: 0
; COMPUTE_PGM_RSRC3_GFX90A:TG_SPLIT: 0
	.section	.text._ZN7rocprim17ROCPRIM_400000_NS6detail17trampoline_kernelINS0_14default_configENS1_22reduce_config_selectorIiEEZNS1_11reduce_implILb1ES3_N6thrust23THRUST_200600_302600_NS11hip_rocprim35transform_pair_of_input_iterators_tIiPhSB_NS8_12not_equal_toIhEEEEPiiNS8_4plusIiEEEE10hipError_tPvRmT1_T2_T3_mT4_P12ihipStream_tbEUlT_E1_NS1_11comp_targetILNS1_3genE10ELNS1_11target_archE1200ELNS1_3gpuE4ELNS1_3repE0EEENS1_30default_config_static_selectorELNS0_4arch9wavefront6targetE1EEEvSL_,"axG",@progbits,_ZN7rocprim17ROCPRIM_400000_NS6detail17trampoline_kernelINS0_14default_configENS1_22reduce_config_selectorIiEEZNS1_11reduce_implILb1ES3_N6thrust23THRUST_200600_302600_NS11hip_rocprim35transform_pair_of_input_iterators_tIiPhSB_NS8_12not_equal_toIhEEEEPiiNS8_4plusIiEEEE10hipError_tPvRmT1_T2_T3_mT4_P12ihipStream_tbEUlT_E1_NS1_11comp_targetILNS1_3genE10ELNS1_11target_archE1200ELNS1_3gpuE4ELNS1_3repE0EEENS1_30default_config_static_selectorELNS0_4arch9wavefront6targetE1EEEvSL_,comdat
	.protected	_ZN7rocprim17ROCPRIM_400000_NS6detail17trampoline_kernelINS0_14default_configENS1_22reduce_config_selectorIiEEZNS1_11reduce_implILb1ES3_N6thrust23THRUST_200600_302600_NS11hip_rocprim35transform_pair_of_input_iterators_tIiPhSB_NS8_12not_equal_toIhEEEEPiiNS8_4plusIiEEEE10hipError_tPvRmT1_T2_T3_mT4_P12ihipStream_tbEUlT_E1_NS1_11comp_targetILNS1_3genE10ELNS1_11target_archE1200ELNS1_3gpuE4ELNS1_3repE0EEENS1_30default_config_static_selectorELNS0_4arch9wavefront6targetE1EEEvSL_ ; -- Begin function _ZN7rocprim17ROCPRIM_400000_NS6detail17trampoline_kernelINS0_14default_configENS1_22reduce_config_selectorIiEEZNS1_11reduce_implILb1ES3_N6thrust23THRUST_200600_302600_NS11hip_rocprim35transform_pair_of_input_iterators_tIiPhSB_NS8_12not_equal_toIhEEEEPiiNS8_4plusIiEEEE10hipError_tPvRmT1_T2_T3_mT4_P12ihipStream_tbEUlT_E1_NS1_11comp_targetILNS1_3genE10ELNS1_11target_archE1200ELNS1_3gpuE4ELNS1_3repE0EEENS1_30default_config_static_selectorELNS0_4arch9wavefront6targetE1EEEvSL_
	.globl	_ZN7rocprim17ROCPRIM_400000_NS6detail17trampoline_kernelINS0_14default_configENS1_22reduce_config_selectorIiEEZNS1_11reduce_implILb1ES3_N6thrust23THRUST_200600_302600_NS11hip_rocprim35transform_pair_of_input_iterators_tIiPhSB_NS8_12not_equal_toIhEEEEPiiNS8_4plusIiEEEE10hipError_tPvRmT1_T2_T3_mT4_P12ihipStream_tbEUlT_E1_NS1_11comp_targetILNS1_3genE10ELNS1_11target_archE1200ELNS1_3gpuE4ELNS1_3repE0EEENS1_30default_config_static_selectorELNS0_4arch9wavefront6targetE1EEEvSL_
	.p2align	8
	.type	_ZN7rocprim17ROCPRIM_400000_NS6detail17trampoline_kernelINS0_14default_configENS1_22reduce_config_selectorIiEEZNS1_11reduce_implILb1ES3_N6thrust23THRUST_200600_302600_NS11hip_rocprim35transform_pair_of_input_iterators_tIiPhSB_NS8_12not_equal_toIhEEEEPiiNS8_4plusIiEEEE10hipError_tPvRmT1_T2_T3_mT4_P12ihipStream_tbEUlT_E1_NS1_11comp_targetILNS1_3genE10ELNS1_11target_archE1200ELNS1_3gpuE4ELNS1_3repE0EEENS1_30default_config_static_selectorELNS0_4arch9wavefront6targetE1EEEvSL_,@function
_ZN7rocprim17ROCPRIM_400000_NS6detail17trampoline_kernelINS0_14default_configENS1_22reduce_config_selectorIiEEZNS1_11reduce_implILb1ES3_N6thrust23THRUST_200600_302600_NS11hip_rocprim35transform_pair_of_input_iterators_tIiPhSB_NS8_12not_equal_toIhEEEEPiiNS8_4plusIiEEEE10hipError_tPvRmT1_T2_T3_mT4_P12ihipStream_tbEUlT_E1_NS1_11comp_targetILNS1_3genE10ELNS1_11target_archE1200ELNS1_3gpuE4ELNS1_3repE0EEENS1_30default_config_static_selectorELNS0_4arch9wavefront6targetE1EEEvSL_: ; @_ZN7rocprim17ROCPRIM_400000_NS6detail17trampoline_kernelINS0_14default_configENS1_22reduce_config_selectorIiEEZNS1_11reduce_implILb1ES3_N6thrust23THRUST_200600_302600_NS11hip_rocprim35transform_pair_of_input_iterators_tIiPhSB_NS8_12not_equal_toIhEEEEPiiNS8_4plusIiEEEE10hipError_tPvRmT1_T2_T3_mT4_P12ihipStream_tbEUlT_E1_NS1_11comp_targetILNS1_3genE10ELNS1_11target_archE1200ELNS1_3gpuE4ELNS1_3repE0EEENS1_30default_config_static_selectorELNS0_4arch9wavefront6targetE1EEEvSL_
; %bb.0:
	.section	.rodata,"a",@progbits
	.p2align	6, 0x0
	.amdhsa_kernel _ZN7rocprim17ROCPRIM_400000_NS6detail17trampoline_kernelINS0_14default_configENS1_22reduce_config_selectorIiEEZNS1_11reduce_implILb1ES3_N6thrust23THRUST_200600_302600_NS11hip_rocprim35transform_pair_of_input_iterators_tIiPhSB_NS8_12not_equal_toIhEEEEPiiNS8_4plusIiEEEE10hipError_tPvRmT1_T2_T3_mT4_P12ihipStream_tbEUlT_E1_NS1_11comp_targetILNS1_3genE10ELNS1_11target_archE1200ELNS1_3gpuE4ELNS1_3repE0EEENS1_30default_config_static_selectorELNS0_4arch9wavefront6targetE1EEEvSL_
		.amdhsa_group_segment_fixed_size 0
		.amdhsa_private_segment_fixed_size 0
		.amdhsa_kernarg_size 56
		.amdhsa_user_sgpr_count 6
		.amdhsa_user_sgpr_private_segment_buffer 1
		.amdhsa_user_sgpr_dispatch_ptr 0
		.amdhsa_user_sgpr_queue_ptr 0
		.amdhsa_user_sgpr_kernarg_segment_ptr 1
		.amdhsa_user_sgpr_dispatch_id 0
		.amdhsa_user_sgpr_flat_scratch_init 0
		.amdhsa_user_sgpr_kernarg_preload_length 0
		.amdhsa_user_sgpr_kernarg_preload_offset 0
		.amdhsa_user_sgpr_private_segment_size 0
		.amdhsa_uses_dynamic_stack 0
		.amdhsa_system_sgpr_private_segment_wavefront_offset 0
		.amdhsa_system_sgpr_workgroup_id_x 1
		.amdhsa_system_sgpr_workgroup_id_y 0
		.amdhsa_system_sgpr_workgroup_id_z 0
		.amdhsa_system_sgpr_workgroup_info 0
		.amdhsa_system_vgpr_workitem_id 0
		.amdhsa_next_free_vgpr 1
		.amdhsa_next_free_sgpr 0
		.amdhsa_accum_offset 4
		.amdhsa_reserve_vcc 0
		.amdhsa_reserve_flat_scratch 0
		.amdhsa_float_round_mode_32 0
		.amdhsa_float_round_mode_16_64 0
		.amdhsa_float_denorm_mode_32 3
		.amdhsa_float_denorm_mode_16_64 3
		.amdhsa_dx10_clamp 1
		.amdhsa_ieee_mode 1
		.amdhsa_fp16_overflow 0
		.amdhsa_tg_split 0
		.amdhsa_exception_fp_ieee_invalid_op 0
		.amdhsa_exception_fp_denorm_src 0
		.amdhsa_exception_fp_ieee_div_zero 0
		.amdhsa_exception_fp_ieee_overflow 0
		.amdhsa_exception_fp_ieee_underflow 0
		.amdhsa_exception_fp_ieee_inexact 0
		.amdhsa_exception_int_div_zero 0
	.end_amdhsa_kernel
	.section	.text._ZN7rocprim17ROCPRIM_400000_NS6detail17trampoline_kernelINS0_14default_configENS1_22reduce_config_selectorIiEEZNS1_11reduce_implILb1ES3_N6thrust23THRUST_200600_302600_NS11hip_rocprim35transform_pair_of_input_iterators_tIiPhSB_NS8_12not_equal_toIhEEEEPiiNS8_4plusIiEEEE10hipError_tPvRmT1_T2_T3_mT4_P12ihipStream_tbEUlT_E1_NS1_11comp_targetILNS1_3genE10ELNS1_11target_archE1200ELNS1_3gpuE4ELNS1_3repE0EEENS1_30default_config_static_selectorELNS0_4arch9wavefront6targetE1EEEvSL_,"axG",@progbits,_ZN7rocprim17ROCPRIM_400000_NS6detail17trampoline_kernelINS0_14default_configENS1_22reduce_config_selectorIiEEZNS1_11reduce_implILb1ES3_N6thrust23THRUST_200600_302600_NS11hip_rocprim35transform_pair_of_input_iterators_tIiPhSB_NS8_12not_equal_toIhEEEEPiiNS8_4plusIiEEEE10hipError_tPvRmT1_T2_T3_mT4_P12ihipStream_tbEUlT_E1_NS1_11comp_targetILNS1_3genE10ELNS1_11target_archE1200ELNS1_3gpuE4ELNS1_3repE0EEENS1_30default_config_static_selectorELNS0_4arch9wavefront6targetE1EEEvSL_,comdat
.Lfunc_end351:
	.size	_ZN7rocprim17ROCPRIM_400000_NS6detail17trampoline_kernelINS0_14default_configENS1_22reduce_config_selectorIiEEZNS1_11reduce_implILb1ES3_N6thrust23THRUST_200600_302600_NS11hip_rocprim35transform_pair_of_input_iterators_tIiPhSB_NS8_12not_equal_toIhEEEEPiiNS8_4plusIiEEEE10hipError_tPvRmT1_T2_T3_mT4_P12ihipStream_tbEUlT_E1_NS1_11comp_targetILNS1_3genE10ELNS1_11target_archE1200ELNS1_3gpuE4ELNS1_3repE0EEENS1_30default_config_static_selectorELNS0_4arch9wavefront6targetE1EEEvSL_, .Lfunc_end351-_ZN7rocprim17ROCPRIM_400000_NS6detail17trampoline_kernelINS0_14default_configENS1_22reduce_config_selectorIiEEZNS1_11reduce_implILb1ES3_N6thrust23THRUST_200600_302600_NS11hip_rocprim35transform_pair_of_input_iterators_tIiPhSB_NS8_12not_equal_toIhEEEEPiiNS8_4plusIiEEEE10hipError_tPvRmT1_T2_T3_mT4_P12ihipStream_tbEUlT_E1_NS1_11comp_targetILNS1_3genE10ELNS1_11target_archE1200ELNS1_3gpuE4ELNS1_3repE0EEENS1_30default_config_static_selectorELNS0_4arch9wavefront6targetE1EEEvSL_
                                        ; -- End function
	.section	.AMDGPU.csdata,"",@progbits
; Kernel info:
; codeLenInByte = 0
; NumSgprs: 4
; NumVgprs: 0
; NumAgprs: 0
; TotalNumVgprs: 0
; ScratchSize: 0
; MemoryBound: 0
; FloatMode: 240
; IeeeMode: 1
; LDSByteSize: 0 bytes/workgroup (compile time only)
; SGPRBlocks: 0
; VGPRBlocks: 0
; NumSGPRsForWavesPerEU: 4
; NumVGPRsForWavesPerEU: 1
; AccumOffset: 4
; Occupancy: 8
; WaveLimiterHint : 0
; COMPUTE_PGM_RSRC2:SCRATCH_EN: 0
; COMPUTE_PGM_RSRC2:USER_SGPR: 6
; COMPUTE_PGM_RSRC2:TRAP_HANDLER: 0
; COMPUTE_PGM_RSRC2:TGID_X_EN: 1
; COMPUTE_PGM_RSRC2:TGID_Y_EN: 0
; COMPUTE_PGM_RSRC2:TGID_Z_EN: 0
; COMPUTE_PGM_RSRC2:TIDIG_COMP_CNT: 0
; COMPUTE_PGM_RSRC3_GFX90A:ACCUM_OFFSET: 0
; COMPUTE_PGM_RSRC3_GFX90A:TG_SPLIT: 0
	.section	.text._ZN7rocprim17ROCPRIM_400000_NS6detail17trampoline_kernelINS0_14default_configENS1_22reduce_config_selectorIiEEZNS1_11reduce_implILb1ES3_N6thrust23THRUST_200600_302600_NS11hip_rocprim35transform_pair_of_input_iterators_tIiPhSB_NS8_12not_equal_toIhEEEEPiiNS8_4plusIiEEEE10hipError_tPvRmT1_T2_T3_mT4_P12ihipStream_tbEUlT_E1_NS1_11comp_targetILNS1_3genE9ELNS1_11target_archE1100ELNS1_3gpuE3ELNS1_3repE0EEENS1_30default_config_static_selectorELNS0_4arch9wavefront6targetE1EEEvSL_,"axG",@progbits,_ZN7rocprim17ROCPRIM_400000_NS6detail17trampoline_kernelINS0_14default_configENS1_22reduce_config_selectorIiEEZNS1_11reduce_implILb1ES3_N6thrust23THRUST_200600_302600_NS11hip_rocprim35transform_pair_of_input_iterators_tIiPhSB_NS8_12not_equal_toIhEEEEPiiNS8_4plusIiEEEE10hipError_tPvRmT1_T2_T3_mT4_P12ihipStream_tbEUlT_E1_NS1_11comp_targetILNS1_3genE9ELNS1_11target_archE1100ELNS1_3gpuE3ELNS1_3repE0EEENS1_30default_config_static_selectorELNS0_4arch9wavefront6targetE1EEEvSL_,comdat
	.protected	_ZN7rocprim17ROCPRIM_400000_NS6detail17trampoline_kernelINS0_14default_configENS1_22reduce_config_selectorIiEEZNS1_11reduce_implILb1ES3_N6thrust23THRUST_200600_302600_NS11hip_rocprim35transform_pair_of_input_iterators_tIiPhSB_NS8_12not_equal_toIhEEEEPiiNS8_4plusIiEEEE10hipError_tPvRmT1_T2_T3_mT4_P12ihipStream_tbEUlT_E1_NS1_11comp_targetILNS1_3genE9ELNS1_11target_archE1100ELNS1_3gpuE3ELNS1_3repE0EEENS1_30default_config_static_selectorELNS0_4arch9wavefront6targetE1EEEvSL_ ; -- Begin function _ZN7rocprim17ROCPRIM_400000_NS6detail17trampoline_kernelINS0_14default_configENS1_22reduce_config_selectorIiEEZNS1_11reduce_implILb1ES3_N6thrust23THRUST_200600_302600_NS11hip_rocprim35transform_pair_of_input_iterators_tIiPhSB_NS8_12not_equal_toIhEEEEPiiNS8_4plusIiEEEE10hipError_tPvRmT1_T2_T3_mT4_P12ihipStream_tbEUlT_E1_NS1_11comp_targetILNS1_3genE9ELNS1_11target_archE1100ELNS1_3gpuE3ELNS1_3repE0EEENS1_30default_config_static_selectorELNS0_4arch9wavefront6targetE1EEEvSL_
	.globl	_ZN7rocprim17ROCPRIM_400000_NS6detail17trampoline_kernelINS0_14default_configENS1_22reduce_config_selectorIiEEZNS1_11reduce_implILb1ES3_N6thrust23THRUST_200600_302600_NS11hip_rocprim35transform_pair_of_input_iterators_tIiPhSB_NS8_12not_equal_toIhEEEEPiiNS8_4plusIiEEEE10hipError_tPvRmT1_T2_T3_mT4_P12ihipStream_tbEUlT_E1_NS1_11comp_targetILNS1_3genE9ELNS1_11target_archE1100ELNS1_3gpuE3ELNS1_3repE0EEENS1_30default_config_static_selectorELNS0_4arch9wavefront6targetE1EEEvSL_
	.p2align	8
	.type	_ZN7rocprim17ROCPRIM_400000_NS6detail17trampoline_kernelINS0_14default_configENS1_22reduce_config_selectorIiEEZNS1_11reduce_implILb1ES3_N6thrust23THRUST_200600_302600_NS11hip_rocprim35transform_pair_of_input_iterators_tIiPhSB_NS8_12not_equal_toIhEEEEPiiNS8_4plusIiEEEE10hipError_tPvRmT1_T2_T3_mT4_P12ihipStream_tbEUlT_E1_NS1_11comp_targetILNS1_3genE9ELNS1_11target_archE1100ELNS1_3gpuE3ELNS1_3repE0EEENS1_30default_config_static_selectorELNS0_4arch9wavefront6targetE1EEEvSL_,@function
_ZN7rocprim17ROCPRIM_400000_NS6detail17trampoline_kernelINS0_14default_configENS1_22reduce_config_selectorIiEEZNS1_11reduce_implILb1ES3_N6thrust23THRUST_200600_302600_NS11hip_rocprim35transform_pair_of_input_iterators_tIiPhSB_NS8_12not_equal_toIhEEEEPiiNS8_4plusIiEEEE10hipError_tPvRmT1_T2_T3_mT4_P12ihipStream_tbEUlT_E1_NS1_11comp_targetILNS1_3genE9ELNS1_11target_archE1100ELNS1_3gpuE3ELNS1_3repE0EEENS1_30default_config_static_selectorELNS0_4arch9wavefront6targetE1EEEvSL_: ; @_ZN7rocprim17ROCPRIM_400000_NS6detail17trampoline_kernelINS0_14default_configENS1_22reduce_config_selectorIiEEZNS1_11reduce_implILb1ES3_N6thrust23THRUST_200600_302600_NS11hip_rocprim35transform_pair_of_input_iterators_tIiPhSB_NS8_12not_equal_toIhEEEEPiiNS8_4plusIiEEEE10hipError_tPvRmT1_T2_T3_mT4_P12ihipStream_tbEUlT_E1_NS1_11comp_targetILNS1_3genE9ELNS1_11target_archE1100ELNS1_3gpuE3ELNS1_3repE0EEENS1_30default_config_static_selectorELNS0_4arch9wavefront6targetE1EEEvSL_
; %bb.0:
	.section	.rodata,"a",@progbits
	.p2align	6, 0x0
	.amdhsa_kernel _ZN7rocprim17ROCPRIM_400000_NS6detail17trampoline_kernelINS0_14default_configENS1_22reduce_config_selectorIiEEZNS1_11reduce_implILb1ES3_N6thrust23THRUST_200600_302600_NS11hip_rocprim35transform_pair_of_input_iterators_tIiPhSB_NS8_12not_equal_toIhEEEEPiiNS8_4plusIiEEEE10hipError_tPvRmT1_T2_T3_mT4_P12ihipStream_tbEUlT_E1_NS1_11comp_targetILNS1_3genE9ELNS1_11target_archE1100ELNS1_3gpuE3ELNS1_3repE0EEENS1_30default_config_static_selectorELNS0_4arch9wavefront6targetE1EEEvSL_
		.amdhsa_group_segment_fixed_size 0
		.amdhsa_private_segment_fixed_size 0
		.amdhsa_kernarg_size 56
		.amdhsa_user_sgpr_count 6
		.amdhsa_user_sgpr_private_segment_buffer 1
		.amdhsa_user_sgpr_dispatch_ptr 0
		.amdhsa_user_sgpr_queue_ptr 0
		.amdhsa_user_sgpr_kernarg_segment_ptr 1
		.amdhsa_user_sgpr_dispatch_id 0
		.amdhsa_user_sgpr_flat_scratch_init 0
		.amdhsa_user_sgpr_kernarg_preload_length 0
		.amdhsa_user_sgpr_kernarg_preload_offset 0
		.amdhsa_user_sgpr_private_segment_size 0
		.amdhsa_uses_dynamic_stack 0
		.amdhsa_system_sgpr_private_segment_wavefront_offset 0
		.amdhsa_system_sgpr_workgroup_id_x 1
		.amdhsa_system_sgpr_workgroup_id_y 0
		.amdhsa_system_sgpr_workgroup_id_z 0
		.amdhsa_system_sgpr_workgroup_info 0
		.amdhsa_system_vgpr_workitem_id 0
		.amdhsa_next_free_vgpr 1
		.amdhsa_next_free_sgpr 0
		.amdhsa_accum_offset 4
		.amdhsa_reserve_vcc 0
		.amdhsa_reserve_flat_scratch 0
		.amdhsa_float_round_mode_32 0
		.amdhsa_float_round_mode_16_64 0
		.amdhsa_float_denorm_mode_32 3
		.amdhsa_float_denorm_mode_16_64 3
		.amdhsa_dx10_clamp 1
		.amdhsa_ieee_mode 1
		.amdhsa_fp16_overflow 0
		.amdhsa_tg_split 0
		.amdhsa_exception_fp_ieee_invalid_op 0
		.amdhsa_exception_fp_denorm_src 0
		.amdhsa_exception_fp_ieee_div_zero 0
		.amdhsa_exception_fp_ieee_overflow 0
		.amdhsa_exception_fp_ieee_underflow 0
		.amdhsa_exception_fp_ieee_inexact 0
		.amdhsa_exception_int_div_zero 0
	.end_amdhsa_kernel
	.section	.text._ZN7rocprim17ROCPRIM_400000_NS6detail17trampoline_kernelINS0_14default_configENS1_22reduce_config_selectorIiEEZNS1_11reduce_implILb1ES3_N6thrust23THRUST_200600_302600_NS11hip_rocprim35transform_pair_of_input_iterators_tIiPhSB_NS8_12not_equal_toIhEEEEPiiNS8_4plusIiEEEE10hipError_tPvRmT1_T2_T3_mT4_P12ihipStream_tbEUlT_E1_NS1_11comp_targetILNS1_3genE9ELNS1_11target_archE1100ELNS1_3gpuE3ELNS1_3repE0EEENS1_30default_config_static_selectorELNS0_4arch9wavefront6targetE1EEEvSL_,"axG",@progbits,_ZN7rocprim17ROCPRIM_400000_NS6detail17trampoline_kernelINS0_14default_configENS1_22reduce_config_selectorIiEEZNS1_11reduce_implILb1ES3_N6thrust23THRUST_200600_302600_NS11hip_rocprim35transform_pair_of_input_iterators_tIiPhSB_NS8_12not_equal_toIhEEEEPiiNS8_4plusIiEEEE10hipError_tPvRmT1_T2_T3_mT4_P12ihipStream_tbEUlT_E1_NS1_11comp_targetILNS1_3genE9ELNS1_11target_archE1100ELNS1_3gpuE3ELNS1_3repE0EEENS1_30default_config_static_selectorELNS0_4arch9wavefront6targetE1EEEvSL_,comdat
.Lfunc_end352:
	.size	_ZN7rocprim17ROCPRIM_400000_NS6detail17trampoline_kernelINS0_14default_configENS1_22reduce_config_selectorIiEEZNS1_11reduce_implILb1ES3_N6thrust23THRUST_200600_302600_NS11hip_rocprim35transform_pair_of_input_iterators_tIiPhSB_NS8_12not_equal_toIhEEEEPiiNS8_4plusIiEEEE10hipError_tPvRmT1_T2_T3_mT4_P12ihipStream_tbEUlT_E1_NS1_11comp_targetILNS1_3genE9ELNS1_11target_archE1100ELNS1_3gpuE3ELNS1_3repE0EEENS1_30default_config_static_selectorELNS0_4arch9wavefront6targetE1EEEvSL_, .Lfunc_end352-_ZN7rocprim17ROCPRIM_400000_NS6detail17trampoline_kernelINS0_14default_configENS1_22reduce_config_selectorIiEEZNS1_11reduce_implILb1ES3_N6thrust23THRUST_200600_302600_NS11hip_rocprim35transform_pair_of_input_iterators_tIiPhSB_NS8_12not_equal_toIhEEEEPiiNS8_4plusIiEEEE10hipError_tPvRmT1_T2_T3_mT4_P12ihipStream_tbEUlT_E1_NS1_11comp_targetILNS1_3genE9ELNS1_11target_archE1100ELNS1_3gpuE3ELNS1_3repE0EEENS1_30default_config_static_selectorELNS0_4arch9wavefront6targetE1EEEvSL_
                                        ; -- End function
	.section	.AMDGPU.csdata,"",@progbits
; Kernel info:
; codeLenInByte = 0
; NumSgprs: 4
; NumVgprs: 0
; NumAgprs: 0
; TotalNumVgprs: 0
; ScratchSize: 0
; MemoryBound: 0
; FloatMode: 240
; IeeeMode: 1
; LDSByteSize: 0 bytes/workgroup (compile time only)
; SGPRBlocks: 0
; VGPRBlocks: 0
; NumSGPRsForWavesPerEU: 4
; NumVGPRsForWavesPerEU: 1
; AccumOffset: 4
; Occupancy: 8
; WaveLimiterHint : 0
; COMPUTE_PGM_RSRC2:SCRATCH_EN: 0
; COMPUTE_PGM_RSRC2:USER_SGPR: 6
; COMPUTE_PGM_RSRC2:TRAP_HANDLER: 0
; COMPUTE_PGM_RSRC2:TGID_X_EN: 1
; COMPUTE_PGM_RSRC2:TGID_Y_EN: 0
; COMPUTE_PGM_RSRC2:TGID_Z_EN: 0
; COMPUTE_PGM_RSRC2:TIDIG_COMP_CNT: 0
; COMPUTE_PGM_RSRC3_GFX90A:ACCUM_OFFSET: 0
; COMPUTE_PGM_RSRC3_GFX90A:TG_SPLIT: 0
	.section	.text._ZN7rocprim17ROCPRIM_400000_NS6detail17trampoline_kernelINS0_14default_configENS1_22reduce_config_selectorIiEEZNS1_11reduce_implILb1ES3_N6thrust23THRUST_200600_302600_NS11hip_rocprim35transform_pair_of_input_iterators_tIiPhSB_NS8_12not_equal_toIhEEEEPiiNS8_4plusIiEEEE10hipError_tPvRmT1_T2_T3_mT4_P12ihipStream_tbEUlT_E1_NS1_11comp_targetILNS1_3genE8ELNS1_11target_archE1030ELNS1_3gpuE2ELNS1_3repE0EEENS1_30default_config_static_selectorELNS0_4arch9wavefront6targetE1EEEvSL_,"axG",@progbits,_ZN7rocprim17ROCPRIM_400000_NS6detail17trampoline_kernelINS0_14default_configENS1_22reduce_config_selectorIiEEZNS1_11reduce_implILb1ES3_N6thrust23THRUST_200600_302600_NS11hip_rocprim35transform_pair_of_input_iterators_tIiPhSB_NS8_12not_equal_toIhEEEEPiiNS8_4plusIiEEEE10hipError_tPvRmT1_T2_T3_mT4_P12ihipStream_tbEUlT_E1_NS1_11comp_targetILNS1_3genE8ELNS1_11target_archE1030ELNS1_3gpuE2ELNS1_3repE0EEENS1_30default_config_static_selectorELNS0_4arch9wavefront6targetE1EEEvSL_,comdat
	.protected	_ZN7rocprim17ROCPRIM_400000_NS6detail17trampoline_kernelINS0_14default_configENS1_22reduce_config_selectorIiEEZNS1_11reduce_implILb1ES3_N6thrust23THRUST_200600_302600_NS11hip_rocprim35transform_pair_of_input_iterators_tIiPhSB_NS8_12not_equal_toIhEEEEPiiNS8_4plusIiEEEE10hipError_tPvRmT1_T2_T3_mT4_P12ihipStream_tbEUlT_E1_NS1_11comp_targetILNS1_3genE8ELNS1_11target_archE1030ELNS1_3gpuE2ELNS1_3repE0EEENS1_30default_config_static_selectorELNS0_4arch9wavefront6targetE1EEEvSL_ ; -- Begin function _ZN7rocprim17ROCPRIM_400000_NS6detail17trampoline_kernelINS0_14default_configENS1_22reduce_config_selectorIiEEZNS1_11reduce_implILb1ES3_N6thrust23THRUST_200600_302600_NS11hip_rocprim35transform_pair_of_input_iterators_tIiPhSB_NS8_12not_equal_toIhEEEEPiiNS8_4plusIiEEEE10hipError_tPvRmT1_T2_T3_mT4_P12ihipStream_tbEUlT_E1_NS1_11comp_targetILNS1_3genE8ELNS1_11target_archE1030ELNS1_3gpuE2ELNS1_3repE0EEENS1_30default_config_static_selectorELNS0_4arch9wavefront6targetE1EEEvSL_
	.globl	_ZN7rocprim17ROCPRIM_400000_NS6detail17trampoline_kernelINS0_14default_configENS1_22reduce_config_selectorIiEEZNS1_11reduce_implILb1ES3_N6thrust23THRUST_200600_302600_NS11hip_rocprim35transform_pair_of_input_iterators_tIiPhSB_NS8_12not_equal_toIhEEEEPiiNS8_4plusIiEEEE10hipError_tPvRmT1_T2_T3_mT4_P12ihipStream_tbEUlT_E1_NS1_11comp_targetILNS1_3genE8ELNS1_11target_archE1030ELNS1_3gpuE2ELNS1_3repE0EEENS1_30default_config_static_selectorELNS0_4arch9wavefront6targetE1EEEvSL_
	.p2align	8
	.type	_ZN7rocprim17ROCPRIM_400000_NS6detail17trampoline_kernelINS0_14default_configENS1_22reduce_config_selectorIiEEZNS1_11reduce_implILb1ES3_N6thrust23THRUST_200600_302600_NS11hip_rocprim35transform_pair_of_input_iterators_tIiPhSB_NS8_12not_equal_toIhEEEEPiiNS8_4plusIiEEEE10hipError_tPvRmT1_T2_T3_mT4_P12ihipStream_tbEUlT_E1_NS1_11comp_targetILNS1_3genE8ELNS1_11target_archE1030ELNS1_3gpuE2ELNS1_3repE0EEENS1_30default_config_static_selectorELNS0_4arch9wavefront6targetE1EEEvSL_,@function
_ZN7rocprim17ROCPRIM_400000_NS6detail17trampoline_kernelINS0_14default_configENS1_22reduce_config_selectorIiEEZNS1_11reduce_implILb1ES3_N6thrust23THRUST_200600_302600_NS11hip_rocprim35transform_pair_of_input_iterators_tIiPhSB_NS8_12not_equal_toIhEEEEPiiNS8_4plusIiEEEE10hipError_tPvRmT1_T2_T3_mT4_P12ihipStream_tbEUlT_E1_NS1_11comp_targetILNS1_3genE8ELNS1_11target_archE1030ELNS1_3gpuE2ELNS1_3repE0EEENS1_30default_config_static_selectorELNS0_4arch9wavefront6targetE1EEEvSL_: ; @_ZN7rocprim17ROCPRIM_400000_NS6detail17trampoline_kernelINS0_14default_configENS1_22reduce_config_selectorIiEEZNS1_11reduce_implILb1ES3_N6thrust23THRUST_200600_302600_NS11hip_rocprim35transform_pair_of_input_iterators_tIiPhSB_NS8_12not_equal_toIhEEEEPiiNS8_4plusIiEEEE10hipError_tPvRmT1_T2_T3_mT4_P12ihipStream_tbEUlT_E1_NS1_11comp_targetILNS1_3genE8ELNS1_11target_archE1030ELNS1_3gpuE2ELNS1_3repE0EEENS1_30default_config_static_selectorELNS0_4arch9wavefront6targetE1EEEvSL_
; %bb.0:
	.section	.rodata,"a",@progbits
	.p2align	6, 0x0
	.amdhsa_kernel _ZN7rocprim17ROCPRIM_400000_NS6detail17trampoline_kernelINS0_14default_configENS1_22reduce_config_selectorIiEEZNS1_11reduce_implILb1ES3_N6thrust23THRUST_200600_302600_NS11hip_rocprim35transform_pair_of_input_iterators_tIiPhSB_NS8_12not_equal_toIhEEEEPiiNS8_4plusIiEEEE10hipError_tPvRmT1_T2_T3_mT4_P12ihipStream_tbEUlT_E1_NS1_11comp_targetILNS1_3genE8ELNS1_11target_archE1030ELNS1_3gpuE2ELNS1_3repE0EEENS1_30default_config_static_selectorELNS0_4arch9wavefront6targetE1EEEvSL_
		.amdhsa_group_segment_fixed_size 0
		.amdhsa_private_segment_fixed_size 0
		.amdhsa_kernarg_size 56
		.amdhsa_user_sgpr_count 6
		.amdhsa_user_sgpr_private_segment_buffer 1
		.amdhsa_user_sgpr_dispatch_ptr 0
		.amdhsa_user_sgpr_queue_ptr 0
		.amdhsa_user_sgpr_kernarg_segment_ptr 1
		.amdhsa_user_sgpr_dispatch_id 0
		.amdhsa_user_sgpr_flat_scratch_init 0
		.amdhsa_user_sgpr_kernarg_preload_length 0
		.amdhsa_user_sgpr_kernarg_preload_offset 0
		.amdhsa_user_sgpr_private_segment_size 0
		.amdhsa_uses_dynamic_stack 0
		.amdhsa_system_sgpr_private_segment_wavefront_offset 0
		.amdhsa_system_sgpr_workgroup_id_x 1
		.amdhsa_system_sgpr_workgroup_id_y 0
		.amdhsa_system_sgpr_workgroup_id_z 0
		.amdhsa_system_sgpr_workgroup_info 0
		.amdhsa_system_vgpr_workitem_id 0
		.amdhsa_next_free_vgpr 1
		.amdhsa_next_free_sgpr 0
		.amdhsa_accum_offset 4
		.amdhsa_reserve_vcc 0
		.amdhsa_reserve_flat_scratch 0
		.amdhsa_float_round_mode_32 0
		.amdhsa_float_round_mode_16_64 0
		.amdhsa_float_denorm_mode_32 3
		.amdhsa_float_denorm_mode_16_64 3
		.amdhsa_dx10_clamp 1
		.amdhsa_ieee_mode 1
		.amdhsa_fp16_overflow 0
		.amdhsa_tg_split 0
		.amdhsa_exception_fp_ieee_invalid_op 0
		.amdhsa_exception_fp_denorm_src 0
		.amdhsa_exception_fp_ieee_div_zero 0
		.amdhsa_exception_fp_ieee_overflow 0
		.amdhsa_exception_fp_ieee_underflow 0
		.amdhsa_exception_fp_ieee_inexact 0
		.amdhsa_exception_int_div_zero 0
	.end_amdhsa_kernel
	.section	.text._ZN7rocprim17ROCPRIM_400000_NS6detail17trampoline_kernelINS0_14default_configENS1_22reduce_config_selectorIiEEZNS1_11reduce_implILb1ES3_N6thrust23THRUST_200600_302600_NS11hip_rocprim35transform_pair_of_input_iterators_tIiPhSB_NS8_12not_equal_toIhEEEEPiiNS8_4plusIiEEEE10hipError_tPvRmT1_T2_T3_mT4_P12ihipStream_tbEUlT_E1_NS1_11comp_targetILNS1_3genE8ELNS1_11target_archE1030ELNS1_3gpuE2ELNS1_3repE0EEENS1_30default_config_static_selectorELNS0_4arch9wavefront6targetE1EEEvSL_,"axG",@progbits,_ZN7rocprim17ROCPRIM_400000_NS6detail17trampoline_kernelINS0_14default_configENS1_22reduce_config_selectorIiEEZNS1_11reduce_implILb1ES3_N6thrust23THRUST_200600_302600_NS11hip_rocprim35transform_pair_of_input_iterators_tIiPhSB_NS8_12not_equal_toIhEEEEPiiNS8_4plusIiEEEE10hipError_tPvRmT1_T2_T3_mT4_P12ihipStream_tbEUlT_E1_NS1_11comp_targetILNS1_3genE8ELNS1_11target_archE1030ELNS1_3gpuE2ELNS1_3repE0EEENS1_30default_config_static_selectorELNS0_4arch9wavefront6targetE1EEEvSL_,comdat
.Lfunc_end353:
	.size	_ZN7rocprim17ROCPRIM_400000_NS6detail17trampoline_kernelINS0_14default_configENS1_22reduce_config_selectorIiEEZNS1_11reduce_implILb1ES3_N6thrust23THRUST_200600_302600_NS11hip_rocprim35transform_pair_of_input_iterators_tIiPhSB_NS8_12not_equal_toIhEEEEPiiNS8_4plusIiEEEE10hipError_tPvRmT1_T2_T3_mT4_P12ihipStream_tbEUlT_E1_NS1_11comp_targetILNS1_3genE8ELNS1_11target_archE1030ELNS1_3gpuE2ELNS1_3repE0EEENS1_30default_config_static_selectorELNS0_4arch9wavefront6targetE1EEEvSL_, .Lfunc_end353-_ZN7rocprim17ROCPRIM_400000_NS6detail17trampoline_kernelINS0_14default_configENS1_22reduce_config_selectorIiEEZNS1_11reduce_implILb1ES3_N6thrust23THRUST_200600_302600_NS11hip_rocprim35transform_pair_of_input_iterators_tIiPhSB_NS8_12not_equal_toIhEEEEPiiNS8_4plusIiEEEE10hipError_tPvRmT1_T2_T3_mT4_P12ihipStream_tbEUlT_E1_NS1_11comp_targetILNS1_3genE8ELNS1_11target_archE1030ELNS1_3gpuE2ELNS1_3repE0EEENS1_30default_config_static_selectorELNS0_4arch9wavefront6targetE1EEEvSL_
                                        ; -- End function
	.section	.AMDGPU.csdata,"",@progbits
; Kernel info:
; codeLenInByte = 0
; NumSgprs: 4
; NumVgprs: 0
; NumAgprs: 0
; TotalNumVgprs: 0
; ScratchSize: 0
; MemoryBound: 0
; FloatMode: 240
; IeeeMode: 1
; LDSByteSize: 0 bytes/workgroup (compile time only)
; SGPRBlocks: 0
; VGPRBlocks: 0
; NumSGPRsForWavesPerEU: 4
; NumVGPRsForWavesPerEU: 1
; AccumOffset: 4
; Occupancy: 8
; WaveLimiterHint : 0
; COMPUTE_PGM_RSRC2:SCRATCH_EN: 0
; COMPUTE_PGM_RSRC2:USER_SGPR: 6
; COMPUTE_PGM_RSRC2:TRAP_HANDLER: 0
; COMPUTE_PGM_RSRC2:TGID_X_EN: 1
; COMPUTE_PGM_RSRC2:TGID_Y_EN: 0
; COMPUTE_PGM_RSRC2:TGID_Z_EN: 0
; COMPUTE_PGM_RSRC2:TIDIG_COMP_CNT: 0
; COMPUTE_PGM_RSRC3_GFX90A:ACCUM_OFFSET: 0
; COMPUTE_PGM_RSRC3_GFX90A:TG_SPLIT: 0
	.section	.text._ZN7rocprim17ROCPRIM_400000_NS6detail17trampoline_kernelINS0_14default_configENS1_25transform_config_selectorImLb0EEEZNS1_14transform_implILb0ES3_S5_NS0_17constant_iteratorImlEEPmNS0_8identityImEEEE10hipError_tT2_T3_mT4_P12ihipStream_tbEUlT_E_NS1_11comp_targetILNS1_3genE0ELNS1_11target_archE4294967295ELNS1_3gpuE0ELNS1_3repE0EEENS1_30default_config_static_selectorELNS0_4arch9wavefront6targetE1EEEvT1_,"axG",@progbits,_ZN7rocprim17ROCPRIM_400000_NS6detail17trampoline_kernelINS0_14default_configENS1_25transform_config_selectorImLb0EEEZNS1_14transform_implILb0ES3_S5_NS0_17constant_iteratorImlEEPmNS0_8identityImEEEE10hipError_tT2_T3_mT4_P12ihipStream_tbEUlT_E_NS1_11comp_targetILNS1_3genE0ELNS1_11target_archE4294967295ELNS1_3gpuE0ELNS1_3repE0EEENS1_30default_config_static_selectorELNS0_4arch9wavefront6targetE1EEEvT1_,comdat
	.protected	_ZN7rocprim17ROCPRIM_400000_NS6detail17trampoline_kernelINS0_14default_configENS1_25transform_config_selectorImLb0EEEZNS1_14transform_implILb0ES3_S5_NS0_17constant_iteratorImlEEPmNS0_8identityImEEEE10hipError_tT2_T3_mT4_P12ihipStream_tbEUlT_E_NS1_11comp_targetILNS1_3genE0ELNS1_11target_archE4294967295ELNS1_3gpuE0ELNS1_3repE0EEENS1_30default_config_static_selectorELNS0_4arch9wavefront6targetE1EEEvT1_ ; -- Begin function _ZN7rocprim17ROCPRIM_400000_NS6detail17trampoline_kernelINS0_14default_configENS1_25transform_config_selectorImLb0EEEZNS1_14transform_implILb0ES3_S5_NS0_17constant_iteratorImlEEPmNS0_8identityImEEEE10hipError_tT2_T3_mT4_P12ihipStream_tbEUlT_E_NS1_11comp_targetILNS1_3genE0ELNS1_11target_archE4294967295ELNS1_3gpuE0ELNS1_3repE0EEENS1_30default_config_static_selectorELNS0_4arch9wavefront6targetE1EEEvT1_
	.globl	_ZN7rocprim17ROCPRIM_400000_NS6detail17trampoline_kernelINS0_14default_configENS1_25transform_config_selectorImLb0EEEZNS1_14transform_implILb0ES3_S5_NS0_17constant_iteratorImlEEPmNS0_8identityImEEEE10hipError_tT2_T3_mT4_P12ihipStream_tbEUlT_E_NS1_11comp_targetILNS1_3genE0ELNS1_11target_archE4294967295ELNS1_3gpuE0ELNS1_3repE0EEENS1_30default_config_static_selectorELNS0_4arch9wavefront6targetE1EEEvT1_
	.p2align	8
	.type	_ZN7rocprim17ROCPRIM_400000_NS6detail17trampoline_kernelINS0_14default_configENS1_25transform_config_selectorImLb0EEEZNS1_14transform_implILb0ES3_S5_NS0_17constant_iteratorImlEEPmNS0_8identityImEEEE10hipError_tT2_T3_mT4_P12ihipStream_tbEUlT_E_NS1_11comp_targetILNS1_3genE0ELNS1_11target_archE4294967295ELNS1_3gpuE0ELNS1_3repE0EEENS1_30default_config_static_selectorELNS0_4arch9wavefront6targetE1EEEvT1_,@function
_ZN7rocprim17ROCPRIM_400000_NS6detail17trampoline_kernelINS0_14default_configENS1_25transform_config_selectorImLb0EEEZNS1_14transform_implILb0ES3_S5_NS0_17constant_iteratorImlEEPmNS0_8identityImEEEE10hipError_tT2_T3_mT4_P12ihipStream_tbEUlT_E_NS1_11comp_targetILNS1_3genE0ELNS1_11target_archE4294967295ELNS1_3gpuE0ELNS1_3repE0EEENS1_30default_config_static_selectorELNS0_4arch9wavefront6targetE1EEEvT1_: ; @_ZN7rocprim17ROCPRIM_400000_NS6detail17trampoline_kernelINS0_14default_configENS1_25transform_config_selectorImLb0EEEZNS1_14transform_implILb0ES3_S5_NS0_17constant_iteratorImlEEPmNS0_8identityImEEEE10hipError_tT2_T3_mT4_P12ihipStream_tbEUlT_E_NS1_11comp_targetILNS1_3genE0ELNS1_11target_archE4294967295ELNS1_3gpuE0ELNS1_3repE0EEENS1_30default_config_static_selectorELNS0_4arch9wavefront6targetE1EEEvT1_
; %bb.0:
	.section	.rodata,"a",@progbits
	.p2align	6, 0x0
	.amdhsa_kernel _ZN7rocprim17ROCPRIM_400000_NS6detail17trampoline_kernelINS0_14default_configENS1_25transform_config_selectorImLb0EEEZNS1_14transform_implILb0ES3_S5_NS0_17constant_iteratorImlEEPmNS0_8identityImEEEE10hipError_tT2_T3_mT4_P12ihipStream_tbEUlT_E_NS1_11comp_targetILNS1_3genE0ELNS1_11target_archE4294967295ELNS1_3gpuE0ELNS1_3repE0EEENS1_30default_config_static_selectorELNS0_4arch9wavefront6targetE1EEEvT1_
		.amdhsa_group_segment_fixed_size 0
		.amdhsa_private_segment_fixed_size 0
		.amdhsa_kernarg_size 48
		.amdhsa_user_sgpr_count 6
		.amdhsa_user_sgpr_private_segment_buffer 1
		.amdhsa_user_sgpr_dispatch_ptr 0
		.amdhsa_user_sgpr_queue_ptr 0
		.amdhsa_user_sgpr_kernarg_segment_ptr 1
		.amdhsa_user_sgpr_dispatch_id 0
		.amdhsa_user_sgpr_flat_scratch_init 0
		.amdhsa_user_sgpr_kernarg_preload_length 0
		.amdhsa_user_sgpr_kernarg_preload_offset 0
		.amdhsa_user_sgpr_private_segment_size 0
		.amdhsa_uses_dynamic_stack 0
		.amdhsa_system_sgpr_private_segment_wavefront_offset 0
		.amdhsa_system_sgpr_workgroup_id_x 1
		.amdhsa_system_sgpr_workgroup_id_y 0
		.amdhsa_system_sgpr_workgroup_id_z 0
		.amdhsa_system_sgpr_workgroup_info 0
		.amdhsa_system_vgpr_workitem_id 0
		.amdhsa_next_free_vgpr 1
		.amdhsa_next_free_sgpr 0
		.amdhsa_accum_offset 4
		.amdhsa_reserve_vcc 0
		.amdhsa_reserve_flat_scratch 0
		.amdhsa_float_round_mode_32 0
		.amdhsa_float_round_mode_16_64 0
		.amdhsa_float_denorm_mode_32 3
		.amdhsa_float_denorm_mode_16_64 3
		.amdhsa_dx10_clamp 1
		.amdhsa_ieee_mode 1
		.amdhsa_fp16_overflow 0
		.amdhsa_tg_split 0
		.amdhsa_exception_fp_ieee_invalid_op 0
		.amdhsa_exception_fp_denorm_src 0
		.amdhsa_exception_fp_ieee_div_zero 0
		.amdhsa_exception_fp_ieee_overflow 0
		.amdhsa_exception_fp_ieee_underflow 0
		.amdhsa_exception_fp_ieee_inexact 0
		.amdhsa_exception_int_div_zero 0
	.end_amdhsa_kernel
	.section	.text._ZN7rocprim17ROCPRIM_400000_NS6detail17trampoline_kernelINS0_14default_configENS1_25transform_config_selectorImLb0EEEZNS1_14transform_implILb0ES3_S5_NS0_17constant_iteratorImlEEPmNS0_8identityImEEEE10hipError_tT2_T3_mT4_P12ihipStream_tbEUlT_E_NS1_11comp_targetILNS1_3genE0ELNS1_11target_archE4294967295ELNS1_3gpuE0ELNS1_3repE0EEENS1_30default_config_static_selectorELNS0_4arch9wavefront6targetE1EEEvT1_,"axG",@progbits,_ZN7rocprim17ROCPRIM_400000_NS6detail17trampoline_kernelINS0_14default_configENS1_25transform_config_selectorImLb0EEEZNS1_14transform_implILb0ES3_S5_NS0_17constant_iteratorImlEEPmNS0_8identityImEEEE10hipError_tT2_T3_mT4_P12ihipStream_tbEUlT_E_NS1_11comp_targetILNS1_3genE0ELNS1_11target_archE4294967295ELNS1_3gpuE0ELNS1_3repE0EEENS1_30default_config_static_selectorELNS0_4arch9wavefront6targetE1EEEvT1_,comdat
.Lfunc_end354:
	.size	_ZN7rocprim17ROCPRIM_400000_NS6detail17trampoline_kernelINS0_14default_configENS1_25transform_config_selectorImLb0EEEZNS1_14transform_implILb0ES3_S5_NS0_17constant_iteratorImlEEPmNS0_8identityImEEEE10hipError_tT2_T3_mT4_P12ihipStream_tbEUlT_E_NS1_11comp_targetILNS1_3genE0ELNS1_11target_archE4294967295ELNS1_3gpuE0ELNS1_3repE0EEENS1_30default_config_static_selectorELNS0_4arch9wavefront6targetE1EEEvT1_, .Lfunc_end354-_ZN7rocprim17ROCPRIM_400000_NS6detail17trampoline_kernelINS0_14default_configENS1_25transform_config_selectorImLb0EEEZNS1_14transform_implILb0ES3_S5_NS0_17constant_iteratorImlEEPmNS0_8identityImEEEE10hipError_tT2_T3_mT4_P12ihipStream_tbEUlT_E_NS1_11comp_targetILNS1_3genE0ELNS1_11target_archE4294967295ELNS1_3gpuE0ELNS1_3repE0EEENS1_30default_config_static_selectorELNS0_4arch9wavefront6targetE1EEEvT1_
                                        ; -- End function
	.section	.AMDGPU.csdata,"",@progbits
; Kernel info:
; codeLenInByte = 0
; NumSgprs: 4
; NumVgprs: 0
; NumAgprs: 0
; TotalNumVgprs: 0
; ScratchSize: 0
; MemoryBound: 0
; FloatMode: 240
; IeeeMode: 1
; LDSByteSize: 0 bytes/workgroup (compile time only)
; SGPRBlocks: 0
; VGPRBlocks: 0
; NumSGPRsForWavesPerEU: 4
; NumVGPRsForWavesPerEU: 1
; AccumOffset: 4
; Occupancy: 8
; WaveLimiterHint : 0
; COMPUTE_PGM_RSRC2:SCRATCH_EN: 0
; COMPUTE_PGM_RSRC2:USER_SGPR: 6
; COMPUTE_PGM_RSRC2:TRAP_HANDLER: 0
; COMPUTE_PGM_RSRC2:TGID_X_EN: 1
; COMPUTE_PGM_RSRC2:TGID_Y_EN: 0
; COMPUTE_PGM_RSRC2:TGID_Z_EN: 0
; COMPUTE_PGM_RSRC2:TIDIG_COMP_CNT: 0
; COMPUTE_PGM_RSRC3_GFX90A:ACCUM_OFFSET: 0
; COMPUTE_PGM_RSRC3_GFX90A:TG_SPLIT: 0
	.section	.text._ZN7rocprim17ROCPRIM_400000_NS6detail17trampoline_kernelINS0_14default_configENS1_25transform_config_selectorImLb0EEEZNS1_14transform_implILb0ES3_S5_NS0_17constant_iteratorImlEEPmNS0_8identityImEEEE10hipError_tT2_T3_mT4_P12ihipStream_tbEUlT_E_NS1_11comp_targetILNS1_3genE5ELNS1_11target_archE942ELNS1_3gpuE9ELNS1_3repE0EEENS1_30default_config_static_selectorELNS0_4arch9wavefront6targetE1EEEvT1_,"axG",@progbits,_ZN7rocprim17ROCPRIM_400000_NS6detail17trampoline_kernelINS0_14default_configENS1_25transform_config_selectorImLb0EEEZNS1_14transform_implILb0ES3_S5_NS0_17constant_iteratorImlEEPmNS0_8identityImEEEE10hipError_tT2_T3_mT4_P12ihipStream_tbEUlT_E_NS1_11comp_targetILNS1_3genE5ELNS1_11target_archE942ELNS1_3gpuE9ELNS1_3repE0EEENS1_30default_config_static_selectorELNS0_4arch9wavefront6targetE1EEEvT1_,comdat
	.protected	_ZN7rocprim17ROCPRIM_400000_NS6detail17trampoline_kernelINS0_14default_configENS1_25transform_config_selectorImLb0EEEZNS1_14transform_implILb0ES3_S5_NS0_17constant_iteratorImlEEPmNS0_8identityImEEEE10hipError_tT2_T3_mT4_P12ihipStream_tbEUlT_E_NS1_11comp_targetILNS1_3genE5ELNS1_11target_archE942ELNS1_3gpuE9ELNS1_3repE0EEENS1_30default_config_static_selectorELNS0_4arch9wavefront6targetE1EEEvT1_ ; -- Begin function _ZN7rocprim17ROCPRIM_400000_NS6detail17trampoline_kernelINS0_14default_configENS1_25transform_config_selectorImLb0EEEZNS1_14transform_implILb0ES3_S5_NS0_17constant_iteratorImlEEPmNS0_8identityImEEEE10hipError_tT2_T3_mT4_P12ihipStream_tbEUlT_E_NS1_11comp_targetILNS1_3genE5ELNS1_11target_archE942ELNS1_3gpuE9ELNS1_3repE0EEENS1_30default_config_static_selectorELNS0_4arch9wavefront6targetE1EEEvT1_
	.globl	_ZN7rocprim17ROCPRIM_400000_NS6detail17trampoline_kernelINS0_14default_configENS1_25transform_config_selectorImLb0EEEZNS1_14transform_implILb0ES3_S5_NS0_17constant_iteratorImlEEPmNS0_8identityImEEEE10hipError_tT2_T3_mT4_P12ihipStream_tbEUlT_E_NS1_11comp_targetILNS1_3genE5ELNS1_11target_archE942ELNS1_3gpuE9ELNS1_3repE0EEENS1_30default_config_static_selectorELNS0_4arch9wavefront6targetE1EEEvT1_
	.p2align	8
	.type	_ZN7rocprim17ROCPRIM_400000_NS6detail17trampoline_kernelINS0_14default_configENS1_25transform_config_selectorImLb0EEEZNS1_14transform_implILb0ES3_S5_NS0_17constant_iteratorImlEEPmNS0_8identityImEEEE10hipError_tT2_T3_mT4_P12ihipStream_tbEUlT_E_NS1_11comp_targetILNS1_3genE5ELNS1_11target_archE942ELNS1_3gpuE9ELNS1_3repE0EEENS1_30default_config_static_selectorELNS0_4arch9wavefront6targetE1EEEvT1_,@function
_ZN7rocprim17ROCPRIM_400000_NS6detail17trampoline_kernelINS0_14default_configENS1_25transform_config_selectorImLb0EEEZNS1_14transform_implILb0ES3_S5_NS0_17constant_iteratorImlEEPmNS0_8identityImEEEE10hipError_tT2_T3_mT4_P12ihipStream_tbEUlT_E_NS1_11comp_targetILNS1_3genE5ELNS1_11target_archE942ELNS1_3gpuE9ELNS1_3repE0EEENS1_30default_config_static_selectorELNS0_4arch9wavefront6targetE1EEEvT1_: ; @_ZN7rocprim17ROCPRIM_400000_NS6detail17trampoline_kernelINS0_14default_configENS1_25transform_config_selectorImLb0EEEZNS1_14transform_implILb0ES3_S5_NS0_17constant_iteratorImlEEPmNS0_8identityImEEEE10hipError_tT2_T3_mT4_P12ihipStream_tbEUlT_E_NS1_11comp_targetILNS1_3genE5ELNS1_11target_archE942ELNS1_3gpuE9ELNS1_3repE0EEENS1_30default_config_static_selectorELNS0_4arch9wavefront6targetE1EEEvT1_
; %bb.0:
	.section	.rodata,"a",@progbits
	.p2align	6, 0x0
	.amdhsa_kernel _ZN7rocprim17ROCPRIM_400000_NS6detail17trampoline_kernelINS0_14default_configENS1_25transform_config_selectorImLb0EEEZNS1_14transform_implILb0ES3_S5_NS0_17constant_iteratorImlEEPmNS0_8identityImEEEE10hipError_tT2_T3_mT4_P12ihipStream_tbEUlT_E_NS1_11comp_targetILNS1_3genE5ELNS1_11target_archE942ELNS1_3gpuE9ELNS1_3repE0EEENS1_30default_config_static_selectorELNS0_4arch9wavefront6targetE1EEEvT1_
		.amdhsa_group_segment_fixed_size 0
		.amdhsa_private_segment_fixed_size 0
		.amdhsa_kernarg_size 48
		.amdhsa_user_sgpr_count 6
		.amdhsa_user_sgpr_private_segment_buffer 1
		.amdhsa_user_sgpr_dispatch_ptr 0
		.amdhsa_user_sgpr_queue_ptr 0
		.amdhsa_user_sgpr_kernarg_segment_ptr 1
		.amdhsa_user_sgpr_dispatch_id 0
		.amdhsa_user_sgpr_flat_scratch_init 0
		.amdhsa_user_sgpr_kernarg_preload_length 0
		.amdhsa_user_sgpr_kernarg_preload_offset 0
		.amdhsa_user_sgpr_private_segment_size 0
		.amdhsa_uses_dynamic_stack 0
		.amdhsa_system_sgpr_private_segment_wavefront_offset 0
		.amdhsa_system_sgpr_workgroup_id_x 1
		.amdhsa_system_sgpr_workgroup_id_y 0
		.amdhsa_system_sgpr_workgroup_id_z 0
		.amdhsa_system_sgpr_workgroup_info 0
		.amdhsa_system_vgpr_workitem_id 0
		.amdhsa_next_free_vgpr 1
		.amdhsa_next_free_sgpr 0
		.amdhsa_accum_offset 4
		.amdhsa_reserve_vcc 0
		.amdhsa_reserve_flat_scratch 0
		.amdhsa_float_round_mode_32 0
		.amdhsa_float_round_mode_16_64 0
		.amdhsa_float_denorm_mode_32 3
		.amdhsa_float_denorm_mode_16_64 3
		.amdhsa_dx10_clamp 1
		.amdhsa_ieee_mode 1
		.amdhsa_fp16_overflow 0
		.amdhsa_tg_split 0
		.amdhsa_exception_fp_ieee_invalid_op 0
		.amdhsa_exception_fp_denorm_src 0
		.amdhsa_exception_fp_ieee_div_zero 0
		.amdhsa_exception_fp_ieee_overflow 0
		.amdhsa_exception_fp_ieee_underflow 0
		.amdhsa_exception_fp_ieee_inexact 0
		.amdhsa_exception_int_div_zero 0
	.end_amdhsa_kernel
	.section	.text._ZN7rocprim17ROCPRIM_400000_NS6detail17trampoline_kernelINS0_14default_configENS1_25transform_config_selectorImLb0EEEZNS1_14transform_implILb0ES3_S5_NS0_17constant_iteratorImlEEPmNS0_8identityImEEEE10hipError_tT2_T3_mT4_P12ihipStream_tbEUlT_E_NS1_11comp_targetILNS1_3genE5ELNS1_11target_archE942ELNS1_3gpuE9ELNS1_3repE0EEENS1_30default_config_static_selectorELNS0_4arch9wavefront6targetE1EEEvT1_,"axG",@progbits,_ZN7rocprim17ROCPRIM_400000_NS6detail17trampoline_kernelINS0_14default_configENS1_25transform_config_selectorImLb0EEEZNS1_14transform_implILb0ES3_S5_NS0_17constant_iteratorImlEEPmNS0_8identityImEEEE10hipError_tT2_T3_mT4_P12ihipStream_tbEUlT_E_NS1_11comp_targetILNS1_3genE5ELNS1_11target_archE942ELNS1_3gpuE9ELNS1_3repE0EEENS1_30default_config_static_selectorELNS0_4arch9wavefront6targetE1EEEvT1_,comdat
.Lfunc_end355:
	.size	_ZN7rocprim17ROCPRIM_400000_NS6detail17trampoline_kernelINS0_14default_configENS1_25transform_config_selectorImLb0EEEZNS1_14transform_implILb0ES3_S5_NS0_17constant_iteratorImlEEPmNS0_8identityImEEEE10hipError_tT2_T3_mT4_P12ihipStream_tbEUlT_E_NS1_11comp_targetILNS1_3genE5ELNS1_11target_archE942ELNS1_3gpuE9ELNS1_3repE0EEENS1_30default_config_static_selectorELNS0_4arch9wavefront6targetE1EEEvT1_, .Lfunc_end355-_ZN7rocprim17ROCPRIM_400000_NS6detail17trampoline_kernelINS0_14default_configENS1_25transform_config_selectorImLb0EEEZNS1_14transform_implILb0ES3_S5_NS0_17constant_iteratorImlEEPmNS0_8identityImEEEE10hipError_tT2_T3_mT4_P12ihipStream_tbEUlT_E_NS1_11comp_targetILNS1_3genE5ELNS1_11target_archE942ELNS1_3gpuE9ELNS1_3repE0EEENS1_30default_config_static_selectorELNS0_4arch9wavefront6targetE1EEEvT1_
                                        ; -- End function
	.section	.AMDGPU.csdata,"",@progbits
; Kernel info:
; codeLenInByte = 0
; NumSgprs: 4
; NumVgprs: 0
; NumAgprs: 0
; TotalNumVgprs: 0
; ScratchSize: 0
; MemoryBound: 0
; FloatMode: 240
; IeeeMode: 1
; LDSByteSize: 0 bytes/workgroup (compile time only)
; SGPRBlocks: 0
; VGPRBlocks: 0
; NumSGPRsForWavesPerEU: 4
; NumVGPRsForWavesPerEU: 1
; AccumOffset: 4
; Occupancy: 8
; WaveLimiterHint : 0
; COMPUTE_PGM_RSRC2:SCRATCH_EN: 0
; COMPUTE_PGM_RSRC2:USER_SGPR: 6
; COMPUTE_PGM_RSRC2:TRAP_HANDLER: 0
; COMPUTE_PGM_RSRC2:TGID_X_EN: 1
; COMPUTE_PGM_RSRC2:TGID_Y_EN: 0
; COMPUTE_PGM_RSRC2:TGID_Z_EN: 0
; COMPUTE_PGM_RSRC2:TIDIG_COMP_CNT: 0
; COMPUTE_PGM_RSRC3_GFX90A:ACCUM_OFFSET: 0
; COMPUTE_PGM_RSRC3_GFX90A:TG_SPLIT: 0
	.section	.text._ZN7rocprim17ROCPRIM_400000_NS6detail17trampoline_kernelINS0_14default_configENS1_25transform_config_selectorImLb0EEEZNS1_14transform_implILb0ES3_S5_NS0_17constant_iteratorImlEEPmNS0_8identityImEEEE10hipError_tT2_T3_mT4_P12ihipStream_tbEUlT_E_NS1_11comp_targetILNS1_3genE4ELNS1_11target_archE910ELNS1_3gpuE8ELNS1_3repE0EEENS1_30default_config_static_selectorELNS0_4arch9wavefront6targetE1EEEvT1_,"axG",@progbits,_ZN7rocprim17ROCPRIM_400000_NS6detail17trampoline_kernelINS0_14default_configENS1_25transform_config_selectorImLb0EEEZNS1_14transform_implILb0ES3_S5_NS0_17constant_iteratorImlEEPmNS0_8identityImEEEE10hipError_tT2_T3_mT4_P12ihipStream_tbEUlT_E_NS1_11comp_targetILNS1_3genE4ELNS1_11target_archE910ELNS1_3gpuE8ELNS1_3repE0EEENS1_30default_config_static_selectorELNS0_4arch9wavefront6targetE1EEEvT1_,comdat
	.protected	_ZN7rocprim17ROCPRIM_400000_NS6detail17trampoline_kernelINS0_14default_configENS1_25transform_config_selectorImLb0EEEZNS1_14transform_implILb0ES3_S5_NS0_17constant_iteratorImlEEPmNS0_8identityImEEEE10hipError_tT2_T3_mT4_P12ihipStream_tbEUlT_E_NS1_11comp_targetILNS1_3genE4ELNS1_11target_archE910ELNS1_3gpuE8ELNS1_3repE0EEENS1_30default_config_static_selectorELNS0_4arch9wavefront6targetE1EEEvT1_ ; -- Begin function _ZN7rocprim17ROCPRIM_400000_NS6detail17trampoline_kernelINS0_14default_configENS1_25transform_config_selectorImLb0EEEZNS1_14transform_implILb0ES3_S5_NS0_17constant_iteratorImlEEPmNS0_8identityImEEEE10hipError_tT2_T3_mT4_P12ihipStream_tbEUlT_E_NS1_11comp_targetILNS1_3genE4ELNS1_11target_archE910ELNS1_3gpuE8ELNS1_3repE0EEENS1_30default_config_static_selectorELNS0_4arch9wavefront6targetE1EEEvT1_
	.globl	_ZN7rocprim17ROCPRIM_400000_NS6detail17trampoline_kernelINS0_14default_configENS1_25transform_config_selectorImLb0EEEZNS1_14transform_implILb0ES3_S5_NS0_17constant_iteratorImlEEPmNS0_8identityImEEEE10hipError_tT2_T3_mT4_P12ihipStream_tbEUlT_E_NS1_11comp_targetILNS1_3genE4ELNS1_11target_archE910ELNS1_3gpuE8ELNS1_3repE0EEENS1_30default_config_static_selectorELNS0_4arch9wavefront6targetE1EEEvT1_
	.p2align	8
	.type	_ZN7rocprim17ROCPRIM_400000_NS6detail17trampoline_kernelINS0_14default_configENS1_25transform_config_selectorImLb0EEEZNS1_14transform_implILb0ES3_S5_NS0_17constant_iteratorImlEEPmNS0_8identityImEEEE10hipError_tT2_T3_mT4_P12ihipStream_tbEUlT_E_NS1_11comp_targetILNS1_3genE4ELNS1_11target_archE910ELNS1_3gpuE8ELNS1_3repE0EEENS1_30default_config_static_selectorELNS0_4arch9wavefront6targetE1EEEvT1_,@function
_ZN7rocprim17ROCPRIM_400000_NS6detail17trampoline_kernelINS0_14default_configENS1_25transform_config_selectorImLb0EEEZNS1_14transform_implILb0ES3_S5_NS0_17constant_iteratorImlEEPmNS0_8identityImEEEE10hipError_tT2_T3_mT4_P12ihipStream_tbEUlT_E_NS1_11comp_targetILNS1_3genE4ELNS1_11target_archE910ELNS1_3gpuE8ELNS1_3repE0EEENS1_30default_config_static_selectorELNS0_4arch9wavefront6targetE1EEEvT1_: ; @_ZN7rocprim17ROCPRIM_400000_NS6detail17trampoline_kernelINS0_14default_configENS1_25transform_config_selectorImLb0EEEZNS1_14transform_implILb0ES3_S5_NS0_17constant_iteratorImlEEPmNS0_8identityImEEEE10hipError_tT2_T3_mT4_P12ihipStream_tbEUlT_E_NS1_11comp_targetILNS1_3genE4ELNS1_11target_archE910ELNS1_3gpuE8ELNS1_3repE0EEENS1_30default_config_static_selectorELNS0_4arch9wavefront6targetE1EEEvT1_
; %bb.0:
	s_load_dwordx2 s[0:1], s[4:5], 0x10
	s_load_dwordx2 s[2:3], s[4:5], 0x20
	;; [unrolled: 1-line block ×3, first 2 shown]
	s_load_dword s7, s[4:5], 0x30
	v_lshlrev_b32_e32 v8, 3, v0
	s_waitcnt lgkmcnt(0)
	s_lshl_b64 s[0:1], s[0:1], 3
	s_add_u32 s12, s2, s0
	s_addc_u32 s13, s3, s1
	s_lshl_b32 s2, s6, 9
	s_add_i32 s7, s7, -1
	s_mov_b32 s3, 0
	s_cmp_eq_u32 s6, s7
	s_cbranch_scc1 .LBB356_3
; %bb.1:
	s_lshl_b64 s[0:1], s[2:3], 3
	s_add_u32 s0, s12, s0
	s_addc_u32 s1, s13, s1
	v_mov_b32_e32 v1, s1
	v_add_co_u32_e32 v4, vcc, s0, v8
	v_pk_mov_b32 v[2:3], s[8:9], s[8:9] op_sel:[0,1]
	v_addc_co_u32_e32 v5, vcc, 0, v1, vcc
	global_store_dwordx2 v8, v[2:3], s[0:1]
	s_mov_b64 s[6:7], -1
	s_cbranch_execz .LBB356_4
; %bb.2:
	v_pk_mov_b32 v[6:7], s[8:9], s[8:9] op_sel:[0,1]
	s_and_saveexec_b64 s[0:1], s[6:7]
	s_cbranch_execnz .LBB356_9
	s_branch .LBB356_10
.LBB356_3:
	s_mov_b64 s[6:7], 0
                                        ; implicit-def: $vgpr4_vgpr5
.LBB356_4:
	s_load_dword s0, s[4:5], 0x18
	v_or_b32_e32 v1, 0x100, v0
	s_mov_b32 s10, s8
	s_mov_b32 s11, s9
	s_waitcnt lgkmcnt(0)
	s_sub_i32 s0, s0, s2
	s_lshl_b64 s[2:3], s[2:3], 3
	s_add_u32 s2, s12, s2
	s_addc_u32 s3, s13, s3
	v_cmp_gt_u32_e32 vcc, s0, v1
	v_cmp_gt_u32_e64 s[0:1], s0, v0
	v_pk_mov_b32 v[0:1], s[8:9], s[8:9] op_sel:[0,1]
	v_mov_b32_e32 v5, s3
	v_add_co_u32_e64 v4, s[2:3], s2, v8
	v_pk_mov_b32 v[2:3], s[10:11], s[10:11] op_sel:[0,1]
	v_addc_co_u32_e64 v5, s[2:3], 0, v5, s[2:3]
	s_and_saveexec_b64 s[2:3], s[0:1]
	s_cbranch_execz .LBB356_6
; %bb.5:
	global_store_dwordx2 v[4:5], v[0:1], off
.LBB356_6:
	s_or_b64 exec, exec, s[2:3]
                                        ; implicit-def: $vgpr6_vgpr7
	s_and_saveexec_b64 s[0:1], vcc
; %bb.7:
	v_mov_b32_e32 v0, s11
	v_cndmask_b32_e32 v7, v3, v0, vcc
	v_mov_b32_e32 v0, s10
	v_cndmask_b32_e32 v6, v2, v0, vcc
	s_or_b64 s[6:7], s[6:7], exec
; %bb.8:
	s_or_b64 exec, exec, s[0:1]
	s_and_saveexec_b64 s[0:1], s[6:7]
	s_cbranch_execz .LBB356_10
.LBB356_9:
	global_store_dwordx2 v[4:5], v[6:7], off offset:2048
.LBB356_10:
	s_endpgm
	.section	.rodata,"a",@progbits
	.p2align	6, 0x0
	.amdhsa_kernel _ZN7rocprim17ROCPRIM_400000_NS6detail17trampoline_kernelINS0_14default_configENS1_25transform_config_selectorImLb0EEEZNS1_14transform_implILb0ES3_S5_NS0_17constant_iteratorImlEEPmNS0_8identityImEEEE10hipError_tT2_T3_mT4_P12ihipStream_tbEUlT_E_NS1_11comp_targetILNS1_3genE4ELNS1_11target_archE910ELNS1_3gpuE8ELNS1_3repE0EEENS1_30default_config_static_selectorELNS0_4arch9wavefront6targetE1EEEvT1_
		.amdhsa_group_segment_fixed_size 0
		.amdhsa_private_segment_fixed_size 0
		.amdhsa_kernarg_size 304
		.amdhsa_user_sgpr_count 6
		.amdhsa_user_sgpr_private_segment_buffer 1
		.amdhsa_user_sgpr_dispatch_ptr 0
		.amdhsa_user_sgpr_queue_ptr 0
		.amdhsa_user_sgpr_kernarg_segment_ptr 1
		.amdhsa_user_sgpr_dispatch_id 0
		.amdhsa_user_sgpr_flat_scratch_init 0
		.amdhsa_user_sgpr_kernarg_preload_length 0
		.amdhsa_user_sgpr_kernarg_preload_offset 0
		.amdhsa_user_sgpr_private_segment_size 0
		.amdhsa_uses_dynamic_stack 0
		.amdhsa_system_sgpr_private_segment_wavefront_offset 0
		.amdhsa_system_sgpr_workgroup_id_x 1
		.amdhsa_system_sgpr_workgroup_id_y 0
		.amdhsa_system_sgpr_workgroup_id_z 0
		.amdhsa_system_sgpr_workgroup_info 0
		.amdhsa_system_vgpr_workitem_id 0
		.amdhsa_next_free_vgpr 9
		.amdhsa_next_free_sgpr 14
		.amdhsa_accum_offset 12
		.amdhsa_reserve_vcc 1
		.amdhsa_reserve_flat_scratch 0
		.amdhsa_float_round_mode_32 0
		.amdhsa_float_round_mode_16_64 0
		.amdhsa_float_denorm_mode_32 3
		.amdhsa_float_denorm_mode_16_64 3
		.amdhsa_dx10_clamp 1
		.amdhsa_ieee_mode 1
		.amdhsa_fp16_overflow 0
		.amdhsa_tg_split 0
		.amdhsa_exception_fp_ieee_invalid_op 0
		.amdhsa_exception_fp_denorm_src 0
		.amdhsa_exception_fp_ieee_div_zero 0
		.amdhsa_exception_fp_ieee_overflow 0
		.amdhsa_exception_fp_ieee_underflow 0
		.amdhsa_exception_fp_ieee_inexact 0
		.amdhsa_exception_int_div_zero 0
	.end_amdhsa_kernel
	.section	.text._ZN7rocprim17ROCPRIM_400000_NS6detail17trampoline_kernelINS0_14default_configENS1_25transform_config_selectorImLb0EEEZNS1_14transform_implILb0ES3_S5_NS0_17constant_iteratorImlEEPmNS0_8identityImEEEE10hipError_tT2_T3_mT4_P12ihipStream_tbEUlT_E_NS1_11comp_targetILNS1_3genE4ELNS1_11target_archE910ELNS1_3gpuE8ELNS1_3repE0EEENS1_30default_config_static_selectorELNS0_4arch9wavefront6targetE1EEEvT1_,"axG",@progbits,_ZN7rocprim17ROCPRIM_400000_NS6detail17trampoline_kernelINS0_14default_configENS1_25transform_config_selectorImLb0EEEZNS1_14transform_implILb0ES3_S5_NS0_17constant_iteratorImlEEPmNS0_8identityImEEEE10hipError_tT2_T3_mT4_P12ihipStream_tbEUlT_E_NS1_11comp_targetILNS1_3genE4ELNS1_11target_archE910ELNS1_3gpuE8ELNS1_3repE0EEENS1_30default_config_static_selectorELNS0_4arch9wavefront6targetE1EEEvT1_,comdat
.Lfunc_end356:
	.size	_ZN7rocprim17ROCPRIM_400000_NS6detail17trampoline_kernelINS0_14default_configENS1_25transform_config_selectorImLb0EEEZNS1_14transform_implILb0ES3_S5_NS0_17constant_iteratorImlEEPmNS0_8identityImEEEE10hipError_tT2_T3_mT4_P12ihipStream_tbEUlT_E_NS1_11comp_targetILNS1_3genE4ELNS1_11target_archE910ELNS1_3gpuE8ELNS1_3repE0EEENS1_30default_config_static_selectorELNS0_4arch9wavefront6targetE1EEEvT1_, .Lfunc_end356-_ZN7rocprim17ROCPRIM_400000_NS6detail17trampoline_kernelINS0_14default_configENS1_25transform_config_selectorImLb0EEEZNS1_14transform_implILb0ES3_S5_NS0_17constant_iteratorImlEEPmNS0_8identityImEEEE10hipError_tT2_T3_mT4_P12ihipStream_tbEUlT_E_NS1_11comp_targetILNS1_3genE4ELNS1_11target_archE910ELNS1_3gpuE8ELNS1_3repE0EEENS1_30default_config_static_selectorELNS0_4arch9wavefront6targetE1EEEvT1_
                                        ; -- End function
	.section	.AMDGPU.csdata,"",@progbits
; Kernel info:
; codeLenInByte = 304
; NumSgprs: 18
; NumVgprs: 9
; NumAgprs: 0
; TotalNumVgprs: 9
; ScratchSize: 0
; MemoryBound: 0
; FloatMode: 240
; IeeeMode: 1
; LDSByteSize: 0 bytes/workgroup (compile time only)
; SGPRBlocks: 2
; VGPRBlocks: 1
; NumSGPRsForWavesPerEU: 18
; NumVGPRsForWavesPerEU: 9
; AccumOffset: 12
; Occupancy: 8
; WaveLimiterHint : 0
; COMPUTE_PGM_RSRC2:SCRATCH_EN: 0
; COMPUTE_PGM_RSRC2:USER_SGPR: 6
; COMPUTE_PGM_RSRC2:TRAP_HANDLER: 0
; COMPUTE_PGM_RSRC2:TGID_X_EN: 1
; COMPUTE_PGM_RSRC2:TGID_Y_EN: 0
; COMPUTE_PGM_RSRC2:TGID_Z_EN: 0
; COMPUTE_PGM_RSRC2:TIDIG_COMP_CNT: 0
; COMPUTE_PGM_RSRC3_GFX90A:ACCUM_OFFSET: 2
; COMPUTE_PGM_RSRC3_GFX90A:TG_SPLIT: 0
	.section	.text._ZN7rocprim17ROCPRIM_400000_NS6detail17trampoline_kernelINS0_14default_configENS1_25transform_config_selectorImLb0EEEZNS1_14transform_implILb0ES3_S5_NS0_17constant_iteratorImlEEPmNS0_8identityImEEEE10hipError_tT2_T3_mT4_P12ihipStream_tbEUlT_E_NS1_11comp_targetILNS1_3genE3ELNS1_11target_archE908ELNS1_3gpuE7ELNS1_3repE0EEENS1_30default_config_static_selectorELNS0_4arch9wavefront6targetE1EEEvT1_,"axG",@progbits,_ZN7rocprim17ROCPRIM_400000_NS6detail17trampoline_kernelINS0_14default_configENS1_25transform_config_selectorImLb0EEEZNS1_14transform_implILb0ES3_S5_NS0_17constant_iteratorImlEEPmNS0_8identityImEEEE10hipError_tT2_T3_mT4_P12ihipStream_tbEUlT_E_NS1_11comp_targetILNS1_3genE3ELNS1_11target_archE908ELNS1_3gpuE7ELNS1_3repE0EEENS1_30default_config_static_selectorELNS0_4arch9wavefront6targetE1EEEvT1_,comdat
	.protected	_ZN7rocprim17ROCPRIM_400000_NS6detail17trampoline_kernelINS0_14default_configENS1_25transform_config_selectorImLb0EEEZNS1_14transform_implILb0ES3_S5_NS0_17constant_iteratorImlEEPmNS0_8identityImEEEE10hipError_tT2_T3_mT4_P12ihipStream_tbEUlT_E_NS1_11comp_targetILNS1_3genE3ELNS1_11target_archE908ELNS1_3gpuE7ELNS1_3repE0EEENS1_30default_config_static_selectorELNS0_4arch9wavefront6targetE1EEEvT1_ ; -- Begin function _ZN7rocprim17ROCPRIM_400000_NS6detail17trampoline_kernelINS0_14default_configENS1_25transform_config_selectorImLb0EEEZNS1_14transform_implILb0ES3_S5_NS0_17constant_iteratorImlEEPmNS0_8identityImEEEE10hipError_tT2_T3_mT4_P12ihipStream_tbEUlT_E_NS1_11comp_targetILNS1_3genE3ELNS1_11target_archE908ELNS1_3gpuE7ELNS1_3repE0EEENS1_30default_config_static_selectorELNS0_4arch9wavefront6targetE1EEEvT1_
	.globl	_ZN7rocprim17ROCPRIM_400000_NS6detail17trampoline_kernelINS0_14default_configENS1_25transform_config_selectorImLb0EEEZNS1_14transform_implILb0ES3_S5_NS0_17constant_iteratorImlEEPmNS0_8identityImEEEE10hipError_tT2_T3_mT4_P12ihipStream_tbEUlT_E_NS1_11comp_targetILNS1_3genE3ELNS1_11target_archE908ELNS1_3gpuE7ELNS1_3repE0EEENS1_30default_config_static_selectorELNS0_4arch9wavefront6targetE1EEEvT1_
	.p2align	8
	.type	_ZN7rocprim17ROCPRIM_400000_NS6detail17trampoline_kernelINS0_14default_configENS1_25transform_config_selectorImLb0EEEZNS1_14transform_implILb0ES3_S5_NS0_17constant_iteratorImlEEPmNS0_8identityImEEEE10hipError_tT2_T3_mT4_P12ihipStream_tbEUlT_E_NS1_11comp_targetILNS1_3genE3ELNS1_11target_archE908ELNS1_3gpuE7ELNS1_3repE0EEENS1_30default_config_static_selectorELNS0_4arch9wavefront6targetE1EEEvT1_,@function
_ZN7rocprim17ROCPRIM_400000_NS6detail17trampoline_kernelINS0_14default_configENS1_25transform_config_selectorImLb0EEEZNS1_14transform_implILb0ES3_S5_NS0_17constant_iteratorImlEEPmNS0_8identityImEEEE10hipError_tT2_T3_mT4_P12ihipStream_tbEUlT_E_NS1_11comp_targetILNS1_3genE3ELNS1_11target_archE908ELNS1_3gpuE7ELNS1_3repE0EEENS1_30default_config_static_selectorELNS0_4arch9wavefront6targetE1EEEvT1_: ; @_ZN7rocprim17ROCPRIM_400000_NS6detail17trampoline_kernelINS0_14default_configENS1_25transform_config_selectorImLb0EEEZNS1_14transform_implILb0ES3_S5_NS0_17constant_iteratorImlEEPmNS0_8identityImEEEE10hipError_tT2_T3_mT4_P12ihipStream_tbEUlT_E_NS1_11comp_targetILNS1_3genE3ELNS1_11target_archE908ELNS1_3gpuE7ELNS1_3repE0EEENS1_30default_config_static_selectorELNS0_4arch9wavefront6targetE1EEEvT1_
; %bb.0:
	.section	.rodata,"a",@progbits
	.p2align	6, 0x0
	.amdhsa_kernel _ZN7rocprim17ROCPRIM_400000_NS6detail17trampoline_kernelINS0_14default_configENS1_25transform_config_selectorImLb0EEEZNS1_14transform_implILb0ES3_S5_NS0_17constant_iteratorImlEEPmNS0_8identityImEEEE10hipError_tT2_T3_mT4_P12ihipStream_tbEUlT_E_NS1_11comp_targetILNS1_3genE3ELNS1_11target_archE908ELNS1_3gpuE7ELNS1_3repE0EEENS1_30default_config_static_selectorELNS0_4arch9wavefront6targetE1EEEvT1_
		.amdhsa_group_segment_fixed_size 0
		.amdhsa_private_segment_fixed_size 0
		.amdhsa_kernarg_size 48
		.amdhsa_user_sgpr_count 6
		.amdhsa_user_sgpr_private_segment_buffer 1
		.amdhsa_user_sgpr_dispatch_ptr 0
		.amdhsa_user_sgpr_queue_ptr 0
		.amdhsa_user_sgpr_kernarg_segment_ptr 1
		.amdhsa_user_sgpr_dispatch_id 0
		.amdhsa_user_sgpr_flat_scratch_init 0
		.amdhsa_user_sgpr_kernarg_preload_length 0
		.amdhsa_user_sgpr_kernarg_preload_offset 0
		.amdhsa_user_sgpr_private_segment_size 0
		.amdhsa_uses_dynamic_stack 0
		.amdhsa_system_sgpr_private_segment_wavefront_offset 0
		.amdhsa_system_sgpr_workgroup_id_x 1
		.amdhsa_system_sgpr_workgroup_id_y 0
		.amdhsa_system_sgpr_workgroup_id_z 0
		.amdhsa_system_sgpr_workgroup_info 0
		.amdhsa_system_vgpr_workitem_id 0
		.amdhsa_next_free_vgpr 1
		.amdhsa_next_free_sgpr 0
		.amdhsa_accum_offset 4
		.amdhsa_reserve_vcc 0
		.amdhsa_reserve_flat_scratch 0
		.amdhsa_float_round_mode_32 0
		.amdhsa_float_round_mode_16_64 0
		.amdhsa_float_denorm_mode_32 3
		.amdhsa_float_denorm_mode_16_64 3
		.amdhsa_dx10_clamp 1
		.amdhsa_ieee_mode 1
		.amdhsa_fp16_overflow 0
		.amdhsa_tg_split 0
		.amdhsa_exception_fp_ieee_invalid_op 0
		.amdhsa_exception_fp_denorm_src 0
		.amdhsa_exception_fp_ieee_div_zero 0
		.amdhsa_exception_fp_ieee_overflow 0
		.amdhsa_exception_fp_ieee_underflow 0
		.amdhsa_exception_fp_ieee_inexact 0
		.amdhsa_exception_int_div_zero 0
	.end_amdhsa_kernel
	.section	.text._ZN7rocprim17ROCPRIM_400000_NS6detail17trampoline_kernelINS0_14default_configENS1_25transform_config_selectorImLb0EEEZNS1_14transform_implILb0ES3_S5_NS0_17constant_iteratorImlEEPmNS0_8identityImEEEE10hipError_tT2_T3_mT4_P12ihipStream_tbEUlT_E_NS1_11comp_targetILNS1_3genE3ELNS1_11target_archE908ELNS1_3gpuE7ELNS1_3repE0EEENS1_30default_config_static_selectorELNS0_4arch9wavefront6targetE1EEEvT1_,"axG",@progbits,_ZN7rocprim17ROCPRIM_400000_NS6detail17trampoline_kernelINS0_14default_configENS1_25transform_config_selectorImLb0EEEZNS1_14transform_implILb0ES3_S5_NS0_17constant_iteratorImlEEPmNS0_8identityImEEEE10hipError_tT2_T3_mT4_P12ihipStream_tbEUlT_E_NS1_11comp_targetILNS1_3genE3ELNS1_11target_archE908ELNS1_3gpuE7ELNS1_3repE0EEENS1_30default_config_static_selectorELNS0_4arch9wavefront6targetE1EEEvT1_,comdat
.Lfunc_end357:
	.size	_ZN7rocprim17ROCPRIM_400000_NS6detail17trampoline_kernelINS0_14default_configENS1_25transform_config_selectorImLb0EEEZNS1_14transform_implILb0ES3_S5_NS0_17constant_iteratorImlEEPmNS0_8identityImEEEE10hipError_tT2_T3_mT4_P12ihipStream_tbEUlT_E_NS1_11comp_targetILNS1_3genE3ELNS1_11target_archE908ELNS1_3gpuE7ELNS1_3repE0EEENS1_30default_config_static_selectorELNS0_4arch9wavefront6targetE1EEEvT1_, .Lfunc_end357-_ZN7rocprim17ROCPRIM_400000_NS6detail17trampoline_kernelINS0_14default_configENS1_25transform_config_selectorImLb0EEEZNS1_14transform_implILb0ES3_S5_NS0_17constant_iteratorImlEEPmNS0_8identityImEEEE10hipError_tT2_T3_mT4_P12ihipStream_tbEUlT_E_NS1_11comp_targetILNS1_3genE3ELNS1_11target_archE908ELNS1_3gpuE7ELNS1_3repE0EEENS1_30default_config_static_selectorELNS0_4arch9wavefront6targetE1EEEvT1_
                                        ; -- End function
	.section	.AMDGPU.csdata,"",@progbits
; Kernel info:
; codeLenInByte = 0
; NumSgprs: 4
; NumVgprs: 0
; NumAgprs: 0
; TotalNumVgprs: 0
; ScratchSize: 0
; MemoryBound: 0
; FloatMode: 240
; IeeeMode: 1
; LDSByteSize: 0 bytes/workgroup (compile time only)
; SGPRBlocks: 0
; VGPRBlocks: 0
; NumSGPRsForWavesPerEU: 4
; NumVGPRsForWavesPerEU: 1
; AccumOffset: 4
; Occupancy: 8
; WaveLimiterHint : 0
; COMPUTE_PGM_RSRC2:SCRATCH_EN: 0
; COMPUTE_PGM_RSRC2:USER_SGPR: 6
; COMPUTE_PGM_RSRC2:TRAP_HANDLER: 0
; COMPUTE_PGM_RSRC2:TGID_X_EN: 1
; COMPUTE_PGM_RSRC2:TGID_Y_EN: 0
; COMPUTE_PGM_RSRC2:TGID_Z_EN: 0
; COMPUTE_PGM_RSRC2:TIDIG_COMP_CNT: 0
; COMPUTE_PGM_RSRC3_GFX90A:ACCUM_OFFSET: 0
; COMPUTE_PGM_RSRC3_GFX90A:TG_SPLIT: 0
	.section	.text._ZN7rocprim17ROCPRIM_400000_NS6detail17trampoline_kernelINS0_14default_configENS1_25transform_config_selectorImLb0EEEZNS1_14transform_implILb0ES3_S5_NS0_17constant_iteratorImlEEPmNS0_8identityImEEEE10hipError_tT2_T3_mT4_P12ihipStream_tbEUlT_E_NS1_11comp_targetILNS1_3genE2ELNS1_11target_archE906ELNS1_3gpuE6ELNS1_3repE0EEENS1_30default_config_static_selectorELNS0_4arch9wavefront6targetE1EEEvT1_,"axG",@progbits,_ZN7rocprim17ROCPRIM_400000_NS6detail17trampoline_kernelINS0_14default_configENS1_25transform_config_selectorImLb0EEEZNS1_14transform_implILb0ES3_S5_NS0_17constant_iteratorImlEEPmNS0_8identityImEEEE10hipError_tT2_T3_mT4_P12ihipStream_tbEUlT_E_NS1_11comp_targetILNS1_3genE2ELNS1_11target_archE906ELNS1_3gpuE6ELNS1_3repE0EEENS1_30default_config_static_selectorELNS0_4arch9wavefront6targetE1EEEvT1_,comdat
	.protected	_ZN7rocprim17ROCPRIM_400000_NS6detail17trampoline_kernelINS0_14default_configENS1_25transform_config_selectorImLb0EEEZNS1_14transform_implILb0ES3_S5_NS0_17constant_iteratorImlEEPmNS0_8identityImEEEE10hipError_tT2_T3_mT4_P12ihipStream_tbEUlT_E_NS1_11comp_targetILNS1_3genE2ELNS1_11target_archE906ELNS1_3gpuE6ELNS1_3repE0EEENS1_30default_config_static_selectorELNS0_4arch9wavefront6targetE1EEEvT1_ ; -- Begin function _ZN7rocprim17ROCPRIM_400000_NS6detail17trampoline_kernelINS0_14default_configENS1_25transform_config_selectorImLb0EEEZNS1_14transform_implILb0ES3_S5_NS0_17constant_iteratorImlEEPmNS0_8identityImEEEE10hipError_tT2_T3_mT4_P12ihipStream_tbEUlT_E_NS1_11comp_targetILNS1_3genE2ELNS1_11target_archE906ELNS1_3gpuE6ELNS1_3repE0EEENS1_30default_config_static_selectorELNS0_4arch9wavefront6targetE1EEEvT1_
	.globl	_ZN7rocprim17ROCPRIM_400000_NS6detail17trampoline_kernelINS0_14default_configENS1_25transform_config_selectorImLb0EEEZNS1_14transform_implILb0ES3_S5_NS0_17constant_iteratorImlEEPmNS0_8identityImEEEE10hipError_tT2_T3_mT4_P12ihipStream_tbEUlT_E_NS1_11comp_targetILNS1_3genE2ELNS1_11target_archE906ELNS1_3gpuE6ELNS1_3repE0EEENS1_30default_config_static_selectorELNS0_4arch9wavefront6targetE1EEEvT1_
	.p2align	8
	.type	_ZN7rocprim17ROCPRIM_400000_NS6detail17trampoline_kernelINS0_14default_configENS1_25transform_config_selectorImLb0EEEZNS1_14transform_implILb0ES3_S5_NS0_17constant_iteratorImlEEPmNS0_8identityImEEEE10hipError_tT2_T3_mT4_P12ihipStream_tbEUlT_E_NS1_11comp_targetILNS1_3genE2ELNS1_11target_archE906ELNS1_3gpuE6ELNS1_3repE0EEENS1_30default_config_static_selectorELNS0_4arch9wavefront6targetE1EEEvT1_,@function
_ZN7rocprim17ROCPRIM_400000_NS6detail17trampoline_kernelINS0_14default_configENS1_25transform_config_selectorImLb0EEEZNS1_14transform_implILb0ES3_S5_NS0_17constant_iteratorImlEEPmNS0_8identityImEEEE10hipError_tT2_T3_mT4_P12ihipStream_tbEUlT_E_NS1_11comp_targetILNS1_3genE2ELNS1_11target_archE906ELNS1_3gpuE6ELNS1_3repE0EEENS1_30default_config_static_selectorELNS0_4arch9wavefront6targetE1EEEvT1_: ; @_ZN7rocprim17ROCPRIM_400000_NS6detail17trampoline_kernelINS0_14default_configENS1_25transform_config_selectorImLb0EEEZNS1_14transform_implILb0ES3_S5_NS0_17constant_iteratorImlEEPmNS0_8identityImEEEE10hipError_tT2_T3_mT4_P12ihipStream_tbEUlT_E_NS1_11comp_targetILNS1_3genE2ELNS1_11target_archE906ELNS1_3gpuE6ELNS1_3repE0EEENS1_30default_config_static_selectorELNS0_4arch9wavefront6targetE1EEEvT1_
; %bb.0:
	.section	.rodata,"a",@progbits
	.p2align	6, 0x0
	.amdhsa_kernel _ZN7rocprim17ROCPRIM_400000_NS6detail17trampoline_kernelINS0_14default_configENS1_25transform_config_selectorImLb0EEEZNS1_14transform_implILb0ES3_S5_NS0_17constant_iteratorImlEEPmNS0_8identityImEEEE10hipError_tT2_T3_mT4_P12ihipStream_tbEUlT_E_NS1_11comp_targetILNS1_3genE2ELNS1_11target_archE906ELNS1_3gpuE6ELNS1_3repE0EEENS1_30default_config_static_selectorELNS0_4arch9wavefront6targetE1EEEvT1_
		.amdhsa_group_segment_fixed_size 0
		.amdhsa_private_segment_fixed_size 0
		.amdhsa_kernarg_size 48
		.amdhsa_user_sgpr_count 6
		.amdhsa_user_sgpr_private_segment_buffer 1
		.amdhsa_user_sgpr_dispatch_ptr 0
		.amdhsa_user_sgpr_queue_ptr 0
		.amdhsa_user_sgpr_kernarg_segment_ptr 1
		.amdhsa_user_sgpr_dispatch_id 0
		.amdhsa_user_sgpr_flat_scratch_init 0
		.amdhsa_user_sgpr_kernarg_preload_length 0
		.amdhsa_user_sgpr_kernarg_preload_offset 0
		.amdhsa_user_sgpr_private_segment_size 0
		.amdhsa_uses_dynamic_stack 0
		.amdhsa_system_sgpr_private_segment_wavefront_offset 0
		.amdhsa_system_sgpr_workgroup_id_x 1
		.amdhsa_system_sgpr_workgroup_id_y 0
		.amdhsa_system_sgpr_workgroup_id_z 0
		.amdhsa_system_sgpr_workgroup_info 0
		.amdhsa_system_vgpr_workitem_id 0
		.amdhsa_next_free_vgpr 1
		.amdhsa_next_free_sgpr 0
		.amdhsa_accum_offset 4
		.amdhsa_reserve_vcc 0
		.amdhsa_reserve_flat_scratch 0
		.amdhsa_float_round_mode_32 0
		.amdhsa_float_round_mode_16_64 0
		.amdhsa_float_denorm_mode_32 3
		.amdhsa_float_denorm_mode_16_64 3
		.amdhsa_dx10_clamp 1
		.amdhsa_ieee_mode 1
		.amdhsa_fp16_overflow 0
		.amdhsa_tg_split 0
		.amdhsa_exception_fp_ieee_invalid_op 0
		.amdhsa_exception_fp_denorm_src 0
		.amdhsa_exception_fp_ieee_div_zero 0
		.amdhsa_exception_fp_ieee_overflow 0
		.amdhsa_exception_fp_ieee_underflow 0
		.amdhsa_exception_fp_ieee_inexact 0
		.amdhsa_exception_int_div_zero 0
	.end_amdhsa_kernel
	.section	.text._ZN7rocprim17ROCPRIM_400000_NS6detail17trampoline_kernelINS0_14default_configENS1_25transform_config_selectorImLb0EEEZNS1_14transform_implILb0ES3_S5_NS0_17constant_iteratorImlEEPmNS0_8identityImEEEE10hipError_tT2_T3_mT4_P12ihipStream_tbEUlT_E_NS1_11comp_targetILNS1_3genE2ELNS1_11target_archE906ELNS1_3gpuE6ELNS1_3repE0EEENS1_30default_config_static_selectorELNS0_4arch9wavefront6targetE1EEEvT1_,"axG",@progbits,_ZN7rocprim17ROCPRIM_400000_NS6detail17trampoline_kernelINS0_14default_configENS1_25transform_config_selectorImLb0EEEZNS1_14transform_implILb0ES3_S5_NS0_17constant_iteratorImlEEPmNS0_8identityImEEEE10hipError_tT2_T3_mT4_P12ihipStream_tbEUlT_E_NS1_11comp_targetILNS1_3genE2ELNS1_11target_archE906ELNS1_3gpuE6ELNS1_3repE0EEENS1_30default_config_static_selectorELNS0_4arch9wavefront6targetE1EEEvT1_,comdat
.Lfunc_end358:
	.size	_ZN7rocprim17ROCPRIM_400000_NS6detail17trampoline_kernelINS0_14default_configENS1_25transform_config_selectorImLb0EEEZNS1_14transform_implILb0ES3_S5_NS0_17constant_iteratorImlEEPmNS0_8identityImEEEE10hipError_tT2_T3_mT4_P12ihipStream_tbEUlT_E_NS1_11comp_targetILNS1_3genE2ELNS1_11target_archE906ELNS1_3gpuE6ELNS1_3repE0EEENS1_30default_config_static_selectorELNS0_4arch9wavefront6targetE1EEEvT1_, .Lfunc_end358-_ZN7rocprim17ROCPRIM_400000_NS6detail17trampoline_kernelINS0_14default_configENS1_25transform_config_selectorImLb0EEEZNS1_14transform_implILb0ES3_S5_NS0_17constant_iteratorImlEEPmNS0_8identityImEEEE10hipError_tT2_T3_mT4_P12ihipStream_tbEUlT_E_NS1_11comp_targetILNS1_3genE2ELNS1_11target_archE906ELNS1_3gpuE6ELNS1_3repE0EEENS1_30default_config_static_selectorELNS0_4arch9wavefront6targetE1EEEvT1_
                                        ; -- End function
	.section	.AMDGPU.csdata,"",@progbits
; Kernel info:
; codeLenInByte = 0
; NumSgprs: 4
; NumVgprs: 0
; NumAgprs: 0
; TotalNumVgprs: 0
; ScratchSize: 0
; MemoryBound: 0
; FloatMode: 240
; IeeeMode: 1
; LDSByteSize: 0 bytes/workgroup (compile time only)
; SGPRBlocks: 0
; VGPRBlocks: 0
; NumSGPRsForWavesPerEU: 4
; NumVGPRsForWavesPerEU: 1
; AccumOffset: 4
; Occupancy: 8
; WaveLimiterHint : 0
; COMPUTE_PGM_RSRC2:SCRATCH_EN: 0
; COMPUTE_PGM_RSRC2:USER_SGPR: 6
; COMPUTE_PGM_RSRC2:TRAP_HANDLER: 0
; COMPUTE_PGM_RSRC2:TGID_X_EN: 1
; COMPUTE_PGM_RSRC2:TGID_Y_EN: 0
; COMPUTE_PGM_RSRC2:TGID_Z_EN: 0
; COMPUTE_PGM_RSRC2:TIDIG_COMP_CNT: 0
; COMPUTE_PGM_RSRC3_GFX90A:ACCUM_OFFSET: 0
; COMPUTE_PGM_RSRC3_GFX90A:TG_SPLIT: 0
	.section	.text._ZN7rocprim17ROCPRIM_400000_NS6detail17trampoline_kernelINS0_14default_configENS1_25transform_config_selectorImLb0EEEZNS1_14transform_implILb0ES3_S5_NS0_17constant_iteratorImlEEPmNS0_8identityImEEEE10hipError_tT2_T3_mT4_P12ihipStream_tbEUlT_E_NS1_11comp_targetILNS1_3genE10ELNS1_11target_archE1201ELNS1_3gpuE5ELNS1_3repE0EEENS1_30default_config_static_selectorELNS0_4arch9wavefront6targetE1EEEvT1_,"axG",@progbits,_ZN7rocprim17ROCPRIM_400000_NS6detail17trampoline_kernelINS0_14default_configENS1_25transform_config_selectorImLb0EEEZNS1_14transform_implILb0ES3_S5_NS0_17constant_iteratorImlEEPmNS0_8identityImEEEE10hipError_tT2_T3_mT4_P12ihipStream_tbEUlT_E_NS1_11comp_targetILNS1_3genE10ELNS1_11target_archE1201ELNS1_3gpuE5ELNS1_3repE0EEENS1_30default_config_static_selectorELNS0_4arch9wavefront6targetE1EEEvT1_,comdat
	.protected	_ZN7rocprim17ROCPRIM_400000_NS6detail17trampoline_kernelINS0_14default_configENS1_25transform_config_selectorImLb0EEEZNS1_14transform_implILb0ES3_S5_NS0_17constant_iteratorImlEEPmNS0_8identityImEEEE10hipError_tT2_T3_mT4_P12ihipStream_tbEUlT_E_NS1_11comp_targetILNS1_3genE10ELNS1_11target_archE1201ELNS1_3gpuE5ELNS1_3repE0EEENS1_30default_config_static_selectorELNS0_4arch9wavefront6targetE1EEEvT1_ ; -- Begin function _ZN7rocprim17ROCPRIM_400000_NS6detail17trampoline_kernelINS0_14default_configENS1_25transform_config_selectorImLb0EEEZNS1_14transform_implILb0ES3_S5_NS0_17constant_iteratorImlEEPmNS0_8identityImEEEE10hipError_tT2_T3_mT4_P12ihipStream_tbEUlT_E_NS1_11comp_targetILNS1_3genE10ELNS1_11target_archE1201ELNS1_3gpuE5ELNS1_3repE0EEENS1_30default_config_static_selectorELNS0_4arch9wavefront6targetE1EEEvT1_
	.globl	_ZN7rocprim17ROCPRIM_400000_NS6detail17trampoline_kernelINS0_14default_configENS1_25transform_config_selectorImLb0EEEZNS1_14transform_implILb0ES3_S5_NS0_17constant_iteratorImlEEPmNS0_8identityImEEEE10hipError_tT2_T3_mT4_P12ihipStream_tbEUlT_E_NS1_11comp_targetILNS1_3genE10ELNS1_11target_archE1201ELNS1_3gpuE5ELNS1_3repE0EEENS1_30default_config_static_selectorELNS0_4arch9wavefront6targetE1EEEvT1_
	.p2align	8
	.type	_ZN7rocprim17ROCPRIM_400000_NS6detail17trampoline_kernelINS0_14default_configENS1_25transform_config_selectorImLb0EEEZNS1_14transform_implILb0ES3_S5_NS0_17constant_iteratorImlEEPmNS0_8identityImEEEE10hipError_tT2_T3_mT4_P12ihipStream_tbEUlT_E_NS1_11comp_targetILNS1_3genE10ELNS1_11target_archE1201ELNS1_3gpuE5ELNS1_3repE0EEENS1_30default_config_static_selectorELNS0_4arch9wavefront6targetE1EEEvT1_,@function
_ZN7rocprim17ROCPRIM_400000_NS6detail17trampoline_kernelINS0_14default_configENS1_25transform_config_selectorImLb0EEEZNS1_14transform_implILb0ES3_S5_NS0_17constant_iteratorImlEEPmNS0_8identityImEEEE10hipError_tT2_T3_mT4_P12ihipStream_tbEUlT_E_NS1_11comp_targetILNS1_3genE10ELNS1_11target_archE1201ELNS1_3gpuE5ELNS1_3repE0EEENS1_30default_config_static_selectorELNS0_4arch9wavefront6targetE1EEEvT1_: ; @_ZN7rocprim17ROCPRIM_400000_NS6detail17trampoline_kernelINS0_14default_configENS1_25transform_config_selectorImLb0EEEZNS1_14transform_implILb0ES3_S5_NS0_17constant_iteratorImlEEPmNS0_8identityImEEEE10hipError_tT2_T3_mT4_P12ihipStream_tbEUlT_E_NS1_11comp_targetILNS1_3genE10ELNS1_11target_archE1201ELNS1_3gpuE5ELNS1_3repE0EEENS1_30default_config_static_selectorELNS0_4arch9wavefront6targetE1EEEvT1_
; %bb.0:
	.section	.rodata,"a",@progbits
	.p2align	6, 0x0
	.amdhsa_kernel _ZN7rocprim17ROCPRIM_400000_NS6detail17trampoline_kernelINS0_14default_configENS1_25transform_config_selectorImLb0EEEZNS1_14transform_implILb0ES3_S5_NS0_17constant_iteratorImlEEPmNS0_8identityImEEEE10hipError_tT2_T3_mT4_P12ihipStream_tbEUlT_E_NS1_11comp_targetILNS1_3genE10ELNS1_11target_archE1201ELNS1_3gpuE5ELNS1_3repE0EEENS1_30default_config_static_selectorELNS0_4arch9wavefront6targetE1EEEvT1_
		.amdhsa_group_segment_fixed_size 0
		.amdhsa_private_segment_fixed_size 0
		.amdhsa_kernarg_size 48
		.amdhsa_user_sgpr_count 6
		.amdhsa_user_sgpr_private_segment_buffer 1
		.amdhsa_user_sgpr_dispatch_ptr 0
		.amdhsa_user_sgpr_queue_ptr 0
		.amdhsa_user_sgpr_kernarg_segment_ptr 1
		.amdhsa_user_sgpr_dispatch_id 0
		.amdhsa_user_sgpr_flat_scratch_init 0
		.amdhsa_user_sgpr_kernarg_preload_length 0
		.amdhsa_user_sgpr_kernarg_preload_offset 0
		.amdhsa_user_sgpr_private_segment_size 0
		.amdhsa_uses_dynamic_stack 0
		.amdhsa_system_sgpr_private_segment_wavefront_offset 0
		.amdhsa_system_sgpr_workgroup_id_x 1
		.amdhsa_system_sgpr_workgroup_id_y 0
		.amdhsa_system_sgpr_workgroup_id_z 0
		.amdhsa_system_sgpr_workgroup_info 0
		.amdhsa_system_vgpr_workitem_id 0
		.amdhsa_next_free_vgpr 1
		.amdhsa_next_free_sgpr 0
		.amdhsa_accum_offset 4
		.amdhsa_reserve_vcc 0
		.amdhsa_reserve_flat_scratch 0
		.amdhsa_float_round_mode_32 0
		.amdhsa_float_round_mode_16_64 0
		.amdhsa_float_denorm_mode_32 3
		.amdhsa_float_denorm_mode_16_64 3
		.amdhsa_dx10_clamp 1
		.amdhsa_ieee_mode 1
		.amdhsa_fp16_overflow 0
		.amdhsa_tg_split 0
		.amdhsa_exception_fp_ieee_invalid_op 0
		.amdhsa_exception_fp_denorm_src 0
		.amdhsa_exception_fp_ieee_div_zero 0
		.amdhsa_exception_fp_ieee_overflow 0
		.amdhsa_exception_fp_ieee_underflow 0
		.amdhsa_exception_fp_ieee_inexact 0
		.amdhsa_exception_int_div_zero 0
	.end_amdhsa_kernel
	.section	.text._ZN7rocprim17ROCPRIM_400000_NS6detail17trampoline_kernelINS0_14default_configENS1_25transform_config_selectorImLb0EEEZNS1_14transform_implILb0ES3_S5_NS0_17constant_iteratorImlEEPmNS0_8identityImEEEE10hipError_tT2_T3_mT4_P12ihipStream_tbEUlT_E_NS1_11comp_targetILNS1_3genE10ELNS1_11target_archE1201ELNS1_3gpuE5ELNS1_3repE0EEENS1_30default_config_static_selectorELNS0_4arch9wavefront6targetE1EEEvT1_,"axG",@progbits,_ZN7rocprim17ROCPRIM_400000_NS6detail17trampoline_kernelINS0_14default_configENS1_25transform_config_selectorImLb0EEEZNS1_14transform_implILb0ES3_S5_NS0_17constant_iteratorImlEEPmNS0_8identityImEEEE10hipError_tT2_T3_mT4_P12ihipStream_tbEUlT_E_NS1_11comp_targetILNS1_3genE10ELNS1_11target_archE1201ELNS1_3gpuE5ELNS1_3repE0EEENS1_30default_config_static_selectorELNS0_4arch9wavefront6targetE1EEEvT1_,comdat
.Lfunc_end359:
	.size	_ZN7rocprim17ROCPRIM_400000_NS6detail17trampoline_kernelINS0_14default_configENS1_25transform_config_selectorImLb0EEEZNS1_14transform_implILb0ES3_S5_NS0_17constant_iteratorImlEEPmNS0_8identityImEEEE10hipError_tT2_T3_mT4_P12ihipStream_tbEUlT_E_NS1_11comp_targetILNS1_3genE10ELNS1_11target_archE1201ELNS1_3gpuE5ELNS1_3repE0EEENS1_30default_config_static_selectorELNS0_4arch9wavefront6targetE1EEEvT1_, .Lfunc_end359-_ZN7rocprim17ROCPRIM_400000_NS6detail17trampoline_kernelINS0_14default_configENS1_25transform_config_selectorImLb0EEEZNS1_14transform_implILb0ES3_S5_NS0_17constant_iteratorImlEEPmNS0_8identityImEEEE10hipError_tT2_T3_mT4_P12ihipStream_tbEUlT_E_NS1_11comp_targetILNS1_3genE10ELNS1_11target_archE1201ELNS1_3gpuE5ELNS1_3repE0EEENS1_30default_config_static_selectorELNS0_4arch9wavefront6targetE1EEEvT1_
                                        ; -- End function
	.section	.AMDGPU.csdata,"",@progbits
; Kernel info:
; codeLenInByte = 0
; NumSgprs: 4
; NumVgprs: 0
; NumAgprs: 0
; TotalNumVgprs: 0
; ScratchSize: 0
; MemoryBound: 0
; FloatMode: 240
; IeeeMode: 1
; LDSByteSize: 0 bytes/workgroup (compile time only)
; SGPRBlocks: 0
; VGPRBlocks: 0
; NumSGPRsForWavesPerEU: 4
; NumVGPRsForWavesPerEU: 1
; AccumOffset: 4
; Occupancy: 8
; WaveLimiterHint : 0
; COMPUTE_PGM_RSRC2:SCRATCH_EN: 0
; COMPUTE_PGM_RSRC2:USER_SGPR: 6
; COMPUTE_PGM_RSRC2:TRAP_HANDLER: 0
; COMPUTE_PGM_RSRC2:TGID_X_EN: 1
; COMPUTE_PGM_RSRC2:TGID_Y_EN: 0
; COMPUTE_PGM_RSRC2:TGID_Z_EN: 0
; COMPUTE_PGM_RSRC2:TIDIG_COMP_CNT: 0
; COMPUTE_PGM_RSRC3_GFX90A:ACCUM_OFFSET: 0
; COMPUTE_PGM_RSRC3_GFX90A:TG_SPLIT: 0
	.section	.text._ZN7rocprim17ROCPRIM_400000_NS6detail17trampoline_kernelINS0_14default_configENS1_25transform_config_selectorImLb0EEEZNS1_14transform_implILb0ES3_S5_NS0_17constant_iteratorImlEEPmNS0_8identityImEEEE10hipError_tT2_T3_mT4_P12ihipStream_tbEUlT_E_NS1_11comp_targetILNS1_3genE10ELNS1_11target_archE1200ELNS1_3gpuE4ELNS1_3repE0EEENS1_30default_config_static_selectorELNS0_4arch9wavefront6targetE1EEEvT1_,"axG",@progbits,_ZN7rocprim17ROCPRIM_400000_NS6detail17trampoline_kernelINS0_14default_configENS1_25transform_config_selectorImLb0EEEZNS1_14transform_implILb0ES3_S5_NS0_17constant_iteratorImlEEPmNS0_8identityImEEEE10hipError_tT2_T3_mT4_P12ihipStream_tbEUlT_E_NS1_11comp_targetILNS1_3genE10ELNS1_11target_archE1200ELNS1_3gpuE4ELNS1_3repE0EEENS1_30default_config_static_selectorELNS0_4arch9wavefront6targetE1EEEvT1_,comdat
	.protected	_ZN7rocprim17ROCPRIM_400000_NS6detail17trampoline_kernelINS0_14default_configENS1_25transform_config_selectorImLb0EEEZNS1_14transform_implILb0ES3_S5_NS0_17constant_iteratorImlEEPmNS0_8identityImEEEE10hipError_tT2_T3_mT4_P12ihipStream_tbEUlT_E_NS1_11comp_targetILNS1_3genE10ELNS1_11target_archE1200ELNS1_3gpuE4ELNS1_3repE0EEENS1_30default_config_static_selectorELNS0_4arch9wavefront6targetE1EEEvT1_ ; -- Begin function _ZN7rocprim17ROCPRIM_400000_NS6detail17trampoline_kernelINS0_14default_configENS1_25transform_config_selectorImLb0EEEZNS1_14transform_implILb0ES3_S5_NS0_17constant_iteratorImlEEPmNS0_8identityImEEEE10hipError_tT2_T3_mT4_P12ihipStream_tbEUlT_E_NS1_11comp_targetILNS1_3genE10ELNS1_11target_archE1200ELNS1_3gpuE4ELNS1_3repE0EEENS1_30default_config_static_selectorELNS0_4arch9wavefront6targetE1EEEvT1_
	.globl	_ZN7rocprim17ROCPRIM_400000_NS6detail17trampoline_kernelINS0_14default_configENS1_25transform_config_selectorImLb0EEEZNS1_14transform_implILb0ES3_S5_NS0_17constant_iteratorImlEEPmNS0_8identityImEEEE10hipError_tT2_T3_mT4_P12ihipStream_tbEUlT_E_NS1_11comp_targetILNS1_3genE10ELNS1_11target_archE1200ELNS1_3gpuE4ELNS1_3repE0EEENS1_30default_config_static_selectorELNS0_4arch9wavefront6targetE1EEEvT1_
	.p2align	8
	.type	_ZN7rocprim17ROCPRIM_400000_NS6detail17trampoline_kernelINS0_14default_configENS1_25transform_config_selectorImLb0EEEZNS1_14transform_implILb0ES3_S5_NS0_17constant_iteratorImlEEPmNS0_8identityImEEEE10hipError_tT2_T3_mT4_P12ihipStream_tbEUlT_E_NS1_11comp_targetILNS1_3genE10ELNS1_11target_archE1200ELNS1_3gpuE4ELNS1_3repE0EEENS1_30default_config_static_selectorELNS0_4arch9wavefront6targetE1EEEvT1_,@function
_ZN7rocprim17ROCPRIM_400000_NS6detail17trampoline_kernelINS0_14default_configENS1_25transform_config_selectorImLb0EEEZNS1_14transform_implILb0ES3_S5_NS0_17constant_iteratorImlEEPmNS0_8identityImEEEE10hipError_tT2_T3_mT4_P12ihipStream_tbEUlT_E_NS1_11comp_targetILNS1_3genE10ELNS1_11target_archE1200ELNS1_3gpuE4ELNS1_3repE0EEENS1_30default_config_static_selectorELNS0_4arch9wavefront6targetE1EEEvT1_: ; @_ZN7rocprim17ROCPRIM_400000_NS6detail17trampoline_kernelINS0_14default_configENS1_25transform_config_selectorImLb0EEEZNS1_14transform_implILb0ES3_S5_NS0_17constant_iteratorImlEEPmNS0_8identityImEEEE10hipError_tT2_T3_mT4_P12ihipStream_tbEUlT_E_NS1_11comp_targetILNS1_3genE10ELNS1_11target_archE1200ELNS1_3gpuE4ELNS1_3repE0EEENS1_30default_config_static_selectorELNS0_4arch9wavefront6targetE1EEEvT1_
; %bb.0:
	.section	.rodata,"a",@progbits
	.p2align	6, 0x0
	.amdhsa_kernel _ZN7rocprim17ROCPRIM_400000_NS6detail17trampoline_kernelINS0_14default_configENS1_25transform_config_selectorImLb0EEEZNS1_14transform_implILb0ES3_S5_NS0_17constant_iteratorImlEEPmNS0_8identityImEEEE10hipError_tT2_T3_mT4_P12ihipStream_tbEUlT_E_NS1_11comp_targetILNS1_3genE10ELNS1_11target_archE1200ELNS1_3gpuE4ELNS1_3repE0EEENS1_30default_config_static_selectorELNS0_4arch9wavefront6targetE1EEEvT1_
		.amdhsa_group_segment_fixed_size 0
		.amdhsa_private_segment_fixed_size 0
		.amdhsa_kernarg_size 48
		.amdhsa_user_sgpr_count 6
		.amdhsa_user_sgpr_private_segment_buffer 1
		.amdhsa_user_sgpr_dispatch_ptr 0
		.amdhsa_user_sgpr_queue_ptr 0
		.amdhsa_user_sgpr_kernarg_segment_ptr 1
		.amdhsa_user_sgpr_dispatch_id 0
		.amdhsa_user_sgpr_flat_scratch_init 0
		.amdhsa_user_sgpr_kernarg_preload_length 0
		.amdhsa_user_sgpr_kernarg_preload_offset 0
		.amdhsa_user_sgpr_private_segment_size 0
		.amdhsa_uses_dynamic_stack 0
		.amdhsa_system_sgpr_private_segment_wavefront_offset 0
		.amdhsa_system_sgpr_workgroup_id_x 1
		.amdhsa_system_sgpr_workgroup_id_y 0
		.amdhsa_system_sgpr_workgroup_id_z 0
		.amdhsa_system_sgpr_workgroup_info 0
		.amdhsa_system_vgpr_workitem_id 0
		.amdhsa_next_free_vgpr 1
		.amdhsa_next_free_sgpr 0
		.amdhsa_accum_offset 4
		.amdhsa_reserve_vcc 0
		.amdhsa_reserve_flat_scratch 0
		.amdhsa_float_round_mode_32 0
		.amdhsa_float_round_mode_16_64 0
		.amdhsa_float_denorm_mode_32 3
		.amdhsa_float_denorm_mode_16_64 3
		.amdhsa_dx10_clamp 1
		.amdhsa_ieee_mode 1
		.amdhsa_fp16_overflow 0
		.amdhsa_tg_split 0
		.amdhsa_exception_fp_ieee_invalid_op 0
		.amdhsa_exception_fp_denorm_src 0
		.amdhsa_exception_fp_ieee_div_zero 0
		.amdhsa_exception_fp_ieee_overflow 0
		.amdhsa_exception_fp_ieee_underflow 0
		.amdhsa_exception_fp_ieee_inexact 0
		.amdhsa_exception_int_div_zero 0
	.end_amdhsa_kernel
	.section	.text._ZN7rocprim17ROCPRIM_400000_NS6detail17trampoline_kernelINS0_14default_configENS1_25transform_config_selectorImLb0EEEZNS1_14transform_implILb0ES3_S5_NS0_17constant_iteratorImlEEPmNS0_8identityImEEEE10hipError_tT2_T3_mT4_P12ihipStream_tbEUlT_E_NS1_11comp_targetILNS1_3genE10ELNS1_11target_archE1200ELNS1_3gpuE4ELNS1_3repE0EEENS1_30default_config_static_selectorELNS0_4arch9wavefront6targetE1EEEvT1_,"axG",@progbits,_ZN7rocprim17ROCPRIM_400000_NS6detail17trampoline_kernelINS0_14default_configENS1_25transform_config_selectorImLb0EEEZNS1_14transform_implILb0ES3_S5_NS0_17constant_iteratorImlEEPmNS0_8identityImEEEE10hipError_tT2_T3_mT4_P12ihipStream_tbEUlT_E_NS1_11comp_targetILNS1_3genE10ELNS1_11target_archE1200ELNS1_3gpuE4ELNS1_3repE0EEENS1_30default_config_static_selectorELNS0_4arch9wavefront6targetE1EEEvT1_,comdat
.Lfunc_end360:
	.size	_ZN7rocprim17ROCPRIM_400000_NS6detail17trampoline_kernelINS0_14default_configENS1_25transform_config_selectorImLb0EEEZNS1_14transform_implILb0ES3_S5_NS0_17constant_iteratorImlEEPmNS0_8identityImEEEE10hipError_tT2_T3_mT4_P12ihipStream_tbEUlT_E_NS1_11comp_targetILNS1_3genE10ELNS1_11target_archE1200ELNS1_3gpuE4ELNS1_3repE0EEENS1_30default_config_static_selectorELNS0_4arch9wavefront6targetE1EEEvT1_, .Lfunc_end360-_ZN7rocprim17ROCPRIM_400000_NS6detail17trampoline_kernelINS0_14default_configENS1_25transform_config_selectorImLb0EEEZNS1_14transform_implILb0ES3_S5_NS0_17constant_iteratorImlEEPmNS0_8identityImEEEE10hipError_tT2_T3_mT4_P12ihipStream_tbEUlT_E_NS1_11comp_targetILNS1_3genE10ELNS1_11target_archE1200ELNS1_3gpuE4ELNS1_3repE0EEENS1_30default_config_static_selectorELNS0_4arch9wavefront6targetE1EEEvT1_
                                        ; -- End function
	.section	.AMDGPU.csdata,"",@progbits
; Kernel info:
; codeLenInByte = 0
; NumSgprs: 4
; NumVgprs: 0
; NumAgprs: 0
; TotalNumVgprs: 0
; ScratchSize: 0
; MemoryBound: 0
; FloatMode: 240
; IeeeMode: 1
; LDSByteSize: 0 bytes/workgroup (compile time only)
; SGPRBlocks: 0
; VGPRBlocks: 0
; NumSGPRsForWavesPerEU: 4
; NumVGPRsForWavesPerEU: 1
; AccumOffset: 4
; Occupancy: 8
; WaveLimiterHint : 0
; COMPUTE_PGM_RSRC2:SCRATCH_EN: 0
; COMPUTE_PGM_RSRC2:USER_SGPR: 6
; COMPUTE_PGM_RSRC2:TRAP_HANDLER: 0
; COMPUTE_PGM_RSRC2:TGID_X_EN: 1
; COMPUTE_PGM_RSRC2:TGID_Y_EN: 0
; COMPUTE_PGM_RSRC2:TGID_Z_EN: 0
; COMPUTE_PGM_RSRC2:TIDIG_COMP_CNT: 0
; COMPUTE_PGM_RSRC3_GFX90A:ACCUM_OFFSET: 0
; COMPUTE_PGM_RSRC3_GFX90A:TG_SPLIT: 0
	.section	.text._ZN7rocprim17ROCPRIM_400000_NS6detail17trampoline_kernelINS0_14default_configENS1_25transform_config_selectorImLb0EEEZNS1_14transform_implILb0ES3_S5_NS0_17constant_iteratorImlEEPmNS0_8identityImEEEE10hipError_tT2_T3_mT4_P12ihipStream_tbEUlT_E_NS1_11comp_targetILNS1_3genE9ELNS1_11target_archE1100ELNS1_3gpuE3ELNS1_3repE0EEENS1_30default_config_static_selectorELNS0_4arch9wavefront6targetE1EEEvT1_,"axG",@progbits,_ZN7rocprim17ROCPRIM_400000_NS6detail17trampoline_kernelINS0_14default_configENS1_25transform_config_selectorImLb0EEEZNS1_14transform_implILb0ES3_S5_NS0_17constant_iteratorImlEEPmNS0_8identityImEEEE10hipError_tT2_T3_mT4_P12ihipStream_tbEUlT_E_NS1_11comp_targetILNS1_3genE9ELNS1_11target_archE1100ELNS1_3gpuE3ELNS1_3repE0EEENS1_30default_config_static_selectorELNS0_4arch9wavefront6targetE1EEEvT1_,comdat
	.protected	_ZN7rocprim17ROCPRIM_400000_NS6detail17trampoline_kernelINS0_14default_configENS1_25transform_config_selectorImLb0EEEZNS1_14transform_implILb0ES3_S5_NS0_17constant_iteratorImlEEPmNS0_8identityImEEEE10hipError_tT2_T3_mT4_P12ihipStream_tbEUlT_E_NS1_11comp_targetILNS1_3genE9ELNS1_11target_archE1100ELNS1_3gpuE3ELNS1_3repE0EEENS1_30default_config_static_selectorELNS0_4arch9wavefront6targetE1EEEvT1_ ; -- Begin function _ZN7rocprim17ROCPRIM_400000_NS6detail17trampoline_kernelINS0_14default_configENS1_25transform_config_selectorImLb0EEEZNS1_14transform_implILb0ES3_S5_NS0_17constant_iteratorImlEEPmNS0_8identityImEEEE10hipError_tT2_T3_mT4_P12ihipStream_tbEUlT_E_NS1_11comp_targetILNS1_3genE9ELNS1_11target_archE1100ELNS1_3gpuE3ELNS1_3repE0EEENS1_30default_config_static_selectorELNS0_4arch9wavefront6targetE1EEEvT1_
	.globl	_ZN7rocprim17ROCPRIM_400000_NS6detail17trampoline_kernelINS0_14default_configENS1_25transform_config_selectorImLb0EEEZNS1_14transform_implILb0ES3_S5_NS0_17constant_iteratorImlEEPmNS0_8identityImEEEE10hipError_tT2_T3_mT4_P12ihipStream_tbEUlT_E_NS1_11comp_targetILNS1_3genE9ELNS1_11target_archE1100ELNS1_3gpuE3ELNS1_3repE0EEENS1_30default_config_static_selectorELNS0_4arch9wavefront6targetE1EEEvT1_
	.p2align	8
	.type	_ZN7rocprim17ROCPRIM_400000_NS6detail17trampoline_kernelINS0_14default_configENS1_25transform_config_selectorImLb0EEEZNS1_14transform_implILb0ES3_S5_NS0_17constant_iteratorImlEEPmNS0_8identityImEEEE10hipError_tT2_T3_mT4_P12ihipStream_tbEUlT_E_NS1_11comp_targetILNS1_3genE9ELNS1_11target_archE1100ELNS1_3gpuE3ELNS1_3repE0EEENS1_30default_config_static_selectorELNS0_4arch9wavefront6targetE1EEEvT1_,@function
_ZN7rocprim17ROCPRIM_400000_NS6detail17trampoline_kernelINS0_14default_configENS1_25transform_config_selectorImLb0EEEZNS1_14transform_implILb0ES3_S5_NS0_17constant_iteratorImlEEPmNS0_8identityImEEEE10hipError_tT2_T3_mT4_P12ihipStream_tbEUlT_E_NS1_11comp_targetILNS1_3genE9ELNS1_11target_archE1100ELNS1_3gpuE3ELNS1_3repE0EEENS1_30default_config_static_selectorELNS0_4arch9wavefront6targetE1EEEvT1_: ; @_ZN7rocprim17ROCPRIM_400000_NS6detail17trampoline_kernelINS0_14default_configENS1_25transform_config_selectorImLb0EEEZNS1_14transform_implILb0ES3_S5_NS0_17constant_iteratorImlEEPmNS0_8identityImEEEE10hipError_tT2_T3_mT4_P12ihipStream_tbEUlT_E_NS1_11comp_targetILNS1_3genE9ELNS1_11target_archE1100ELNS1_3gpuE3ELNS1_3repE0EEENS1_30default_config_static_selectorELNS0_4arch9wavefront6targetE1EEEvT1_
; %bb.0:
	.section	.rodata,"a",@progbits
	.p2align	6, 0x0
	.amdhsa_kernel _ZN7rocprim17ROCPRIM_400000_NS6detail17trampoline_kernelINS0_14default_configENS1_25transform_config_selectorImLb0EEEZNS1_14transform_implILb0ES3_S5_NS0_17constant_iteratorImlEEPmNS0_8identityImEEEE10hipError_tT2_T3_mT4_P12ihipStream_tbEUlT_E_NS1_11comp_targetILNS1_3genE9ELNS1_11target_archE1100ELNS1_3gpuE3ELNS1_3repE0EEENS1_30default_config_static_selectorELNS0_4arch9wavefront6targetE1EEEvT1_
		.amdhsa_group_segment_fixed_size 0
		.amdhsa_private_segment_fixed_size 0
		.amdhsa_kernarg_size 48
		.amdhsa_user_sgpr_count 6
		.amdhsa_user_sgpr_private_segment_buffer 1
		.amdhsa_user_sgpr_dispatch_ptr 0
		.amdhsa_user_sgpr_queue_ptr 0
		.amdhsa_user_sgpr_kernarg_segment_ptr 1
		.amdhsa_user_sgpr_dispatch_id 0
		.amdhsa_user_sgpr_flat_scratch_init 0
		.amdhsa_user_sgpr_kernarg_preload_length 0
		.amdhsa_user_sgpr_kernarg_preload_offset 0
		.amdhsa_user_sgpr_private_segment_size 0
		.amdhsa_uses_dynamic_stack 0
		.amdhsa_system_sgpr_private_segment_wavefront_offset 0
		.amdhsa_system_sgpr_workgroup_id_x 1
		.amdhsa_system_sgpr_workgroup_id_y 0
		.amdhsa_system_sgpr_workgroup_id_z 0
		.amdhsa_system_sgpr_workgroup_info 0
		.amdhsa_system_vgpr_workitem_id 0
		.amdhsa_next_free_vgpr 1
		.amdhsa_next_free_sgpr 0
		.amdhsa_accum_offset 4
		.amdhsa_reserve_vcc 0
		.amdhsa_reserve_flat_scratch 0
		.amdhsa_float_round_mode_32 0
		.amdhsa_float_round_mode_16_64 0
		.amdhsa_float_denorm_mode_32 3
		.amdhsa_float_denorm_mode_16_64 3
		.amdhsa_dx10_clamp 1
		.amdhsa_ieee_mode 1
		.amdhsa_fp16_overflow 0
		.amdhsa_tg_split 0
		.amdhsa_exception_fp_ieee_invalid_op 0
		.amdhsa_exception_fp_denorm_src 0
		.amdhsa_exception_fp_ieee_div_zero 0
		.amdhsa_exception_fp_ieee_overflow 0
		.amdhsa_exception_fp_ieee_underflow 0
		.amdhsa_exception_fp_ieee_inexact 0
		.amdhsa_exception_int_div_zero 0
	.end_amdhsa_kernel
	.section	.text._ZN7rocprim17ROCPRIM_400000_NS6detail17trampoline_kernelINS0_14default_configENS1_25transform_config_selectorImLb0EEEZNS1_14transform_implILb0ES3_S5_NS0_17constant_iteratorImlEEPmNS0_8identityImEEEE10hipError_tT2_T3_mT4_P12ihipStream_tbEUlT_E_NS1_11comp_targetILNS1_3genE9ELNS1_11target_archE1100ELNS1_3gpuE3ELNS1_3repE0EEENS1_30default_config_static_selectorELNS0_4arch9wavefront6targetE1EEEvT1_,"axG",@progbits,_ZN7rocprim17ROCPRIM_400000_NS6detail17trampoline_kernelINS0_14default_configENS1_25transform_config_selectorImLb0EEEZNS1_14transform_implILb0ES3_S5_NS0_17constant_iteratorImlEEPmNS0_8identityImEEEE10hipError_tT2_T3_mT4_P12ihipStream_tbEUlT_E_NS1_11comp_targetILNS1_3genE9ELNS1_11target_archE1100ELNS1_3gpuE3ELNS1_3repE0EEENS1_30default_config_static_selectorELNS0_4arch9wavefront6targetE1EEEvT1_,comdat
.Lfunc_end361:
	.size	_ZN7rocprim17ROCPRIM_400000_NS6detail17trampoline_kernelINS0_14default_configENS1_25transform_config_selectorImLb0EEEZNS1_14transform_implILb0ES3_S5_NS0_17constant_iteratorImlEEPmNS0_8identityImEEEE10hipError_tT2_T3_mT4_P12ihipStream_tbEUlT_E_NS1_11comp_targetILNS1_3genE9ELNS1_11target_archE1100ELNS1_3gpuE3ELNS1_3repE0EEENS1_30default_config_static_selectorELNS0_4arch9wavefront6targetE1EEEvT1_, .Lfunc_end361-_ZN7rocprim17ROCPRIM_400000_NS6detail17trampoline_kernelINS0_14default_configENS1_25transform_config_selectorImLb0EEEZNS1_14transform_implILb0ES3_S5_NS0_17constant_iteratorImlEEPmNS0_8identityImEEEE10hipError_tT2_T3_mT4_P12ihipStream_tbEUlT_E_NS1_11comp_targetILNS1_3genE9ELNS1_11target_archE1100ELNS1_3gpuE3ELNS1_3repE0EEENS1_30default_config_static_selectorELNS0_4arch9wavefront6targetE1EEEvT1_
                                        ; -- End function
	.section	.AMDGPU.csdata,"",@progbits
; Kernel info:
; codeLenInByte = 0
; NumSgprs: 4
; NumVgprs: 0
; NumAgprs: 0
; TotalNumVgprs: 0
; ScratchSize: 0
; MemoryBound: 0
; FloatMode: 240
; IeeeMode: 1
; LDSByteSize: 0 bytes/workgroup (compile time only)
; SGPRBlocks: 0
; VGPRBlocks: 0
; NumSGPRsForWavesPerEU: 4
; NumVGPRsForWavesPerEU: 1
; AccumOffset: 4
; Occupancy: 8
; WaveLimiterHint : 0
; COMPUTE_PGM_RSRC2:SCRATCH_EN: 0
; COMPUTE_PGM_RSRC2:USER_SGPR: 6
; COMPUTE_PGM_RSRC2:TRAP_HANDLER: 0
; COMPUTE_PGM_RSRC2:TGID_X_EN: 1
; COMPUTE_PGM_RSRC2:TGID_Y_EN: 0
; COMPUTE_PGM_RSRC2:TGID_Z_EN: 0
; COMPUTE_PGM_RSRC2:TIDIG_COMP_CNT: 0
; COMPUTE_PGM_RSRC3_GFX90A:ACCUM_OFFSET: 0
; COMPUTE_PGM_RSRC3_GFX90A:TG_SPLIT: 0
	.section	.text._ZN7rocprim17ROCPRIM_400000_NS6detail17trampoline_kernelINS0_14default_configENS1_25transform_config_selectorImLb0EEEZNS1_14transform_implILb0ES3_S5_NS0_17constant_iteratorImlEEPmNS0_8identityImEEEE10hipError_tT2_T3_mT4_P12ihipStream_tbEUlT_E_NS1_11comp_targetILNS1_3genE8ELNS1_11target_archE1030ELNS1_3gpuE2ELNS1_3repE0EEENS1_30default_config_static_selectorELNS0_4arch9wavefront6targetE1EEEvT1_,"axG",@progbits,_ZN7rocprim17ROCPRIM_400000_NS6detail17trampoline_kernelINS0_14default_configENS1_25transform_config_selectorImLb0EEEZNS1_14transform_implILb0ES3_S5_NS0_17constant_iteratorImlEEPmNS0_8identityImEEEE10hipError_tT2_T3_mT4_P12ihipStream_tbEUlT_E_NS1_11comp_targetILNS1_3genE8ELNS1_11target_archE1030ELNS1_3gpuE2ELNS1_3repE0EEENS1_30default_config_static_selectorELNS0_4arch9wavefront6targetE1EEEvT1_,comdat
	.protected	_ZN7rocprim17ROCPRIM_400000_NS6detail17trampoline_kernelINS0_14default_configENS1_25transform_config_selectorImLb0EEEZNS1_14transform_implILb0ES3_S5_NS0_17constant_iteratorImlEEPmNS0_8identityImEEEE10hipError_tT2_T3_mT4_P12ihipStream_tbEUlT_E_NS1_11comp_targetILNS1_3genE8ELNS1_11target_archE1030ELNS1_3gpuE2ELNS1_3repE0EEENS1_30default_config_static_selectorELNS0_4arch9wavefront6targetE1EEEvT1_ ; -- Begin function _ZN7rocprim17ROCPRIM_400000_NS6detail17trampoline_kernelINS0_14default_configENS1_25transform_config_selectorImLb0EEEZNS1_14transform_implILb0ES3_S5_NS0_17constant_iteratorImlEEPmNS0_8identityImEEEE10hipError_tT2_T3_mT4_P12ihipStream_tbEUlT_E_NS1_11comp_targetILNS1_3genE8ELNS1_11target_archE1030ELNS1_3gpuE2ELNS1_3repE0EEENS1_30default_config_static_selectorELNS0_4arch9wavefront6targetE1EEEvT1_
	.globl	_ZN7rocprim17ROCPRIM_400000_NS6detail17trampoline_kernelINS0_14default_configENS1_25transform_config_selectorImLb0EEEZNS1_14transform_implILb0ES3_S5_NS0_17constant_iteratorImlEEPmNS0_8identityImEEEE10hipError_tT2_T3_mT4_P12ihipStream_tbEUlT_E_NS1_11comp_targetILNS1_3genE8ELNS1_11target_archE1030ELNS1_3gpuE2ELNS1_3repE0EEENS1_30default_config_static_selectorELNS0_4arch9wavefront6targetE1EEEvT1_
	.p2align	8
	.type	_ZN7rocprim17ROCPRIM_400000_NS6detail17trampoline_kernelINS0_14default_configENS1_25transform_config_selectorImLb0EEEZNS1_14transform_implILb0ES3_S5_NS0_17constant_iteratorImlEEPmNS0_8identityImEEEE10hipError_tT2_T3_mT4_P12ihipStream_tbEUlT_E_NS1_11comp_targetILNS1_3genE8ELNS1_11target_archE1030ELNS1_3gpuE2ELNS1_3repE0EEENS1_30default_config_static_selectorELNS0_4arch9wavefront6targetE1EEEvT1_,@function
_ZN7rocprim17ROCPRIM_400000_NS6detail17trampoline_kernelINS0_14default_configENS1_25transform_config_selectorImLb0EEEZNS1_14transform_implILb0ES3_S5_NS0_17constant_iteratorImlEEPmNS0_8identityImEEEE10hipError_tT2_T3_mT4_P12ihipStream_tbEUlT_E_NS1_11comp_targetILNS1_3genE8ELNS1_11target_archE1030ELNS1_3gpuE2ELNS1_3repE0EEENS1_30default_config_static_selectorELNS0_4arch9wavefront6targetE1EEEvT1_: ; @_ZN7rocprim17ROCPRIM_400000_NS6detail17trampoline_kernelINS0_14default_configENS1_25transform_config_selectorImLb0EEEZNS1_14transform_implILb0ES3_S5_NS0_17constant_iteratorImlEEPmNS0_8identityImEEEE10hipError_tT2_T3_mT4_P12ihipStream_tbEUlT_E_NS1_11comp_targetILNS1_3genE8ELNS1_11target_archE1030ELNS1_3gpuE2ELNS1_3repE0EEENS1_30default_config_static_selectorELNS0_4arch9wavefront6targetE1EEEvT1_
; %bb.0:
	.section	.rodata,"a",@progbits
	.p2align	6, 0x0
	.amdhsa_kernel _ZN7rocprim17ROCPRIM_400000_NS6detail17trampoline_kernelINS0_14default_configENS1_25transform_config_selectorImLb0EEEZNS1_14transform_implILb0ES3_S5_NS0_17constant_iteratorImlEEPmNS0_8identityImEEEE10hipError_tT2_T3_mT4_P12ihipStream_tbEUlT_E_NS1_11comp_targetILNS1_3genE8ELNS1_11target_archE1030ELNS1_3gpuE2ELNS1_3repE0EEENS1_30default_config_static_selectorELNS0_4arch9wavefront6targetE1EEEvT1_
		.amdhsa_group_segment_fixed_size 0
		.amdhsa_private_segment_fixed_size 0
		.amdhsa_kernarg_size 48
		.amdhsa_user_sgpr_count 6
		.amdhsa_user_sgpr_private_segment_buffer 1
		.amdhsa_user_sgpr_dispatch_ptr 0
		.amdhsa_user_sgpr_queue_ptr 0
		.amdhsa_user_sgpr_kernarg_segment_ptr 1
		.amdhsa_user_sgpr_dispatch_id 0
		.amdhsa_user_sgpr_flat_scratch_init 0
		.amdhsa_user_sgpr_kernarg_preload_length 0
		.amdhsa_user_sgpr_kernarg_preload_offset 0
		.amdhsa_user_sgpr_private_segment_size 0
		.amdhsa_uses_dynamic_stack 0
		.amdhsa_system_sgpr_private_segment_wavefront_offset 0
		.amdhsa_system_sgpr_workgroup_id_x 1
		.amdhsa_system_sgpr_workgroup_id_y 0
		.amdhsa_system_sgpr_workgroup_id_z 0
		.amdhsa_system_sgpr_workgroup_info 0
		.amdhsa_system_vgpr_workitem_id 0
		.amdhsa_next_free_vgpr 1
		.amdhsa_next_free_sgpr 0
		.amdhsa_accum_offset 4
		.amdhsa_reserve_vcc 0
		.amdhsa_reserve_flat_scratch 0
		.amdhsa_float_round_mode_32 0
		.amdhsa_float_round_mode_16_64 0
		.amdhsa_float_denorm_mode_32 3
		.amdhsa_float_denorm_mode_16_64 3
		.amdhsa_dx10_clamp 1
		.amdhsa_ieee_mode 1
		.amdhsa_fp16_overflow 0
		.amdhsa_tg_split 0
		.amdhsa_exception_fp_ieee_invalid_op 0
		.amdhsa_exception_fp_denorm_src 0
		.amdhsa_exception_fp_ieee_div_zero 0
		.amdhsa_exception_fp_ieee_overflow 0
		.amdhsa_exception_fp_ieee_underflow 0
		.amdhsa_exception_fp_ieee_inexact 0
		.amdhsa_exception_int_div_zero 0
	.end_amdhsa_kernel
	.section	.text._ZN7rocprim17ROCPRIM_400000_NS6detail17trampoline_kernelINS0_14default_configENS1_25transform_config_selectorImLb0EEEZNS1_14transform_implILb0ES3_S5_NS0_17constant_iteratorImlEEPmNS0_8identityImEEEE10hipError_tT2_T3_mT4_P12ihipStream_tbEUlT_E_NS1_11comp_targetILNS1_3genE8ELNS1_11target_archE1030ELNS1_3gpuE2ELNS1_3repE0EEENS1_30default_config_static_selectorELNS0_4arch9wavefront6targetE1EEEvT1_,"axG",@progbits,_ZN7rocprim17ROCPRIM_400000_NS6detail17trampoline_kernelINS0_14default_configENS1_25transform_config_selectorImLb0EEEZNS1_14transform_implILb0ES3_S5_NS0_17constant_iteratorImlEEPmNS0_8identityImEEEE10hipError_tT2_T3_mT4_P12ihipStream_tbEUlT_E_NS1_11comp_targetILNS1_3genE8ELNS1_11target_archE1030ELNS1_3gpuE2ELNS1_3repE0EEENS1_30default_config_static_selectorELNS0_4arch9wavefront6targetE1EEEvT1_,comdat
.Lfunc_end362:
	.size	_ZN7rocprim17ROCPRIM_400000_NS6detail17trampoline_kernelINS0_14default_configENS1_25transform_config_selectorImLb0EEEZNS1_14transform_implILb0ES3_S5_NS0_17constant_iteratorImlEEPmNS0_8identityImEEEE10hipError_tT2_T3_mT4_P12ihipStream_tbEUlT_E_NS1_11comp_targetILNS1_3genE8ELNS1_11target_archE1030ELNS1_3gpuE2ELNS1_3repE0EEENS1_30default_config_static_selectorELNS0_4arch9wavefront6targetE1EEEvT1_, .Lfunc_end362-_ZN7rocprim17ROCPRIM_400000_NS6detail17trampoline_kernelINS0_14default_configENS1_25transform_config_selectorImLb0EEEZNS1_14transform_implILb0ES3_S5_NS0_17constant_iteratorImlEEPmNS0_8identityImEEEE10hipError_tT2_T3_mT4_P12ihipStream_tbEUlT_E_NS1_11comp_targetILNS1_3genE8ELNS1_11target_archE1030ELNS1_3gpuE2ELNS1_3repE0EEENS1_30default_config_static_selectorELNS0_4arch9wavefront6targetE1EEEvT1_
                                        ; -- End function
	.section	.AMDGPU.csdata,"",@progbits
; Kernel info:
; codeLenInByte = 0
; NumSgprs: 4
; NumVgprs: 0
; NumAgprs: 0
; TotalNumVgprs: 0
; ScratchSize: 0
; MemoryBound: 0
; FloatMode: 240
; IeeeMode: 1
; LDSByteSize: 0 bytes/workgroup (compile time only)
; SGPRBlocks: 0
; VGPRBlocks: 0
; NumSGPRsForWavesPerEU: 4
; NumVGPRsForWavesPerEU: 1
; AccumOffset: 4
; Occupancy: 8
; WaveLimiterHint : 0
; COMPUTE_PGM_RSRC2:SCRATCH_EN: 0
; COMPUTE_PGM_RSRC2:USER_SGPR: 6
; COMPUTE_PGM_RSRC2:TRAP_HANDLER: 0
; COMPUTE_PGM_RSRC2:TGID_X_EN: 1
; COMPUTE_PGM_RSRC2:TGID_Y_EN: 0
; COMPUTE_PGM_RSRC2:TGID_Z_EN: 0
; COMPUTE_PGM_RSRC2:TIDIG_COMP_CNT: 0
; COMPUTE_PGM_RSRC3_GFX90A:ACCUM_OFFSET: 0
; COMPUTE_PGM_RSRC3_GFX90A:TG_SPLIT: 0
	.section	.text._ZN7rocprim17ROCPRIM_400000_NS6detail25reduce_by_key_init_kernelINS1_19lookback_scan_stateINS0_5tupleIJjlEEELb0ELb0EEElNS1_16block_id_wrapperIjLb0EEEEEvT_jbjPmPT0_T1_,"axG",@progbits,_ZN7rocprim17ROCPRIM_400000_NS6detail25reduce_by_key_init_kernelINS1_19lookback_scan_stateINS0_5tupleIJjlEEELb0ELb0EEElNS1_16block_id_wrapperIjLb0EEEEEvT_jbjPmPT0_T1_,comdat
	.protected	_ZN7rocprim17ROCPRIM_400000_NS6detail25reduce_by_key_init_kernelINS1_19lookback_scan_stateINS0_5tupleIJjlEEELb0ELb0EEElNS1_16block_id_wrapperIjLb0EEEEEvT_jbjPmPT0_T1_ ; -- Begin function _ZN7rocprim17ROCPRIM_400000_NS6detail25reduce_by_key_init_kernelINS1_19lookback_scan_stateINS0_5tupleIJjlEEELb0ELb0EEElNS1_16block_id_wrapperIjLb0EEEEEvT_jbjPmPT0_T1_
	.globl	_ZN7rocprim17ROCPRIM_400000_NS6detail25reduce_by_key_init_kernelINS1_19lookback_scan_stateINS0_5tupleIJjlEEELb0ELb0EEElNS1_16block_id_wrapperIjLb0EEEEEvT_jbjPmPT0_T1_
	.p2align	8
	.type	_ZN7rocprim17ROCPRIM_400000_NS6detail25reduce_by_key_init_kernelINS1_19lookback_scan_stateINS0_5tupleIJjlEEELb0ELb0EEElNS1_16block_id_wrapperIjLb0EEEEEvT_jbjPmPT0_T1_,@function
_ZN7rocprim17ROCPRIM_400000_NS6detail25reduce_by_key_init_kernelINS1_19lookback_scan_stateINS0_5tupleIJjlEEELb0ELb0EEElNS1_16block_id_wrapperIjLb0EEEEEvT_jbjPmPT0_T1_: ; @_ZN7rocprim17ROCPRIM_400000_NS6detail25reduce_by_key_init_kernelINS1_19lookback_scan_stateINS0_5tupleIJjlEEELb0ELb0EEElNS1_16block_id_wrapperIjLb0EEEEEvT_jbjPmPT0_T1_
; %bb.0:
	s_load_dwordx8 s[8:15], s[4:5], 0x18
	s_load_dword s0, s[4:5], 0x4c
	s_load_dwordx2 s[16:17], s[4:5], 0x10
	s_waitcnt lgkmcnt(0)
	s_and_b32 s1, s9, 1
	s_and_b32 s0, s0, 0xffff
	s_mul_i32 s6, s6, s0
	s_cmp_eq_u32 s1, 0
	v_add_u32_e32 v0, s6, v0
	s_mov_b64 s[0:1], -1
	s_cbranch_scc1 .LBB363_5
; %bb.1:
	s_andn2_b64 vcc, exec, s[0:1]
	s_cbranch_vccz .LBB363_11
.LBB363_2:
	v_cmp_gt_u32_e32 vcc, s8, v0
	s_and_saveexec_b64 s[0:1], vcc
	s_cbranch_execnz .LBB363_14
.LBB363_3:
	s_or_b64 exec, exec, s[0:1]
	v_cmp_gt_u32_e32 vcc, 64, v0
	s_and_saveexec_b64 s[0:1], vcc
	s_cbranch_execnz .LBB363_15
.LBB363_4:
	s_endpgm
.LBB363_5:
	s_cmp_lt_u32 s10, s8
	s_cselect_b32 s0, s10, 0
	v_cmp_eq_u32_e32 vcc, s0, v0
	s_and_saveexec_b64 s[6:7], vcc
	s_cbranch_execz .LBB363_10
; %bb.6:
	s_add_i32 s10, s10, 64
	v_mov_b32_e32 v1, s10
	global_load_ubyte v1, v1, s[16:17] glc
	s_load_dwordx4 s[0:3], s[4:5], 0x0
	s_add_u32 s4, s16, s10
	s_mov_b32 s11, 0
	s_addc_u32 s5, s17, 0
	s_waitcnt vmcnt(0)
	v_cmp_ne_u16_e32 vcc, 0, v1
	v_readfirstlane_b32 s9, v1
	s_cbranch_vccnz .LBB363_9
; %bb.7:
	v_mov_b32_e32 v1, 0
.LBB363_8:                              ; =>This Inner Loop Header: Depth=1
	global_load_ubyte v2, v1, s[4:5] glc
	s_waitcnt vmcnt(0)
	v_cmp_eq_u16_e32 vcc, 0, v2
	v_readfirstlane_b32 s9, v2
	s_cbranch_vccnz .LBB363_8
.LBB363_9:
	s_and_b32 s4, 0xffff, s9
	s_cmp_eq_u32 s4, 1
	s_waitcnt lgkmcnt(0)
	s_cselect_b32 s3, s1, s3
	s_cselect_b32 s2, s0, s2
	s_lshl_b64 s[0:1], s[10:11], 4
	v_mov_b32_e32 v1, 0
	s_add_u32 s0, s2, s0
	buffer_wbinvl1_vol
	s_addc_u32 s1, s3, s1
	global_load_dwordx2 v[2:3], v1, s[12:13]
	global_load_dword v6, v1, s[0:1]
	global_load_dwordx2 v[4:5], v1, s[0:1] offset:8
	s_waitcnt vmcnt(1)
	v_add_co_u32_e32 v2, vcc, v2, v6
	v_addc_co_u32_e32 v3, vcc, 0, v3, vcc
	global_store_dwordx2 v1, v[2:3], s[12:13]
	s_waitcnt vmcnt(1)
	global_store_dwordx2 v1, v[4:5], s[14:15]
.LBB363_10:
	s_or_b64 exec, exec, s[6:7]
	s_cbranch_execnz .LBB363_2
.LBB363_11:
	s_cmp_lg_u64 s[12:13], 0
	s_cselect_b64 s[0:1], -1, 0
	v_cmp_eq_u32_e32 vcc, 0, v0
	s_and_b64 s[2:3], s[0:1], vcc
	s_and_saveexec_b64 s[0:1], s[2:3]
	s_cbranch_execz .LBB363_13
; %bb.12:
	v_mov_b32_e32 v2, 0
	v_mov_b32_e32 v3, v2
	global_store_dwordx2 v2, v[2:3], s[12:13]
.LBB363_13:
	s_or_b64 exec, exec, s[0:1]
	v_cmp_gt_u32_e32 vcc, s8, v0
	s_and_saveexec_b64 s[0:1], vcc
	s_cbranch_execz .LBB363_3
.LBB363_14:
	v_add_u32_e32 v1, 64, v0
	v_mov_b32_e32 v2, 0
	global_store_byte v1, v2, s[16:17]
	s_or_b64 exec, exec, s[0:1]
	v_cmp_gt_u32_e32 vcc, 64, v0
	s_and_saveexec_b64 s[0:1], vcc
	s_cbranch_execz .LBB363_4
.LBB363_15:
	v_mov_b32_e32 v1, 0xff
	global_store_byte v0, v1, s[16:17]
	s_endpgm
	.section	.rodata,"a",@progbits
	.p2align	6, 0x0
	.amdhsa_kernel _ZN7rocprim17ROCPRIM_400000_NS6detail25reduce_by_key_init_kernelINS1_19lookback_scan_stateINS0_5tupleIJjlEEELb0ELb0EEElNS1_16block_id_wrapperIjLb0EEEEEvT_jbjPmPT0_T1_
		.amdhsa_group_segment_fixed_size 0
		.amdhsa_private_segment_fixed_size 0
		.amdhsa_kernarg_size 320
		.amdhsa_user_sgpr_count 6
		.amdhsa_user_sgpr_private_segment_buffer 1
		.amdhsa_user_sgpr_dispatch_ptr 0
		.amdhsa_user_sgpr_queue_ptr 0
		.amdhsa_user_sgpr_kernarg_segment_ptr 1
		.amdhsa_user_sgpr_dispatch_id 0
		.amdhsa_user_sgpr_flat_scratch_init 0
		.amdhsa_user_sgpr_kernarg_preload_length 0
		.amdhsa_user_sgpr_kernarg_preload_offset 0
		.amdhsa_user_sgpr_private_segment_size 0
		.amdhsa_uses_dynamic_stack 0
		.amdhsa_system_sgpr_private_segment_wavefront_offset 0
		.amdhsa_system_sgpr_workgroup_id_x 1
		.amdhsa_system_sgpr_workgroup_id_y 0
		.amdhsa_system_sgpr_workgroup_id_z 0
		.amdhsa_system_sgpr_workgroup_info 0
		.amdhsa_system_vgpr_workitem_id 0
		.amdhsa_next_free_vgpr 7
		.amdhsa_next_free_sgpr 18
		.amdhsa_accum_offset 8
		.amdhsa_reserve_vcc 1
		.amdhsa_reserve_flat_scratch 0
		.amdhsa_float_round_mode_32 0
		.amdhsa_float_round_mode_16_64 0
		.amdhsa_float_denorm_mode_32 3
		.amdhsa_float_denorm_mode_16_64 3
		.amdhsa_dx10_clamp 1
		.amdhsa_ieee_mode 1
		.amdhsa_fp16_overflow 0
		.amdhsa_tg_split 0
		.amdhsa_exception_fp_ieee_invalid_op 0
		.amdhsa_exception_fp_denorm_src 0
		.amdhsa_exception_fp_ieee_div_zero 0
		.amdhsa_exception_fp_ieee_overflow 0
		.amdhsa_exception_fp_ieee_underflow 0
		.amdhsa_exception_fp_ieee_inexact 0
		.amdhsa_exception_int_div_zero 0
	.end_amdhsa_kernel
	.section	.text._ZN7rocprim17ROCPRIM_400000_NS6detail25reduce_by_key_init_kernelINS1_19lookback_scan_stateINS0_5tupleIJjlEEELb0ELb0EEElNS1_16block_id_wrapperIjLb0EEEEEvT_jbjPmPT0_T1_,"axG",@progbits,_ZN7rocprim17ROCPRIM_400000_NS6detail25reduce_by_key_init_kernelINS1_19lookback_scan_stateINS0_5tupleIJjlEEELb0ELb0EEElNS1_16block_id_wrapperIjLb0EEEEEvT_jbjPmPT0_T1_,comdat
.Lfunc_end363:
	.size	_ZN7rocprim17ROCPRIM_400000_NS6detail25reduce_by_key_init_kernelINS1_19lookback_scan_stateINS0_5tupleIJjlEEELb0ELb0EEElNS1_16block_id_wrapperIjLb0EEEEEvT_jbjPmPT0_T1_, .Lfunc_end363-_ZN7rocprim17ROCPRIM_400000_NS6detail25reduce_by_key_init_kernelINS1_19lookback_scan_stateINS0_5tupleIJjlEEELb0ELb0EEElNS1_16block_id_wrapperIjLb0EEEEEvT_jbjPmPT0_T1_
                                        ; -- End function
	.section	.AMDGPU.csdata,"",@progbits
; Kernel info:
; codeLenInByte = 420
; NumSgprs: 22
; NumVgprs: 7
; NumAgprs: 0
; TotalNumVgprs: 7
; ScratchSize: 0
; MemoryBound: 0
; FloatMode: 240
; IeeeMode: 1
; LDSByteSize: 0 bytes/workgroup (compile time only)
; SGPRBlocks: 2
; VGPRBlocks: 0
; NumSGPRsForWavesPerEU: 22
; NumVGPRsForWavesPerEU: 7
; AccumOffset: 8
; Occupancy: 8
; WaveLimiterHint : 0
; COMPUTE_PGM_RSRC2:SCRATCH_EN: 0
; COMPUTE_PGM_RSRC2:USER_SGPR: 6
; COMPUTE_PGM_RSRC2:TRAP_HANDLER: 0
; COMPUTE_PGM_RSRC2:TGID_X_EN: 1
; COMPUTE_PGM_RSRC2:TGID_Y_EN: 0
; COMPUTE_PGM_RSRC2:TGID_Z_EN: 0
; COMPUTE_PGM_RSRC2:TIDIG_COMP_CNT: 0
; COMPUTE_PGM_RSRC3_GFX90A:ACCUM_OFFSET: 1
; COMPUTE_PGM_RSRC3_GFX90A:TG_SPLIT: 0
	.section	.text._ZN7rocprim17ROCPRIM_400000_NS6detail17trampoline_kernelINS0_14default_configENS1_29reduce_by_key_config_selectorIhlN6thrust23THRUST_200600_302600_NS4plusIlEEEEZZNS1_33reduce_by_key_impl_wrapped_configILNS1_25lookback_scan_determinismE0ES3_S9_PhNS6_17constant_iteratorIiNS6_11use_defaultESE_EENS6_10device_ptrIhEENSG_IlEEPmS8_NS6_8equal_toIhEEEE10hipError_tPvRmT2_T3_mT4_T5_T6_T7_T8_P12ihipStream_tbENKUlT_T0_E_clISt17integral_constantIbLb0EES13_EEDaSY_SZ_EUlSY_E_NS1_11comp_targetILNS1_3genE0ELNS1_11target_archE4294967295ELNS1_3gpuE0ELNS1_3repE0EEENS1_30default_config_static_selectorELNS0_4arch9wavefront6targetE1EEEvT1_,"axG",@progbits,_ZN7rocprim17ROCPRIM_400000_NS6detail17trampoline_kernelINS0_14default_configENS1_29reduce_by_key_config_selectorIhlN6thrust23THRUST_200600_302600_NS4plusIlEEEEZZNS1_33reduce_by_key_impl_wrapped_configILNS1_25lookback_scan_determinismE0ES3_S9_PhNS6_17constant_iteratorIiNS6_11use_defaultESE_EENS6_10device_ptrIhEENSG_IlEEPmS8_NS6_8equal_toIhEEEE10hipError_tPvRmT2_T3_mT4_T5_T6_T7_T8_P12ihipStream_tbENKUlT_T0_E_clISt17integral_constantIbLb0EES13_EEDaSY_SZ_EUlSY_E_NS1_11comp_targetILNS1_3genE0ELNS1_11target_archE4294967295ELNS1_3gpuE0ELNS1_3repE0EEENS1_30default_config_static_selectorELNS0_4arch9wavefront6targetE1EEEvT1_,comdat
	.protected	_ZN7rocprim17ROCPRIM_400000_NS6detail17trampoline_kernelINS0_14default_configENS1_29reduce_by_key_config_selectorIhlN6thrust23THRUST_200600_302600_NS4plusIlEEEEZZNS1_33reduce_by_key_impl_wrapped_configILNS1_25lookback_scan_determinismE0ES3_S9_PhNS6_17constant_iteratorIiNS6_11use_defaultESE_EENS6_10device_ptrIhEENSG_IlEEPmS8_NS6_8equal_toIhEEEE10hipError_tPvRmT2_T3_mT4_T5_T6_T7_T8_P12ihipStream_tbENKUlT_T0_E_clISt17integral_constantIbLb0EES13_EEDaSY_SZ_EUlSY_E_NS1_11comp_targetILNS1_3genE0ELNS1_11target_archE4294967295ELNS1_3gpuE0ELNS1_3repE0EEENS1_30default_config_static_selectorELNS0_4arch9wavefront6targetE1EEEvT1_ ; -- Begin function _ZN7rocprim17ROCPRIM_400000_NS6detail17trampoline_kernelINS0_14default_configENS1_29reduce_by_key_config_selectorIhlN6thrust23THRUST_200600_302600_NS4plusIlEEEEZZNS1_33reduce_by_key_impl_wrapped_configILNS1_25lookback_scan_determinismE0ES3_S9_PhNS6_17constant_iteratorIiNS6_11use_defaultESE_EENS6_10device_ptrIhEENSG_IlEEPmS8_NS6_8equal_toIhEEEE10hipError_tPvRmT2_T3_mT4_T5_T6_T7_T8_P12ihipStream_tbENKUlT_T0_E_clISt17integral_constantIbLb0EES13_EEDaSY_SZ_EUlSY_E_NS1_11comp_targetILNS1_3genE0ELNS1_11target_archE4294967295ELNS1_3gpuE0ELNS1_3repE0EEENS1_30default_config_static_selectorELNS0_4arch9wavefront6targetE1EEEvT1_
	.globl	_ZN7rocprim17ROCPRIM_400000_NS6detail17trampoline_kernelINS0_14default_configENS1_29reduce_by_key_config_selectorIhlN6thrust23THRUST_200600_302600_NS4plusIlEEEEZZNS1_33reduce_by_key_impl_wrapped_configILNS1_25lookback_scan_determinismE0ES3_S9_PhNS6_17constant_iteratorIiNS6_11use_defaultESE_EENS6_10device_ptrIhEENSG_IlEEPmS8_NS6_8equal_toIhEEEE10hipError_tPvRmT2_T3_mT4_T5_T6_T7_T8_P12ihipStream_tbENKUlT_T0_E_clISt17integral_constantIbLb0EES13_EEDaSY_SZ_EUlSY_E_NS1_11comp_targetILNS1_3genE0ELNS1_11target_archE4294967295ELNS1_3gpuE0ELNS1_3repE0EEENS1_30default_config_static_selectorELNS0_4arch9wavefront6targetE1EEEvT1_
	.p2align	8
	.type	_ZN7rocprim17ROCPRIM_400000_NS6detail17trampoline_kernelINS0_14default_configENS1_29reduce_by_key_config_selectorIhlN6thrust23THRUST_200600_302600_NS4plusIlEEEEZZNS1_33reduce_by_key_impl_wrapped_configILNS1_25lookback_scan_determinismE0ES3_S9_PhNS6_17constant_iteratorIiNS6_11use_defaultESE_EENS6_10device_ptrIhEENSG_IlEEPmS8_NS6_8equal_toIhEEEE10hipError_tPvRmT2_T3_mT4_T5_T6_T7_T8_P12ihipStream_tbENKUlT_T0_E_clISt17integral_constantIbLb0EES13_EEDaSY_SZ_EUlSY_E_NS1_11comp_targetILNS1_3genE0ELNS1_11target_archE4294967295ELNS1_3gpuE0ELNS1_3repE0EEENS1_30default_config_static_selectorELNS0_4arch9wavefront6targetE1EEEvT1_,@function
_ZN7rocprim17ROCPRIM_400000_NS6detail17trampoline_kernelINS0_14default_configENS1_29reduce_by_key_config_selectorIhlN6thrust23THRUST_200600_302600_NS4plusIlEEEEZZNS1_33reduce_by_key_impl_wrapped_configILNS1_25lookback_scan_determinismE0ES3_S9_PhNS6_17constant_iteratorIiNS6_11use_defaultESE_EENS6_10device_ptrIhEENSG_IlEEPmS8_NS6_8equal_toIhEEEE10hipError_tPvRmT2_T3_mT4_T5_T6_T7_T8_P12ihipStream_tbENKUlT_T0_E_clISt17integral_constantIbLb0EES13_EEDaSY_SZ_EUlSY_E_NS1_11comp_targetILNS1_3genE0ELNS1_11target_archE4294967295ELNS1_3gpuE0ELNS1_3repE0EEENS1_30default_config_static_selectorELNS0_4arch9wavefront6targetE1EEEvT1_: ; @_ZN7rocprim17ROCPRIM_400000_NS6detail17trampoline_kernelINS0_14default_configENS1_29reduce_by_key_config_selectorIhlN6thrust23THRUST_200600_302600_NS4plusIlEEEEZZNS1_33reduce_by_key_impl_wrapped_configILNS1_25lookback_scan_determinismE0ES3_S9_PhNS6_17constant_iteratorIiNS6_11use_defaultESE_EENS6_10device_ptrIhEENSG_IlEEPmS8_NS6_8equal_toIhEEEE10hipError_tPvRmT2_T3_mT4_T5_T6_T7_T8_P12ihipStream_tbENKUlT_T0_E_clISt17integral_constantIbLb0EES13_EEDaSY_SZ_EUlSY_E_NS1_11comp_targetILNS1_3genE0ELNS1_11target_archE4294967295ELNS1_3gpuE0ELNS1_3repE0EEENS1_30default_config_static_selectorELNS0_4arch9wavefront6targetE1EEEvT1_
; %bb.0:
	.section	.rodata,"a",@progbits
	.p2align	6, 0x0
	.amdhsa_kernel _ZN7rocprim17ROCPRIM_400000_NS6detail17trampoline_kernelINS0_14default_configENS1_29reduce_by_key_config_selectorIhlN6thrust23THRUST_200600_302600_NS4plusIlEEEEZZNS1_33reduce_by_key_impl_wrapped_configILNS1_25lookback_scan_determinismE0ES3_S9_PhNS6_17constant_iteratorIiNS6_11use_defaultESE_EENS6_10device_ptrIhEENSG_IlEEPmS8_NS6_8equal_toIhEEEE10hipError_tPvRmT2_T3_mT4_T5_T6_T7_T8_P12ihipStream_tbENKUlT_T0_E_clISt17integral_constantIbLb0EES13_EEDaSY_SZ_EUlSY_E_NS1_11comp_targetILNS1_3genE0ELNS1_11target_archE4294967295ELNS1_3gpuE0ELNS1_3repE0EEENS1_30default_config_static_selectorELNS0_4arch9wavefront6targetE1EEEvT1_
		.amdhsa_group_segment_fixed_size 0
		.amdhsa_private_segment_fixed_size 0
		.amdhsa_kernarg_size 144
		.amdhsa_user_sgpr_count 6
		.amdhsa_user_sgpr_private_segment_buffer 1
		.amdhsa_user_sgpr_dispatch_ptr 0
		.amdhsa_user_sgpr_queue_ptr 0
		.amdhsa_user_sgpr_kernarg_segment_ptr 1
		.amdhsa_user_sgpr_dispatch_id 0
		.amdhsa_user_sgpr_flat_scratch_init 0
		.amdhsa_user_sgpr_kernarg_preload_length 0
		.amdhsa_user_sgpr_kernarg_preload_offset 0
		.amdhsa_user_sgpr_private_segment_size 0
		.amdhsa_uses_dynamic_stack 0
		.amdhsa_system_sgpr_private_segment_wavefront_offset 0
		.amdhsa_system_sgpr_workgroup_id_x 1
		.amdhsa_system_sgpr_workgroup_id_y 0
		.amdhsa_system_sgpr_workgroup_id_z 0
		.amdhsa_system_sgpr_workgroup_info 0
		.amdhsa_system_vgpr_workitem_id 0
		.amdhsa_next_free_vgpr 1
		.amdhsa_next_free_sgpr 0
		.amdhsa_accum_offset 4
		.amdhsa_reserve_vcc 0
		.amdhsa_reserve_flat_scratch 0
		.amdhsa_float_round_mode_32 0
		.amdhsa_float_round_mode_16_64 0
		.amdhsa_float_denorm_mode_32 3
		.amdhsa_float_denorm_mode_16_64 3
		.amdhsa_dx10_clamp 1
		.amdhsa_ieee_mode 1
		.amdhsa_fp16_overflow 0
		.amdhsa_tg_split 0
		.amdhsa_exception_fp_ieee_invalid_op 0
		.amdhsa_exception_fp_denorm_src 0
		.amdhsa_exception_fp_ieee_div_zero 0
		.amdhsa_exception_fp_ieee_overflow 0
		.amdhsa_exception_fp_ieee_underflow 0
		.amdhsa_exception_fp_ieee_inexact 0
		.amdhsa_exception_int_div_zero 0
	.end_amdhsa_kernel
	.section	.text._ZN7rocprim17ROCPRIM_400000_NS6detail17trampoline_kernelINS0_14default_configENS1_29reduce_by_key_config_selectorIhlN6thrust23THRUST_200600_302600_NS4plusIlEEEEZZNS1_33reduce_by_key_impl_wrapped_configILNS1_25lookback_scan_determinismE0ES3_S9_PhNS6_17constant_iteratorIiNS6_11use_defaultESE_EENS6_10device_ptrIhEENSG_IlEEPmS8_NS6_8equal_toIhEEEE10hipError_tPvRmT2_T3_mT4_T5_T6_T7_T8_P12ihipStream_tbENKUlT_T0_E_clISt17integral_constantIbLb0EES13_EEDaSY_SZ_EUlSY_E_NS1_11comp_targetILNS1_3genE0ELNS1_11target_archE4294967295ELNS1_3gpuE0ELNS1_3repE0EEENS1_30default_config_static_selectorELNS0_4arch9wavefront6targetE1EEEvT1_,"axG",@progbits,_ZN7rocprim17ROCPRIM_400000_NS6detail17trampoline_kernelINS0_14default_configENS1_29reduce_by_key_config_selectorIhlN6thrust23THRUST_200600_302600_NS4plusIlEEEEZZNS1_33reduce_by_key_impl_wrapped_configILNS1_25lookback_scan_determinismE0ES3_S9_PhNS6_17constant_iteratorIiNS6_11use_defaultESE_EENS6_10device_ptrIhEENSG_IlEEPmS8_NS6_8equal_toIhEEEE10hipError_tPvRmT2_T3_mT4_T5_T6_T7_T8_P12ihipStream_tbENKUlT_T0_E_clISt17integral_constantIbLb0EES13_EEDaSY_SZ_EUlSY_E_NS1_11comp_targetILNS1_3genE0ELNS1_11target_archE4294967295ELNS1_3gpuE0ELNS1_3repE0EEENS1_30default_config_static_selectorELNS0_4arch9wavefront6targetE1EEEvT1_,comdat
.Lfunc_end364:
	.size	_ZN7rocprim17ROCPRIM_400000_NS6detail17trampoline_kernelINS0_14default_configENS1_29reduce_by_key_config_selectorIhlN6thrust23THRUST_200600_302600_NS4plusIlEEEEZZNS1_33reduce_by_key_impl_wrapped_configILNS1_25lookback_scan_determinismE0ES3_S9_PhNS6_17constant_iteratorIiNS6_11use_defaultESE_EENS6_10device_ptrIhEENSG_IlEEPmS8_NS6_8equal_toIhEEEE10hipError_tPvRmT2_T3_mT4_T5_T6_T7_T8_P12ihipStream_tbENKUlT_T0_E_clISt17integral_constantIbLb0EES13_EEDaSY_SZ_EUlSY_E_NS1_11comp_targetILNS1_3genE0ELNS1_11target_archE4294967295ELNS1_3gpuE0ELNS1_3repE0EEENS1_30default_config_static_selectorELNS0_4arch9wavefront6targetE1EEEvT1_, .Lfunc_end364-_ZN7rocprim17ROCPRIM_400000_NS6detail17trampoline_kernelINS0_14default_configENS1_29reduce_by_key_config_selectorIhlN6thrust23THRUST_200600_302600_NS4plusIlEEEEZZNS1_33reduce_by_key_impl_wrapped_configILNS1_25lookback_scan_determinismE0ES3_S9_PhNS6_17constant_iteratorIiNS6_11use_defaultESE_EENS6_10device_ptrIhEENSG_IlEEPmS8_NS6_8equal_toIhEEEE10hipError_tPvRmT2_T3_mT4_T5_T6_T7_T8_P12ihipStream_tbENKUlT_T0_E_clISt17integral_constantIbLb0EES13_EEDaSY_SZ_EUlSY_E_NS1_11comp_targetILNS1_3genE0ELNS1_11target_archE4294967295ELNS1_3gpuE0ELNS1_3repE0EEENS1_30default_config_static_selectorELNS0_4arch9wavefront6targetE1EEEvT1_
                                        ; -- End function
	.section	.AMDGPU.csdata,"",@progbits
; Kernel info:
; codeLenInByte = 0
; NumSgprs: 4
; NumVgprs: 0
; NumAgprs: 0
; TotalNumVgprs: 0
; ScratchSize: 0
; MemoryBound: 0
; FloatMode: 240
; IeeeMode: 1
; LDSByteSize: 0 bytes/workgroup (compile time only)
; SGPRBlocks: 0
; VGPRBlocks: 0
; NumSGPRsForWavesPerEU: 4
; NumVGPRsForWavesPerEU: 1
; AccumOffset: 4
; Occupancy: 8
; WaveLimiterHint : 0
; COMPUTE_PGM_RSRC2:SCRATCH_EN: 0
; COMPUTE_PGM_RSRC2:USER_SGPR: 6
; COMPUTE_PGM_RSRC2:TRAP_HANDLER: 0
; COMPUTE_PGM_RSRC2:TGID_X_EN: 1
; COMPUTE_PGM_RSRC2:TGID_Y_EN: 0
; COMPUTE_PGM_RSRC2:TGID_Z_EN: 0
; COMPUTE_PGM_RSRC2:TIDIG_COMP_CNT: 0
; COMPUTE_PGM_RSRC3_GFX90A:ACCUM_OFFSET: 0
; COMPUTE_PGM_RSRC3_GFX90A:TG_SPLIT: 0
	.section	.text._ZN7rocprim17ROCPRIM_400000_NS6detail17trampoline_kernelINS0_14default_configENS1_29reduce_by_key_config_selectorIhlN6thrust23THRUST_200600_302600_NS4plusIlEEEEZZNS1_33reduce_by_key_impl_wrapped_configILNS1_25lookback_scan_determinismE0ES3_S9_PhNS6_17constant_iteratorIiNS6_11use_defaultESE_EENS6_10device_ptrIhEENSG_IlEEPmS8_NS6_8equal_toIhEEEE10hipError_tPvRmT2_T3_mT4_T5_T6_T7_T8_P12ihipStream_tbENKUlT_T0_E_clISt17integral_constantIbLb0EES13_EEDaSY_SZ_EUlSY_E_NS1_11comp_targetILNS1_3genE5ELNS1_11target_archE942ELNS1_3gpuE9ELNS1_3repE0EEENS1_30default_config_static_selectorELNS0_4arch9wavefront6targetE1EEEvT1_,"axG",@progbits,_ZN7rocprim17ROCPRIM_400000_NS6detail17trampoline_kernelINS0_14default_configENS1_29reduce_by_key_config_selectorIhlN6thrust23THRUST_200600_302600_NS4plusIlEEEEZZNS1_33reduce_by_key_impl_wrapped_configILNS1_25lookback_scan_determinismE0ES3_S9_PhNS6_17constant_iteratorIiNS6_11use_defaultESE_EENS6_10device_ptrIhEENSG_IlEEPmS8_NS6_8equal_toIhEEEE10hipError_tPvRmT2_T3_mT4_T5_T6_T7_T8_P12ihipStream_tbENKUlT_T0_E_clISt17integral_constantIbLb0EES13_EEDaSY_SZ_EUlSY_E_NS1_11comp_targetILNS1_3genE5ELNS1_11target_archE942ELNS1_3gpuE9ELNS1_3repE0EEENS1_30default_config_static_selectorELNS0_4arch9wavefront6targetE1EEEvT1_,comdat
	.protected	_ZN7rocprim17ROCPRIM_400000_NS6detail17trampoline_kernelINS0_14default_configENS1_29reduce_by_key_config_selectorIhlN6thrust23THRUST_200600_302600_NS4plusIlEEEEZZNS1_33reduce_by_key_impl_wrapped_configILNS1_25lookback_scan_determinismE0ES3_S9_PhNS6_17constant_iteratorIiNS6_11use_defaultESE_EENS6_10device_ptrIhEENSG_IlEEPmS8_NS6_8equal_toIhEEEE10hipError_tPvRmT2_T3_mT4_T5_T6_T7_T8_P12ihipStream_tbENKUlT_T0_E_clISt17integral_constantIbLb0EES13_EEDaSY_SZ_EUlSY_E_NS1_11comp_targetILNS1_3genE5ELNS1_11target_archE942ELNS1_3gpuE9ELNS1_3repE0EEENS1_30default_config_static_selectorELNS0_4arch9wavefront6targetE1EEEvT1_ ; -- Begin function _ZN7rocprim17ROCPRIM_400000_NS6detail17trampoline_kernelINS0_14default_configENS1_29reduce_by_key_config_selectorIhlN6thrust23THRUST_200600_302600_NS4plusIlEEEEZZNS1_33reduce_by_key_impl_wrapped_configILNS1_25lookback_scan_determinismE0ES3_S9_PhNS6_17constant_iteratorIiNS6_11use_defaultESE_EENS6_10device_ptrIhEENSG_IlEEPmS8_NS6_8equal_toIhEEEE10hipError_tPvRmT2_T3_mT4_T5_T6_T7_T8_P12ihipStream_tbENKUlT_T0_E_clISt17integral_constantIbLb0EES13_EEDaSY_SZ_EUlSY_E_NS1_11comp_targetILNS1_3genE5ELNS1_11target_archE942ELNS1_3gpuE9ELNS1_3repE0EEENS1_30default_config_static_selectorELNS0_4arch9wavefront6targetE1EEEvT1_
	.globl	_ZN7rocprim17ROCPRIM_400000_NS6detail17trampoline_kernelINS0_14default_configENS1_29reduce_by_key_config_selectorIhlN6thrust23THRUST_200600_302600_NS4plusIlEEEEZZNS1_33reduce_by_key_impl_wrapped_configILNS1_25lookback_scan_determinismE0ES3_S9_PhNS6_17constant_iteratorIiNS6_11use_defaultESE_EENS6_10device_ptrIhEENSG_IlEEPmS8_NS6_8equal_toIhEEEE10hipError_tPvRmT2_T3_mT4_T5_T6_T7_T8_P12ihipStream_tbENKUlT_T0_E_clISt17integral_constantIbLb0EES13_EEDaSY_SZ_EUlSY_E_NS1_11comp_targetILNS1_3genE5ELNS1_11target_archE942ELNS1_3gpuE9ELNS1_3repE0EEENS1_30default_config_static_selectorELNS0_4arch9wavefront6targetE1EEEvT1_
	.p2align	8
	.type	_ZN7rocprim17ROCPRIM_400000_NS6detail17trampoline_kernelINS0_14default_configENS1_29reduce_by_key_config_selectorIhlN6thrust23THRUST_200600_302600_NS4plusIlEEEEZZNS1_33reduce_by_key_impl_wrapped_configILNS1_25lookback_scan_determinismE0ES3_S9_PhNS6_17constant_iteratorIiNS6_11use_defaultESE_EENS6_10device_ptrIhEENSG_IlEEPmS8_NS6_8equal_toIhEEEE10hipError_tPvRmT2_T3_mT4_T5_T6_T7_T8_P12ihipStream_tbENKUlT_T0_E_clISt17integral_constantIbLb0EES13_EEDaSY_SZ_EUlSY_E_NS1_11comp_targetILNS1_3genE5ELNS1_11target_archE942ELNS1_3gpuE9ELNS1_3repE0EEENS1_30default_config_static_selectorELNS0_4arch9wavefront6targetE1EEEvT1_,@function
_ZN7rocprim17ROCPRIM_400000_NS6detail17trampoline_kernelINS0_14default_configENS1_29reduce_by_key_config_selectorIhlN6thrust23THRUST_200600_302600_NS4plusIlEEEEZZNS1_33reduce_by_key_impl_wrapped_configILNS1_25lookback_scan_determinismE0ES3_S9_PhNS6_17constant_iteratorIiNS6_11use_defaultESE_EENS6_10device_ptrIhEENSG_IlEEPmS8_NS6_8equal_toIhEEEE10hipError_tPvRmT2_T3_mT4_T5_T6_T7_T8_P12ihipStream_tbENKUlT_T0_E_clISt17integral_constantIbLb0EES13_EEDaSY_SZ_EUlSY_E_NS1_11comp_targetILNS1_3genE5ELNS1_11target_archE942ELNS1_3gpuE9ELNS1_3repE0EEENS1_30default_config_static_selectorELNS0_4arch9wavefront6targetE1EEEvT1_: ; @_ZN7rocprim17ROCPRIM_400000_NS6detail17trampoline_kernelINS0_14default_configENS1_29reduce_by_key_config_selectorIhlN6thrust23THRUST_200600_302600_NS4plusIlEEEEZZNS1_33reduce_by_key_impl_wrapped_configILNS1_25lookback_scan_determinismE0ES3_S9_PhNS6_17constant_iteratorIiNS6_11use_defaultESE_EENS6_10device_ptrIhEENSG_IlEEPmS8_NS6_8equal_toIhEEEE10hipError_tPvRmT2_T3_mT4_T5_T6_T7_T8_P12ihipStream_tbENKUlT_T0_E_clISt17integral_constantIbLb0EES13_EEDaSY_SZ_EUlSY_E_NS1_11comp_targetILNS1_3genE5ELNS1_11target_archE942ELNS1_3gpuE9ELNS1_3repE0EEENS1_30default_config_static_selectorELNS0_4arch9wavefront6targetE1EEEvT1_
; %bb.0:
	.section	.rodata,"a",@progbits
	.p2align	6, 0x0
	.amdhsa_kernel _ZN7rocprim17ROCPRIM_400000_NS6detail17trampoline_kernelINS0_14default_configENS1_29reduce_by_key_config_selectorIhlN6thrust23THRUST_200600_302600_NS4plusIlEEEEZZNS1_33reduce_by_key_impl_wrapped_configILNS1_25lookback_scan_determinismE0ES3_S9_PhNS6_17constant_iteratorIiNS6_11use_defaultESE_EENS6_10device_ptrIhEENSG_IlEEPmS8_NS6_8equal_toIhEEEE10hipError_tPvRmT2_T3_mT4_T5_T6_T7_T8_P12ihipStream_tbENKUlT_T0_E_clISt17integral_constantIbLb0EES13_EEDaSY_SZ_EUlSY_E_NS1_11comp_targetILNS1_3genE5ELNS1_11target_archE942ELNS1_3gpuE9ELNS1_3repE0EEENS1_30default_config_static_selectorELNS0_4arch9wavefront6targetE1EEEvT1_
		.amdhsa_group_segment_fixed_size 0
		.amdhsa_private_segment_fixed_size 0
		.amdhsa_kernarg_size 144
		.amdhsa_user_sgpr_count 6
		.amdhsa_user_sgpr_private_segment_buffer 1
		.amdhsa_user_sgpr_dispatch_ptr 0
		.amdhsa_user_sgpr_queue_ptr 0
		.amdhsa_user_sgpr_kernarg_segment_ptr 1
		.amdhsa_user_sgpr_dispatch_id 0
		.amdhsa_user_sgpr_flat_scratch_init 0
		.amdhsa_user_sgpr_kernarg_preload_length 0
		.amdhsa_user_sgpr_kernarg_preload_offset 0
		.amdhsa_user_sgpr_private_segment_size 0
		.amdhsa_uses_dynamic_stack 0
		.amdhsa_system_sgpr_private_segment_wavefront_offset 0
		.amdhsa_system_sgpr_workgroup_id_x 1
		.amdhsa_system_sgpr_workgroup_id_y 0
		.amdhsa_system_sgpr_workgroup_id_z 0
		.amdhsa_system_sgpr_workgroup_info 0
		.amdhsa_system_vgpr_workitem_id 0
		.amdhsa_next_free_vgpr 1
		.amdhsa_next_free_sgpr 0
		.amdhsa_accum_offset 4
		.amdhsa_reserve_vcc 0
		.amdhsa_reserve_flat_scratch 0
		.amdhsa_float_round_mode_32 0
		.amdhsa_float_round_mode_16_64 0
		.amdhsa_float_denorm_mode_32 3
		.amdhsa_float_denorm_mode_16_64 3
		.amdhsa_dx10_clamp 1
		.amdhsa_ieee_mode 1
		.amdhsa_fp16_overflow 0
		.amdhsa_tg_split 0
		.amdhsa_exception_fp_ieee_invalid_op 0
		.amdhsa_exception_fp_denorm_src 0
		.amdhsa_exception_fp_ieee_div_zero 0
		.amdhsa_exception_fp_ieee_overflow 0
		.amdhsa_exception_fp_ieee_underflow 0
		.amdhsa_exception_fp_ieee_inexact 0
		.amdhsa_exception_int_div_zero 0
	.end_amdhsa_kernel
	.section	.text._ZN7rocprim17ROCPRIM_400000_NS6detail17trampoline_kernelINS0_14default_configENS1_29reduce_by_key_config_selectorIhlN6thrust23THRUST_200600_302600_NS4plusIlEEEEZZNS1_33reduce_by_key_impl_wrapped_configILNS1_25lookback_scan_determinismE0ES3_S9_PhNS6_17constant_iteratorIiNS6_11use_defaultESE_EENS6_10device_ptrIhEENSG_IlEEPmS8_NS6_8equal_toIhEEEE10hipError_tPvRmT2_T3_mT4_T5_T6_T7_T8_P12ihipStream_tbENKUlT_T0_E_clISt17integral_constantIbLb0EES13_EEDaSY_SZ_EUlSY_E_NS1_11comp_targetILNS1_3genE5ELNS1_11target_archE942ELNS1_3gpuE9ELNS1_3repE0EEENS1_30default_config_static_selectorELNS0_4arch9wavefront6targetE1EEEvT1_,"axG",@progbits,_ZN7rocprim17ROCPRIM_400000_NS6detail17trampoline_kernelINS0_14default_configENS1_29reduce_by_key_config_selectorIhlN6thrust23THRUST_200600_302600_NS4plusIlEEEEZZNS1_33reduce_by_key_impl_wrapped_configILNS1_25lookback_scan_determinismE0ES3_S9_PhNS6_17constant_iteratorIiNS6_11use_defaultESE_EENS6_10device_ptrIhEENSG_IlEEPmS8_NS6_8equal_toIhEEEE10hipError_tPvRmT2_T3_mT4_T5_T6_T7_T8_P12ihipStream_tbENKUlT_T0_E_clISt17integral_constantIbLb0EES13_EEDaSY_SZ_EUlSY_E_NS1_11comp_targetILNS1_3genE5ELNS1_11target_archE942ELNS1_3gpuE9ELNS1_3repE0EEENS1_30default_config_static_selectorELNS0_4arch9wavefront6targetE1EEEvT1_,comdat
.Lfunc_end365:
	.size	_ZN7rocprim17ROCPRIM_400000_NS6detail17trampoline_kernelINS0_14default_configENS1_29reduce_by_key_config_selectorIhlN6thrust23THRUST_200600_302600_NS4plusIlEEEEZZNS1_33reduce_by_key_impl_wrapped_configILNS1_25lookback_scan_determinismE0ES3_S9_PhNS6_17constant_iteratorIiNS6_11use_defaultESE_EENS6_10device_ptrIhEENSG_IlEEPmS8_NS6_8equal_toIhEEEE10hipError_tPvRmT2_T3_mT4_T5_T6_T7_T8_P12ihipStream_tbENKUlT_T0_E_clISt17integral_constantIbLb0EES13_EEDaSY_SZ_EUlSY_E_NS1_11comp_targetILNS1_3genE5ELNS1_11target_archE942ELNS1_3gpuE9ELNS1_3repE0EEENS1_30default_config_static_selectorELNS0_4arch9wavefront6targetE1EEEvT1_, .Lfunc_end365-_ZN7rocprim17ROCPRIM_400000_NS6detail17trampoline_kernelINS0_14default_configENS1_29reduce_by_key_config_selectorIhlN6thrust23THRUST_200600_302600_NS4plusIlEEEEZZNS1_33reduce_by_key_impl_wrapped_configILNS1_25lookback_scan_determinismE0ES3_S9_PhNS6_17constant_iteratorIiNS6_11use_defaultESE_EENS6_10device_ptrIhEENSG_IlEEPmS8_NS6_8equal_toIhEEEE10hipError_tPvRmT2_T3_mT4_T5_T6_T7_T8_P12ihipStream_tbENKUlT_T0_E_clISt17integral_constantIbLb0EES13_EEDaSY_SZ_EUlSY_E_NS1_11comp_targetILNS1_3genE5ELNS1_11target_archE942ELNS1_3gpuE9ELNS1_3repE0EEENS1_30default_config_static_selectorELNS0_4arch9wavefront6targetE1EEEvT1_
                                        ; -- End function
	.section	.AMDGPU.csdata,"",@progbits
; Kernel info:
; codeLenInByte = 0
; NumSgprs: 4
; NumVgprs: 0
; NumAgprs: 0
; TotalNumVgprs: 0
; ScratchSize: 0
; MemoryBound: 0
; FloatMode: 240
; IeeeMode: 1
; LDSByteSize: 0 bytes/workgroup (compile time only)
; SGPRBlocks: 0
; VGPRBlocks: 0
; NumSGPRsForWavesPerEU: 4
; NumVGPRsForWavesPerEU: 1
; AccumOffset: 4
; Occupancy: 8
; WaveLimiterHint : 0
; COMPUTE_PGM_RSRC2:SCRATCH_EN: 0
; COMPUTE_PGM_RSRC2:USER_SGPR: 6
; COMPUTE_PGM_RSRC2:TRAP_HANDLER: 0
; COMPUTE_PGM_RSRC2:TGID_X_EN: 1
; COMPUTE_PGM_RSRC2:TGID_Y_EN: 0
; COMPUTE_PGM_RSRC2:TGID_Z_EN: 0
; COMPUTE_PGM_RSRC2:TIDIG_COMP_CNT: 0
; COMPUTE_PGM_RSRC3_GFX90A:ACCUM_OFFSET: 0
; COMPUTE_PGM_RSRC3_GFX90A:TG_SPLIT: 0
	.section	.text._ZN7rocprim17ROCPRIM_400000_NS6detail17trampoline_kernelINS0_14default_configENS1_29reduce_by_key_config_selectorIhlN6thrust23THRUST_200600_302600_NS4plusIlEEEEZZNS1_33reduce_by_key_impl_wrapped_configILNS1_25lookback_scan_determinismE0ES3_S9_PhNS6_17constant_iteratorIiNS6_11use_defaultESE_EENS6_10device_ptrIhEENSG_IlEEPmS8_NS6_8equal_toIhEEEE10hipError_tPvRmT2_T3_mT4_T5_T6_T7_T8_P12ihipStream_tbENKUlT_T0_E_clISt17integral_constantIbLb0EES13_EEDaSY_SZ_EUlSY_E_NS1_11comp_targetILNS1_3genE4ELNS1_11target_archE910ELNS1_3gpuE8ELNS1_3repE0EEENS1_30default_config_static_selectorELNS0_4arch9wavefront6targetE1EEEvT1_,"axG",@progbits,_ZN7rocprim17ROCPRIM_400000_NS6detail17trampoline_kernelINS0_14default_configENS1_29reduce_by_key_config_selectorIhlN6thrust23THRUST_200600_302600_NS4plusIlEEEEZZNS1_33reduce_by_key_impl_wrapped_configILNS1_25lookback_scan_determinismE0ES3_S9_PhNS6_17constant_iteratorIiNS6_11use_defaultESE_EENS6_10device_ptrIhEENSG_IlEEPmS8_NS6_8equal_toIhEEEE10hipError_tPvRmT2_T3_mT4_T5_T6_T7_T8_P12ihipStream_tbENKUlT_T0_E_clISt17integral_constantIbLb0EES13_EEDaSY_SZ_EUlSY_E_NS1_11comp_targetILNS1_3genE4ELNS1_11target_archE910ELNS1_3gpuE8ELNS1_3repE0EEENS1_30default_config_static_selectorELNS0_4arch9wavefront6targetE1EEEvT1_,comdat
	.protected	_ZN7rocprim17ROCPRIM_400000_NS6detail17trampoline_kernelINS0_14default_configENS1_29reduce_by_key_config_selectorIhlN6thrust23THRUST_200600_302600_NS4plusIlEEEEZZNS1_33reduce_by_key_impl_wrapped_configILNS1_25lookback_scan_determinismE0ES3_S9_PhNS6_17constant_iteratorIiNS6_11use_defaultESE_EENS6_10device_ptrIhEENSG_IlEEPmS8_NS6_8equal_toIhEEEE10hipError_tPvRmT2_T3_mT4_T5_T6_T7_T8_P12ihipStream_tbENKUlT_T0_E_clISt17integral_constantIbLb0EES13_EEDaSY_SZ_EUlSY_E_NS1_11comp_targetILNS1_3genE4ELNS1_11target_archE910ELNS1_3gpuE8ELNS1_3repE0EEENS1_30default_config_static_selectorELNS0_4arch9wavefront6targetE1EEEvT1_ ; -- Begin function _ZN7rocprim17ROCPRIM_400000_NS6detail17trampoline_kernelINS0_14default_configENS1_29reduce_by_key_config_selectorIhlN6thrust23THRUST_200600_302600_NS4plusIlEEEEZZNS1_33reduce_by_key_impl_wrapped_configILNS1_25lookback_scan_determinismE0ES3_S9_PhNS6_17constant_iteratorIiNS6_11use_defaultESE_EENS6_10device_ptrIhEENSG_IlEEPmS8_NS6_8equal_toIhEEEE10hipError_tPvRmT2_T3_mT4_T5_T6_T7_T8_P12ihipStream_tbENKUlT_T0_E_clISt17integral_constantIbLb0EES13_EEDaSY_SZ_EUlSY_E_NS1_11comp_targetILNS1_3genE4ELNS1_11target_archE910ELNS1_3gpuE8ELNS1_3repE0EEENS1_30default_config_static_selectorELNS0_4arch9wavefront6targetE1EEEvT1_
	.globl	_ZN7rocprim17ROCPRIM_400000_NS6detail17trampoline_kernelINS0_14default_configENS1_29reduce_by_key_config_selectorIhlN6thrust23THRUST_200600_302600_NS4plusIlEEEEZZNS1_33reduce_by_key_impl_wrapped_configILNS1_25lookback_scan_determinismE0ES3_S9_PhNS6_17constant_iteratorIiNS6_11use_defaultESE_EENS6_10device_ptrIhEENSG_IlEEPmS8_NS6_8equal_toIhEEEE10hipError_tPvRmT2_T3_mT4_T5_T6_T7_T8_P12ihipStream_tbENKUlT_T0_E_clISt17integral_constantIbLb0EES13_EEDaSY_SZ_EUlSY_E_NS1_11comp_targetILNS1_3genE4ELNS1_11target_archE910ELNS1_3gpuE8ELNS1_3repE0EEENS1_30default_config_static_selectorELNS0_4arch9wavefront6targetE1EEEvT1_
	.p2align	8
	.type	_ZN7rocprim17ROCPRIM_400000_NS6detail17trampoline_kernelINS0_14default_configENS1_29reduce_by_key_config_selectorIhlN6thrust23THRUST_200600_302600_NS4plusIlEEEEZZNS1_33reduce_by_key_impl_wrapped_configILNS1_25lookback_scan_determinismE0ES3_S9_PhNS6_17constant_iteratorIiNS6_11use_defaultESE_EENS6_10device_ptrIhEENSG_IlEEPmS8_NS6_8equal_toIhEEEE10hipError_tPvRmT2_T3_mT4_T5_T6_T7_T8_P12ihipStream_tbENKUlT_T0_E_clISt17integral_constantIbLb0EES13_EEDaSY_SZ_EUlSY_E_NS1_11comp_targetILNS1_3genE4ELNS1_11target_archE910ELNS1_3gpuE8ELNS1_3repE0EEENS1_30default_config_static_selectorELNS0_4arch9wavefront6targetE1EEEvT1_,@function
_ZN7rocprim17ROCPRIM_400000_NS6detail17trampoline_kernelINS0_14default_configENS1_29reduce_by_key_config_selectorIhlN6thrust23THRUST_200600_302600_NS4plusIlEEEEZZNS1_33reduce_by_key_impl_wrapped_configILNS1_25lookback_scan_determinismE0ES3_S9_PhNS6_17constant_iteratorIiNS6_11use_defaultESE_EENS6_10device_ptrIhEENSG_IlEEPmS8_NS6_8equal_toIhEEEE10hipError_tPvRmT2_T3_mT4_T5_T6_T7_T8_P12ihipStream_tbENKUlT_T0_E_clISt17integral_constantIbLb0EES13_EEDaSY_SZ_EUlSY_E_NS1_11comp_targetILNS1_3genE4ELNS1_11target_archE910ELNS1_3gpuE8ELNS1_3repE0EEENS1_30default_config_static_selectorELNS0_4arch9wavefront6targetE1EEEvT1_: ; @_ZN7rocprim17ROCPRIM_400000_NS6detail17trampoline_kernelINS0_14default_configENS1_29reduce_by_key_config_selectorIhlN6thrust23THRUST_200600_302600_NS4plusIlEEEEZZNS1_33reduce_by_key_impl_wrapped_configILNS1_25lookback_scan_determinismE0ES3_S9_PhNS6_17constant_iteratorIiNS6_11use_defaultESE_EENS6_10device_ptrIhEENSG_IlEEPmS8_NS6_8equal_toIhEEEE10hipError_tPvRmT2_T3_mT4_T5_T6_T7_T8_P12ihipStream_tbENKUlT_T0_E_clISt17integral_constantIbLb0EES13_EEDaSY_SZ_EUlSY_E_NS1_11comp_targetILNS1_3genE4ELNS1_11target_archE910ELNS1_3gpuE8ELNS1_3repE0EEENS1_30default_config_static_selectorELNS0_4arch9wavefront6targetE1EEEvT1_
; %bb.0:
	s_load_dwordx16 s[36:51], s[4:5], 0x40
	s_load_dwordx4 s[0:3], s[4:5], 0x0
	s_load_dword s10, s[4:5], 0x18
	s_load_dwordx4 s[52:55], s[4:5], 0x20
	s_load_dwordx2 s[34:35], s[4:5], 0x30
	s_waitcnt lgkmcnt(0)
	s_mul_i32 s7, s44, s43
	s_mul_hi_u32 s8, s44, s42
	s_add_i32 s7, s8, s7
	s_mul_i32 s8, s45, s42
	s_add_i32 s7, s7, s8
	s_add_u32 s0, s0, s2
	s_addc_u32 s1, s1, s3
	s_mul_i32 s2, s6, 0xf00
	s_add_u32 s2, s0, s2
	s_mul_i32 s8, s44, s42
	s_addc_u32 s3, s1, 0
	s_add_u32 s0, s8, s6
	s_addc_u32 s1, s7, 0
	s_add_u32 s14, s46, -1
	s_addc_u32 s15, s47, -1
	s_cmp_eq_u64 s[0:1], s[14:15]
	s_cselect_b64 s[44:45], -1, 0
	s_cmp_lg_u64 s[0:1], s[14:15]
	s_mov_b64 s[12:13], -1
	s_cselect_b64 s[8:9], -1, 0
	s_mul_i32 s33, s14, 0xfffff100
	s_and_b64 vcc, exec, s[44:45]
	v_mad_u32_u24 v6, v0, 14, v0
	v_mad_u32_u24 v38, v0, 15, 1
	;; [unrolled: 1-line block ×15, first 2 shown]
	s_cbranch_vccnz .LBB366_2
; %bb.1:
	global_load_ubyte v1, v0, s[2:3]
	global_load_ubyte v2, v0, s[2:3] offset:256
	global_load_ubyte v3, v0, s[2:3] offset:512
	;; [unrolled: 1-line block ×14, first 2 shown]
	s_ashr_i32 s11, s10, 31
	v_mul_u32_u24_e32 v7, 15, v0
	v_mad_u32_u24 v20, v0, 15, 1
	v_mad_u32_u24 v19, v0, 15, 2
	v_mad_u32_u24 v18, v0, 15, 3
	v_mad_u32_u24 v15, v0, 15, 4
	v_mad_u32_u24 v14, v0, 15, 5
	v_mad_u32_u24 v13, v0, 15, 6
	v_mad_u32_u24 v12, v0, 15, 7
	v_mad_u32_u24 v11, v0, 15, 8
	v_mad_u32_u24 v10, v0, 15, 9
	v_mad_u32_u24 v9, v0, 15, 10
	v_mad_u32_u24 v8, v0, 15, 11
	v_mad_u32_u24 v34, v0, 15, 12
	v_mad_u32_u24 v17, v0, 15, 13
	v_mad_u32_u24 v16, v0, 15, 14
	v_mad_i32_i24 v33, v0, -7, v6
	v_pk_mov_b32 v[22:23], s[10:11], s[10:11] op_sel:[0,1]
	s_waitcnt vmcnt(14)
	ds_write_b8 v0, v1
	s_waitcnt vmcnt(13)
	ds_write_b8 v0, v2 offset:256
	s_waitcnt vmcnt(12)
	ds_write_b8 v0, v3 offset:512
	;; [unrolled: 2-line block ×14, first 2 shown]
	s_waitcnt lgkmcnt(0)
	s_barrier
	ds_read_b96 v[2:4], v6
	ds_read_u8 v73, v6 offset:12
	ds_read_u8 v5, v6 offset:13
	;; [unrolled: 1-line block ×3, first 2 shown]
	s_waitcnt lgkmcnt(0)
	v_lshrrev_b32_e32 v93, 8, v2
	v_lshrrev_b32_e32 v91, 16, v2
	;; [unrolled: 1-line block ×9, first 2 shown]
	s_barrier
	ds_write2st64_b64 v33, v[22:23], v[22:23] offset1:4
	ds_write2st64_b64 v33, v[22:23], v[22:23] offset0:8 offset1:12
	ds_write2st64_b64 v33, v[22:23], v[22:23] offset0:16 offset1:20
	;; [unrolled: 1-line block ×6, first 2 shown]
	ds_write_b64 v33, v[22:23] offset:28672
	s_waitcnt lgkmcnt(0)
	s_barrier
	s_load_dwordx2 s[30:31], s[4:5], 0x80
	s_add_i32 s33, s33, s48
	s_cbranch_execz .LBB366_3
	s_branch .LBB366_34
.LBB366_2:
                                        ; implicit-def: $vgpr16
                                        ; implicit-def: $vgpr17
                                        ; implicit-def: $vgpr34
                                        ; implicit-def: $vgpr8
                                        ; implicit-def: $vgpr9
                                        ; implicit-def: $vgpr10
                                        ; implicit-def: $vgpr11
                                        ; implicit-def: $vgpr12
                                        ; implicit-def: $vgpr13
                                        ; implicit-def: $vgpr14
                                        ; implicit-def: $vgpr15
                                        ; implicit-def: $vgpr18
                                        ; implicit-def: $vgpr19
                                        ; implicit-def: $vgpr20
                                        ; implicit-def: $vgpr7
                                        ; implicit-def: $vgpr2
                                        ; implicit-def: $vgpr93
                                        ; implicit-def: $vgpr91
                                        ; implicit-def: $vgpr90
                                        ; implicit-def: $vgpr87
                                        ; implicit-def: $vgpr86
                                        ; implicit-def: $vgpr84
                                        ; implicit-def: $vgpr82
                                        ; implicit-def: $vgpr80
                                        ; implicit-def: $vgpr79
                                        ; implicit-def: $vgpr73
                                        ; implicit-def: $vgpr5
                                        ; implicit-def: $vgpr1
	s_load_dwordx2 s[30:31], s[4:5], 0x80
	s_andn2_b64 vcc, exec, s[12:13]
	s_add_i32 s33, s33, s48
	s_cbranch_vccnz .LBB366_34
.LBB366_3:
	v_cmp_gt_u32_e32 vcc, s33, v0
                                        ; implicit-def: $vgpr1
	s_and_saveexec_b64 s[4:5], vcc
	s_cbranch_execz .LBB366_5
; %bb.4:
	global_load_ubyte v1, v0, s[2:3]
.LBB366_5:
	s_or_b64 exec, exec, s[4:5]
	v_or_b32_e32 v2, 0x100, v0
	v_cmp_gt_u32_e32 vcc, s33, v2
                                        ; implicit-def: $vgpr2
	s_and_saveexec_b64 s[4:5], vcc
	s_cbranch_execz .LBB366_7
; %bb.6:
	global_load_ubyte v2, v0, s[2:3] offset:256
.LBB366_7:
	s_or_b64 exec, exec, s[4:5]
	v_or_b32_e32 v3, 0x200, v0
	v_cmp_gt_u32_e32 vcc, s33, v3
                                        ; implicit-def: $vgpr3
	s_and_saveexec_b64 s[4:5], vcc
	s_cbranch_execz .LBB366_9
; %bb.8:
	global_load_ubyte v3, v0, s[2:3] offset:512
.LBB366_9:
	s_or_b64 exec, exec, s[4:5]
	v_or_b32_e32 v4, 0x300, v0
	v_cmp_gt_u32_e32 vcc, s33, v4
                                        ; implicit-def: $vgpr4
	s_and_saveexec_b64 s[4:5], vcc
	s_cbranch_execz .LBB366_11
; %bb.10:
	global_load_ubyte v4, v0, s[2:3] offset:768
.LBB366_11:
	s_or_b64 exec, exec, s[4:5]
	v_or_b32_e32 v5, 0x400, v0
	v_cmp_gt_u32_e32 vcc, s33, v5
                                        ; implicit-def: $vgpr5
	s_and_saveexec_b64 s[4:5], vcc
	s_cbranch_execz .LBB366_13
; %bb.12:
	global_load_ubyte v5, v0, s[2:3] offset:1024
.LBB366_13:
	s_or_b64 exec, exec, s[4:5]
	v_or_b32_e32 v7, 0x500, v0
	v_cmp_gt_u32_e32 vcc, s33, v7
                                        ; implicit-def: $vgpr7
	s_and_saveexec_b64 s[4:5], vcc
	s_cbranch_execz .LBB366_15
; %bb.14:
	global_load_ubyte v7, v0, s[2:3] offset:1280
.LBB366_15:
	s_or_b64 exec, exec, s[4:5]
	v_or_b32_e32 v8, 0x600, v0
	v_cmp_gt_u32_e32 vcc, s33, v8
                                        ; implicit-def: $vgpr8
	s_and_saveexec_b64 s[4:5], vcc
	s_cbranch_execz .LBB366_17
; %bb.16:
	global_load_ubyte v8, v0, s[2:3] offset:1536
.LBB366_17:
	s_or_b64 exec, exec, s[4:5]
	v_or_b32_e32 v9, 0x700, v0
	v_cmp_gt_u32_e32 vcc, s33, v9
                                        ; implicit-def: $vgpr9
	s_and_saveexec_b64 s[4:5], vcc
	s_cbranch_execz .LBB366_19
; %bb.18:
	global_load_ubyte v9, v0, s[2:3] offset:1792
.LBB366_19:
	s_or_b64 exec, exec, s[4:5]
	v_or_b32_e32 v10, 0x800, v0
	v_cmp_gt_u32_e32 vcc, s33, v10
                                        ; implicit-def: $vgpr10
	s_and_saveexec_b64 s[4:5], vcc
	s_cbranch_execz .LBB366_21
; %bb.20:
	global_load_ubyte v10, v0, s[2:3] offset:2048
.LBB366_21:
	s_or_b64 exec, exec, s[4:5]
	v_or_b32_e32 v11, 0x900, v0
	v_cmp_gt_u32_e32 vcc, s33, v11
                                        ; implicit-def: $vgpr11
	s_and_saveexec_b64 s[4:5], vcc
	s_cbranch_execz .LBB366_23
; %bb.22:
	global_load_ubyte v11, v0, s[2:3] offset:2304
.LBB366_23:
	s_or_b64 exec, exec, s[4:5]
	v_or_b32_e32 v12, 0xa00, v0
	v_cmp_gt_u32_e32 vcc, s33, v12
                                        ; implicit-def: $vgpr12
	s_and_saveexec_b64 s[4:5], vcc
	s_cbranch_execz .LBB366_25
; %bb.24:
	global_load_ubyte v12, v0, s[2:3] offset:2560
.LBB366_25:
	s_or_b64 exec, exec, s[4:5]
	v_or_b32_e32 v13, 0xb00, v0
	v_cmp_gt_u32_e32 vcc, s33, v13
                                        ; implicit-def: $vgpr13
	s_and_saveexec_b64 s[4:5], vcc
	s_cbranch_execz .LBB366_27
; %bb.26:
	global_load_ubyte v13, v0, s[2:3] offset:2816
.LBB366_27:
	s_or_b64 exec, exec, s[4:5]
	v_or_b32_e32 v14, 0xc00, v0
	v_cmp_gt_u32_e32 vcc, s33, v14
                                        ; implicit-def: $vgpr14
	s_and_saveexec_b64 s[4:5], vcc
	s_cbranch_execz .LBB366_29
; %bb.28:
	global_load_ubyte v14, v0, s[2:3] offset:3072
.LBB366_29:
	s_or_b64 exec, exec, s[4:5]
	v_or_b32_e32 v15, 0xd00, v0
	v_cmp_gt_u32_e32 vcc, s33, v15
                                        ; implicit-def: $vgpr15
	s_and_saveexec_b64 s[4:5], vcc
	s_cbranch_execz .LBB366_31
; %bb.30:
	global_load_ubyte v15, v0, s[2:3] offset:3328
.LBB366_31:
	s_or_b64 exec, exec, s[4:5]
	v_or_b32_e32 v16, 0xe00, v0
	v_cmp_gt_u32_e32 vcc, s33, v16
                                        ; implicit-def: $vgpr16
	s_and_saveexec_b64 s[4:5], vcc
	s_cbranch_execz .LBB366_33
; %bb.32:
	global_load_ubyte v16, v0, s[2:3] offset:3584
.LBB366_33:
	s_or_b64 exec, exec, s[4:5]
	s_waitcnt vmcnt(0)
	ds_write_b8 v0, v1
	ds_write_b8 v0, v2 offset:256
	ds_write_b8 v0, v3 offset:512
	ds_write_b8 v0, v4 offset:768
	ds_write_b8 v0, v5 offset:1024
	ds_write_b8 v0, v7 offset:1280
	ds_write_b8 v0, v8 offset:1536
	ds_write_b8 v0, v9 offset:1792
	ds_write_b8 v0, v10 offset:2048
	ds_write_b8 v0, v11 offset:2304
	ds_write_b8 v0, v12 offset:2560
	ds_write_b8 v0, v13 offset:2816
	ds_write_b8 v0, v14 offset:3072
	ds_write_b8 v0, v15 offset:3328
	ds_write_b8 v0, v16 offset:3584
	s_waitcnt lgkmcnt(0)
	s_barrier
	ds_read_b96 v[2:4], v6
	ds_read_u8 v73, v6 offset:12
	ds_read_u8 v5, v6 offset:13
	ds_read_u8 v1, v6 offset:14
	s_ashr_i32 s11, s10, 31
	v_mad_i32_i24 v6, v0, -7, v6
	v_pk_mov_b32 v[8:9], s[10:11], s[10:11] op_sel:[0,1]
	v_mul_u32_u24_e32 v7, 15, v0
	s_waitcnt lgkmcnt(3)
	v_lshrrev_b32_e32 v93, 8, v2
	v_lshrrev_b32_e32 v91, 16, v2
	;; [unrolled: 1-line block ×9, first 2 shown]
	s_waitcnt lgkmcnt(0)
	s_barrier
	ds_write2st64_b64 v6, v[8:9], v[8:9] offset1:4
	ds_write2st64_b64 v6, v[8:9], v[8:9] offset0:8 offset1:12
	ds_write2st64_b64 v6, v[8:9], v[8:9] offset0:16 offset1:20
	;; [unrolled: 1-line block ×6, first 2 shown]
	ds_write_b64 v6, v[8:9] offset:28672
	v_mov_b32_e32 v16, v36
	v_mov_b32_e32 v17, v62
	;; [unrolled: 1-line block ×14, first 2 shown]
	s_waitcnt lgkmcnt(0)
	s_barrier
.LBB366_34:
	v_lshlrev_b32_e32 v6, 3, v7
	s_waitcnt lgkmcnt(0)
	v_lshlrev_b32_e32 v7, 3, v20
	v_lshlrev_b32_e32 v19, 3, v19
	v_lshlrev_b32_e32 v18, 3, v18
	ds_read_b64 v[32:33], v6
	ds_read_b64 v[30:31], v7
	ds_read_b64 v[28:29], v19
	ds_read_b64 v[24:25], v18
	v_lshlrev_b32_e32 v6, 3, v15
	v_lshlrev_b32_e32 v7, 3, v14
	v_lshlrev_b32_e32 v13, 3, v13
	v_lshlrev_b32_e32 v12, 3, v12
	ds_read_b64 v[26:27], v6
	ds_read_b64 v[22:23], v7
	ds_read_b64 v[20:21], v13
	ds_read_b64 v[14:15], v12
	v_lshlrev_b32_e32 v6, 3, v11
	;; [unrolled: 8-line block ×3, first 2 shown]
	v_lshlrev_b32_e32 v17, 3, v17
	v_lshlrev_b32_e32 v34, 3, v16
	ds_read_b64 v[6:7], v6
	ds_read_b64 v[16:17], v17
	;; [unrolled: 1-line block ×3, first 2 shown]
	s_cmp_eq_u64 s[0:1], 0
	s_cselect_b64 s[46:47], -1, 0
	s_cmp_lg_u64 s[0:1], 0
	s_mov_b64 s[4:5], 0
	s_cselect_b64 s[10:11], -1, 0
	s_and_b64 vcc, exec, s[8:9]
	s_waitcnt lgkmcnt(0)
	s_barrier
	s_cbranch_vccz .LBB366_40
; %bb.35:
	s_and_b64 vcc, exec, s[10:11]
	s_cbranch_vccz .LBB366_41
; %bb.36:
	v_mov_b32_e32 v37, 0
	global_load_ubyte v37, v37, s[2:3] offset:-1
	v_cmp_ne_u16_sdwa s[4:5], v5, v1 src0_sel:BYTE_0 src1_sel:BYTE_0
	v_cmp_ne_u16_sdwa s[8:9], v73, v5 src0_sel:BYTE_0 src1_sel:BYTE_0
	;; [unrolled: 1-line block ×14, first 2 shown]
	v_cmp_ne_u32_e32 vcc, 0, v0
	ds_write_b8 v0, v1
	s_waitcnt lgkmcnt(0)
	s_barrier
	s_and_saveexec_b64 s[62:63], vcc
	s_cbranch_execz .LBB366_38
; %bb.37:
	s_waitcnt vmcnt(0)
	v_add_u32_e32 v37, -1, v0
	ds_read_u8 v37, v37
.LBB366_38:
	s_or_b64 exec, exec, s[62:63]
	s_waitcnt vmcnt(0) lgkmcnt(0)
	v_and_b32_e32 v37, 0xff, v37
	v_cndmask_b32_e64 v72, 0, 1, s[4:5]
	v_cndmask_b32_e64 v74, 0, 1, s[8:9]
	;; [unrolled: 1-line block ×14, first 2 shown]
	v_cmp_ne_u16_sdwa s[8:9], v37, v2 src0_sel:DWORD src1_sel:BYTE_0
	s_mov_b64 s[4:5], -1
.LBB366_39:
                                        ; implicit-def: $sgpr7
	s_branch .LBB366_53
.LBB366_40:
                                        ; implicit-def: $sgpr8_sgpr9
                                        ; implicit-def: $vgpr72
                                        ; implicit-def: $vgpr74
                                        ; implicit-def: $vgpr75
                                        ; implicit-def: $vgpr76
                                        ; implicit-def: $vgpr77
                                        ; implicit-def: $vgpr78
                                        ; implicit-def: $vgpr81
                                        ; implicit-def: $vgpr83
                                        ; implicit-def: $vgpr85
                                        ; implicit-def: $vgpr88
                                        ; implicit-def: $vgpr89
                                        ; implicit-def: $vgpr92
                                        ; implicit-def: $vgpr94
                                        ; implicit-def: $vgpr95
                                        ; implicit-def: $sgpr7
	s_cbranch_execnz .LBB366_45
	s_branch .LBB366_53
.LBB366_41:
                                        ; implicit-def: $sgpr8_sgpr9
                                        ; implicit-def: $vgpr72
                                        ; implicit-def: $vgpr74
                                        ; implicit-def: $vgpr75
                                        ; implicit-def: $vgpr76
                                        ; implicit-def: $vgpr77
                                        ; implicit-def: $vgpr78
                                        ; implicit-def: $vgpr81
                                        ; implicit-def: $vgpr83
                                        ; implicit-def: $vgpr85
                                        ; implicit-def: $vgpr88
                                        ; implicit-def: $vgpr89
                                        ; implicit-def: $vgpr92
                                        ; implicit-def: $vgpr94
                                        ; implicit-def: $vgpr95
	s_cbranch_execz .LBB366_39
; %bb.42:
	v_cmp_ne_u16_sdwa s[8:9], v5, v1 src0_sel:BYTE_0 src1_sel:BYTE_0
	v_cndmask_b32_e64 v72, 0, 1, s[8:9]
	v_cmp_ne_u16_sdwa s[8:9], v73, v5 src0_sel:BYTE_0 src1_sel:BYTE_0
	v_cndmask_b32_e64 v74, 0, 1, s[8:9]
	;; [unrolled: 2-line block ×14, first 2 shown]
	v_cmp_ne_u32_e32 vcc, 0, v0
	ds_write_b8 v0, v1
	s_waitcnt lgkmcnt(0)
	s_barrier
	s_waitcnt lgkmcnt(0)
                                        ; implicit-def: $sgpr8_sgpr9
	s_and_saveexec_b64 s[12:13], vcc
	s_xor_b64 s[12:13], exec, s[12:13]
	s_cbranch_execz .LBB366_44
; %bb.43:
	v_add_u32_e32 v37, -1, v0
	ds_read_u8 v37, v37
	s_or_b64 s[4:5], s[4:5], exec
	s_waitcnt lgkmcnt(0)
	v_cmp_ne_u16_sdwa s[8:9], v37, v2 src0_sel:DWORD src1_sel:BYTE_0
	s_and_b64 s[8:9], s[8:9], exec
.LBB366_44:
	s_or_b64 exec, exec, s[12:13]
	s_mov_b32 s7, 1
	s_branch .LBB366_53
.LBB366_45:
	s_mul_hi_u32 s7, s0, 0xfffff100
	s_mulk_i32 s1, 0xf100
	s_sub_i32 s7, s7, s0
	s_add_i32 s7, s7, s1
	s_mulk_i32 s0, 0xf100
	s_add_u32 s12, s0, s48
	s_addc_u32 s13, s7, s49
	s_and_b64 vcc, exec, s[10:11]
	v_cmp_ne_u16_sdwa s[60:61], v5, v1 src0_sel:BYTE_0 src1_sel:BYTE_0
	v_cmp_ne_u16_sdwa s[58:59], v73, v5 src0_sel:BYTE_0 src1_sel:BYTE_0
	v_cmp_ne_u16_sdwa s[8:9], v79, v73 src0_sel:BYTE_0 src1_sel:BYTE_0
	v_cmp_ne_u16_sdwa s[14:15], v80, v79 src0_sel:BYTE_0 src1_sel:BYTE_0
	v_cmp_ne_u16_sdwa s[18:19], v82, v80 src0_sel:BYTE_0 src1_sel:BYTE_0
	v_cmp_ne_u16_sdwa s[22:23], v4, v82 src0_sel:BYTE_0 src1_sel:BYTE_0
	v_cmp_ne_u16_sdwa s[26:27], v84, v4 src0_sel:BYTE_0 src1_sel:BYTE_0
	v_cmp_ne_u16_sdwa s[48:49], v86, v84 src0_sel:BYTE_0 src1_sel:BYTE_0
	v_cmp_ne_u16_sdwa s[56:57], v87, v86 src0_sel:BYTE_0 src1_sel:BYTE_0
	v_cmp_ne_u16_sdwa s[28:29], v3, v87 src0_sel:BYTE_0 src1_sel:BYTE_0
	v_cmp_ne_u16_sdwa s[24:25], v90, v3 src0_sel:BYTE_0 src1_sel:BYTE_0
	v_cmp_ne_u16_sdwa s[20:21], v91, v90 src0_sel:BYTE_0 src1_sel:BYTE_0
	v_cmp_ne_u16_sdwa s[16:17], v93, v91 src0_sel:BYTE_0 src1_sel:BYTE_0
	v_cmp_ne_u16_sdwa s[10:11], v2, v93 src0_sel:BYTE_0 src1_sel:BYTE_0
	v_cmp_ne_u32_e64 s[0:1], 0, v0
	s_cbranch_vccz .LBB366_50
; %bb.46:
	v_mov_b32_e32 v37, 0
	global_load_ubyte v66, v37, s[2:3] offset:-1
	v_cmp_gt_u64_e32 vcc, s[12:13], v[36:37]
	v_mov_b32_e32 v63, v37
	s_and_b64 s[2:3], vcc, s[60:61]
	v_cmp_gt_u64_e32 vcc, s[12:13], v[62:63]
	v_mov_b32_e32 v61, v37
	s_and_b64 s[4:5], vcc, s[58:59]
	;; [unrolled: 3-line block ×13, first 2 shown]
	v_cmp_gt_u64_e32 vcc, s[12:13], v[38:39]
	v_mul_u32_u24_e32 v64, 15, v0
	s_and_b64 s[10:11], vcc, s[10:11]
	ds_write_b8 v0, v1
	s_waitcnt lgkmcnt(0)
	s_barrier
	s_and_saveexec_b64 s[58:59], s[0:1]
	s_cbranch_execz .LBB366_48
; %bb.47:
	v_add_u32_e32 v39, -1, v0
	s_waitcnt vmcnt(0)
	ds_read_u8 v66, v39
.LBB366_48:
	s_or_b64 exec, exec, s[58:59]
	v_mov_b32_e32 v65, v37
	s_waitcnt vmcnt(0) lgkmcnt(0)
	v_and_b32_e32 v37, 0xff, v66
	v_cmp_gt_u64_e32 vcc, s[12:13], v[64:65]
	v_cmp_ne_u16_sdwa s[0:1], v37, v2 src0_sel:DWORD src1_sel:BYTE_0
	v_cndmask_b32_e64 v72, 0, 1, s[2:3]
	v_cndmask_b32_e64 v74, 0, 1, s[4:5]
	;; [unrolled: 1-line block ×14, first 2 shown]
	s_and_b64 s[8:9], vcc, s[0:1]
	s_mov_b64 s[4:5], -1
.LBB366_49:
                                        ; implicit-def: $sgpr7
	v_mov_b32_e32 v96, s7
	s_and_saveexec_b64 s[0:1], s[4:5]
	s_cbranch_execnz .LBB366_54
	s_branch .LBB366_55
.LBB366_50:
                                        ; implicit-def: $sgpr8_sgpr9
                                        ; implicit-def: $vgpr72
                                        ; implicit-def: $vgpr74
                                        ; implicit-def: $vgpr75
                                        ; implicit-def: $vgpr76
                                        ; implicit-def: $vgpr77
                                        ; implicit-def: $vgpr78
                                        ; implicit-def: $vgpr81
                                        ; implicit-def: $vgpr83
                                        ; implicit-def: $vgpr85
                                        ; implicit-def: $vgpr88
                                        ; implicit-def: $vgpr89
                                        ; implicit-def: $vgpr92
                                        ; implicit-def: $vgpr94
                                        ; implicit-def: $vgpr95
	s_cbranch_execz .LBB366_49
; %bb.51:
	v_mov_b32_e32 v37, 0
	v_cmp_gt_u64_e32 vcc, s[12:13], v[36:37]
	v_cmp_ne_u16_sdwa s[0:1], v5, v1 src0_sel:BYTE_0 src1_sel:BYTE_0
	s_and_b64 s[0:1], vcc, s[0:1]
	v_mov_b32_e32 v63, v37
	v_cndmask_b32_e64 v72, 0, 1, s[0:1]
	v_cmp_gt_u64_e32 vcc, s[12:13], v[62:63]
	v_cmp_ne_u16_sdwa s[0:1], v73, v5 src0_sel:BYTE_0 src1_sel:BYTE_0
	s_and_b64 s[0:1], vcc, s[0:1]
	v_mov_b32_e32 v61, v37
	v_cndmask_b32_e64 v74, 0, 1, s[0:1]
	;; [unrolled: 5-line block ×13, first 2 shown]
	v_cmp_gt_u64_e32 vcc, s[12:13], v[38:39]
	v_cmp_ne_u16_sdwa s[0:1], v2, v93 src0_sel:BYTE_0 src1_sel:BYTE_0
	s_and_b64 s[0:1], vcc, s[0:1]
	s_mov_b32 s7, 1
	v_cndmask_b32_e64 v95, 0, 1, s[0:1]
	v_cmp_ne_u32_e32 vcc, 0, v0
	ds_write_b8 v0, v1
	s_waitcnt lgkmcnt(0)
	s_barrier
	s_waitcnt lgkmcnt(0)
                                        ; implicit-def: $sgpr8_sgpr9
	s_and_saveexec_b64 s[0:1], vcc
	s_cbranch_execz .LBB366_201
; %bb.52:
	v_add_u32_e32 v36, -1, v0
	ds_read_u8 v38, v36
	v_mul_u32_u24_e32 v36, 15, v0
	v_cmp_gt_u64_e32 vcc, s[12:13], v[36:37]
	s_or_b64 s[4:5], s[4:5], exec
	s_waitcnt lgkmcnt(0)
	v_and_b32_e32 v36, 0xff, v38
	v_cmp_ne_u16_sdwa s[2:3], v36, v2 src0_sel:DWORD src1_sel:BYTE_0
	s_and_b64 s[2:3], vcc, s[2:3]
	s_and_b64 s[8:9], s[2:3], exec
	s_or_b64 exec, exec, s[0:1]
.LBB366_53:
	v_mov_b32_e32 v96, s7
	s_and_saveexec_b64 s[0:1], s[4:5]
.LBB366_54:
	v_cndmask_b32_e64 v96, 0, 1, s[8:9]
.LBB366_55:
	s_or_b64 exec, exec, s[0:1]
	s_cmp_eq_u64 s[42:43], 0
	v_add3_u32 v36, v95, v96, v94
	s_cselect_b64 s[42:43], -1, 0
	s_cmp_lg_u32 s6, 0
	v_cmp_eq_u32_e64 s[24:25], 0, v95
	v_cmp_eq_u32_e64 s[22:23], 0, v94
	;; [unrolled: 1-line block ×3, first 2 shown]
	v_add3_u32 v99, v36, v92, v89
	v_cmp_eq_u32_e64 s[18:19], 0, v89
	v_cmp_eq_u32_e64 s[16:17], 0, v88
	;; [unrolled: 1-line block ×10, first 2 shown]
	v_cmp_eq_u32_e32 vcc, 0, v72
	v_mbcnt_lo_u32_b32 v98, -1, 0
	s_cbranch_scc0 .LBB366_122
; %bb.56:
	v_cndmask_b32_e64 v37, 0, v32, s[24:25]
	v_cndmask_b32_e64 v36, 0, v33, s[24:25]
	v_add_co_u32_e64 v37, s[26:27], v37, v30
	v_addc_co_u32_e64 v36, s[26:27], v36, v31, s[26:27]
	v_cndmask_b32_e64 v37, 0, v37, s[22:23]
	v_cndmask_b32_e64 v36, 0, v36, s[22:23]
	v_add_co_u32_e64 v37, s[26:27], v37, v28
	v_addc_co_u32_e64 v36, s[26:27], v36, v29, s[26:27]
	;; [unrolled: 4-line block ×11, first 2 shown]
	v_cndmask_b32_e64 v37, 0, v37, s[2:3]
	v_add3_u32 v38, v99, v88, v85
	v_cndmask_b32_e64 v36, 0, v36, s[2:3]
	v_add_co_u32_e64 v37, s[26:27], v37, v6
	v_add3_u32 v38, v38, v83, v81
	v_addc_co_u32_e64 v36, s[26:27], v36, v7, s[26:27]
	v_cndmask_b32_e64 v37, 0, v37, s[0:1]
	v_add3_u32 v38, v38, v78, v77
	v_cndmask_b32_e64 v36, 0, v36, s[0:1]
	v_add_co_u32_e64 v37, s[26:27], v37, v16
	v_add3_u32 v38, v38, v76, v75
	v_addc_co_u32_e64 v36, s[26:27], v36, v17, s[26:27]
	v_cndmask_b32_e32 v37, 0, v37, vcc
	v_add3_u32 v40, v38, v74, v72
	v_cndmask_b32_e32 v36, 0, v36, vcc
	v_add_co_u32_e32 v38, vcc, v37, v34
	v_mbcnt_hi_u32_b32 v41, -1, v98
	v_addc_co_u32_e32 v39, vcc, v36, v35, vcc
	v_and_b32_e32 v36, 15, v41
	v_mov_b32_dpp v42, v40 row_shr:1 row_mask:0xf bank_mask:0xf
	v_mov_b32_dpp v37, v38 row_shr:1 row_mask:0xf bank_mask:0xf
	;; [unrolled: 1-line block ×3, first 2 shown]
	v_cmp_ne_u32_e32 vcc, 0, v36
	s_and_saveexec_b64 s[26:27], vcc
; %bb.57:
	v_cmp_eq_u32_e32 vcc, 0, v40
	v_cndmask_b32_e32 v37, 0, v37, vcc
	v_add_u32_e32 v42, v42, v40
	v_cndmask_b32_e32 v40, 0, v43, vcc
	v_add_co_u32_e32 v38, vcc, v37, v38
	v_addc_co_u32_e32 v39, vcc, v40, v39, vcc
	v_mov_b32_e32 v40, v42
; %bb.58:
	s_or_b64 exec, exec, s[26:27]
	s_nop 0
	v_mov_b32_dpp v42, v40 row_shr:2 row_mask:0xf bank_mask:0xf
	v_mov_b32_dpp v37, v38 row_shr:2 row_mask:0xf bank_mask:0xf
	v_mov_b32_dpp v43, v39 row_shr:2 row_mask:0xf bank_mask:0xf
	v_cmp_lt_u32_e32 vcc, 1, v36
	s_and_saveexec_b64 s[26:27], vcc
; %bb.59:
	v_cmp_eq_u32_e32 vcc, 0, v40
	v_cndmask_b32_e32 v37, 0, v37, vcc
	v_add_u32_e32 v42, v42, v40
	v_cndmask_b32_e32 v40, 0, v43, vcc
	v_add_co_u32_e32 v38, vcc, v37, v38
	v_addc_co_u32_e32 v39, vcc, v40, v39, vcc
	v_mov_b32_e32 v40, v42
; %bb.60:
	s_or_b64 exec, exec, s[26:27]
	s_nop 0
	v_mov_b32_dpp v42, v40 row_shr:4 row_mask:0xf bank_mask:0xf
	v_mov_b32_dpp v37, v38 row_shr:4 row_mask:0xf bank_mask:0xf
	v_mov_b32_dpp v43, v39 row_shr:4 row_mask:0xf bank_mask:0xf
	v_cmp_lt_u32_e32 vcc, 3, v36
	;; [unrolled: 16-line block ×3, first 2 shown]
	s_and_saveexec_b64 s[26:27], vcc
; %bb.63:
	v_cmp_eq_u32_e32 vcc, 0, v40
	v_cndmask_b32_e32 v37, 0, v37, vcc
	v_add_u32_e32 v36, v42, v40
	v_cndmask_b32_e32 v40, 0, v43, vcc
	v_add_co_u32_e32 v38, vcc, v37, v38
	v_addc_co_u32_e32 v39, vcc, v40, v39, vcc
	v_mov_b32_e32 v40, v36
; %bb.64:
	s_or_b64 exec, exec, s[26:27]
	v_and_b32_e32 v43, 16, v41
	v_mov_b32_dpp v37, v40 row_bcast:15 row_mask:0xf bank_mask:0xf
	v_mov_b32_dpp v36, v38 row_bcast:15 row_mask:0xf bank_mask:0xf
	;; [unrolled: 1-line block ×3, first 2 shown]
	v_cmp_ne_u32_e32 vcc, 0, v43
	s_and_saveexec_b64 s[26:27], vcc
; %bb.65:
	v_cmp_eq_u32_e32 vcc, 0, v40
	v_cndmask_b32_e32 v36, 0, v36, vcc
	v_add_u32_e32 v37, v37, v40
	v_cndmask_b32_e32 v40, 0, v42, vcc
	v_add_co_u32_e32 v38, vcc, v36, v38
	v_addc_co_u32_e32 v39, vcc, v40, v39, vcc
	v_mov_b32_e32 v40, v37
; %bb.66:
	s_or_b64 exec, exec, s[26:27]
	s_nop 0
	v_mov_b32_dpp v37, v40 row_bcast:31 row_mask:0xf bank_mask:0xf
	v_mov_b32_dpp v36, v38 row_bcast:31 row_mask:0xf bank_mask:0xf
	;; [unrolled: 1-line block ×3, first 2 shown]
	v_cmp_lt_u32_e32 vcc, 31, v41
	s_and_saveexec_b64 s[26:27], vcc
; %bb.67:
	v_cmp_eq_u32_e32 vcc, 0, v40
	v_cndmask_b32_e32 v36, 0, v36, vcc
	v_add_u32_e32 v37, v37, v40
	v_cndmask_b32_e32 v40, 0, v42, vcc
	v_add_co_u32_e32 v38, vcc, v36, v38
	v_addc_co_u32_e32 v39, vcc, v40, v39, vcc
	v_mov_b32_e32 v40, v37
; %bb.68:
	s_or_b64 exec, exec, s[26:27]
	v_lshrrev_b32_e32 v36, 6, v0
	v_or_b32_e32 v37, 63, v0
	v_cmp_eq_u32_e32 vcc, v37, v0
	v_lshlrev_b32_e32 v42, 4, v36
	s_and_saveexec_b64 s[26:27], vcc
	s_cbranch_execz .LBB366_70
; %bb.69:
	ds_write_b32 v42, v40 offset:544
	ds_write_b64 v42, v[38:39] offset:552
.LBB366_70:
	s_or_b64 exec, exec, s[26:27]
	v_cmp_gt_u32_e32 vcc, 4, v0
	s_waitcnt lgkmcnt(0)
	s_barrier
	s_and_saveexec_b64 s[26:27], vcc
	s_cbranch_execz .LBB366_76
; %bb.71:
	v_lshlrev_b32_e32 v43, 4, v0
	ds_read_b32 v44, v43 offset:544
	ds_read_b64 v[36:37], v43 offset:552
	v_and_b32_e32 v45, 3, v41
	v_cmp_ne_u32_e32 vcc, 0, v45
	s_waitcnt lgkmcnt(1)
	v_mov_b32_dpp v47, v44 row_shr:1 row_mask:0xf bank_mask:0xf
	s_waitcnt lgkmcnt(0)
	v_mov_b32_dpp v46, v36 row_shr:1 row_mask:0xf bank_mask:0xf
	v_mov_b32_dpp v48, v37 row_shr:1 row_mask:0xf bank_mask:0xf
	s_and_saveexec_b64 s[48:49], vcc
; %bb.72:
	v_cmp_eq_u32_e32 vcc, 0, v44
	v_cndmask_b32_e32 v46, 0, v46, vcc
	v_add_u32_e32 v47, v47, v44
	v_cndmask_b32_e32 v44, 0, v48, vcc
	v_add_co_u32_e32 v36, vcc, v46, v36
	v_addc_co_u32_e32 v37, vcc, v44, v37, vcc
	v_mov_b32_e32 v44, v47
; %bb.73:
	s_or_b64 exec, exec, s[48:49]
	s_nop 0
	v_mov_b32_dpp v47, v44 row_shr:2 row_mask:0xf bank_mask:0xf
	v_mov_b32_dpp v46, v36 row_shr:2 row_mask:0xf bank_mask:0xf
	;; [unrolled: 1-line block ×3, first 2 shown]
	v_cmp_lt_u32_e32 vcc, 1, v45
	s_and_saveexec_b64 s[48:49], vcc
; %bb.74:
	v_cmp_eq_u32_e32 vcc, 0, v44
	v_cndmask_b32_e32 v46, 0, v46, vcc
	v_add_u32_e32 v45, v47, v44
	v_cndmask_b32_e32 v44, 0, v48, vcc
	v_add_co_u32_e32 v36, vcc, v46, v36
	v_addc_co_u32_e32 v37, vcc, v44, v37, vcc
	v_mov_b32_e32 v44, v45
; %bb.75:
	s_or_b64 exec, exec, s[48:49]
	ds_write_b32 v43, v44 offset:544
	ds_write_b64 v43, v[36:37] offset:552
.LBB366_76:
	s_or_b64 exec, exec, s[26:27]
	v_cmp_gt_u32_e32 vcc, 64, v0
	v_cmp_lt_u32_e64 s[26:27], 63, v0
	v_pk_mov_b32 v[36:37], 0, 0
	v_mov_b32_e32 v48, 0
	s_waitcnt lgkmcnt(0)
	s_barrier
	s_and_saveexec_b64 s[48:49], s[26:27]
	s_cbranch_execz .LBB366_78
; %bb.77:
	ds_read_b32 v48, v42 offset:528
	ds_read_b64 v[36:37], v42 offset:536
	v_cmp_eq_u32_e64 s[26:27], 0, v40
	s_waitcnt lgkmcnt(1)
	v_add_u32_e32 v42, v48, v40
	s_waitcnt lgkmcnt(0)
	v_cndmask_b32_e64 v43, 0, v36, s[26:27]
	v_cndmask_b32_e64 v40, 0, v37, s[26:27]
	v_add_co_u32_e64 v38, s[26:27], v43, v38
	v_addc_co_u32_e64 v39, s[26:27], v40, v39, s[26:27]
	v_mov_b32_e32 v40, v42
.LBB366_78:
	s_or_b64 exec, exec, s[48:49]
	v_add_u32_e32 v42, -1, v41
	v_and_b32_e32 v43, 64, v41
	v_cmp_lt_i32_e64 s[26:27], v42, v43
	v_cndmask_b32_e64 v42, v42, v41, s[26:27]
	v_lshlrev_b32_e32 v42, 2, v42
	ds_bpermute_b32 v49, v42, v40
	ds_bpermute_b32 v50, v42, v38
	;; [unrolled: 1-line block ×3, first 2 shown]
	v_cmp_eq_u32_e64 s[26:27], 0, v41
	s_and_saveexec_b64 s[48:49], vcc
	s_cbranch_execz .LBB366_121
; %bb.79:
	v_mov_b32_e32 v43, 0
	ds_read_b32 v52, v43 offset:592
	ds_read_b64 v[38:39], v43 offset:600
	s_and_saveexec_b64 s[56:57], s[26:27]
	s_cbranch_execz .LBB366_81
; %bb.80:
	s_add_i32 s58, s6, 64
	s_mov_b32 s59, 0
	s_lshl_b64 s[60:61], s[58:59], 4
	s_add_u32 s60, s36, s60
	s_addc_u32 s61, s37, s61
	v_mov_b32_e32 v40, s58
	v_mov_b32_e32 v42, 1
	s_waitcnt lgkmcnt(1)
	global_store_dword v43, v52, s[60:61]
	s_waitcnt lgkmcnt(0)
	global_store_dwordx2 v43, v[38:39], s[60:61] offset:8
	s_waitcnt vmcnt(0)
	buffer_wbinvl1_vol
	global_store_byte v40, v42, s[40:41]
.LBB366_81:
	s_or_b64 exec, exec, s[56:57]
	v_xad_u32 v40, v41, -1, s6
	v_add_u32_e32 v42, 64, v40
	global_load_ubyte v53, v42, s[40:41] glc
	s_waitcnt vmcnt(0)
	v_cmp_eq_u16_e32 vcc, 0, v53
	s_and_saveexec_b64 s[56:57], vcc
	s_cbranch_execz .LBB366_85
; %bb.82:
	v_mov_b32_e32 v45, s41
	v_add_co_u32_e32 v44, vcc, s40, v42
	v_addc_co_u32_e32 v45, vcc, 0, v45, vcc
	s_mov_b64 s[58:59], 0
.LBB366_83:                             ; =>This Inner Loop Header: Depth=1
	global_load_ubyte v53, v[44:45], off glc
	s_waitcnt vmcnt(0)
	v_cmp_ne_u16_e32 vcc, 0, v53
	s_or_b64 s[58:59], vcc, s[58:59]
	s_andn2_b64 exec, exec, s[58:59]
	s_cbranch_execnz .LBB366_83
; %bb.84:
	s_or_b64 exec, exec, s[58:59]
.LBB366_85:
	s_or_b64 exec, exec, s[56:57]
	v_mov_b32_e32 v44, s39
	v_mov_b32_e32 v45, s37
	v_cmp_eq_u16_e32 vcc, 1, v53
	v_cndmask_b32_e32 v44, v44, v45, vcc
	v_mov_b32_e32 v45, s38
	v_mov_b32_e32 v46, s36
	v_cndmask_b32_e32 v45, v45, v46, vcc
	v_lshlrev_b64 v[42:43], 4, v[42:43]
	v_add_co_u32_e32 v42, vcc, v45, v42
	v_addc_co_u32_e32 v43, vcc, v44, v43, vcc
	s_waitcnt lgkmcnt(0)
	buffer_wbinvl1_vol
	global_load_dword v68, v[42:43], off
	global_load_dwordx2 v[46:47], v[42:43], off offset:8
	v_cmp_eq_u16_e32 vcc, 2, v53
	v_lshlrev_b64 v[42:43], v41, -1
	v_and_b32_e32 v54, 63, v41
	v_and_b32_e32 v44, vcc_hi, v43
	v_and_b32_e32 v58, vcc_lo, v42
	v_cmp_ne_u32_e32 vcc, 63, v54
	v_addc_co_u32_e32 v45, vcc, 0, v41, vcc
	v_lshlrev_b32_e32 v55, 2, v45
	v_or_b32_e32 v44, 0x80000000, v44
	v_ffbl_b32_e32 v44, v44
	v_add_u32_e32 v44, 32, v44
	v_ffbl_b32_e32 v58, v58
	v_min_u32_e32 v44, v58, v44
	v_cmp_lt_u32_e32 vcc, v54, v44
	s_waitcnt vmcnt(1)
	ds_bpermute_b32 v56, v55, v68
	s_waitcnt vmcnt(0)
	ds_bpermute_b32 v45, v55, v46
	ds_bpermute_b32 v57, v55, v47
	s_and_saveexec_b64 s[56:57], vcc
	s_cbranch_execz .LBB366_87
; %bb.86:
	v_cmp_eq_u32_e32 vcc, 0, v68
	s_waitcnt lgkmcnt(1)
	v_cndmask_b32_e32 v45, 0, v45, vcc
	v_add_u32_e32 v56, v56, v68
	s_waitcnt lgkmcnt(0)
	v_cndmask_b32_e32 v57, 0, v57, vcc
	v_add_co_u32_e32 v46, vcc, v45, v46
	v_addc_co_u32_e32 v47, vcc, v57, v47, vcc
	v_mov_b32_e32 v68, v56
.LBB366_87:
	s_or_b64 exec, exec, s[56:57]
	v_cmp_gt_u32_e32 vcc, 62, v54
	s_waitcnt lgkmcnt(1)
	v_cndmask_b32_e64 v45, 0, 1, vcc
	v_lshlrev_b32_e32 v45, 1, v45
	v_add_lshl_u32 v56, v45, v41, 2
	ds_bpermute_b32 v58, v56, v68
	ds_bpermute_b32 v45, v56, v46
	ds_bpermute_b32 v59, v56, v47
	s_waitcnt lgkmcnt(3)
	v_add_u32_e32 v57, 2, v54
	v_cmp_le_u32_e32 vcc, v57, v44
	s_and_saveexec_b64 s[56:57], vcc
	s_cbranch_execz .LBB366_89
; %bb.88:
	v_cmp_eq_u32_e32 vcc, 0, v68
	s_waitcnt lgkmcnt(1)
	v_cndmask_b32_e32 v45, 0, v45, vcc
	v_add_u32_e32 v58, v58, v68
	s_waitcnt lgkmcnt(0)
	v_cndmask_b32_e32 v59, 0, v59, vcc
	v_add_co_u32_e32 v46, vcc, v45, v46
	v_addc_co_u32_e32 v47, vcc, v59, v47, vcc
	v_mov_b32_e32 v68, v58
.LBB366_89:
	s_or_b64 exec, exec, s[56:57]
	v_cmp_gt_u32_e32 vcc, 60, v54
	s_waitcnt lgkmcnt(1)
	v_cndmask_b32_e64 v45, 0, 1, vcc
	v_lshlrev_b32_e32 v45, 2, v45
	v_add_lshl_u32 v58, v45, v41, 2
	ds_bpermute_b32 v60, v58, v68
	ds_bpermute_b32 v45, v58, v46
	ds_bpermute_b32 v61, v58, v47
	s_waitcnt lgkmcnt(3)
	v_add_u32_e32 v59, 4, v54
	v_cmp_le_u32_e32 vcc, v59, v44
	;; [unrolled: 25-line block ×4, first 2 shown]
	s_and_saveexec_b64 s[56:57], vcc
	s_cbranch_execz .LBB366_95
; %bb.94:
	v_cmp_eq_u32_e32 vcc, 0, v68
	s_waitcnt lgkmcnt(1)
	v_cndmask_b32_e32 v45, 0, v45, vcc
	v_add_u32_e32 v64, v64, v68
	s_waitcnt lgkmcnt(0)
	v_cndmask_b32_e32 v65, 0, v65, vcc
	v_add_co_u32_e32 v46, vcc, v45, v46
	v_addc_co_u32_e32 v47, vcc, v65, v47, vcc
	v_mov_b32_e32 v68, v64
.LBB366_95:
	s_or_b64 exec, exec, s[56:57]
	v_cmp_gt_u32_e32 vcc, 32, v54
	s_waitcnt lgkmcnt(1)
	v_cndmask_b32_e64 v45, 0, 1, vcc
	v_lshlrev_b32_e32 v45, 5, v45
	v_add_lshl_u32 v64, v45, v41, 2
	ds_bpermute_b32 v45, v64, v68
	ds_bpermute_b32 v41, v64, v46
	s_waitcnt lgkmcnt(2)
	ds_bpermute_b32 v65, v64, v47
	v_add_u32_e32 v66, 32, v54
	v_cmp_le_u32_e32 vcc, v66, v44
	s_and_saveexec_b64 s[56:57], vcc
	s_cbranch_execz .LBB366_97
; %bb.96:
	v_cmp_eq_u32_e32 vcc, 0, v68
	s_waitcnt lgkmcnt(1)
	v_cndmask_b32_e32 v41, 0, v41, vcc
	v_add_u32_e32 v44, v45, v68
	s_waitcnt lgkmcnt(0)
	v_cndmask_b32_e32 v45, 0, v65, vcc
	v_add_co_u32_e32 v46, vcc, v41, v46
	v_addc_co_u32_e32 v47, vcc, v45, v47, vcc
	v_mov_b32_e32 v68, v44
.LBB366_97:
	s_or_b64 exec, exec, s[56:57]
	s_waitcnt lgkmcnt(1)
	v_mov_b32_e32 v41, 0
	v_mov_b32_e32 v67, 2
	s_branch .LBB366_99
.LBB366_98:                             ;   in Loop: Header=BB366_99 Depth=1
	s_or_b64 exec, exec, s[56:57]
	v_cmp_eq_u32_e32 vcc, 0, v65
	v_cndmask_b32_e32 v46, 0, v46, vcc
	v_cndmask_b32_e32 v47, 0, v47, vcc
	v_add_co_u32_e32 v46, vcc, v46, v44
	v_subrev_u32_e32 v40, 64, v40
	v_add_u32_e32 v68, v69, v65
	v_addc_co_u32_e32 v47, vcc, v47, v45, vcc
.LBB366_99:                             ; =>This Loop Header: Depth=1
                                        ;     Child Loop BB366_102 Depth 2
	v_cmp_ne_u16_sdwa s[56:57], v53, v67 src0_sel:BYTE_0 src1_sel:DWORD
	v_pk_mov_b32 v[44:45], v[46:47], v[46:47] op_sel:[0,1]
	v_cndmask_b32_e64 v46, 0, 1, s[56:57]
	;;#ASMSTART
	;;#ASMEND
	v_cmp_ne_u32_e32 vcc, 0, v46
	s_cmp_lg_u64 vcc, exec
	s_waitcnt lgkmcnt(0)
	v_mov_b32_e32 v65, v68
	s_cbranch_scc1 .LBB366_116
; %bb.100:                              ;   in Loop: Header=BB366_99 Depth=1
	global_load_ubyte v53, v40, s[40:41] glc
	s_waitcnt vmcnt(0)
	v_cmp_eq_u16_e32 vcc, 0, v53
	s_and_saveexec_b64 s[56:57], vcc
	s_cbranch_execz .LBB366_104
; %bb.101:                              ;   in Loop: Header=BB366_99 Depth=1
	v_mov_b32_e32 v47, s41
	v_add_co_u32_e32 v46, vcc, s40, v40
	v_addc_co_u32_e32 v47, vcc, 0, v47, vcc
	s_mov_b64 s[58:59], 0
.LBB366_102:                            ;   Parent Loop BB366_99 Depth=1
                                        ; =>  This Inner Loop Header: Depth=2
	global_load_ubyte v53, v[46:47], off glc
	s_waitcnt vmcnt(0)
	v_cmp_ne_u16_e32 vcc, 0, v53
	s_or_b64 s[58:59], vcc, s[58:59]
	s_andn2_b64 exec, exec, s[58:59]
	s_cbranch_execnz .LBB366_102
; %bb.103:                              ;   in Loop: Header=BB366_99 Depth=1
	s_or_b64 exec, exec, s[58:59]
.LBB366_104:                            ;   in Loop: Header=BB366_99 Depth=1
	s_or_b64 exec, exec, s[56:57]
	v_mov_b32_e32 v46, s39
	v_mov_b32_e32 v47, s37
	v_cmp_eq_u16_e32 vcc, 1, v53
	v_cndmask_b32_e32 v68, v46, v47, vcc
	v_mov_b32_e32 v46, s38
	v_mov_b32_e32 v47, s36
	v_cndmask_b32_e32 v69, v46, v47, vcc
	v_lshlrev_b64 v[46:47], 4, v[40:41]
	v_add_co_u32_e32 v46, vcc, v69, v46
	v_addc_co_u32_e32 v47, vcc, v68, v47, vcc
	buffer_wbinvl1_vol
	global_load_dword v69, v[46:47], off
	s_nop 0
	global_load_dwordx2 v[46:47], v[46:47], off offset:8
	v_cmp_eq_u16_e32 vcc, 2, v53
	v_and_b32_e32 v68, vcc_hi, v43
	v_or_b32_e32 v68, 0x80000000, v68
	v_and_b32_e32 v100, vcc_lo, v42
	v_ffbl_b32_e32 v68, v68
	v_add_u32_e32 v68, 32, v68
	v_ffbl_b32_e32 v100, v100
	v_min_u32_e32 v68, v100, v68
	v_cmp_lt_u32_e32 vcc, v54, v68
	s_waitcnt vmcnt(1)
	ds_bpermute_b32 v71, v55, v69
	s_waitcnt vmcnt(0)
	ds_bpermute_b32 v70, v55, v46
	ds_bpermute_b32 v97, v55, v47
	s_and_saveexec_b64 s[56:57], vcc
	s_cbranch_execz .LBB366_106
; %bb.105:                              ;   in Loop: Header=BB366_99 Depth=1
	v_cmp_eq_u32_e32 vcc, 0, v69
	s_waitcnt lgkmcnt(1)
	v_cndmask_b32_e32 v70, 0, v70, vcc
	v_add_u32_e32 v71, v71, v69
	s_waitcnt lgkmcnt(0)
	v_cndmask_b32_e32 v69, 0, v97, vcc
	v_add_co_u32_e32 v46, vcc, v70, v46
	v_addc_co_u32_e32 v47, vcc, v69, v47, vcc
	v_mov_b32_e32 v69, v71
.LBB366_106:                            ;   in Loop: Header=BB366_99 Depth=1
	s_or_b64 exec, exec, s[56:57]
	s_waitcnt lgkmcnt(2)
	ds_bpermute_b32 v71, v56, v69
	s_waitcnt lgkmcnt(2)
	ds_bpermute_b32 v70, v56, v46
	s_waitcnt lgkmcnt(2)
	ds_bpermute_b32 v97, v56, v47
	v_cmp_le_u32_e32 vcc, v57, v68
	s_and_saveexec_b64 s[56:57], vcc
	s_cbranch_execz .LBB366_108
; %bb.107:                              ;   in Loop: Header=BB366_99 Depth=1
	v_cmp_eq_u32_e32 vcc, 0, v69
	s_waitcnt lgkmcnt(1)
	v_cndmask_b32_e32 v70, 0, v70, vcc
	v_add_u32_e32 v71, v71, v69
	s_waitcnt lgkmcnt(0)
	v_cndmask_b32_e32 v69, 0, v97, vcc
	v_add_co_u32_e32 v46, vcc, v70, v46
	v_addc_co_u32_e32 v47, vcc, v69, v47, vcc
	v_mov_b32_e32 v69, v71
.LBB366_108:                            ;   in Loop: Header=BB366_99 Depth=1
	s_or_b64 exec, exec, s[56:57]
	s_waitcnt lgkmcnt(2)
	ds_bpermute_b32 v71, v58, v69
	s_waitcnt lgkmcnt(2)
	ds_bpermute_b32 v70, v58, v46
	s_waitcnt lgkmcnt(2)
	ds_bpermute_b32 v97, v58, v47
	v_cmp_le_u32_e32 vcc, v59, v68
	;; [unrolled: 21-line block ×5, first 2 shown]
	s_and_saveexec_b64 s[56:57], vcc
	s_cbranch_execz .LBB366_98
; %bb.115:                              ;   in Loop: Header=BB366_99 Depth=1
	v_cmp_eq_u32_e32 vcc, 0, v69
	s_waitcnt lgkmcnt(1)
	v_cndmask_b32_e32 v70, 0, v70, vcc
	v_add_u32_e32 v68, v71, v69
	s_waitcnt lgkmcnt(0)
	v_cndmask_b32_e32 v69, 0, v97, vcc
	v_add_co_u32_e32 v46, vcc, v70, v46
	v_addc_co_u32_e32 v47, vcc, v69, v47, vcc
	v_mov_b32_e32 v69, v68
	s_branch .LBB366_98
.LBB366_116:                            ;   in Loop: Header=BB366_99 Depth=1
                                        ; implicit-def: $vgpr46_vgpr47
                                        ; implicit-def: $vgpr68
                                        ; implicit-def: $vgpr53
	s_cbranch_execz .LBB366_99
; %bb.117:
	s_and_saveexec_b64 s[36:37], s[26:27]
	s_cbranch_execz .LBB366_119
; %bb.118:
	s_mov_b32 s7, 0
	v_cmp_eq_u32_e32 vcc, 0, v52
	s_add_i32 s6, s6, 64
	v_cndmask_b32_e32 v40, 0, v44, vcc
	s_lshl_b64 s[56:57], s[6:7], 4
	v_cndmask_b32_e32 v41, 0, v45, vcc
	v_add_co_u32_e32 v40, vcc, v40, v38
	s_add_u32 s56, s38, s56
	v_add_u32_e32 v42, v65, v52
	v_addc_co_u32_e32 v41, vcc, v41, v39, vcc
	s_addc_u32 s57, s39, s57
	v_mov_b32_e32 v43, 0
	global_store_dword v43, v42, s[56:57]
	global_store_dwordx2 v43, v[40:41], s[56:57] offset:8
	v_mov_b32_e32 v40, s6
	v_mov_b32_e32 v41, 2
	s_waitcnt vmcnt(0) lgkmcnt(0)
	buffer_wbinvl1_vol
	global_store_byte v40, v41, s[40:41]
	ds_write_b32 v43, v52 offset:512
	ds_write_b64 v43, v[38:39] offset:520
	ds_write_b32 v43, v65 offset:528
	ds_write_b64 v43, v[44:45] offset:536
.LBB366_119:
	s_or_b64 exec, exec, s[36:37]
	v_cmp_eq_u32_e32 vcc, 0, v0
	s_and_b64 exec, exec, vcc
	s_cbranch_execz .LBB366_121
; %bb.120:
	v_mov_b32_e32 v38, 0
	ds_write_b32 v38, v65 offset:592
	ds_write_b64 v38, v[44:45] offset:600
.LBB366_121:
	s_or_b64 exec, exec, s[48:49]
	v_mov_b32_e32 v41, 0
	s_waitcnt lgkmcnt(0)
	s_barrier
	ds_read_b32 v40, v41 offset:592
	ds_read_b64 v[38:39], v41 offset:600
	v_cndmask_b32_e64 v42, v49, v48, s[26:27]
	v_cmp_eq_u32_e32 vcc, 0, v42
	v_cndmask_b32_e64 v36, v50, v36, s[26:27]
	v_cndmask_b32_e64 v37, v51, v37, s[26:27]
	s_waitcnt lgkmcnt(0)
	v_cndmask_b32_e32 v44, 0, v38, vcc
	v_cndmask_b32_e32 v43, 0, v39, vcc
	v_add_co_u32_e32 v36, vcc, v44, v36
	v_addc_co_u32_e32 v37, vcc, v43, v37, vcc
	v_cmp_eq_u32_e32 vcc, 0, v0
	v_cndmask_b32_e64 v42, v42, 0, vcc
	v_cndmask_b32_e32 v67, v37, v39, vcc
	v_cndmask_b32_e32 v66, v36, v38, vcc
	v_cmp_eq_u32_e32 vcc, 0, v96
	v_cndmask_b32_e32 v37, 0, v66, vcc
	v_add_u32_e32 v97, v40, v42
	v_cndmask_b32_e32 v36, 0, v67, vcc
	v_add_co_u32_e32 v42, vcc, v37, v32
	v_addc_co_u32_e32 v43, vcc, v36, v33, vcc
	v_cndmask_b32_e64 v37, 0, v42, s[24:25]
	v_cndmask_b32_e64 v36, 0, v43, s[24:25]
	v_add_co_u32_e32 v44, vcc, v37, v30
	v_addc_co_u32_e32 v45, vcc, v36, v31, vcc
	v_cndmask_b32_e64 v37, 0, v44, s[22:23]
	v_cndmask_b32_e64 v36, 0, v45, s[22:23]
	;; [unrolled: 4-line block ×11, first 2 shown]
	v_add_co_u32_e32 v64, vcc, v37, v8
	v_addc_co_u32_e32 v65, vcc, v36, v9, vcc
	s_barrier
	ds_read_b32 v36, v41 offset:512
	ds_read_b64 v[38:39], v41 offset:520
	ds_read_b32 v40, v41 offset:528
	ds_read_b64 v[100:101], v41 offset:536
	v_cndmask_b32_e64 v68, 0, v64, s[2:3]
	v_cndmask_b32_e64 v37, 0, v65, s[2:3]
	v_add_co_u32_e32 v68, vcc, v68, v6
	v_addc_co_u32_e32 v69, vcc, v37, v7, vcc
	s_waitcnt lgkmcnt(3)
	v_cmp_eq_u32_e32 vcc, 0, v36
	s_waitcnt lgkmcnt(0)
	v_cndmask_b32_e32 v41, 0, v100, vcc
	v_cndmask_b32_e32 v37, 0, v101, vcc
	v_add_co_u32_e32 v38, vcc, v41, v38
	v_cndmask_b32_e64 v71, 0, v69, s[0:1]
	v_cndmask_b32_e64 v70, 0, v68, s[0:1]
	v_addc_co_u32_e32 v39, vcc, v37, v39, vcc
	s_branch .LBB366_150
.LBB366_122:
                                        ; implicit-def: $vgpr36
                                        ; implicit-def: $vgpr38_vgpr39
                                        ; implicit-def: $vgpr40
                                        ; implicit-def: $vgpr66_vgpr67
                                        ; implicit-def: $vgpr42_vgpr43
                                        ; implicit-def: $vgpr44_vgpr45
                                        ; implicit-def: $vgpr46_vgpr47
                                        ; implicit-def: $vgpr48_vgpr49
                                        ; implicit-def: $vgpr50_vgpr51
                                        ; implicit-def: $vgpr52_vgpr53
                                        ; implicit-def: $vgpr54_vgpr55
                                        ; implicit-def: $vgpr56_vgpr57
                                        ; implicit-def: $vgpr58_vgpr59
                                        ; implicit-def: $vgpr60_vgpr61
                                        ; implicit-def: $vgpr62_vgpr63
                                        ; implicit-def: $vgpr64_vgpr65
                                        ; implicit-def: $vgpr68_vgpr69
                                        ; implicit-def: $vgpr70_vgpr71
                                        ; implicit-def: $vgpr97
	s_cbranch_execz .LBB366_150
; %bb.123:
	s_and_b64 s[0:1], s[42:43], exec
	s_cselect_b32 s1, 0, s31
	s_cselect_b32 s0, 0, s30
	s_cmp_eq_u64 s[0:1], 0
	v_pk_mov_b32 v[40:41], v[32:33], v[32:33] op_sel:[0,1]
	s_cbranch_scc1 .LBB366_125
; %bb.124:
	v_mov_b32_e32 v36, 0
	global_load_dwordx2 v[40:41], v36, s[0:1]
.LBB366_125:
	v_cmp_eq_u32_e64 s[22:23], 0, v95
	v_cndmask_b32_e64 v37, 0, v32, s[22:23]
	v_cndmask_b32_e64 v36, 0, v33, s[22:23]
	v_add_co_u32_e32 v37, vcc, v37, v30
	v_cmp_eq_u32_e64 s[20:21], 0, v94
	v_addc_co_u32_e32 v36, vcc, v36, v31, vcc
	v_cndmask_b32_e64 v37, 0, v37, s[20:21]
	v_cndmask_b32_e64 v36, 0, v36, s[20:21]
	v_add_co_u32_e32 v37, vcc, v37, v28
	v_cmp_eq_u32_e64 s[18:19], 0, v92
	v_addc_co_u32_e32 v36, vcc, v36, v29, vcc
	;; [unrolled: 5-line block ×11, first 2 shown]
	v_cndmask_b32_e64 v37, 0, v37, s[2:3]
	v_cndmask_b32_e64 v36, 0, v36, s[2:3]
	v_add_co_u32_e32 v37, vcc, v37, v6
	v_addc_co_u32_e32 v36, vcc, v36, v7, vcc
	v_cmp_eq_u32_e32 vcc, 0, v74
	v_cndmask_b32_e32 v37, 0, v37, vcc
	v_add3_u32 v38, v99, v88, v85
	v_cndmask_b32_e32 v36, 0, v36, vcc
	v_add_co_u32_e64 v37, s[24:25], v37, v16
	v_add3_u32 v38, v38, v83, v81
	v_addc_co_u32_e64 v36, s[24:25], v36, v17, s[24:25]
	v_add3_u32 v38, v38, v78, v77
	v_cmp_eq_u32_e64 s[24:25], 0, v72
	v_add3_u32 v38, v38, v76, v75
	v_cndmask_b32_e64 v37, 0, v37, s[24:25]
	v_add3_u32 v39, v38, v74, v72
	v_cndmask_b32_e64 v36, 0, v36, s[24:25]
	v_add_co_u32_e64 v34, s[24:25], v37, v34
	v_mbcnt_hi_u32_b32 v38, -1, v98
	v_addc_co_u32_e64 v35, s[24:25], v36, v35, s[24:25]
	v_and_b32_e32 v36, 15, v38
	v_mov_b32_dpp v42, v39 row_shr:1 row_mask:0xf bank_mask:0xf
	v_mov_b32_dpp v37, v34 row_shr:1 row_mask:0xf bank_mask:0xf
	;; [unrolled: 1-line block ×3, first 2 shown]
	v_cmp_ne_u32_e64 s[24:25], 0, v36
	s_and_saveexec_b64 s[26:27], s[24:25]
; %bb.126:
	v_cmp_eq_u32_e64 s[24:25], 0, v39
	v_cndmask_b32_e64 v37, 0, v37, s[24:25]
	v_add_u32_e32 v42, v42, v39
	v_cndmask_b32_e64 v39, 0, v43, s[24:25]
	v_add_co_u32_e64 v34, s[24:25], v37, v34
	v_addc_co_u32_e64 v35, s[24:25], v39, v35, s[24:25]
	v_mov_b32_e32 v39, v42
; %bb.127:
	s_or_b64 exec, exec, s[26:27]
	s_nop 0
	v_mov_b32_dpp v42, v39 row_shr:2 row_mask:0xf bank_mask:0xf
	v_mov_b32_dpp v37, v34 row_shr:2 row_mask:0xf bank_mask:0xf
	v_mov_b32_dpp v43, v35 row_shr:2 row_mask:0xf bank_mask:0xf
	v_cmp_lt_u32_e64 s[24:25], 1, v36
	s_and_saveexec_b64 s[26:27], s[24:25]
; %bb.128:
	v_cmp_eq_u32_e64 s[24:25], 0, v39
	v_cndmask_b32_e64 v37, 0, v37, s[24:25]
	v_add_u32_e32 v42, v42, v39
	v_cndmask_b32_e64 v39, 0, v43, s[24:25]
	v_add_co_u32_e64 v34, s[24:25], v37, v34
	v_addc_co_u32_e64 v35, s[24:25], v39, v35, s[24:25]
	v_mov_b32_e32 v39, v42
; %bb.129:
	s_or_b64 exec, exec, s[26:27]
	s_nop 0
	v_mov_b32_dpp v42, v39 row_shr:4 row_mask:0xf bank_mask:0xf
	v_mov_b32_dpp v37, v34 row_shr:4 row_mask:0xf bank_mask:0xf
	v_mov_b32_dpp v43, v35 row_shr:4 row_mask:0xf bank_mask:0xf
	v_cmp_lt_u32_e64 s[24:25], 3, v36
	;; [unrolled: 16-line block ×3, first 2 shown]
	s_and_saveexec_b64 s[26:27], s[24:25]
; %bb.132:
	v_cmp_eq_u32_e64 s[24:25], 0, v39
	v_cndmask_b32_e64 v37, 0, v37, s[24:25]
	v_add_u32_e32 v36, v42, v39
	v_cndmask_b32_e64 v39, 0, v43, s[24:25]
	v_add_co_u32_e64 v34, s[24:25], v37, v34
	v_addc_co_u32_e64 v35, s[24:25], v39, v35, s[24:25]
	v_mov_b32_e32 v39, v36
; %bb.133:
	s_or_b64 exec, exec, s[26:27]
	v_and_b32_e32 v43, 16, v38
	v_mov_b32_dpp v37, v39 row_bcast:15 row_mask:0xf bank_mask:0xf
	v_mov_b32_dpp v36, v34 row_bcast:15 row_mask:0xf bank_mask:0xf
	;; [unrolled: 1-line block ×3, first 2 shown]
	v_cmp_ne_u32_e64 s[24:25], 0, v43
	s_and_saveexec_b64 s[26:27], s[24:25]
; %bb.134:
	v_cmp_eq_u32_e64 s[24:25], 0, v39
	v_cndmask_b32_e64 v36, 0, v36, s[24:25]
	v_add_u32_e32 v37, v37, v39
	v_cndmask_b32_e64 v39, 0, v42, s[24:25]
	v_add_co_u32_e64 v34, s[24:25], v36, v34
	v_addc_co_u32_e64 v35, s[24:25], v39, v35, s[24:25]
	v_mov_b32_e32 v39, v37
; %bb.135:
	s_or_b64 exec, exec, s[26:27]
	s_nop 0
	v_mov_b32_dpp v37, v39 row_bcast:31 row_mask:0xf bank_mask:0xf
	v_mov_b32_dpp v36, v34 row_bcast:31 row_mask:0xf bank_mask:0xf
	;; [unrolled: 1-line block ×3, first 2 shown]
	v_cmp_lt_u32_e64 s[24:25], 31, v38
	s_and_saveexec_b64 s[26:27], s[24:25]
; %bb.136:
	v_cmp_eq_u32_e64 s[24:25], 0, v39
	v_cndmask_b32_e64 v36, 0, v36, s[24:25]
	v_add_u32_e32 v37, v37, v39
	v_cndmask_b32_e64 v39, 0, v42, s[24:25]
	v_add_co_u32_e64 v34, s[24:25], v36, v34
	v_addc_co_u32_e64 v35, s[24:25], v39, v35, s[24:25]
	v_mov_b32_e32 v39, v37
; %bb.137:
	s_or_b64 exec, exec, s[26:27]
	v_lshrrev_b32_e32 v36, 6, v0
	v_or_b32_e32 v37, 63, v0
	v_cmp_eq_u32_e64 s[24:25], v37, v0
	v_lshlrev_b32_e32 v42, 4, v36
	s_and_saveexec_b64 s[26:27], s[24:25]
	s_cbranch_execz .LBB366_139
; %bb.138:
	ds_write_b32 v42, v39 offset:544
	ds_write_b64 v42, v[34:35] offset:552
.LBB366_139:
	s_or_b64 exec, exec, s[26:27]
	v_cmp_gt_u32_e64 s[24:25], 4, v0
	s_waitcnt lgkmcnt(0)
	s_barrier
	s_and_saveexec_b64 s[26:27], s[24:25]
	s_cbranch_execz .LBB366_145
; %bb.140:
	v_lshlrev_b32_e32 v43, 4, v0
	ds_read_b32 v44, v43 offset:544
	ds_read_b64 v[36:37], v43 offset:552
	v_and_b32_e32 v45, 3, v38
	v_cmp_ne_u32_e64 s[24:25], 0, v45
	s_waitcnt lgkmcnt(1)
	v_mov_b32_dpp v47, v44 row_shr:1 row_mask:0xf bank_mask:0xf
	s_waitcnt lgkmcnt(0)
	v_mov_b32_dpp v46, v36 row_shr:1 row_mask:0xf bank_mask:0xf
	v_mov_b32_dpp v48, v37 row_shr:1 row_mask:0xf bank_mask:0xf
	s_and_saveexec_b64 s[28:29], s[24:25]
; %bb.141:
	v_cmp_eq_u32_e64 s[24:25], 0, v44
	v_cndmask_b32_e64 v46, 0, v46, s[24:25]
	v_add_u32_e32 v47, v47, v44
	v_cndmask_b32_e64 v44, 0, v48, s[24:25]
	v_add_co_u32_e64 v36, s[24:25], v46, v36
	v_addc_co_u32_e64 v37, s[24:25], v44, v37, s[24:25]
	v_mov_b32_e32 v44, v47
; %bb.142:
	s_or_b64 exec, exec, s[28:29]
	s_nop 0
	v_mov_b32_dpp v47, v44 row_shr:2 row_mask:0xf bank_mask:0xf
	v_mov_b32_dpp v46, v36 row_shr:2 row_mask:0xf bank_mask:0xf
	;; [unrolled: 1-line block ×3, first 2 shown]
	v_cmp_lt_u32_e64 s[24:25], 1, v45
	s_and_saveexec_b64 s[28:29], s[24:25]
; %bb.143:
	v_cmp_eq_u32_e64 s[24:25], 0, v44
	v_cndmask_b32_e64 v46, 0, v46, s[24:25]
	v_add_u32_e32 v45, v47, v44
	v_cndmask_b32_e64 v44, 0, v48, s[24:25]
	v_add_co_u32_e64 v36, s[24:25], v46, v36
	v_addc_co_u32_e64 v37, s[24:25], v44, v37, s[24:25]
	v_mov_b32_e32 v44, v45
; %bb.144:
	s_or_b64 exec, exec, s[28:29]
	ds_write_b32 v43, v44 offset:544
	ds_write_b64 v43, v[36:37] offset:552
.LBB366_145:
	s_or_b64 exec, exec, s[26:27]
	v_cmp_lt_u32_e64 s[24:25], 63, v0
	v_mov_b32_e32 v98, 0
	v_mov_b32_e32 v43, 0
	s_waitcnt vmcnt(0)
	v_pk_mov_b32 v[36:37], v[40:41], v[40:41] op_sel:[0,1]
	s_waitcnt lgkmcnt(0)
	s_barrier
	s_and_saveexec_b64 s[26:27], s[24:25]
	s_cbranch_execz .LBB366_147
; %bb.146:
	ds_read_b32 v43, v42 offset:528
	ds_read_b64 v[36:37], v42 offset:536
	s_waitcnt lgkmcnt(1)
	v_cmp_eq_u32_e64 s[24:25], 0, v43
	v_cndmask_b32_e64 v44, 0, v40, s[24:25]
	v_cndmask_b32_e64 v42, 0, v41, s[24:25]
	s_waitcnt lgkmcnt(0)
	v_add_co_u32_e64 v36, s[24:25], v44, v36
	v_addc_co_u32_e64 v37, s[24:25], v42, v37, s[24:25]
.LBB366_147:
	s_or_b64 exec, exec, s[26:27]
	v_cmp_eq_u32_e64 s[24:25], 0, v39
	v_cndmask_b32_e64 v44, 0, v36, s[24:25]
	v_add_u32_e32 v42, v43, v39
	v_cndmask_b32_e64 v39, 0, v37, s[24:25]
	v_add_co_u32_e64 v34, s[24:25], v44, v34
	v_addc_co_u32_e64 v35, s[24:25], v39, v35, s[24:25]
	v_add_u32_e32 v39, -1, v38
	v_and_b32_e32 v44, 64, v38
	v_cmp_lt_i32_e64 s[24:25], v39, v44
	v_cndmask_b32_e64 v39, v39, v38, s[24:25]
	v_lshlrev_b32_e32 v39, 2, v39
	ds_bpermute_b32 v42, v39, v42
	ds_bpermute_b32 v35, v39, v35
	;; [unrolled: 1-line block ×3, first 2 shown]
	v_cmp_eq_u32_e64 s[24:25], 0, v38
	v_cmp_eq_u32_e64 s[26:27], 0, v96
	s_waitcnt lgkmcnt(2)
	v_cndmask_b32_e64 v97, v42, v43, s[24:25]
	s_waitcnt lgkmcnt(1)
	v_cndmask_b32_e64 v67, v35, v37, s[24:25]
	;; [unrolled: 2-line block ×3, first 2 shown]
	v_cmp_eq_u32_e64 s[24:25], 0, v0
	v_cndmask_b32_e64 v34, v66, v40, s[24:25]
	v_cndmask_b32_e64 v35, v67, v41, s[24:25]
	v_cndmask_b32_e64 v34, 0, v34, s[26:27]
	v_cndmask_b32_e64 v35, 0, v35, s[26:27]
	v_add_co_u32_e64 v42, s[26:27], v34, v32
	v_addc_co_u32_e64 v43, s[26:27], v35, v33, s[26:27]
	v_cndmask_b32_e64 v33, 0, v42, s[22:23]
	v_cndmask_b32_e64 v32, 0, v43, s[22:23]
	v_add_co_u32_e64 v44, s[22:23], v33, v30
	v_addc_co_u32_e64 v45, s[22:23], v32, v31, s[22:23]
	v_cndmask_b32_e64 v31, 0, v44, s[20:21]
	v_cndmask_b32_e64 v30, 0, v45, s[20:21]
	;; [unrolled: 4-line block ×11, first 2 shown]
	v_add_co_u32_e64 v64, s[0:1], v11, v8
	v_addc_co_u32_e64 v65, s[0:1], v10, v9, s[0:1]
	v_cndmask_b32_e64 v9, 0, v64, s[2:3]
	ds_read_b32 v36, v98 offset:592
	v_cndmask_b32_e64 v8, 0, v65, s[2:3]
	v_add_co_u32_e64 v68, s[0:1], v9, v6
	v_addc_co_u32_e64 v69, s[0:1], v8, v7, s[0:1]
	ds_read_b64 v[6:7], v98 offset:600
	v_cndmask_b32_e32 v71, 0, v69, vcc
	v_cndmask_b32_e32 v70, 0, v68, vcc
	s_waitcnt lgkmcnt(1)
	v_cmp_eq_u32_e32 vcc, 0, v36
	v_cndmask_b32_e32 v9, 0, v40, vcc
	v_cndmask_b32_e32 v8, 0, v41, vcc
	s_waitcnt lgkmcnt(0)
	v_add_co_u32_e32 v38, vcc, v9, v6
	v_addc_co_u32_e32 v39, vcc, v8, v7, vcc
	s_and_saveexec_b64 s[0:1], s[24:25]
	s_cbranch_execz .LBB366_149
; %bb.148:
	v_mov_b32_e32 v97, 0
	v_mov_b32_e32 v6, 2
	v_pk_mov_b32 v[66:67], v[40:41], v[40:41] op_sel:[0,1]
	global_store_dword v97, v36, s[38:39] offset:1024
	global_store_dwordx2 v97, v[38:39], s[38:39] offset:1032
	s_waitcnt vmcnt(0)
	buffer_wbinvl1_vol
	global_store_byte v97, v6, s[40:41] offset:64
.LBB366_149:
	s_or_b64 exec, exec, s[0:1]
	v_mov_b32_e32 v40, 0
.LBB366_150:
	s_and_b64 s[0:1], s[42:43], exec
	s_cselect_b32 s1, 0, s51
	s_cselect_b32 s0, 0, s50
	s_cmp_eq_u64 s[0:1], 0
	v_pk_mov_b32 v[18:19], 0, 0
	s_barrier
	s_cbranch_scc1 .LBB366_152
; %bb.151:
	v_mov_b32_e32 v6, 0
	global_load_dwordx2 v[18:19], v6, s[0:1]
.LBB366_152:
	v_mov_b32_e32 v6, s53
	s_waitcnt vmcnt(0)
	v_add_co_u32_e32 v7, vcc, s52, v18
	v_addc_co_u32_e32 v6, vcc, v6, v19, vcc
	v_add_co_u32_e32 v20, vcc, v7, v40
	v_addc_co_u32_e32 v21, vcc, 0, v6, vcc
	v_cmp_eq_u32_e32 vcc, 0, v96
	v_cndmask_b32_e64 v6, 1, 2, vcc
	v_cmp_eq_u32_e32 vcc, 0, v95
	v_cndmask_b32_e64 v7, 1, 2, vcc
	v_cmp_eq_u32_e32 vcc, 0, v94
	v_and_b32_e32 v6, v7, v6
	v_cndmask_b32_e64 v7, 1, 2, vcc
	v_cmp_eq_u32_e32 vcc, 0, v92
	v_add_u32_e32 v35, v97, v96
	v_and_b32_e32 v6, v6, v7
	v_cndmask_b32_e64 v7, 1, 2, vcc
	v_cmp_eq_u32_e32 vcc, 0, v89
	v_add_u32_e32 v34, v35, v95
	;; [unrolled: 4-line block ×12, first 2 shown]
	v_and_b32_e32 v6, v6, v7
	v_cndmask_b32_e64 v7, 1, 2, vcc
	s_movk_i32 s30, 0x100
	v_add_u32_e32 v23, v24, v75
	v_and_b32_e32 v6, v6, v7
	v_cmp_gt_u32_e32 vcc, s30, v36
	v_add_u32_e32 v22, v23, v74
	v_mov_b32_e32 v41, 0
	v_cmp_ne_u32_e64 s[28:29], 0, v96
	v_cmp_ne_u32_e64 s[26:27], 0, v95
	;; [unrolled: 1-line block ×15, first 2 shown]
	s_mov_b64 s[36:37], -1
	v_cmp_gt_i16_e64 s[30:31], 2, v6
	s_cbranch_vccz .LBB366_159
; %bb.153:
	s_and_saveexec_b64 s[36:37], s[30:31]
	s_cbranch_execz .LBB366_158
; %bb.154:
	v_cmp_ne_u16_e32 vcc, 1, v6
	s_mov_b64 s[38:39], 0
	s_and_saveexec_b64 s[30:31], vcc
	s_xor_b64 s[30:31], exec, s[30:31]
	s_cbranch_execnz .LBB366_202
; %bb.155:
	s_andn2_saveexec_b64 s[30:31], s[30:31]
	s_cbranch_execnz .LBB366_218
.LBB366_156:
	s_or_b64 exec, exec, s[30:31]
	s_and_b64 exec, exec, s[38:39]
	s_cbranch_execz .LBB366_158
.LBB366_157:
	v_sub_u32_e32 v7, v22, v40
	v_readfirstlane_b32 s30, v20
	v_readfirstlane_b32 s31, v21
	s_nop 4
	global_store_byte v7, v1, s[30:31]
.LBB366_158:
	s_or_b64 exec, exec, s[36:37]
	s_mov_b64 s[36:37], 0
.LBB366_159:
	s_and_b64 vcc, exec, s[36:37]
	s_cbranch_vccz .LBB366_180
; %bb.160:
	v_cmp_gt_i16_e32 vcc, 2, v6
	s_and_saveexec_b64 s[30:31], vcc
	s_cbranch_execz .LBB366_165
; %bb.161:
	v_cmp_ne_u16_e32 vcc, 1, v6
	s_mov_b64 s[38:39], 0
	s_and_saveexec_b64 s[36:37], vcc
	s_xor_b64 s[36:37], exec, s[36:37]
	s_cbranch_execnz .LBB366_219
; %bb.162:
	s_andn2_saveexec_b64 s[0:1], s[36:37]
	s_cbranch_execnz .LBB366_235
.LBB366_163:
	s_or_b64 exec, exec, s[0:1]
	s_and_b64 exec, exec, s[38:39]
	s_cbranch_execz .LBB366_165
.LBB366_164:
	v_sub_u32_e32 v2, v22, v40
	ds_write_b8 v2, v1
.LBB366_165:
	s_or_b64 exec, exec, s[30:31]
	v_cmp_lt_u32_e32 vcc, v0, v36
	s_waitcnt lgkmcnt(0)
	s_barrier
	s_and_saveexec_b64 s[0:1], vcc
	s_cbranch_execz .LBB366_179
; %bb.166:
	v_xad_u32 v2, v0, -1, v36
	s_movk_i32 s2, 0x1700
	s_movk_i32 s4, 0x16ff
	v_cmp_gt_u32_e64 s[2:3], s2, v2
	v_cmp_lt_u32_e32 vcc, s4, v2
	v_mov_b32_e32 v1, v0
	s_and_saveexec_b64 s[4:5], vcc
	s_cbranch_execz .LBB366_176
; %bb.167:
	v_sub_u32_e32 v1, v0, v36
	v_or_b32_e32 v1, 0xff, v1
	v_cmp_ge_u32_e32 vcc, v1, v0
	s_mov_b64 s[8:9], -1
	v_mov_b32_e32 v1, v0
	s_and_saveexec_b64 s[6:7], vcc
	s_cbranch_execz .LBB366_175
; %bb.168:
	v_lshrrev_b32_e32 v37, 8, v2
	v_or_b32_e32 v7, 0x700, v0
	v_or_b32_e32 v6, 0x600, v0
	;; [unrolled: 1-line block ×7, first 2 shown]
	v_add_u32_e32 v73, -7, v37
	v_pk_mov_b32 v[14:15], v[6:7], v[6:7] op_sel:[0,1]
	v_cmp_lt_u32_e32 vcc, 7, v73
	v_mov_b32_e32 v82, 0
	v_pk_mov_b32 v[12:13], v[4:5], v[4:5] op_sel:[0,1]
	v_pk_mov_b32 v[10:11], v[2:3], v[2:3] op_sel:[0,1]
	;; [unrolled: 1-line block ×3, first 2 shown]
	s_and_saveexec_b64 s[8:9], vcc
	s_cbranch_execz .LBB366_172
; %bb.169:
	v_lshrrev_b32_e32 v8, 3, v73
	v_add_u32_e32 v8, 1, v8
	v_and_b32_e32 v79, 0x3ffffffe, v8
	v_pk_mov_b32 v[14:15], v[6:7], v[6:7] op_sel:[0,1]
	s_mov_b32 s12, 0
	s_mov_b64 s[10:11], 0
	v_mov_b32_e32 v80, v0
	v_pk_mov_b32 v[12:13], v[4:5], v[4:5] op_sel:[0,1]
	v_pk_mov_b32 v[10:11], v[2:3], v[2:3] op_sel:[0,1]
	;; [unrolled: 1-line block ×3, first 2 shown]
.LBB366_170:                            ; =>This Inner Loop Header: Depth=1
	v_add_co_u32_e32 v2, vcc, v20, v8
	v_addc_co_u32_e32 v3, vcc, 0, v21, vcc
	v_add_co_u32_e32 v4, vcc, v20, v9
	v_addc_co_u32_e32 v5, vcc, 0, v21, vcc
	;; [unrolled: 2-line block ×8, first 2 shown]
	v_add_u32_e32 v104, 0x800, v8
	v_add_co_u32_e32 v104, vcc, v20, v104
	v_add_u32_e32 v106, 0x800, v9
	v_addc_co_u32_e32 v105, vcc, 0, v21, vcc
	v_add_co_u32_e32 v106, vcc, v20, v106
	v_add_u32_e32 v108, 0x800, v10
	v_addc_co_u32_e32 v107, vcc, 0, v21, vcc
	v_add_co_u32_e32 v108, vcc, v20, v108
	v_add_u32_e32 v110, 0x800, v11
	v_addc_co_u32_e32 v109, vcc, 0, v21, vcc
	v_add_co_u32_e32 v110, vcc, v20, v110
	v_add_u32_e32 v112, 0x800, v12
	v_addc_co_u32_e32 v111, vcc, 0, v21, vcc
	v_add_co_u32_e32 v112, vcc, v20, v112
	v_add_u32_e32 v114, 0x800, v13
	v_addc_co_u32_e32 v113, vcc, 0, v21, vcc
	v_add_co_u32_e32 v114, vcc, v20, v114
	v_add_u32_e32 v116, 0x800, v14
	v_addc_co_u32_e32 v115, vcc, 0, v21, vcc
	v_add_co_u32_e32 v116, vcc, v20, v116
	ds_read_u8 v1, v80
	ds_read_u8 v84, v80 offset:256
	ds_read_u8 v93, v80 offset:512
	;; [unrolled: 1-line block ×7, first 2 shown]
	v_add_u32_e32 v82, 0x800, v15
	ds_read_u8 v125, v80 offset:2048
	ds_read_u8 v126, v80 offset:2304
	ds_read_u8 v127, v80 offset:2560
	ds_read_u8 v128, v80 offset:2816
	ds_read_u8 v129, v80 offset:3072
	ds_read_u8 v130, v80 offset:3328
	ds_read_u8 v131, v80 offset:3584
	ds_read_u8 v132, v80 offset:3840
	v_addc_co_u32_e32 v117, vcc, 0, v21, vcc
	v_add_co_u32_e32 v118, vcc, v20, v82
	v_add_u32_e32 v79, -2, v79
	v_addc_co_u32_e32 v119, vcc, 0, v21, vcc
	s_add_i32 s12, s12, 16
	v_cmp_eq_u32_e32 vcc, 0, v79
	v_add_u32_e32 v15, 0x1000, v15
	v_add_u32_e32 v14, 0x1000, v14
	;; [unrolled: 1-line block ×9, first 2 shown]
	v_mov_b32_e32 v82, s12
	s_or_b64 s[10:11], vcc, s[10:11]
	s_waitcnt lgkmcnt(14)
	global_store_byte v[2:3], v1, off
	global_store_byte v[4:5], v84, off
	s_waitcnt lgkmcnt(13)
	global_store_byte v[6:7], v93, off
	s_waitcnt lgkmcnt(12)
	;; [unrolled: 2-line block ×14, first 2 shown]
	global_store_byte v[118:119], v132, off
	s_andn2_b64 exec, exec, s[10:11]
	s_cbranch_execnz .LBB366_170
; %bb.171:
	s_or_b64 exec, exec, s[10:11]
.LBB366_172:
	s_or_b64 exec, exec, s[8:9]
	v_and_b32_e32 v1, 8, v73
	v_cmp_eq_u32_e32 vcc, 0, v1
	s_and_saveexec_b64 s[8:9], vcc
	s_cbranch_execz .LBB366_174
; %bb.173:
	v_add_co_u32_e32 v2, vcc, v20, v8
	v_addc_co_u32_e32 v3, vcc, 0, v21, vcc
	v_add_co_u32_e32 v4, vcc, v20, v9
	v_addc_co_u32_e32 v5, vcc, 0, v21, vcc
	v_add_co_u32_e32 v6, vcc, v20, v10
	v_addc_co_u32_e32 v7, vcc, 0, v21, vcc
	v_add_co_u32_e32 v8, vcc, v20, v11
	v_addc_co_u32_e32 v9, vcc, 0, v21, vcc
	v_add_co_u32_e32 v10, vcc, v20, v12
	v_lshl_or_b32 v1, v82, 8, v0
	v_addc_co_u32_e32 v11, vcc, 0, v21, vcc
	v_add_co_u32_e32 v12, vcc, v20, v13
	ds_read_u8 v73, v1
	ds_read_u8 v79, v1 offset:256
	ds_read_u8 v80, v1 offset:512
	ds_read_u8 v82, v1 offset:768
	ds_read_u8 v84, v1 offset:1024
	ds_read_u8 v90, v1 offset:1280
	ds_read_u8 v91, v1 offset:1536
	ds_read_u8 v1, v1 offset:1792
	v_addc_co_u32_e32 v13, vcc, 0, v21, vcc
	v_add_co_u32_e32 v86, vcc, v20, v14
	v_addc_co_u32_e32 v87, vcc, 0, v21, vcc
	v_add_co_u32_e32 v14, vcc, v20, v15
	v_addc_co_u32_e32 v15, vcc, 0, v21, vcc
	s_waitcnt lgkmcnt(7)
	global_store_byte v[2:3], v73, off
	s_waitcnt lgkmcnt(6)
	global_store_byte v[4:5], v79, off
	s_waitcnt lgkmcnt(5)
	global_store_byte v[6:7], v80, off
	s_waitcnt lgkmcnt(4)
	global_store_byte v[8:9], v82, off
	s_waitcnt lgkmcnt(3)
	global_store_byte v[10:11], v84, off
	s_waitcnt lgkmcnt(2)
	global_store_byte v[12:13], v90, off
	s_waitcnt lgkmcnt(1)
	global_store_byte v[86:87], v91, off
	s_waitcnt lgkmcnt(0)
	global_store_byte v[14:15], v1, off
.LBB366_174:
	s_or_b64 exec, exec, s[8:9]
	v_add_u32_e32 v2, 1, v37
	v_and_b32_e32 v3, 0x1fffff8, v2
	v_cmp_ne_u32_e32 vcc, v2, v3
	v_lshl_or_b32 v1, v3, 8, v0
	s_orn2_b64 s[8:9], vcc, exec
.LBB366_175:
	s_or_b64 exec, exec, s[6:7]
	s_andn2_b64 s[2:3], s[2:3], exec
	s_and_b64 s[6:7], s[8:9], exec
	s_or_b64 s[2:3], s[2:3], s[6:7]
.LBB366_176:
	s_or_b64 exec, exec, s[4:5]
	s_and_b64 exec, exec, s[2:3]
	s_cbranch_execz .LBB366_179
; %bb.177:
	s_mov_b64 s[2:3], 0
.LBB366_178:                            ; =>This Inner Loop Header: Depth=1
	ds_read_u8 v2, v1
	v_readfirstlane_b32 s4, v20
	v_readfirstlane_b32 s5, v21
	s_waitcnt lgkmcnt(0)
	s_nop 3
	global_store_byte v1, v2, s[4:5]
	v_add_u32_e32 v1, 0x100, v1
	v_cmp_ge_u32_e32 vcc, v1, v36
	s_or_b64 s[2:3], vcc, s[2:3]
	s_andn2_b64 exec, exec, s[2:3]
	s_cbranch_execnz .LBB366_178
.LBB366_179:
	s_or_b64 exec, exec, s[0:1]
.LBB366_180:
	v_add_co_u32_e32 v2, vcc, v70, v16
	s_cmpk_lg_i32 s33, 0xf00
	v_addc_co_u32_e32 v3, vcc, v71, v17, vcc
	s_cselect_b64 s[0:1], -1, 0
	v_cndmask_b32_e64 v8, 0, 1, s[46:47]
	s_and_b64 s[0:1], s[44:45], s[0:1]
	v_cmp_eq_u32_e32 vcc, 0, v0
	v_sub_u32_e32 v1, v36, v8
	v_cndmask_b32_e64 v4, 0, 1, s[0:1]
	s_and_b64 s[0:1], vcc, s[46:47]
	v_add_u32_e32 v1, v1, v4
	v_cndmask_b32_e64 v4, v96, 0, s[0:1]
	s_mul_hi_u32 s0, s33, 0x88888889
	s_lshr_b32 s0, s0, 3
	v_mad_i32_i24 v5, v0, -15, s33
	v_cmp_eq_u32_e32 vcc, s0, v0
	v_cmp_ne_u32_e64 s[0:1], 0, v5
	v_cndmask_b32_e64 v6, 1, v4, s[0:1]
	v_cmp_ne_u32_e64 s[0:1], 1, v5
	v_cndmask_b32_e64 v7, 1, v95, s[0:1]
	;; [unrolled: 2-line block ×15, first 2 shown]
	s_and_b64 vcc, s[44:45], vcc
	v_cndmask_b32_e32 v70, v72, v5, vcc
	v_cndmask_b32_e32 v72, v4, v6, vcc
	v_lshlrev_b64 v[4:5], 3, v[18:19]
	v_cndmask_b32_e32 v37, v74, v37, vcc
	v_cndmask_b32_e32 v21, v75, v21, vcc
	v_cndmask_b32_e32 v20, v76, v20, vcc
	v_cndmask_b32_e32 v17, v77, v17, vcc
	v_cndmask_b32_e32 v16, v78, v16, vcc
	v_cndmask_b32_e32 v15, v81, v15, vcc
	v_cndmask_b32_e32 v14, v83, v14, vcc
	v_cndmask_b32_e32 v13, v85, v13, vcc
	v_cndmask_b32_e32 v12, v88, v12, vcc
	v_cndmask_b32_e32 v11, v89, v11, vcc
	v_cndmask_b32_e32 v10, v92, v10, vcc
	v_cndmask_b32_e32 v9, v94, v9, vcc
	v_cndmask_b32_e32 v71, v95, v7, vcc
	v_mov_b32_e32 v6, s55
	v_add_co_u32_e32 v7, vcc, s54, v4
	v_addc_co_u32_e32 v6, vcc, v6, v5, vcc
	v_lshlrev_b64 v[4:5], 3, v[40:41]
	v_add_co_u32_e32 v4, vcc, v7, v4
	v_addc_co_u32_e32 v5, vcc, v6, v5, vcc
	v_lshlrev_b32_e32 v6, 3, v8
	v_add_co_u32_e32 v6, vcc, v6, v4
	v_addc_co_u32_e32 v7, vcc, 0, v5, vcc
	v_add_co_u32_e32 v6, vcc, -8, v6
	v_addc_co_u32_e32 v7, vcc, -1, v7, vcc
	v_cmp_eq_u32_e32 vcc, 0, v72
	v_cndmask_b32_e64 v41, 1, 2, vcc
	v_cmp_eq_u32_e32 vcc, 0, v71
	v_cmp_ne_u32_e64 s[26:27], 0, v71
	v_cndmask_b32_e64 v71, 1, 2, vcc
	v_cmp_eq_u32_e32 vcc, 0, v9
	v_and_b32_e32 v41, v71, v41
	v_cmp_ne_u32_e64 s[24:25], 0, v9
	v_cndmask_b32_e64 v9, 1, 2, vcc
	v_cmp_eq_u32_e32 vcc, 0, v10
	v_and_b32_e32 v9, v41, v9
	;; [unrolled: 4-line block ×3, first 2 shown]
	v_cndmask_b32_e64 v10, 1, 2, vcc
	v_cmp_eq_u32_e32 vcc, 0, v12
	v_and_b32_e32 v9, v9, v10
	v_cndmask_b32_e64 v10, 1, 2, vcc
	v_cmp_eq_u32_e32 vcc, 0, v13
	v_and_b32_e32 v9, v9, v10
	;; [unrolled: 3-line block ×10, first 2 shown]
	v_cndmask_b32_e64 v10, 1, 2, vcc
	s_movk_i32 s30, 0x100
	v_and_b32_e32 v9, v9, v10
	v_cmp_gt_u32_e32 vcc, s30, v1
	v_add_u32_e32 v8, v40, v8
	v_cmp_ne_u32_e64 s[28:29], 0, v72
	v_cmp_ne_u32_e64 s[20:21], 0, v11
	v_cmp_ne_u32_e64 s[18:19], 0, v12
	v_cmp_ne_u32_e64 s[16:17], 0, v13
	v_cmp_ne_u32_e64 s[14:15], 0, v14
	v_cmp_ne_u32_e64 s[12:13], 0, v15
	v_cmp_ne_u32_e64 s[10:11], 0, v16
	v_cmp_ne_u32_e64 s[8:9], 0, v17
	v_cmp_ne_u32_e64 s[6:7], 0, v20
	v_cmp_ne_u32_e64 s[4:5], 0, v21
	v_cmp_ne_u32_e64 s[2:3], 0, v37
	v_cmp_ne_u32_e64 s[0:1], 0, v70
	s_mov_b64 s[36:37], -1
	v_cmp_gt_i16_e64 s[30:31], 2, v9
	s_barrier
	s_cbranch_vccz .LBB366_187
; %bb.181:
	s_and_saveexec_b64 s[36:37], s[30:31]
	s_cbranch_execz .LBB366_186
; %bb.182:
	v_cmp_ne_u16_e32 vcc, 1, v9
	s_mov_b64 s[38:39], 0
	s_and_saveexec_b64 s[30:31], vcc
	s_xor_b64 s[30:31], exec, s[30:31]
	s_cbranch_execnz .LBB366_236
; %bb.183:
	s_andn2_saveexec_b64 s[30:31], s[30:31]
	s_cbranch_execnz .LBB366_252
.LBB366_184:
	s_or_b64 exec, exec, s[30:31]
	s_and_b64 exec, exec, s[38:39]
	s_cbranch_execz .LBB366_186
.LBB366_185:
	v_sub_u32_e32 v10, v22, v8
	v_mov_b32_e32 v11, 0
	v_lshlrev_b64 v[10:11], 3, v[10:11]
	v_add_co_u32_e32 v10, vcc, v6, v10
	v_addc_co_u32_e32 v11, vcc, v7, v11, vcc
	global_store_dwordx2 v[10:11], v[2:3], off
.LBB366_186:
	s_or_b64 exec, exec, s[36:37]
	s_mov_b64 s[36:37], 0
.LBB366_187:
	s_and_b64 vcc, exec, s[36:37]
	s_cbranch_vccz .LBB366_197
; %bb.188:
	v_cmp_gt_i16_e32 vcc, 2, v9
	s_and_saveexec_b64 s[30:31], vcc
	s_cbranch_execz .LBB366_193
; %bb.189:
	v_cmp_ne_u16_e32 vcc, 1, v9
	s_mov_b64 s[38:39], 0
	s_and_saveexec_b64 s[36:37], vcc
	s_xor_b64 s[36:37], exec, s[36:37]
	s_cbranch_execnz .LBB366_253
; %bb.190:
	s_andn2_saveexec_b64 s[0:1], s[36:37]
	s_cbranch_execnz .LBB366_269
.LBB366_191:
	s_or_b64 exec, exec, s[0:1]
	s_and_b64 exec, exec, s[38:39]
	s_cbranch_execz .LBB366_193
.LBB366_192:
	v_sub_u32_e32 v8, v22, v8
	v_lshlrev_b32_e32 v8, 3, v8
	ds_write_b64 v8, v[2:3]
.LBB366_193:
	s_or_b64 exec, exec, s[30:31]
	v_cmp_lt_u32_e32 vcc, v0, v1
	s_waitcnt lgkmcnt(0)
	s_barrier
	s_and_saveexec_b64 s[0:1], vcc
	s_cbranch_execz .LBB366_196
; %bb.194:
	v_lshlrev_b32_e32 v8, 3, v0
	s_mov_b64 s[2:3], 0
	v_mov_b32_e32 v3, 0
	v_mov_b32_e32 v2, v0
.LBB366_195:                            ; =>This Inner Loop Header: Depth=1
	v_lshlrev_b64 v[10:11], 3, v[2:3]
	ds_read_b64 v[12:13], v8
	v_add_co_u32_e32 v10, vcc, v6, v10
	v_add_u32_e32 v2, 0x100, v2
	v_addc_co_u32_e32 v11, vcc, v7, v11, vcc
	v_cmp_ge_u32_e32 vcc, v2, v1
	v_add_u32_e32 v8, 0x800, v8
	s_or_b64 s[2:3], vcc, s[2:3]
	s_waitcnt lgkmcnt(0)
	global_store_dwordx2 v[10:11], v[12:13], off
	s_andn2_b64 exec, exec, s[2:3]
	s_cbranch_execnz .LBB366_195
.LBB366_196:
	s_or_b64 exec, exec, s[0:1]
.LBB366_197:
	s_movk_i32 s0, 0xff
	v_cmp_eq_u32_e32 vcc, s0, v0
	s_and_b64 s[0:1], vcc, s[44:45]
	s_and_saveexec_b64 s[2:3], s[0:1]
	s_cbranch_execz .LBB366_200
; %bb.198:
	v_add_co_u32_e32 v0, vcc, v36, v40
	v_addc_co_u32_e64 v1, s[0:1], 0, 0, vcc
	v_add_co_u32_e32 v0, vcc, v0, v18
	v_mov_b32_e32 v37, 0
	v_addc_co_u32_e32 v1, vcc, v1, v19, vcc
	s_cmpk_lg_i32 s33, 0xf00
	global_store_dwordx2 v37, v[0:1], s[34:35]
	s_cbranch_scc1 .LBB366_200
; %bb.199:
	v_lshlrev_b64 v[0:1], 3, v[36:37]
	v_add_co_u32_e32 v0, vcc, v4, v0
	v_addc_co_u32_e32 v1, vcc, v5, v1, vcc
	global_store_dwordx2 v[0:1], v[38:39], off offset:-8
.LBB366_200:
	s_endpgm
.LBB366_201:
	s_or_b64 exec, exec, s[0:1]
	v_mov_b32_e32 v96, s7
	s_and_saveexec_b64 s[0:1], s[4:5]
	s_cbranch_execnz .LBB366_54
	s_branch .LBB366_55
.LBB366_202:
	s_and_saveexec_b64 s[38:39], s[28:29]
	s_cbranch_execnz .LBB366_270
; %bb.203:
	s_or_b64 exec, exec, s[38:39]
	s_and_saveexec_b64 s[38:39], s[26:27]
	s_cbranch_execnz .LBB366_271
.LBB366_204:
	s_or_b64 exec, exec, s[38:39]
	s_and_saveexec_b64 s[38:39], s[24:25]
	s_cbranch_execnz .LBB366_272
.LBB366_205:
	s_or_b64 exec, exec, s[38:39]
	s_and_saveexec_b64 s[38:39], s[22:23]
	s_cbranch_execnz .LBB366_273
.LBB366_206:
	s_or_b64 exec, exec, s[38:39]
	s_and_saveexec_b64 s[38:39], s[20:21]
	s_cbranch_execnz .LBB366_274
.LBB366_207:
	s_or_b64 exec, exec, s[38:39]
	s_and_saveexec_b64 s[38:39], s[18:19]
	s_cbranch_execnz .LBB366_275
.LBB366_208:
	s_or_b64 exec, exec, s[38:39]
	s_and_saveexec_b64 s[38:39], s[16:17]
	s_cbranch_execnz .LBB366_276
.LBB366_209:
	s_or_b64 exec, exec, s[38:39]
	s_and_saveexec_b64 s[38:39], s[14:15]
	s_cbranch_execnz .LBB366_277
.LBB366_210:
	s_or_b64 exec, exec, s[38:39]
	s_and_saveexec_b64 s[38:39], s[12:13]
	s_cbranch_execnz .LBB366_278
.LBB366_211:
	s_or_b64 exec, exec, s[38:39]
	s_and_saveexec_b64 s[38:39], s[10:11]
	s_cbranch_execnz .LBB366_279
.LBB366_212:
	s_or_b64 exec, exec, s[38:39]
	s_and_saveexec_b64 s[38:39], s[8:9]
	s_cbranch_execnz .LBB366_280
.LBB366_213:
	s_or_b64 exec, exec, s[38:39]
	s_and_saveexec_b64 s[38:39], s[6:7]
	s_cbranch_execnz .LBB366_281
.LBB366_214:
	s_or_b64 exec, exec, s[38:39]
	s_and_saveexec_b64 s[38:39], s[4:5]
	s_cbranch_execnz .LBB366_282
.LBB366_215:
	s_or_b64 exec, exec, s[38:39]
	s_and_saveexec_b64 s[38:39], s[2:3]
	s_cbranch_execz .LBB366_217
.LBB366_216:
	v_sub_u32_e32 v7, v23, v40
	v_readfirstlane_b32 s40, v20
	v_readfirstlane_b32 s41, v21
	s_nop 4
	global_store_byte v7, v5, s[40:41]
.LBB366_217:
	s_or_b64 exec, exec, s[38:39]
	s_and_b64 s[38:39], s[0:1], exec
	s_andn2_saveexec_b64 s[30:31], s[30:31]
	s_cbranch_execz .LBB366_156
.LBB366_218:
	v_sub_u32_e32 v7, v97, v40
	v_readfirstlane_b32 s40, v20
	v_readfirstlane_b32 s41, v21
	s_or_b64 s[38:39], s[38:39], exec
	s_nop 3
	global_store_byte v7, v2, s[40:41]
	v_sub_u32_e32 v7, v35, v40
	global_store_byte v7, v93, s[40:41]
	v_sub_u32_e32 v7, v34, v40
	;; [unrolled: 2-line block ×13, first 2 shown]
	global_store_byte v7, v5, s[40:41]
	s_or_b64 exec, exec, s[30:31]
	s_and_b64 exec, exec, s[38:39]
	s_cbranch_execnz .LBB366_157
	s_branch .LBB366_158
.LBB366_219:
	s_and_saveexec_b64 s[38:39], s[28:29]
	s_cbranch_execnz .LBB366_283
; %bb.220:
	s_or_b64 exec, exec, s[38:39]
	s_and_saveexec_b64 s[28:29], s[26:27]
	s_cbranch_execnz .LBB366_284
.LBB366_221:
	s_or_b64 exec, exec, s[28:29]
	s_and_saveexec_b64 s[26:27], s[24:25]
	s_cbranch_execnz .LBB366_285
.LBB366_222:
	s_or_b64 exec, exec, s[26:27]
	s_and_saveexec_b64 s[24:25], s[22:23]
	s_cbranch_execnz .LBB366_286
.LBB366_223:
	s_or_b64 exec, exec, s[24:25]
	s_and_saveexec_b64 s[22:23], s[20:21]
	s_cbranch_execnz .LBB366_287
.LBB366_224:
	s_or_b64 exec, exec, s[22:23]
	s_and_saveexec_b64 s[20:21], s[18:19]
	s_cbranch_execnz .LBB366_288
.LBB366_225:
	s_or_b64 exec, exec, s[20:21]
	s_and_saveexec_b64 s[18:19], s[16:17]
	s_cbranch_execnz .LBB366_289
.LBB366_226:
	s_or_b64 exec, exec, s[18:19]
	s_and_saveexec_b64 s[16:17], s[14:15]
	s_cbranch_execnz .LBB366_290
.LBB366_227:
	s_or_b64 exec, exec, s[16:17]
	s_and_saveexec_b64 s[14:15], s[12:13]
	s_cbranch_execnz .LBB366_291
.LBB366_228:
	s_or_b64 exec, exec, s[14:15]
	s_and_saveexec_b64 s[12:13], s[10:11]
	s_cbranch_execnz .LBB366_292
.LBB366_229:
	s_or_b64 exec, exec, s[12:13]
	s_and_saveexec_b64 s[10:11], s[8:9]
	s_cbranch_execnz .LBB366_293
.LBB366_230:
	s_or_b64 exec, exec, s[10:11]
	s_and_saveexec_b64 s[8:9], s[6:7]
	s_cbranch_execnz .LBB366_294
.LBB366_231:
	s_or_b64 exec, exec, s[8:9]
	s_and_saveexec_b64 s[6:7], s[4:5]
	s_cbranch_execnz .LBB366_295
.LBB366_232:
	s_or_b64 exec, exec, s[6:7]
	s_and_saveexec_b64 s[4:5], s[2:3]
	s_cbranch_execz .LBB366_234
.LBB366_233:
	v_sub_u32_e32 v2, v23, v40
	ds_write_b8 v2, v5
.LBB366_234:
	s_or_b64 exec, exec, s[4:5]
	s_and_b64 s[38:39], s[0:1], exec
                                        ; implicit-def: $vgpr2
                                        ; implicit-def: $vgpr93
                                        ; implicit-def: $vgpr91
                                        ; implicit-def: $vgpr90
                                        ; implicit-def: $vgpr87
                                        ; implicit-def: $vgpr86
                                        ; implicit-def: $vgpr84
                                        ; implicit-def: $vgpr82
                                        ; implicit-def: $vgpr80
                                        ; implicit-def: $vgpr79
                                        ; implicit-def: $vgpr73
                                        ; implicit-def: $vgpr5
	s_andn2_saveexec_b64 s[0:1], s[36:37]
	s_cbranch_execz .LBB366_163
.LBB366_235:
	v_sub_u32_e32 v6, v97, v40
	ds_write_b8 v6, v2
	v_sub_u32_e32 v2, v35, v40
	ds_write_b8 v2, v93
	;; [unrolled: 2-line block ×13, first 2 shown]
	v_sub_u32_e32 v2, v23, v40
	s_or_b64 s[38:39], s[38:39], exec
	ds_write_b8 v2, v5
	s_or_b64 exec, exec, s[0:1]
	s_and_b64 exec, exec, s[38:39]
	s_cbranch_execnz .LBB366_164
	s_branch .LBB366_165
.LBB366_236:
	s_and_saveexec_b64 s[38:39], s[28:29]
	s_cbranch_execnz .LBB366_296
; %bb.237:
	s_or_b64 exec, exec, s[38:39]
	s_and_saveexec_b64 s[38:39], s[26:27]
	s_cbranch_execnz .LBB366_297
.LBB366_238:
	s_or_b64 exec, exec, s[38:39]
	s_and_saveexec_b64 s[38:39], s[24:25]
	s_cbranch_execnz .LBB366_298
.LBB366_239:
	s_or_b64 exec, exec, s[38:39]
	s_and_saveexec_b64 s[38:39], s[22:23]
	s_cbranch_execnz .LBB366_299
.LBB366_240:
	s_or_b64 exec, exec, s[38:39]
	s_and_saveexec_b64 s[38:39], s[20:21]
	s_cbranch_execnz .LBB366_300
.LBB366_241:
	s_or_b64 exec, exec, s[38:39]
	s_and_saveexec_b64 s[38:39], s[18:19]
	s_cbranch_execnz .LBB366_301
.LBB366_242:
	s_or_b64 exec, exec, s[38:39]
	s_and_saveexec_b64 s[38:39], s[16:17]
	s_cbranch_execnz .LBB366_302
.LBB366_243:
	s_or_b64 exec, exec, s[38:39]
	s_and_saveexec_b64 s[38:39], s[14:15]
	s_cbranch_execnz .LBB366_303
.LBB366_244:
	s_or_b64 exec, exec, s[38:39]
	s_and_saveexec_b64 s[38:39], s[12:13]
	s_cbranch_execnz .LBB366_304
.LBB366_245:
	s_or_b64 exec, exec, s[38:39]
	s_and_saveexec_b64 s[38:39], s[10:11]
	s_cbranch_execnz .LBB366_305
.LBB366_246:
	s_or_b64 exec, exec, s[38:39]
	s_and_saveexec_b64 s[38:39], s[8:9]
	s_cbranch_execnz .LBB366_306
.LBB366_247:
	s_or_b64 exec, exec, s[38:39]
	s_and_saveexec_b64 s[38:39], s[6:7]
	s_cbranch_execnz .LBB366_307
.LBB366_248:
	s_or_b64 exec, exec, s[38:39]
	s_and_saveexec_b64 s[38:39], s[4:5]
	s_cbranch_execnz .LBB366_308
.LBB366_249:
	s_or_b64 exec, exec, s[38:39]
	s_and_saveexec_b64 s[38:39], s[2:3]
	s_cbranch_execz .LBB366_251
.LBB366_250:
	v_sub_u32_e32 v10, v23, v8
	v_mov_b32_e32 v11, 0
	v_lshlrev_b64 v[10:11], 3, v[10:11]
	v_add_co_u32_e32 v10, vcc, v6, v10
	v_addc_co_u32_e32 v11, vcc, v7, v11, vcc
	global_store_dwordx2 v[10:11], v[68:69], off
.LBB366_251:
	s_or_b64 exec, exec, s[38:39]
	s_and_b64 s[38:39], s[0:1], exec
	s_andn2_saveexec_b64 s[30:31], s[30:31]
	s_cbranch_execz .LBB366_184
.LBB366_252:
	v_sub_u32_e32 v10, v97, v8
	v_mov_b32_e32 v11, 0
	v_lshlrev_b64 v[12:13], 3, v[10:11]
	v_add_co_u32_e32 v12, vcc, v6, v12
	v_addc_co_u32_e32 v13, vcc, v7, v13, vcc
	v_sub_u32_e32 v10, v35, v8
	global_store_dwordx2 v[12:13], v[66:67], off
	v_lshlrev_b64 v[12:13], 3, v[10:11]
	v_add_co_u32_e32 v12, vcc, v6, v12
	v_addc_co_u32_e32 v13, vcc, v7, v13, vcc
	v_sub_u32_e32 v10, v34, v8
	global_store_dwordx2 v[12:13], v[42:43], off
	v_lshlrev_b64 v[12:13], 3, v[10:11]
	v_add_co_u32_e32 v12, vcc, v6, v12
	v_addc_co_u32_e32 v13, vcc, v7, v13, vcc
	v_sub_u32_e32 v10, v33, v8
	global_store_dwordx2 v[12:13], v[44:45], off
	v_lshlrev_b64 v[12:13], 3, v[10:11]
	v_add_co_u32_e32 v12, vcc, v6, v12
	v_addc_co_u32_e32 v13, vcc, v7, v13, vcc
	v_sub_u32_e32 v10, v32, v8
	global_store_dwordx2 v[12:13], v[46:47], off
	v_lshlrev_b64 v[12:13], 3, v[10:11]
	v_add_co_u32_e32 v12, vcc, v6, v12
	v_addc_co_u32_e32 v13, vcc, v7, v13, vcc
	v_sub_u32_e32 v10, v31, v8
	global_store_dwordx2 v[12:13], v[48:49], off
	v_lshlrev_b64 v[12:13], 3, v[10:11]
	v_add_co_u32_e32 v12, vcc, v6, v12
	v_addc_co_u32_e32 v13, vcc, v7, v13, vcc
	v_sub_u32_e32 v10, v30, v8
	global_store_dwordx2 v[12:13], v[50:51], off
	v_lshlrev_b64 v[12:13], 3, v[10:11]
	v_add_co_u32_e32 v12, vcc, v6, v12
	v_addc_co_u32_e32 v13, vcc, v7, v13, vcc
	v_sub_u32_e32 v10, v29, v8
	global_store_dwordx2 v[12:13], v[52:53], off
	v_lshlrev_b64 v[12:13], 3, v[10:11]
	v_add_co_u32_e32 v12, vcc, v6, v12
	v_addc_co_u32_e32 v13, vcc, v7, v13, vcc
	v_sub_u32_e32 v10, v28, v8
	global_store_dwordx2 v[12:13], v[54:55], off
	v_lshlrev_b64 v[12:13], 3, v[10:11]
	v_add_co_u32_e32 v12, vcc, v6, v12
	v_addc_co_u32_e32 v13, vcc, v7, v13, vcc
	v_sub_u32_e32 v10, v27, v8
	global_store_dwordx2 v[12:13], v[56:57], off
	v_lshlrev_b64 v[12:13], 3, v[10:11]
	v_add_co_u32_e32 v12, vcc, v6, v12
	v_addc_co_u32_e32 v13, vcc, v7, v13, vcc
	v_sub_u32_e32 v10, v26, v8
	global_store_dwordx2 v[12:13], v[58:59], off
	v_lshlrev_b64 v[12:13], 3, v[10:11]
	v_add_co_u32_e32 v12, vcc, v6, v12
	v_addc_co_u32_e32 v13, vcc, v7, v13, vcc
	v_sub_u32_e32 v10, v25, v8
	global_store_dwordx2 v[12:13], v[60:61], off
	v_lshlrev_b64 v[12:13], 3, v[10:11]
	v_add_co_u32_e32 v12, vcc, v6, v12
	v_addc_co_u32_e32 v13, vcc, v7, v13, vcc
	v_sub_u32_e32 v10, v24, v8
	global_store_dwordx2 v[12:13], v[62:63], off
	v_lshlrev_b64 v[12:13], 3, v[10:11]
	v_add_co_u32_e32 v12, vcc, v6, v12
	v_sub_u32_e32 v10, v23, v8
	v_addc_co_u32_e32 v13, vcc, v7, v13, vcc
	v_lshlrev_b64 v[10:11], 3, v[10:11]
	v_add_co_u32_e32 v10, vcc, v6, v10
	v_addc_co_u32_e32 v11, vcc, v7, v11, vcc
	s_or_b64 s[38:39], s[38:39], exec
	global_store_dwordx2 v[12:13], v[64:65], off
	global_store_dwordx2 v[10:11], v[68:69], off
	s_or_b64 exec, exec, s[30:31]
	s_and_b64 exec, exec, s[38:39]
	s_cbranch_execnz .LBB366_185
	s_branch .LBB366_186
.LBB366_253:
	s_and_saveexec_b64 s[38:39], s[28:29]
	s_cbranch_execnz .LBB366_309
; %bb.254:
	s_or_b64 exec, exec, s[38:39]
	s_and_saveexec_b64 s[28:29], s[26:27]
	s_cbranch_execnz .LBB366_310
.LBB366_255:
	s_or_b64 exec, exec, s[28:29]
	s_and_saveexec_b64 s[26:27], s[24:25]
	s_cbranch_execnz .LBB366_311
.LBB366_256:
	s_or_b64 exec, exec, s[26:27]
	s_and_saveexec_b64 s[24:25], s[22:23]
	s_cbranch_execnz .LBB366_312
.LBB366_257:
	s_or_b64 exec, exec, s[24:25]
	s_and_saveexec_b64 s[22:23], s[20:21]
	s_cbranch_execnz .LBB366_313
.LBB366_258:
	s_or_b64 exec, exec, s[22:23]
	s_and_saveexec_b64 s[20:21], s[18:19]
	s_cbranch_execnz .LBB366_314
.LBB366_259:
	s_or_b64 exec, exec, s[20:21]
	s_and_saveexec_b64 s[18:19], s[16:17]
	s_cbranch_execnz .LBB366_315
.LBB366_260:
	s_or_b64 exec, exec, s[18:19]
	s_and_saveexec_b64 s[16:17], s[14:15]
	s_cbranch_execnz .LBB366_316
.LBB366_261:
	s_or_b64 exec, exec, s[16:17]
	s_and_saveexec_b64 s[14:15], s[12:13]
	s_cbranch_execnz .LBB366_317
.LBB366_262:
	s_or_b64 exec, exec, s[14:15]
	s_and_saveexec_b64 s[12:13], s[10:11]
	s_cbranch_execnz .LBB366_318
.LBB366_263:
	s_or_b64 exec, exec, s[12:13]
	s_and_saveexec_b64 s[10:11], s[8:9]
	s_cbranch_execnz .LBB366_319
.LBB366_264:
	s_or_b64 exec, exec, s[10:11]
	s_and_saveexec_b64 s[8:9], s[6:7]
	s_cbranch_execnz .LBB366_320
.LBB366_265:
	s_or_b64 exec, exec, s[8:9]
	s_and_saveexec_b64 s[6:7], s[4:5]
	s_cbranch_execnz .LBB366_321
.LBB366_266:
	s_or_b64 exec, exec, s[6:7]
	s_and_saveexec_b64 s[4:5], s[2:3]
	s_cbranch_execz .LBB366_268
.LBB366_267:
	v_sub_u32_e32 v9, v23, v8
	v_lshlrev_b32_e32 v9, 3, v9
	ds_write_b64 v9, v[68:69]
.LBB366_268:
	s_or_b64 exec, exec, s[4:5]
	s_and_b64 s[38:39], s[0:1], exec
                                        ; implicit-def: $vgpr66_vgpr67
                                        ; implicit-def: $vgpr42_vgpr43
                                        ; implicit-def: $vgpr44_vgpr45
                                        ; implicit-def: $vgpr46_vgpr47
                                        ; implicit-def: $vgpr48_vgpr49
                                        ; implicit-def: $vgpr50_vgpr51
                                        ; implicit-def: $vgpr52_vgpr53
                                        ; implicit-def: $vgpr54_vgpr55
                                        ; implicit-def: $vgpr56_vgpr57
                                        ; implicit-def: $vgpr58_vgpr59
                                        ; implicit-def: $vgpr60_vgpr61
                                        ; implicit-def: $vgpr62_vgpr63
                                        ; implicit-def: $vgpr64_vgpr65
                                        ; implicit-def: $vgpr68_vgpr69
                                        ; implicit-def: $vgpr97
                                        ; implicit-def: $vgpr35
                                        ; implicit-def: $vgpr34
                                        ; implicit-def: $vgpr33
                                        ; implicit-def: $vgpr32
                                        ; implicit-def: $vgpr31
                                        ; implicit-def: $vgpr30
                                        ; implicit-def: $vgpr29
                                        ; implicit-def: $vgpr28
                                        ; implicit-def: $vgpr27
                                        ; implicit-def: $vgpr26
                                        ; implicit-def: $vgpr25
                                        ; implicit-def: $vgpr24
                                        ; implicit-def: $vgpr23
	s_andn2_saveexec_b64 s[0:1], s[36:37]
	s_cbranch_execz .LBB366_191
.LBB366_269:
	v_sub_u32_e32 v9, v97, v8
	v_lshlrev_b32_e32 v9, 3, v9
	ds_write_b64 v9, v[66:67]
	v_sub_u32_e32 v9, v35, v8
	v_lshlrev_b32_e32 v9, 3, v9
	ds_write_b64 v9, v[42:43]
	;; [unrolled: 3-line block ×13, first 2 shown]
	v_sub_u32_e32 v9, v23, v8
	v_lshlrev_b32_e32 v9, 3, v9
	s_or_b64 s[38:39], s[38:39], exec
	ds_write_b64 v9, v[68:69]
	s_or_b64 exec, exec, s[0:1]
	s_and_b64 exec, exec, s[38:39]
	s_cbranch_execnz .LBB366_192
	s_branch .LBB366_193
.LBB366_270:
	v_sub_u32_e32 v7, v97, v40
	v_readfirstlane_b32 s40, v20
	v_readfirstlane_b32 s41, v21
	s_nop 4
	global_store_byte v7, v2, s[40:41]
	s_or_b64 exec, exec, s[38:39]
	s_and_saveexec_b64 s[38:39], s[26:27]
	s_cbranch_execz .LBB366_204
.LBB366_271:
	v_sub_u32_e32 v7, v35, v40
	v_readfirstlane_b32 s40, v20
	v_readfirstlane_b32 s41, v21
	s_nop 4
	global_store_byte v7, v93, s[40:41]
	s_or_b64 exec, exec, s[38:39]
	s_and_saveexec_b64 s[38:39], s[24:25]
	s_cbranch_execz .LBB366_205
.LBB366_272:
	v_sub_u32_e32 v7, v34, v40
	v_readfirstlane_b32 s40, v20
	v_readfirstlane_b32 s41, v21
	s_nop 4
	global_store_byte v7, v91, s[40:41]
	s_or_b64 exec, exec, s[38:39]
	s_and_saveexec_b64 s[38:39], s[22:23]
	s_cbranch_execz .LBB366_206
.LBB366_273:
	v_sub_u32_e32 v7, v33, v40
	v_readfirstlane_b32 s40, v20
	v_readfirstlane_b32 s41, v21
	s_nop 4
	global_store_byte v7, v90, s[40:41]
	s_or_b64 exec, exec, s[38:39]
	s_and_saveexec_b64 s[38:39], s[20:21]
	s_cbranch_execz .LBB366_207
.LBB366_274:
	v_sub_u32_e32 v7, v32, v40
	v_readfirstlane_b32 s40, v20
	v_readfirstlane_b32 s41, v21
	s_nop 4
	global_store_byte v7, v3, s[40:41]
	s_or_b64 exec, exec, s[38:39]
	s_and_saveexec_b64 s[38:39], s[18:19]
	s_cbranch_execz .LBB366_208
.LBB366_275:
	v_sub_u32_e32 v7, v31, v40
	v_readfirstlane_b32 s40, v20
	v_readfirstlane_b32 s41, v21
	s_nop 4
	global_store_byte v7, v87, s[40:41]
	s_or_b64 exec, exec, s[38:39]
	s_and_saveexec_b64 s[38:39], s[16:17]
	s_cbranch_execz .LBB366_209
.LBB366_276:
	v_sub_u32_e32 v7, v30, v40
	v_readfirstlane_b32 s40, v20
	v_readfirstlane_b32 s41, v21
	s_nop 4
	global_store_byte v7, v86, s[40:41]
	s_or_b64 exec, exec, s[38:39]
	s_and_saveexec_b64 s[38:39], s[14:15]
	s_cbranch_execz .LBB366_210
.LBB366_277:
	v_sub_u32_e32 v7, v29, v40
	v_readfirstlane_b32 s40, v20
	v_readfirstlane_b32 s41, v21
	s_nop 4
	global_store_byte v7, v84, s[40:41]
	s_or_b64 exec, exec, s[38:39]
	s_and_saveexec_b64 s[38:39], s[12:13]
	s_cbranch_execz .LBB366_211
.LBB366_278:
	v_sub_u32_e32 v7, v28, v40
	v_readfirstlane_b32 s40, v20
	v_readfirstlane_b32 s41, v21
	s_nop 4
	global_store_byte v7, v4, s[40:41]
	s_or_b64 exec, exec, s[38:39]
	s_and_saveexec_b64 s[38:39], s[10:11]
	s_cbranch_execz .LBB366_212
.LBB366_279:
	v_sub_u32_e32 v7, v27, v40
	v_readfirstlane_b32 s40, v20
	v_readfirstlane_b32 s41, v21
	s_nop 4
	global_store_byte v7, v82, s[40:41]
	s_or_b64 exec, exec, s[38:39]
	s_and_saveexec_b64 s[38:39], s[8:9]
	s_cbranch_execz .LBB366_213
.LBB366_280:
	v_sub_u32_e32 v7, v26, v40
	v_readfirstlane_b32 s40, v20
	v_readfirstlane_b32 s41, v21
	s_nop 4
	global_store_byte v7, v80, s[40:41]
	s_or_b64 exec, exec, s[38:39]
	s_and_saveexec_b64 s[38:39], s[6:7]
	s_cbranch_execz .LBB366_214
.LBB366_281:
	v_sub_u32_e32 v7, v25, v40
	v_readfirstlane_b32 s40, v20
	v_readfirstlane_b32 s41, v21
	s_nop 4
	global_store_byte v7, v79, s[40:41]
	s_or_b64 exec, exec, s[38:39]
	s_and_saveexec_b64 s[38:39], s[4:5]
	s_cbranch_execz .LBB366_215
.LBB366_282:
	v_sub_u32_e32 v7, v24, v40
	v_readfirstlane_b32 s40, v20
	v_readfirstlane_b32 s41, v21
	s_nop 4
	global_store_byte v7, v73, s[40:41]
	s_or_b64 exec, exec, s[38:39]
	s_and_saveexec_b64 s[38:39], s[2:3]
	s_cbranch_execnz .LBB366_216
	s_branch .LBB366_217
.LBB366_283:
	v_sub_u32_e32 v6, v97, v40
	ds_write_b8 v6, v2
	s_or_b64 exec, exec, s[38:39]
	s_and_saveexec_b64 s[28:29], s[26:27]
	s_cbranch_execz .LBB366_221
.LBB366_284:
	v_sub_u32_e32 v2, v35, v40
	ds_write_b8 v2, v93
	s_or_b64 exec, exec, s[28:29]
	s_and_saveexec_b64 s[26:27], s[24:25]
	s_cbranch_execz .LBB366_222
.LBB366_285:
	v_sub_u32_e32 v2, v34, v40
	ds_write_b8 v2, v91
	s_or_b64 exec, exec, s[26:27]
	s_and_saveexec_b64 s[24:25], s[22:23]
	s_cbranch_execz .LBB366_223
.LBB366_286:
	v_sub_u32_e32 v2, v33, v40
	ds_write_b8 v2, v90
	s_or_b64 exec, exec, s[24:25]
	s_and_saveexec_b64 s[22:23], s[20:21]
	s_cbranch_execz .LBB366_224
.LBB366_287:
	v_sub_u32_e32 v2, v32, v40
	ds_write_b8 v2, v3
	s_or_b64 exec, exec, s[22:23]
	s_and_saveexec_b64 s[20:21], s[18:19]
	s_cbranch_execz .LBB366_225
.LBB366_288:
	v_sub_u32_e32 v2, v31, v40
	ds_write_b8 v2, v87
	s_or_b64 exec, exec, s[20:21]
	s_and_saveexec_b64 s[18:19], s[16:17]
	s_cbranch_execz .LBB366_226
.LBB366_289:
	v_sub_u32_e32 v2, v30, v40
	ds_write_b8 v2, v86
	s_or_b64 exec, exec, s[18:19]
	s_and_saveexec_b64 s[16:17], s[14:15]
	s_cbranch_execz .LBB366_227
.LBB366_290:
	v_sub_u32_e32 v2, v29, v40
	ds_write_b8 v2, v84
	s_or_b64 exec, exec, s[16:17]
	s_and_saveexec_b64 s[14:15], s[12:13]
	s_cbranch_execz .LBB366_228
.LBB366_291:
	v_sub_u32_e32 v2, v28, v40
	ds_write_b8 v2, v4
	s_or_b64 exec, exec, s[14:15]
	s_and_saveexec_b64 s[12:13], s[10:11]
	s_cbranch_execz .LBB366_229
.LBB366_292:
	v_sub_u32_e32 v2, v27, v40
	ds_write_b8 v2, v82
	s_or_b64 exec, exec, s[12:13]
	s_and_saveexec_b64 s[10:11], s[8:9]
	s_cbranch_execz .LBB366_230
.LBB366_293:
	v_sub_u32_e32 v2, v26, v40
	ds_write_b8 v2, v80
	s_or_b64 exec, exec, s[10:11]
	s_and_saveexec_b64 s[8:9], s[6:7]
	s_cbranch_execz .LBB366_231
.LBB366_294:
	v_sub_u32_e32 v2, v25, v40
	ds_write_b8 v2, v79
	s_or_b64 exec, exec, s[8:9]
	s_and_saveexec_b64 s[6:7], s[4:5]
	s_cbranch_execz .LBB366_232
.LBB366_295:
	v_sub_u32_e32 v2, v24, v40
	ds_write_b8 v2, v73
	s_or_b64 exec, exec, s[6:7]
	s_and_saveexec_b64 s[4:5], s[2:3]
	s_cbranch_execnz .LBB366_233
	s_branch .LBB366_234
.LBB366_296:
	v_sub_u32_e32 v10, v97, v8
	v_mov_b32_e32 v11, 0
	v_lshlrev_b64 v[10:11], 3, v[10:11]
	v_add_co_u32_e32 v10, vcc, v6, v10
	v_addc_co_u32_e32 v11, vcc, v7, v11, vcc
	global_store_dwordx2 v[10:11], v[66:67], off
	s_or_b64 exec, exec, s[38:39]
	s_and_saveexec_b64 s[38:39], s[26:27]
	s_cbranch_execz .LBB366_238
.LBB366_297:
	v_sub_u32_e32 v10, v35, v8
	v_mov_b32_e32 v11, 0
	v_lshlrev_b64 v[10:11], 3, v[10:11]
	v_add_co_u32_e32 v10, vcc, v6, v10
	v_addc_co_u32_e32 v11, vcc, v7, v11, vcc
	global_store_dwordx2 v[10:11], v[42:43], off
	s_or_b64 exec, exec, s[38:39]
	s_and_saveexec_b64 s[38:39], s[24:25]
	s_cbranch_execz .LBB366_239
.LBB366_298:
	v_sub_u32_e32 v10, v34, v8
	v_mov_b32_e32 v11, 0
	v_lshlrev_b64 v[10:11], 3, v[10:11]
	v_add_co_u32_e32 v10, vcc, v6, v10
	v_addc_co_u32_e32 v11, vcc, v7, v11, vcc
	global_store_dwordx2 v[10:11], v[44:45], off
	s_or_b64 exec, exec, s[38:39]
	s_and_saveexec_b64 s[38:39], s[22:23]
	s_cbranch_execz .LBB366_240
.LBB366_299:
	v_sub_u32_e32 v10, v33, v8
	v_mov_b32_e32 v11, 0
	v_lshlrev_b64 v[10:11], 3, v[10:11]
	v_add_co_u32_e32 v10, vcc, v6, v10
	v_addc_co_u32_e32 v11, vcc, v7, v11, vcc
	global_store_dwordx2 v[10:11], v[46:47], off
	s_or_b64 exec, exec, s[38:39]
	s_and_saveexec_b64 s[38:39], s[20:21]
	s_cbranch_execz .LBB366_241
.LBB366_300:
	v_sub_u32_e32 v10, v32, v8
	v_mov_b32_e32 v11, 0
	v_lshlrev_b64 v[10:11], 3, v[10:11]
	v_add_co_u32_e32 v10, vcc, v6, v10
	v_addc_co_u32_e32 v11, vcc, v7, v11, vcc
	global_store_dwordx2 v[10:11], v[48:49], off
	s_or_b64 exec, exec, s[38:39]
	s_and_saveexec_b64 s[38:39], s[18:19]
	s_cbranch_execz .LBB366_242
.LBB366_301:
	v_sub_u32_e32 v10, v31, v8
	v_mov_b32_e32 v11, 0
	v_lshlrev_b64 v[10:11], 3, v[10:11]
	v_add_co_u32_e32 v10, vcc, v6, v10
	v_addc_co_u32_e32 v11, vcc, v7, v11, vcc
	global_store_dwordx2 v[10:11], v[50:51], off
	s_or_b64 exec, exec, s[38:39]
	s_and_saveexec_b64 s[38:39], s[16:17]
	s_cbranch_execz .LBB366_243
.LBB366_302:
	v_sub_u32_e32 v10, v30, v8
	v_mov_b32_e32 v11, 0
	v_lshlrev_b64 v[10:11], 3, v[10:11]
	v_add_co_u32_e32 v10, vcc, v6, v10
	v_addc_co_u32_e32 v11, vcc, v7, v11, vcc
	global_store_dwordx2 v[10:11], v[52:53], off
	s_or_b64 exec, exec, s[38:39]
	s_and_saveexec_b64 s[38:39], s[14:15]
	s_cbranch_execz .LBB366_244
.LBB366_303:
	v_sub_u32_e32 v10, v29, v8
	v_mov_b32_e32 v11, 0
	v_lshlrev_b64 v[10:11], 3, v[10:11]
	v_add_co_u32_e32 v10, vcc, v6, v10
	v_addc_co_u32_e32 v11, vcc, v7, v11, vcc
	global_store_dwordx2 v[10:11], v[54:55], off
	s_or_b64 exec, exec, s[38:39]
	s_and_saveexec_b64 s[38:39], s[12:13]
	s_cbranch_execz .LBB366_245
.LBB366_304:
	v_sub_u32_e32 v10, v28, v8
	v_mov_b32_e32 v11, 0
	v_lshlrev_b64 v[10:11], 3, v[10:11]
	v_add_co_u32_e32 v10, vcc, v6, v10
	v_addc_co_u32_e32 v11, vcc, v7, v11, vcc
	global_store_dwordx2 v[10:11], v[56:57], off
	s_or_b64 exec, exec, s[38:39]
	s_and_saveexec_b64 s[38:39], s[10:11]
	s_cbranch_execz .LBB366_246
.LBB366_305:
	v_sub_u32_e32 v10, v27, v8
	v_mov_b32_e32 v11, 0
	v_lshlrev_b64 v[10:11], 3, v[10:11]
	v_add_co_u32_e32 v10, vcc, v6, v10
	v_addc_co_u32_e32 v11, vcc, v7, v11, vcc
	global_store_dwordx2 v[10:11], v[58:59], off
	s_or_b64 exec, exec, s[38:39]
	s_and_saveexec_b64 s[38:39], s[8:9]
	s_cbranch_execz .LBB366_247
.LBB366_306:
	v_sub_u32_e32 v10, v26, v8
	v_mov_b32_e32 v11, 0
	v_lshlrev_b64 v[10:11], 3, v[10:11]
	v_add_co_u32_e32 v10, vcc, v6, v10
	v_addc_co_u32_e32 v11, vcc, v7, v11, vcc
	global_store_dwordx2 v[10:11], v[60:61], off
	s_or_b64 exec, exec, s[38:39]
	s_and_saveexec_b64 s[38:39], s[6:7]
	s_cbranch_execz .LBB366_248
.LBB366_307:
	v_sub_u32_e32 v10, v25, v8
	v_mov_b32_e32 v11, 0
	v_lshlrev_b64 v[10:11], 3, v[10:11]
	v_add_co_u32_e32 v10, vcc, v6, v10
	v_addc_co_u32_e32 v11, vcc, v7, v11, vcc
	global_store_dwordx2 v[10:11], v[62:63], off
	s_or_b64 exec, exec, s[38:39]
	s_and_saveexec_b64 s[38:39], s[4:5]
	s_cbranch_execz .LBB366_249
.LBB366_308:
	v_sub_u32_e32 v10, v24, v8
	v_mov_b32_e32 v11, 0
	v_lshlrev_b64 v[10:11], 3, v[10:11]
	v_add_co_u32_e32 v10, vcc, v6, v10
	v_addc_co_u32_e32 v11, vcc, v7, v11, vcc
	global_store_dwordx2 v[10:11], v[64:65], off
	s_or_b64 exec, exec, s[38:39]
	s_and_saveexec_b64 s[38:39], s[2:3]
	s_cbranch_execnz .LBB366_250
	s_branch .LBB366_251
.LBB366_309:
	v_sub_u32_e32 v9, v97, v8
	v_lshlrev_b32_e32 v9, 3, v9
	ds_write_b64 v9, v[66:67]
	s_or_b64 exec, exec, s[38:39]
	s_and_saveexec_b64 s[28:29], s[26:27]
	s_cbranch_execz .LBB366_255
.LBB366_310:
	v_sub_u32_e32 v9, v35, v8
	v_lshlrev_b32_e32 v9, 3, v9
	ds_write_b64 v9, v[42:43]
	s_or_b64 exec, exec, s[28:29]
	s_and_saveexec_b64 s[26:27], s[24:25]
	s_cbranch_execz .LBB366_256
.LBB366_311:
	v_sub_u32_e32 v9, v34, v8
	v_lshlrev_b32_e32 v9, 3, v9
	ds_write_b64 v9, v[44:45]
	s_or_b64 exec, exec, s[26:27]
	s_and_saveexec_b64 s[24:25], s[22:23]
	s_cbranch_execz .LBB366_257
.LBB366_312:
	v_sub_u32_e32 v9, v33, v8
	v_lshlrev_b32_e32 v9, 3, v9
	ds_write_b64 v9, v[46:47]
	s_or_b64 exec, exec, s[24:25]
	s_and_saveexec_b64 s[22:23], s[20:21]
	s_cbranch_execz .LBB366_258
.LBB366_313:
	v_sub_u32_e32 v9, v32, v8
	v_lshlrev_b32_e32 v9, 3, v9
	ds_write_b64 v9, v[48:49]
	s_or_b64 exec, exec, s[22:23]
	s_and_saveexec_b64 s[20:21], s[18:19]
	s_cbranch_execz .LBB366_259
.LBB366_314:
	v_sub_u32_e32 v9, v31, v8
	v_lshlrev_b32_e32 v9, 3, v9
	ds_write_b64 v9, v[50:51]
	s_or_b64 exec, exec, s[20:21]
	s_and_saveexec_b64 s[18:19], s[16:17]
	s_cbranch_execz .LBB366_260
.LBB366_315:
	v_sub_u32_e32 v9, v30, v8
	v_lshlrev_b32_e32 v9, 3, v9
	ds_write_b64 v9, v[52:53]
	s_or_b64 exec, exec, s[18:19]
	s_and_saveexec_b64 s[16:17], s[14:15]
	s_cbranch_execz .LBB366_261
.LBB366_316:
	v_sub_u32_e32 v9, v29, v8
	v_lshlrev_b32_e32 v9, 3, v9
	ds_write_b64 v9, v[54:55]
	s_or_b64 exec, exec, s[16:17]
	s_and_saveexec_b64 s[14:15], s[12:13]
	s_cbranch_execz .LBB366_262
.LBB366_317:
	v_sub_u32_e32 v9, v28, v8
	v_lshlrev_b32_e32 v9, 3, v9
	ds_write_b64 v9, v[56:57]
	s_or_b64 exec, exec, s[14:15]
	s_and_saveexec_b64 s[12:13], s[10:11]
	s_cbranch_execz .LBB366_263
.LBB366_318:
	v_sub_u32_e32 v9, v27, v8
	v_lshlrev_b32_e32 v9, 3, v9
	ds_write_b64 v9, v[58:59]
	s_or_b64 exec, exec, s[12:13]
	s_and_saveexec_b64 s[10:11], s[8:9]
	s_cbranch_execz .LBB366_264
.LBB366_319:
	v_sub_u32_e32 v9, v26, v8
	v_lshlrev_b32_e32 v9, 3, v9
	ds_write_b64 v9, v[60:61]
	s_or_b64 exec, exec, s[10:11]
	s_and_saveexec_b64 s[8:9], s[6:7]
	s_cbranch_execz .LBB366_265
.LBB366_320:
	v_sub_u32_e32 v9, v25, v8
	v_lshlrev_b32_e32 v9, 3, v9
	ds_write_b64 v9, v[62:63]
	s_or_b64 exec, exec, s[8:9]
	s_and_saveexec_b64 s[6:7], s[4:5]
	s_cbranch_execz .LBB366_266
.LBB366_321:
	v_sub_u32_e32 v9, v24, v8
	v_lshlrev_b32_e32 v9, 3, v9
	ds_write_b64 v9, v[64:65]
	s_or_b64 exec, exec, s[6:7]
	s_and_saveexec_b64 s[4:5], s[2:3]
	s_cbranch_execnz .LBB366_267
	s_branch .LBB366_268
	.section	.rodata,"a",@progbits
	.p2align	6, 0x0
	.amdhsa_kernel _ZN7rocprim17ROCPRIM_400000_NS6detail17trampoline_kernelINS0_14default_configENS1_29reduce_by_key_config_selectorIhlN6thrust23THRUST_200600_302600_NS4plusIlEEEEZZNS1_33reduce_by_key_impl_wrapped_configILNS1_25lookback_scan_determinismE0ES3_S9_PhNS6_17constant_iteratorIiNS6_11use_defaultESE_EENS6_10device_ptrIhEENSG_IlEEPmS8_NS6_8equal_toIhEEEE10hipError_tPvRmT2_T3_mT4_T5_T6_T7_T8_P12ihipStream_tbENKUlT_T0_E_clISt17integral_constantIbLb0EES13_EEDaSY_SZ_EUlSY_E_NS1_11comp_targetILNS1_3genE4ELNS1_11target_archE910ELNS1_3gpuE8ELNS1_3repE0EEENS1_30default_config_static_selectorELNS0_4arch9wavefront6targetE1EEEvT1_
		.amdhsa_group_segment_fixed_size 30720
		.amdhsa_private_segment_fixed_size 0
		.amdhsa_kernarg_size 144
		.amdhsa_user_sgpr_count 6
		.amdhsa_user_sgpr_private_segment_buffer 1
		.amdhsa_user_sgpr_dispatch_ptr 0
		.amdhsa_user_sgpr_queue_ptr 0
		.amdhsa_user_sgpr_kernarg_segment_ptr 1
		.amdhsa_user_sgpr_dispatch_id 0
		.amdhsa_user_sgpr_flat_scratch_init 0
		.amdhsa_user_sgpr_kernarg_preload_length 0
		.amdhsa_user_sgpr_kernarg_preload_offset 0
		.amdhsa_user_sgpr_private_segment_size 0
		.amdhsa_uses_dynamic_stack 0
		.amdhsa_system_sgpr_private_segment_wavefront_offset 0
		.amdhsa_system_sgpr_workgroup_id_x 1
		.amdhsa_system_sgpr_workgroup_id_y 0
		.amdhsa_system_sgpr_workgroup_id_z 0
		.amdhsa_system_sgpr_workgroup_info 0
		.amdhsa_system_vgpr_workitem_id 0
		.amdhsa_next_free_vgpr 133
		.amdhsa_next_free_sgpr 64
		.amdhsa_accum_offset 136
		.amdhsa_reserve_vcc 1
		.amdhsa_reserve_flat_scratch 0
		.amdhsa_float_round_mode_32 0
		.amdhsa_float_round_mode_16_64 0
		.amdhsa_float_denorm_mode_32 3
		.amdhsa_float_denorm_mode_16_64 3
		.amdhsa_dx10_clamp 1
		.amdhsa_ieee_mode 1
		.amdhsa_fp16_overflow 0
		.amdhsa_tg_split 0
		.amdhsa_exception_fp_ieee_invalid_op 0
		.amdhsa_exception_fp_denorm_src 0
		.amdhsa_exception_fp_ieee_div_zero 0
		.amdhsa_exception_fp_ieee_overflow 0
		.amdhsa_exception_fp_ieee_underflow 0
		.amdhsa_exception_fp_ieee_inexact 0
		.amdhsa_exception_int_div_zero 0
	.end_amdhsa_kernel
	.section	.text._ZN7rocprim17ROCPRIM_400000_NS6detail17trampoline_kernelINS0_14default_configENS1_29reduce_by_key_config_selectorIhlN6thrust23THRUST_200600_302600_NS4plusIlEEEEZZNS1_33reduce_by_key_impl_wrapped_configILNS1_25lookback_scan_determinismE0ES3_S9_PhNS6_17constant_iteratorIiNS6_11use_defaultESE_EENS6_10device_ptrIhEENSG_IlEEPmS8_NS6_8equal_toIhEEEE10hipError_tPvRmT2_T3_mT4_T5_T6_T7_T8_P12ihipStream_tbENKUlT_T0_E_clISt17integral_constantIbLb0EES13_EEDaSY_SZ_EUlSY_E_NS1_11comp_targetILNS1_3genE4ELNS1_11target_archE910ELNS1_3gpuE8ELNS1_3repE0EEENS1_30default_config_static_selectorELNS0_4arch9wavefront6targetE1EEEvT1_,"axG",@progbits,_ZN7rocprim17ROCPRIM_400000_NS6detail17trampoline_kernelINS0_14default_configENS1_29reduce_by_key_config_selectorIhlN6thrust23THRUST_200600_302600_NS4plusIlEEEEZZNS1_33reduce_by_key_impl_wrapped_configILNS1_25lookback_scan_determinismE0ES3_S9_PhNS6_17constant_iteratorIiNS6_11use_defaultESE_EENS6_10device_ptrIhEENSG_IlEEPmS8_NS6_8equal_toIhEEEE10hipError_tPvRmT2_T3_mT4_T5_T6_T7_T8_P12ihipStream_tbENKUlT_T0_E_clISt17integral_constantIbLb0EES13_EEDaSY_SZ_EUlSY_E_NS1_11comp_targetILNS1_3genE4ELNS1_11target_archE910ELNS1_3gpuE8ELNS1_3repE0EEENS1_30default_config_static_selectorELNS0_4arch9wavefront6targetE1EEEvT1_,comdat
.Lfunc_end366:
	.size	_ZN7rocprim17ROCPRIM_400000_NS6detail17trampoline_kernelINS0_14default_configENS1_29reduce_by_key_config_selectorIhlN6thrust23THRUST_200600_302600_NS4plusIlEEEEZZNS1_33reduce_by_key_impl_wrapped_configILNS1_25lookback_scan_determinismE0ES3_S9_PhNS6_17constant_iteratorIiNS6_11use_defaultESE_EENS6_10device_ptrIhEENSG_IlEEPmS8_NS6_8equal_toIhEEEE10hipError_tPvRmT2_T3_mT4_T5_T6_T7_T8_P12ihipStream_tbENKUlT_T0_E_clISt17integral_constantIbLb0EES13_EEDaSY_SZ_EUlSY_E_NS1_11comp_targetILNS1_3genE4ELNS1_11target_archE910ELNS1_3gpuE8ELNS1_3repE0EEENS1_30default_config_static_selectorELNS0_4arch9wavefront6targetE1EEEvT1_, .Lfunc_end366-_ZN7rocprim17ROCPRIM_400000_NS6detail17trampoline_kernelINS0_14default_configENS1_29reduce_by_key_config_selectorIhlN6thrust23THRUST_200600_302600_NS4plusIlEEEEZZNS1_33reduce_by_key_impl_wrapped_configILNS1_25lookback_scan_determinismE0ES3_S9_PhNS6_17constant_iteratorIiNS6_11use_defaultESE_EENS6_10device_ptrIhEENSG_IlEEPmS8_NS6_8equal_toIhEEEE10hipError_tPvRmT2_T3_mT4_T5_T6_T7_T8_P12ihipStream_tbENKUlT_T0_E_clISt17integral_constantIbLb0EES13_EEDaSY_SZ_EUlSY_E_NS1_11comp_targetILNS1_3genE4ELNS1_11target_archE910ELNS1_3gpuE8ELNS1_3repE0EEENS1_30default_config_static_selectorELNS0_4arch9wavefront6targetE1EEEvT1_
                                        ; -- End function
	.section	.AMDGPU.csdata,"",@progbits
; Kernel info:
; codeLenInByte = 16484
; NumSgprs: 68
; NumVgprs: 133
; NumAgprs: 0
; TotalNumVgprs: 133
; ScratchSize: 0
; MemoryBound: 0
; FloatMode: 240
; IeeeMode: 1
; LDSByteSize: 30720 bytes/workgroup (compile time only)
; SGPRBlocks: 8
; VGPRBlocks: 16
; NumSGPRsForWavesPerEU: 68
; NumVGPRsForWavesPerEU: 133
; AccumOffset: 136
; Occupancy: 2
; WaveLimiterHint : 1
; COMPUTE_PGM_RSRC2:SCRATCH_EN: 0
; COMPUTE_PGM_RSRC2:USER_SGPR: 6
; COMPUTE_PGM_RSRC2:TRAP_HANDLER: 0
; COMPUTE_PGM_RSRC2:TGID_X_EN: 1
; COMPUTE_PGM_RSRC2:TGID_Y_EN: 0
; COMPUTE_PGM_RSRC2:TGID_Z_EN: 0
; COMPUTE_PGM_RSRC2:TIDIG_COMP_CNT: 0
; COMPUTE_PGM_RSRC3_GFX90A:ACCUM_OFFSET: 33
; COMPUTE_PGM_RSRC3_GFX90A:TG_SPLIT: 0
	.section	.text._ZN7rocprim17ROCPRIM_400000_NS6detail17trampoline_kernelINS0_14default_configENS1_29reduce_by_key_config_selectorIhlN6thrust23THRUST_200600_302600_NS4plusIlEEEEZZNS1_33reduce_by_key_impl_wrapped_configILNS1_25lookback_scan_determinismE0ES3_S9_PhNS6_17constant_iteratorIiNS6_11use_defaultESE_EENS6_10device_ptrIhEENSG_IlEEPmS8_NS6_8equal_toIhEEEE10hipError_tPvRmT2_T3_mT4_T5_T6_T7_T8_P12ihipStream_tbENKUlT_T0_E_clISt17integral_constantIbLb0EES13_EEDaSY_SZ_EUlSY_E_NS1_11comp_targetILNS1_3genE3ELNS1_11target_archE908ELNS1_3gpuE7ELNS1_3repE0EEENS1_30default_config_static_selectorELNS0_4arch9wavefront6targetE1EEEvT1_,"axG",@progbits,_ZN7rocprim17ROCPRIM_400000_NS6detail17trampoline_kernelINS0_14default_configENS1_29reduce_by_key_config_selectorIhlN6thrust23THRUST_200600_302600_NS4plusIlEEEEZZNS1_33reduce_by_key_impl_wrapped_configILNS1_25lookback_scan_determinismE0ES3_S9_PhNS6_17constant_iteratorIiNS6_11use_defaultESE_EENS6_10device_ptrIhEENSG_IlEEPmS8_NS6_8equal_toIhEEEE10hipError_tPvRmT2_T3_mT4_T5_T6_T7_T8_P12ihipStream_tbENKUlT_T0_E_clISt17integral_constantIbLb0EES13_EEDaSY_SZ_EUlSY_E_NS1_11comp_targetILNS1_3genE3ELNS1_11target_archE908ELNS1_3gpuE7ELNS1_3repE0EEENS1_30default_config_static_selectorELNS0_4arch9wavefront6targetE1EEEvT1_,comdat
	.protected	_ZN7rocprim17ROCPRIM_400000_NS6detail17trampoline_kernelINS0_14default_configENS1_29reduce_by_key_config_selectorIhlN6thrust23THRUST_200600_302600_NS4plusIlEEEEZZNS1_33reduce_by_key_impl_wrapped_configILNS1_25lookback_scan_determinismE0ES3_S9_PhNS6_17constant_iteratorIiNS6_11use_defaultESE_EENS6_10device_ptrIhEENSG_IlEEPmS8_NS6_8equal_toIhEEEE10hipError_tPvRmT2_T3_mT4_T5_T6_T7_T8_P12ihipStream_tbENKUlT_T0_E_clISt17integral_constantIbLb0EES13_EEDaSY_SZ_EUlSY_E_NS1_11comp_targetILNS1_3genE3ELNS1_11target_archE908ELNS1_3gpuE7ELNS1_3repE0EEENS1_30default_config_static_selectorELNS0_4arch9wavefront6targetE1EEEvT1_ ; -- Begin function _ZN7rocprim17ROCPRIM_400000_NS6detail17trampoline_kernelINS0_14default_configENS1_29reduce_by_key_config_selectorIhlN6thrust23THRUST_200600_302600_NS4plusIlEEEEZZNS1_33reduce_by_key_impl_wrapped_configILNS1_25lookback_scan_determinismE0ES3_S9_PhNS6_17constant_iteratorIiNS6_11use_defaultESE_EENS6_10device_ptrIhEENSG_IlEEPmS8_NS6_8equal_toIhEEEE10hipError_tPvRmT2_T3_mT4_T5_T6_T7_T8_P12ihipStream_tbENKUlT_T0_E_clISt17integral_constantIbLb0EES13_EEDaSY_SZ_EUlSY_E_NS1_11comp_targetILNS1_3genE3ELNS1_11target_archE908ELNS1_3gpuE7ELNS1_3repE0EEENS1_30default_config_static_selectorELNS0_4arch9wavefront6targetE1EEEvT1_
	.globl	_ZN7rocprim17ROCPRIM_400000_NS6detail17trampoline_kernelINS0_14default_configENS1_29reduce_by_key_config_selectorIhlN6thrust23THRUST_200600_302600_NS4plusIlEEEEZZNS1_33reduce_by_key_impl_wrapped_configILNS1_25lookback_scan_determinismE0ES3_S9_PhNS6_17constant_iteratorIiNS6_11use_defaultESE_EENS6_10device_ptrIhEENSG_IlEEPmS8_NS6_8equal_toIhEEEE10hipError_tPvRmT2_T3_mT4_T5_T6_T7_T8_P12ihipStream_tbENKUlT_T0_E_clISt17integral_constantIbLb0EES13_EEDaSY_SZ_EUlSY_E_NS1_11comp_targetILNS1_3genE3ELNS1_11target_archE908ELNS1_3gpuE7ELNS1_3repE0EEENS1_30default_config_static_selectorELNS0_4arch9wavefront6targetE1EEEvT1_
	.p2align	8
	.type	_ZN7rocprim17ROCPRIM_400000_NS6detail17trampoline_kernelINS0_14default_configENS1_29reduce_by_key_config_selectorIhlN6thrust23THRUST_200600_302600_NS4plusIlEEEEZZNS1_33reduce_by_key_impl_wrapped_configILNS1_25lookback_scan_determinismE0ES3_S9_PhNS6_17constant_iteratorIiNS6_11use_defaultESE_EENS6_10device_ptrIhEENSG_IlEEPmS8_NS6_8equal_toIhEEEE10hipError_tPvRmT2_T3_mT4_T5_T6_T7_T8_P12ihipStream_tbENKUlT_T0_E_clISt17integral_constantIbLb0EES13_EEDaSY_SZ_EUlSY_E_NS1_11comp_targetILNS1_3genE3ELNS1_11target_archE908ELNS1_3gpuE7ELNS1_3repE0EEENS1_30default_config_static_selectorELNS0_4arch9wavefront6targetE1EEEvT1_,@function
_ZN7rocprim17ROCPRIM_400000_NS6detail17trampoline_kernelINS0_14default_configENS1_29reduce_by_key_config_selectorIhlN6thrust23THRUST_200600_302600_NS4plusIlEEEEZZNS1_33reduce_by_key_impl_wrapped_configILNS1_25lookback_scan_determinismE0ES3_S9_PhNS6_17constant_iteratorIiNS6_11use_defaultESE_EENS6_10device_ptrIhEENSG_IlEEPmS8_NS6_8equal_toIhEEEE10hipError_tPvRmT2_T3_mT4_T5_T6_T7_T8_P12ihipStream_tbENKUlT_T0_E_clISt17integral_constantIbLb0EES13_EEDaSY_SZ_EUlSY_E_NS1_11comp_targetILNS1_3genE3ELNS1_11target_archE908ELNS1_3gpuE7ELNS1_3repE0EEENS1_30default_config_static_selectorELNS0_4arch9wavefront6targetE1EEEvT1_: ; @_ZN7rocprim17ROCPRIM_400000_NS6detail17trampoline_kernelINS0_14default_configENS1_29reduce_by_key_config_selectorIhlN6thrust23THRUST_200600_302600_NS4plusIlEEEEZZNS1_33reduce_by_key_impl_wrapped_configILNS1_25lookback_scan_determinismE0ES3_S9_PhNS6_17constant_iteratorIiNS6_11use_defaultESE_EENS6_10device_ptrIhEENSG_IlEEPmS8_NS6_8equal_toIhEEEE10hipError_tPvRmT2_T3_mT4_T5_T6_T7_T8_P12ihipStream_tbENKUlT_T0_E_clISt17integral_constantIbLb0EES13_EEDaSY_SZ_EUlSY_E_NS1_11comp_targetILNS1_3genE3ELNS1_11target_archE908ELNS1_3gpuE7ELNS1_3repE0EEENS1_30default_config_static_selectorELNS0_4arch9wavefront6targetE1EEEvT1_
; %bb.0:
	.section	.rodata,"a",@progbits
	.p2align	6, 0x0
	.amdhsa_kernel _ZN7rocprim17ROCPRIM_400000_NS6detail17trampoline_kernelINS0_14default_configENS1_29reduce_by_key_config_selectorIhlN6thrust23THRUST_200600_302600_NS4plusIlEEEEZZNS1_33reduce_by_key_impl_wrapped_configILNS1_25lookback_scan_determinismE0ES3_S9_PhNS6_17constant_iteratorIiNS6_11use_defaultESE_EENS6_10device_ptrIhEENSG_IlEEPmS8_NS6_8equal_toIhEEEE10hipError_tPvRmT2_T3_mT4_T5_T6_T7_T8_P12ihipStream_tbENKUlT_T0_E_clISt17integral_constantIbLb0EES13_EEDaSY_SZ_EUlSY_E_NS1_11comp_targetILNS1_3genE3ELNS1_11target_archE908ELNS1_3gpuE7ELNS1_3repE0EEENS1_30default_config_static_selectorELNS0_4arch9wavefront6targetE1EEEvT1_
		.amdhsa_group_segment_fixed_size 0
		.amdhsa_private_segment_fixed_size 0
		.amdhsa_kernarg_size 144
		.amdhsa_user_sgpr_count 6
		.amdhsa_user_sgpr_private_segment_buffer 1
		.amdhsa_user_sgpr_dispatch_ptr 0
		.amdhsa_user_sgpr_queue_ptr 0
		.amdhsa_user_sgpr_kernarg_segment_ptr 1
		.amdhsa_user_sgpr_dispatch_id 0
		.amdhsa_user_sgpr_flat_scratch_init 0
		.amdhsa_user_sgpr_kernarg_preload_length 0
		.amdhsa_user_sgpr_kernarg_preload_offset 0
		.amdhsa_user_sgpr_private_segment_size 0
		.amdhsa_uses_dynamic_stack 0
		.amdhsa_system_sgpr_private_segment_wavefront_offset 0
		.amdhsa_system_sgpr_workgroup_id_x 1
		.amdhsa_system_sgpr_workgroup_id_y 0
		.amdhsa_system_sgpr_workgroup_id_z 0
		.amdhsa_system_sgpr_workgroup_info 0
		.amdhsa_system_vgpr_workitem_id 0
		.amdhsa_next_free_vgpr 1
		.amdhsa_next_free_sgpr 0
		.amdhsa_accum_offset 4
		.amdhsa_reserve_vcc 0
		.amdhsa_reserve_flat_scratch 0
		.amdhsa_float_round_mode_32 0
		.amdhsa_float_round_mode_16_64 0
		.amdhsa_float_denorm_mode_32 3
		.amdhsa_float_denorm_mode_16_64 3
		.amdhsa_dx10_clamp 1
		.amdhsa_ieee_mode 1
		.amdhsa_fp16_overflow 0
		.amdhsa_tg_split 0
		.amdhsa_exception_fp_ieee_invalid_op 0
		.amdhsa_exception_fp_denorm_src 0
		.amdhsa_exception_fp_ieee_div_zero 0
		.amdhsa_exception_fp_ieee_overflow 0
		.amdhsa_exception_fp_ieee_underflow 0
		.amdhsa_exception_fp_ieee_inexact 0
		.amdhsa_exception_int_div_zero 0
	.end_amdhsa_kernel
	.section	.text._ZN7rocprim17ROCPRIM_400000_NS6detail17trampoline_kernelINS0_14default_configENS1_29reduce_by_key_config_selectorIhlN6thrust23THRUST_200600_302600_NS4plusIlEEEEZZNS1_33reduce_by_key_impl_wrapped_configILNS1_25lookback_scan_determinismE0ES3_S9_PhNS6_17constant_iteratorIiNS6_11use_defaultESE_EENS6_10device_ptrIhEENSG_IlEEPmS8_NS6_8equal_toIhEEEE10hipError_tPvRmT2_T3_mT4_T5_T6_T7_T8_P12ihipStream_tbENKUlT_T0_E_clISt17integral_constantIbLb0EES13_EEDaSY_SZ_EUlSY_E_NS1_11comp_targetILNS1_3genE3ELNS1_11target_archE908ELNS1_3gpuE7ELNS1_3repE0EEENS1_30default_config_static_selectorELNS0_4arch9wavefront6targetE1EEEvT1_,"axG",@progbits,_ZN7rocprim17ROCPRIM_400000_NS6detail17trampoline_kernelINS0_14default_configENS1_29reduce_by_key_config_selectorIhlN6thrust23THRUST_200600_302600_NS4plusIlEEEEZZNS1_33reduce_by_key_impl_wrapped_configILNS1_25lookback_scan_determinismE0ES3_S9_PhNS6_17constant_iteratorIiNS6_11use_defaultESE_EENS6_10device_ptrIhEENSG_IlEEPmS8_NS6_8equal_toIhEEEE10hipError_tPvRmT2_T3_mT4_T5_T6_T7_T8_P12ihipStream_tbENKUlT_T0_E_clISt17integral_constantIbLb0EES13_EEDaSY_SZ_EUlSY_E_NS1_11comp_targetILNS1_3genE3ELNS1_11target_archE908ELNS1_3gpuE7ELNS1_3repE0EEENS1_30default_config_static_selectorELNS0_4arch9wavefront6targetE1EEEvT1_,comdat
.Lfunc_end367:
	.size	_ZN7rocprim17ROCPRIM_400000_NS6detail17trampoline_kernelINS0_14default_configENS1_29reduce_by_key_config_selectorIhlN6thrust23THRUST_200600_302600_NS4plusIlEEEEZZNS1_33reduce_by_key_impl_wrapped_configILNS1_25lookback_scan_determinismE0ES3_S9_PhNS6_17constant_iteratorIiNS6_11use_defaultESE_EENS6_10device_ptrIhEENSG_IlEEPmS8_NS6_8equal_toIhEEEE10hipError_tPvRmT2_T3_mT4_T5_T6_T7_T8_P12ihipStream_tbENKUlT_T0_E_clISt17integral_constantIbLb0EES13_EEDaSY_SZ_EUlSY_E_NS1_11comp_targetILNS1_3genE3ELNS1_11target_archE908ELNS1_3gpuE7ELNS1_3repE0EEENS1_30default_config_static_selectorELNS0_4arch9wavefront6targetE1EEEvT1_, .Lfunc_end367-_ZN7rocprim17ROCPRIM_400000_NS6detail17trampoline_kernelINS0_14default_configENS1_29reduce_by_key_config_selectorIhlN6thrust23THRUST_200600_302600_NS4plusIlEEEEZZNS1_33reduce_by_key_impl_wrapped_configILNS1_25lookback_scan_determinismE0ES3_S9_PhNS6_17constant_iteratorIiNS6_11use_defaultESE_EENS6_10device_ptrIhEENSG_IlEEPmS8_NS6_8equal_toIhEEEE10hipError_tPvRmT2_T3_mT4_T5_T6_T7_T8_P12ihipStream_tbENKUlT_T0_E_clISt17integral_constantIbLb0EES13_EEDaSY_SZ_EUlSY_E_NS1_11comp_targetILNS1_3genE3ELNS1_11target_archE908ELNS1_3gpuE7ELNS1_3repE0EEENS1_30default_config_static_selectorELNS0_4arch9wavefront6targetE1EEEvT1_
                                        ; -- End function
	.section	.AMDGPU.csdata,"",@progbits
; Kernel info:
; codeLenInByte = 0
; NumSgprs: 4
; NumVgprs: 0
; NumAgprs: 0
; TotalNumVgprs: 0
; ScratchSize: 0
; MemoryBound: 0
; FloatMode: 240
; IeeeMode: 1
; LDSByteSize: 0 bytes/workgroup (compile time only)
; SGPRBlocks: 0
; VGPRBlocks: 0
; NumSGPRsForWavesPerEU: 4
; NumVGPRsForWavesPerEU: 1
; AccumOffset: 4
; Occupancy: 8
; WaveLimiterHint : 0
; COMPUTE_PGM_RSRC2:SCRATCH_EN: 0
; COMPUTE_PGM_RSRC2:USER_SGPR: 6
; COMPUTE_PGM_RSRC2:TRAP_HANDLER: 0
; COMPUTE_PGM_RSRC2:TGID_X_EN: 1
; COMPUTE_PGM_RSRC2:TGID_Y_EN: 0
; COMPUTE_PGM_RSRC2:TGID_Z_EN: 0
; COMPUTE_PGM_RSRC2:TIDIG_COMP_CNT: 0
; COMPUTE_PGM_RSRC3_GFX90A:ACCUM_OFFSET: 0
; COMPUTE_PGM_RSRC3_GFX90A:TG_SPLIT: 0
	.section	.text._ZN7rocprim17ROCPRIM_400000_NS6detail17trampoline_kernelINS0_14default_configENS1_29reduce_by_key_config_selectorIhlN6thrust23THRUST_200600_302600_NS4plusIlEEEEZZNS1_33reduce_by_key_impl_wrapped_configILNS1_25lookback_scan_determinismE0ES3_S9_PhNS6_17constant_iteratorIiNS6_11use_defaultESE_EENS6_10device_ptrIhEENSG_IlEEPmS8_NS6_8equal_toIhEEEE10hipError_tPvRmT2_T3_mT4_T5_T6_T7_T8_P12ihipStream_tbENKUlT_T0_E_clISt17integral_constantIbLb0EES13_EEDaSY_SZ_EUlSY_E_NS1_11comp_targetILNS1_3genE2ELNS1_11target_archE906ELNS1_3gpuE6ELNS1_3repE0EEENS1_30default_config_static_selectorELNS0_4arch9wavefront6targetE1EEEvT1_,"axG",@progbits,_ZN7rocprim17ROCPRIM_400000_NS6detail17trampoline_kernelINS0_14default_configENS1_29reduce_by_key_config_selectorIhlN6thrust23THRUST_200600_302600_NS4plusIlEEEEZZNS1_33reduce_by_key_impl_wrapped_configILNS1_25lookback_scan_determinismE0ES3_S9_PhNS6_17constant_iteratorIiNS6_11use_defaultESE_EENS6_10device_ptrIhEENSG_IlEEPmS8_NS6_8equal_toIhEEEE10hipError_tPvRmT2_T3_mT4_T5_T6_T7_T8_P12ihipStream_tbENKUlT_T0_E_clISt17integral_constantIbLb0EES13_EEDaSY_SZ_EUlSY_E_NS1_11comp_targetILNS1_3genE2ELNS1_11target_archE906ELNS1_3gpuE6ELNS1_3repE0EEENS1_30default_config_static_selectorELNS0_4arch9wavefront6targetE1EEEvT1_,comdat
	.protected	_ZN7rocprim17ROCPRIM_400000_NS6detail17trampoline_kernelINS0_14default_configENS1_29reduce_by_key_config_selectorIhlN6thrust23THRUST_200600_302600_NS4plusIlEEEEZZNS1_33reduce_by_key_impl_wrapped_configILNS1_25lookback_scan_determinismE0ES3_S9_PhNS6_17constant_iteratorIiNS6_11use_defaultESE_EENS6_10device_ptrIhEENSG_IlEEPmS8_NS6_8equal_toIhEEEE10hipError_tPvRmT2_T3_mT4_T5_T6_T7_T8_P12ihipStream_tbENKUlT_T0_E_clISt17integral_constantIbLb0EES13_EEDaSY_SZ_EUlSY_E_NS1_11comp_targetILNS1_3genE2ELNS1_11target_archE906ELNS1_3gpuE6ELNS1_3repE0EEENS1_30default_config_static_selectorELNS0_4arch9wavefront6targetE1EEEvT1_ ; -- Begin function _ZN7rocprim17ROCPRIM_400000_NS6detail17trampoline_kernelINS0_14default_configENS1_29reduce_by_key_config_selectorIhlN6thrust23THRUST_200600_302600_NS4plusIlEEEEZZNS1_33reduce_by_key_impl_wrapped_configILNS1_25lookback_scan_determinismE0ES3_S9_PhNS6_17constant_iteratorIiNS6_11use_defaultESE_EENS6_10device_ptrIhEENSG_IlEEPmS8_NS6_8equal_toIhEEEE10hipError_tPvRmT2_T3_mT4_T5_T6_T7_T8_P12ihipStream_tbENKUlT_T0_E_clISt17integral_constantIbLb0EES13_EEDaSY_SZ_EUlSY_E_NS1_11comp_targetILNS1_3genE2ELNS1_11target_archE906ELNS1_3gpuE6ELNS1_3repE0EEENS1_30default_config_static_selectorELNS0_4arch9wavefront6targetE1EEEvT1_
	.globl	_ZN7rocprim17ROCPRIM_400000_NS6detail17trampoline_kernelINS0_14default_configENS1_29reduce_by_key_config_selectorIhlN6thrust23THRUST_200600_302600_NS4plusIlEEEEZZNS1_33reduce_by_key_impl_wrapped_configILNS1_25lookback_scan_determinismE0ES3_S9_PhNS6_17constant_iteratorIiNS6_11use_defaultESE_EENS6_10device_ptrIhEENSG_IlEEPmS8_NS6_8equal_toIhEEEE10hipError_tPvRmT2_T3_mT4_T5_T6_T7_T8_P12ihipStream_tbENKUlT_T0_E_clISt17integral_constantIbLb0EES13_EEDaSY_SZ_EUlSY_E_NS1_11comp_targetILNS1_3genE2ELNS1_11target_archE906ELNS1_3gpuE6ELNS1_3repE0EEENS1_30default_config_static_selectorELNS0_4arch9wavefront6targetE1EEEvT1_
	.p2align	8
	.type	_ZN7rocprim17ROCPRIM_400000_NS6detail17trampoline_kernelINS0_14default_configENS1_29reduce_by_key_config_selectorIhlN6thrust23THRUST_200600_302600_NS4plusIlEEEEZZNS1_33reduce_by_key_impl_wrapped_configILNS1_25lookback_scan_determinismE0ES3_S9_PhNS6_17constant_iteratorIiNS6_11use_defaultESE_EENS6_10device_ptrIhEENSG_IlEEPmS8_NS6_8equal_toIhEEEE10hipError_tPvRmT2_T3_mT4_T5_T6_T7_T8_P12ihipStream_tbENKUlT_T0_E_clISt17integral_constantIbLb0EES13_EEDaSY_SZ_EUlSY_E_NS1_11comp_targetILNS1_3genE2ELNS1_11target_archE906ELNS1_3gpuE6ELNS1_3repE0EEENS1_30default_config_static_selectorELNS0_4arch9wavefront6targetE1EEEvT1_,@function
_ZN7rocprim17ROCPRIM_400000_NS6detail17trampoline_kernelINS0_14default_configENS1_29reduce_by_key_config_selectorIhlN6thrust23THRUST_200600_302600_NS4plusIlEEEEZZNS1_33reduce_by_key_impl_wrapped_configILNS1_25lookback_scan_determinismE0ES3_S9_PhNS6_17constant_iteratorIiNS6_11use_defaultESE_EENS6_10device_ptrIhEENSG_IlEEPmS8_NS6_8equal_toIhEEEE10hipError_tPvRmT2_T3_mT4_T5_T6_T7_T8_P12ihipStream_tbENKUlT_T0_E_clISt17integral_constantIbLb0EES13_EEDaSY_SZ_EUlSY_E_NS1_11comp_targetILNS1_3genE2ELNS1_11target_archE906ELNS1_3gpuE6ELNS1_3repE0EEENS1_30default_config_static_selectorELNS0_4arch9wavefront6targetE1EEEvT1_: ; @_ZN7rocprim17ROCPRIM_400000_NS6detail17trampoline_kernelINS0_14default_configENS1_29reduce_by_key_config_selectorIhlN6thrust23THRUST_200600_302600_NS4plusIlEEEEZZNS1_33reduce_by_key_impl_wrapped_configILNS1_25lookback_scan_determinismE0ES3_S9_PhNS6_17constant_iteratorIiNS6_11use_defaultESE_EENS6_10device_ptrIhEENSG_IlEEPmS8_NS6_8equal_toIhEEEE10hipError_tPvRmT2_T3_mT4_T5_T6_T7_T8_P12ihipStream_tbENKUlT_T0_E_clISt17integral_constantIbLb0EES13_EEDaSY_SZ_EUlSY_E_NS1_11comp_targetILNS1_3genE2ELNS1_11target_archE906ELNS1_3gpuE6ELNS1_3repE0EEENS1_30default_config_static_selectorELNS0_4arch9wavefront6targetE1EEEvT1_
; %bb.0:
	.section	.rodata,"a",@progbits
	.p2align	6, 0x0
	.amdhsa_kernel _ZN7rocprim17ROCPRIM_400000_NS6detail17trampoline_kernelINS0_14default_configENS1_29reduce_by_key_config_selectorIhlN6thrust23THRUST_200600_302600_NS4plusIlEEEEZZNS1_33reduce_by_key_impl_wrapped_configILNS1_25lookback_scan_determinismE0ES3_S9_PhNS6_17constant_iteratorIiNS6_11use_defaultESE_EENS6_10device_ptrIhEENSG_IlEEPmS8_NS6_8equal_toIhEEEE10hipError_tPvRmT2_T3_mT4_T5_T6_T7_T8_P12ihipStream_tbENKUlT_T0_E_clISt17integral_constantIbLb0EES13_EEDaSY_SZ_EUlSY_E_NS1_11comp_targetILNS1_3genE2ELNS1_11target_archE906ELNS1_3gpuE6ELNS1_3repE0EEENS1_30default_config_static_selectorELNS0_4arch9wavefront6targetE1EEEvT1_
		.amdhsa_group_segment_fixed_size 0
		.amdhsa_private_segment_fixed_size 0
		.amdhsa_kernarg_size 144
		.amdhsa_user_sgpr_count 6
		.amdhsa_user_sgpr_private_segment_buffer 1
		.amdhsa_user_sgpr_dispatch_ptr 0
		.amdhsa_user_sgpr_queue_ptr 0
		.amdhsa_user_sgpr_kernarg_segment_ptr 1
		.amdhsa_user_sgpr_dispatch_id 0
		.amdhsa_user_sgpr_flat_scratch_init 0
		.amdhsa_user_sgpr_kernarg_preload_length 0
		.amdhsa_user_sgpr_kernarg_preload_offset 0
		.amdhsa_user_sgpr_private_segment_size 0
		.amdhsa_uses_dynamic_stack 0
		.amdhsa_system_sgpr_private_segment_wavefront_offset 0
		.amdhsa_system_sgpr_workgroup_id_x 1
		.amdhsa_system_sgpr_workgroup_id_y 0
		.amdhsa_system_sgpr_workgroup_id_z 0
		.amdhsa_system_sgpr_workgroup_info 0
		.amdhsa_system_vgpr_workitem_id 0
		.amdhsa_next_free_vgpr 1
		.amdhsa_next_free_sgpr 0
		.amdhsa_accum_offset 4
		.amdhsa_reserve_vcc 0
		.amdhsa_reserve_flat_scratch 0
		.amdhsa_float_round_mode_32 0
		.amdhsa_float_round_mode_16_64 0
		.amdhsa_float_denorm_mode_32 3
		.amdhsa_float_denorm_mode_16_64 3
		.amdhsa_dx10_clamp 1
		.amdhsa_ieee_mode 1
		.amdhsa_fp16_overflow 0
		.amdhsa_tg_split 0
		.amdhsa_exception_fp_ieee_invalid_op 0
		.amdhsa_exception_fp_denorm_src 0
		.amdhsa_exception_fp_ieee_div_zero 0
		.amdhsa_exception_fp_ieee_overflow 0
		.amdhsa_exception_fp_ieee_underflow 0
		.amdhsa_exception_fp_ieee_inexact 0
		.amdhsa_exception_int_div_zero 0
	.end_amdhsa_kernel
	.section	.text._ZN7rocprim17ROCPRIM_400000_NS6detail17trampoline_kernelINS0_14default_configENS1_29reduce_by_key_config_selectorIhlN6thrust23THRUST_200600_302600_NS4plusIlEEEEZZNS1_33reduce_by_key_impl_wrapped_configILNS1_25lookback_scan_determinismE0ES3_S9_PhNS6_17constant_iteratorIiNS6_11use_defaultESE_EENS6_10device_ptrIhEENSG_IlEEPmS8_NS6_8equal_toIhEEEE10hipError_tPvRmT2_T3_mT4_T5_T6_T7_T8_P12ihipStream_tbENKUlT_T0_E_clISt17integral_constantIbLb0EES13_EEDaSY_SZ_EUlSY_E_NS1_11comp_targetILNS1_3genE2ELNS1_11target_archE906ELNS1_3gpuE6ELNS1_3repE0EEENS1_30default_config_static_selectorELNS0_4arch9wavefront6targetE1EEEvT1_,"axG",@progbits,_ZN7rocprim17ROCPRIM_400000_NS6detail17trampoline_kernelINS0_14default_configENS1_29reduce_by_key_config_selectorIhlN6thrust23THRUST_200600_302600_NS4plusIlEEEEZZNS1_33reduce_by_key_impl_wrapped_configILNS1_25lookback_scan_determinismE0ES3_S9_PhNS6_17constant_iteratorIiNS6_11use_defaultESE_EENS6_10device_ptrIhEENSG_IlEEPmS8_NS6_8equal_toIhEEEE10hipError_tPvRmT2_T3_mT4_T5_T6_T7_T8_P12ihipStream_tbENKUlT_T0_E_clISt17integral_constantIbLb0EES13_EEDaSY_SZ_EUlSY_E_NS1_11comp_targetILNS1_3genE2ELNS1_11target_archE906ELNS1_3gpuE6ELNS1_3repE0EEENS1_30default_config_static_selectorELNS0_4arch9wavefront6targetE1EEEvT1_,comdat
.Lfunc_end368:
	.size	_ZN7rocprim17ROCPRIM_400000_NS6detail17trampoline_kernelINS0_14default_configENS1_29reduce_by_key_config_selectorIhlN6thrust23THRUST_200600_302600_NS4plusIlEEEEZZNS1_33reduce_by_key_impl_wrapped_configILNS1_25lookback_scan_determinismE0ES3_S9_PhNS6_17constant_iteratorIiNS6_11use_defaultESE_EENS6_10device_ptrIhEENSG_IlEEPmS8_NS6_8equal_toIhEEEE10hipError_tPvRmT2_T3_mT4_T5_T6_T7_T8_P12ihipStream_tbENKUlT_T0_E_clISt17integral_constantIbLb0EES13_EEDaSY_SZ_EUlSY_E_NS1_11comp_targetILNS1_3genE2ELNS1_11target_archE906ELNS1_3gpuE6ELNS1_3repE0EEENS1_30default_config_static_selectorELNS0_4arch9wavefront6targetE1EEEvT1_, .Lfunc_end368-_ZN7rocprim17ROCPRIM_400000_NS6detail17trampoline_kernelINS0_14default_configENS1_29reduce_by_key_config_selectorIhlN6thrust23THRUST_200600_302600_NS4plusIlEEEEZZNS1_33reduce_by_key_impl_wrapped_configILNS1_25lookback_scan_determinismE0ES3_S9_PhNS6_17constant_iteratorIiNS6_11use_defaultESE_EENS6_10device_ptrIhEENSG_IlEEPmS8_NS6_8equal_toIhEEEE10hipError_tPvRmT2_T3_mT4_T5_T6_T7_T8_P12ihipStream_tbENKUlT_T0_E_clISt17integral_constantIbLb0EES13_EEDaSY_SZ_EUlSY_E_NS1_11comp_targetILNS1_3genE2ELNS1_11target_archE906ELNS1_3gpuE6ELNS1_3repE0EEENS1_30default_config_static_selectorELNS0_4arch9wavefront6targetE1EEEvT1_
                                        ; -- End function
	.section	.AMDGPU.csdata,"",@progbits
; Kernel info:
; codeLenInByte = 0
; NumSgprs: 4
; NumVgprs: 0
; NumAgprs: 0
; TotalNumVgprs: 0
; ScratchSize: 0
; MemoryBound: 0
; FloatMode: 240
; IeeeMode: 1
; LDSByteSize: 0 bytes/workgroup (compile time only)
; SGPRBlocks: 0
; VGPRBlocks: 0
; NumSGPRsForWavesPerEU: 4
; NumVGPRsForWavesPerEU: 1
; AccumOffset: 4
; Occupancy: 8
; WaveLimiterHint : 0
; COMPUTE_PGM_RSRC2:SCRATCH_EN: 0
; COMPUTE_PGM_RSRC2:USER_SGPR: 6
; COMPUTE_PGM_RSRC2:TRAP_HANDLER: 0
; COMPUTE_PGM_RSRC2:TGID_X_EN: 1
; COMPUTE_PGM_RSRC2:TGID_Y_EN: 0
; COMPUTE_PGM_RSRC2:TGID_Z_EN: 0
; COMPUTE_PGM_RSRC2:TIDIG_COMP_CNT: 0
; COMPUTE_PGM_RSRC3_GFX90A:ACCUM_OFFSET: 0
; COMPUTE_PGM_RSRC3_GFX90A:TG_SPLIT: 0
	.section	.text._ZN7rocprim17ROCPRIM_400000_NS6detail17trampoline_kernelINS0_14default_configENS1_29reduce_by_key_config_selectorIhlN6thrust23THRUST_200600_302600_NS4plusIlEEEEZZNS1_33reduce_by_key_impl_wrapped_configILNS1_25lookback_scan_determinismE0ES3_S9_PhNS6_17constant_iteratorIiNS6_11use_defaultESE_EENS6_10device_ptrIhEENSG_IlEEPmS8_NS6_8equal_toIhEEEE10hipError_tPvRmT2_T3_mT4_T5_T6_T7_T8_P12ihipStream_tbENKUlT_T0_E_clISt17integral_constantIbLb0EES13_EEDaSY_SZ_EUlSY_E_NS1_11comp_targetILNS1_3genE10ELNS1_11target_archE1201ELNS1_3gpuE5ELNS1_3repE0EEENS1_30default_config_static_selectorELNS0_4arch9wavefront6targetE1EEEvT1_,"axG",@progbits,_ZN7rocprim17ROCPRIM_400000_NS6detail17trampoline_kernelINS0_14default_configENS1_29reduce_by_key_config_selectorIhlN6thrust23THRUST_200600_302600_NS4plusIlEEEEZZNS1_33reduce_by_key_impl_wrapped_configILNS1_25lookback_scan_determinismE0ES3_S9_PhNS6_17constant_iteratorIiNS6_11use_defaultESE_EENS6_10device_ptrIhEENSG_IlEEPmS8_NS6_8equal_toIhEEEE10hipError_tPvRmT2_T3_mT4_T5_T6_T7_T8_P12ihipStream_tbENKUlT_T0_E_clISt17integral_constantIbLb0EES13_EEDaSY_SZ_EUlSY_E_NS1_11comp_targetILNS1_3genE10ELNS1_11target_archE1201ELNS1_3gpuE5ELNS1_3repE0EEENS1_30default_config_static_selectorELNS0_4arch9wavefront6targetE1EEEvT1_,comdat
	.protected	_ZN7rocprim17ROCPRIM_400000_NS6detail17trampoline_kernelINS0_14default_configENS1_29reduce_by_key_config_selectorIhlN6thrust23THRUST_200600_302600_NS4plusIlEEEEZZNS1_33reduce_by_key_impl_wrapped_configILNS1_25lookback_scan_determinismE0ES3_S9_PhNS6_17constant_iteratorIiNS6_11use_defaultESE_EENS6_10device_ptrIhEENSG_IlEEPmS8_NS6_8equal_toIhEEEE10hipError_tPvRmT2_T3_mT4_T5_T6_T7_T8_P12ihipStream_tbENKUlT_T0_E_clISt17integral_constantIbLb0EES13_EEDaSY_SZ_EUlSY_E_NS1_11comp_targetILNS1_3genE10ELNS1_11target_archE1201ELNS1_3gpuE5ELNS1_3repE0EEENS1_30default_config_static_selectorELNS0_4arch9wavefront6targetE1EEEvT1_ ; -- Begin function _ZN7rocprim17ROCPRIM_400000_NS6detail17trampoline_kernelINS0_14default_configENS1_29reduce_by_key_config_selectorIhlN6thrust23THRUST_200600_302600_NS4plusIlEEEEZZNS1_33reduce_by_key_impl_wrapped_configILNS1_25lookback_scan_determinismE0ES3_S9_PhNS6_17constant_iteratorIiNS6_11use_defaultESE_EENS6_10device_ptrIhEENSG_IlEEPmS8_NS6_8equal_toIhEEEE10hipError_tPvRmT2_T3_mT4_T5_T6_T7_T8_P12ihipStream_tbENKUlT_T0_E_clISt17integral_constantIbLb0EES13_EEDaSY_SZ_EUlSY_E_NS1_11comp_targetILNS1_3genE10ELNS1_11target_archE1201ELNS1_3gpuE5ELNS1_3repE0EEENS1_30default_config_static_selectorELNS0_4arch9wavefront6targetE1EEEvT1_
	.globl	_ZN7rocprim17ROCPRIM_400000_NS6detail17trampoline_kernelINS0_14default_configENS1_29reduce_by_key_config_selectorIhlN6thrust23THRUST_200600_302600_NS4plusIlEEEEZZNS1_33reduce_by_key_impl_wrapped_configILNS1_25lookback_scan_determinismE0ES3_S9_PhNS6_17constant_iteratorIiNS6_11use_defaultESE_EENS6_10device_ptrIhEENSG_IlEEPmS8_NS6_8equal_toIhEEEE10hipError_tPvRmT2_T3_mT4_T5_T6_T7_T8_P12ihipStream_tbENKUlT_T0_E_clISt17integral_constantIbLb0EES13_EEDaSY_SZ_EUlSY_E_NS1_11comp_targetILNS1_3genE10ELNS1_11target_archE1201ELNS1_3gpuE5ELNS1_3repE0EEENS1_30default_config_static_selectorELNS0_4arch9wavefront6targetE1EEEvT1_
	.p2align	8
	.type	_ZN7rocprim17ROCPRIM_400000_NS6detail17trampoline_kernelINS0_14default_configENS1_29reduce_by_key_config_selectorIhlN6thrust23THRUST_200600_302600_NS4plusIlEEEEZZNS1_33reduce_by_key_impl_wrapped_configILNS1_25lookback_scan_determinismE0ES3_S9_PhNS6_17constant_iteratorIiNS6_11use_defaultESE_EENS6_10device_ptrIhEENSG_IlEEPmS8_NS6_8equal_toIhEEEE10hipError_tPvRmT2_T3_mT4_T5_T6_T7_T8_P12ihipStream_tbENKUlT_T0_E_clISt17integral_constantIbLb0EES13_EEDaSY_SZ_EUlSY_E_NS1_11comp_targetILNS1_3genE10ELNS1_11target_archE1201ELNS1_3gpuE5ELNS1_3repE0EEENS1_30default_config_static_selectorELNS0_4arch9wavefront6targetE1EEEvT1_,@function
_ZN7rocprim17ROCPRIM_400000_NS6detail17trampoline_kernelINS0_14default_configENS1_29reduce_by_key_config_selectorIhlN6thrust23THRUST_200600_302600_NS4plusIlEEEEZZNS1_33reduce_by_key_impl_wrapped_configILNS1_25lookback_scan_determinismE0ES3_S9_PhNS6_17constant_iteratorIiNS6_11use_defaultESE_EENS6_10device_ptrIhEENSG_IlEEPmS8_NS6_8equal_toIhEEEE10hipError_tPvRmT2_T3_mT4_T5_T6_T7_T8_P12ihipStream_tbENKUlT_T0_E_clISt17integral_constantIbLb0EES13_EEDaSY_SZ_EUlSY_E_NS1_11comp_targetILNS1_3genE10ELNS1_11target_archE1201ELNS1_3gpuE5ELNS1_3repE0EEENS1_30default_config_static_selectorELNS0_4arch9wavefront6targetE1EEEvT1_: ; @_ZN7rocprim17ROCPRIM_400000_NS6detail17trampoline_kernelINS0_14default_configENS1_29reduce_by_key_config_selectorIhlN6thrust23THRUST_200600_302600_NS4plusIlEEEEZZNS1_33reduce_by_key_impl_wrapped_configILNS1_25lookback_scan_determinismE0ES3_S9_PhNS6_17constant_iteratorIiNS6_11use_defaultESE_EENS6_10device_ptrIhEENSG_IlEEPmS8_NS6_8equal_toIhEEEE10hipError_tPvRmT2_T3_mT4_T5_T6_T7_T8_P12ihipStream_tbENKUlT_T0_E_clISt17integral_constantIbLb0EES13_EEDaSY_SZ_EUlSY_E_NS1_11comp_targetILNS1_3genE10ELNS1_11target_archE1201ELNS1_3gpuE5ELNS1_3repE0EEENS1_30default_config_static_selectorELNS0_4arch9wavefront6targetE1EEEvT1_
; %bb.0:
	.section	.rodata,"a",@progbits
	.p2align	6, 0x0
	.amdhsa_kernel _ZN7rocprim17ROCPRIM_400000_NS6detail17trampoline_kernelINS0_14default_configENS1_29reduce_by_key_config_selectorIhlN6thrust23THRUST_200600_302600_NS4plusIlEEEEZZNS1_33reduce_by_key_impl_wrapped_configILNS1_25lookback_scan_determinismE0ES3_S9_PhNS6_17constant_iteratorIiNS6_11use_defaultESE_EENS6_10device_ptrIhEENSG_IlEEPmS8_NS6_8equal_toIhEEEE10hipError_tPvRmT2_T3_mT4_T5_T6_T7_T8_P12ihipStream_tbENKUlT_T0_E_clISt17integral_constantIbLb0EES13_EEDaSY_SZ_EUlSY_E_NS1_11comp_targetILNS1_3genE10ELNS1_11target_archE1201ELNS1_3gpuE5ELNS1_3repE0EEENS1_30default_config_static_selectorELNS0_4arch9wavefront6targetE1EEEvT1_
		.amdhsa_group_segment_fixed_size 0
		.amdhsa_private_segment_fixed_size 0
		.amdhsa_kernarg_size 144
		.amdhsa_user_sgpr_count 6
		.amdhsa_user_sgpr_private_segment_buffer 1
		.amdhsa_user_sgpr_dispatch_ptr 0
		.amdhsa_user_sgpr_queue_ptr 0
		.amdhsa_user_sgpr_kernarg_segment_ptr 1
		.amdhsa_user_sgpr_dispatch_id 0
		.amdhsa_user_sgpr_flat_scratch_init 0
		.amdhsa_user_sgpr_kernarg_preload_length 0
		.amdhsa_user_sgpr_kernarg_preload_offset 0
		.amdhsa_user_sgpr_private_segment_size 0
		.amdhsa_uses_dynamic_stack 0
		.amdhsa_system_sgpr_private_segment_wavefront_offset 0
		.amdhsa_system_sgpr_workgroup_id_x 1
		.amdhsa_system_sgpr_workgroup_id_y 0
		.amdhsa_system_sgpr_workgroup_id_z 0
		.amdhsa_system_sgpr_workgroup_info 0
		.amdhsa_system_vgpr_workitem_id 0
		.amdhsa_next_free_vgpr 1
		.amdhsa_next_free_sgpr 0
		.amdhsa_accum_offset 4
		.amdhsa_reserve_vcc 0
		.amdhsa_reserve_flat_scratch 0
		.amdhsa_float_round_mode_32 0
		.amdhsa_float_round_mode_16_64 0
		.amdhsa_float_denorm_mode_32 3
		.amdhsa_float_denorm_mode_16_64 3
		.amdhsa_dx10_clamp 1
		.amdhsa_ieee_mode 1
		.amdhsa_fp16_overflow 0
		.amdhsa_tg_split 0
		.amdhsa_exception_fp_ieee_invalid_op 0
		.amdhsa_exception_fp_denorm_src 0
		.amdhsa_exception_fp_ieee_div_zero 0
		.amdhsa_exception_fp_ieee_overflow 0
		.amdhsa_exception_fp_ieee_underflow 0
		.amdhsa_exception_fp_ieee_inexact 0
		.amdhsa_exception_int_div_zero 0
	.end_amdhsa_kernel
	.section	.text._ZN7rocprim17ROCPRIM_400000_NS6detail17trampoline_kernelINS0_14default_configENS1_29reduce_by_key_config_selectorIhlN6thrust23THRUST_200600_302600_NS4plusIlEEEEZZNS1_33reduce_by_key_impl_wrapped_configILNS1_25lookback_scan_determinismE0ES3_S9_PhNS6_17constant_iteratorIiNS6_11use_defaultESE_EENS6_10device_ptrIhEENSG_IlEEPmS8_NS6_8equal_toIhEEEE10hipError_tPvRmT2_T3_mT4_T5_T6_T7_T8_P12ihipStream_tbENKUlT_T0_E_clISt17integral_constantIbLb0EES13_EEDaSY_SZ_EUlSY_E_NS1_11comp_targetILNS1_3genE10ELNS1_11target_archE1201ELNS1_3gpuE5ELNS1_3repE0EEENS1_30default_config_static_selectorELNS0_4arch9wavefront6targetE1EEEvT1_,"axG",@progbits,_ZN7rocprim17ROCPRIM_400000_NS6detail17trampoline_kernelINS0_14default_configENS1_29reduce_by_key_config_selectorIhlN6thrust23THRUST_200600_302600_NS4plusIlEEEEZZNS1_33reduce_by_key_impl_wrapped_configILNS1_25lookback_scan_determinismE0ES3_S9_PhNS6_17constant_iteratorIiNS6_11use_defaultESE_EENS6_10device_ptrIhEENSG_IlEEPmS8_NS6_8equal_toIhEEEE10hipError_tPvRmT2_T3_mT4_T5_T6_T7_T8_P12ihipStream_tbENKUlT_T0_E_clISt17integral_constantIbLb0EES13_EEDaSY_SZ_EUlSY_E_NS1_11comp_targetILNS1_3genE10ELNS1_11target_archE1201ELNS1_3gpuE5ELNS1_3repE0EEENS1_30default_config_static_selectorELNS0_4arch9wavefront6targetE1EEEvT1_,comdat
.Lfunc_end369:
	.size	_ZN7rocprim17ROCPRIM_400000_NS6detail17trampoline_kernelINS0_14default_configENS1_29reduce_by_key_config_selectorIhlN6thrust23THRUST_200600_302600_NS4plusIlEEEEZZNS1_33reduce_by_key_impl_wrapped_configILNS1_25lookback_scan_determinismE0ES3_S9_PhNS6_17constant_iteratorIiNS6_11use_defaultESE_EENS6_10device_ptrIhEENSG_IlEEPmS8_NS6_8equal_toIhEEEE10hipError_tPvRmT2_T3_mT4_T5_T6_T7_T8_P12ihipStream_tbENKUlT_T0_E_clISt17integral_constantIbLb0EES13_EEDaSY_SZ_EUlSY_E_NS1_11comp_targetILNS1_3genE10ELNS1_11target_archE1201ELNS1_3gpuE5ELNS1_3repE0EEENS1_30default_config_static_selectorELNS0_4arch9wavefront6targetE1EEEvT1_, .Lfunc_end369-_ZN7rocprim17ROCPRIM_400000_NS6detail17trampoline_kernelINS0_14default_configENS1_29reduce_by_key_config_selectorIhlN6thrust23THRUST_200600_302600_NS4plusIlEEEEZZNS1_33reduce_by_key_impl_wrapped_configILNS1_25lookback_scan_determinismE0ES3_S9_PhNS6_17constant_iteratorIiNS6_11use_defaultESE_EENS6_10device_ptrIhEENSG_IlEEPmS8_NS6_8equal_toIhEEEE10hipError_tPvRmT2_T3_mT4_T5_T6_T7_T8_P12ihipStream_tbENKUlT_T0_E_clISt17integral_constantIbLb0EES13_EEDaSY_SZ_EUlSY_E_NS1_11comp_targetILNS1_3genE10ELNS1_11target_archE1201ELNS1_3gpuE5ELNS1_3repE0EEENS1_30default_config_static_selectorELNS0_4arch9wavefront6targetE1EEEvT1_
                                        ; -- End function
	.section	.AMDGPU.csdata,"",@progbits
; Kernel info:
; codeLenInByte = 0
; NumSgprs: 4
; NumVgprs: 0
; NumAgprs: 0
; TotalNumVgprs: 0
; ScratchSize: 0
; MemoryBound: 0
; FloatMode: 240
; IeeeMode: 1
; LDSByteSize: 0 bytes/workgroup (compile time only)
; SGPRBlocks: 0
; VGPRBlocks: 0
; NumSGPRsForWavesPerEU: 4
; NumVGPRsForWavesPerEU: 1
; AccumOffset: 4
; Occupancy: 8
; WaveLimiterHint : 0
; COMPUTE_PGM_RSRC2:SCRATCH_EN: 0
; COMPUTE_PGM_RSRC2:USER_SGPR: 6
; COMPUTE_PGM_RSRC2:TRAP_HANDLER: 0
; COMPUTE_PGM_RSRC2:TGID_X_EN: 1
; COMPUTE_PGM_RSRC2:TGID_Y_EN: 0
; COMPUTE_PGM_RSRC2:TGID_Z_EN: 0
; COMPUTE_PGM_RSRC2:TIDIG_COMP_CNT: 0
; COMPUTE_PGM_RSRC3_GFX90A:ACCUM_OFFSET: 0
; COMPUTE_PGM_RSRC3_GFX90A:TG_SPLIT: 0
	.section	.text._ZN7rocprim17ROCPRIM_400000_NS6detail17trampoline_kernelINS0_14default_configENS1_29reduce_by_key_config_selectorIhlN6thrust23THRUST_200600_302600_NS4plusIlEEEEZZNS1_33reduce_by_key_impl_wrapped_configILNS1_25lookback_scan_determinismE0ES3_S9_PhNS6_17constant_iteratorIiNS6_11use_defaultESE_EENS6_10device_ptrIhEENSG_IlEEPmS8_NS6_8equal_toIhEEEE10hipError_tPvRmT2_T3_mT4_T5_T6_T7_T8_P12ihipStream_tbENKUlT_T0_E_clISt17integral_constantIbLb0EES13_EEDaSY_SZ_EUlSY_E_NS1_11comp_targetILNS1_3genE10ELNS1_11target_archE1200ELNS1_3gpuE4ELNS1_3repE0EEENS1_30default_config_static_selectorELNS0_4arch9wavefront6targetE1EEEvT1_,"axG",@progbits,_ZN7rocprim17ROCPRIM_400000_NS6detail17trampoline_kernelINS0_14default_configENS1_29reduce_by_key_config_selectorIhlN6thrust23THRUST_200600_302600_NS4plusIlEEEEZZNS1_33reduce_by_key_impl_wrapped_configILNS1_25lookback_scan_determinismE0ES3_S9_PhNS6_17constant_iteratorIiNS6_11use_defaultESE_EENS6_10device_ptrIhEENSG_IlEEPmS8_NS6_8equal_toIhEEEE10hipError_tPvRmT2_T3_mT4_T5_T6_T7_T8_P12ihipStream_tbENKUlT_T0_E_clISt17integral_constantIbLb0EES13_EEDaSY_SZ_EUlSY_E_NS1_11comp_targetILNS1_3genE10ELNS1_11target_archE1200ELNS1_3gpuE4ELNS1_3repE0EEENS1_30default_config_static_selectorELNS0_4arch9wavefront6targetE1EEEvT1_,comdat
	.protected	_ZN7rocprim17ROCPRIM_400000_NS6detail17trampoline_kernelINS0_14default_configENS1_29reduce_by_key_config_selectorIhlN6thrust23THRUST_200600_302600_NS4plusIlEEEEZZNS1_33reduce_by_key_impl_wrapped_configILNS1_25lookback_scan_determinismE0ES3_S9_PhNS6_17constant_iteratorIiNS6_11use_defaultESE_EENS6_10device_ptrIhEENSG_IlEEPmS8_NS6_8equal_toIhEEEE10hipError_tPvRmT2_T3_mT4_T5_T6_T7_T8_P12ihipStream_tbENKUlT_T0_E_clISt17integral_constantIbLb0EES13_EEDaSY_SZ_EUlSY_E_NS1_11comp_targetILNS1_3genE10ELNS1_11target_archE1200ELNS1_3gpuE4ELNS1_3repE0EEENS1_30default_config_static_selectorELNS0_4arch9wavefront6targetE1EEEvT1_ ; -- Begin function _ZN7rocprim17ROCPRIM_400000_NS6detail17trampoline_kernelINS0_14default_configENS1_29reduce_by_key_config_selectorIhlN6thrust23THRUST_200600_302600_NS4plusIlEEEEZZNS1_33reduce_by_key_impl_wrapped_configILNS1_25lookback_scan_determinismE0ES3_S9_PhNS6_17constant_iteratorIiNS6_11use_defaultESE_EENS6_10device_ptrIhEENSG_IlEEPmS8_NS6_8equal_toIhEEEE10hipError_tPvRmT2_T3_mT4_T5_T6_T7_T8_P12ihipStream_tbENKUlT_T0_E_clISt17integral_constantIbLb0EES13_EEDaSY_SZ_EUlSY_E_NS1_11comp_targetILNS1_3genE10ELNS1_11target_archE1200ELNS1_3gpuE4ELNS1_3repE0EEENS1_30default_config_static_selectorELNS0_4arch9wavefront6targetE1EEEvT1_
	.globl	_ZN7rocprim17ROCPRIM_400000_NS6detail17trampoline_kernelINS0_14default_configENS1_29reduce_by_key_config_selectorIhlN6thrust23THRUST_200600_302600_NS4plusIlEEEEZZNS1_33reduce_by_key_impl_wrapped_configILNS1_25lookback_scan_determinismE0ES3_S9_PhNS6_17constant_iteratorIiNS6_11use_defaultESE_EENS6_10device_ptrIhEENSG_IlEEPmS8_NS6_8equal_toIhEEEE10hipError_tPvRmT2_T3_mT4_T5_T6_T7_T8_P12ihipStream_tbENKUlT_T0_E_clISt17integral_constantIbLb0EES13_EEDaSY_SZ_EUlSY_E_NS1_11comp_targetILNS1_3genE10ELNS1_11target_archE1200ELNS1_3gpuE4ELNS1_3repE0EEENS1_30default_config_static_selectorELNS0_4arch9wavefront6targetE1EEEvT1_
	.p2align	8
	.type	_ZN7rocprim17ROCPRIM_400000_NS6detail17trampoline_kernelINS0_14default_configENS1_29reduce_by_key_config_selectorIhlN6thrust23THRUST_200600_302600_NS4plusIlEEEEZZNS1_33reduce_by_key_impl_wrapped_configILNS1_25lookback_scan_determinismE0ES3_S9_PhNS6_17constant_iteratorIiNS6_11use_defaultESE_EENS6_10device_ptrIhEENSG_IlEEPmS8_NS6_8equal_toIhEEEE10hipError_tPvRmT2_T3_mT4_T5_T6_T7_T8_P12ihipStream_tbENKUlT_T0_E_clISt17integral_constantIbLb0EES13_EEDaSY_SZ_EUlSY_E_NS1_11comp_targetILNS1_3genE10ELNS1_11target_archE1200ELNS1_3gpuE4ELNS1_3repE0EEENS1_30default_config_static_selectorELNS0_4arch9wavefront6targetE1EEEvT1_,@function
_ZN7rocprim17ROCPRIM_400000_NS6detail17trampoline_kernelINS0_14default_configENS1_29reduce_by_key_config_selectorIhlN6thrust23THRUST_200600_302600_NS4plusIlEEEEZZNS1_33reduce_by_key_impl_wrapped_configILNS1_25lookback_scan_determinismE0ES3_S9_PhNS6_17constant_iteratorIiNS6_11use_defaultESE_EENS6_10device_ptrIhEENSG_IlEEPmS8_NS6_8equal_toIhEEEE10hipError_tPvRmT2_T3_mT4_T5_T6_T7_T8_P12ihipStream_tbENKUlT_T0_E_clISt17integral_constantIbLb0EES13_EEDaSY_SZ_EUlSY_E_NS1_11comp_targetILNS1_3genE10ELNS1_11target_archE1200ELNS1_3gpuE4ELNS1_3repE0EEENS1_30default_config_static_selectorELNS0_4arch9wavefront6targetE1EEEvT1_: ; @_ZN7rocprim17ROCPRIM_400000_NS6detail17trampoline_kernelINS0_14default_configENS1_29reduce_by_key_config_selectorIhlN6thrust23THRUST_200600_302600_NS4plusIlEEEEZZNS1_33reduce_by_key_impl_wrapped_configILNS1_25lookback_scan_determinismE0ES3_S9_PhNS6_17constant_iteratorIiNS6_11use_defaultESE_EENS6_10device_ptrIhEENSG_IlEEPmS8_NS6_8equal_toIhEEEE10hipError_tPvRmT2_T3_mT4_T5_T6_T7_T8_P12ihipStream_tbENKUlT_T0_E_clISt17integral_constantIbLb0EES13_EEDaSY_SZ_EUlSY_E_NS1_11comp_targetILNS1_3genE10ELNS1_11target_archE1200ELNS1_3gpuE4ELNS1_3repE0EEENS1_30default_config_static_selectorELNS0_4arch9wavefront6targetE1EEEvT1_
; %bb.0:
	.section	.rodata,"a",@progbits
	.p2align	6, 0x0
	.amdhsa_kernel _ZN7rocprim17ROCPRIM_400000_NS6detail17trampoline_kernelINS0_14default_configENS1_29reduce_by_key_config_selectorIhlN6thrust23THRUST_200600_302600_NS4plusIlEEEEZZNS1_33reduce_by_key_impl_wrapped_configILNS1_25lookback_scan_determinismE0ES3_S9_PhNS6_17constant_iteratorIiNS6_11use_defaultESE_EENS6_10device_ptrIhEENSG_IlEEPmS8_NS6_8equal_toIhEEEE10hipError_tPvRmT2_T3_mT4_T5_T6_T7_T8_P12ihipStream_tbENKUlT_T0_E_clISt17integral_constantIbLb0EES13_EEDaSY_SZ_EUlSY_E_NS1_11comp_targetILNS1_3genE10ELNS1_11target_archE1200ELNS1_3gpuE4ELNS1_3repE0EEENS1_30default_config_static_selectorELNS0_4arch9wavefront6targetE1EEEvT1_
		.amdhsa_group_segment_fixed_size 0
		.amdhsa_private_segment_fixed_size 0
		.amdhsa_kernarg_size 144
		.amdhsa_user_sgpr_count 6
		.amdhsa_user_sgpr_private_segment_buffer 1
		.amdhsa_user_sgpr_dispatch_ptr 0
		.amdhsa_user_sgpr_queue_ptr 0
		.amdhsa_user_sgpr_kernarg_segment_ptr 1
		.amdhsa_user_sgpr_dispatch_id 0
		.amdhsa_user_sgpr_flat_scratch_init 0
		.amdhsa_user_sgpr_kernarg_preload_length 0
		.amdhsa_user_sgpr_kernarg_preload_offset 0
		.amdhsa_user_sgpr_private_segment_size 0
		.amdhsa_uses_dynamic_stack 0
		.amdhsa_system_sgpr_private_segment_wavefront_offset 0
		.amdhsa_system_sgpr_workgroup_id_x 1
		.amdhsa_system_sgpr_workgroup_id_y 0
		.amdhsa_system_sgpr_workgroup_id_z 0
		.amdhsa_system_sgpr_workgroup_info 0
		.amdhsa_system_vgpr_workitem_id 0
		.amdhsa_next_free_vgpr 1
		.amdhsa_next_free_sgpr 0
		.amdhsa_accum_offset 4
		.amdhsa_reserve_vcc 0
		.amdhsa_reserve_flat_scratch 0
		.amdhsa_float_round_mode_32 0
		.amdhsa_float_round_mode_16_64 0
		.amdhsa_float_denorm_mode_32 3
		.amdhsa_float_denorm_mode_16_64 3
		.amdhsa_dx10_clamp 1
		.amdhsa_ieee_mode 1
		.amdhsa_fp16_overflow 0
		.amdhsa_tg_split 0
		.amdhsa_exception_fp_ieee_invalid_op 0
		.amdhsa_exception_fp_denorm_src 0
		.amdhsa_exception_fp_ieee_div_zero 0
		.amdhsa_exception_fp_ieee_overflow 0
		.amdhsa_exception_fp_ieee_underflow 0
		.amdhsa_exception_fp_ieee_inexact 0
		.amdhsa_exception_int_div_zero 0
	.end_amdhsa_kernel
	.section	.text._ZN7rocprim17ROCPRIM_400000_NS6detail17trampoline_kernelINS0_14default_configENS1_29reduce_by_key_config_selectorIhlN6thrust23THRUST_200600_302600_NS4plusIlEEEEZZNS1_33reduce_by_key_impl_wrapped_configILNS1_25lookback_scan_determinismE0ES3_S9_PhNS6_17constant_iteratorIiNS6_11use_defaultESE_EENS6_10device_ptrIhEENSG_IlEEPmS8_NS6_8equal_toIhEEEE10hipError_tPvRmT2_T3_mT4_T5_T6_T7_T8_P12ihipStream_tbENKUlT_T0_E_clISt17integral_constantIbLb0EES13_EEDaSY_SZ_EUlSY_E_NS1_11comp_targetILNS1_3genE10ELNS1_11target_archE1200ELNS1_3gpuE4ELNS1_3repE0EEENS1_30default_config_static_selectorELNS0_4arch9wavefront6targetE1EEEvT1_,"axG",@progbits,_ZN7rocprim17ROCPRIM_400000_NS6detail17trampoline_kernelINS0_14default_configENS1_29reduce_by_key_config_selectorIhlN6thrust23THRUST_200600_302600_NS4plusIlEEEEZZNS1_33reduce_by_key_impl_wrapped_configILNS1_25lookback_scan_determinismE0ES3_S9_PhNS6_17constant_iteratorIiNS6_11use_defaultESE_EENS6_10device_ptrIhEENSG_IlEEPmS8_NS6_8equal_toIhEEEE10hipError_tPvRmT2_T3_mT4_T5_T6_T7_T8_P12ihipStream_tbENKUlT_T0_E_clISt17integral_constantIbLb0EES13_EEDaSY_SZ_EUlSY_E_NS1_11comp_targetILNS1_3genE10ELNS1_11target_archE1200ELNS1_3gpuE4ELNS1_3repE0EEENS1_30default_config_static_selectorELNS0_4arch9wavefront6targetE1EEEvT1_,comdat
.Lfunc_end370:
	.size	_ZN7rocprim17ROCPRIM_400000_NS6detail17trampoline_kernelINS0_14default_configENS1_29reduce_by_key_config_selectorIhlN6thrust23THRUST_200600_302600_NS4plusIlEEEEZZNS1_33reduce_by_key_impl_wrapped_configILNS1_25lookback_scan_determinismE0ES3_S9_PhNS6_17constant_iteratorIiNS6_11use_defaultESE_EENS6_10device_ptrIhEENSG_IlEEPmS8_NS6_8equal_toIhEEEE10hipError_tPvRmT2_T3_mT4_T5_T6_T7_T8_P12ihipStream_tbENKUlT_T0_E_clISt17integral_constantIbLb0EES13_EEDaSY_SZ_EUlSY_E_NS1_11comp_targetILNS1_3genE10ELNS1_11target_archE1200ELNS1_3gpuE4ELNS1_3repE0EEENS1_30default_config_static_selectorELNS0_4arch9wavefront6targetE1EEEvT1_, .Lfunc_end370-_ZN7rocprim17ROCPRIM_400000_NS6detail17trampoline_kernelINS0_14default_configENS1_29reduce_by_key_config_selectorIhlN6thrust23THRUST_200600_302600_NS4plusIlEEEEZZNS1_33reduce_by_key_impl_wrapped_configILNS1_25lookback_scan_determinismE0ES3_S9_PhNS6_17constant_iteratorIiNS6_11use_defaultESE_EENS6_10device_ptrIhEENSG_IlEEPmS8_NS6_8equal_toIhEEEE10hipError_tPvRmT2_T3_mT4_T5_T6_T7_T8_P12ihipStream_tbENKUlT_T0_E_clISt17integral_constantIbLb0EES13_EEDaSY_SZ_EUlSY_E_NS1_11comp_targetILNS1_3genE10ELNS1_11target_archE1200ELNS1_3gpuE4ELNS1_3repE0EEENS1_30default_config_static_selectorELNS0_4arch9wavefront6targetE1EEEvT1_
                                        ; -- End function
	.section	.AMDGPU.csdata,"",@progbits
; Kernel info:
; codeLenInByte = 0
; NumSgprs: 4
; NumVgprs: 0
; NumAgprs: 0
; TotalNumVgprs: 0
; ScratchSize: 0
; MemoryBound: 0
; FloatMode: 240
; IeeeMode: 1
; LDSByteSize: 0 bytes/workgroup (compile time only)
; SGPRBlocks: 0
; VGPRBlocks: 0
; NumSGPRsForWavesPerEU: 4
; NumVGPRsForWavesPerEU: 1
; AccumOffset: 4
; Occupancy: 8
; WaveLimiterHint : 0
; COMPUTE_PGM_RSRC2:SCRATCH_EN: 0
; COMPUTE_PGM_RSRC2:USER_SGPR: 6
; COMPUTE_PGM_RSRC2:TRAP_HANDLER: 0
; COMPUTE_PGM_RSRC2:TGID_X_EN: 1
; COMPUTE_PGM_RSRC2:TGID_Y_EN: 0
; COMPUTE_PGM_RSRC2:TGID_Z_EN: 0
; COMPUTE_PGM_RSRC2:TIDIG_COMP_CNT: 0
; COMPUTE_PGM_RSRC3_GFX90A:ACCUM_OFFSET: 0
; COMPUTE_PGM_RSRC3_GFX90A:TG_SPLIT: 0
	.section	.text._ZN7rocprim17ROCPRIM_400000_NS6detail17trampoline_kernelINS0_14default_configENS1_29reduce_by_key_config_selectorIhlN6thrust23THRUST_200600_302600_NS4plusIlEEEEZZNS1_33reduce_by_key_impl_wrapped_configILNS1_25lookback_scan_determinismE0ES3_S9_PhNS6_17constant_iteratorIiNS6_11use_defaultESE_EENS6_10device_ptrIhEENSG_IlEEPmS8_NS6_8equal_toIhEEEE10hipError_tPvRmT2_T3_mT4_T5_T6_T7_T8_P12ihipStream_tbENKUlT_T0_E_clISt17integral_constantIbLb0EES13_EEDaSY_SZ_EUlSY_E_NS1_11comp_targetILNS1_3genE9ELNS1_11target_archE1100ELNS1_3gpuE3ELNS1_3repE0EEENS1_30default_config_static_selectorELNS0_4arch9wavefront6targetE1EEEvT1_,"axG",@progbits,_ZN7rocprim17ROCPRIM_400000_NS6detail17trampoline_kernelINS0_14default_configENS1_29reduce_by_key_config_selectorIhlN6thrust23THRUST_200600_302600_NS4plusIlEEEEZZNS1_33reduce_by_key_impl_wrapped_configILNS1_25lookback_scan_determinismE0ES3_S9_PhNS6_17constant_iteratorIiNS6_11use_defaultESE_EENS6_10device_ptrIhEENSG_IlEEPmS8_NS6_8equal_toIhEEEE10hipError_tPvRmT2_T3_mT4_T5_T6_T7_T8_P12ihipStream_tbENKUlT_T0_E_clISt17integral_constantIbLb0EES13_EEDaSY_SZ_EUlSY_E_NS1_11comp_targetILNS1_3genE9ELNS1_11target_archE1100ELNS1_3gpuE3ELNS1_3repE0EEENS1_30default_config_static_selectorELNS0_4arch9wavefront6targetE1EEEvT1_,comdat
	.protected	_ZN7rocprim17ROCPRIM_400000_NS6detail17trampoline_kernelINS0_14default_configENS1_29reduce_by_key_config_selectorIhlN6thrust23THRUST_200600_302600_NS4plusIlEEEEZZNS1_33reduce_by_key_impl_wrapped_configILNS1_25lookback_scan_determinismE0ES3_S9_PhNS6_17constant_iteratorIiNS6_11use_defaultESE_EENS6_10device_ptrIhEENSG_IlEEPmS8_NS6_8equal_toIhEEEE10hipError_tPvRmT2_T3_mT4_T5_T6_T7_T8_P12ihipStream_tbENKUlT_T0_E_clISt17integral_constantIbLb0EES13_EEDaSY_SZ_EUlSY_E_NS1_11comp_targetILNS1_3genE9ELNS1_11target_archE1100ELNS1_3gpuE3ELNS1_3repE0EEENS1_30default_config_static_selectorELNS0_4arch9wavefront6targetE1EEEvT1_ ; -- Begin function _ZN7rocprim17ROCPRIM_400000_NS6detail17trampoline_kernelINS0_14default_configENS1_29reduce_by_key_config_selectorIhlN6thrust23THRUST_200600_302600_NS4plusIlEEEEZZNS1_33reduce_by_key_impl_wrapped_configILNS1_25lookback_scan_determinismE0ES3_S9_PhNS6_17constant_iteratorIiNS6_11use_defaultESE_EENS6_10device_ptrIhEENSG_IlEEPmS8_NS6_8equal_toIhEEEE10hipError_tPvRmT2_T3_mT4_T5_T6_T7_T8_P12ihipStream_tbENKUlT_T0_E_clISt17integral_constantIbLb0EES13_EEDaSY_SZ_EUlSY_E_NS1_11comp_targetILNS1_3genE9ELNS1_11target_archE1100ELNS1_3gpuE3ELNS1_3repE0EEENS1_30default_config_static_selectorELNS0_4arch9wavefront6targetE1EEEvT1_
	.globl	_ZN7rocprim17ROCPRIM_400000_NS6detail17trampoline_kernelINS0_14default_configENS1_29reduce_by_key_config_selectorIhlN6thrust23THRUST_200600_302600_NS4plusIlEEEEZZNS1_33reduce_by_key_impl_wrapped_configILNS1_25lookback_scan_determinismE0ES3_S9_PhNS6_17constant_iteratorIiNS6_11use_defaultESE_EENS6_10device_ptrIhEENSG_IlEEPmS8_NS6_8equal_toIhEEEE10hipError_tPvRmT2_T3_mT4_T5_T6_T7_T8_P12ihipStream_tbENKUlT_T0_E_clISt17integral_constantIbLb0EES13_EEDaSY_SZ_EUlSY_E_NS1_11comp_targetILNS1_3genE9ELNS1_11target_archE1100ELNS1_3gpuE3ELNS1_3repE0EEENS1_30default_config_static_selectorELNS0_4arch9wavefront6targetE1EEEvT1_
	.p2align	8
	.type	_ZN7rocprim17ROCPRIM_400000_NS6detail17trampoline_kernelINS0_14default_configENS1_29reduce_by_key_config_selectorIhlN6thrust23THRUST_200600_302600_NS4plusIlEEEEZZNS1_33reduce_by_key_impl_wrapped_configILNS1_25lookback_scan_determinismE0ES3_S9_PhNS6_17constant_iteratorIiNS6_11use_defaultESE_EENS6_10device_ptrIhEENSG_IlEEPmS8_NS6_8equal_toIhEEEE10hipError_tPvRmT2_T3_mT4_T5_T6_T7_T8_P12ihipStream_tbENKUlT_T0_E_clISt17integral_constantIbLb0EES13_EEDaSY_SZ_EUlSY_E_NS1_11comp_targetILNS1_3genE9ELNS1_11target_archE1100ELNS1_3gpuE3ELNS1_3repE0EEENS1_30default_config_static_selectorELNS0_4arch9wavefront6targetE1EEEvT1_,@function
_ZN7rocprim17ROCPRIM_400000_NS6detail17trampoline_kernelINS0_14default_configENS1_29reduce_by_key_config_selectorIhlN6thrust23THRUST_200600_302600_NS4plusIlEEEEZZNS1_33reduce_by_key_impl_wrapped_configILNS1_25lookback_scan_determinismE0ES3_S9_PhNS6_17constant_iteratorIiNS6_11use_defaultESE_EENS6_10device_ptrIhEENSG_IlEEPmS8_NS6_8equal_toIhEEEE10hipError_tPvRmT2_T3_mT4_T5_T6_T7_T8_P12ihipStream_tbENKUlT_T0_E_clISt17integral_constantIbLb0EES13_EEDaSY_SZ_EUlSY_E_NS1_11comp_targetILNS1_3genE9ELNS1_11target_archE1100ELNS1_3gpuE3ELNS1_3repE0EEENS1_30default_config_static_selectorELNS0_4arch9wavefront6targetE1EEEvT1_: ; @_ZN7rocprim17ROCPRIM_400000_NS6detail17trampoline_kernelINS0_14default_configENS1_29reduce_by_key_config_selectorIhlN6thrust23THRUST_200600_302600_NS4plusIlEEEEZZNS1_33reduce_by_key_impl_wrapped_configILNS1_25lookback_scan_determinismE0ES3_S9_PhNS6_17constant_iteratorIiNS6_11use_defaultESE_EENS6_10device_ptrIhEENSG_IlEEPmS8_NS6_8equal_toIhEEEE10hipError_tPvRmT2_T3_mT4_T5_T6_T7_T8_P12ihipStream_tbENKUlT_T0_E_clISt17integral_constantIbLb0EES13_EEDaSY_SZ_EUlSY_E_NS1_11comp_targetILNS1_3genE9ELNS1_11target_archE1100ELNS1_3gpuE3ELNS1_3repE0EEENS1_30default_config_static_selectorELNS0_4arch9wavefront6targetE1EEEvT1_
; %bb.0:
	.section	.rodata,"a",@progbits
	.p2align	6, 0x0
	.amdhsa_kernel _ZN7rocprim17ROCPRIM_400000_NS6detail17trampoline_kernelINS0_14default_configENS1_29reduce_by_key_config_selectorIhlN6thrust23THRUST_200600_302600_NS4plusIlEEEEZZNS1_33reduce_by_key_impl_wrapped_configILNS1_25lookback_scan_determinismE0ES3_S9_PhNS6_17constant_iteratorIiNS6_11use_defaultESE_EENS6_10device_ptrIhEENSG_IlEEPmS8_NS6_8equal_toIhEEEE10hipError_tPvRmT2_T3_mT4_T5_T6_T7_T8_P12ihipStream_tbENKUlT_T0_E_clISt17integral_constantIbLb0EES13_EEDaSY_SZ_EUlSY_E_NS1_11comp_targetILNS1_3genE9ELNS1_11target_archE1100ELNS1_3gpuE3ELNS1_3repE0EEENS1_30default_config_static_selectorELNS0_4arch9wavefront6targetE1EEEvT1_
		.amdhsa_group_segment_fixed_size 0
		.amdhsa_private_segment_fixed_size 0
		.amdhsa_kernarg_size 144
		.amdhsa_user_sgpr_count 6
		.amdhsa_user_sgpr_private_segment_buffer 1
		.amdhsa_user_sgpr_dispatch_ptr 0
		.amdhsa_user_sgpr_queue_ptr 0
		.amdhsa_user_sgpr_kernarg_segment_ptr 1
		.amdhsa_user_sgpr_dispatch_id 0
		.amdhsa_user_sgpr_flat_scratch_init 0
		.amdhsa_user_sgpr_kernarg_preload_length 0
		.amdhsa_user_sgpr_kernarg_preload_offset 0
		.amdhsa_user_sgpr_private_segment_size 0
		.amdhsa_uses_dynamic_stack 0
		.amdhsa_system_sgpr_private_segment_wavefront_offset 0
		.amdhsa_system_sgpr_workgroup_id_x 1
		.amdhsa_system_sgpr_workgroup_id_y 0
		.amdhsa_system_sgpr_workgroup_id_z 0
		.amdhsa_system_sgpr_workgroup_info 0
		.amdhsa_system_vgpr_workitem_id 0
		.amdhsa_next_free_vgpr 1
		.amdhsa_next_free_sgpr 0
		.amdhsa_accum_offset 4
		.amdhsa_reserve_vcc 0
		.amdhsa_reserve_flat_scratch 0
		.amdhsa_float_round_mode_32 0
		.amdhsa_float_round_mode_16_64 0
		.amdhsa_float_denorm_mode_32 3
		.amdhsa_float_denorm_mode_16_64 3
		.amdhsa_dx10_clamp 1
		.amdhsa_ieee_mode 1
		.amdhsa_fp16_overflow 0
		.amdhsa_tg_split 0
		.amdhsa_exception_fp_ieee_invalid_op 0
		.amdhsa_exception_fp_denorm_src 0
		.amdhsa_exception_fp_ieee_div_zero 0
		.amdhsa_exception_fp_ieee_overflow 0
		.amdhsa_exception_fp_ieee_underflow 0
		.amdhsa_exception_fp_ieee_inexact 0
		.amdhsa_exception_int_div_zero 0
	.end_amdhsa_kernel
	.section	.text._ZN7rocprim17ROCPRIM_400000_NS6detail17trampoline_kernelINS0_14default_configENS1_29reduce_by_key_config_selectorIhlN6thrust23THRUST_200600_302600_NS4plusIlEEEEZZNS1_33reduce_by_key_impl_wrapped_configILNS1_25lookback_scan_determinismE0ES3_S9_PhNS6_17constant_iteratorIiNS6_11use_defaultESE_EENS6_10device_ptrIhEENSG_IlEEPmS8_NS6_8equal_toIhEEEE10hipError_tPvRmT2_T3_mT4_T5_T6_T7_T8_P12ihipStream_tbENKUlT_T0_E_clISt17integral_constantIbLb0EES13_EEDaSY_SZ_EUlSY_E_NS1_11comp_targetILNS1_3genE9ELNS1_11target_archE1100ELNS1_3gpuE3ELNS1_3repE0EEENS1_30default_config_static_selectorELNS0_4arch9wavefront6targetE1EEEvT1_,"axG",@progbits,_ZN7rocprim17ROCPRIM_400000_NS6detail17trampoline_kernelINS0_14default_configENS1_29reduce_by_key_config_selectorIhlN6thrust23THRUST_200600_302600_NS4plusIlEEEEZZNS1_33reduce_by_key_impl_wrapped_configILNS1_25lookback_scan_determinismE0ES3_S9_PhNS6_17constant_iteratorIiNS6_11use_defaultESE_EENS6_10device_ptrIhEENSG_IlEEPmS8_NS6_8equal_toIhEEEE10hipError_tPvRmT2_T3_mT4_T5_T6_T7_T8_P12ihipStream_tbENKUlT_T0_E_clISt17integral_constantIbLb0EES13_EEDaSY_SZ_EUlSY_E_NS1_11comp_targetILNS1_3genE9ELNS1_11target_archE1100ELNS1_3gpuE3ELNS1_3repE0EEENS1_30default_config_static_selectorELNS0_4arch9wavefront6targetE1EEEvT1_,comdat
.Lfunc_end371:
	.size	_ZN7rocprim17ROCPRIM_400000_NS6detail17trampoline_kernelINS0_14default_configENS1_29reduce_by_key_config_selectorIhlN6thrust23THRUST_200600_302600_NS4plusIlEEEEZZNS1_33reduce_by_key_impl_wrapped_configILNS1_25lookback_scan_determinismE0ES3_S9_PhNS6_17constant_iteratorIiNS6_11use_defaultESE_EENS6_10device_ptrIhEENSG_IlEEPmS8_NS6_8equal_toIhEEEE10hipError_tPvRmT2_T3_mT4_T5_T6_T7_T8_P12ihipStream_tbENKUlT_T0_E_clISt17integral_constantIbLb0EES13_EEDaSY_SZ_EUlSY_E_NS1_11comp_targetILNS1_3genE9ELNS1_11target_archE1100ELNS1_3gpuE3ELNS1_3repE0EEENS1_30default_config_static_selectorELNS0_4arch9wavefront6targetE1EEEvT1_, .Lfunc_end371-_ZN7rocprim17ROCPRIM_400000_NS6detail17trampoline_kernelINS0_14default_configENS1_29reduce_by_key_config_selectorIhlN6thrust23THRUST_200600_302600_NS4plusIlEEEEZZNS1_33reduce_by_key_impl_wrapped_configILNS1_25lookback_scan_determinismE0ES3_S9_PhNS6_17constant_iteratorIiNS6_11use_defaultESE_EENS6_10device_ptrIhEENSG_IlEEPmS8_NS6_8equal_toIhEEEE10hipError_tPvRmT2_T3_mT4_T5_T6_T7_T8_P12ihipStream_tbENKUlT_T0_E_clISt17integral_constantIbLb0EES13_EEDaSY_SZ_EUlSY_E_NS1_11comp_targetILNS1_3genE9ELNS1_11target_archE1100ELNS1_3gpuE3ELNS1_3repE0EEENS1_30default_config_static_selectorELNS0_4arch9wavefront6targetE1EEEvT1_
                                        ; -- End function
	.section	.AMDGPU.csdata,"",@progbits
; Kernel info:
; codeLenInByte = 0
; NumSgprs: 4
; NumVgprs: 0
; NumAgprs: 0
; TotalNumVgprs: 0
; ScratchSize: 0
; MemoryBound: 0
; FloatMode: 240
; IeeeMode: 1
; LDSByteSize: 0 bytes/workgroup (compile time only)
; SGPRBlocks: 0
; VGPRBlocks: 0
; NumSGPRsForWavesPerEU: 4
; NumVGPRsForWavesPerEU: 1
; AccumOffset: 4
; Occupancy: 8
; WaveLimiterHint : 0
; COMPUTE_PGM_RSRC2:SCRATCH_EN: 0
; COMPUTE_PGM_RSRC2:USER_SGPR: 6
; COMPUTE_PGM_RSRC2:TRAP_HANDLER: 0
; COMPUTE_PGM_RSRC2:TGID_X_EN: 1
; COMPUTE_PGM_RSRC2:TGID_Y_EN: 0
; COMPUTE_PGM_RSRC2:TGID_Z_EN: 0
; COMPUTE_PGM_RSRC2:TIDIG_COMP_CNT: 0
; COMPUTE_PGM_RSRC3_GFX90A:ACCUM_OFFSET: 0
; COMPUTE_PGM_RSRC3_GFX90A:TG_SPLIT: 0
	.section	.text._ZN7rocprim17ROCPRIM_400000_NS6detail17trampoline_kernelINS0_14default_configENS1_29reduce_by_key_config_selectorIhlN6thrust23THRUST_200600_302600_NS4plusIlEEEEZZNS1_33reduce_by_key_impl_wrapped_configILNS1_25lookback_scan_determinismE0ES3_S9_PhNS6_17constant_iteratorIiNS6_11use_defaultESE_EENS6_10device_ptrIhEENSG_IlEEPmS8_NS6_8equal_toIhEEEE10hipError_tPvRmT2_T3_mT4_T5_T6_T7_T8_P12ihipStream_tbENKUlT_T0_E_clISt17integral_constantIbLb0EES13_EEDaSY_SZ_EUlSY_E_NS1_11comp_targetILNS1_3genE8ELNS1_11target_archE1030ELNS1_3gpuE2ELNS1_3repE0EEENS1_30default_config_static_selectorELNS0_4arch9wavefront6targetE1EEEvT1_,"axG",@progbits,_ZN7rocprim17ROCPRIM_400000_NS6detail17trampoline_kernelINS0_14default_configENS1_29reduce_by_key_config_selectorIhlN6thrust23THRUST_200600_302600_NS4plusIlEEEEZZNS1_33reduce_by_key_impl_wrapped_configILNS1_25lookback_scan_determinismE0ES3_S9_PhNS6_17constant_iteratorIiNS6_11use_defaultESE_EENS6_10device_ptrIhEENSG_IlEEPmS8_NS6_8equal_toIhEEEE10hipError_tPvRmT2_T3_mT4_T5_T6_T7_T8_P12ihipStream_tbENKUlT_T0_E_clISt17integral_constantIbLb0EES13_EEDaSY_SZ_EUlSY_E_NS1_11comp_targetILNS1_3genE8ELNS1_11target_archE1030ELNS1_3gpuE2ELNS1_3repE0EEENS1_30default_config_static_selectorELNS0_4arch9wavefront6targetE1EEEvT1_,comdat
	.protected	_ZN7rocprim17ROCPRIM_400000_NS6detail17trampoline_kernelINS0_14default_configENS1_29reduce_by_key_config_selectorIhlN6thrust23THRUST_200600_302600_NS4plusIlEEEEZZNS1_33reduce_by_key_impl_wrapped_configILNS1_25lookback_scan_determinismE0ES3_S9_PhNS6_17constant_iteratorIiNS6_11use_defaultESE_EENS6_10device_ptrIhEENSG_IlEEPmS8_NS6_8equal_toIhEEEE10hipError_tPvRmT2_T3_mT4_T5_T6_T7_T8_P12ihipStream_tbENKUlT_T0_E_clISt17integral_constantIbLb0EES13_EEDaSY_SZ_EUlSY_E_NS1_11comp_targetILNS1_3genE8ELNS1_11target_archE1030ELNS1_3gpuE2ELNS1_3repE0EEENS1_30default_config_static_selectorELNS0_4arch9wavefront6targetE1EEEvT1_ ; -- Begin function _ZN7rocprim17ROCPRIM_400000_NS6detail17trampoline_kernelINS0_14default_configENS1_29reduce_by_key_config_selectorIhlN6thrust23THRUST_200600_302600_NS4plusIlEEEEZZNS1_33reduce_by_key_impl_wrapped_configILNS1_25lookback_scan_determinismE0ES3_S9_PhNS6_17constant_iteratorIiNS6_11use_defaultESE_EENS6_10device_ptrIhEENSG_IlEEPmS8_NS6_8equal_toIhEEEE10hipError_tPvRmT2_T3_mT4_T5_T6_T7_T8_P12ihipStream_tbENKUlT_T0_E_clISt17integral_constantIbLb0EES13_EEDaSY_SZ_EUlSY_E_NS1_11comp_targetILNS1_3genE8ELNS1_11target_archE1030ELNS1_3gpuE2ELNS1_3repE0EEENS1_30default_config_static_selectorELNS0_4arch9wavefront6targetE1EEEvT1_
	.globl	_ZN7rocprim17ROCPRIM_400000_NS6detail17trampoline_kernelINS0_14default_configENS1_29reduce_by_key_config_selectorIhlN6thrust23THRUST_200600_302600_NS4plusIlEEEEZZNS1_33reduce_by_key_impl_wrapped_configILNS1_25lookback_scan_determinismE0ES3_S9_PhNS6_17constant_iteratorIiNS6_11use_defaultESE_EENS6_10device_ptrIhEENSG_IlEEPmS8_NS6_8equal_toIhEEEE10hipError_tPvRmT2_T3_mT4_T5_T6_T7_T8_P12ihipStream_tbENKUlT_T0_E_clISt17integral_constantIbLb0EES13_EEDaSY_SZ_EUlSY_E_NS1_11comp_targetILNS1_3genE8ELNS1_11target_archE1030ELNS1_3gpuE2ELNS1_3repE0EEENS1_30default_config_static_selectorELNS0_4arch9wavefront6targetE1EEEvT1_
	.p2align	8
	.type	_ZN7rocprim17ROCPRIM_400000_NS6detail17trampoline_kernelINS0_14default_configENS1_29reduce_by_key_config_selectorIhlN6thrust23THRUST_200600_302600_NS4plusIlEEEEZZNS1_33reduce_by_key_impl_wrapped_configILNS1_25lookback_scan_determinismE0ES3_S9_PhNS6_17constant_iteratorIiNS6_11use_defaultESE_EENS6_10device_ptrIhEENSG_IlEEPmS8_NS6_8equal_toIhEEEE10hipError_tPvRmT2_T3_mT4_T5_T6_T7_T8_P12ihipStream_tbENKUlT_T0_E_clISt17integral_constantIbLb0EES13_EEDaSY_SZ_EUlSY_E_NS1_11comp_targetILNS1_3genE8ELNS1_11target_archE1030ELNS1_3gpuE2ELNS1_3repE0EEENS1_30default_config_static_selectorELNS0_4arch9wavefront6targetE1EEEvT1_,@function
_ZN7rocprim17ROCPRIM_400000_NS6detail17trampoline_kernelINS0_14default_configENS1_29reduce_by_key_config_selectorIhlN6thrust23THRUST_200600_302600_NS4plusIlEEEEZZNS1_33reduce_by_key_impl_wrapped_configILNS1_25lookback_scan_determinismE0ES3_S9_PhNS6_17constant_iteratorIiNS6_11use_defaultESE_EENS6_10device_ptrIhEENSG_IlEEPmS8_NS6_8equal_toIhEEEE10hipError_tPvRmT2_T3_mT4_T5_T6_T7_T8_P12ihipStream_tbENKUlT_T0_E_clISt17integral_constantIbLb0EES13_EEDaSY_SZ_EUlSY_E_NS1_11comp_targetILNS1_3genE8ELNS1_11target_archE1030ELNS1_3gpuE2ELNS1_3repE0EEENS1_30default_config_static_selectorELNS0_4arch9wavefront6targetE1EEEvT1_: ; @_ZN7rocprim17ROCPRIM_400000_NS6detail17trampoline_kernelINS0_14default_configENS1_29reduce_by_key_config_selectorIhlN6thrust23THRUST_200600_302600_NS4plusIlEEEEZZNS1_33reduce_by_key_impl_wrapped_configILNS1_25lookback_scan_determinismE0ES3_S9_PhNS6_17constant_iteratorIiNS6_11use_defaultESE_EENS6_10device_ptrIhEENSG_IlEEPmS8_NS6_8equal_toIhEEEE10hipError_tPvRmT2_T3_mT4_T5_T6_T7_T8_P12ihipStream_tbENKUlT_T0_E_clISt17integral_constantIbLb0EES13_EEDaSY_SZ_EUlSY_E_NS1_11comp_targetILNS1_3genE8ELNS1_11target_archE1030ELNS1_3gpuE2ELNS1_3repE0EEENS1_30default_config_static_selectorELNS0_4arch9wavefront6targetE1EEEvT1_
; %bb.0:
	.section	.rodata,"a",@progbits
	.p2align	6, 0x0
	.amdhsa_kernel _ZN7rocprim17ROCPRIM_400000_NS6detail17trampoline_kernelINS0_14default_configENS1_29reduce_by_key_config_selectorIhlN6thrust23THRUST_200600_302600_NS4plusIlEEEEZZNS1_33reduce_by_key_impl_wrapped_configILNS1_25lookback_scan_determinismE0ES3_S9_PhNS6_17constant_iteratorIiNS6_11use_defaultESE_EENS6_10device_ptrIhEENSG_IlEEPmS8_NS6_8equal_toIhEEEE10hipError_tPvRmT2_T3_mT4_T5_T6_T7_T8_P12ihipStream_tbENKUlT_T0_E_clISt17integral_constantIbLb0EES13_EEDaSY_SZ_EUlSY_E_NS1_11comp_targetILNS1_3genE8ELNS1_11target_archE1030ELNS1_3gpuE2ELNS1_3repE0EEENS1_30default_config_static_selectorELNS0_4arch9wavefront6targetE1EEEvT1_
		.amdhsa_group_segment_fixed_size 0
		.amdhsa_private_segment_fixed_size 0
		.amdhsa_kernarg_size 144
		.amdhsa_user_sgpr_count 6
		.amdhsa_user_sgpr_private_segment_buffer 1
		.amdhsa_user_sgpr_dispatch_ptr 0
		.amdhsa_user_sgpr_queue_ptr 0
		.amdhsa_user_sgpr_kernarg_segment_ptr 1
		.amdhsa_user_sgpr_dispatch_id 0
		.amdhsa_user_sgpr_flat_scratch_init 0
		.amdhsa_user_sgpr_kernarg_preload_length 0
		.amdhsa_user_sgpr_kernarg_preload_offset 0
		.amdhsa_user_sgpr_private_segment_size 0
		.amdhsa_uses_dynamic_stack 0
		.amdhsa_system_sgpr_private_segment_wavefront_offset 0
		.amdhsa_system_sgpr_workgroup_id_x 1
		.amdhsa_system_sgpr_workgroup_id_y 0
		.amdhsa_system_sgpr_workgroup_id_z 0
		.amdhsa_system_sgpr_workgroup_info 0
		.amdhsa_system_vgpr_workitem_id 0
		.amdhsa_next_free_vgpr 1
		.amdhsa_next_free_sgpr 0
		.amdhsa_accum_offset 4
		.amdhsa_reserve_vcc 0
		.amdhsa_reserve_flat_scratch 0
		.amdhsa_float_round_mode_32 0
		.amdhsa_float_round_mode_16_64 0
		.amdhsa_float_denorm_mode_32 3
		.amdhsa_float_denorm_mode_16_64 3
		.amdhsa_dx10_clamp 1
		.amdhsa_ieee_mode 1
		.amdhsa_fp16_overflow 0
		.amdhsa_tg_split 0
		.amdhsa_exception_fp_ieee_invalid_op 0
		.amdhsa_exception_fp_denorm_src 0
		.amdhsa_exception_fp_ieee_div_zero 0
		.amdhsa_exception_fp_ieee_overflow 0
		.amdhsa_exception_fp_ieee_underflow 0
		.amdhsa_exception_fp_ieee_inexact 0
		.amdhsa_exception_int_div_zero 0
	.end_amdhsa_kernel
	.section	.text._ZN7rocprim17ROCPRIM_400000_NS6detail17trampoline_kernelINS0_14default_configENS1_29reduce_by_key_config_selectorIhlN6thrust23THRUST_200600_302600_NS4plusIlEEEEZZNS1_33reduce_by_key_impl_wrapped_configILNS1_25lookback_scan_determinismE0ES3_S9_PhNS6_17constant_iteratorIiNS6_11use_defaultESE_EENS6_10device_ptrIhEENSG_IlEEPmS8_NS6_8equal_toIhEEEE10hipError_tPvRmT2_T3_mT4_T5_T6_T7_T8_P12ihipStream_tbENKUlT_T0_E_clISt17integral_constantIbLb0EES13_EEDaSY_SZ_EUlSY_E_NS1_11comp_targetILNS1_3genE8ELNS1_11target_archE1030ELNS1_3gpuE2ELNS1_3repE0EEENS1_30default_config_static_selectorELNS0_4arch9wavefront6targetE1EEEvT1_,"axG",@progbits,_ZN7rocprim17ROCPRIM_400000_NS6detail17trampoline_kernelINS0_14default_configENS1_29reduce_by_key_config_selectorIhlN6thrust23THRUST_200600_302600_NS4plusIlEEEEZZNS1_33reduce_by_key_impl_wrapped_configILNS1_25lookback_scan_determinismE0ES3_S9_PhNS6_17constant_iteratorIiNS6_11use_defaultESE_EENS6_10device_ptrIhEENSG_IlEEPmS8_NS6_8equal_toIhEEEE10hipError_tPvRmT2_T3_mT4_T5_T6_T7_T8_P12ihipStream_tbENKUlT_T0_E_clISt17integral_constantIbLb0EES13_EEDaSY_SZ_EUlSY_E_NS1_11comp_targetILNS1_3genE8ELNS1_11target_archE1030ELNS1_3gpuE2ELNS1_3repE0EEENS1_30default_config_static_selectorELNS0_4arch9wavefront6targetE1EEEvT1_,comdat
.Lfunc_end372:
	.size	_ZN7rocprim17ROCPRIM_400000_NS6detail17trampoline_kernelINS0_14default_configENS1_29reduce_by_key_config_selectorIhlN6thrust23THRUST_200600_302600_NS4plusIlEEEEZZNS1_33reduce_by_key_impl_wrapped_configILNS1_25lookback_scan_determinismE0ES3_S9_PhNS6_17constant_iteratorIiNS6_11use_defaultESE_EENS6_10device_ptrIhEENSG_IlEEPmS8_NS6_8equal_toIhEEEE10hipError_tPvRmT2_T3_mT4_T5_T6_T7_T8_P12ihipStream_tbENKUlT_T0_E_clISt17integral_constantIbLb0EES13_EEDaSY_SZ_EUlSY_E_NS1_11comp_targetILNS1_3genE8ELNS1_11target_archE1030ELNS1_3gpuE2ELNS1_3repE0EEENS1_30default_config_static_selectorELNS0_4arch9wavefront6targetE1EEEvT1_, .Lfunc_end372-_ZN7rocprim17ROCPRIM_400000_NS6detail17trampoline_kernelINS0_14default_configENS1_29reduce_by_key_config_selectorIhlN6thrust23THRUST_200600_302600_NS4plusIlEEEEZZNS1_33reduce_by_key_impl_wrapped_configILNS1_25lookback_scan_determinismE0ES3_S9_PhNS6_17constant_iteratorIiNS6_11use_defaultESE_EENS6_10device_ptrIhEENSG_IlEEPmS8_NS6_8equal_toIhEEEE10hipError_tPvRmT2_T3_mT4_T5_T6_T7_T8_P12ihipStream_tbENKUlT_T0_E_clISt17integral_constantIbLb0EES13_EEDaSY_SZ_EUlSY_E_NS1_11comp_targetILNS1_3genE8ELNS1_11target_archE1030ELNS1_3gpuE2ELNS1_3repE0EEENS1_30default_config_static_selectorELNS0_4arch9wavefront6targetE1EEEvT1_
                                        ; -- End function
	.section	.AMDGPU.csdata,"",@progbits
; Kernel info:
; codeLenInByte = 0
; NumSgprs: 4
; NumVgprs: 0
; NumAgprs: 0
; TotalNumVgprs: 0
; ScratchSize: 0
; MemoryBound: 0
; FloatMode: 240
; IeeeMode: 1
; LDSByteSize: 0 bytes/workgroup (compile time only)
; SGPRBlocks: 0
; VGPRBlocks: 0
; NumSGPRsForWavesPerEU: 4
; NumVGPRsForWavesPerEU: 1
; AccumOffset: 4
; Occupancy: 8
; WaveLimiterHint : 0
; COMPUTE_PGM_RSRC2:SCRATCH_EN: 0
; COMPUTE_PGM_RSRC2:USER_SGPR: 6
; COMPUTE_PGM_RSRC2:TRAP_HANDLER: 0
; COMPUTE_PGM_RSRC2:TGID_X_EN: 1
; COMPUTE_PGM_RSRC2:TGID_Y_EN: 0
; COMPUTE_PGM_RSRC2:TGID_Z_EN: 0
; COMPUTE_PGM_RSRC2:TIDIG_COMP_CNT: 0
; COMPUTE_PGM_RSRC3_GFX90A:ACCUM_OFFSET: 0
; COMPUTE_PGM_RSRC3_GFX90A:TG_SPLIT: 0
	.section	.text._ZN7rocprim17ROCPRIM_400000_NS6detail25reduce_by_key_init_kernelINS1_19lookback_scan_stateINS0_5tupleIJjlEEELb1ELb0EEElNS1_16block_id_wrapperIjLb1EEEEEvT_jbjPmPT0_T1_,"axG",@progbits,_ZN7rocprim17ROCPRIM_400000_NS6detail25reduce_by_key_init_kernelINS1_19lookback_scan_stateINS0_5tupleIJjlEEELb1ELb0EEElNS1_16block_id_wrapperIjLb1EEEEEvT_jbjPmPT0_T1_,comdat
	.protected	_ZN7rocprim17ROCPRIM_400000_NS6detail25reduce_by_key_init_kernelINS1_19lookback_scan_stateINS0_5tupleIJjlEEELb1ELb0EEElNS1_16block_id_wrapperIjLb1EEEEEvT_jbjPmPT0_T1_ ; -- Begin function _ZN7rocprim17ROCPRIM_400000_NS6detail25reduce_by_key_init_kernelINS1_19lookback_scan_stateINS0_5tupleIJjlEEELb1ELb0EEElNS1_16block_id_wrapperIjLb1EEEEEvT_jbjPmPT0_T1_
	.globl	_ZN7rocprim17ROCPRIM_400000_NS6detail25reduce_by_key_init_kernelINS1_19lookback_scan_stateINS0_5tupleIJjlEEELb1ELb0EEElNS1_16block_id_wrapperIjLb1EEEEEvT_jbjPmPT0_T1_
	.p2align	8
	.type	_ZN7rocprim17ROCPRIM_400000_NS6detail25reduce_by_key_init_kernelINS1_19lookback_scan_stateINS0_5tupleIJjlEEELb1ELb0EEElNS1_16block_id_wrapperIjLb1EEEEEvT_jbjPmPT0_T1_,@function
_ZN7rocprim17ROCPRIM_400000_NS6detail25reduce_by_key_init_kernelINS1_19lookback_scan_stateINS0_5tupleIJjlEEELb1ELb0EEElNS1_16block_id_wrapperIjLb1EEEEEvT_jbjPmPT0_T1_: ; @_ZN7rocprim17ROCPRIM_400000_NS6detail25reduce_by_key_init_kernelINS1_19lookback_scan_stateINS0_5tupleIJjlEEELb1ELb0EEElNS1_16block_id_wrapperIjLb1EEEEEvT_jbjPmPT0_T1_
; %bb.0:
	s_load_dwordx8 s[8:15], s[4:5], 0x18
	s_load_dword s0, s[4:5], 0x4c
	s_load_dwordx2 s[18:19], s[4:5], 0x38
	s_load_dwordx2 s[16:17], s[4:5], 0x10
	s_waitcnt lgkmcnt(0)
	s_and_b32 s1, s9, 1
	s_and_b32 s0, s0, 0xffff
	s_mul_i32 s6, s6, s0
	s_cmp_eq_u32 s1, 0
	v_add_u32_e32 v0, s6, v0
	s_mov_b64 s[0:1], -1
	s_cbranch_scc1 .LBB373_6
; %bb.1:
	s_andn2_b64 vcc, exec, s[0:1]
	v_cmp_eq_u32_e64 s[0:1], 0, v0
	s_cbranch_vccz .LBB373_16
.LBB373_2:
	v_cmp_eq_u32_e32 vcc, 0, v0
	s_and_saveexec_b64 s[0:1], vcc
	s_cbranch_execnz .LBB373_19
.LBB373_3:
	s_or_b64 exec, exec, s[0:1]
	v_cmp_gt_u32_e32 vcc, s8, v0
	s_and_saveexec_b64 s[0:1], vcc
	s_cbranch_execnz .LBB373_20
.LBB373_4:
	s_or_b64 exec, exec, s[0:1]
	v_cmp_gt_u32_e32 vcc, 64, v0
	s_and_saveexec_b64 s[0:1], vcc
	s_cbranch_execnz .LBB373_21
.LBB373_5:
	s_endpgm
.LBB373_6:
	s_cmp_lt_u32 s10, s8
	s_cselect_b32 s0, s10, 0
	v_cmp_eq_u32_e32 vcc, s0, v0
	s_and_saveexec_b64 s[6:7], vcc
	s_cbranch_execz .LBB373_15
; %bb.7:
	s_add_i32 s10, s10, 64
	v_mov_b32_e32 v1, s10
	global_load_ubyte v1, v1, s[16:17] glc
	s_load_dwordx4 s[0:3], s[4:5], 0x0
	s_add_u32 s4, s16, s10
	s_mov_b32 s11, 0
	s_addc_u32 s5, s17, 0
	s_waitcnt vmcnt(0)
	v_cmp_ne_u16_e32 vcc, 0, v1
	v_readfirstlane_b32 s9, v1
	s_cbranch_vccz .LBB373_9
; %bb.8:
	s_and_b32 s4, 0xffff, s9
	s_branch .LBB373_14
.LBB373_9:
	s_mov_b32 s9, 1
	v_mov_b32_e32 v1, 0
.LBB373_10:                             ; =>This Loop Header: Depth=1
                                        ;     Child Loop BB373_11 Depth 2
	s_max_u32 s20, s9, 1
.LBB373_11:                             ;   Parent Loop BB373_10 Depth=1
                                        ; =>  This Inner Loop Header: Depth=2
	s_add_i32 s20, s20, -1
	s_cmp_eq_u32 s20, 0
	s_sleep 1
	s_cbranch_scc0 .LBB373_11
; %bb.12:                               ;   in Loop: Header=BB373_10 Depth=1
	global_load_ubyte v2, v1, s[4:5] glc
	s_cmp_lt_u32 s9, 32
	s_cselect_b64 s[20:21], -1, 0
	s_cmp_lg_u64 s[20:21], 0
	s_addc_u32 s9, s9, 0
	s_waitcnt vmcnt(0)
	v_cmp_ne_u16_e32 vcc, 0, v2
	v_readfirstlane_b32 s20, v2
	s_cbranch_vccz .LBB373_10
; %bb.13:
	s_and_b32 s4, 0xffff, s20
.LBB373_14:
	s_cmp_eq_u32 s4, 1
	s_waitcnt lgkmcnt(0)
	s_cselect_b32 s3, s1, s3
	s_cselect_b32 s2, s0, s2
	s_lshl_b64 s[0:1], s[10:11], 4
	v_mov_b32_e32 v1, 0
	s_add_u32 s0, s2, s0
	buffer_wbinvl1_vol
	s_addc_u32 s1, s3, s1
	global_load_dwordx2 v[2:3], v1, s[12:13]
	global_load_dword v6, v1, s[0:1]
	global_load_dwordx2 v[4:5], v1, s[0:1] offset:8
	s_waitcnt vmcnt(1)
	v_add_co_u32_e32 v2, vcc, v2, v6
	v_addc_co_u32_e32 v3, vcc, 0, v3, vcc
	global_store_dwordx2 v1, v[2:3], s[12:13]
	s_waitcnt vmcnt(1)
	global_store_dwordx2 v1, v[4:5], s[14:15]
.LBB373_15:
	s_or_b64 exec, exec, s[6:7]
	v_cmp_eq_u32_e64 s[0:1], 0, v0
	s_cbranch_execnz .LBB373_2
.LBB373_16:
	s_cmp_lg_u64 s[12:13], 0
	s_cselect_b64 s[2:3], -1, 0
	s_and_b64 s[2:3], s[2:3], s[0:1]
	s_and_saveexec_b64 s[0:1], s[2:3]
	s_cbranch_execz .LBB373_18
; %bb.17:
	v_mov_b32_e32 v2, 0
	v_mov_b32_e32 v3, v2
	global_store_dwordx2 v2, v[2:3], s[12:13]
.LBB373_18:
	s_or_b64 exec, exec, s[0:1]
	v_cmp_eq_u32_e32 vcc, 0, v0
	s_and_saveexec_b64 s[0:1], vcc
	s_cbranch_execz .LBB373_3
.LBB373_19:
	v_mov_b32_e32 v1, 0
	global_store_dword v1, v1, s[18:19]
	s_or_b64 exec, exec, s[0:1]
	v_cmp_gt_u32_e32 vcc, s8, v0
	s_and_saveexec_b64 s[0:1], vcc
	s_cbranch_execz .LBB373_4
.LBB373_20:
	v_add_u32_e32 v1, 64, v0
	v_mov_b32_e32 v2, 0
	global_store_byte v1, v2, s[16:17]
	s_or_b64 exec, exec, s[0:1]
	v_cmp_gt_u32_e32 vcc, 64, v0
	s_and_saveexec_b64 s[0:1], vcc
	s_cbranch_execz .LBB373_5
.LBB373_21:
	v_mov_b32_e32 v1, 0xff
	global_store_byte v0, v1, s[16:17]
	s_endpgm
	.section	.rodata,"a",@progbits
	.p2align	6, 0x0
	.amdhsa_kernel _ZN7rocprim17ROCPRIM_400000_NS6detail25reduce_by_key_init_kernelINS1_19lookback_scan_stateINS0_5tupleIJjlEEELb1ELb0EEElNS1_16block_id_wrapperIjLb1EEEEEvT_jbjPmPT0_T1_
		.amdhsa_group_segment_fixed_size 0
		.amdhsa_private_segment_fixed_size 0
		.amdhsa_kernarg_size 320
		.amdhsa_user_sgpr_count 6
		.amdhsa_user_sgpr_private_segment_buffer 1
		.amdhsa_user_sgpr_dispatch_ptr 0
		.amdhsa_user_sgpr_queue_ptr 0
		.amdhsa_user_sgpr_kernarg_segment_ptr 1
		.amdhsa_user_sgpr_dispatch_id 0
		.amdhsa_user_sgpr_flat_scratch_init 0
		.amdhsa_user_sgpr_kernarg_preload_length 0
		.amdhsa_user_sgpr_kernarg_preload_offset 0
		.amdhsa_user_sgpr_private_segment_size 0
		.amdhsa_uses_dynamic_stack 0
		.amdhsa_system_sgpr_private_segment_wavefront_offset 0
		.amdhsa_system_sgpr_workgroup_id_x 1
		.amdhsa_system_sgpr_workgroup_id_y 0
		.amdhsa_system_sgpr_workgroup_id_z 0
		.amdhsa_system_sgpr_workgroup_info 0
		.amdhsa_system_vgpr_workitem_id 0
		.amdhsa_next_free_vgpr 7
		.amdhsa_next_free_sgpr 22
		.amdhsa_accum_offset 8
		.amdhsa_reserve_vcc 1
		.amdhsa_reserve_flat_scratch 0
		.amdhsa_float_round_mode_32 0
		.amdhsa_float_round_mode_16_64 0
		.amdhsa_float_denorm_mode_32 3
		.amdhsa_float_denorm_mode_16_64 3
		.amdhsa_dx10_clamp 1
		.amdhsa_ieee_mode 1
		.amdhsa_fp16_overflow 0
		.amdhsa_tg_split 0
		.amdhsa_exception_fp_ieee_invalid_op 0
		.amdhsa_exception_fp_denorm_src 0
		.amdhsa_exception_fp_ieee_div_zero 0
		.amdhsa_exception_fp_ieee_overflow 0
		.amdhsa_exception_fp_ieee_underflow 0
		.amdhsa_exception_fp_ieee_inexact 0
		.amdhsa_exception_int_div_zero 0
	.end_amdhsa_kernel
	.section	.text._ZN7rocprim17ROCPRIM_400000_NS6detail25reduce_by_key_init_kernelINS1_19lookback_scan_stateINS0_5tupleIJjlEEELb1ELb0EEElNS1_16block_id_wrapperIjLb1EEEEEvT_jbjPmPT0_T1_,"axG",@progbits,_ZN7rocprim17ROCPRIM_400000_NS6detail25reduce_by_key_init_kernelINS1_19lookback_scan_stateINS0_5tupleIJjlEEELb1ELb0EEElNS1_16block_id_wrapperIjLb1EEEEEvT_jbjPmPT0_T1_,comdat
.Lfunc_end373:
	.size	_ZN7rocprim17ROCPRIM_400000_NS6detail25reduce_by_key_init_kernelINS1_19lookback_scan_stateINS0_5tupleIJjlEEELb1ELb0EEElNS1_16block_id_wrapperIjLb1EEEEEvT_jbjPmPT0_T1_, .Lfunc_end373-_ZN7rocprim17ROCPRIM_400000_NS6detail25reduce_by_key_init_kernelINS1_19lookback_scan_stateINS0_5tupleIJjlEEELb1ELb0EEElNS1_16block_id_wrapperIjLb1EEEEEvT_jbjPmPT0_T1_
                                        ; -- End function
	.section	.AMDGPU.csdata,"",@progbits
; Kernel info:
; codeLenInByte = 536
; NumSgprs: 26
; NumVgprs: 7
; NumAgprs: 0
; TotalNumVgprs: 7
; ScratchSize: 0
; MemoryBound: 0
; FloatMode: 240
; IeeeMode: 1
; LDSByteSize: 0 bytes/workgroup (compile time only)
; SGPRBlocks: 3
; VGPRBlocks: 0
; NumSGPRsForWavesPerEU: 26
; NumVGPRsForWavesPerEU: 7
; AccumOffset: 8
; Occupancy: 8
; WaveLimiterHint : 0
; COMPUTE_PGM_RSRC2:SCRATCH_EN: 0
; COMPUTE_PGM_RSRC2:USER_SGPR: 6
; COMPUTE_PGM_RSRC2:TRAP_HANDLER: 0
; COMPUTE_PGM_RSRC2:TGID_X_EN: 1
; COMPUTE_PGM_RSRC2:TGID_Y_EN: 0
; COMPUTE_PGM_RSRC2:TGID_Z_EN: 0
; COMPUTE_PGM_RSRC2:TIDIG_COMP_CNT: 0
; COMPUTE_PGM_RSRC3_GFX90A:ACCUM_OFFSET: 1
; COMPUTE_PGM_RSRC3_GFX90A:TG_SPLIT: 0
	.section	.text._ZN7rocprim17ROCPRIM_400000_NS6detail17trampoline_kernelINS0_14default_configENS1_29reduce_by_key_config_selectorIhlN6thrust23THRUST_200600_302600_NS4plusIlEEEEZZNS1_33reduce_by_key_impl_wrapped_configILNS1_25lookback_scan_determinismE0ES3_S9_PhNS6_17constant_iteratorIiNS6_11use_defaultESE_EENS6_10device_ptrIhEENSG_IlEEPmS8_NS6_8equal_toIhEEEE10hipError_tPvRmT2_T3_mT4_T5_T6_T7_T8_P12ihipStream_tbENKUlT_T0_E_clISt17integral_constantIbLb1EES13_EEDaSY_SZ_EUlSY_E_NS1_11comp_targetILNS1_3genE0ELNS1_11target_archE4294967295ELNS1_3gpuE0ELNS1_3repE0EEENS1_30default_config_static_selectorELNS0_4arch9wavefront6targetE1EEEvT1_,"axG",@progbits,_ZN7rocprim17ROCPRIM_400000_NS6detail17trampoline_kernelINS0_14default_configENS1_29reduce_by_key_config_selectorIhlN6thrust23THRUST_200600_302600_NS4plusIlEEEEZZNS1_33reduce_by_key_impl_wrapped_configILNS1_25lookback_scan_determinismE0ES3_S9_PhNS6_17constant_iteratorIiNS6_11use_defaultESE_EENS6_10device_ptrIhEENSG_IlEEPmS8_NS6_8equal_toIhEEEE10hipError_tPvRmT2_T3_mT4_T5_T6_T7_T8_P12ihipStream_tbENKUlT_T0_E_clISt17integral_constantIbLb1EES13_EEDaSY_SZ_EUlSY_E_NS1_11comp_targetILNS1_3genE0ELNS1_11target_archE4294967295ELNS1_3gpuE0ELNS1_3repE0EEENS1_30default_config_static_selectorELNS0_4arch9wavefront6targetE1EEEvT1_,comdat
	.protected	_ZN7rocprim17ROCPRIM_400000_NS6detail17trampoline_kernelINS0_14default_configENS1_29reduce_by_key_config_selectorIhlN6thrust23THRUST_200600_302600_NS4plusIlEEEEZZNS1_33reduce_by_key_impl_wrapped_configILNS1_25lookback_scan_determinismE0ES3_S9_PhNS6_17constant_iteratorIiNS6_11use_defaultESE_EENS6_10device_ptrIhEENSG_IlEEPmS8_NS6_8equal_toIhEEEE10hipError_tPvRmT2_T3_mT4_T5_T6_T7_T8_P12ihipStream_tbENKUlT_T0_E_clISt17integral_constantIbLb1EES13_EEDaSY_SZ_EUlSY_E_NS1_11comp_targetILNS1_3genE0ELNS1_11target_archE4294967295ELNS1_3gpuE0ELNS1_3repE0EEENS1_30default_config_static_selectorELNS0_4arch9wavefront6targetE1EEEvT1_ ; -- Begin function _ZN7rocprim17ROCPRIM_400000_NS6detail17trampoline_kernelINS0_14default_configENS1_29reduce_by_key_config_selectorIhlN6thrust23THRUST_200600_302600_NS4plusIlEEEEZZNS1_33reduce_by_key_impl_wrapped_configILNS1_25lookback_scan_determinismE0ES3_S9_PhNS6_17constant_iteratorIiNS6_11use_defaultESE_EENS6_10device_ptrIhEENSG_IlEEPmS8_NS6_8equal_toIhEEEE10hipError_tPvRmT2_T3_mT4_T5_T6_T7_T8_P12ihipStream_tbENKUlT_T0_E_clISt17integral_constantIbLb1EES13_EEDaSY_SZ_EUlSY_E_NS1_11comp_targetILNS1_3genE0ELNS1_11target_archE4294967295ELNS1_3gpuE0ELNS1_3repE0EEENS1_30default_config_static_selectorELNS0_4arch9wavefront6targetE1EEEvT1_
	.globl	_ZN7rocprim17ROCPRIM_400000_NS6detail17trampoline_kernelINS0_14default_configENS1_29reduce_by_key_config_selectorIhlN6thrust23THRUST_200600_302600_NS4plusIlEEEEZZNS1_33reduce_by_key_impl_wrapped_configILNS1_25lookback_scan_determinismE0ES3_S9_PhNS6_17constant_iteratorIiNS6_11use_defaultESE_EENS6_10device_ptrIhEENSG_IlEEPmS8_NS6_8equal_toIhEEEE10hipError_tPvRmT2_T3_mT4_T5_T6_T7_T8_P12ihipStream_tbENKUlT_T0_E_clISt17integral_constantIbLb1EES13_EEDaSY_SZ_EUlSY_E_NS1_11comp_targetILNS1_3genE0ELNS1_11target_archE4294967295ELNS1_3gpuE0ELNS1_3repE0EEENS1_30default_config_static_selectorELNS0_4arch9wavefront6targetE1EEEvT1_
	.p2align	8
	.type	_ZN7rocprim17ROCPRIM_400000_NS6detail17trampoline_kernelINS0_14default_configENS1_29reduce_by_key_config_selectorIhlN6thrust23THRUST_200600_302600_NS4plusIlEEEEZZNS1_33reduce_by_key_impl_wrapped_configILNS1_25lookback_scan_determinismE0ES3_S9_PhNS6_17constant_iteratorIiNS6_11use_defaultESE_EENS6_10device_ptrIhEENSG_IlEEPmS8_NS6_8equal_toIhEEEE10hipError_tPvRmT2_T3_mT4_T5_T6_T7_T8_P12ihipStream_tbENKUlT_T0_E_clISt17integral_constantIbLb1EES13_EEDaSY_SZ_EUlSY_E_NS1_11comp_targetILNS1_3genE0ELNS1_11target_archE4294967295ELNS1_3gpuE0ELNS1_3repE0EEENS1_30default_config_static_selectorELNS0_4arch9wavefront6targetE1EEEvT1_,@function
_ZN7rocprim17ROCPRIM_400000_NS6detail17trampoline_kernelINS0_14default_configENS1_29reduce_by_key_config_selectorIhlN6thrust23THRUST_200600_302600_NS4plusIlEEEEZZNS1_33reduce_by_key_impl_wrapped_configILNS1_25lookback_scan_determinismE0ES3_S9_PhNS6_17constant_iteratorIiNS6_11use_defaultESE_EENS6_10device_ptrIhEENSG_IlEEPmS8_NS6_8equal_toIhEEEE10hipError_tPvRmT2_T3_mT4_T5_T6_T7_T8_P12ihipStream_tbENKUlT_T0_E_clISt17integral_constantIbLb1EES13_EEDaSY_SZ_EUlSY_E_NS1_11comp_targetILNS1_3genE0ELNS1_11target_archE4294967295ELNS1_3gpuE0ELNS1_3repE0EEENS1_30default_config_static_selectorELNS0_4arch9wavefront6targetE1EEEvT1_: ; @_ZN7rocprim17ROCPRIM_400000_NS6detail17trampoline_kernelINS0_14default_configENS1_29reduce_by_key_config_selectorIhlN6thrust23THRUST_200600_302600_NS4plusIlEEEEZZNS1_33reduce_by_key_impl_wrapped_configILNS1_25lookback_scan_determinismE0ES3_S9_PhNS6_17constant_iteratorIiNS6_11use_defaultESE_EENS6_10device_ptrIhEENSG_IlEEPmS8_NS6_8equal_toIhEEEE10hipError_tPvRmT2_T3_mT4_T5_T6_T7_T8_P12ihipStream_tbENKUlT_T0_E_clISt17integral_constantIbLb1EES13_EEDaSY_SZ_EUlSY_E_NS1_11comp_targetILNS1_3genE0ELNS1_11target_archE4294967295ELNS1_3gpuE0ELNS1_3repE0EEENS1_30default_config_static_selectorELNS0_4arch9wavefront6targetE1EEEvT1_
; %bb.0:
	.section	.rodata,"a",@progbits
	.p2align	6, 0x0
	.amdhsa_kernel _ZN7rocprim17ROCPRIM_400000_NS6detail17trampoline_kernelINS0_14default_configENS1_29reduce_by_key_config_selectorIhlN6thrust23THRUST_200600_302600_NS4plusIlEEEEZZNS1_33reduce_by_key_impl_wrapped_configILNS1_25lookback_scan_determinismE0ES3_S9_PhNS6_17constant_iteratorIiNS6_11use_defaultESE_EENS6_10device_ptrIhEENSG_IlEEPmS8_NS6_8equal_toIhEEEE10hipError_tPvRmT2_T3_mT4_T5_T6_T7_T8_P12ihipStream_tbENKUlT_T0_E_clISt17integral_constantIbLb1EES13_EEDaSY_SZ_EUlSY_E_NS1_11comp_targetILNS1_3genE0ELNS1_11target_archE4294967295ELNS1_3gpuE0ELNS1_3repE0EEENS1_30default_config_static_selectorELNS0_4arch9wavefront6targetE1EEEvT1_
		.amdhsa_group_segment_fixed_size 0
		.amdhsa_private_segment_fixed_size 0
		.amdhsa_kernarg_size 144
		.amdhsa_user_sgpr_count 6
		.amdhsa_user_sgpr_private_segment_buffer 1
		.amdhsa_user_sgpr_dispatch_ptr 0
		.amdhsa_user_sgpr_queue_ptr 0
		.amdhsa_user_sgpr_kernarg_segment_ptr 1
		.amdhsa_user_sgpr_dispatch_id 0
		.amdhsa_user_sgpr_flat_scratch_init 0
		.amdhsa_user_sgpr_kernarg_preload_length 0
		.amdhsa_user_sgpr_kernarg_preload_offset 0
		.amdhsa_user_sgpr_private_segment_size 0
		.amdhsa_uses_dynamic_stack 0
		.amdhsa_system_sgpr_private_segment_wavefront_offset 0
		.amdhsa_system_sgpr_workgroup_id_x 1
		.amdhsa_system_sgpr_workgroup_id_y 0
		.amdhsa_system_sgpr_workgroup_id_z 0
		.amdhsa_system_sgpr_workgroup_info 0
		.amdhsa_system_vgpr_workitem_id 0
		.amdhsa_next_free_vgpr 1
		.amdhsa_next_free_sgpr 0
		.amdhsa_accum_offset 4
		.amdhsa_reserve_vcc 0
		.amdhsa_reserve_flat_scratch 0
		.amdhsa_float_round_mode_32 0
		.amdhsa_float_round_mode_16_64 0
		.amdhsa_float_denorm_mode_32 3
		.amdhsa_float_denorm_mode_16_64 3
		.amdhsa_dx10_clamp 1
		.amdhsa_ieee_mode 1
		.amdhsa_fp16_overflow 0
		.amdhsa_tg_split 0
		.amdhsa_exception_fp_ieee_invalid_op 0
		.amdhsa_exception_fp_denorm_src 0
		.amdhsa_exception_fp_ieee_div_zero 0
		.amdhsa_exception_fp_ieee_overflow 0
		.amdhsa_exception_fp_ieee_underflow 0
		.amdhsa_exception_fp_ieee_inexact 0
		.amdhsa_exception_int_div_zero 0
	.end_amdhsa_kernel
	.section	.text._ZN7rocprim17ROCPRIM_400000_NS6detail17trampoline_kernelINS0_14default_configENS1_29reduce_by_key_config_selectorIhlN6thrust23THRUST_200600_302600_NS4plusIlEEEEZZNS1_33reduce_by_key_impl_wrapped_configILNS1_25lookback_scan_determinismE0ES3_S9_PhNS6_17constant_iteratorIiNS6_11use_defaultESE_EENS6_10device_ptrIhEENSG_IlEEPmS8_NS6_8equal_toIhEEEE10hipError_tPvRmT2_T3_mT4_T5_T6_T7_T8_P12ihipStream_tbENKUlT_T0_E_clISt17integral_constantIbLb1EES13_EEDaSY_SZ_EUlSY_E_NS1_11comp_targetILNS1_3genE0ELNS1_11target_archE4294967295ELNS1_3gpuE0ELNS1_3repE0EEENS1_30default_config_static_selectorELNS0_4arch9wavefront6targetE1EEEvT1_,"axG",@progbits,_ZN7rocprim17ROCPRIM_400000_NS6detail17trampoline_kernelINS0_14default_configENS1_29reduce_by_key_config_selectorIhlN6thrust23THRUST_200600_302600_NS4plusIlEEEEZZNS1_33reduce_by_key_impl_wrapped_configILNS1_25lookback_scan_determinismE0ES3_S9_PhNS6_17constant_iteratorIiNS6_11use_defaultESE_EENS6_10device_ptrIhEENSG_IlEEPmS8_NS6_8equal_toIhEEEE10hipError_tPvRmT2_T3_mT4_T5_T6_T7_T8_P12ihipStream_tbENKUlT_T0_E_clISt17integral_constantIbLb1EES13_EEDaSY_SZ_EUlSY_E_NS1_11comp_targetILNS1_3genE0ELNS1_11target_archE4294967295ELNS1_3gpuE0ELNS1_3repE0EEENS1_30default_config_static_selectorELNS0_4arch9wavefront6targetE1EEEvT1_,comdat
.Lfunc_end374:
	.size	_ZN7rocprim17ROCPRIM_400000_NS6detail17trampoline_kernelINS0_14default_configENS1_29reduce_by_key_config_selectorIhlN6thrust23THRUST_200600_302600_NS4plusIlEEEEZZNS1_33reduce_by_key_impl_wrapped_configILNS1_25lookback_scan_determinismE0ES3_S9_PhNS6_17constant_iteratorIiNS6_11use_defaultESE_EENS6_10device_ptrIhEENSG_IlEEPmS8_NS6_8equal_toIhEEEE10hipError_tPvRmT2_T3_mT4_T5_T6_T7_T8_P12ihipStream_tbENKUlT_T0_E_clISt17integral_constantIbLb1EES13_EEDaSY_SZ_EUlSY_E_NS1_11comp_targetILNS1_3genE0ELNS1_11target_archE4294967295ELNS1_3gpuE0ELNS1_3repE0EEENS1_30default_config_static_selectorELNS0_4arch9wavefront6targetE1EEEvT1_, .Lfunc_end374-_ZN7rocprim17ROCPRIM_400000_NS6detail17trampoline_kernelINS0_14default_configENS1_29reduce_by_key_config_selectorIhlN6thrust23THRUST_200600_302600_NS4plusIlEEEEZZNS1_33reduce_by_key_impl_wrapped_configILNS1_25lookback_scan_determinismE0ES3_S9_PhNS6_17constant_iteratorIiNS6_11use_defaultESE_EENS6_10device_ptrIhEENSG_IlEEPmS8_NS6_8equal_toIhEEEE10hipError_tPvRmT2_T3_mT4_T5_T6_T7_T8_P12ihipStream_tbENKUlT_T0_E_clISt17integral_constantIbLb1EES13_EEDaSY_SZ_EUlSY_E_NS1_11comp_targetILNS1_3genE0ELNS1_11target_archE4294967295ELNS1_3gpuE0ELNS1_3repE0EEENS1_30default_config_static_selectorELNS0_4arch9wavefront6targetE1EEEvT1_
                                        ; -- End function
	.section	.AMDGPU.csdata,"",@progbits
; Kernel info:
; codeLenInByte = 0
; NumSgprs: 4
; NumVgprs: 0
; NumAgprs: 0
; TotalNumVgprs: 0
; ScratchSize: 0
; MemoryBound: 0
; FloatMode: 240
; IeeeMode: 1
; LDSByteSize: 0 bytes/workgroup (compile time only)
; SGPRBlocks: 0
; VGPRBlocks: 0
; NumSGPRsForWavesPerEU: 4
; NumVGPRsForWavesPerEU: 1
; AccumOffset: 4
; Occupancy: 8
; WaveLimiterHint : 0
; COMPUTE_PGM_RSRC2:SCRATCH_EN: 0
; COMPUTE_PGM_RSRC2:USER_SGPR: 6
; COMPUTE_PGM_RSRC2:TRAP_HANDLER: 0
; COMPUTE_PGM_RSRC2:TGID_X_EN: 1
; COMPUTE_PGM_RSRC2:TGID_Y_EN: 0
; COMPUTE_PGM_RSRC2:TGID_Z_EN: 0
; COMPUTE_PGM_RSRC2:TIDIG_COMP_CNT: 0
; COMPUTE_PGM_RSRC3_GFX90A:ACCUM_OFFSET: 0
; COMPUTE_PGM_RSRC3_GFX90A:TG_SPLIT: 0
	.section	.text._ZN7rocprim17ROCPRIM_400000_NS6detail17trampoline_kernelINS0_14default_configENS1_29reduce_by_key_config_selectorIhlN6thrust23THRUST_200600_302600_NS4plusIlEEEEZZNS1_33reduce_by_key_impl_wrapped_configILNS1_25lookback_scan_determinismE0ES3_S9_PhNS6_17constant_iteratorIiNS6_11use_defaultESE_EENS6_10device_ptrIhEENSG_IlEEPmS8_NS6_8equal_toIhEEEE10hipError_tPvRmT2_T3_mT4_T5_T6_T7_T8_P12ihipStream_tbENKUlT_T0_E_clISt17integral_constantIbLb1EES13_EEDaSY_SZ_EUlSY_E_NS1_11comp_targetILNS1_3genE5ELNS1_11target_archE942ELNS1_3gpuE9ELNS1_3repE0EEENS1_30default_config_static_selectorELNS0_4arch9wavefront6targetE1EEEvT1_,"axG",@progbits,_ZN7rocprim17ROCPRIM_400000_NS6detail17trampoline_kernelINS0_14default_configENS1_29reduce_by_key_config_selectorIhlN6thrust23THRUST_200600_302600_NS4plusIlEEEEZZNS1_33reduce_by_key_impl_wrapped_configILNS1_25lookback_scan_determinismE0ES3_S9_PhNS6_17constant_iteratorIiNS6_11use_defaultESE_EENS6_10device_ptrIhEENSG_IlEEPmS8_NS6_8equal_toIhEEEE10hipError_tPvRmT2_T3_mT4_T5_T6_T7_T8_P12ihipStream_tbENKUlT_T0_E_clISt17integral_constantIbLb1EES13_EEDaSY_SZ_EUlSY_E_NS1_11comp_targetILNS1_3genE5ELNS1_11target_archE942ELNS1_3gpuE9ELNS1_3repE0EEENS1_30default_config_static_selectorELNS0_4arch9wavefront6targetE1EEEvT1_,comdat
	.protected	_ZN7rocprim17ROCPRIM_400000_NS6detail17trampoline_kernelINS0_14default_configENS1_29reduce_by_key_config_selectorIhlN6thrust23THRUST_200600_302600_NS4plusIlEEEEZZNS1_33reduce_by_key_impl_wrapped_configILNS1_25lookback_scan_determinismE0ES3_S9_PhNS6_17constant_iteratorIiNS6_11use_defaultESE_EENS6_10device_ptrIhEENSG_IlEEPmS8_NS6_8equal_toIhEEEE10hipError_tPvRmT2_T3_mT4_T5_T6_T7_T8_P12ihipStream_tbENKUlT_T0_E_clISt17integral_constantIbLb1EES13_EEDaSY_SZ_EUlSY_E_NS1_11comp_targetILNS1_3genE5ELNS1_11target_archE942ELNS1_3gpuE9ELNS1_3repE0EEENS1_30default_config_static_selectorELNS0_4arch9wavefront6targetE1EEEvT1_ ; -- Begin function _ZN7rocprim17ROCPRIM_400000_NS6detail17trampoline_kernelINS0_14default_configENS1_29reduce_by_key_config_selectorIhlN6thrust23THRUST_200600_302600_NS4plusIlEEEEZZNS1_33reduce_by_key_impl_wrapped_configILNS1_25lookback_scan_determinismE0ES3_S9_PhNS6_17constant_iteratorIiNS6_11use_defaultESE_EENS6_10device_ptrIhEENSG_IlEEPmS8_NS6_8equal_toIhEEEE10hipError_tPvRmT2_T3_mT4_T5_T6_T7_T8_P12ihipStream_tbENKUlT_T0_E_clISt17integral_constantIbLb1EES13_EEDaSY_SZ_EUlSY_E_NS1_11comp_targetILNS1_3genE5ELNS1_11target_archE942ELNS1_3gpuE9ELNS1_3repE0EEENS1_30default_config_static_selectorELNS0_4arch9wavefront6targetE1EEEvT1_
	.globl	_ZN7rocprim17ROCPRIM_400000_NS6detail17trampoline_kernelINS0_14default_configENS1_29reduce_by_key_config_selectorIhlN6thrust23THRUST_200600_302600_NS4plusIlEEEEZZNS1_33reduce_by_key_impl_wrapped_configILNS1_25lookback_scan_determinismE0ES3_S9_PhNS6_17constant_iteratorIiNS6_11use_defaultESE_EENS6_10device_ptrIhEENSG_IlEEPmS8_NS6_8equal_toIhEEEE10hipError_tPvRmT2_T3_mT4_T5_T6_T7_T8_P12ihipStream_tbENKUlT_T0_E_clISt17integral_constantIbLb1EES13_EEDaSY_SZ_EUlSY_E_NS1_11comp_targetILNS1_3genE5ELNS1_11target_archE942ELNS1_3gpuE9ELNS1_3repE0EEENS1_30default_config_static_selectorELNS0_4arch9wavefront6targetE1EEEvT1_
	.p2align	8
	.type	_ZN7rocprim17ROCPRIM_400000_NS6detail17trampoline_kernelINS0_14default_configENS1_29reduce_by_key_config_selectorIhlN6thrust23THRUST_200600_302600_NS4plusIlEEEEZZNS1_33reduce_by_key_impl_wrapped_configILNS1_25lookback_scan_determinismE0ES3_S9_PhNS6_17constant_iteratorIiNS6_11use_defaultESE_EENS6_10device_ptrIhEENSG_IlEEPmS8_NS6_8equal_toIhEEEE10hipError_tPvRmT2_T3_mT4_T5_T6_T7_T8_P12ihipStream_tbENKUlT_T0_E_clISt17integral_constantIbLb1EES13_EEDaSY_SZ_EUlSY_E_NS1_11comp_targetILNS1_3genE5ELNS1_11target_archE942ELNS1_3gpuE9ELNS1_3repE0EEENS1_30default_config_static_selectorELNS0_4arch9wavefront6targetE1EEEvT1_,@function
_ZN7rocprim17ROCPRIM_400000_NS6detail17trampoline_kernelINS0_14default_configENS1_29reduce_by_key_config_selectorIhlN6thrust23THRUST_200600_302600_NS4plusIlEEEEZZNS1_33reduce_by_key_impl_wrapped_configILNS1_25lookback_scan_determinismE0ES3_S9_PhNS6_17constant_iteratorIiNS6_11use_defaultESE_EENS6_10device_ptrIhEENSG_IlEEPmS8_NS6_8equal_toIhEEEE10hipError_tPvRmT2_T3_mT4_T5_T6_T7_T8_P12ihipStream_tbENKUlT_T0_E_clISt17integral_constantIbLb1EES13_EEDaSY_SZ_EUlSY_E_NS1_11comp_targetILNS1_3genE5ELNS1_11target_archE942ELNS1_3gpuE9ELNS1_3repE0EEENS1_30default_config_static_selectorELNS0_4arch9wavefront6targetE1EEEvT1_: ; @_ZN7rocprim17ROCPRIM_400000_NS6detail17trampoline_kernelINS0_14default_configENS1_29reduce_by_key_config_selectorIhlN6thrust23THRUST_200600_302600_NS4plusIlEEEEZZNS1_33reduce_by_key_impl_wrapped_configILNS1_25lookback_scan_determinismE0ES3_S9_PhNS6_17constant_iteratorIiNS6_11use_defaultESE_EENS6_10device_ptrIhEENSG_IlEEPmS8_NS6_8equal_toIhEEEE10hipError_tPvRmT2_T3_mT4_T5_T6_T7_T8_P12ihipStream_tbENKUlT_T0_E_clISt17integral_constantIbLb1EES13_EEDaSY_SZ_EUlSY_E_NS1_11comp_targetILNS1_3genE5ELNS1_11target_archE942ELNS1_3gpuE9ELNS1_3repE0EEENS1_30default_config_static_selectorELNS0_4arch9wavefront6targetE1EEEvT1_
; %bb.0:
	.section	.rodata,"a",@progbits
	.p2align	6, 0x0
	.amdhsa_kernel _ZN7rocprim17ROCPRIM_400000_NS6detail17trampoline_kernelINS0_14default_configENS1_29reduce_by_key_config_selectorIhlN6thrust23THRUST_200600_302600_NS4plusIlEEEEZZNS1_33reduce_by_key_impl_wrapped_configILNS1_25lookback_scan_determinismE0ES3_S9_PhNS6_17constant_iteratorIiNS6_11use_defaultESE_EENS6_10device_ptrIhEENSG_IlEEPmS8_NS6_8equal_toIhEEEE10hipError_tPvRmT2_T3_mT4_T5_T6_T7_T8_P12ihipStream_tbENKUlT_T0_E_clISt17integral_constantIbLb1EES13_EEDaSY_SZ_EUlSY_E_NS1_11comp_targetILNS1_3genE5ELNS1_11target_archE942ELNS1_3gpuE9ELNS1_3repE0EEENS1_30default_config_static_selectorELNS0_4arch9wavefront6targetE1EEEvT1_
		.amdhsa_group_segment_fixed_size 0
		.amdhsa_private_segment_fixed_size 0
		.amdhsa_kernarg_size 144
		.amdhsa_user_sgpr_count 6
		.amdhsa_user_sgpr_private_segment_buffer 1
		.amdhsa_user_sgpr_dispatch_ptr 0
		.amdhsa_user_sgpr_queue_ptr 0
		.amdhsa_user_sgpr_kernarg_segment_ptr 1
		.amdhsa_user_sgpr_dispatch_id 0
		.amdhsa_user_sgpr_flat_scratch_init 0
		.amdhsa_user_sgpr_kernarg_preload_length 0
		.amdhsa_user_sgpr_kernarg_preload_offset 0
		.amdhsa_user_sgpr_private_segment_size 0
		.amdhsa_uses_dynamic_stack 0
		.amdhsa_system_sgpr_private_segment_wavefront_offset 0
		.amdhsa_system_sgpr_workgroup_id_x 1
		.amdhsa_system_sgpr_workgroup_id_y 0
		.amdhsa_system_sgpr_workgroup_id_z 0
		.amdhsa_system_sgpr_workgroup_info 0
		.amdhsa_system_vgpr_workitem_id 0
		.amdhsa_next_free_vgpr 1
		.amdhsa_next_free_sgpr 0
		.amdhsa_accum_offset 4
		.amdhsa_reserve_vcc 0
		.amdhsa_reserve_flat_scratch 0
		.amdhsa_float_round_mode_32 0
		.amdhsa_float_round_mode_16_64 0
		.amdhsa_float_denorm_mode_32 3
		.amdhsa_float_denorm_mode_16_64 3
		.amdhsa_dx10_clamp 1
		.amdhsa_ieee_mode 1
		.amdhsa_fp16_overflow 0
		.amdhsa_tg_split 0
		.amdhsa_exception_fp_ieee_invalid_op 0
		.amdhsa_exception_fp_denorm_src 0
		.amdhsa_exception_fp_ieee_div_zero 0
		.amdhsa_exception_fp_ieee_overflow 0
		.amdhsa_exception_fp_ieee_underflow 0
		.amdhsa_exception_fp_ieee_inexact 0
		.amdhsa_exception_int_div_zero 0
	.end_amdhsa_kernel
	.section	.text._ZN7rocprim17ROCPRIM_400000_NS6detail17trampoline_kernelINS0_14default_configENS1_29reduce_by_key_config_selectorIhlN6thrust23THRUST_200600_302600_NS4plusIlEEEEZZNS1_33reduce_by_key_impl_wrapped_configILNS1_25lookback_scan_determinismE0ES3_S9_PhNS6_17constant_iteratorIiNS6_11use_defaultESE_EENS6_10device_ptrIhEENSG_IlEEPmS8_NS6_8equal_toIhEEEE10hipError_tPvRmT2_T3_mT4_T5_T6_T7_T8_P12ihipStream_tbENKUlT_T0_E_clISt17integral_constantIbLb1EES13_EEDaSY_SZ_EUlSY_E_NS1_11comp_targetILNS1_3genE5ELNS1_11target_archE942ELNS1_3gpuE9ELNS1_3repE0EEENS1_30default_config_static_selectorELNS0_4arch9wavefront6targetE1EEEvT1_,"axG",@progbits,_ZN7rocprim17ROCPRIM_400000_NS6detail17trampoline_kernelINS0_14default_configENS1_29reduce_by_key_config_selectorIhlN6thrust23THRUST_200600_302600_NS4plusIlEEEEZZNS1_33reduce_by_key_impl_wrapped_configILNS1_25lookback_scan_determinismE0ES3_S9_PhNS6_17constant_iteratorIiNS6_11use_defaultESE_EENS6_10device_ptrIhEENSG_IlEEPmS8_NS6_8equal_toIhEEEE10hipError_tPvRmT2_T3_mT4_T5_T6_T7_T8_P12ihipStream_tbENKUlT_T0_E_clISt17integral_constantIbLb1EES13_EEDaSY_SZ_EUlSY_E_NS1_11comp_targetILNS1_3genE5ELNS1_11target_archE942ELNS1_3gpuE9ELNS1_3repE0EEENS1_30default_config_static_selectorELNS0_4arch9wavefront6targetE1EEEvT1_,comdat
.Lfunc_end375:
	.size	_ZN7rocprim17ROCPRIM_400000_NS6detail17trampoline_kernelINS0_14default_configENS1_29reduce_by_key_config_selectorIhlN6thrust23THRUST_200600_302600_NS4plusIlEEEEZZNS1_33reduce_by_key_impl_wrapped_configILNS1_25lookback_scan_determinismE0ES3_S9_PhNS6_17constant_iteratorIiNS6_11use_defaultESE_EENS6_10device_ptrIhEENSG_IlEEPmS8_NS6_8equal_toIhEEEE10hipError_tPvRmT2_T3_mT4_T5_T6_T7_T8_P12ihipStream_tbENKUlT_T0_E_clISt17integral_constantIbLb1EES13_EEDaSY_SZ_EUlSY_E_NS1_11comp_targetILNS1_3genE5ELNS1_11target_archE942ELNS1_3gpuE9ELNS1_3repE0EEENS1_30default_config_static_selectorELNS0_4arch9wavefront6targetE1EEEvT1_, .Lfunc_end375-_ZN7rocprim17ROCPRIM_400000_NS6detail17trampoline_kernelINS0_14default_configENS1_29reduce_by_key_config_selectorIhlN6thrust23THRUST_200600_302600_NS4plusIlEEEEZZNS1_33reduce_by_key_impl_wrapped_configILNS1_25lookback_scan_determinismE0ES3_S9_PhNS6_17constant_iteratorIiNS6_11use_defaultESE_EENS6_10device_ptrIhEENSG_IlEEPmS8_NS6_8equal_toIhEEEE10hipError_tPvRmT2_T3_mT4_T5_T6_T7_T8_P12ihipStream_tbENKUlT_T0_E_clISt17integral_constantIbLb1EES13_EEDaSY_SZ_EUlSY_E_NS1_11comp_targetILNS1_3genE5ELNS1_11target_archE942ELNS1_3gpuE9ELNS1_3repE0EEENS1_30default_config_static_selectorELNS0_4arch9wavefront6targetE1EEEvT1_
                                        ; -- End function
	.section	.AMDGPU.csdata,"",@progbits
; Kernel info:
; codeLenInByte = 0
; NumSgprs: 4
; NumVgprs: 0
; NumAgprs: 0
; TotalNumVgprs: 0
; ScratchSize: 0
; MemoryBound: 0
; FloatMode: 240
; IeeeMode: 1
; LDSByteSize: 0 bytes/workgroup (compile time only)
; SGPRBlocks: 0
; VGPRBlocks: 0
; NumSGPRsForWavesPerEU: 4
; NumVGPRsForWavesPerEU: 1
; AccumOffset: 4
; Occupancy: 8
; WaveLimiterHint : 0
; COMPUTE_PGM_RSRC2:SCRATCH_EN: 0
; COMPUTE_PGM_RSRC2:USER_SGPR: 6
; COMPUTE_PGM_RSRC2:TRAP_HANDLER: 0
; COMPUTE_PGM_RSRC2:TGID_X_EN: 1
; COMPUTE_PGM_RSRC2:TGID_Y_EN: 0
; COMPUTE_PGM_RSRC2:TGID_Z_EN: 0
; COMPUTE_PGM_RSRC2:TIDIG_COMP_CNT: 0
; COMPUTE_PGM_RSRC3_GFX90A:ACCUM_OFFSET: 0
; COMPUTE_PGM_RSRC3_GFX90A:TG_SPLIT: 0
	.section	.text._ZN7rocprim17ROCPRIM_400000_NS6detail17trampoline_kernelINS0_14default_configENS1_29reduce_by_key_config_selectorIhlN6thrust23THRUST_200600_302600_NS4plusIlEEEEZZNS1_33reduce_by_key_impl_wrapped_configILNS1_25lookback_scan_determinismE0ES3_S9_PhNS6_17constant_iteratorIiNS6_11use_defaultESE_EENS6_10device_ptrIhEENSG_IlEEPmS8_NS6_8equal_toIhEEEE10hipError_tPvRmT2_T3_mT4_T5_T6_T7_T8_P12ihipStream_tbENKUlT_T0_E_clISt17integral_constantIbLb1EES13_EEDaSY_SZ_EUlSY_E_NS1_11comp_targetILNS1_3genE4ELNS1_11target_archE910ELNS1_3gpuE8ELNS1_3repE0EEENS1_30default_config_static_selectorELNS0_4arch9wavefront6targetE1EEEvT1_,"axG",@progbits,_ZN7rocprim17ROCPRIM_400000_NS6detail17trampoline_kernelINS0_14default_configENS1_29reduce_by_key_config_selectorIhlN6thrust23THRUST_200600_302600_NS4plusIlEEEEZZNS1_33reduce_by_key_impl_wrapped_configILNS1_25lookback_scan_determinismE0ES3_S9_PhNS6_17constant_iteratorIiNS6_11use_defaultESE_EENS6_10device_ptrIhEENSG_IlEEPmS8_NS6_8equal_toIhEEEE10hipError_tPvRmT2_T3_mT4_T5_T6_T7_T8_P12ihipStream_tbENKUlT_T0_E_clISt17integral_constantIbLb1EES13_EEDaSY_SZ_EUlSY_E_NS1_11comp_targetILNS1_3genE4ELNS1_11target_archE910ELNS1_3gpuE8ELNS1_3repE0EEENS1_30default_config_static_selectorELNS0_4arch9wavefront6targetE1EEEvT1_,comdat
	.protected	_ZN7rocprim17ROCPRIM_400000_NS6detail17trampoline_kernelINS0_14default_configENS1_29reduce_by_key_config_selectorIhlN6thrust23THRUST_200600_302600_NS4plusIlEEEEZZNS1_33reduce_by_key_impl_wrapped_configILNS1_25lookback_scan_determinismE0ES3_S9_PhNS6_17constant_iteratorIiNS6_11use_defaultESE_EENS6_10device_ptrIhEENSG_IlEEPmS8_NS6_8equal_toIhEEEE10hipError_tPvRmT2_T3_mT4_T5_T6_T7_T8_P12ihipStream_tbENKUlT_T0_E_clISt17integral_constantIbLb1EES13_EEDaSY_SZ_EUlSY_E_NS1_11comp_targetILNS1_3genE4ELNS1_11target_archE910ELNS1_3gpuE8ELNS1_3repE0EEENS1_30default_config_static_selectorELNS0_4arch9wavefront6targetE1EEEvT1_ ; -- Begin function _ZN7rocprim17ROCPRIM_400000_NS6detail17trampoline_kernelINS0_14default_configENS1_29reduce_by_key_config_selectorIhlN6thrust23THRUST_200600_302600_NS4plusIlEEEEZZNS1_33reduce_by_key_impl_wrapped_configILNS1_25lookback_scan_determinismE0ES3_S9_PhNS6_17constant_iteratorIiNS6_11use_defaultESE_EENS6_10device_ptrIhEENSG_IlEEPmS8_NS6_8equal_toIhEEEE10hipError_tPvRmT2_T3_mT4_T5_T6_T7_T8_P12ihipStream_tbENKUlT_T0_E_clISt17integral_constantIbLb1EES13_EEDaSY_SZ_EUlSY_E_NS1_11comp_targetILNS1_3genE4ELNS1_11target_archE910ELNS1_3gpuE8ELNS1_3repE0EEENS1_30default_config_static_selectorELNS0_4arch9wavefront6targetE1EEEvT1_
	.globl	_ZN7rocprim17ROCPRIM_400000_NS6detail17trampoline_kernelINS0_14default_configENS1_29reduce_by_key_config_selectorIhlN6thrust23THRUST_200600_302600_NS4plusIlEEEEZZNS1_33reduce_by_key_impl_wrapped_configILNS1_25lookback_scan_determinismE0ES3_S9_PhNS6_17constant_iteratorIiNS6_11use_defaultESE_EENS6_10device_ptrIhEENSG_IlEEPmS8_NS6_8equal_toIhEEEE10hipError_tPvRmT2_T3_mT4_T5_T6_T7_T8_P12ihipStream_tbENKUlT_T0_E_clISt17integral_constantIbLb1EES13_EEDaSY_SZ_EUlSY_E_NS1_11comp_targetILNS1_3genE4ELNS1_11target_archE910ELNS1_3gpuE8ELNS1_3repE0EEENS1_30default_config_static_selectorELNS0_4arch9wavefront6targetE1EEEvT1_
	.p2align	8
	.type	_ZN7rocprim17ROCPRIM_400000_NS6detail17trampoline_kernelINS0_14default_configENS1_29reduce_by_key_config_selectorIhlN6thrust23THRUST_200600_302600_NS4plusIlEEEEZZNS1_33reduce_by_key_impl_wrapped_configILNS1_25lookback_scan_determinismE0ES3_S9_PhNS6_17constant_iteratorIiNS6_11use_defaultESE_EENS6_10device_ptrIhEENSG_IlEEPmS8_NS6_8equal_toIhEEEE10hipError_tPvRmT2_T3_mT4_T5_T6_T7_T8_P12ihipStream_tbENKUlT_T0_E_clISt17integral_constantIbLb1EES13_EEDaSY_SZ_EUlSY_E_NS1_11comp_targetILNS1_3genE4ELNS1_11target_archE910ELNS1_3gpuE8ELNS1_3repE0EEENS1_30default_config_static_selectorELNS0_4arch9wavefront6targetE1EEEvT1_,@function
_ZN7rocprim17ROCPRIM_400000_NS6detail17trampoline_kernelINS0_14default_configENS1_29reduce_by_key_config_selectorIhlN6thrust23THRUST_200600_302600_NS4plusIlEEEEZZNS1_33reduce_by_key_impl_wrapped_configILNS1_25lookback_scan_determinismE0ES3_S9_PhNS6_17constant_iteratorIiNS6_11use_defaultESE_EENS6_10device_ptrIhEENSG_IlEEPmS8_NS6_8equal_toIhEEEE10hipError_tPvRmT2_T3_mT4_T5_T6_T7_T8_P12ihipStream_tbENKUlT_T0_E_clISt17integral_constantIbLb1EES13_EEDaSY_SZ_EUlSY_E_NS1_11comp_targetILNS1_3genE4ELNS1_11target_archE910ELNS1_3gpuE8ELNS1_3repE0EEENS1_30default_config_static_selectorELNS0_4arch9wavefront6targetE1EEEvT1_: ; @_ZN7rocprim17ROCPRIM_400000_NS6detail17trampoline_kernelINS0_14default_configENS1_29reduce_by_key_config_selectorIhlN6thrust23THRUST_200600_302600_NS4plusIlEEEEZZNS1_33reduce_by_key_impl_wrapped_configILNS1_25lookback_scan_determinismE0ES3_S9_PhNS6_17constant_iteratorIiNS6_11use_defaultESE_EENS6_10device_ptrIhEENSG_IlEEPmS8_NS6_8equal_toIhEEEE10hipError_tPvRmT2_T3_mT4_T5_T6_T7_T8_P12ihipStream_tbENKUlT_T0_E_clISt17integral_constantIbLb1EES13_EEDaSY_SZ_EUlSY_E_NS1_11comp_targetILNS1_3genE4ELNS1_11target_archE910ELNS1_3gpuE8ELNS1_3repE0EEENS1_30default_config_static_selectorELNS0_4arch9wavefront6targetE1EEEvT1_
; %bb.0:
	s_load_dwordx4 s[52:55], s[4:5], 0x20
	s_load_dwordx2 s[56:57], s[4:5], 0x30
	s_load_dwordx2 s[30:31], s[4:5], 0x80
	v_cmp_ne_u32_e64 s[2:3], 0, v0
	v_cmp_eq_u32_e64 s[0:1], 0, v0
	s_and_saveexec_b64 s[6:7], s[0:1]
	s_cbranch_execz .LBB376_4
; %bb.1:
	s_mov_b64 s[10:11], exec
	v_mbcnt_lo_u32_b32 v1, s10, 0
	v_mbcnt_hi_u32_b32 v1, s11, v1
	v_cmp_eq_u32_e32 vcc, 0, v1
                                        ; implicit-def: $vgpr2
	s_and_saveexec_b64 s[8:9], vcc
	s_cbranch_execz .LBB376_3
; %bb.2:
	s_load_dwordx2 s[12:13], s[4:5], 0x88
	s_bcnt1_i32_b64 s10, s[10:11]
	v_mov_b32_e32 v2, 0
	v_mov_b32_e32 v3, s10
	s_waitcnt lgkmcnt(0)
	global_atomic_add v2, v2, v3, s[12:13] glc
.LBB376_3:
	s_or_b64 exec, exec, s[8:9]
	s_waitcnt vmcnt(0)
	v_readfirstlane_b32 s8, v2
	v_add_u32_e32 v1, s8, v1
	v_mov_b32_e32 v2, 0
	ds_write_b32 v2, v1
.LBB376_4:
	s_or_b64 exec, exec, s[6:7]
	s_load_dwordx4 s[8:11], s[4:5], 0x0
	s_load_dword s6, s[4:5], 0x18
	s_load_dwordx16 s[36:51], s[4:5], 0x40
	v_mov_b32_e32 v1, 0
	s_waitcnt lgkmcnt(0)
	s_barrier
	ds_read_b32 v1, v1
	s_mul_i32 s4, s44, s43
	s_mul_hi_u32 s5, s44, s42
	s_add_i32 s4, s5, s4
	s_mul_i32 s5, s45, s42
	s_add_i32 s5, s4, s5
	s_add_u32 s7, s8, s10
	s_mul_i32 s4, s44, s42
	s_addc_u32 s8, s9, s11
	s_waitcnt lgkmcnt(0)
	v_readfirstlane_b32 s64, v1
	s_add_u32 s4, s4, s64
	s_addc_u32 s5, s5, 0
	s_movk_i32 s9, 0xf00
	s_add_u32 s12, s46, -1
	v_mul_lo_u32 v1, v1, s9
	s_addc_u32 s13, s47, -1
	v_mov_b32_e32 v2, s8
	v_add_co_u32_e32 v36, vcc, s7, v1
	s_cmp_eq_u64 s[4:5], s[12:13]
	v_addc_co_u32_e32 v37, vcc, 0, v2, vcc
	s_cselect_b64 s[44:45], -1, 0
	s_cmp_lg_u64 s[4:5], s[12:13]
	s_mov_b64 s[10:11], -1
	s_cselect_b64 s[8:9], -1, 0
	s_mul_i32 s33, s12, 0xfffff100
	s_and_b64 vcc, exec, s[44:45]
	v_mad_u32_u24 v6, v0, 14, v0
	s_barrier
	s_cbranch_vccnz .LBB376_6
; %bb.5:
	v_readfirstlane_b32 s10, v36
	v_readfirstlane_b32 s11, v37
	s_nop 4
	global_load_ubyte v1, v0, s[10:11]
	global_load_ubyte v2, v0, s[10:11] offset:256
	global_load_ubyte v3, v0, s[10:11] offset:512
	;; [unrolled: 1-line block ×14, first 2 shown]
	s_ashr_i32 s7, s6, 31
	v_mul_u32_u24_e32 v7, 15, v0
	v_mad_u32_u24 v20, v0, 15, 1
	v_mad_u32_u24 v19, v0, 15, 2
	;; [unrolled: 1-line block ×14, first 2 shown]
	v_mad_i32_i24 v33, v0, -7, v6
	v_pk_mov_b32 v[22:23], s[6:7], s[6:7] op_sel:[0,1]
	s_waitcnt vmcnt(14)
	ds_write_b8 v0, v1
	s_waitcnt vmcnt(13)
	ds_write_b8 v0, v2 offset:256
	s_waitcnt vmcnt(12)
	ds_write_b8 v0, v3 offset:512
	;; [unrolled: 2-line block ×14, first 2 shown]
	s_waitcnt lgkmcnt(0)
	s_barrier
	ds_read_b96 v[2:4], v6
	ds_read_u8 v72, v6 offset:12
	ds_read_u8 v5, v6 offset:13
	;; [unrolled: 1-line block ×3, first 2 shown]
	s_waitcnt lgkmcnt(0)
	v_lshrrev_b32_e32 v90, 8, v2
	v_lshrrev_b32_e32 v89, 16, v2
	;; [unrolled: 1-line block ×9, first 2 shown]
	s_barrier
	ds_write2st64_b64 v33, v[22:23], v[22:23] offset1:4
	ds_write2st64_b64 v33, v[22:23], v[22:23] offset0:8 offset1:12
	ds_write2st64_b64 v33, v[22:23], v[22:23] offset0:16 offset1:20
	;; [unrolled: 1-line block ×6, first 2 shown]
	ds_write_b64 v33, v[22:23] offset:28672
	s_waitcnt lgkmcnt(0)
	s_barrier
	s_add_i32 s33, s33, s48
	s_cbranch_execz .LBB376_7
	s_branch .LBB376_38
.LBB376_6:
                                        ; implicit-def: $vgpr16
                                        ; implicit-def: $vgpr17
                                        ; implicit-def: $vgpr34
                                        ; implicit-def: $vgpr8
                                        ; implicit-def: $vgpr9
                                        ; implicit-def: $vgpr10
                                        ; implicit-def: $vgpr11
                                        ; implicit-def: $vgpr12
                                        ; implicit-def: $vgpr13
                                        ; implicit-def: $vgpr14
                                        ; implicit-def: $vgpr15
                                        ; implicit-def: $vgpr18
                                        ; implicit-def: $vgpr19
                                        ; implicit-def: $vgpr20
                                        ; implicit-def: $vgpr7
                                        ; implicit-def: $vgpr2
                                        ; implicit-def: $vgpr90
                                        ; implicit-def: $vgpr89
                                        ; implicit-def: $vgpr87
                                        ; implicit-def: $vgpr85
                                        ; implicit-def: $vgpr83
                                        ; implicit-def: $vgpr82
                                        ; implicit-def: $vgpr79
                                        ; implicit-def: $vgpr78
                                        ; implicit-def: $vgpr76
                                        ; implicit-def: $vgpr72
                                        ; implicit-def: $vgpr5
                                        ; implicit-def: $vgpr1
	s_andn2_b64 vcc, exec, s[10:11]
	s_add_i32 s33, s33, s48
	s_cbranch_vccnz .LBB376_38
.LBB376_7:
	v_cmp_gt_u32_e32 vcc, s33, v0
                                        ; implicit-def: $vgpr1
	s_and_saveexec_b64 s[10:11], vcc
	s_cbranch_execz .LBB376_9
; %bb.8:
	v_readfirstlane_b32 s12, v36
	v_readfirstlane_b32 s13, v37
	s_nop 4
	global_load_ubyte v1, v0, s[12:13]
.LBB376_9:
	s_or_b64 exec, exec, s[10:11]
	v_or_b32_e32 v2, 0x100, v0
	v_cmp_gt_u32_e32 vcc, s33, v2
                                        ; implicit-def: $vgpr2
	s_and_saveexec_b64 s[10:11], vcc
	s_cbranch_execz .LBB376_11
; %bb.10:
	v_readfirstlane_b32 s12, v36
	v_readfirstlane_b32 s13, v37
	s_nop 4
	global_load_ubyte v2, v0, s[12:13] offset:256
.LBB376_11:
	s_or_b64 exec, exec, s[10:11]
	v_or_b32_e32 v3, 0x200, v0
	v_cmp_gt_u32_e32 vcc, s33, v3
                                        ; implicit-def: $vgpr3
	s_and_saveexec_b64 s[10:11], vcc
	s_cbranch_execz .LBB376_13
; %bb.12:
	v_readfirstlane_b32 s12, v36
	v_readfirstlane_b32 s13, v37
	s_nop 4
	global_load_ubyte v3, v0, s[12:13] offset:512
.LBB376_13:
	s_or_b64 exec, exec, s[10:11]
	v_or_b32_e32 v4, 0x300, v0
	v_cmp_gt_u32_e32 vcc, s33, v4
                                        ; implicit-def: $vgpr4
	s_and_saveexec_b64 s[10:11], vcc
	s_cbranch_execz .LBB376_15
; %bb.14:
	v_readfirstlane_b32 s12, v36
	v_readfirstlane_b32 s13, v37
	s_nop 4
	global_load_ubyte v4, v0, s[12:13] offset:768
.LBB376_15:
	s_or_b64 exec, exec, s[10:11]
	v_or_b32_e32 v5, 0x400, v0
	v_cmp_gt_u32_e32 vcc, s33, v5
                                        ; implicit-def: $vgpr5
	s_and_saveexec_b64 s[10:11], vcc
	s_cbranch_execz .LBB376_17
; %bb.16:
	v_readfirstlane_b32 s12, v36
	v_readfirstlane_b32 s13, v37
	s_nop 4
	global_load_ubyte v5, v0, s[12:13] offset:1024
.LBB376_17:
	s_or_b64 exec, exec, s[10:11]
	v_or_b32_e32 v7, 0x500, v0
	v_cmp_gt_u32_e32 vcc, s33, v7
                                        ; implicit-def: $vgpr7
	s_and_saveexec_b64 s[10:11], vcc
	s_cbranch_execz .LBB376_19
; %bb.18:
	v_readfirstlane_b32 s12, v36
	v_readfirstlane_b32 s13, v37
	s_nop 4
	global_load_ubyte v7, v0, s[12:13] offset:1280
.LBB376_19:
	s_or_b64 exec, exec, s[10:11]
	v_or_b32_e32 v8, 0x600, v0
	v_cmp_gt_u32_e32 vcc, s33, v8
                                        ; implicit-def: $vgpr8
	s_and_saveexec_b64 s[10:11], vcc
	s_cbranch_execz .LBB376_21
; %bb.20:
	v_readfirstlane_b32 s12, v36
	v_readfirstlane_b32 s13, v37
	s_nop 4
	global_load_ubyte v8, v0, s[12:13] offset:1536
.LBB376_21:
	s_or_b64 exec, exec, s[10:11]
	v_or_b32_e32 v9, 0x700, v0
	v_cmp_gt_u32_e32 vcc, s33, v9
                                        ; implicit-def: $vgpr9
	s_and_saveexec_b64 s[10:11], vcc
	s_cbranch_execz .LBB376_23
; %bb.22:
	v_readfirstlane_b32 s12, v36
	v_readfirstlane_b32 s13, v37
	s_nop 4
	global_load_ubyte v9, v0, s[12:13] offset:1792
.LBB376_23:
	s_or_b64 exec, exec, s[10:11]
	v_or_b32_e32 v10, 0x800, v0
	v_cmp_gt_u32_e32 vcc, s33, v10
                                        ; implicit-def: $vgpr10
	s_and_saveexec_b64 s[10:11], vcc
	s_cbranch_execz .LBB376_25
; %bb.24:
	v_readfirstlane_b32 s12, v36
	v_readfirstlane_b32 s13, v37
	s_nop 4
	global_load_ubyte v10, v0, s[12:13] offset:2048
.LBB376_25:
	s_or_b64 exec, exec, s[10:11]
	v_or_b32_e32 v11, 0x900, v0
	v_cmp_gt_u32_e32 vcc, s33, v11
                                        ; implicit-def: $vgpr11
	s_and_saveexec_b64 s[10:11], vcc
	s_cbranch_execz .LBB376_27
; %bb.26:
	v_readfirstlane_b32 s12, v36
	v_readfirstlane_b32 s13, v37
	s_nop 4
	global_load_ubyte v11, v0, s[12:13] offset:2304
.LBB376_27:
	s_or_b64 exec, exec, s[10:11]
	v_or_b32_e32 v12, 0xa00, v0
	v_cmp_gt_u32_e32 vcc, s33, v12
                                        ; implicit-def: $vgpr12
	s_and_saveexec_b64 s[10:11], vcc
	s_cbranch_execz .LBB376_29
; %bb.28:
	v_readfirstlane_b32 s12, v36
	v_readfirstlane_b32 s13, v37
	s_nop 4
	global_load_ubyte v12, v0, s[12:13] offset:2560
.LBB376_29:
	s_or_b64 exec, exec, s[10:11]
	v_or_b32_e32 v13, 0xb00, v0
	v_cmp_gt_u32_e32 vcc, s33, v13
                                        ; implicit-def: $vgpr13
	s_and_saveexec_b64 s[10:11], vcc
	s_cbranch_execz .LBB376_31
; %bb.30:
	v_readfirstlane_b32 s12, v36
	v_readfirstlane_b32 s13, v37
	s_nop 4
	global_load_ubyte v13, v0, s[12:13] offset:2816
.LBB376_31:
	s_or_b64 exec, exec, s[10:11]
	v_or_b32_e32 v14, 0xc00, v0
	v_cmp_gt_u32_e32 vcc, s33, v14
                                        ; implicit-def: $vgpr14
	s_and_saveexec_b64 s[10:11], vcc
	s_cbranch_execz .LBB376_33
; %bb.32:
	v_readfirstlane_b32 s12, v36
	v_readfirstlane_b32 s13, v37
	s_nop 4
	global_load_ubyte v14, v0, s[12:13] offset:3072
.LBB376_33:
	s_or_b64 exec, exec, s[10:11]
	v_or_b32_e32 v15, 0xd00, v0
	v_cmp_gt_u32_e32 vcc, s33, v15
                                        ; implicit-def: $vgpr15
	s_and_saveexec_b64 s[10:11], vcc
	s_cbranch_execz .LBB376_35
; %bb.34:
	v_readfirstlane_b32 s12, v36
	v_readfirstlane_b32 s13, v37
	s_nop 4
	global_load_ubyte v15, v0, s[12:13] offset:3328
.LBB376_35:
	s_or_b64 exec, exec, s[10:11]
	v_or_b32_e32 v16, 0xe00, v0
	v_cmp_gt_u32_e32 vcc, s33, v16
                                        ; implicit-def: $vgpr16
	s_and_saveexec_b64 s[10:11], vcc
	s_cbranch_execz .LBB376_37
; %bb.36:
	v_readfirstlane_b32 s12, v36
	v_readfirstlane_b32 s13, v37
	s_nop 4
	global_load_ubyte v16, v0, s[12:13] offset:3584
.LBB376_37:
	s_or_b64 exec, exec, s[10:11]
	s_waitcnt vmcnt(0)
	ds_write_b8 v0, v1
	ds_write_b8 v0, v2 offset:256
	ds_write_b8 v0, v3 offset:512
	;; [unrolled: 1-line block ×14, first 2 shown]
	s_waitcnt lgkmcnt(0)
	s_barrier
	ds_read_b96 v[2:4], v6
	ds_read_u8 v72, v6 offset:12
	ds_read_u8 v5, v6 offset:13
	;; [unrolled: 1-line block ×3, first 2 shown]
	s_ashr_i32 s7, s6, 31
	v_mul_u32_u24_e32 v7, 15, v0
	v_mad_u32_u24 v20, v0, 15, 1
	s_waitcnt lgkmcnt(3)
	v_lshrrev_b32_e32 v90, 8, v2
	v_lshrrev_b32_e32 v89, 16, v2
	;; [unrolled: 1-line block ×9, first 2 shown]
	v_mad_u32_u24 v19, v0, 15, 2
	v_mad_u32_u24 v18, v0, 15, 3
	;; [unrolled: 1-line block ×13, first 2 shown]
	v_mad_i32_i24 v6, v0, -7, v6
	v_pk_mov_b32 v[22:23], s[6:7], s[6:7] op_sel:[0,1]
	s_waitcnt lgkmcnt(0)
	s_barrier
	ds_write2st64_b64 v6, v[22:23], v[22:23] offset1:4
	ds_write2st64_b64 v6, v[22:23], v[22:23] offset0:8 offset1:12
	ds_write2st64_b64 v6, v[22:23], v[22:23] offset0:16 offset1:20
	;; [unrolled: 1-line block ×6, first 2 shown]
	ds_write_b64 v6, v[22:23] offset:28672
	s_waitcnt lgkmcnt(0)
	s_barrier
.LBB376_38:
	v_lshlrev_b32_e32 v6, 3, v7
	v_lshlrev_b32_e32 v7, 3, v20
	v_lshlrev_b32_e32 v19, 3, v19
	v_lshlrev_b32_e32 v18, 3, v18
	ds_read_b64 v[32:33], v6
	ds_read_b64 v[30:31], v7
	ds_read_b64 v[28:29], v19
	ds_read_b64 v[24:25], v18
	v_lshlrev_b32_e32 v6, 3, v15
	v_lshlrev_b32_e32 v7, 3, v14
	v_lshlrev_b32_e32 v13, 3, v13
	v_lshlrev_b32_e32 v12, 3, v12
	ds_read_b64 v[26:27], v6
	ds_read_b64 v[22:23], v7
	ds_read_b64 v[20:21], v13
	ds_read_b64 v[14:15], v12
	;; [unrolled: 8-line block ×3, first 2 shown]
	v_lshlrev_b32_e32 v6, 3, v34
	v_lshlrev_b32_e32 v17, 3, v17
	;; [unrolled: 1-line block ×3, first 2 shown]
	ds_read_b64 v[6:7], v6
	ds_read_b64 v[16:17], v17
	;; [unrolled: 1-line block ×3, first 2 shown]
	s_cmp_eq_u64 s[4:5], 0
	s_cselect_b64 s[46:47], -1, 0
	s_cmp_lg_u64 s[4:5], 0
	s_mov_b64 s[6:7], 0
	s_cselect_b64 s[10:11], -1, 0
	s_and_b64 vcc, exec, s[8:9]
	s_waitcnt lgkmcnt(0)
	s_barrier
	s_cbranch_vccz .LBB376_44
; %bb.39:
	s_and_b64 vcc, exec, s[10:11]
	s_cbranch_vccz .LBB376_45
; %bb.40:
	global_load_ubyte v38, v[36:37], off offset:-1
	v_cmp_ne_u16_sdwa s[6:7], v5, v1 src0_sel:BYTE_0 src1_sel:BYTE_0
	v_cmp_ne_u16_sdwa s[8:9], v72, v5 src0_sel:BYTE_0 src1_sel:BYTE_0
	;; [unrolled: 1-line block ×14, first 2 shown]
	ds_write_b8 v0, v1
	s_waitcnt lgkmcnt(0)
	s_barrier
	s_and_saveexec_b64 s[62:63], s[2:3]
	s_cbranch_execz .LBB376_42
; %bb.41:
	s_waitcnt vmcnt(0)
	v_add_u32_e32 v38, -1, v0
	ds_read_u8 v38, v38
.LBB376_42:
	s_or_b64 exec, exec, s[62:63]
	s_waitcnt vmcnt(0) lgkmcnt(0)
	v_and_b32_e32 v38, 0xff, v38
	v_cndmask_b32_e64 v73, 0, 1, s[6:7]
	v_cndmask_b32_e64 v74, 0, 1, s[8:9]
	;; [unrolled: 1-line block ×14, first 2 shown]
	v_cmp_ne_u16_sdwa s[8:9], v38, v2 src0_sel:DWORD src1_sel:BYTE_0
	s_mov_b64 s[6:7], -1
.LBB376_43:
                                        ; implicit-def: $sgpr14
	s_branch .LBB376_57
.LBB376_44:
                                        ; implicit-def: $sgpr8_sgpr9
                                        ; implicit-def: $vgpr73
                                        ; implicit-def: $vgpr74
                                        ; implicit-def: $vgpr75
                                        ; implicit-def: $vgpr77
                                        ; implicit-def: $vgpr80
                                        ; implicit-def: $vgpr81
                                        ; implicit-def: $vgpr84
                                        ; implicit-def: $vgpr86
                                        ; implicit-def: $vgpr88
                                        ; implicit-def: $vgpr91
                                        ; implicit-def: $vgpr92
                                        ; implicit-def: $vgpr93
                                        ; implicit-def: $vgpr94
                                        ; implicit-def: $vgpr95
                                        ; implicit-def: $sgpr14
	s_cbranch_execnz .LBB376_49
	s_branch .LBB376_57
.LBB376_45:
                                        ; implicit-def: $sgpr8_sgpr9
                                        ; implicit-def: $vgpr73
                                        ; implicit-def: $vgpr74
                                        ; implicit-def: $vgpr75
                                        ; implicit-def: $vgpr77
                                        ; implicit-def: $vgpr80
                                        ; implicit-def: $vgpr81
                                        ; implicit-def: $vgpr84
                                        ; implicit-def: $vgpr86
                                        ; implicit-def: $vgpr88
                                        ; implicit-def: $vgpr91
                                        ; implicit-def: $vgpr92
                                        ; implicit-def: $vgpr93
                                        ; implicit-def: $vgpr94
                                        ; implicit-def: $vgpr95
	s_cbranch_execz .LBB376_43
; %bb.46:
	v_cmp_ne_u16_sdwa s[8:9], v5, v1 src0_sel:BYTE_0 src1_sel:BYTE_0
	v_cndmask_b32_e64 v73, 0, 1, s[8:9]
	v_cmp_ne_u16_sdwa s[8:9], v72, v5 src0_sel:BYTE_0 src1_sel:BYTE_0
	v_cndmask_b32_e64 v74, 0, 1, s[8:9]
	;; [unrolled: 2-line block ×14, first 2 shown]
	ds_write_b8 v0, v1
	s_waitcnt lgkmcnt(0)
	s_barrier
	s_waitcnt lgkmcnt(0)
                                        ; implicit-def: $sgpr8_sgpr9
	s_and_saveexec_b64 s[12:13], s[2:3]
	s_xor_b64 s[12:13], exec, s[12:13]
	s_cbranch_execz .LBB376_48
; %bb.47:
	v_add_u32_e32 v38, -1, v0
	ds_read_u8 v38, v38
	s_or_b64 s[6:7], s[6:7], exec
	s_waitcnt lgkmcnt(0)
	v_cmp_ne_u16_sdwa s[8:9], v38, v2 src0_sel:DWORD src1_sel:BYTE_0
	s_and_b64 s[8:9], s[8:9], exec
.LBB376_48:
	s_or_b64 exec, exec, s[12:13]
	s_mov_b32 s14, 1
	s_branch .LBB376_57
.LBB376_49:
	s_mul_hi_u32 s8, s4, 0xfffff100
	s_mulk_i32 s5, 0xf100
	s_sub_i32 s8, s8, s4
	s_add_i32 s8, s8, s5
	s_mulk_i32 s4, 0xf100
	s_add_u32 s4, s4, s48
	s_addc_u32 s5, s8, s49
	s_and_b64 vcc, exec, s[10:11]
	s_cbranch_vccz .LBB376_54
; %bb.50:
	global_load_ubyte v40, v[36:37], off offset:-1
	v_mad_u32_u24 v38, v0, 15, 14
	v_mov_b32_e32 v39, 0
	v_cmp_gt_u64_e32 vcc, s[4:5], v[38:39]
	v_cmp_ne_u16_sdwa s[6:7], v5, v1 src0_sel:BYTE_0 src1_sel:BYTE_0
	v_mad_u32_u24 v38, v0, 15, 13
	s_and_b64 s[6:7], vcc, s[6:7]
	v_cmp_gt_u64_e32 vcc, s[4:5], v[38:39]
	v_cmp_ne_u16_sdwa s[8:9], v72, v5 src0_sel:BYTE_0 src1_sel:BYTE_0
	v_mad_u32_u24 v38, v0, 15, 12
	s_and_b64 s[8:9], vcc, s[8:9]
	;; [unrolled: 4-line block ×13, first 2 shown]
	v_cmp_gt_u64_e32 vcc, s[4:5], v[38:39]
	v_cmp_ne_u16_sdwa s[48:49], v2, v90 src0_sel:BYTE_0 src1_sel:BYTE_0
	v_mul_u32_u24_e32 v36, 15, v0
	s_and_b64 s[48:49], vcc, s[48:49]
	ds_write_b8 v0, v1
	s_waitcnt lgkmcnt(0)
	s_barrier
	s_and_saveexec_b64 s[58:59], s[2:3]
	s_cbranch_execz .LBB376_52
; %bb.51:
	v_add_u32_e32 v37, -1, v0
	s_waitcnt vmcnt(0)
	ds_read_u8 v40, v37
.LBB376_52:
	s_or_b64 exec, exec, s[58:59]
	v_mov_b32_e32 v37, v39
	v_cmp_gt_u64_e32 vcc, s[4:5], v[36:37]
	s_waitcnt vmcnt(0) lgkmcnt(0)
	v_and_b32_e32 v36, 0xff, v40
	v_cndmask_b32_e64 v73, 0, 1, s[6:7]
	v_cmp_ne_u16_sdwa s[6:7], v36, v2 src0_sel:DWORD src1_sel:BYTE_0
	v_cndmask_b32_e64 v74, 0, 1, s[8:9]
	v_cndmask_b32_e64 v75, 0, 1, s[10:11]
	;; [unrolled: 1-line block ×13, first 2 shown]
	s_and_b64 s[8:9], vcc, s[6:7]
	s_mov_b64 s[6:7], -1
.LBB376_53:
                                        ; implicit-def: $sgpr14
	v_mov_b32_e32 v96, s14
	s_and_saveexec_b64 s[2:3], s[6:7]
	s_cbranch_execnz .LBB376_58
	s_branch .LBB376_59
.LBB376_54:
                                        ; implicit-def: $sgpr8_sgpr9
                                        ; implicit-def: $vgpr73
                                        ; implicit-def: $vgpr74
                                        ; implicit-def: $vgpr75
                                        ; implicit-def: $vgpr77
                                        ; implicit-def: $vgpr80
                                        ; implicit-def: $vgpr81
                                        ; implicit-def: $vgpr84
                                        ; implicit-def: $vgpr86
                                        ; implicit-def: $vgpr88
                                        ; implicit-def: $vgpr91
                                        ; implicit-def: $vgpr92
                                        ; implicit-def: $vgpr93
                                        ; implicit-def: $vgpr94
                                        ; implicit-def: $vgpr95
	s_cbranch_execz .LBB376_53
; %bb.55:
	v_mad_u32_u24 v36, v0, 15, 14
	v_mov_b32_e32 v37, 0
	v_cmp_gt_u64_e32 vcc, s[4:5], v[36:37]
	v_cmp_ne_u16_sdwa s[8:9], v5, v1 src0_sel:BYTE_0 src1_sel:BYTE_0
	s_and_b64 s[8:9], vcc, s[8:9]
	v_mad_u32_u24 v36, v0, 15, 13
	v_cndmask_b32_e64 v73, 0, 1, s[8:9]
	v_cmp_gt_u64_e32 vcc, s[4:5], v[36:37]
	v_cmp_ne_u16_sdwa s[8:9], v72, v5 src0_sel:BYTE_0 src1_sel:BYTE_0
	s_and_b64 s[8:9], vcc, s[8:9]
	v_mad_u32_u24 v36, v0, 15, 12
	v_cndmask_b32_e64 v74, 0, 1, s[8:9]
	;; [unrolled: 5-line block ×13, first 2 shown]
	v_cmp_gt_u64_e32 vcc, s[4:5], v[36:37]
	v_cmp_ne_u16_sdwa s[8:9], v2, v90 src0_sel:BYTE_0 src1_sel:BYTE_0
	s_and_b64 s[8:9], vcc, s[8:9]
	s_mov_b32 s14, 1
	v_cndmask_b32_e64 v95, 0, 1, s[8:9]
	ds_write_b8 v0, v1
	s_waitcnt lgkmcnt(0)
	s_barrier
	s_waitcnt lgkmcnt(0)
                                        ; implicit-def: $sgpr8_sgpr9
	s_and_saveexec_b64 s[10:11], s[2:3]
	s_cbranch_execz .LBB376_209
; %bb.56:
	v_add_u32_e32 v36, -1, v0
	ds_read_u8 v38, v36
	v_mul_u32_u24_e32 v36, 15, v0
	v_cmp_gt_u64_e32 vcc, s[4:5], v[36:37]
	s_or_b64 s[6:7], s[6:7], exec
	s_waitcnt lgkmcnt(0)
	v_and_b32_e32 v36, 0xff, v38
	v_cmp_ne_u16_sdwa s[2:3], v36, v2 src0_sel:DWORD src1_sel:BYTE_0
	s_and_b64 s[2:3], vcc, s[2:3]
	s_and_b64 s[8:9], s[2:3], exec
	s_or_b64 exec, exec, s[10:11]
.LBB376_57:
	v_mov_b32_e32 v96, s14
	s_and_saveexec_b64 s[2:3], s[6:7]
.LBB376_58:
	v_cndmask_b32_e64 v96, 0, 1, s[8:9]
.LBB376_59:
	s_or_b64 exec, exec, s[2:3]
	s_cmp_eq_u64 s[42:43], 0
	v_add3_u32 v36, v95, v96, v94
	s_cselect_b64 s[34:35], -1, 0
	s_cmp_lg_u32 s64, 0
	v_cmp_eq_u32_e64 s[26:27], 0, v95
	v_cmp_eq_u32_e64 s[24:25], 0, v94
	;; [unrolled: 1-line block ×3, first 2 shown]
	v_add3_u32 v99, v36, v93, v92
	v_cmp_eq_u32_e64 s[20:21], 0, v92
	v_cmp_eq_u32_e64 s[18:19], 0, v91
	;; [unrolled: 1-line block ×10, first 2 shown]
	v_cmp_eq_u32_e32 vcc, 0, v73
	v_mbcnt_lo_u32_b32 v98, -1, 0
	s_cbranch_scc0 .LBB376_130
; %bb.60:
	v_cndmask_b32_e64 v37, 0, v32, s[26:27]
	v_cndmask_b32_e64 v36, 0, v33, s[26:27]
	v_add_co_u32_e64 v37, s[28:29], v37, v30
	v_addc_co_u32_e64 v36, s[28:29], v36, v31, s[28:29]
	v_cndmask_b32_e64 v37, 0, v37, s[24:25]
	v_cndmask_b32_e64 v36, 0, v36, s[24:25]
	v_add_co_u32_e64 v37, s[28:29], v37, v28
	v_addc_co_u32_e64 v36, s[28:29], v36, v29, s[28:29]
	v_cndmask_b32_e64 v37, 0, v37, s[22:23]
	v_cndmask_b32_e64 v36, 0, v36, s[22:23]
	v_add_co_u32_e64 v37, s[28:29], v37, v24
	v_addc_co_u32_e64 v36, s[28:29], v36, v25, s[28:29]
	v_cndmask_b32_e64 v37, 0, v37, s[20:21]
	v_cndmask_b32_e64 v36, 0, v36, s[20:21]
	v_add_co_u32_e64 v37, s[28:29], v37, v26
	v_addc_co_u32_e64 v36, s[28:29], v36, v27, s[28:29]
	v_cndmask_b32_e64 v37, 0, v37, s[18:19]
	v_cndmask_b32_e64 v36, 0, v36, s[18:19]
	v_add_co_u32_e64 v37, s[28:29], v37, v22
	v_addc_co_u32_e64 v36, s[28:29], v36, v23, s[28:29]
	v_cndmask_b32_e64 v37, 0, v37, s[16:17]
	v_cndmask_b32_e64 v36, 0, v36, s[16:17]
	v_add_co_u32_e64 v37, s[28:29], v37, v20
	v_addc_co_u32_e64 v36, s[28:29], v36, v21, s[28:29]
	v_cndmask_b32_e64 v37, 0, v37, s[14:15]
	v_cndmask_b32_e64 v36, 0, v36, s[14:15]
	v_add_co_u32_e64 v37, s[28:29], v37, v14
	v_addc_co_u32_e64 v36, s[28:29], v36, v15, s[28:29]
	v_cndmask_b32_e64 v37, 0, v37, s[12:13]
	v_cndmask_b32_e64 v36, 0, v36, s[12:13]
	v_add_co_u32_e64 v37, s[28:29], v37, v18
	v_addc_co_u32_e64 v36, s[28:29], v36, v19, s[28:29]
	v_cndmask_b32_e64 v37, 0, v37, s[10:11]
	v_cndmask_b32_e64 v36, 0, v36, s[10:11]
	v_add_co_u32_e64 v37, s[28:29], v37, v12
	v_addc_co_u32_e64 v36, s[28:29], v36, v13, s[28:29]
	v_cndmask_b32_e64 v37, 0, v37, s[8:9]
	v_cndmask_b32_e64 v36, 0, v36, s[8:9]
	v_add_co_u32_e64 v37, s[28:29], v37, v10
	v_addc_co_u32_e64 v36, s[28:29], v36, v11, s[28:29]
	v_cndmask_b32_e64 v37, 0, v37, s[6:7]
	v_cndmask_b32_e64 v36, 0, v36, s[6:7]
	v_add_co_u32_e64 v37, s[28:29], v37, v8
	v_addc_co_u32_e64 v36, s[28:29], v36, v9, s[28:29]
	v_cndmask_b32_e64 v37, 0, v37, s[4:5]
	v_add3_u32 v38, v99, v91, v88
	v_cndmask_b32_e64 v36, 0, v36, s[4:5]
	v_add_co_u32_e64 v37, s[28:29], v37, v6
	v_add3_u32 v38, v38, v86, v84
	v_addc_co_u32_e64 v36, s[28:29], v36, v7, s[28:29]
	v_cndmask_b32_e64 v37, 0, v37, s[2:3]
	v_add3_u32 v38, v38, v81, v80
	v_cndmask_b32_e64 v36, 0, v36, s[2:3]
	v_add_co_u32_e64 v37, s[28:29], v37, v16
	v_add3_u32 v38, v38, v77, v75
	v_addc_co_u32_e64 v36, s[28:29], v36, v17, s[28:29]
	v_cndmask_b32_e32 v37, 0, v37, vcc
	v_add3_u32 v40, v38, v74, v73
	v_cndmask_b32_e32 v36, 0, v36, vcc
	v_add_co_u32_e32 v38, vcc, v37, v34
	v_mbcnt_hi_u32_b32 v41, -1, v98
	v_addc_co_u32_e32 v39, vcc, v36, v35, vcc
	v_and_b32_e32 v36, 15, v41
	v_mov_b32_dpp v42, v40 row_shr:1 row_mask:0xf bank_mask:0xf
	v_mov_b32_dpp v37, v38 row_shr:1 row_mask:0xf bank_mask:0xf
	;; [unrolled: 1-line block ×3, first 2 shown]
	v_cmp_ne_u32_e32 vcc, 0, v36
	s_and_saveexec_b64 s[28:29], vcc
; %bb.61:
	v_cmp_eq_u32_e32 vcc, 0, v40
	v_cndmask_b32_e32 v37, 0, v37, vcc
	v_add_u32_e32 v42, v42, v40
	v_cndmask_b32_e32 v40, 0, v43, vcc
	v_add_co_u32_e32 v38, vcc, v37, v38
	v_addc_co_u32_e32 v39, vcc, v40, v39, vcc
	v_mov_b32_e32 v40, v42
; %bb.62:
	s_or_b64 exec, exec, s[28:29]
	s_nop 0
	v_mov_b32_dpp v42, v40 row_shr:2 row_mask:0xf bank_mask:0xf
	v_mov_b32_dpp v37, v38 row_shr:2 row_mask:0xf bank_mask:0xf
	v_mov_b32_dpp v43, v39 row_shr:2 row_mask:0xf bank_mask:0xf
	v_cmp_lt_u32_e32 vcc, 1, v36
	s_and_saveexec_b64 s[28:29], vcc
; %bb.63:
	v_cmp_eq_u32_e32 vcc, 0, v40
	v_cndmask_b32_e32 v37, 0, v37, vcc
	v_add_u32_e32 v42, v42, v40
	v_cndmask_b32_e32 v40, 0, v43, vcc
	v_add_co_u32_e32 v38, vcc, v37, v38
	v_addc_co_u32_e32 v39, vcc, v40, v39, vcc
	v_mov_b32_e32 v40, v42
; %bb.64:
	s_or_b64 exec, exec, s[28:29]
	s_nop 0
	v_mov_b32_dpp v42, v40 row_shr:4 row_mask:0xf bank_mask:0xf
	v_mov_b32_dpp v37, v38 row_shr:4 row_mask:0xf bank_mask:0xf
	v_mov_b32_dpp v43, v39 row_shr:4 row_mask:0xf bank_mask:0xf
	v_cmp_lt_u32_e32 vcc, 3, v36
	s_and_saveexec_b64 s[28:29], vcc
; %bb.65:
	v_cmp_eq_u32_e32 vcc, 0, v40
	v_cndmask_b32_e32 v37, 0, v37, vcc
	v_add_u32_e32 v42, v42, v40
	v_cndmask_b32_e32 v40, 0, v43, vcc
	v_add_co_u32_e32 v38, vcc, v37, v38
	v_addc_co_u32_e32 v39, vcc, v40, v39, vcc
	v_mov_b32_e32 v40, v42
; %bb.66:
	s_or_b64 exec, exec, s[28:29]
	s_nop 0
	v_mov_b32_dpp v42, v40 row_shr:8 row_mask:0xf bank_mask:0xf
	v_mov_b32_dpp v37, v38 row_shr:8 row_mask:0xf bank_mask:0xf
	v_mov_b32_dpp v43, v39 row_shr:8 row_mask:0xf bank_mask:0xf
	v_cmp_lt_u32_e32 vcc, 7, v36
	s_and_saveexec_b64 s[28:29], vcc
; %bb.67:
	v_cmp_eq_u32_e32 vcc, 0, v40
	v_cndmask_b32_e32 v37, 0, v37, vcc
	v_add_u32_e32 v36, v42, v40
	v_cndmask_b32_e32 v40, 0, v43, vcc
	v_add_co_u32_e32 v38, vcc, v37, v38
	v_addc_co_u32_e32 v39, vcc, v40, v39, vcc
	v_mov_b32_e32 v40, v36
; %bb.68:
	s_or_b64 exec, exec, s[28:29]
	v_and_b32_e32 v43, 16, v41
	v_mov_b32_dpp v37, v40 row_bcast:15 row_mask:0xf bank_mask:0xf
	v_mov_b32_dpp v36, v38 row_bcast:15 row_mask:0xf bank_mask:0xf
	;; [unrolled: 1-line block ×3, first 2 shown]
	v_cmp_ne_u32_e32 vcc, 0, v43
	s_and_saveexec_b64 s[28:29], vcc
; %bb.69:
	v_cmp_eq_u32_e32 vcc, 0, v40
	v_cndmask_b32_e32 v36, 0, v36, vcc
	v_add_u32_e32 v37, v37, v40
	v_cndmask_b32_e32 v40, 0, v42, vcc
	v_add_co_u32_e32 v38, vcc, v36, v38
	v_addc_co_u32_e32 v39, vcc, v40, v39, vcc
	v_mov_b32_e32 v40, v37
; %bb.70:
	s_or_b64 exec, exec, s[28:29]
	s_nop 0
	v_mov_b32_dpp v37, v40 row_bcast:31 row_mask:0xf bank_mask:0xf
	v_mov_b32_dpp v36, v38 row_bcast:31 row_mask:0xf bank_mask:0xf
	;; [unrolled: 1-line block ×3, first 2 shown]
	v_cmp_lt_u32_e32 vcc, 31, v41
	s_and_saveexec_b64 s[28:29], vcc
; %bb.71:
	v_cmp_eq_u32_e32 vcc, 0, v40
	v_cndmask_b32_e32 v36, 0, v36, vcc
	v_add_u32_e32 v37, v37, v40
	v_cndmask_b32_e32 v40, 0, v42, vcc
	v_add_co_u32_e32 v38, vcc, v36, v38
	v_addc_co_u32_e32 v39, vcc, v40, v39, vcc
	v_mov_b32_e32 v40, v37
; %bb.72:
	s_or_b64 exec, exec, s[28:29]
	v_lshrrev_b32_e32 v36, 6, v0
	v_or_b32_e32 v37, 63, v0
	v_cmp_eq_u32_e32 vcc, v37, v0
	v_lshlrev_b32_e32 v42, 4, v36
	s_and_saveexec_b64 s[28:29], vcc
	s_cbranch_execz .LBB376_74
; %bb.73:
	ds_write_b32 v42, v40 offset:544
	ds_write_b64 v42, v[38:39] offset:552
.LBB376_74:
	s_or_b64 exec, exec, s[28:29]
	v_cmp_gt_u32_e32 vcc, 4, v0
	s_waitcnt lgkmcnt(0)
	s_barrier
	s_and_saveexec_b64 s[28:29], vcc
	s_cbranch_execz .LBB376_80
; %bb.75:
	v_lshlrev_b32_e32 v43, 4, v0
	ds_read_b32 v44, v43 offset:544
	ds_read_b64 v[36:37], v43 offset:552
	v_and_b32_e32 v45, 3, v41
	v_cmp_ne_u32_e32 vcc, 0, v45
	s_waitcnt lgkmcnt(1)
	v_mov_b32_dpp v47, v44 row_shr:1 row_mask:0xf bank_mask:0xf
	s_waitcnt lgkmcnt(0)
	v_mov_b32_dpp v46, v36 row_shr:1 row_mask:0xf bank_mask:0xf
	v_mov_b32_dpp v48, v37 row_shr:1 row_mask:0xf bank_mask:0xf
	s_and_saveexec_b64 s[42:43], vcc
; %bb.76:
	v_cmp_eq_u32_e32 vcc, 0, v44
	v_cndmask_b32_e32 v46, 0, v46, vcc
	v_add_u32_e32 v47, v47, v44
	v_cndmask_b32_e32 v44, 0, v48, vcc
	v_add_co_u32_e32 v36, vcc, v46, v36
	v_addc_co_u32_e32 v37, vcc, v44, v37, vcc
	v_mov_b32_e32 v44, v47
; %bb.77:
	s_or_b64 exec, exec, s[42:43]
	s_nop 0
	v_mov_b32_dpp v47, v44 row_shr:2 row_mask:0xf bank_mask:0xf
	v_mov_b32_dpp v46, v36 row_shr:2 row_mask:0xf bank_mask:0xf
	;; [unrolled: 1-line block ×3, first 2 shown]
	v_cmp_lt_u32_e32 vcc, 1, v45
	s_and_saveexec_b64 s[42:43], vcc
; %bb.78:
	v_cmp_eq_u32_e32 vcc, 0, v44
	v_cndmask_b32_e32 v46, 0, v46, vcc
	v_add_u32_e32 v45, v47, v44
	v_cndmask_b32_e32 v44, 0, v48, vcc
	v_add_co_u32_e32 v36, vcc, v46, v36
	v_addc_co_u32_e32 v37, vcc, v44, v37, vcc
	v_mov_b32_e32 v44, v45
; %bb.79:
	s_or_b64 exec, exec, s[42:43]
	ds_write_b32 v43, v44 offset:544
	ds_write_b64 v43, v[36:37] offset:552
.LBB376_80:
	s_or_b64 exec, exec, s[28:29]
	v_cmp_gt_u32_e32 vcc, 64, v0
	v_cmp_lt_u32_e64 s[28:29], 63, v0
	v_pk_mov_b32 v[36:37], 0, 0
	v_mov_b32_e32 v48, 0
	s_waitcnt lgkmcnt(0)
	s_barrier
	s_and_saveexec_b64 s[42:43], s[28:29]
	s_cbranch_execz .LBB376_82
; %bb.81:
	ds_read_b32 v48, v42 offset:528
	ds_read_b64 v[36:37], v42 offset:536
	v_cmp_eq_u32_e64 s[28:29], 0, v40
	s_waitcnt lgkmcnt(1)
	v_add_u32_e32 v42, v48, v40
	s_waitcnt lgkmcnt(0)
	v_cndmask_b32_e64 v43, 0, v36, s[28:29]
	v_cndmask_b32_e64 v40, 0, v37, s[28:29]
	v_add_co_u32_e64 v38, s[28:29], v43, v38
	v_addc_co_u32_e64 v39, s[28:29], v40, v39, s[28:29]
	v_mov_b32_e32 v40, v42
.LBB376_82:
	s_or_b64 exec, exec, s[42:43]
	v_add_u32_e32 v42, -1, v41
	v_and_b32_e32 v43, 64, v41
	v_cmp_lt_i32_e64 s[28:29], v42, v43
	v_cndmask_b32_e64 v42, v42, v41, s[28:29]
	v_lshlrev_b32_e32 v42, 2, v42
	ds_bpermute_b32 v49, v42, v40
	ds_bpermute_b32 v50, v42, v38
	ds_bpermute_b32 v51, v42, v39
	v_cmp_eq_u32_e64 s[28:29], 0, v41
	s_and_saveexec_b64 s[42:43], vcc
	s_cbranch_execz .LBB376_129
; %bb.83:
	v_mov_b32_e32 v43, 0
	ds_read_b32 v52, v43 offset:592
	ds_read_b64 v[38:39], v43 offset:600
	s_and_saveexec_b64 s[48:49], s[28:29]
	s_cbranch_execz .LBB376_85
; %bb.84:
	s_add_i32 s58, s64, 64
	s_mov_b32 s59, 0
	s_lshl_b64 s[60:61], s[58:59], 4
	s_add_u32 s60, s36, s60
	s_addc_u32 s61, s37, s61
	v_mov_b32_e32 v40, s58
	v_mov_b32_e32 v42, 1
	s_waitcnt lgkmcnt(1)
	global_store_dword v43, v52, s[60:61]
	s_waitcnt lgkmcnt(0)
	global_store_dwordx2 v43, v[38:39], s[60:61] offset:8
	s_waitcnt vmcnt(0)
	buffer_wbinvl1_vol
	global_store_byte v40, v42, s[40:41]
.LBB376_85:
	s_or_b64 exec, exec, s[48:49]
	v_xad_u32 v40, v41, -1, s64
	v_add_u32_e32 v42, 64, v40
	global_load_ubyte v53, v42, s[40:41] glc
	s_waitcnt vmcnt(0)
	v_cmp_eq_u16_e32 vcc, 0, v53
	s_and_saveexec_b64 s[48:49], vcc
	s_cbranch_execz .LBB376_91
; %bb.86:
	v_mov_b32_e32 v45, s41
	v_add_co_u32_e32 v44, vcc, s40, v42
	v_addc_co_u32_e32 v45, vcc, 0, v45, vcc
	s_mov_b32 s60, 1
	s_mov_b64 s[58:59], 0
.LBB376_87:                             ; =>This Loop Header: Depth=1
                                        ;     Child Loop BB376_88 Depth 2
	s_max_u32 s61, s60, 1
.LBB376_88:                             ;   Parent Loop BB376_87 Depth=1
                                        ; =>  This Inner Loop Header: Depth=2
	s_add_i32 s61, s61, -1
	s_cmp_eq_u32 s61, 0
	s_sleep 1
	s_cbranch_scc0 .LBB376_88
; %bb.89:                               ;   in Loop: Header=BB376_87 Depth=1
	global_load_ubyte v53, v[44:45], off glc
	s_cmp_lt_u32 s60, 32
	s_cselect_b64 s[62:63], -1, 0
	s_cmp_lg_u64 s[62:63], 0
	s_addc_u32 s60, s60, 0
	s_waitcnt vmcnt(0)
	v_cmp_ne_u16_e32 vcc, 0, v53
	s_or_b64 s[58:59], vcc, s[58:59]
	s_andn2_b64 exec, exec, s[58:59]
	s_cbranch_execnz .LBB376_87
; %bb.90:
	s_or_b64 exec, exec, s[58:59]
.LBB376_91:
	s_or_b64 exec, exec, s[48:49]
	v_mov_b32_e32 v44, s39
	v_mov_b32_e32 v45, s37
	v_cmp_eq_u16_e32 vcc, 1, v53
	v_cndmask_b32_e32 v44, v44, v45, vcc
	v_mov_b32_e32 v45, s38
	v_mov_b32_e32 v46, s36
	v_cndmask_b32_e32 v45, v45, v46, vcc
	v_lshlrev_b64 v[42:43], 4, v[42:43]
	v_add_co_u32_e32 v42, vcc, v45, v42
	v_addc_co_u32_e32 v43, vcc, v44, v43, vcc
	s_waitcnt lgkmcnt(0)
	buffer_wbinvl1_vol
	global_load_dword v68, v[42:43], off
	global_load_dwordx2 v[46:47], v[42:43], off offset:8
	v_cmp_eq_u16_e32 vcc, 2, v53
	v_lshlrev_b64 v[42:43], v41, -1
	v_and_b32_e32 v54, 63, v41
	v_and_b32_e32 v44, vcc_hi, v43
	v_and_b32_e32 v58, vcc_lo, v42
	v_cmp_ne_u32_e32 vcc, 63, v54
	v_addc_co_u32_e32 v45, vcc, 0, v41, vcc
	v_lshlrev_b32_e32 v55, 2, v45
	v_or_b32_e32 v44, 0x80000000, v44
	v_ffbl_b32_e32 v44, v44
	v_add_u32_e32 v44, 32, v44
	v_ffbl_b32_e32 v58, v58
	v_min_u32_e32 v44, v58, v44
	v_cmp_lt_u32_e32 vcc, v54, v44
	s_waitcnt vmcnt(1)
	ds_bpermute_b32 v56, v55, v68
	s_waitcnt vmcnt(0)
	ds_bpermute_b32 v45, v55, v46
	ds_bpermute_b32 v57, v55, v47
	s_and_saveexec_b64 s[48:49], vcc
	s_cbranch_execz .LBB376_93
; %bb.92:
	v_cmp_eq_u32_e32 vcc, 0, v68
	s_waitcnt lgkmcnt(1)
	v_cndmask_b32_e32 v45, 0, v45, vcc
	v_add_u32_e32 v56, v56, v68
	s_waitcnt lgkmcnt(0)
	v_cndmask_b32_e32 v57, 0, v57, vcc
	v_add_co_u32_e32 v46, vcc, v45, v46
	v_addc_co_u32_e32 v47, vcc, v57, v47, vcc
	v_mov_b32_e32 v68, v56
.LBB376_93:
	s_or_b64 exec, exec, s[48:49]
	v_cmp_gt_u32_e32 vcc, 62, v54
	s_waitcnt lgkmcnt(1)
	v_cndmask_b32_e64 v45, 0, 1, vcc
	v_lshlrev_b32_e32 v45, 1, v45
	v_add_lshl_u32 v56, v45, v41, 2
	ds_bpermute_b32 v58, v56, v68
	ds_bpermute_b32 v45, v56, v46
	ds_bpermute_b32 v59, v56, v47
	s_waitcnt lgkmcnt(3)
	v_add_u32_e32 v57, 2, v54
	v_cmp_le_u32_e32 vcc, v57, v44
	s_and_saveexec_b64 s[48:49], vcc
	s_cbranch_execz .LBB376_95
; %bb.94:
	v_cmp_eq_u32_e32 vcc, 0, v68
	s_waitcnt lgkmcnt(1)
	v_cndmask_b32_e32 v45, 0, v45, vcc
	v_add_u32_e32 v58, v58, v68
	s_waitcnt lgkmcnt(0)
	v_cndmask_b32_e32 v59, 0, v59, vcc
	v_add_co_u32_e32 v46, vcc, v45, v46
	v_addc_co_u32_e32 v47, vcc, v59, v47, vcc
	v_mov_b32_e32 v68, v58
.LBB376_95:
	s_or_b64 exec, exec, s[48:49]
	v_cmp_gt_u32_e32 vcc, 60, v54
	s_waitcnt lgkmcnt(1)
	v_cndmask_b32_e64 v45, 0, 1, vcc
	v_lshlrev_b32_e32 v45, 2, v45
	v_add_lshl_u32 v58, v45, v41, 2
	ds_bpermute_b32 v60, v58, v68
	ds_bpermute_b32 v45, v58, v46
	ds_bpermute_b32 v61, v58, v47
	s_waitcnt lgkmcnt(3)
	v_add_u32_e32 v59, 4, v54
	v_cmp_le_u32_e32 vcc, v59, v44
	;; [unrolled: 25-line block ×4, first 2 shown]
	s_and_saveexec_b64 s[48:49], vcc
	s_cbranch_execz .LBB376_101
; %bb.100:
	v_cmp_eq_u32_e32 vcc, 0, v68
	s_waitcnt lgkmcnt(1)
	v_cndmask_b32_e32 v45, 0, v45, vcc
	v_add_u32_e32 v64, v64, v68
	s_waitcnt lgkmcnt(0)
	v_cndmask_b32_e32 v65, 0, v65, vcc
	v_add_co_u32_e32 v46, vcc, v45, v46
	v_addc_co_u32_e32 v47, vcc, v65, v47, vcc
	v_mov_b32_e32 v68, v64
.LBB376_101:
	s_or_b64 exec, exec, s[48:49]
	v_cmp_gt_u32_e32 vcc, 32, v54
	s_waitcnt lgkmcnt(1)
	v_cndmask_b32_e64 v45, 0, 1, vcc
	v_lshlrev_b32_e32 v45, 5, v45
	v_add_lshl_u32 v64, v45, v41, 2
	ds_bpermute_b32 v45, v64, v68
	ds_bpermute_b32 v41, v64, v46
	s_waitcnt lgkmcnt(2)
	ds_bpermute_b32 v65, v64, v47
	v_add_u32_e32 v66, 32, v54
	v_cmp_le_u32_e32 vcc, v66, v44
	s_and_saveexec_b64 s[48:49], vcc
	s_cbranch_execz .LBB376_103
; %bb.102:
	v_cmp_eq_u32_e32 vcc, 0, v68
	s_waitcnt lgkmcnt(1)
	v_cndmask_b32_e32 v41, 0, v41, vcc
	v_add_u32_e32 v44, v45, v68
	s_waitcnt lgkmcnt(0)
	v_cndmask_b32_e32 v45, 0, v65, vcc
	v_add_co_u32_e32 v46, vcc, v41, v46
	v_addc_co_u32_e32 v47, vcc, v45, v47, vcc
	v_mov_b32_e32 v68, v44
.LBB376_103:
	s_or_b64 exec, exec, s[48:49]
	s_waitcnt lgkmcnt(1)
	v_mov_b32_e32 v41, 0
	v_mov_b32_e32 v67, 2
	s_branch .LBB376_105
.LBB376_104:                            ;   in Loop: Header=BB376_105 Depth=1
	s_or_b64 exec, exec, s[48:49]
	v_cmp_eq_u32_e32 vcc, 0, v65
	v_cndmask_b32_e32 v46, 0, v46, vcc
	v_cndmask_b32_e32 v47, 0, v47, vcc
	v_add_co_u32_e32 v46, vcc, v46, v44
	v_subrev_u32_e32 v40, 64, v40
	v_add_u32_e32 v68, v69, v65
	v_addc_co_u32_e32 v47, vcc, v47, v45, vcc
.LBB376_105:                            ; =>This Loop Header: Depth=1
                                        ;     Child Loop BB376_108 Depth 2
                                        ;       Child Loop BB376_109 Depth 3
	v_cmp_ne_u16_sdwa s[48:49], v53, v67 src0_sel:BYTE_0 src1_sel:DWORD
	v_pk_mov_b32 v[44:45], v[46:47], v[46:47] op_sel:[0,1]
	v_cndmask_b32_e64 v46, 0, 1, s[48:49]
	;;#ASMSTART
	;;#ASMEND
	v_cmp_ne_u32_e32 vcc, 0, v46
	s_cmp_lg_u64 vcc, exec
	s_waitcnt lgkmcnt(0)
	v_mov_b32_e32 v65, v68
	s_cbranch_scc1 .LBB376_124
; %bb.106:                              ;   in Loop: Header=BB376_105 Depth=1
	global_load_ubyte v53, v40, s[40:41] glc
	s_waitcnt vmcnt(0)
	v_cmp_eq_u16_e32 vcc, 0, v53
	s_and_saveexec_b64 s[48:49], vcc
	s_cbranch_execz .LBB376_112
; %bb.107:                              ;   in Loop: Header=BB376_105 Depth=1
	v_mov_b32_e32 v47, s41
	v_add_co_u32_e32 v46, vcc, s40, v40
	v_addc_co_u32_e32 v47, vcc, 0, v47, vcc
	s_mov_b32 s60, 1
	s_mov_b64 s[58:59], 0
.LBB376_108:                            ;   Parent Loop BB376_105 Depth=1
                                        ; =>  This Loop Header: Depth=2
                                        ;       Child Loop BB376_109 Depth 3
	s_max_u32 s61, s60, 1
.LBB376_109:                            ;   Parent Loop BB376_105 Depth=1
                                        ;     Parent Loop BB376_108 Depth=2
                                        ; =>    This Inner Loop Header: Depth=3
	s_add_i32 s61, s61, -1
	s_cmp_eq_u32 s61, 0
	s_sleep 1
	s_cbranch_scc0 .LBB376_109
; %bb.110:                              ;   in Loop: Header=BB376_108 Depth=2
	global_load_ubyte v53, v[46:47], off glc
	s_cmp_lt_u32 s60, 32
	s_cselect_b64 s[62:63], -1, 0
	s_cmp_lg_u64 s[62:63], 0
	s_addc_u32 s60, s60, 0
	s_waitcnt vmcnt(0)
	v_cmp_ne_u16_e32 vcc, 0, v53
	s_or_b64 s[58:59], vcc, s[58:59]
	s_andn2_b64 exec, exec, s[58:59]
	s_cbranch_execnz .LBB376_108
; %bb.111:                              ;   in Loop: Header=BB376_105 Depth=1
	s_or_b64 exec, exec, s[58:59]
.LBB376_112:                            ;   in Loop: Header=BB376_105 Depth=1
	s_or_b64 exec, exec, s[48:49]
	v_mov_b32_e32 v46, s39
	v_mov_b32_e32 v47, s37
	v_cmp_eq_u16_e32 vcc, 1, v53
	v_cndmask_b32_e32 v68, v46, v47, vcc
	v_mov_b32_e32 v46, s38
	v_mov_b32_e32 v47, s36
	v_cndmask_b32_e32 v69, v46, v47, vcc
	v_lshlrev_b64 v[46:47], 4, v[40:41]
	v_add_co_u32_e32 v46, vcc, v69, v46
	v_addc_co_u32_e32 v47, vcc, v68, v47, vcc
	buffer_wbinvl1_vol
	global_load_dword v69, v[46:47], off
	s_nop 0
	global_load_dwordx2 v[46:47], v[46:47], off offset:8
	v_cmp_eq_u16_e32 vcc, 2, v53
	v_and_b32_e32 v68, vcc_hi, v43
	v_or_b32_e32 v68, 0x80000000, v68
	v_and_b32_e32 v100, vcc_lo, v42
	v_ffbl_b32_e32 v68, v68
	v_add_u32_e32 v68, 32, v68
	v_ffbl_b32_e32 v100, v100
	v_min_u32_e32 v68, v100, v68
	v_cmp_lt_u32_e32 vcc, v54, v68
	s_waitcnt vmcnt(1)
	ds_bpermute_b32 v71, v55, v69
	s_waitcnt vmcnt(0)
	ds_bpermute_b32 v70, v55, v46
	ds_bpermute_b32 v97, v55, v47
	s_and_saveexec_b64 s[48:49], vcc
	s_cbranch_execz .LBB376_114
; %bb.113:                              ;   in Loop: Header=BB376_105 Depth=1
	v_cmp_eq_u32_e32 vcc, 0, v69
	s_waitcnt lgkmcnt(1)
	v_cndmask_b32_e32 v70, 0, v70, vcc
	v_add_u32_e32 v71, v71, v69
	s_waitcnt lgkmcnt(0)
	v_cndmask_b32_e32 v69, 0, v97, vcc
	v_add_co_u32_e32 v46, vcc, v70, v46
	v_addc_co_u32_e32 v47, vcc, v69, v47, vcc
	v_mov_b32_e32 v69, v71
.LBB376_114:                            ;   in Loop: Header=BB376_105 Depth=1
	s_or_b64 exec, exec, s[48:49]
	s_waitcnt lgkmcnt(2)
	ds_bpermute_b32 v71, v56, v69
	s_waitcnt lgkmcnt(2)
	ds_bpermute_b32 v70, v56, v46
	s_waitcnt lgkmcnt(2)
	ds_bpermute_b32 v97, v56, v47
	v_cmp_le_u32_e32 vcc, v57, v68
	s_and_saveexec_b64 s[48:49], vcc
	s_cbranch_execz .LBB376_116
; %bb.115:                              ;   in Loop: Header=BB376_105 Depth=1
	v_cmp_eq_u32_e32 vcc, 0, v69
	s_waitcnt lgkmcnt(1)
	v_cndmask_b32_e32 v70, 0, v70, vcc
	v_add_u32_e32 v71, v71, v69
	s_waitcnt lgkmcnt(0)
	v_cndmask_b32_e32 v69, 0, v97, vcc
	v_add_co_u32_e32 v46, vcc, v70, v46
	v_addc_co_u32_e32 v47, vcc, v69, v47, vcc
	v_mov_b32_e32 v69, v71
.LBB376_116:                            ;   in Loop: Header=BB376_105 Depth=1
	s_or_b64 exec, exec, s[48:49]
	s_waitcnt lgkmcnt(2)
	ds_bpermute_b32 v71, v58, v69
	s_waitcnt lgkmcnt(2)
	ds_bpermute_b32 v70, v58, v46
	s_waitcnt lgkmcnt(2)
	ds_bpermute_b32 v97, v58, v47
	v_cmp_le_u32_e32 vcc, v59, v68
	;; [unrolled: 21-line block ×5, first 2 shown]
	s_and_saveexec_b64 s[48:49], vcc
	s_cbranch_execz .LBB376_104
; %bb.123:                              ;   in Loop: Header=BB376_105 Depth=1
	v_cmp_eq_u32_e32 vcc, 0, v69
	s_waitcnt lgkmcnt(1)
	v_cndmask_b32_e32 v70, 0, v70, vcc
	v_add_u32_e32 v68, v71, v69
	s_waitcnt lgkmcnt(0)
	v_cndmask_b32_e32 v69, 0, v97, vcc
	v_add_co_u32_e32 v46, vcc, v70, v46
	v_addc_co_u32_e32 v47, vcc, v69, v47, vcc
	v_mov_b32_e32 v69, v68
	s_branch .LBB376_104
.LBB376_124:                            ;   in Loop: Header=BB376_105 Depth=1
                                        ; implicit-def: $vgpr46_vgpr47
                                        ; implicit-def: $vgpr68
                                        ; implicit-def: $vgpr53
	s_cbranch_execz .LBB376_105
; %bb.125:
	s_and_saveexec_b64 s[36:37], s[28:29]
	s_cbranch_execz .LBB376_127
; %bb.126:
	s_mov_b32 s49, 0
	v_cmp_eq_u32_e32 vcc, 0, v52
	s_add_i32 s48, s64, 64
	v_cndmask_b32_e32 v40, 0, v44, vcc
	s_lshl_b64 s[58:59], s[48:49], 4
	v_cndmask_b32_e32 v41, 0, v45, vcc
	v_add_co_u32_e32 v40, vcc, v40, v38
	s_add_u32 s58, s38, s58
	v_add_u32_e32 v42, v65, v52
	v_addc_co_u32_e32 v41, vcc, v41, v39, vcc
	s_addc_u32 s59, s39, s59
	v_mov_b32_e32 v43, 0
	global_store_dword v43, v42, s[58:59]
	global_store_dwordx2 v43, v[40:41], s[58:59] offset:8
	v_mov_b32_e32 v40, s48
	v_mov_b32_e32 v41, 2
	s_waitcnt vmcnt(0) lgkmcnt(0)
	buffer_wbinvl1_vol
	global_store_byte v40, v41, s[40:41]
	ds_write_b32 v43, v52 offset:512
	ds_write_b64 v43, v[38:39] offset:520
	ds_write_b32 v43, v65 offset:528
	ds_write_b64 v43, v[44:45] offset:536
.LBB376_127:
	s_or_b64 exec, exec, s[36:37]
	s_and_b64 exec, exec, s[0:1]
	s_cbranch_execz .LBB376_129
; %bb.128:
	v_mov_b32_e32 v38, 0
	ds_write_b32 v38, v65 offset:592
	ds_write_b64 v38, v[44:45] offset:600
.LBB376_129:
	s_or_b64 exec, exec, s[42:43]
	v_mov_b32_e32 v41, 0
	s_waitcnt lgkmcnt(0)
	s_barrier
	ds_read_b32 v40, v41 offset:592
	ds_read_b64 v[38:39], v41 offset:600
	v_cndmask_b32_e64 v42, v49, v48, s[28:29]
	v_cmp_eq_u32_e32 vcc, 0, v42
	v_cndmask_b32_e64 v36, v50, v36, s[28:29]
	v_cndmask_b32_e64 v37, v51, v37, s[28:29]
	s_waitcnt lgkmcnt(0)
	v_cndmask_b32_e32 v44, 0, v38, vcc
	v_cndmask_b32_e32 v43, 0, v39, vcc
	v_add_co_u32_e32 v36, vcc, v44, v36
	v_addc_co_u32_e32 v37, vcc, v43, v37, vcc
	v_cndmask_b32_e64 v66, v36, v38, s[0:1]
	v_cmp_eq_u32_e32 vcc, 0, v96
	v_cndmask_b32_e64 v42, v42, 0, s[0:1]
	v_cndmask_b32_e64 v67, v37, v39, s[0:1]
	v_cndmask_b32_e32 v37, 0, v66, vcc
	v_add_u32_e32 v97, v40, v42
	v_cndmask_b32_e32 v36, 0, v67, vcc
	v_add_co_u32_e32 v42, vcc, v37, v32
	v_addc_co_u32_e32 v43, vcc, v36, v33, vcc
	v_cndmask_b32_e64 v37, 0, v42, s[26:27]
	v_cndmask_b32_e64 v36, 0, v43, s[26:27]
	v_add_co_u32_e32 v44, vcc, v37, v30
	v_addc_co_u32_e32 v45, vcc, v36, v31, vcc
	v_cndmask_b32_e64 v37, 0, v44, s[24:25]
	v_cndmask_b32_e64 v36, 0, v45, s[24:25]
	;; [unrolled: 4-line block ×11, first 2 shown]
	v_add_co_u32_e32 v64, vcc, v37, v8
	v_addc_co_u32_e32 v65, vcc, v36, v9, vcc
	s_barrier
	ds_read_b32 v36, v41 offset:512
	ds_read_b64 v[38:39], v41 offset:520
	ds_read_b32 v40, v41 offset:528
	ds_read_b64 v[100:101], v41 offset:536
	v_cndmask_b32_e64 v68, 0, v64, s[4:5]
	v_cndmask_b32_e64 v37, 0, v65, s[4:5]
	v_add_co_u32_e32 v68, vcc, v68, v6
	v_addc_co_u32_e32 v69, vcc, v37, v7, vcc
	s_waitcnt lgkmcnt(3)
	v_cmp_eq_u32_e32 vcc, 0, v36
	s_waitcnt lgkmcnt(0)
	v_cndmask_b32_e32 v41, 0, v100, vcc
	v_cndmask_b32_e32 v37, 0, v101, vcc
	v_add_co_u32_e32 v38, vcc, v41, v38
	v_cndmask_b32_e64 v71, 0, v69, s[2:3]
	v_cndmask_b32_e64 v70, 0, v68, s[2:3]
	v_addc_co_u32_e32 v39, vcc, v37, v39, vcc
	s_branch .LBB376_158
.LBB376_130:
                                        ; implicit-def: $vgpr36
                                        ; implicit-def: $vgpr38_vgpr39
                                        ; implicit-def: $vgpr40
                                        ; implicit-def: $vgpr66_vgpr67
                                        ; implicit-def: $vgpr42_vgpr43
                                        ; implicit-def: $vgpr44_vgpr45
                                        ; implicit-def: $vgpr46_vgpr47
                                        ; implicit-def: $vgpr48_vgpr49
                                        ; implicit-def: $vgpr50_vgpr51
                                        ; implicit-def: $vgpr52_vgpr53
                                        ; implicit-def: $vgpr54_vgpr55
                                        ; implicit-def: $vgpr56_vgpr57
                                        ; implicit-def: $vgpr58_vgpr59
                                        ; implicit-def: $vgpr60_vgpr61
                                        ; implicit-def: $vgpr62_vgpr63
                                        ; implicit-def: $vgpr64_vgpr65
                                        ; implicit-def: $vgpr68_vgpr69
                                        ; implicit-def: $vgpr70_vgpr71
                                        ; implicit-def: $vgpr97
	s_cbranch_execz .LBB376_158
; %bb.131:
	s_and_b64 s[2:3], s[34:35], exec
	s_cselect_b32 s3, 0, s31
	s_cselect_b32 s2, 0, s30
	s_cmp_eq_u64 s[2:3], 0
	v_pk_mov_b32 v[40:41], v[32:33], v[32:33] op_sel:[0,1]
	s_cbranch_scc1 .LBB376_133
; %bb.132:
	v_mov_b32_e32 v36, 0
	global_load_dwordx2 v[40:41], v36, s[2:3]
.LBB376_133:
	v_cmp_eq_u32_e64 s[24:25], 0, v95
	v_cndmask_b32_e64 v37, 0, v32, s[24:25]
	v_cndmask_b32_e64 v36, 0, v33, s[24:25]
	v_add_co_u32_e32 v37, vcc, v37, v30
	v_cmp_eq_u32_e64 s[22:23], 0, v94
	v_addc_co_u32_e32 v36, vcc, v36, v31, vcc
	v_cndmask_b32_e64 v37, 0, v37, s[22:23]
	v_cndmask_b32_e64 v36, 0, v36, s[22:23]
	v_add_co_u32_e32 v37, vcc, v37, v28
	v_cmp_eq_u32_e64 s[20:21], 0, v93
	v_addc_co_u32_e32 v36, vcc, v36, v29, vcc
	;; [unrolled: 5-line block ×11, first 2 shown]
	v_cndmask_b32_e64 v37, 0, v37, s[4:5]
	v_cndmask_b32_e64 v36, 0, v36, s[4:5]
	v_add_co_u32_e32 v37, vcc, v37, v6
	v_addc_co_u32_e32 v36, vcc, v36, v7, vcc
	v_cmp_eq_u32_e32 vcc, 0, v74
	v_cndmask_b32_e32 v37, 0, v37, vcc
	v_add3_u32 v38, v99, v91, v88
	v_cndmask_b32_e32 v36, 0, v36, vcc
	v_add_co_u32_e64 v37, s[26:27], v37, v16
	v_add3_u32 v38, v38, v86, v84
	v_addc_co_u32_e64 v36, s[26:27], v36, v17, s[26:27]
	v_add3_u32 v38, v38, v81, v80
	v_cmp_eq_u32_e64 s[26:27], 0, v73
	v_add3_u32 v38, v38, v77, v75
	v_cndmask_b32_e64 v37, 0, v37, s[26:27]
	v_add3_u32 v39, v38, v74, v73
	v_cndmask_b32_e64 v36, 0, v36, s[26:27]
	v_add_co_u32_e64 v34, s[26:27], v37, v34
	v_mbcnt_hi_u32_b32 v38, -1, v98
	v_addc_co_u32_e64 v35, s[26:27], v36, v35, s[26:27]
	v_and_b32_e32 v36, 15, v38
	v_mov_b32_dpp v42, v39 row_shr:1 row_mask:0xf bank_mask:0xf
	v_mov_b32_dpp v37, v34 row_shr:1 row_mask:0xf bank_mask:0xf
	;; [unrolled: 1-line block ×3, first 2 shown]
	v_cmp_ne_u32_e64 s[26:27], 0, v36
	s_and_saveexec_b64 s[28:29], s[26:27]
; %bb.134:
	v_cmp_eq_u32_e64 s[26:27], 0, v39
	v_cndmask_b32_e64 v37, 0, v37, s[26:27]
	v_add_u32_e32 v42, v42, v39
	v_cndmask_b32_e64 v39, 0, v43, s[26:27]
	v_add_co_u32_e64 v34, s[26:27], v37, v34
	v_addc_co_u32_e64 v35, s[26:27], v39, v35, s[26:27]
	v_mov_b32_e32 v39, v42
; %bb.135:
	s_or_b64 exec, exec, s[28:29]
	s_nop 0
	v_mov_b32_dpp v42, v39 row_shr:2 row_mask:0xf bank_mask:0xf
	v_mov_b32_dpp v37, v34 row_shr:2 row_mask:0xf bank_mask:0xf
	v_mov_b32_dpp v43, v35 row_shr:2 row_mask:0xf bank_mask:0xf
	v_cmp_lt_u32_e64 s[26:27], 1, v36
	s_and_saveexec_b64 s[28:29], s[26:27]
; %bb.136:
	v_cmp_eq_u32_e64 s[26:27], 0, v39
	v_cndmask_b32_e64 v37, 0, v37, s[26:27]
	v_add_u32_e32 v42, v42, v39
	v_cndmask_b32_e64 v39, 0, v43, s[26:27]
	v_add_co_u32_e64 v34, s[26:27], v37, v34
	v_addc_co_u32_e64 v35, s[26:27], v39, v35, s[26:27]
	v_mov_b32_e32 v39, v42
; %bb.137:
	s_or_b64 exec, exec, s[28:29]
	s_nop 0
	v_mov_b32_dpp v42, v39 row_shr:4 row_mask:0xf bank_mask:0xf
	v_mov_b32_dpp v37, v34 row_shr:4 row_mask:0xf bank_mask:0xf
	v_mov_b32_dpp v43, v35 row_shr:4 row_mask:0xf bank_mask:0xf
	v_cmp_lt_u32_e64 s[26:27], 3, v36
	s_and_saveexec_b64 s[28:29], s[26:27]
; %bb.138:
	v_cmp_eq_u32_e64 s[26:27], 0, v39
	v_cndmask_b32_e64 v37, 0, v37, s[26:27]
	v_add_u32_e32 v42, v42, v39
	v_cndmask_b32_e64 v39, 0, v43, s[26:27]
	v_add_co_u32_e64 v34, s[26:27], v37, v34
	v_addc_co_u32_e64 v35, s[26:27], v39, v35, s[26:27]
	v_mov_b32_e32 v39, v42
; %bb.139:
	s_or_b64 exec, exec, s[28:29]
	s_nop 0
	v_mov_b32_dpp v42, v39 row_shr:8 row_mask:0xf bank_mask:0xf
	v_mov_b32_dpp v37, v34 row_shr:8 row_mask:0xf bank_mask:0xf
	v_mov_b32_dpp v43, v35 row_shr:8 row_mask:0xf bank_mask:0xf
	v_cmp_lt_u32_e64 s[26:27], 7, v36
	s_and_saveexec_b64 s[28:29], s[26:27]
; %bb.140:
	v_cmp_eq_u32_e64 s[26:27], 0, v39
	v_cndmask_b32_e64 v37, 0, v37, s[26:27]
	v_add_u32_e32 v36, v42, v39
	v_cndmask_b32_e64 v39, 0, v43, s[26:27]
	v_add_co_u32_e64 v34, s[26:27], v37, v34
	v_addc_co_u32_e64 v35, s[26:27], v39, v35, s[26:27]
	v_mov_b32_e32 v39, v36
; %bb.141:
	s_or_b64 exec, exec, s[28:29]
	v_and_b32_e32 v43, 16, v38
	v_mov_b32_dpp v37, v39 row_bcast:15 row_mask:0xf bank_mask:0xf
	v_mov_b32_dpp v36, v34 row_bcast:15 row_mask:0xf bank_mask:0xf
	v_mov_b32_dpp v42, v35 row_bcast:15 row_mask:0xf bank_mask:0xf
	v_cmp_ne_u32_e64 s[26:27], 0, v43
	s_and_saveexec_b64 s[28:29], s[26:27]
; %bb.142:
	v_cmp_eq_u32_e64 s[26:27], 0, v39
	v_cndmask_b32_e64 v36, 0, v36, s[26:27]
	v_add_u32_e32 v37, v37, v39
	v_cndmask_b32_e64 v39, 0, v42, s[26:27]
	v_add_co_u32_e64 v34, s[26:27], v36, v34
	v_addc_co_u32_e64 v35, s[26:27], v39, v35, s[26:27]
	v_mov_b32_e32 v39, v37
; %bb.143:
	s_or_b64 exec, exec, s[28:29]
	s_nop 0
	v_mov_b32_dpp v37, v39 row_bcast:31 row_mask:0xf bank_mask:0xf
	v_mov_b32_dpp v36, v34 row_bcast:31 row_mask:0xf bank_mask:0xf
	v_mov_b32_dpp v42, v35 row_bcast:31 row_mask:0xf bank_mask:0xf
	v_cmp_lt_u32_e64 s[26:27], 31, v38
	s_and_saveexec_b64 s[28:29], s[26:27]
; %bb.144:
	v_cmp_eq_u32_e64 s[26:27], 0, v39
	v_cndmask_b32_e64 v36, 0, v36, s[26:27]
	v_add_u32_e32 v37, v37, v39
	v_cndmask_b32_e64 v39, 0, v42, s[26:27]
	v_add_co_u32_e64 v34, s[26:27], v36, v34
	v_addc_co_u32_e64 v35, s[26:27], v39, v35, s[26:27]
	v_mov_b32_e32 v39, v37
; %bb.145:
	s_or_b64 exec, exec, s[28:29]
	v_or_b32_e32 v36, 63, v0
	v_lshrrev_b32_e32 v42, 6, v0
	v_cmp_eq_u32_e64 s[26:27], v36, v0
	s_and_saveexec_b64 s[28:29], s[26:27]
	s_cbranch_execz .LBB376_147
; %bb.146:
	v_lshlrev_b32_e32 v36, 4, v42
	ds_write_b32 v36, v39 offset:544
	ds_write_b64 v36, v[34:35] offset:552
.LBB376_147:
	s_or_b64 exec, exec, s[28:29]
	v_cmp_gt_u32_e64 s[26:27], 4, v0
	s_waitcnt lgkmcnt(0)
	s_barrier
	s_and_saveexec_b64 s[28:29], s[26:27]
	s_cbranch_execz .LBB376_153
; %bb.148:
	v_lshlrev_b32_e32 v43, 4, v0
	ds_read_b32 v44, v43 offset:544
	ds_read_b64 v[36:37], v43 offset:552
	v_and_b32_e32 v45, 3, v38
	v_cmp_ne_u32_e64 s[26:27], 0, v45
	s_waitcnt lgkmcnt(1)
	v_mov_b32_dpp v47, v44 row_shr:1 row_mask:0xf bank_mask:0xf
	s_waitcnt lgkmcnt(0)
	v_mov_b32_dpp v46, v36 row_shr:1 row_mask:0xf bank_mask:0xf
	v_mov_b32_dpp v48, v37 row_shr:1 row_mask:0xf bank_mask:0xf
	s_and_saveexec_b64 s[30:31], s[26:27]
; %bb.149:
	v_cmp_eq_u32_e64 s[26:27], 0, v44
	v_cndmask_b32_e64 v46, 0, v46, s[26:27]
	v_add_u32_e32 v47, v47, v44
	v_cndmask_b32_e64 v44, 0, v48, s[26:27]
	v_add_co_u32_e64 v36, s[26:27], v46, v36
	v_addc_co_u32_e64 v37, s[26:27], v44, v37, s[26:27]
	v_mov_b32_e32 v44, v47
; %bb.150:
	s_or_b64 exec, exec, s[30:31]
	s_nop 0
	v_mov_b32_dpp v47, v44 row_shr:2 row_mask:0xf bank_mask:0xf
	v_mov_b32_dpp v46, v36 row_shr:2 row_mask:0xf bank_mask:0xf
	;; [unrolled: 1-line block ×3, first 2 shown]
	v_cmp_lt_u32_e64 s[26:27], 1, v45
	s_and_saveexec_b64 s[30:31], s[26:27]
; %bb.151:
	v_cmp_eq_u32_e64 s[26:27], 0, v44
	v_cndmask_b32_e64 v46, 0, v46, s[26:27]
	v_add_u32_e32 v45, v47, v44
	v_cndmask_b32_e64 v44, 0, v48, s[26:27]
	v_add_co_u32_e64 v36, s[26:27], v46, v36
	v_addc_co_u32_e64 v37, s[26:27], v44, v37, s[26:27]
	v_mov_b32_e32 v44, v45
; %bb.152:
	s_or_b64 exec, exec, s[30:31]
	ds_write_b32 v43, v44 offset:544
	ds_write_b64 v43, v[36:37] offset:552
.LBB376_153:
	s_or_b64 exec, exec, s[28:29]
	v_cmp_lt_u32_e64 s[26:27], 63, v0
	v_mov_b32_e32 v98, 0
	v_mov_b32_e32 v43, 0
	s_waitcnt vmcnt(0)
	v_pk_mov_b32 v[36:37], v[40:41], v[40:41] op_sel:[0,1]
	s_waitcnt lgkmcnt(0)
	s_barrier
	s_and_saveexec_b64 s[28:29], s[26:27]
	s_cbranch_execz .LBB376_155
; %bb.154:
	v_lshlrev_b32_e32 v36, 4, v42
	ds_read_b32 v43, v36 offset:528
	ds_read_b64 v[36:37], v36 offset:536
	s_waitcnt lgkmcnt(1)
	v_cmp_eq_u32_e64 s[26:27], 0, v43
	v_cndmask_b32_e64 v44, 0, v40, s[26:27]
	v_cndmask_b32_e64 v42, 0, v41, s[26:27]
	s_waitcnt lgkmcnt(0)
	v_add_co_u32_e64 v36, s[26:27], v44, v36
	v_addc_co_u32_e64 v37, s[26:27], v42, v37, s[26:27]
.LBB376_155:
	s_or_b64 exec, exec, s[28:29]
	v_cmp_eq_u32_e64 s[26:27], 0, v39
	v_cndmask_b32_e64 v44, 0, v36, s[26:27]
	v_add_u32_e32 v42, v43, v39
	v_cndmask_b32_e64 v39, 0, v37, s[26:27]
	v_add_co_u32_e64 v34, s[26:27], v44, v34
	v_addc_co_u32_e64 v35, s[26:27], v39, v35, s[26:27]
	v_add_u32_e32 v39, -1, v38
	v_and_b32_e32 v44, 64, v38
	v_cmp_lt_i32_e64 s[26:27], v39, v44
	v_cndmask_b32_e64 v39, v39, v38, s[26:27]
	v_lshlrev_b32_e32 v39, 2, v39
	ds_bpermute_b32 v34, v39, v34
	ds_bpermute_b32 v42, v39, v42
	;; [unrolled: 1-line block ×3, first 2 shown]
	v_cmp_eq_u32_e64 s[26:27], 0, v38
	s_waitcnt lgkmcnt(2)
	v_cndmask_b32_e64 v66, v34, v36, s[26:27]
	s_waitcnt lgkmcnt(1)
	v_cndmask_b32_e64 v97, v42, v43, s[26:27]
	;; [unrolled: 2-line block ×3, first 2 shown]
	v_cndmask_b32_e64 v34, v66, v40, s[0:1]
	v_cmp_eq_u32_e64 s[26:27], 0, v96
	v_cndmask_b32_e64 v35, v67, v41, s[0:1]
	v_cndmask_b32_e64 v34, 0, v34, s[26:27]
	;; [unrolled: 1-line block ×3, first 2 shown]
	v_add_co_u32_e64 v42, s[26:27], v34, v32
	v_addc_co_u32_e64 v43, s[26:27], v35, v33, s[26:27]
	v_cndmask_b32_e64 v33, 0, v42, s[24:25]
	v_cndmask_b32_e64 v32, 0, v43, s[24:25]
	v_add_co_u32_e64 v44, s[24:25], v33, v30
	v_addc_co_u32_e64 v45, s[24:25], v32, v31, s[24:25]
	v_cndmask_b32_e64 v31, 0, v44, s[22:23]
	v_cndmask_b32_e64 v30, 0, v45, s[22:23]
	;; [unrolled: 4-line block ×11, first 2 shown]
	v_add_co_u32_e64 v64, s[2:3], v11, v8
	v_addc_co_u32_e64 v65, s[2:3], v10, v9, s[2:3]
	v_cndmask_b32_e64 v9, 0, v64, s[4:5]
	ds_read_b32 v36, v98 offset:592
	v_cndmask_b32_e64 v8, 0, v65, s[4:5]
	v_add_co_u32_e64 v68, s[2:3], v9, v6
	v_addc_co_u32_e64 v69, s[2:3], v8, v7, s[2:3]
	ds_read_b64 v[6:7], v98 offset:600
	v_cndmask_b32_e32 v71, 0, v69, vcc
	v_cndmask_b32_e32 v70, 0, v68, vcc
	s_waitcnt lgkmcnt(1)
	v_cmp_eq_u32_e32 vcc, 0, v36
	v_cndmask_b32_e32 v9, 0, v40, vcc
	v_cndmask_b32_e32 v8, 0, v41, vcc
	s_waitcnt lgkmcnt(0)
	v_add_co_u32_e32 v38, vcc, v9, v6
	v_addc_co_u32_e32 v39, vcc, v8, v7, vcc
	s_and_saveexec_b64 s[2:3], s[0:1]
	s_cbranch_execz .LBB376_157
; %bb.156:
	v_mov_b32_e32 v97, 0
	v_mov_b32_e32 v6, 2
	v_pk_mov_b32 v[66:67], v[40:41], v[40:41] op_sel:[0,1]
	global_store_dword v97, v36, s[38:39] offset:1024
	global_store_dwordx2 v97, v[38:39], s[38:39] offset:1032
	s_waitcnt vmcnt(0)
	buffer_wbinvl1_vol
	global_store_byte v97, v6, s[40:41] offset:64
.LBB376_157:
	s_or_b64 exec, exec, s[2:3]
	v_mov_b32_e32 v40, 0
.LBB376_158:
	s_and_b64 s[2:3], s[34:35], exec
	s_cselect_b32 s3, 0, s51
	s_cselect_b32 s2, 0, s50
	s_cmp_eq_u64 s[2:3], 0
	v_pk_mov_b32 v[18:19], 0, 0
	s_barrier
	s_cbranch_scc1 .LBB376_160
; %bb.159:
	v_mov_b32_e32 v6, 0
	global_load_dwordx2 v[18:19], v6, s[2:3]
.LBB376_160:
	v_mov_b32_e32 v6, s53
	s_waitcnt vmcnt(0)
	v_add_co_u32_e32 v7, vcc, s52, v18
	v_addc_co_u32_e32 v6, vcc, v6, v19, vcc
	v_add_co_u32_e32 v20, vcc, v7, v40
	v_addc_co_u32_e32 v21, vcc, 0, v6, vcc
	v_cmp_eq_u32_e32 vcc, 0, v96
	v_cndmask_b32_e64 v6, 1, 2, vcc
	v_cmp_eq_u32_e32 vcc, 0, v95
	v_cndmask_b32_e64 v7, 1, 2, vcc
	v_cmp_eq_u32_e32 vcc, 0, v94
	v_and_b32_e32 v6, v7, v6
	v_cndmask_b32_e64 v7, 1, 2, vcc
	v_cmp_eq_u32_e32 vcc, 0, v93
	v_add_u32_e32 v35, v97, v96
	v_and_b32_e32 v6, v6, v7
	v_cndmask_b32_e64 v7, 1, 2, vcc
	v_cmp_eq_u32_e32 vcc, 0, v92
	v_add_u32_e32 v34, v35, v95
	v_and_b32_e32 v6, v6, v7
	v_cndmask_b32_e64 v7, 1, 2, vcc
	v_cmp_eq_u32_e32 vcc, 0, v91
	v_add_u32_e32 v33, v34, v94
	v_and_b32_e32 v6, v6, v7
	v_cndmask_b32_e64 v7, 1, 2, vcc
	v_cmp_eq_u32_e32 vcc, 0, v88
	v_add_u32_e32 v32, v33, v93
	v_and_b32_e32 v6, v6, v7
	v_cndmask_b32_e64 v7, 1, 2, vcc
	v_cmp_eq_u32_e32 vcc, 0, v86
	v_add_u32_e32 v31, v32, v92
	v_and_b32_e32 v6, v6, v7
	v_cndmask_b32_e64 v7, 1, 2, vcc
	v_cmp_eq_u32_e32 vcc, 0, v84
	v_add_u32_e32 v30, v31, v91
	v_and_b32_e32 v6, v6, v7
	v_cndmask_b32_e64 v7, 1, 2, vcc
	v_cmp_eq_u32_e32 vcc, 0, v81
	v_add_u32_e32 v29, v30, v88
	v_and_b32_e32 v6, v6, v7
	v_cndmask_b32_e64 v7, 1, 2, vcc
	v_cmp_eq_u32_e32 vcc, 0, v80
	v_add_u32_e32 v28, v29, v86
	v_and_b32_e32 v6, v6, v7
	v_cndmask_b32_e64 v7, 1, 2, vcc
	v_cmp_eq_u32_e32 vcc, 0, v77
	v_add_u32_e32 v27, v28, v84
	v_and_b32_e32 v6, v6, v7
	v_cndmask_b32_e64 v7, 1, 2, vcc
	v_cmp_eq_u32_e32 vcc, 0, v75
	v_add_u32_e32 v26, v27, v81
	v_and_b32_e32 v6, v6, v7
	v_cndmask_b32_e64 v7, 1, 2, vcc
	v_cmp_eq_u32_e32 vcc, 0, v74
	v_add_u32_e32 v25, v26, v80
	v_and_b32_e32 v6, v6, v7
	v_cndmask_b32_e64 v7, 1, 2, vcc
	v_cmp_eq_u32_e32 vcc, 0, v73
	v_add_u32_e32 v24, v25, v77
	v_and_b32_e32 v6, v6, v7
	v_cndmask_b32_e64 v7, 1, 2, vcc
	s_movk_i32 s34, 0x100
	v_add_u32_e32 v23, v24, v75
	v_and_b32_e32 v6, v6, v7
	v_cmp_gt_u32_e32 vcc, s34, v36
	v_add_u32_e32 v22, v23, v74
	v_mov_b32_e32 v41, 0
	v_cmp_ne_u32_e64 s[30:31], 0, v96
	v_cmp_ne_u32_e64 s[28:29], 0, v95
	;; [unrolled: 1-line block ×15, first 2 shown]
	s_mov_b64 s[36:37], -1
	v_cmp_gt_i16_e64 s[34:35], 2, v6
	s_cbranch_vccz .LBB376_167
; %bb.161:
	s_and_saveexec_b64 s[36:37], s[34:35]
	s_cbranch_execz .LBB376_166
; %bb.162:
	v_cmp_ne_u16_e32 vcc, 1, v6
	s_mov_b64 s[38:39], 0
	s_and_saveexec_b64 s[34:35], vcc
	s_xor_b64 s[34:35], exec, s[34:35]
	s_cbranch_execnz .LBB376_210
; %bb.163:
	s_andn2_saveexec_b64 s[34:35], s[34:35]
	s_cbranch_execnz .LBB376_226
.LBB376_164:
	s_or_b64 exec, exec, s[34:35]
	s_and_b64 exec, exec, s[38:39]
	s_cbranch_execz .LBB376_166
.LBB376_165:
	v_sub_u32_e32 v7, v22, v40
	v_readfirstlane_b32 s34, v20
	v_readfirstlane_b32 s35, v21
	s_nop 4
	global_store_byte v7, v1, s[34:35]
.LBB376_166:
	s_or_b64 exec, exec, s[36:37]
	s_mov_b64 s[36:37], 0
.LBB376_167:
	s_and_b64 vcc, exec, s[36:37]
	s_cbranch_vccz .LBB376_188
; %bb.168:
	v_cmp_gt_i16_e32 vcc, 2, v6
	s_and_saveexec_b64 s[34:35], vcc
	s_cbranch_execz .LBB376_173
; %bb.169:
	v_cmp_ne_u16_e32 vcc, 1, v6
	s_mov_b64 s[38:39], 0
	s_and_saveexec_b64 s[36:37], vcc
	s_xor_b64 s[36:37], exec, s[36:37]
	s_cbranch_execnz .LBB376_227
; %bb.170:
	s_andn2_saveexec_b64 s[2:3], s[36:37]
	s_cbranch_execnz .LBB376_243
.LBB376_171:
	s_or_b64 exec, exec, s[2:3]
	s_and_b64 exec, exec, s[38:39]
	s_cbranch_execz .LBB376_173
.LBB376_172:
	v_sub_u32_e32 v2, v22, v40
	ds_write_b8 v2, v1
.LBB376_173:
	s_or_b64 exec, exec, s[34:35]
	v_cmp_lt_u32_e32 vcc, v0, v36
	s_waitcnt lgkmcnt(0)
	s_barrier
	s_and_saveexec_b64 s[2:3], vcc
	s_cbranch_execz .LBB376_187
; %bb.174:
	v_xad_u32 v2, v0, -1, v36
	s_movk_i32 s4, 0x1700
	s_movk_i32 s6, 0x16ff
	v_cmp_gt_u32_e64 s[4:5], s4, v2
	v_cmp_lt_u32_e32 vcc, s6, v2
	v_mov_b32_e32 v1, v0
	s_and_saveexec_b64 s[6:7], vcc
	s_cbranch_execz .LBB376_184
; %bb.175:
	v_sub_u32_e32 v1, v0, v36
	v_or_b32_e32 v1, 0xff, v1
	v_cmp_ge_u32_e32 vcc, v1, v0
	s_mov_b64 s[10:11], -1
	v_mov_b32_e32 v1, v0
	s_and_saveexec_b64 s[8:9], vcc
	s_cbranch_execz .LBB376_183
; %bb.176:
	v_lshrrev_b32_e32 v37, 8, v2
	v_or_b32_e32 v7, 0x700, v0
	v_or_b32_e32 v6, 0x600, v0
	;; [unrolled: 1-line block ×7, first 2 shown]
	v_add_u32_e32 v72, -7, v37
	v_pk_mov_b32 v[14:15], v[6:7], v[6:7] op_sel:[0,1]
	v_cmp_lt_u32_e32 vcc, 7, v72
	v_mov_b32_e32 v79, 0
	v_pk_mov_b32 v[12:13], v[4:5], v[4:5] op_sel:[0,1]
	v_pk_mov_b32 v[10:11], v[2:3], v[2:3] op_sel:[0,1]
	;; [unrolled: 1-line block ×3, first 2 shown]
	s_and_saveexec_b64 s[10:11], vcc
	s_cbranch_execz .LBB376_180
; %bb.177:
	v_lshrrev_b32_e32 v8, 3, v72
	v_add_u32_e32 v8, 1, v8
	v_and_b32_e32 v76, 0x3ffffffe, v8
	v_pk_mov_b32 v[14:15], v[6:7], v[6:7] op_sel:[0,1]
	s_mov_b32 s14, 0
	s_mov_b64 s[12:13], 0
	v_mov_b32_e32 v78, v0
	v_pk_mov_b32 v[12:13], v[4:5], v[4:5] op_sel:[0,1]
	v_pk_mov_b32 v[10:11], v[2:3], v[2:3] op_sel:[0,1]
	;; [unrolled: 1-line block ×3, first 2 shown]
.LBB376_178:                            ; =>This Inner Loop Header: Depth=1
	v_add_co_u32_e32 v2, vcc, v20, v8
	v_addc_co_u32_e32 v3, vcc, 0, v21, vcc
	v_add_co_u32_e32 v4, vcc, v20, v9
	v_addc_co_u32_e32 v5, vcc, 0, v21, vcc
	;; [unrolled: 2-line block ×8, first 2 shown]
	v_add_u32_e32 v106, 0x800, v8
	v_add_co_u32_e32 v106, vcc, v20, v106
	v_add_u32_e32 v108, 0x800, v9
	v_addc_co_u32_e32 v107, vcc, 0, v21, vcc
	v_add_co_u32_e32 v108, vcc, v20, v108
	v_add_u32_e32 v110, 0x800, v10
	v_addc_co_u32_e32 v109, vcc, 0, v21, vcc
	;; [unrolled: 3-line block ×6, first 2 shown]
	v_add_co_u32_e32 v118, vcc, v20, v118
	ds_read_u8 v1, v78
	ds_read_u8 v85, v78 offset:256
	ds_read_u8 v87, v78 offset:512
	;; [unrolled: 1-line block ×7, first 2 shown]
	v_add_u32_e32 v79, 0x800, v15
	ds_read_u8 v125, v78 offset:2048
	ds_read_u8 v126, v78 offset:2304
	;; [unrolled: 1-line block ×8, first 2 shown]
	v_addc_co_u32_e32 v119, vcc, 0, v21, vcc
	v_add_co_u32_e32 v120, vcc, v20, v79
	v_add_u32_e32 v76, -2, v76
	v_addc_co_u32_e32 v121, vcc, 0, v21, vcc
	s_add_i32 s14, s14, 16
	v_cmp_eq_u32_e32 vcc, 0, v76
	v_add_u32_e32 v15, 0x1000, v15
	v_add_u32_e32 v14, 0x1000, v14
	;; [unrolled: 1-line block ×9, first 2 shown]
	v_mov_b32_e32 v79, s14
	s_or_b64 s[12:13], vcc, s[12:13]
	s_waitcnt lgkmcnt(14)
	global_store_byte v[2:3], v1, off
	global_store_byte v[4:5], v85, off
	s_waitcnt lgkmcnt(13)
	global_store_byte v[6:7], v87, off
	s_waitcnt lgkmcnt(12)
	;; [unrolled: 2-line block ×14, first 2 shown]
	global_store_byte v[120:121], v132, off
	s_andn2_b64 exec, exec, s[12:13]
	s_cbranch_execnz .LBB376_178
; %bb.179:
	s_or_b64 exec, exec, s[12:13]
.LBB376_180:
	s_or_b64 exec, exec, s[10:11]
	v_and_b32_e32 v1, 8, v72
	v_cmp_eq_u32_e32 vcc, 0, v1
	s_and_saveexec_b64 s[10:11], vcc
	s_cbranch_execz .LBB376_182
; %bb.181:
	v_add_co_u32_e32 v2, vcc, v20, v8
	v_addc_co_u32_e32 v3, vcc, 0, v21, vcc
	v_add_co_u32_e32 v4, vcc, v20, v9
	v_addc_co_u32_e32 v5, vcc, 0, v21, vcc
	;; [unrolled: 2-line block ×4, first 2 shown]
	v_add_co_u32_e32 v10, vcc, v20, v12
	v_lshl_or_b32 v1, v79, 8, v0
	v_addc_co_u32_e32 v11, vcc, 0, v21, vcc
	v_add_co_u32_e32 v12, vcc, v20, v13
	ds_read_u8 v72, v1
	ds_read_u8 v76, v1 offset:256
	ds_read_u8 v82, v1 offset:512
	;; [unrolled: 1-line block ×7, first 2 shown]
	v_addc_co_u32_e32 v13, vcc, 0, v21, vcc
	v_add_co_u32_e32 v78, vcc, v20, v14
	v_addc_co_u32_e32 v79, vcc, 0, v21, vcc
	v_add_co_u32_e32 v14, vcc, v20, v15
	v_addc_co_u32_e32 v15, vcc, 0, v21, vcc
	s_waitcnt lgkmcnt(7)
	global_store_byte v[2:3], v72, off
	s_waitcnt lgkmcnt(6)
	global_store_byte v[4:5], v76, off
	;; [unrolled: 2-line block ×8, first 2 shown]
.LBB376_182:
	s_or_b64 exec, exec, s[10:11]
	v_add_u32_e32 v2, 1, v37
	v_and_b32_e32 v3, 0x1fffff8, v2
	v_cmp_ne_u32_e32 vcc, v2, v3
	v_lshl_or_b32 v1, v3, 8, v0
	s_orn2_b64 s[10:11], vcc, exec
.LBB376_183:
	s_or_b64 exec, exec, s[8:9]
	s_andn2_b64 s[4:5], s[4:5], exec
	s_and_b64 s[8:9], s[10:11], exec
	s_or_b64 s[4:5], s[4:5], s[8:9]
.LBB376_184:
	s_or_b64 exec, exec, s[6:7]
	s_and_b64 exec, exec, s[4:5]
	s_cbranch_execz .LBB376_187
; %bb.185:
	s_mov_b64 s[4:5], 0
.LBB376_186:                            ; =>This Inner Loop Header: Depth=1
	ds_read_u8 v2, v1
	v_readfirstlane_b32 s6, v20
	v_readfirstlane_b32 s7, v21
	s_waitcnt lgkmcnt(0)
	s_nop 3
	global_store_byte v1, v2, s[6:7]
	v_add_u32_e32 v1, 0x100, v1
	v_cmp_ge_u32_e32 vcc, v1, v36
	s_or_b64 s[4:5], vcc, s[4:5]
	s_andn2_b64 exec, exec, s[4:5]
	s_cbranch_execnz .LBB376_186
.LBB376_187:
	s_or_b64 exec, exec, s[2:3]
.LBB376_188:
	s_cmpk_lg_i32 s33, 0xf00
	s_cselect_b64 s[2:3], -1, 0
	v_cndmask_b32_e64 v8, 0, 1, s[46:47]
	s_and_b64 s[2:3], s[2:3], s[44:45]
	v_sub_u32_e32 v1, v36, v8
	v_cndmask_b32_e64 v4, 0, 1, s[2:3]
	s_and_b64 s[0:1], s[0:1], s[46:47]
	v_add_co_u32_e32 v2, vcc, v70, v16
	v_add_u32_e32 v1, v1, v4
	v_cndmask_b32_e64 v4, v96, 0, s[0:1]
	s_mul_hi_u32 s0, s33, 0x88888889
	v_addc_co_u32_e32 v3, vcc, v71, v17, vcc
	s_lshr_b32 s0, s0, 3
	v_mad_i32_i24 v5, v0, -15, s33
	v_cmp_eq_u32_e32 vcc, s0, v0
	v_cmp_ne_u32_e64 s[0:1], 0, v5
	v_cndmask_b32_e64 v6, 1, v4, s[0:1]
	v_cmp_ne_u32_e64 s[0:1], 1, v5
	v_cndmask_b32_e64 v7, 1, v95, s[0:1]
	;; [unrolled: 2-line block ×15, first 2 shown]
	s_and_b64 vcc, vcc, s[44:45]
	v_cndmask_b32_e32 v70, v73, v5, vcc
	v_cndmask_b32_e32 v72, v4, v6, vcc
	v_lshlrev_b64 v[4:5], 3, v[18:19]
	v_cndmask_b32_e32 v37, v74, v37, vcc
	v_cndmask_b32_e32 v21, v75, v21, vcc
	v_cndmask_b32_e32 v20, v77, v20, vcc
	v_cndmask_b32_e32 v17, v80, v17, vcc
	v_cndmask_b32_e32 v16, v81, v16, vcc
	v_cndmask_b32_e32 v15, v84, v15, vcc
	v_cndmask_b32_e32 v14, v86, v14, vcc
	v_cndmask_b32_e32 v13, v88, v13, vcc
	v_cndmask_b32_e32 v12, v91, v12, vcc
	v_cndmask_b32_e32 v11, v92, v11, vcc
	v_cndmask_b32_e32 v10, v93, v10, vcc
	v_cndmask_b32_e32 v9, v94, v9, vcc
	v_cndmask_b32_e32 v71, v95, v7, vcc
	v_mov_b32_e32 v6, s55
	v_add_co_u32_e32 v7, vcc, s54, v4
	v_addc_co_u32_e32 v6, vcc, v6, v5, vcc
	v_lshlrev_b64 v[4:5], 3, v[40:41]
	v_add_co_u32_e32 v4, vcc, v7, v4
	v_addc_co_u32_e32 v5, vcc, v6, v5, vcc
	v_lshlrev_b32_e32 v6, 3, v8
	v_add_co_u32_e32 v6, vcc, v6, v4
	v_addc_co_u32_e32 v7, vcc, 0, v5, vcc
	v_add_co_u32_e32 v6, vcc, -8, v6
	v_addc_co_u32_e32 v7, vcc, -1, v7, vcc
	v_cmp_eq_u32_e32 vcc, 0, v72
	v_cndmask_b32_e64 v41, 1, 2, vcc
	v_cmp_eq_u32_e32 vcc, 0, v71
	v_cmp_ne_u32_e64 s[26:27], 0, v71
	v_cndmask_b32_e64 v71, 1, 2, vcc
	v_cmp_eq_u32_e32 vcc, 0, v9
	v_and_b32_e32 v41, v71, v41
	v_cmp_ne_u32_e64 s[24:25], 0, v9
	v_cndmask_b32_e64 v9, 1, 2, vcc
	v_cmp_eq_u32_e32 vcc, 0, v10
	v_and_b32_e32 v9, v41, v9
	;; [unrolled: 4-line block ×3, first 2 shown]
	v_cndmask_b32_e64 v10, 1, 2, vcc
	v_cmp_eq_u32_e32 vcc, 0, v12
	v_and_b32_e32 v9, v9, v10
	v_cndmask_b32_e64 v10, 1, 2, vcc
	v_cmp_eq_u32_e32 vcc, 0, v13
	v_and_b32_e32 v9, v9, v10
	;; [unrolled: 3-line block ×10, first 2 shown]
	v_cndmask_b32_e64 v10, 1, 2, vcc
	s_movk_i32 s30, 0x100
	v_and_b32_e32 v9, v9, v10
	v_cmp_gt_u32_e32 vcc, s30, v1
	v_add_u32_e32 v8, v40, v8
	v_cmp_ne_u32_e64 s[28:29], 0, v72
	v_cmp_ne_u32_e64 s[20:21], 0, v11
	;; [unrolled: 1-line block ×12, first 2 shown]
	s_mov_b64 s[34:35], -1
	v_cmp_gt_i16_e64 s[30:31], 2, v9
	s_barrier
	s_cbranch_vccz .LBB376_195
; %bb.189:
	s_and_saveexec_b64 s[34:35], s[30:31]
	s_cbranch_execz .LBB376_194
; %bb.190:
	v_cmp_ne_u16_e32 vcc, 1, v9
	s_mov_b64 s[36:37], 0
	s_and_saveexec_b64 s[30:31], vcc
	s_xor_b64 s[30:31], exec, s[30:31]
	s_cbranch_execnz .LBB376_244
; %bb.191:
	s_andn2_saveexec_b64 s[30:31], s[30:31]
	s_cbranch_execnz .LBB376_260
.LBB376_192:
	s_or_b64 exec, exec, s[30:31]
	s_and_b64 exec, exec, s[36:37]
	s_cbranch_execz .LBB376_194
.LBB376_193:
	v_sub_u32_e32 v10, v22, v8
	v_mov_b32_e32 v11, 0
	v_lshlrev_b64 v[10:11], 3, v[10:11]
	v_add_co_u32_e32 v10, vcc, v6, v10
	v_addc_co_u32_e32 v11, vcc, v7, v11, vcc
	global_store_dwordx2 v[10:11], v[2:3], off
.LBB376_194:
	s_or_b64 exec, exec, s[34:35]
	s_mov_b64 s[34:35], 0
.LBB376_195:
	s_and_b64 vcc, exec, s[34:35]
	s_cbranch_vccz .LBB376_205
; %bb.196:
	v_cmp_gt_i16_e32 vcc, 2, v9
	s_and_saveexec_b64 s[30:31], vcc
	s_cbranch_execz .LBB376_201
; %bb.197:
	v_cmp_ne_u16_e32 vcc, 1, v9
	s_mov_b64 s[36:37], 0
	s_and_saveexec_b64 s[34:35], vcc
	s_xor_b64 s[34:35], exec, s[34:35]
	s_cbranch_execnz .LBB376_261
; %bb.198:
	s_andn2_saveexec_b64 s[0:1], s[34:35]
	s_cbranch_execnz .LBB376_277
.LBB376_199:
	s_or_b64 exec, exec, s[0:1]
	s_and_b64 exec, exec, s[36:37]
	s_cbranch_execz .LBB376_201
.LBB376_200:
	v_sub_u32_e32 v8, v22, v8
	v_lshlrev_b32_e32 v8, 3, v8
	ds_write_b64 v8, v[2:3]
.LBB376_201:
	s_or_b64 exec, exec, s[30:31]
	v_cmp_lt_u32_e32 vcc, v0, v1
	s_waitcnt lgkmcnt(0)
	s_barrier
	s_and_saveexec_b64 s[0:1], vcc
	s_cbranch_execz .LBB376_204
; %bb.202:
	v_lshlrev_b32_e32 v8, 3, v0
	s_mov_b64 s[2:3], 0
	v_mov_b32_e32 v3, 0
	v_mov_b32_e32 v2, v0
.LBB376_203:                            ; =>This Inner Loop Header: Depth=1
	v_lshlrev_b64 v[10:11], 3, v[2:3]
	ds_read_b64 v[12:13], v8
	v_add_co_u32_e32 v10, vcc, v6, v10
	v_add_u32_e32 v2, 0x100, v2
	v_addc_co_u32_e32 v11, vcc, v7, v11, vcc
	v_cmp_ge_u32_e32 vcc, v2, v1
	v_add_u32_e32 v8, 0x800, v8
	s_or_b64 s[2:3], vcc, s[2:3]
	s_waitcnt lgkmcnt(0)
	global_store_dwordx2 v[10:11], v[12:13], off
	s_andn2_b64 exec, exec, s[2:3]
	s_cbranch_execnz .LBB376_203
.LBB376_204:
	s_or_b64 exec, exec, s[0:1]
.LBB376_205:
	s_movk_i32 s0, 0xff
	v_cmp_eq_u32_e32 vcc, s0, v0
	s_and_b64 s[0:1], vcc, s[44:45]
	s_and_saveexec_b64 s[2:3], s[0:1]
	s_cbranch_execz .LBB376_208
; %bb.206:
	v_add_co_u32_e32 v0, vcc, v36, v40
	v_addc_co_u32_e64 v1, s[0:1], 0, 0, vcc
	v_add_co_u32_e32 v0, vcc, v0, v18
	v_mov_b32_e32 v37, 0
	v_addc_co_u32_e32 v1, vcc, v1, v19, vcc
	s_cmpk_lg_i32 s33, 0xf00
	global_store_dwordx2 v37, v[0:1], s[56:57]
	s_cbranch_scc1 .LBB376_208
; %bb.207:
	v_lshlrev_b64 v[0:1], 3, v[36:37]
	v_add_co_u32_e32 v0, vcc, v4, v0
	v_addc_co_u32_e32 v1, vcc, v5, v1, vcc
	global_store_dwordx2 v[0:1], v[38:39], off offset:-8
.LBB376_208:
	s_endpgm
.LBB376_209:
	s_or_b64 exec, exec, s[10:11]
	v_mov_b32_e32 v96, s14
	s_and_saveexec_b64 s[2:3], s[6:7]
	s_cbranch_execnz .LBB376_58
	s_branch .LBB376_59
.LBB376_210:
	s_and_saveexec_b64 s[38:39], s[30:31]
	s_cbranch_execnz .LBB376_278
; %bb.211:
	s_or_b64 exec, exec, s[38:39]
	s_and_saveexec_b64 s[38:39], s[28:29]
	s_cbranch_execnz .LBB376_279
.LBB376_212:
	s_or_b64 exec, exec, s[38:39]
	s_and_saveexec_b64 s[38:39], s[26:27]
	s_cbranch_execnz .LBB376_280
.LBB376_213:
	s_or_b64 exec, exec, s[38:39]
	s_and_saveexec_b64 s[38:39], s[24:25]
	s_cbranch_execnz .LBB376_281
.LBB376_214:
	s_or_b64 exec, exec, s[38:39]
	s_and_saveexec_b64 s[38:39], s[22:23]
	s_cbranch_execnz .LBB376_282
.LBB376_215:
	s_or_b64 exec, exec, s[38:39]
	s_and_saveexec_b64 s[38:39], s[20:21]
	s_cbranch_execnz .LBB376_283
.LBB376_216:
	s_or_b64 exec, exec, s[38:39]
	s_and_saveexec_b64 s[38:39], s[18:19]
	s_cbranch_execnz .LBB376_284
.LBB376_217:
	s_or_b64 exec, exec, s[38:39]
	s_and_saveexec_b64 s[38:39], s[16:17]
	s_cbranch_execnz .LBB376_285
.LBB376_218:
	s_or_b64 exec, exec, s[38:39]
	s_and_saveexec_b64 s[38:39], s[14:15]
	s_cbranch_execnz .LBB376_286
.LBB376_219:
	s_or_b64 exec, exec, s[38:39]
	s_and_saveexec_b64 s[38:39], s[12:13]
	s_cbranch_execnz .LBB376_287
.LBB376_220:
	s_or_b64 exec, exec, s[38:39]
	s_and_saveexec_b64 s[38:39], s[10:11]
	s_cbranch_execnz .LBB376_288
.LBB376_221:
	s_or_b64 exec, exec, s[38:39]
	s_and_saveexec_b64 s[38:39], s[8:9]
	s_cbranch_execnz .LBB376_289
.LBB376_222:
	s_or_b64 exec, exec, s[38:39]
	s_and_saveexec_b64 s[38:39], s[6:7]
	s_cbranch_execnz .LBB376_290
.LBB376_223:
	s_or_b64 exec, exec, s[38:39]
	s_and_saveexec_b64 s[38:39], s[4:5]
	s_cbranch_execz .LBB376_225
.LBB376_224:
	v_sub_u32_e32 v7, v23, v40
	v_readfirstlane_b32 s40, v20
	v_readfirstlane_b32 s41, v21
	s_nop 4
	global_store_byte v7, v5, s[40:41]
.LBB376_225:
	s_or_b64 exec, exec, s[38:39]
	s_and_b64 s[38:39], s[2:3], exec
	s_andn2_saveexec_b64 s[34:35], s[34:35]
	s_cbranch_execz .LBB376_164
.LBB376_226:
	v_sub_u32_e32 v7, v97, v40
	v_readfirstlane_b32 s40, v20
	v_readfirstlane_b32 s41, v21
	s_or_b64 s[38:39], s[38:39], exec
	s_nop 3
	global_store_byte v7, v2, s[40:41]
	v_sub_u32_e32 v7, v35, v40
	global_store_byte v7, v90, s[40:41]
	v_sub_u32_e32 v7, v34, v40
	;; [unrolled: 2-line block ×13, first 2 shown]
	global_store_byte v7, v5, s[40:41]
	s_or_b64 exec, exec, s[34:35]
	s_and_b64 exec, exec, s[38:39]
	s_cbranch_execnz .LBB376_165
	s_branch .LBB376_166
.LBB376_227:
	s_and_saveexec_b64 s[38:39], s[30:31]
	s_cbranch_execnz .LBB376_291
; %bb.228:
	s_or_b64 exec, exec, s[38:39]
	s_and_saveexec_b64 s[30:31], s[28:29]
	s_cbranch_execnz .LBB376_292
.LBB376_229:
	s_or_b64 exec, exec, s[30:31]
	s_and_saveexec_b64 s[28:29], s[26:27]
	s_cbranch_execnz .LBB376_293
.LBB376_230:
	s_or_b64 exec, exec, s[28:29]
	s_and_saveexec_b64 s[26:27], s[24:25]
	s_cbranch_execnz .LBB376_294
.LBB376_231:
	s_or_b64 exec, exec, s[26:27]
	s_and_saveexec_b64 s[24:25], s[22:23]
	s_cbranch_execnz .LBB376_295
.LBB376_232:
	s_or_b64 exec, exec, s[24:25]
	s_and_saveexec_b64 s[22:23], s[20:21]
	s_cbranch_execnz .LBB376_296
.LBB376_233:
	s_or_b64 exec, exec, s[22:23]
	s_and_saveexec_b64 s[20:21], s[18:19]
	s_cbranch_execnz .LBB376_297
.LBB376_234:
	s_or_b64 exec, exec, s[20:21]
	s_and_saveexec_b64 s[18:19], s[16:17]
	s_cbranch_execnz .LBB376_298
.LBB376_235:
	s_or_b64 exec, exec, s[18:19]
	s_and_saveexec_b64 s[16:17], s[14:15]
	s_cbranch_execnz .LBB376_299
.LBB376_236:
	s_or_b64 exec, exec, s[16:17]
	s_and_saveexec_b64 s[14:15], s[12:13]
	s_cbranch_execnz .LBB376_300
.LBB376_237:
	s_or_b64 exec, exec, s[14:15]
	s_and_saveexec_b64 s[12:13], s[10:11]
	s_cbranch_execnz .LBB376_301
.LBB376_238:
	s_or_b64 exec, exec, s[12:13]
	s_and_saveexec_b64 s[10:11], s[8:9]
	s_cbranch_execnz .LBB376_302
.LBB376_239:
	s_or_b64 exec, exec, s[10:11]
	s_and_saveexec_b64 s[8:9], s[6:7]
	s_cbranch_execnz .LBB376_303
.LBB376_240:
	s_or_b64 exec, exec, s[8:9]
	s_and_saveexec_b64 s[6:7], s[4:5]
	s_cbranch_execz .LBB376_242
.LBB376_241:
	v_sub_u32_e32 v2, v23, v40
	ds_write_b8 v2, v5
.LBB376_242:
	s_or_b64 exec, exec, s[6:7]
	s_and_b64 s[38:39], s[2:3], exec
                                        ; implicit-def: $vgpr2
                                        ; implicit-def: $vgpr90
                                        ; implicit-def: $vgpr89
                                        ; implicit-def: $vgpr87
                                        ; implicit-def: $vgpr85
                                        ; implicit-def: $vgpr83
                                        ; implicit-def: $vgpr82
                                        ; implicit-def: $vgpr79
                                        ; implicit-def: $vgpr78
                                        ; implicit-def: $vgpr76
                                        ; implicit-def: $vgpr72
                                        ; implicit-def: $vgpr5
	s_andn2_saveexec_b64 s[2:3], s[36:37]
	s_cbranch_execz .LBB376_171
.LBB376_243:
	v_sub_u32_e32 v6, v97, v40
	ds_write_b8 v6, v2
	v_sub_u32_e32 v2, v35, v40
	ds_write_b8 v2, v90
	;; [unrolled: 2-line block ×13, first 2 shown]
	v_sub_u32_e32 v2, v23, v40
	s_or_b64 s[38:39], s[38:39], exec
	ds_write_b8 v2, v5
	s_or_b64 exec, exec, s[2:3]
	s_and_b64 exec, exec, s[38:39]
	s_cbranch_execnz .LBB376_172
	s_branch .LBB376_173
.LBB376_244:
	s_and_saveexec_b64 s[36:37], s[28:29]
	s_cbranch_execnz .LBB376_304
; %bb.245:
	s_or_b64 exec, exec, s[36:37]
	s_and_saveexec_b64 s[36:37], s[26:27]
	s_cbranch_execnz .LBB376_305
.LBB376_246:
	s_or_b64 exec, exec, s[36:37]
	s_and_saveexec_b64 s[36:37], s[24:25]
	s_cbranch_execnz .LBB376_306
.LBB376_247:
	s_or_b64 exec, exec, s[36:37]
	s_and_saveexec_b64 s[36:37], s[22:23]
	s_cbranch_execnz .LBB376_307
.LBB376_248:
	s_or_b64 exec, exec, s[36:37]
	s_and_saveexec_b64 s[36:37], s[20:21]
	s_cbranch_execnz .LBB376_308
.LBB376_249:
	s_or_b64 exec, exec, s[36:37]
	s_and_saveexec_b64 s[36:37], s[18:19]
	s_cbranch_execnz .LBB376_309
.LBB376_250:
	s_or_b64 exec, exec, s[36:37]
	s_and_saveexec_b64 s[36:37], s[16:17]
	s_cbranch_execnz .LBB376_310
.LBB376_251:
	s_or_b64 exec, exec, s[36:37]
	s_and_saveexec_b64 s[36:37], s[14:15]
	s_cbranch_execnz .LBB376_311
.LBB376_252:
	s_or_b64 exec, exec, s[36:37]
	s_and_saveexec_b64 s[36:37], s[12:13]
	s_cbranch_execnz .LBB376_312
.LBB376_253:
	s_or_b64 exec, exec, s[36:37]
	s_and_saveexec_b64 s[36:37], s[10:11]
	s_cbranch_execnz .LBB376_313
.LBB376_254:
	s_or_b64 exec, exec, s[36:37]
	s_and_saveexec_b64 s[36:37], s[8:9]
	s_cbranch_execnz .LBB376_314
.LBB376_255:
	s_or_b64 exec, exec, s[36:37]
	s_and_saveexec_b64 s[36:37], s[6:7]
	s_cbranch_execnz .LBB376_315
.LBB376_256:
	s_or_b64 exec, exec, s[36:37]
	s_and_saveexec_b64 s[36:37], s[4:5]
	s_cbranch_execnz .LBB376_316
.LBB376_257:
	s_or_b64 exec, exec, s[36:37]
	s_and_saveexec_b64 s[36:37], s[2:3]
	s_cbranch_execz .LBB376_259
.LBB376_258:
	v_sub_u32_e32 v10, v23, v8
	v_mov_b32_e32 v11, 0
	v_lshlrev_b64 v[10:11], 3, v[10:11]
	v_add_co_u32_e32 v10, vcc, v6, v10
	v_addc_co_u32_e32 v11, vcc, v7, v11, vcc
	global_store_dwordx2 v[10:11], v[68:69], off
.LBB376_259:
	s_or_b64 exec, exec, s[36:37]
	s_and_b64 s[36:37], s[0:1], exec
	s_andn2_saveexec_b64 s[30:31], s[30:31]
	s_cbranch_execz .LBB376_192
.LBB376_260:
	v_sub_u32_e32 v10, v97, v8
	v_mov_b32_e32 v11, 0
	v_lshlrev_b64 v[12:13], 3, v[10:11]
	v_add_co_u32_e32 v12, vcc, v6, v12
	v_addc_co_u32_e32 v13, vcc, v7, v13, vcc
	v_sub_u32_e32 v10, v35, v8
	global_store_dwordx2 v[12:13], v[66:67], off
	v_lshlrev_b64 v[12:13], 3, v[10:11]
	v_add_co_u32_e32 v12, vcc, v6, v12
	v_addc_co_u32_e32 v13, vcc, v7, v13, vcc
	v_sub_u32_e32 v10, v34, v8
	global_store_dwordx2 v[12:13], v[42:43], off
	;; [unrolled: 5-line block ×12, first 2 shown]
	v_lshlrev_b64 v[12:13], 3, v[10:11]
	v_add_co_u32_e32 v12, vcc, v6, v12
	v_sub_u32_e32 v10, v23, v8
	v_addc_co_u32_e32 v13, vcc, v7, v13, vcc
	v_lshlrev_b64 v[10:11], 3, v[10:11]
	v_add_co_u32_e32 v10, vcc, v6, v10
	v_addc_co_u32_e32 v11, vcc, v7, v11, vcc
	s_or_b64 s[36:37], s[36:37], exec
	global_store_dwordx2 v[12:13], v[64:65], off
	global_store_dwordx2 v[10:11], v[68:69], off
	s_or_b64 exec, exec, s[30:31]
	s_and_b64 exec, exec, s[36:37]
	s_cbranch_execnz .LBB376_193
	s_branch .LBB376_194
.LBB376_261:
	s_and_saveexec_b64 s[36:37], s[28:29]
	s_cbranch_execnz .LBB376_317
; %bb.262:
	s_or_b64 exec, exec, s[36:37]
	s_and_saveexec_b64 s[28:29], s[26:27]
	s_cbranch_execnz .LBB376_318
.LBB376_263:
	s_or_b64 exec, exec, s[28:29]
	s_and_saveexec_b64 s[26:27], s[24:25]
	s_cbranch_execnz .LBB376_319
.LBB376_264:
	s_or_b64 exec, exec, s[26:27]
	s_and_saveexec_b64 s[24:25], s[22:23]
	s_cbranch_execnz .LBB376_320
.LBB376_265:
	s_or_b64 exec, exec, s[24:25]
	s_and_saveexec_b64 s[22:23], s[20:21]
	s_cbranch_execnz .LBB376_321
.LBB376_266:
	s_or_b64 exec, exec, s[22:23]
	s_and_saveexec_b64 s[20:21], s[18:19]
	s_cbranch_execnz .LBB376_322
.LBB376_267:
	s_or_b64 exec, exec, s[20:21]
	s_and_saveexec_b64 s[18:19], s[16:17]
	s_cbranch_execnz .LBB376_323
.LBB376_268:
	s_or_b64 exec, exec, s[18:19]
	s_and_saveexec_b64 s[16:17], s[14:15]
	s_cbranch_execnz .LBB376_324
.LBB376_269:
	s_or_b64 exec, exec, s[16:17]
	s_and_saveexec_b64 s[14:15], s[12:13]
	s_cbranch_execnz .LBB376_325
.LBB376_270:
	s_or_b64 exec, exec, s[14:15]
	s_and_saveexec_b64 s[12:13], s[10:11]
	s_cbranch_execnz .LBB376_326
.LBB376_271:
	s_or_b64 exec, exec, s[12:13]
	s_and_saveexec_b64 s[10:11], s[8:9]
	s_cbranch_execnz .LBB376_327
.LBB376_272:
	s_or_b64 exec, exec, s[10:11]
	s_and_saveexec_b64 s[8:9], s[6:7]
	s_cbranch_execnz .LBB376_328
.LBB376_273:
	s_or_b64 exec, exec, s[8:9]
	s_and_saveexec_b64 s[6:7], s[4:5]
	s_cbranch_execnz .LBB376_329
.LBB376_274:
	s_or_b64 exec, exec, s[6:7]
	s_and_saveexec_b64 s[4:5], s[2:3]
	s_cbranch_execz .LBB376_276
.LBB376_275:
	v_sub_u32_e32 v9, v23, v8
	v_lshlrev_b32_e32 v9, 3, v9
	ds_write_b64 v9, v[68:69]
.LBB376_276:
	s_or_b64 exec, exec, s[4:5]
	s_and_b64 s[36:37], s[0:1], exec
                                        ; implicit-def: $vgpr66_vgpr67
                                        ; implicit-def: $vgpr42_vgpr43
                                        ; implicit-def: $vgpr44_vgpr45
                                        ; implicit-def: $vgpr46_vgpr47
                                        ; implicit-def: $vgpr48_vgpr49
                                        ; implicit-def: $vgpr50_vgpr51
                                        ; implicit-def: $vgpr52_vgpr53
                                        ; implicit-def: $vgpr54_vgpr55
                                        ; implicit-def: $vgpr56_vgpr57
                                        ; implicit-def: $vgpr58_vgpr59
                                        ; implicit-def: $vgpr60_vgpr61
                                        ; implicit-def: $vgpr62_vgpr63
                                        ; implicit-def: $vgpr64_vgpr65
                                        ; implicit-def: $vgpr68_vgpr69
                                        ; implicit-def: $vgpr97
                                        ; implicit-def: $vgpr35
                                        ; implicit-def: $vgpr34
                                        ; implicit-def: $vgpr33
                                        ; implicit-def: $vgpr32
                                        ; implicit-def: $vgpr31
                                        ; implicit-def: $vgpr30
                                        ; implicit-def: $vgpr29
                                        ; implicit-def: $vgpr28
                                        ; implicit-def: $vgpr27
                                        ; implicit-def: $vgpr26
                                        ; implicit-def: $vgpr25
                                        ; implicit-def: $vgpr24
                                        ; implicit-def: $vgpr23
	s_andn2_saveexec_b64 s[0:1], s[34:35]
	s_cbranch_execz .LBB376_199
.LBB376_277:
	v_sub_u32_e32 v9, v97, v8
	v_lshlrev_b32_e32 v9, 3, v9
	ds_write_b64 v9, v[66:67]
	v_sub_u32_e32 v9, v35, v8
	v_lshlrev_b32_e32 v9, 3, v9
	ds_write_b64 v9, v[42:43]
	;; [unrolled: 3-line block ×13, first 2 shown]
	v_sub_u32_e32 v9, v23, v8
	v_lshlrev_b32_e32 v9, 3, v9
	s_or_b64 s[36:37], s[36:37], exec
	ds_write_b64 v9, v[68:69]
	s_or_b64 exec, exec, s[0:1]
	s_and_b64 exec, exec, s[36:37]
	s_cbranch_execnz .LBB376_200
	s_branch .LBB376_201
.LBB376_278:
	v_sub_u32_e32 v7, v97, v40
	v_readfirstlane_b32 s40, v20
	v_readfirstlane_b32 s41, v21
	s_nop 4
	global_store_byte v7, v2, s[40:41]
	s_or_b64 exec, exec, s[38:39]
	s_and_saveexec_b64 s[38:39], s[28:29]
	s_cbranch_execz .LBB376_212
.LBB376_279:
	v_sub_u32_e32 v7, v35, v40
	v_readfirstlane_b32 s40, v20
	v_readfirstlane_b32 s41, v21
	s_nop 4
	global_store_byte v7, v90, s[40:41]
	s_or_b64 exec, exec, s[38:39]
	s_and_saveexec_b64 s[38:39], s[26:27]
	s_cbranch_execz .LBB376_213
.LBB376_280:
	v_sub_u32_e32 v7, v34, v40
	v_readfirstlane_b32 s40, v20
	v_readfirstlane_b32 s41, v21
	s_nop 4
	global_store_byte v7, v89, s[40:41]
	s_or_b64 exec, exec, s[38:39]
	s_and_saveexec_b64 s[38:39], s[24:25]
	s_cbranch_execz .LBB376_214
.LBB376_281:
	v_sub_u32_e32 v7, v33, v40
	v_readfirstlane_b32 s40, v20
	v_readfirstlane_b32 s41, v21
	s_nop 4
	global_store_byte v7, v87, s[40:41]
	s_or_b64 exec, exec, s[38:39]
	s_and_saveexec_b64 s[38:39], s[22:23]
	s_cbranch_execz .LBB376_215
.LBB376_282:
	v_sub_u32_e32 v7, v32, v40
	v_readfirstlane_b32 s40, v20
	v_readfirstlane_b32 s41, v21
	s_nop 4
	global_store_byte v7, v3, s[40:41]
	s_or_b64 exec, exec, s[38:39]
	s_and_saveexec_b64 s[38:39], s[20:21]
	s_cbranch_execz .LBB376_216
.LBB376_283:
	v_sub_u32_e32 v7, v31, v40
	v_readfirstlane_b32 s40, v20
	v_readfirstlane_b32 s41, v21
	s_nop 4
	global_store_byte v7, v85, s[40:41]
	s_or_b64 exec, exec, s[38:39]
	s_and_saveexec_b64 s[38:39], s[18:19]
	s_cbranch_execz .LBB376_217
.LBB376_284:
	v_sub_u32_e32 v7, v30, v40
	v_readfirstlane_b32 s40, v20
	v_readfirstlane_b32 s41, v21
	s_nop 4
	global_store_byte v7, v83, s[40:41]
	s_or_b64 exec, exec, s[38:39]
	s_and_saveexec_b64 s[38:39], s[16:17]
	s_cbranch_execz .LBB376_218
.LBB376_285:
	v_sub_u32_e32 v7, v29, v40
	v_readfirstlane_b32 s40, v20
	v_readfirstlane_b32 s41, v21
	s_nop 4
	global_store_byte v7, v82, s[40:41]
	s_or_b64 exec, exec, s[38:39]
	s_and_saveexec_b64 s[38:39], s[14:15]
	s_cbranch_execz .LBB376_219
.LBB376_286:
	v_sub_u32_e32 v7, v28, v40
	v_readfirstlane_b32 s40, v20
	v_readfirstlane_b32 s41, v21
	s_nop 4
	global_store_byte v7, v4, s[40:41]
	s_or_b64 exec, exec, s[38:39]
	s_and_saveexec_b64 s[38:39], s[12:13]
	s_cbranch_execz .LBB376_220
.LBB376_287:
	v_sub_u32_e32 v7, v27, v40
	v_readfirstlane_b32 s40, v20
	v_readfirstlane_b32 s41, v21
	s_nop 4
	global_store_byte v7, v79, s[40:41]
	s_or_b64 exec, exec, s[38:39]
	s_and_saveexec_b64 s[38:39], s[10:11]
	s_cbranch_execz .LBB376_221
.LBB376_288:
	v_sub_u32_e32 v7, v26, v40
	v_readfirstlane_b32 s40, v20
	v_readfirstlane_b32 s41, v21
	s_nop 4
	global_store_byte v7, v78, s[40:41]
	s_or_b64 exec, exec, s[38:39]
	s_and_saveexec_b64 s[38:39], s[8:9]
	s_cbranch_execz .LBB376_222
.LBB376_289:
	v_sub_u32_e32 v7, v25, v40
	v_readfirstlane_b32 s40, v20
	v_readfirstlane_b32 s41, v21
	s_nop 4
	global_store_byte v7, v76, s[40:41]
	s_or_b64 exec, exec, s[38:39]
	s_and_saveexec_b64 s[38:39], s[6:7]
	s_cbranch_execz .LBB376_223
.LBB376_290:
	v_sub_u32_e32 v7, v24, v40
	v_readfirstlane_b32 s40, v20
	v_readfirstlane_b32 s41, v21
	s_nop 4
	global_store_byte v7, v72, s[40:41]
	s_or_b64 exec, exec, s[38:39]
	s_and_saveexec_b64 s[38:39], s[4:5]
	s_cbranch_execnz .LBB376_224
	s_branch .LBB376_225
.LBB376_291:
	v_sub_u32_e32 v6, v97, v40
	ds_write_b8 v6, v2
	s_or_b64 exec, exec, s[38:39]
	s_and_saveexec_b64 s[30:31], s[28:29]
	s_cbranch_execz .LBB376_229
.LBB376_292:
	v_sub_u32_e32 v2, v35, v40
	ds_write_b8 v2, v90
	s_or_b64 exec, exec, s[30:31]
	s_and_saveexec_b64 s[28:29], s[26:27]
	s_cbranch_execz .LBB376_230
.LBB376_293:
	v_sub_u32_e32 v2, v34, v40
	ds_write_b8 v2, v89
	s_or_b64 exec, exec, s[28:29]
	s_and_saveexec_b64 s[26:27], s[24:25]
	s_cbranch_execz .LBB376_231
.LBB376_294:
	v_sub_u32_e32 v2, v33, v40
	ds_write_b8 v2, v87
	s_or_b64 exec, exec, s[26:27]
	s_and_saveexec_b64 s[24:25], s[22:23]
	s_cbranch_execz .LBB376_232
.LBB376_295:
	v_sub_u32_e32 v2, v32, v40
	ds_write_b8 v2, v3
	s_or_b64 exec, exec, s[24:25]
	s_and_saveexec_b64 s[22:23], s[20:21]
	s_cbranch_execz .LBB376_233
.LBB376_296:
	v_sub_u32_e32 v2, v31, v40
	ds_write_b8 v2, v85
	s_or_b64 exec, exec, s[22:23]
	s_and_saveexec_b64 s[20:21], s[18:19]
	s_cbranch_execz .LBB376_234
.LBB376_297:
	v_sub_u32_e32 v2, v30, v40
	ds_write_b8 v2, v83
	s_or_b64 exec, exec, s[20:21]
	s_and_saveexec_b64 s[18:19], s[16:17]
	s_cbranch_execz .LBB376_235
.LBB376_298:
	v_sub_u32_e32 v2, v29, v40
	ds_write_b8 v2, v82
	s_or_b64 exec, exec, s[18:19]
	s_and_saveexec_b64 s[16:17], s[14:15]
	s_cbranch_execz .LBB376_236
.LBB376_299:
	v_sub_u32_e32 v2, v28, v40
	ds_write_b8 v2, v4
	s_or_b64 exec, exec, s[16:17]
	s_and_saveexec_b64 s[14:15], s[12:13]
	s_cbranch_execz .LBB376_237
.LBB376_300:
	v_sub_u32_e32 v2, v27, v40
	ds_write_b8 v2, v79
	s_or_b64 exec, exec, s[14:15]
	s_and_saveexec_b64 s[12:13], s[10:11]
	s_cbranch_execz .LBB376_238
.LBB376_301:
	v_sub_u32_e32 v2, v26, v40
	ds_write_b8 v2, v78
	s_or_b64 exec, exec, s[12:13]
	s_and_saveexec_b64 s[10:11], s[8:9]
	s_cbranch_execz .LBB376_239
.LBB376_302:
	v_sub_u32_e32 v2, v25, v40
	ds_write_b8 v2, v76
	s_or_b64 exec, exec, s[10:11]
	s_and_saveexec_b64 s[8:9], s[6:7]
	s_cbranch_execz .LBB376_240
.LBB376_303:
	v_sub_u32_e32 v2, v24, v40
	ds_write_b8 v2, v72
	s_or_b64 exec, exec, s[8:9]
	s_and_saveexec_b64 s[6:7], s[4:5]
	s_cbranch_execnz .LBB376_241
	s_branch .LBB376_242
.LBB376_304:
	v_sub_u32_e32 v10, v97, v8
	v_mov_b32_e32 v11, 0
	v_lshlrev_b64 v[10:11], 3, v[10:11]
	v_add_co_u32_e32 v10, vcc, v6, v10
	v_addc_co_u32_e32 v11, vcc, v7, v11, vcc
	global_store_dwordx2 v[10:11], v[66:67], off
	s_or_b64 exec, exec, s[36:37]
	s_and_saveexec_b64 s[36:37], s[26:27]
	s_cbranch_execz .LBB376_246
.LBB376_305:
	v_sub_u32_e32 v10, v35, v8
	v_mov_b32_e32 v11, 0
	v_lshlrev_b64 v[10:11], 3, v[10:11]
	v_add_co_u32_e32 v10, vcc, v6, v10
	v_addc_co_u32_e32 v11, vcc, v7, v11, vcc
	global_store_dwordx2 v[10:11], v[42:43], off
	s_or_b64 exec, exec, s[36:37]
	s_and_saveexec_b64 s[36:37], s[24:25]
	s_cbranch_execz .LBB376_247
.LBB376_306:
	v_sub_u32_e32 v10, v34, v8
	v_mov_b32_e32 v11, 0
	v_lshlrev_b64 v[10:11], 3, v[10:11]
	v_add_co_u32_e32 v10, vcc, v6, v10
	v_addc_co_u32_e32 v11, vcc, v7, v11, vcc
	global_store_dwordx2 v[10:11], v[44:45], off
	s_or_b64 exec, exec, s[36:37]
	s_and_saveexec_b64 s[36:37], s[22:23]
	s_cbranch_execz .LBB376_248
.LBB376_307:
	v_sub_u32_e32 v10, v33, v8
	v_mov_b32_e32 v11, 0
	v_lshlrev_b64 v[10:11], 3, v[10:11]
	v_add_co_u32_e32 v10, vcc, v6, v10
	v_addc_co_u32_e32 v11, vcc, v7, v11, vcc
	global_store_dwordx2 v[10:11], v[46:47], off
	s_or_b64 exec, exec, s[36:37]
	s_and_saveexec_b64 s[36:37], s[20:21]
	s_cbranch_execz .LBB376_249
.LBB376_308:
	v_sub_u32_e32 v10, v32, v8
	v_mov_b32_e32 v11, 0
	v_lshlrev_b64 v[10:11], 3, v[10:11]
	v_add_co_u32_e32 v10, vcc, v6, v10
	v_addc_co_u32_e32 v11, vcc, v7, v11, vcc
	global_store_dwordx2 v[10:11], v[48:49], off
	s_or_b64 exec, exec, s[36:37]
	s_and_saveexec_b64 s[36:37], s[18:19]
	s_cbranch_execz .LBB376_250
.LBB376_309:
	v_sub_u32_e32 v10, v31, v8
	v_mov_b32_e32 v11, 0
	v_lshlrev_b64 v[10:11], 3, v[10:11]
	v_add_co_u32_e32 v10, vcc, v6, v10
	v_addc_co_u32_e32 v11, vcc, v7, v11, vcc
	global_store_dwordx2 v[10:11], v[50:51], off
	s_or_b64 exec, exec, s[36:37]
	s_and_saveexec_b64 s[36:37], s[16:17]
	s_cbranch_execz .LBB376_251
.LBB376_310:
	v_sub_u32_e32 v10, v30, v8
	v_mov_b32_e32 v11, 0
	v_lshlrev_b64 v[10:11], 3, v[10:11]
	v_add_co_u32_e32 v10, vcc, v6, v10
	v_addc_co_u32_e32 v11, vcc, v7, v11, vcc
	global_store_dwordx2 v[10:11], v[52:53], off
	s_or_b64 exec, exec, s[36:37]
	s_and_saveexec_b64 s[36:37], s[14:15]
	s_cbranch_execz .LBB376_252
.LBB376_311:
	v_sub_u32_e32 v10, v29, v8
	v_mov_b32_e32 v11, 0
	v_lshlrev_b64 v[10:11], 3, v[10:11]
	v_add_co_u32_e32 v10, vcc, v6, v10
	v_addc_co_u32_e32 v11, vcc, v7, v11, vcc
	global_store_dwordx2 v[10:11], v[54:55], off
	s_or_b64 exec, exec, s[36:37]
	s_and_saveexec_b64 s[36:37], s[12:13]
	s_cbranch_execz .LBB376_253
.LBB376_312:
	v_sub_u32_e32 v10, v28, v8
	v_mov_b32_e32 v11, 0
	v_lshlrev_b64 v[10:11], 3, v[10:11]
	v_add_co_u32_e32 v10, vcc, v6, v10
	v_addc_co_u32_e32 v11, vcc, v7, v11, vcc
	global_store_dwordx2 v[10:11], v[56:57], off
	s_or_b64 exec, exec, s[36:37]
	s_and_saveexec_b64 s[36:37], s[10:11]
	s_cbranch_execz .LBB376_254
.LBB376_313:
	v_sub_u32_e32 v10, v27, v8
	v_mov_b32_e32 v11, 0
	v_lshlrev_b64 v[10:11], 3, v[10:11]
	v_add_co_u32_e32 v10, vcc, v6, v10
	v_addc_co_u32_e32 v11, vcc, v7, v11, vcc
	global_store_dwordx2 v[10:11], v[58:59], off
	s_or_b64 exec, exec, s[36:37]
	s_and_saveexec_b64 s[36:37], s[8:9]
	s_cbranch_execz .LBB376_255
.LBB376_314:
	v_sub_u32_e32 v10, v26, v8
	v_mov_b32_e32 v11, 0
	v_lshlrev_b64 v[10:11], 3, v[10:11]
	v_add_co_u32_e32 v10, vcc, v6, v10
	v_addc_co_u32_e32 v11, vcc, v7, v11, vcc
	global_store_dwordx2 v[10:11], v[60:61], off
	s_or_b64 exec, exec, s[36:37]
	s_and_saveexec_b64 s[36:37], s[6:7]
	s_cbranch_execz .LBB376_256
.LBB376_315:
	v_sub_u32_e32 v10, v25, v8
	v_mov_b32_e32 v11, 0
	v_lshlrev_b64 v[10:11], 3, v[10:11]
	v_add_co_u32_e32 v10, vcc, v6, v10
	v_addc_co_u32_e32 v11, vcc, v7, v11, vcc
	global_store_dwordx2 v[10:11], v[62:63], off
	s_or_b64 exec, exec, s[36:37]
	s_and_saveexec_b64 s[36:37], s[4:5]
	s_cbranch_execz .LBB376_257
.LBB376_316:
	v_sub_u32_e32 v10, v24, v8
	v_mov_b32_e32 v11, 0
	v_lshlrev_b64 v[10:11], 3, v[10:11]
	v_add_co_u32_e32 v10, vcc, v6, v10
	v_addc_co_u32_e32 v11, vcc, v7, v11, vcc
	global_store_dwordx2 v[10:11], v[64:65], off
	s_or_b64 exec, exec, s[36:37]
	s_and_saveexec_b64 s[36:37], s[2:3]
	s_cbranch_execnz .LBB376_258
	s_branch .LBB376_259
.LBB376_317:
	v_sub_u32_e32 v9, v97, v8
	v_lshlrev_b32_e32 v9, 3, v9
	ds_write_b64 v9, v[66:67]
	s_or_b64 exec, exec, s[36:37]
	s_and_saveexec_b64 s[28:29], s[26:27]
	s_cbranch_execz .LBB376_263
.LBB376_318:
	v_sub_u32_e32 v9, v35, v8
	v_lshlrev_b32_e32 v9, 3, v9
	ds_write_b64 v9, v[42:43]
	s_or_b64 exec, exec, s[28:29]
	s_and_saveexec_b64 s[26:27], s[24:25]
	s_cbranch_execz .LBB376_264
.LBB376_319:
	v_sub_u32_e32 v9, v34, v8
	v_lshlrev_b32_e32 v9, 3, v9
	ds_write_b64 v9, v[44:45]
	s_or_b64 exec, exec, s[26:27]
	s_and_saveexec_b64 s[24:25], s[22:23]
	s_cbranch_execz .LBB376_265
.LBB376_320:
	v_sub_u32_e32 v9, v33, v8
	v_lshlrev_b32_e32 v9, 3, v9
	ds_write_b64 v9, v[46:47]
	s_or_b64 exec, exec, s[24:25]
	s_and_saveexec_b64 s[22:23], s[20:21]
	s_cbranch_execz .LBB376_266
.LBB376_321:
	v_sub_u32_e32 v9, v32, v8
	v_lshlrev_b32_e32 v9, 3, v9
	ds_write_b64 v9, v[48:49]
	s_or_b64 exec, exec, s[22:23]
	s_and_saveexec_b64 s[20:21], s[18:19]
	s_cbranch_execz .LBB376_267
.LBB376_322:
	v_sub_u32_e32 v9, v31, v8
	v_lshlrev_b32_e32 v9, 3, v9
	ds_write_b64 v9, v[50:51]
	s_or_b64 exec, exec, s[20:21]
	s_and_saveexec_b64 s[18:19], s[16:17]
	s_cbranch_execz .LBB376_268
.LBB376_323:
	v_sub_u32_e32 v9, v30, v8
	v_lshlrev_b32_e32 v9, 3, v9
	ds_write_b64 v9, v[52:53]
	s_or_b64 exec, exec, s[18:19]
	s_and_saveexec_b64 s[16:17], s[14:15]
	s_cbranch_execz .LBB376_269
.LBB376_324:
	v_sub_u32_e32 v9, v29, v8
	v_lshlrev_b32_e32 v9, 3, v9
	ds_write_b64 v9, v[54:55]
	s_or_b64 exec, exec, s[16:17]
	s_and_saveexec_b64 s[14:15], s[12:13]
	s_cbranch_execz .LBB376_270
.LBB376_325:
	v_sub_u32_e32 v9, v28, v8
	v_lshlrev_b32_e32 v9, 3, v9
	ds_write_b64 v9, v[56:57]
	s_or_b64 exec, exec, s[14:15]
	s_and_saveexec_b64 s[12:13], s[10:11]
	s_cbranch_execz .LBB376_271
.LBB376_326:
	v_sub_u32_e32 v9, v27, v8
	v_lshlrev_b32_e32 v9, 3, v9
	ds_write_b64 v9, v[58:59]
	s_or_b64 exec, exec, s[12:13]
	s_and_saveexec_b64 s[10:11], s[8:9]
	s_cbranch_execz .LBB376_272
.LBB376_327:
	v_sub_u32_e32 v9, v26, v8
	v_lshlrev_b32_e32 v9, 3, v9
	ds_write_b64 v9, v[60:61]
	s_or_b64 exec, exec, s[10:11]
	s_and_saveexec_b64 s[8:9], s[6:7]
	s_cbranch_execz .LBB376_273
.LBB376_328:
	v_sub_u32_e32 v9, v25, v8
	v_lshlrev_b32_e32 v9, 3, v9
	ds_write_b64 v9, v[62:63]
	s_or_b64 exec, exec, s[8:9]
	s_and_saveexec_b64 s[6:7], s[4:5]
	s_cbranch_execz .LBB376_274
.LBB376_329:
	v_sub_u32_e32 v9, v24, v8
	v_lshlrev_b32_e32 v9, 3, v9
	ds_write_b64 v9, v[64:65]
	s_or_b64 exec, exec, s[6:7]
	s_and_saveexec_b64 s[4:5], s[2:3]
	s_cbranch_execnz .LBB376_275
	s_branch .LBB376_276
	.section	.rodata,"a",@progbits
	.p2align	6, 0x0
	.amdhsa_kernel _ZN7rocprim17ROCPRIM_400000_NS6detail17trampoline_kernelINS0_14default_configENS1_29reduce_by_key_config_selectorIhlN6thrust23THRUST_200600_302600_NS4plusIlEEEEZZNS1_33reduce_by_key_impl_wrapped_configILNS1_25lookback_scan_determinismE0ES3_S9_PhNS6_17constant_iteratorIiNS6_11use_defaultESE_EENS6_10device_ptrIhEENSG_IlEEPmS8_NS6_8equal_toIhEEEE10hipError_tPvRmT2_T3_mT4_T5_T6_T7_T8_P12ihipStream_tbENKUlT_T0_E_clISt17integral_constantIbLb1EES13_EEDaSY_SZ_EUlSY_E_NS1_11comp_targetILNS1_3genE4ELNS1_11target_archE910ELNS1_3gpuE8ELNS1_3repE0EEENS1_30default_config_static_selectorELNS0_4arch9wavefront6targetE1EEEvT1_
		.amdhsa_group_segment_fixed_size 30720
		.amdhsa_private_segment_fixed_size 0
		.amdhsa_kernarg_size 144
		.amdhsa_user_sgpr_count 6
		.amdhsa_user_sgpr_private_segment_buffer 1
		.amdhsa_user_sgpr_dispatch_ptr 0
		.amdhsa_user_sgpr_queue_ptr 0
		.amdhsa_user_sgpr_kernarg_segment_ptr 1
		.amdhsa_user_sgpr_dispatch_id 0
		.amdhsa_user_sgpr_flat_scratch_init 0
		.amdhsa_user_sgpr_kernarg_preload_length 0
		.amdhsa_user_sgpr_kernarg_preload_offset 0
		.amdhsa_user_sgpr_private_segment_size 0
		.amdhsa_uses_dynamic_stack 0
		.amdhsa_system_sgpr_private_segment_wavefront_offset 0
		.amdhsa_system_sgpr_workgroup_id_x 1
		.amdhsa_system_sgpr_workgroup_id_y 0
		.amdhsa_system_sgpr_workgroup_id_z 0
		.amdhsa_system_sgpr_workgroup_info 0
		.amdhsa_system_vgpr_workitem_id 0
		.amdhsa_next_free_vgpr 133
		.amdhsa_next_free_sgpr 65
		.amdhsa_accum_offset 136
		.amdhsa_reserve_vcc 1
		.amdhsa_reserve_flat_scratch 0
		.amdhsa_float_round_mode_32 0
		.amdhsa_float_round_mode_16_64 0
		.amdhsa_float_denorm_mode_32 3
		.amdhsa_float_denorm_mode_16_64 3
		.amdhsa_dx10_clamp 1
		.amdhsa_ieee_mode 1
		.amdhsa_fp16_overflow 0
		.amdhsa_tg_split 0
		.amdhsa_exception_fp_ieee_invalid_op 0
		.amdhsa_exception_fp_denorm_src 0
		.amdhsa_exception_fp_ieee_div_zero 0
		.amdhsa_exception_fp_ieee_overflow 0
		.amdhsa_exception_fp_ieee_underflow 0
		.amdhsa_exception_fp_ieee_inexact 0
		.amdhsa_exception_int_div_zero 0
	.end_amdhsa_kernel
	.section	.text._ZN7rocprim17ROCPRIM_400000_NS6detail17trampoline_kernelINS0_14default_configENS1_29reduce_by_key_config_selectorIhlN6thrust23THRUST_200600_302600_NS4plusIlEEEEZZNS1_33reduce_by_key_impl_wrapped_configILNS1_25lookback_scan_determinismE0ES3_S9_PhNS6_17constant_iteratorIiNS6_11use_defaultESE_EENS6_10device_ptrIhEENSG_IlEEPmS8_NS6_8equal_toIhEEEE10hipError_tPvRmT2_T3_mT4_T5_T6_T7_T8_P12ihipStream_tbENKUlT_T0_E_clISt17integral_constantIbLb1EES13_EEDaSY_SZ_EUlSY_E_NS1_11comp_targetILNS1_3genE4ELNS1_11target_archE910ELNS1_3gpuE8ELNS1_3repE0EEENS1_30default_config_static_selectorELNS0_4arch9wavefront6targetE1EEEvT1_,"axG",@progbits,_ZN7rocprim17ROCPRIM_400000_NS6detail17trampoline_kernelINS0_14default_configENS1_29reduce_by_key_config_selectorIhlN6thrust23THRUST_200600_302600_NS4plusIlEEEEZZNS1_33reduce_by_key_impl_wrapped_configILNS1_25lookback_scan_determinismE0ES3_S9_PhNS6_17constant_iteratorIiNS6_11use_defaultESE_EENS6_10device_ptrIhEENSG_IlEEPmS8_NS6_8equal_toIhEEEE10hipError_tPvRmT2_T3_mT4_T5_T6_T7_T8_P12ihipStream_tbENKUlT_T0_E_clISt17integral_constantIbLb1EES13_EEDaSY_SZ_EUlSY_E_NS1_11comp_targetILNS1_3genE4ELNS1_11target_archE910ELNS1_3gpuE8ELNS1_3repE0EEENS1_30default_config_static_selectorELNS0_4arch9wavefront6targetE1EEEvT1_,comdat
.Lfunc_end376:
	.size	_ZN7rocprim17ROCPRIM_400000_NS6detail17trampoline_kernelINS0_14default_configENS1_29reduce_by_key_config_selectorIhlN6thrust23THRUST_200600_302600_NS4plusIlEEEEZZNS1_33reduce_by_key_impl_wrapped_configILNS1_25lookback_scan_determinismE0ES3_S9_PhNS6_17constant_iteratorIiNS6_11use_defaultESE_EENS6_10device_ptrIhEENSG_IlEEPmS8_NS6_8equal_toIhEEEE10hipError_tPvRmT2_T3_mT4_T5_T6_T7_T8_P12ihipStream_tbENKUlT_T0_E_clISt17integral_constantIbLb1EES13_EEDaSY_SZ_EUlSY_E_NS1_11comp_targetILNS1_3genE4ELNS1_11target_archE910ELNS1_3gpuE8ELNS1_3repE0EEENS1_30default_config_static_selectorELNS0_4arch9wavefront6targetE1EEEvT1_, .Lfunc_end376-_ZN7rocprim17ROCPRIM_400000_NS6detail17trampoline_kernelINS0_14default_configENS1_29reduce_by_key_config_selectorIhlN6thrust23THRUST_200600_302600_NS4plusIlEEEEZZNS1_33reduce_by_key_impl_wrapped_configILNS1_25lookback_scan_determinismE0ES3_S9_PhNS6_17constant_iteratorIiNS6_11use_defaultESE_EENS6_10device_ptrIhEENSG_IlEEPmS8_NS6_8equal_toIhEEEE10hipError_tPvRmT2_T3_mT4_T5_T6_T7_T8_P12ihipStream_tbENKUlT_T0_E_clISt17integral_constantIbLb1EES13_EEDaSY_SZ_EUlSY_E_NS1_11comp_targetILNS1_3genE4ELNS1_11target_archE910ELNS1_3gpuE8ELNS1_3repE0EEENS1_30default_config_static_selectorELNS0_4arch9wavefront6targetE1EEEvT1_
                                        ; -- End function
	.section	.AMDGPU.csdata,"",@progbits
; Kernel info:
; codeLenInByte = 16932
; NumSgprs: 69
; NumVgprs: 133
; NumAgprs: 0
; TotalNumVgprs: 133
; ScratchSize: 0
; MemoryBound: 0
; FloatMode: 240
; IeeeMode: 1
; LDSByteSize: 30720 bytes/workgroup (compile time only)
; SGPRBlocks: 8
; VGPRBlocks: 16
; NumSGPRsForWavesPerEU: 69
; NumVGPRsForWavesPerEU: 133
; AccumOffset: 136
; Occupancy: 2
; WaveLimiterHint : 1
; COMPUTE_PGM_RSRC2:SCRATCH_EN: 0
; COMPUTE_PGM_RSRC2:USER_SGPR: 6
; COMPUTE_PGM_RSRC2:TRAP_HANDLER: 0
; COMPUTE_PGM_RSRC2:TGID_X_EN: 1
; COMPUTE_PGM_RSRC2:TGID_Y_EN: 0
; COMPUTE_PGM_RSRC2:TGID_Z_EN: 0
; COMPUTE_PGM_RSRC2:TIDIG_COMP_CNT: 0
; COMPUTE_PGM_RSRC3_GFX90A:ACCUM_OFFSET: 33
; COMPUTE_PGM_RSRC3_GFX90A:TG_SPLIT: 0
	.section	.text._ZN7rocprim17ROCPRIM_400000_NS6detail17trampoline_kernelINS0_14default_configENS1_29reduce_by_key_config_selectorIhlN6thrust23THRUST_200600_302600_NS4plusIlEEEEZZNS1_33reduce_by_key_impl_wrapped_configILNS1_25lookback_scan_determinismE0ES3_S9_PhNS6_17constant_iteratorIiNS6_11use_defaultESE_EENS6_10device_ptrIhEENSG_IlEEPmS8_NS6_8equal_toIhEEEE10hipError_tPvRmT2_T3_mT4_T5_T6_T7_T8_P12ihipStream_tbENKUlT_T0_E_clISt17integral_constantIbLb1EES13_EEDaSY_SZ_EUlSY_E_NS1_11comp_targetILNS1_3genE3ELNS1_11target_archE908ELNS1_3gpuE7ELNS1_3repE0EEENS1_30default_config_static_selectorELNS0_4arch9wavefront6targetE1EEEvT1_,"axG",@progbits,_ZN7rocprim17ROCPRIM_400000_NS6detail17trampoline_kernelINS0_14default_configENS1_29reduce_by_key_config_selectorIhlN6thrust23THRUST_200600_302600_NS4plusIlEEEEZZNS1_33reduce_by_key_impl_wrapped_configILNS1_25lookback_scan_determinismE0ES3_S9_PhNS6_17constant_iteratorIiNS6_11use_defaultESE_EENS6_10device_ptrIhEENSG_IlEEPmS8_NS6_8equal_toIhEEEE10hipError_tPvRmT2_T3_mT4_T5_T6_T7_T8_P12ihipStream_tbENKUlT_T0_E_clISt17integral_constantIbLb1EES13_EEDaSY_SZ_EUlSY_E_NS1_11comp_targetILNS1_3genE3ELNS1_11target_archE908ELNS1_3gpuE7ELNS1_3repE0EEENS1_30default_config_static_selectorELNS0_4arch9wavefront6targetE1EEEvT1_,comdat
	.protected	_ZN7rocprim17ROCPRIM_400000_NS6detail17trampoline_kernelINS0_14default_configENS1_29reduce_by_key_config_selectorIhlN6thrust23THRUST_200600_302600_NS4plusIlEEEEZZNS1_33reduce_by_key_impl_wrapped_configILNS1_25lookback_scan_determinismE0ES3_S9_PhNS6_17constant_iteratorIiNS6_11use_defaultESE_EENS6_10device_ptrIhEENSG_IlEEPmS8_NS6_8equal_toIhEEEE10hipError_tPvRmT2_T3_mT4_T5_T6_T7_T8_P12ihipStream_tbENKUlT_T0_E_clISt17integral_constantIbLb1EES13_EEDaSY_SZ_EUlSY_E_NS1_11comp_targetILNS1_3genE3ELNS1_11target_archE908ELNS1_3gpuE7ELNS1_3repE0EEENS1_30default_config_static_selectorELNS0_4arch9wavefront6targetE1EEEvT1_ ; -- Begin function _ZN7rocprim17ROCPRIM_400000_NS6detail17trampoline_kernelINS0_14default_configENS1_29reduce_by_key_config_selectorIhlN6thrust23THRUST_200600_302600_NS4plusIlEEEEZZNS1_33reduce_by_key_impl_wrapped_configILNS1_25lookback_scan_determinismE0ES3_S9_PhNS6_17constant_iteratorIiNS6_11use_defaultESE_EENS6_10device_ptrIhEENSG_IlEEPmS8_NS6_8equal_toIhEEEE10hipError_tPvRmT2_T3_mT4_T5_T6_T7_T8_P12ihipStream_tbENKUlT_T0_E_clISt17integral_constantIbLb1EES13_EEDaSY_SZ_EUlSY_E_NS1_11comp_targetILNS1_3genE3ELNS1_11target_archE908ELNS1_3gpuE7ELNS1_3repE0EEENS1_30default_config_static_selectorELNS0_4arch9wavefront6targetE1EEEvT1_
	.globl	_ZN7rocprim17ROCPRIM_400000_NS6detail17trampoline_kernelINS0_14default_configENS1_29reduce_by_key_config_selectorIhlN6thrust23THRUST_200600_302600_NS4plusIlEEEEZZNS1_33reduce_by_key_impl_wrapped_configILNS1_25lookback_scan_determinismE0ES3_S9_PhNS6_17constant_iteratorIiNS6_11use_defaultESE_EENS6_10device_ptrIhEENSG_IlEEPmS8_NS6_8equal_toIhEEEE10hipError_tPvRmT2_T3_mT4_T5_T6_T7_T8_P12ihipStream_tbENKUlT_T0_E_clISt17integral_constantIbLb1EES13_EEDaSY_SZ_EUlSY_E_NS1_11comp_targetILNS1_3genE3ELNS1_11target_archE908ELNS1_3gpuE7ELNS1_3repE0EEENS1_30default_config_static_selectorELNS0_4arch9wavefront6targetE1EEEvT1_
	.p2align	8
	.type	_ZN7rocprim17ROCPRIM_400000_NS6detail17trampoline_kernelINS0_14default_configENS1_29reduce_by_key_config_selectorIhlN6thrust23THRUST_200600_302600_NS4plusIlEEEEZZNS1_33reduce_by_key_impl_wrapped_configILNS1_25lookback_scan_determinismE0ES3_S9_PhNS6_17constant_iteratorIiNS6_11use_defaultESE_EENS6_10device_ptrIhEENSG_IlEEPmS8_NS6_8equal_toIhEEEE10hipError_tPvRmT2_T3_mT4_T5_T6_T7_T8_P12ihipStream_tbENKUlT_T0_E_clISt17integral_constantIbLb1EES13_EEDaSY_SZ_EUlSY_E_NS1_11comp_targetILNS1_3genE3ELNS1_11target_archE908ELNS1_3gpuE7ELNS1_3repE0EEENS1_30default_config_static_selectorELNS0_4arch9wavefront6targetE1EEEvT1_,@function
_ZN7rocprim17ROCPRIM_400000_NS6detail17trampoline_kernelINS0_14default_configENS1_29reduce_by_key_config_selectorIhlN6thrust23THRUST_200600_302600_NS4plusIlEEEEZZNS1_33reduce_by_key_impl_wrapped_configILNS1_25lookback_scan_determinismE0ES3_S9_PhNS6_17constant_iteratorIiNS6_11use_defaultESE_EENS6_10device_ptrIhEENSG_IlEEPmS8_NS6_8equal_toIhEEEE10hipError_tPvRmT2_T3_mT4_T5_T6_T7_T8_P12ihipStream_tbENKUlT_T0_E_clISt17integral_constantIbLb1EES13_EEDaSY_SZ_EUlSY_E_NS1_11comp_targetILNS1_3genE3ELNS1_11target_archE908ELNS1_3gpuE7ELNS1_3repE0EEENS1_30default_config_static_selectorELNS0_4arch9wavefront6targetE1EEEvT1_: ; @_ZN7rocprim17ROCPRIM_400000_NS6detail17trampoline_kernelINS0_14default_configENS1_29reduce_by_key_config_selectorIhlN6thrust23THRUST_200600_302600_NS4plusIlEEEEZZNS1_33reduce_by_key_impl_wrapped_configILNS1_25lookback_scan_determinismE0ES3_S9_PhNS6_17constant_iteratorIiNS6_11use_defaultESE_EENS6_10device_ptrIhEENSG_IlEEPmS8_NS6_8equal_toIhEEEE10hipError_tPvRmT2_T3_mT4_T5_T6_T7_T8_P12ihipStream_tbENKUlT_T0_E_clISt17integral_constantIbLb1EES13_EEDaSY_SZ_EUlSY_E_NS1_11comp_targetILNS1_3genE3ELNS1_11target_archE908ELNS1_3gpuE7ELNS1_3repE0EEENS1_30default_config_static_selectorELNS0_4arch9wavefront6targetE1EEEvT1_
; %bb.0:
	.section	.rodata,"a",@progbits
	.p2align	6, 0x0
	.amdhsa_kernel _ZN7rocprim17ROCPRIM_400000_NS6detail17trampoline_kernelINS0_14default_configENS1_29reduce_by_key_config_selectorIhlN6thrust23THRUST_200600_302600_NS4plusIlEEEEZZNS1_33reduce_by_key_impl_wrapped_configILNS1_25lookback_scan_determinismE0ES3_S9_PhNS6_17constant_iteratorIiNS6_11use_defaultESE_EENS6_10device_ptrIhEENSG_IlEEPmS8_NS6_8equal_toIhEEEE10hipError_tPvRmT2_T3_mT4_T5_T6_T7_T8_P12ihipStream_tbENKUlT_T0_E_clISt17integral_constantIbLb1EES13_EEDaSY_SZ_EUlSY_E_NS1_11comp_targetILNS1_3genE3ELNS1_11target_archE908ELNS1_3gpuE7ELNS1_3repE0EEENS1_30default_config_static_selectorELNS0_4arch9wavefront6targetE1EEEvT1_
		.amdhsa_group_segment_fixed_size 0
		.amdhsa_private_segment_fixed_size 0
		.amdhsa_kernarg_size 144
		.amdhsa_user_sgpr_count 6
		.amdhsa_user_sgpr_private_segment_buffer 1
		.amdhsa_user_sgpr_dispatch_ptr 0
		.amdhsa_user_sgpr_queue_ptr 0
		.amdhsa_user_sgpr_kernarg_segment_ptr 1
		.amdhsa_user_sgpr_dispatch_id 0
		.amdhsa_user_sgpr_flat_scratch_init 0
		.amdhsa_user_sgpr_kernarg_preload_length 0
		.amdhsa_user_sgpr_kernarg_preload_offset 0
		.amdhsa_user_sgpr_private_segment_size 0
		.amdhsa_uses_dynamic_stack 0
		.amdhsa_system_sgpr_private_segment_wavefront_offset 0
		.amdhsa_system_sgpr_workgroup_id_x 1
		.amdhsa_system_sgpr_workgroup_id_y 0
		.amdhsa_system_sgpr_workgroup_id_z 0
		.amdhsa_system_sgpr_workgroup_info 0
		.amdhsa_system_vgpr_workitem_id 0
		.amdhsa_next_free_vgpr 1
		.amdhsa_next_free_sgpr 0
		.amdhsa_accum_offset 4
		.amdhsa_reserve_vcc 0
		.amdhsa_reserve_flat_scratch 0
		.amdhsa_float_round_mode_32 0
		.amdhsa_float_round_mode_16_64 0
		.amdhsa_float_denorm_mode_32 3
		.amdhsa_float_denorm_mode_16_64 3
		.amdhsa_dx10_clamp 1
		.amdhsa_ieee_mode 1
		.amdhsa_fp16_overflow 0
		.amdhsa_tg_split 0
		.amdhsa_exception_fp_ieee_invalid_op 0
		.amdhsa_exception_fp_denorm_src 0
		.amdhsa_exception_fp_ieee_div_zero 0
		.amdhsa_exception_fp_ieee_overflow 0
		.amdhsa_exception_fp_ieee_underflow 0
		.amdhsa_exception_fp_ieee_inexact 0
		.amdhsa_exception_int_div_zero 0
	.end_amdhsa_kernel
	.section	.text._ZN7rocprim17ROCPRIM_400000_NS6detail17trampoline_kernelINS0_14default_configENS1_29reduce_by_key_config_selectorIhlN6thrust23THRUST_200600_302600_NS4plusIlEEEEZZNS1_33reduce_by_key_impl_wrapped_configILNS1_25lookback_scan_determinismE0ES3_S9_PhNS6_17constant_iteratorIiNS6_11use_defaultESE_EENS6_10device_ptrIhEENSG_IlEEPmS8_NS6_8equal_toIhEEEE10hipError_tPvRmT2_T3_mT4_T5_T6_T7_T8_P12ihipStream_tbENKUlT_T0_E_clISt17integral_constantIbLb1EES13_EEDaSY_SZ_EUlSY_E_NS1_11comp_targetILNS1_3genE3ELNS1_11target_archE908ELNS1_3gpuE7ELNS1_3repE0EEENS1_30default_config_static_selectorELNS0_4arch9wavefront6targetE1EEEvT1_,"axG",@progbits,_ZN7rocprim17ROCPRIM_400000_NS6detail17trampoline_kernelINS0_14default_configENS1_29reduce_by_key_config_selectorIhlN6thrust23THRUST_200600_302600_NS4plusIlEEEEZZNS1_33reduce_by_key_impl_wrapped_configILNS1_25lookback_scan_determinismE0ES3_S9_PhNS6_17constant_iteratorIiNS6_11use_defaultESE_EENS6_10device_ptrIhEENSG_IlEEPmS8_NS6_8equal_toIhEEEE10hipError_tPvRmT2_T3_mT4_T5_T6_T7_T8_P12ihipStream_tbENKUlT_T0_E_clISt17integral_constantIbLb1EES13_EEDaSY_SZ_EUlSY_E_NS1_11comp_targetILNS1_3genE3ELNS1_11target_archE908ELNS1_3gpuE7ELNS1_3repE0EEENS1_30default_config_static_selectorELNS0_4arch9wavefront6targetE1EEEvT1_,comdat
.Lfunc_end377:
	.size	_ZN7rocprim17ROCPRIM_400000_NS6detail17trampoline_kernelINS0_14default_configENS1_29reduce_by_key_config_selectorIhlN6thrust23THRUST_200600_302600_NS4plusIlEEEEZZNS1_33reduce_by_key_impl_wrapped_configILNS1_25lookback_scan_determinismE0ES3_S9_PhNS6_17constant_iteratorIiNS6_11use_defaultESE_EENS6_10device_ptrIhEENSG_IlEEPmS8_NS6_8equal_toIhEEEE10hipError_tPvRmT2_T3_mT4_T5_T6_T7_T8_P12ihipStream_tbENKUlT_T0_E_clISt17integral_constantIbLb1EES13_EEDaSY_SZ_EUlSY_E_NS1_11comp_targetILNS1_3genE3ELNS1_11target_archE908ELNS1_3gpuE7ELNS1_3repE0EEENS1_30default_config_static_selectorELNS0_4arch9wavefront6targetE1EEEvT1_, .Lfunc_end377-_ZN7rocprim17ROCPRIM_400000_NS6detail17trampoline_kernelINS0_14default_configENS1_29reduce_by_key_config_selectorIhlN6thrust23THRUST_200600_302600_NS4plusIlEEEEZZNS1_33reduce_by_key_impl_wrapped_configILNS1_25lookback_scan_determinismE0ES3_S9_PhNS6_17constant_iteratorIiNS6_11use_defaultESE_EENS6_10device_ptrIhEENSG_IlEEPmS8_NS6_8equal_toIhEEEE10hipError_tPvRmT2_T3_mT4_T5_T6_T7_T8_P12ihipStream_tbENKUlT_T0_E_clISt17integral_constantIbLb1EES13_EEDaSY_SZ_EUlSY_E_NS1_11comp_targetILNS1_3genE3ELNS1_11target_archE908ELNS1_3gpuE7ELNS1_3repE0EEENS1_30default_config_static_selectorELNS0_4arch9wavefront6targetE1EEEvT1_
                                        ; -- End function
	.section	.AMDGPU.csdata,"",@progbits
; Kernel info:
; codeLenInByte = 0
; NumSgprs: 4
; NumVgprs: 0
; NumAgprs: 0
; TotalNumVgprs: 0
; ScratchSize: 0
; MemoryBound: 0
; FloatMode: 240
; IeeeMode: 1
; LDSByteSize: 0 bytes/workgroup (compile time only)
; SGPRBlocks: 0
; VGPRBlocks: 0
; NumSGPRsForWavesPerEU: 4
; NumVGPRsForWavesPerEU: 1
; AccumOffset: 4
; Occupancy: 8
; WaveLimiterHint : 0
; COMPUTE_PGM_RSRC2:SCRATCH_EN: 0
; COMPUTE_PGM_RSRC2:USER_SGPR: 6
; COMPUTE_PGM_RSRC2:TRAP_HANDLER: 0
; COMPUTE_PGM_RSRC2:TGID_X_EN: 1
; COMPUTE_PGM_RSRC2:TGID_Y_EN: 0
; COMPUTE_PGM_RSRC2:TGID_Z_EN: 0
; COMPUTE_PGM_RSRC2:TIDIG_COMP_CNT: 0
; COMPUTE_PGM_RSRC3_GFX90A:ACCUM_OFFSET: 0
; COMPUTE_PGM_RSRC3_GFX90A:TG_SPLIT: 0
	.section	.text._ZN7rocprim17ROCPRIM_400000_NS6detail17trampoline_kernelINS0_14default_configENS1_29reduce_by_key_config_selectorIhlN6thrust23THRUST_200600_302600_NS4plusIlEEEEZZNS1_33reduce_by_key_impl_wrapped_configILNS1_25lookback_scan_determinismE0ES3_S9_PhNS6_17constant_iteratorIiNS6_11use_defaultESE_EENS6_10device_ptrIhEENSG_IlEEPmS8_NS6_8equal_toIhEEEE10hipError_tPvRmT2_T3_mT4_T5_T6_T7_T8_P12ihipStream_tbENKUlT_T0_E_clISt17integral_constantIbLb1EES13_EEDaSY_SZ_EUlSY_E_NS1_11comp_targetILNS1_3genE2ELNS1_11target_archE906ELNS1_3gpuE6ELNS1_3repE0EEENS1_30default_config_static_selectorELNS0_4arch9wavefront6targetE1EEEvT1_,"axG",@progbits,_ZN7rocprim17ROCPRIM_400000_NS6detail17trampoline_kernelINS0_14default_configENS1_29reduce_by_key_config_selectorIhlN6thrust23THRUST_200600_302600_NS4plusIlEEEEZZNS1_33reduce_by_key_impl_wrapped_configILNS1_25lookback_scan_determinismE0ES3_S9_PhNS6_17constant_iteratorIiNS6_11use_defaultESE_EENS6_10device_ptrIhEENSG_IlEEPmS8_NS6_8equal_toIhEEEE10hipError_tPvRmT2_T3_mT4_T5_T6_T7_T8_P12ihipStream_tbENKUlT_T0_E_clISt17integral_constantIbLb1EES13_EEDaSY_SZ_EUlSY_E_NS1_11comp_targetILNS1_3genE2ELNS1_11target_archE906ELNS1_3gpuE6ELNS1_3repE0EEENS1_30default_config_static_selectorELNS0_4arch9wavefront6targetE1EEEvT1_,comdat
	.protected	_ZN7rocprim17ROCPRIM_400000_NS6detail17trampoline_kernelINS0_14default_configENS1_29reduce_by_key_config_selectorIhlN6thrust23THRUST_200600_302600_NS4plusIlEEEEZZNS1_33reduce_by_key_impl_wrapped_configILNS1_25lookback_scan_determinismE0ES3_S9_PhNS6_17constant_iteratorIiNS6_11use_defaultESE_EENS6_10device_ptrIhEENSG_IlEEPmS8_NS6_8equal_toIhEEEE10hipError_tPvRmT2_T3_mT4_T5_T6_T7_T8_P12ihipStream_tbENKUlT_T0_E_clISt17integral_constantIbLb1EES13_EEDaSY_SZ_EUlSY_E_NS1_11comp_targetILNS1_3genE2ELNS1_11target_archE906ELNS1_3gpuE6ELNS1_3repE0EEENS1_30default_config_static_selectorELNS0_4arch9wavefront6targetE1EEEvT1_ ; -- Begin function _ZN7rocprim17ROCPRIM_400000_NS6detail17trampoline_kernelINS0_14default_configENS1_29reduce_by_key_config_selectorIhlN6thrust23THRUST_200600_302600_NS4plusIlEEEEZZNS1_33reduce_by_key_impl_wrapped_configILNS1_25lookback_scan_determinismE0ES3_S9_PhNS6_17constant_iteratorIiNS6_11use_defaultESE_EENS6_10device_ptrIhEENSG_IlEEPmS8_NS6_8equal_toIhEEEE10hipError_tPvRmT2_T3_mT4_T5_T6_T7_T8_P12ihipStream_tbENKUlT_T0_E_clISt17integral_constantIbLb1EES13_EEDaSY_SZ_EUlSY_E_NS1_11comp_targetILNS1_3genE2ELNS1_11target_archE906ELNS1_3gpuE6ELNS1_3repE0EEENS1_30default_config_static_selectorELNS0_4arch9wavefront6targetE1EEEvT1_
	.globl	_ZN7rocprim17ROCPRIM_400000_NS6detail17trampoline_kernelINS0_14default_configENS1_29reduce_by_key_config_selectorIhlN6thrust23THRUST_200600_302600_NS4plusIlEEEEZZNS1_33reduce_by_key_impl_wrapped_configILNS1_25lookback_scan_determinismE0ES3_S9_PhNS6_17constant_iteratorIiNS6_11use_defaultESE_EENS6_10device_ptrIhEENSG_IlEEPmS8_NS6_8equal_toIhEEEE10hipError_tPvRmT2_T3_mT4_T5_T6_T7_T8_P12ihipStream_tbENKUlT_T0_E_clISt17integral_constantIbLb1EES13_EEDaSY_SZ_EUlSY_E_NS1_11comp_targetILNS1_3genE2ELNS1_11target_archE906ELNS1_3gpuE6ELNS1_3repE0EEENS1_30default_config_static_selectorELNS0_4arch9wavefront6targetE1EEEvT1_
	.p2align	8
	.type	_ZN7rocprim17ROCPRIM_400000_NS6detail17trampoline_kernelINS0_14default_configENS1_29reduce_by_key_config_selectorIhlN6thrust23THRUST_200600_302600_NS4plusIlEEEEZZNS1_33reduce_by_key_impl_wrapped_configILNS1_25lookback_scan_determinismE0ES3_S9_PhNS6_17constant_iteratorIiNS6_11use_defaultESE_EENS6_10device_ptrIhEENSG_IlEEPmS8_NS6_8equal_toIhEEEE10hipError_tPvRmT2_T3_mT4_T5_T6_T7_T8_P12ihipStream_tbENKUlT_T0_E_clISt17integral_constantIbLb1EES13_EEDaSY_SZ_EUlSY_E_NS1_11comp_targetILNS1_3genE2ELNS1_11target_archE906ELNS1_3gpuE6ELNS1_3repE0EEENS1_30default_config_static_selectorELNS0_4arch9wavefront6targetE1EEEvT1_,@function
_ZN7rocprim17ROCPRIM_400000_NS6detail17trampoline_kernelINS0_14default_configENS1_29reduce_by_key_config_selectorIhlN6thrust23THRUST_200600_302600_NS4plusIlEEEEZZNS1_33reduce_by_key_impl_wrapped_configILNS1_25lookback_scan_determinismE0ES3_S9_PhNS6_17constant_iteratorIiNS6_11use_defaultESE_EENS6_10device_ptrIhEENSG_IlEEPmS8_NS6_8equal_toIhEEEE10hipError_tPvRmT2_T3_mT4_T5_T6_T7_T8_P12ihipStream_tbENKUlT_T0_E_clISt17integral_constantIbLb1EES13_EEDaSY_SZ_EUlSY_E_NS1_11comp_targetILNS1_3genE2ELNS1_11target_archE906ELNS1_3gpuE6ELNS1_3repE0EEENS1_30default_config_static_selectorELNS0_4arch9wavefront6targetE1EEEvT1_: ; @_ZN7rocprim17ROCPRIM_400000_NS6detail17trampoline_kernelINS0_14default_configENS1_29reduce_by_key_config_selectorIhlN6thrust23THRUST_200600_302600_NS4plusIlEEEEZZNS1_33reduce_by_key_impl_wrapped_configILNS1_25lookback_scan_determinismE0ES3_S9_PhNS6_17constant_iteratorIiNS6_11use_defaultESE_EENS6_10device_ptrIhEENSG_IlEEPmS8_NS6_8equal_toIhEEEE10hipError_tPvRmT2_T3_mT4_T5_T6_T7_T8_P12ihipStream_tbENKUlT_T0_E_clISt17integral_constantIbLb1EES13_EEDaSY_SZ_EUlSY_E_NS1_11comp_targetILNS1_3genE2ELNS1_11target_archE906ELNS1_3gpuE6ELNS1_3repE0EEENS1_30default_config_static_selectorELNS0_4arch9wavefront6targetE1EEEvT1_
; %bb.0:
	.section	.rodata,"a",@progbits
	.p2align	6, 0x0
	.amdhsa_kernel _ZN7rocprim17ROCPRIM_400000_NS6detail17trampoline_kernelINS0_14default_configENS1_29reduce_by_key_config_selectorIhlN6thrust23THRUST_200600_302600_NS4plusIlEEEEZZNS1_33reduce_by_key_impl_wrapped_configILNS1_25lookback_scan_determinismE0ES3_S9_PhNS6_17constant_iteratorIiNS6_11use_defaultESE_EENS6_10device_ptrIhEENSG_IlEEPmS8_NS6_8equal_toIhEEEE10hipError_tPvRmT2_T3_mT4_T5_T6_T7_T8_P12ihipStream_tbENKUlT_T0_E_clISt17integral_constantIbLb1EES13_EEDaSY_SZ_EUlSY_E_NS1_11comp_targetILNS1_3genE2ELNS1_11target_archE906ELNS1_3gpuE6ELNS1_3repE0EEENS1_30default_config_static_selectorELNS0_4arch9wavefront6targetE1EEEvT1_
		.amdhsa_group_segment_fixed_size 0
		.amdhsa_private_segment_fixed_size 0
		.amdhsa_kernarg_size 144
		.amdhsa_user_sgpr_count 6
		.amdhsa_user_sgpr_private_segment_buffer 1
		.amdhsa_user_sgpr_dispatch_ptr 0
		.amdhsa_user_sgpr_queue_ptr 0
		.amdhsa_user_sgpr_kernarg_segment_ptr 1
		.amdhsa_user_sgpr_dispatch_id 0
		.amdhsa_user_sgpr_flat_scratch_init 0
		.amdhsa_user_sgpr_kernarg_preload_length 0
		.amdhsa_user_sgpr_kernarg_preload_offset 0
		.amdhsa_user_sgpr_private_segment_size 0
		.amdhsa_uses_dynamic_stack 0
		.amdhsa_system_sgpr_private_segment_wavefront_offset 0
		.amdhsa_system_sgpr_workgroup_id_x 1
		.amdhsa_system_sgpr_workgroup_id_y 0
		.amdhsa_system_sgpr_workgroup_id_z 0
		.amdhsa_system_sgpr_workgroup_info 0
		.amdhsa_system_vgpr_workitem_id 0
		.amdhsa_next_free_vgpr 1
		.amdhsa_next_free_sgpr 0
		.amdhsa_accum_offset 4
		.amdhsa_reserve_vcc 0
		.amdhsa_reserve_flat_scratch 0
		.amdhsa_float_round_mode_32 0
		.amdhsa_float_round_mode_16_64 0
		.amdhsa_float_denorm_mode_32 3
		.amdhsa_float_denorm_mode_16_64 3
		.amdhsa_dx10_clamp 1
		.amdhsa_ieee_mode 1
		.amdhsa_fp16_overflow 0
		.amdhsa_tg_split 0
		.amdhsa_exception_fp_ieee_invalid_op 0
		.amdhsa_exception_fp_denorm_src 0
		.amdhsa_exception_fp_ieee_div_zero 0
		.amdhsa_exception_fp_ieee_overflow 0
		.amdhsa_exception_fp_ieee_underflow 0
		.amdhsa_exception_fp_ieee_inexact 0
		.amdhsa_exception_int_div_zero 0
	.end_amdhsa_kernel
	.section	.text._ZN7rocprim17ROCPRIM_400000_NS6detail17trampoline_kernelINS0_14default_configENS1_29reduce_by_key_config_selectorIhlN6thrust23THRUST_200600_302600_NS4plusIlEEEEZZNS1_33reduce_by_key_impl_wrapped_configILNS1_25lookback_scan_determinismE0ES3_S9_PhNS6_17constant_iteratorIiNS6_11use_defaultESE_EENS6_10device_ptrIhEENSG_IlEEPmS8_NS6_8equal_toIhEEEE10hipError_tPvRmT2_T3_mT4_T5_T6_T7_T8_P12ihipStream_tbENKUlT_T0_E_clISt17integral_constantIbLb1EES13_EEDaSY_SZ_EUlSY_E_NS1_11comp_targetILNS1_3genE2ELNS1_11target_archE906ELNS1_3gpuE6ELNS1_3repE0EEENS1_30default_config_static_selectorELNS0_4arch9wavefront6targetE1EEEvT1_,"axG",@progbits,_ZN7rocprim17ROCPRIM_400000_NS6detail17trampoline_kernelINS0_14default_configENS1_29reduce_by_key_config_selectorIhlN6thrust23THRUST_200600_302600_NS4plusIlEEEEZZNS1_33reduce_by_key_impl_wrapped_configILNS1_25lookback_scan_determinismE0ES3_S9_PhNS6_17constant_iteratorIiNS6_11use_defaultESE_EENS6_10device_ptrIhEENSG_IlEEPmS8_NS6_8equal_toIhEEEE10hipError_tPvRmT2_T3_mT4_T5_T6_T7_T8_P12ihipStream_tbENKUlT_T0_E_clISt17integral_constantIbLb1EES13_EEDaSY_SZ_EUlSY_E_NS1_11comp_targetILNS1_3genE2ELNS1_11target_archE906ELNS1_3gpuE6ELNS1_3repE0EEENS1_30default_config_static_selectorELNS0_4arch9wavefront6targetE1EEEvT1_,comdat
.Lfunc_end378:
	.size	_ZN7rocprim17ROCPRIM_400000_NS6detail17trampoline_kernelINS0_14default_configENS1_29reduce_by_key_config_selectorIhlN6thrust23THRUST_200600_302600_NS4plusIlEEEEZZNS1_33reduce_by_key_impl_wrapped_configILNS1_25lookback_scan_determinismE0ES3_S9_PhNS6_17constant_iteratorIiNS6_11use_defaultESE_EENS6_10device_ptrIhEENSG_IlEEPmS8_NS6_8equal_toIhEEEE10hipError_tPvRmT2_T3_mT4_T5_T6_T7_T8_P12ihipStream_tbENKUlT_T0_E_clISt17integral_constantIbLb1EES13_EEDaSY_SZ_EUlSY_E_NS1_11comp_targetILNS1_3genE2ELNS1_11target_archE906ELNS1_3gpuE6ELNS1_3repE0EEENS1_30default_config_static_selectorELNS0_4arch9wavefront6targetE1EEEvT1_, .Lfunc_end378-_ZN7rocprim17ROCPRIM_400000_NS6detail17trampoline_kernelINS0_14default_configENS1_29reduce_by_key_config_selectorIhlN6thrust23THRUST_200600_302600_NS4plusIlEEEEZZNS1_33reduce_by_key_impl_wrapped_configILNS1_25lookback_scan_determinismE0ES3_S9_PhNS6_17constant_iteratorIiNS6_11use_defaultESE_EENS6_10device_ptrIhEENSG_IlEEPmS8_NS6_8equal_toIhEEEE10hipError_tPvRmT2_T3_mT4_T5_T6_T7_T8_P12ihipStream_tbENKUlT_T0_E_clISt17integral_constantIbLb1EES13_EEDaSY_SZ_EUlSY_E_NS1_11comp_targetILNS1_3genE2ELNS1_11target_archE906ELNS1_3gpuE6ELNS1_3repE0EEENS1_30default_config_static_selectorELNS0_4arch9wavefront6targetE1EEEvT1_
                                        ; -- End function
	.section	.AMDGPU.csdata,"",@progbits
; Kernel info:
; codeLenInByte = 0
; NumSgprs: 4
; NumVgprs: 0
; NumAgprs: 0
; TotalNumVgprs: 0
; ScratchSize: 0
; MemoryBound: 0
; FloatMode: 240
; IeeeMode: 1
; LDSByteSize: 0 bytes/workgroup (compile time only)
; SGPRBlocks: 0
; VGPRBlocks: 0
; NumSGPRsForWavesPerEU: 4
; NumVGPRsForWavesPerEU: 1
; AccumOffset: 4
; Occupancy: 8
; WaveLimiterHint : 0
; COMPUTE_PGM_RSRC2:SCRATCH_EN: 0
; COMPUTE_PGM_RSRC2:USER_SGPR: 6
; COMPUTE_PGM_RSRC2:TRAP_HANDLER: 0
; COMPUTE_PGM_RSRC2:TGID_X_EN: 1
; COMPUTE_PGM_RSRC2:TGID_Y_EN: 0
; COMPUTE_PGM_RSRC2:TGID_Z_EN: 0
; COMPUTE_PGM_RSRC2:TIDIG_COMP_CNT: 0
; COMPUTE_PGM_RSRC3_GFX90A:ACCUM_OFFSET: 0
; COMPUTE_PGM_RSRC3_GFX90A:TG_SPLIT: 0
	.section	.text._ZN7rocprim17ROCPRIM_400000_NS6detail17trampoline_kernelINS0_14default_configENS1_29reduce_by_key_config_selectorIhlN6thrust23THRUST_200600_302600_NS4plusIlEEEEZZNS1_33reduce_by_key_impl_wrapped_configILNS1_25lookback_scan_determinismE0ES3_S9_PhNS6_17constant_iteratorIiNS6_11use_defaultESE_EENS6_10device_ptrIhEENSG_IlEEPmS8_NS6_8equal_toIhEEEE10hipError_tPvRmT2_T3_mT4_T5_T6_T7_T8_P12ihipStream_tbENKUlT_T0_E_clISt17integral_constantIbLb1EES13_EEDaSY_SZ_EUlSY_E_NS1_11comp_targetILNS1_3genE10ELNS1_11target_archE1201ELNS1_3gpuE5ELNS1_3repE0EEENS1_30default_config_static_selectorELNS0_4arch9wavefront6targetE1EEEvT1_,"axG",@progbits,_ZN7rocprim17ROCPRIM_400000_NS6detail17trampoline_kernelINS0_14default_configENS1_29reduce_by_key_config_selectorIhlN6thrust23THRUST_200600_302600_NS4plusIlEEEEZZNS1_33reduce_by_key_impl_wrapped_configILNS1_25lookback_scan_determinismE0ES3_S9_PhNS6_17constant_iteratorIiNS6_11use_defaultESE_EENS6_10device_ptrIhEENSG_IlEEPmS8_NS6_8equal_toIhEEEE10hipError_tPvRmT2_T3_mT4_T5_T6_T7_T8_P12ihipStream_tbENKUlT_T0_E_clISt17integral_constantIbLb1EES13_EEDaSY_SZ_EUlSY_E_NS1_11comp_targetILNS1_3genE10ELNS1_11target_archE1201ELNS1_3gpuE5ELNS1_3repE0EEENS1_30default_config_static_selectorELNS0_4arch9wavefront6targetE1EEEvT1_,comdat
	.protected	_ZN7rocprim17ROCPRIM_400000_NS6detail17trampoline_kernelINS0_14default_configENS1_29reduce_by_key_config_selectorIhlN6thrust23THRUST_200600_302600_NS4plusIlEEEEZZNS1_33reduce_by_key_impl_wrapped_configILNS1_25lookback_scan_determinismE0ES3_S9_PhNS6_17constant_iteratorIiNS6_11use_defaultESE_EENS6_10device_ptrIhEENSG_IlEEPmS8_NS6_8equal_toIhEEEE10hipError_tPvRmT2_T3_mT4_T5_T6_T7_T8_P12ihipStream_tbENKUlT_T0_E_clISt17integral_constantIbLb1EES13_EEDaSY_SZ_EUlSY_E_NS1_11comp_targetILNS1_3genE10ELNS1_11target_archE1201ELNS1_3gpuE5ELNS1_3repE0EEENS1_30default_config_static_selectorELNS0_4arch9wavefront6targetE1EEEvT1_ ; -- Begin function _ZN7rocprim17ROCPRIM_400000_NS6detail17trampoline_kernelINS0_14default_configENS1_29reduce_by_key_config_selectorIhlN6thrust23THRUST_200600_302600_NS4plusIlEEEEZZNS1_33reduce_by_key_impl_wrapped_configILNS1_25lookback_scan_determinismE0ES3_S9_PhNS6_17constant_iteratorIiNS6_11use_defaultESE_EENS6_10device_ptrIhEENSG_IlEEPmS8_NS6_8equal_toIhEEEE10hipError_tPvRmT2_T3_mT4_T5_T6_T7_T8_P12ihipStream_tbENKUlT_T0_E_clISt17integral_constantIbLb1EES13_EEDaSY_SZ_EUlSY_E_NS1_11comp_targetILNS1_3genE10ELNS1_11target_archE1201ELNS1_3gpuE5ELNS1_3repE0EEENS1_30default_config_static_selectorELNS0_4arch9wavefront6targetE1EEEvT1_
	.globl	_ZN7rocprim17ROCPRIM_400000_NS6detail17trampoline_kernelINS0_14default_configENS1_29reduce_by_key_config_selectorIhlN6thrust23THRUST_200600_302600_NS4plusIlEEEEZZNS1_33reduce_by_key_impl_wrapped_configILNS1_25lookback_scan_determinismE0ES3_S9_PhNS6_17constant_iteratorIiNS6_11use_defaultESE_EENS6_10device_ptrIhEENSG_IlEEPmS8_NS6_8equal_toIhEEEE10hipError_tPvRmT2_T3_mT4_T5_T6_T7_T8_P12ihipStream_tbENKUlT_T0_E_clISt17integral_constantIbLb1EES13_EEDaSY_SZ_EUlSY_E_NS1_11comp_targetILNS1_3genE10ELNS1_11target_archE1201ELNS1_3gpuE5ELNS1_3repE0EEENS1_30default_config_static_selectorELNS0_4arch9wavefront6targetE1EEEvT1_
	.p2align	8
	.type	_ZN7rocprim17ROCPRIM_400000_NS6detail17trampoline_kernelINS0_14default_configENS1_29reduce_by_key_config_selectorIhlN6thrust23THRUST_200600_302600_NS4plusIlEEEEZZNS1_33reduce_by_key_impl_wrapped_configILNS1_25lookback_scan_determinismE0ES3_S9_PhNS6_17constant_iteratorIiNS6_11use_defaultESE_EENS6_10device_ptrIhEENSG_IlEEPmS8_NS6_8equal_toIhEEEE10hipError_tPvRmT2_T3_mT4_T5_T6_T7_T8_P12ihipStream_tbENKUlT_T0_E_clISt17integral_constantIbLb1EES13_EEDaSY_SZ_EUlSY_E_NS1_11comp_targetILNS1_3genE10ELNS1_11target_archE1201ELNS1_3gpuE5ELNS1_3repE0EEENS1_30default_config_static_selectorELNS0_4arch9wavefront6targetE1EEEvT1_,@function
_ZN7rocprim17ROCPRIM_400000_NS6detail17trampoline_kernelINS0_14default_configENS1_29reduce_by_key_config_selectorIhlN6thrust23THRUST_200600_302600_NS4plusIlEEEEZZNS1_33reduce_by_key_impl_wrapped_configILNS1_25lookback_scan_determinismE0ES3_S9_PhNS6_17constant_iteratorIiNS6_11use_defaultESE_EENS6_10device_ptrIhEENSG_IlEEPmS8_NS6_8equal_toIhEEEE10hipError_tPvRmT2_T3_mT4_T5_T6_T7_T8_P12ihipStream_tbENKUlT_T0_E_clISt17integral_constantIbLb1EES13_EEDaSY_SZ_EUlSY_E_NS1_11comp_targetILNS1_3genE10ELNS1_11target_archE1201ELNS1_3gpuE5ELNS1_3repE0EEENS1_30default_config_static_selectorELNS0_4arch9wavefront6targetE1EEEvT1_: ; @_ZN7rocprim17ROCPRIM_400000_NS6detail17trampoline_kernelINS0_14default_configENS1_29reduce_by_key_config_selectorIhlN6thrust23THRUST_200600_302600_NS4plusIlEEEEZZNS1_33reduce_by_key_impl_wrapped_configILNS1_25lookback_scan_determinismE0ES3_S9_PhNS6_17constant_iteratorIiNS6_11use_defaultESE_EENS6_10device_ptrIhEENSG_IlEEPmS8_NS6_8equal_toIhEEEE10hipError_tPvRmT2_T3_mT4_T5_T6_T7_T8_P12ihipStream_tbENKUlT_T0_E_clISt17integral_constantIbLb1EES13_EEDaSY_SZ_EUlSY_E_NS1_11comp_targetILNS1_3genE10ELNS1_11target_archE1201ELNS1_3gpuE5ELNS1_3repE0EEENS1_30default_config_static_selectorELNS0_4arch9wavefront6targetE1EEEvT1_
; %bb.0:
	.section	.rodata,"a",@progbits
	.p2align	6, 0x0
	.amdhsa_kernel _ZN7rocprim17ROCPRIM_400000_NS6detail17trampoline_kernelINS0_14default_configENS1_29reduce_by_key_config_selectorIhlN6thrust23THRUST_200600_302600_NS4plusIlEEEEZZNS1_33reduce_by_key_impl_wrapped_configILNS1_25lookback_scan_determinismE0ES3_S9_PhNS6_17constant_iteratorIiNS6_11use_defaultESE_EENS6_10device_ptrIhEENSG_IlEEPmS8_NS6_8equal_toIhEEEE10hipError_tPvRmT2_T3_mT4_T5_T6_T7_T8_P12ihipStream_tbENKUlT_T0_E_clISt17integral_constantIbLb1EES13_EEDaSY_SZ_EUlSY_E_NS1_11comp_targetILNS1_3genE10ELNS1_11target_archE1201ELNS1_3gpuE5ELNS1_3repE0EEENS1_30default_config_static_selectorELNS0_4arch9wavefront6targetE1EEEvT1_
		.amdhsa_group_segment_fixed_size 0
		.amdhsa_private_segment_fixed_size 0
		.amdhsa_kernarg_size 144
		.amdhsa_user_sgpr_count 6
		.amdhsa_user_sgpr_private_segment_buffer 1
		.amdhsa_user_sgpr_dispatch_ptr 0
		.amdhsa_user_sgpr_queue_ptr 0
		.amdhsa_user_sgpr_kernarg_segment_ptr 1
		.amdhsa_user_sgpr_dispatch_id 0
		.amdhsa_user_sgpr_flat_scratch_init 0
		.amdhsa_user_sgpr_kernarg_preload_length 0
		.amdhsa_user_sgpr_kernarg_preload_offset 0
		.amdhsa_user_sgpr_private_segment_size 0
		.amdhsa_uses_dynamic_stack 0
		.amdhsa_system_sgpr_private_segment_wavefront_offset 0
		.amdhsa_system_sgpr_workgroup_id_x 1
		.amdhsa_system_sgpr_workgroup_id_y 0
		.amdhsa_system_sgpr_workgroup_id_z 0
		.amdhsa_system_sgpr_workgroup_info 0
		.amdhsa_system_vgpr_workitem_id 0
		.amdhsa_next_free_vgpr 1
		.amdhsa_next_free_sgpr 0
		.amdhsa_accum_offset 4
		.amdhsa_reserve_vcc 0
		.amdhsa_reserve_flat_scratch 0
		.amdhsa_float_round_mode_32 0
		.amdhsa_float_round_mode_16_64 0
		.amdhsa_float_denorm_mode_32 3
		.amdhsa_float_denorm_mode_16_64 3
		.amdhsa_dx10_clamp 1
		.amdhsa_ieee_mode 1
		.amdhsa_fp16_overflow 0
		.amdhsa_tg_split 0
		.amdhsa_exception_fp_ieee_invalid_op 0
		.amdhsa_exception_fp_denorm_src 0
		.amdhsa_exception_fp_ieee_div_zero 0
		.amdhsa_exception_fp_ieee_overflow 0
		.amdhsa_exception_fp_ieee_underflow 0
		.amdhsa_exception_fp_ieee_inexact 0
		.amdhsa_exception_int_div_zero 0
	.end_amdhsa_kernel
	.section	.text._ZN7rocprim17ROCPRIM_400000_NS6detail17trampoline_kernelINS0_14default_configENS1_29reduce_by_key_config_selectorIhlN6thrust23THRUST_200600_302600_NS4plusIlEEEEZZNS1_33reduce_by_key_impl_wrapped_configILNS1_25lookback_scan_determinismE0ES3_S9_PhNS6_17constant_iteratorIiNS6_11use_defaultESE_EENS6_10device_ptrIhEENSG_IlEEPmS8_NS6_8equal_toIhEEEE10hipError_tPvRmT2_T3_mT4_T5_T6_T7_T8_P12ihipStream_tbENKUlT_T0_E_clISt17integral_constantIbLb1EES13_EEDaSY_SZ_EUlSY_E_NS1_11comp_targetILNS1_3genE10ELNS1_11target_archE1201ELNS1_3gpuE5ELNS1_3repE0EEENS1_30default_config_static_selectorELNS0_4arch9wavefront6targetE1EEEvT1_,"axG",@progbits,_ZN7rocprim17ROCPRIM_400000_NS6detail17trampoline_kernelINS0_14default_configENS1_29reduce_by_key_config_selectorIhlN6thrust23THRUST_200600_302600_NS4plusIlEEEEZZNS1_33reduce_by_key_impl_wrapped_configILNS1_25lookback_scan_determinismE0ES3_S9_PhNS6_17constant_iteratorIiNS6_11use_defaultESE_EENS6_10device_ptrIhEENSG_IlEEPmS8_NS6_8equal_toIhEEEE10hipError_tPvRmT2_T3_mT4_T5_T6_T7_T8_P12ihipStream_tbENKUlT_T0_E_clISt17integral_constantIbLb1EES13_EEDaSY_SZ_EUlSY_E_NS1_11comp_targetILNS1_3genE10ELNS1_11target_archE1201ELNS1_3gpuE5ELNS1_3repE0EEENS1_30default_config_static_selectorELNS0_4arch9wavefront6targetE1EEEvT1_,comdat
.Lfunc_end379:
	.size	_ZN7rocprim17ROCPRIM_400000_NS6detail17trampoline_kernelINS0_14default_configENS1_29reduce_by_key_config_selectorIhlN6thrust23THRUST_200600_302600_NS4plusIlEEEEZZNS1_33reduce_by_key_impl_wrapped_configILNS1_25lookback_scan_determinismE0ES3_S9_PhNS6_17constant_iteratorIiNS6_11use_defaultESE_EENS6_10device_ptrIhEENSG_IlEEPmS8_NS6_8equal_toIhEEEE10hipError_tPvRmT2_T3_mT4_T5_T6_T7_T8_P12ihipStream_tbENKUlT_T0_E_clISt17integral_constantIbLb1EES13_EEDaSY_SZ_EUlSY_E_NS1_11comp_targetILNS1_3genE10ELNS1_11target_archE1201ELNS1_3gpuE5ELNS1_3repE0EEENS1_30default_config_static_selectorELNS0_4arch9wavefront6targetE1EEEvT1_, .Lfunc_end379-_ZN7rocprim17ROCPRIM_400000_NS6detail17trampoline_kernelINS0_14default_configENS1_29reduce_by_key_config_selectorIhlN6thrust23THRUST_200600_302600_NS4plusIlEEEEZZNS1_33reduce_by_key_impl_wrapped_configILNS1_25lookback_scan_determinismE0ES3_S9_PhNS6_17constant_iteratorIiNS6_11use_defaultESE_EENS6_10device_ptrIhEENSG_IlEEPmS8_NS6_8equal_toIhEEEE10hipError_tPvRmT2_T3_mT4_T5_T6_T7_T8_P12ihipStream_tbENKUlT_T0_E_clISt17integral_constantIbLb1EES13_EEDaSY_SZ_EUlSY_E_NS1_11comp_targetILNS1_3genE10ELNS1_11target_archE1201ELNS1_3gpuE5ELNS1_3repE0EEENS1_30default_config_static_selectorELNS0_4arch9wavefront6targetE1EEEvT1_
                                        ; -- End function
	.section	.AMDGPU.csdata,"",@progbits
; Kernel info:
; codeLenInByte = 0
; NumSgprs: 4
; NumVgprs: 0
; NumAgprs: 0
; TotalNumVgprs: 0
; ScratchSize: 0
; MemoryBound: 0
; FloatMode: 240
; IeeeMode: 1
; LDSByteSize: 0 bytes/workgroup (compile time only)
; SGPRBlocks: 0
; VGPRBlocks: 0
; NumSGPRsForWavesPerEU: 4
; NumVGPRsForWavesPerEU: 1
; AccumOffset: 4
; Occupancy: 8
; WaveLimiterHint : 0
; COMPUTE_PGM_RSRC2:SCRATCH_EN: 0
; COMPUTE_PGM_RSRC2:USER_SGPR: 6
; COMPUTE_PGM_RSRC2:TRAP_HANDLER: 0
; COMPUTE_PGM_RSRC2:TGID_X_EN: 1
; COMPUTE_PGM_RSRC2:TGID_Y_EN: 0
; COMPUTE_PGM_RSRC2:TGID_Z_EN: 0
; COMPUTE_PGM_RSRC2:TIDIG_COMP_CNT: 0
; COMPUTE_PGM_RSRC3_GFX90A:ACCUM_OFFSET: 0
; COMPUTE_PGM_RSRC3_GFX90A:TG_SPLIT: 0
	.section	.text._ZN7rocprim17ROCPRIM_400000_NS6detail17trampoline_kernelINS0_14default_configENS1_29reduce_by_key_config_selectorIhlN6thrust23THRUST_200600_302600_NS4plusIlEEEEZZNS1_33reduce_by_key_impl_wrapped_configILNS1_25lookback_scan_determinismE0ES3_S9_PhNS6_17constant_iteratorIiNS6_11use_defaultESE_EENS6_10device_ptrIhEENSG_IlEEPmS8_NS6_8equal_toIhEEEE10hipError_tPvRmT2_T3_mT4_T5_T6_T7_T8_P12ihipStream_tbENKUlT_T0_E_clISt17integral_constantIbLb1EES13_EEDaSY_SZ_EUlSY_E_NS1_11comp_targetILNS1_3genE10ELNS1_11target_archE1200ELNS1_3gpuE4ELNS1_3repE0EEENS1_30default_config_static_selectorELNS0_4arch9wavefront6targetE1EEEvT1_,"axG",@progbits,_ZN7rocprim17ROCPRIM_400000_NS6detail17trampoline_kernelINS0_14default_configENS1_29reduce_by_key_config_selectorIhlN6thrust23THRUST_200600_302600_NS4plusIlEEEEZZNS1_33reduce_by_key_impl_wrapped_configILNS1_25lookback_scan_determinismE0ES3_S9_PhNS6_17constant_iteratorIiNS6_11use_defaultESE_EENS6_10device_ptrIhEENSG_IlEEPmS8_NS6_8equal_toIhEEEE10hipError_tPvRmT2_T3_mT4_T5_T6_T7_T8_P12ihipStream_tbENKUlT_T0_E_clISt17integral_constantIbLb1EES13_EEDaSY_SZ_EUlSY_E_NS1_11comp_targetILNS1_3genE10ELNS1_11target_archE1200ELNS1_3gpuE4ELNS1_3repE0EEENS1_30default_config_static_selectorELNS0_4arch9wavefront6targetE1EEEvT1_,comdat
	.protected	_ZN7rocprim17ROCPRIM_400000_NS6detail17trampoline_kernelINS0_14default_configENS1_29reduce_by_key_config_selectorIhlN6thrust23THRUST_200600_302600_NS4plusIlEEEEZZNS1_33reduce_by_key_impl_wrapped_configILNS1_25lookback_scan_determinismE0ES3_S9_PhNS6_17constant_iteratorIiNS6_11use_defaultESE_EENS6_10device_ptrIhEENSG_IlEEPmS8_NS6_8equal_toIhEEEE10hipError_tPvRmT2_T3_mT4_T5_T6_T7_T8_P12ihipStream_tbENKUlT_T0_E_clISt17integral_constantIbLb1EES13_EEDaSY_SZ_EUlSY_E_NS1_11comp_targetILNS1_3genE10ELNS1_11target_archE1200ELNS1_3gpuE4ELNS1_3repE0EEENS1_30default_config_static_selectorELNS0_4arch9wavefront6targetE1EEEvT1_ ; -- Begin function _ZN7rocprim17ROCPRIM_400000_NS6detail17trampoline_kernelINS0_14default_configENS1_29reduce_by_key_config_selectorIhlN6thrust23THRUST_200600_302600_NS4plusIlEEEEZZNS1_33reduce_by_key_impl_wrapped_configILNS1_25lookback_scan_determinismE0ES3_S9_PhNS6_17constant_iteratorIiNS6_11use_defaultESE_EENS6_10device_ptrIhEENSG_IlEEPmS8_NS6_8equal_toIhEEEE10hipError_tPvRmT2_T3_mT4_T5_T6_T7_T8_P12ihipStream_tbENKUlT_T0_E_clISt17integral_constantIbLb1EES13_EEDaSY_SZ_EUlSY_E_NS1_11comp_targetILNS1_3genE10ELNS1_11target_archE1200ELNS1_3gpuE4ELNS1_3repE0EEENS1_30default_config_static_selectorELNS0_4arch9wavefront6targetE1EEEvT1_
	.globl	_ZN7rocprim17ROCPRIM_400000_NS6detail17trampoline_kernelINS0_14default_configENS1_29reduce_by_key_config_selectorIhlN6thrust23THRUST_200600_302600_NS4plusIlEEEEZZNS1_33reduce_by_key_impl_wrapped_configILNS1_25lookback_scan_determinismE0ES3_S9_PhNS6_17constant_iteratorIiNS6_11use_defaultESE_EENS6_10device_ptrIhEENSG_IlEEPmS8_NS6_8equal_toIhEEEE10hipError_tPvRmT2_T3_mT4_T5_T6_T7_T8_P12ihipStream_tbENKUlT_T0_E_clISt17integral_constantIbLb1EES13_EEDaSY_SZ_EUlSY_E_NS1_11comp_targetILNS1_3genE10ELNS1_11target_archE1200ELNS1_3gpuE4ELNS1_3repE0EEENS1_30default_config_static_selectorELNS0_4arch9wavefront6targetE1EEEvT1_
	.p2align	8
	.type	_ZN7rocprim17ROCPRIM_400000_NS6detail17trampoline_kernelINS0_14default_configENS1_29reduce_by_key_config_selectorIhlN6thrust23THRUST_200600_302600_NS4plusIlEEEEZZNS1_33reduce_by_key_impl_wrapped_configILNS1_25lookback_scan_determinismE0ES3_S9_PhNS6_17constant_iteratorIiNS6_11use_defaultESE_EENS6_10device_ptrIhEENSG_IlEEPmS8_NS6_8equal_toIhEEEE10hipError_tPvRmT2_T3_mT4_T5_T6_T7_T8_P12ihipStream_tbENKUlT_T0_E_clISt17integral_constantIbLb1EES13_EEDaSY_SZ_EUlSY_E_NS1_11comp_targetILNS1_3genE10ELNS1_11target_archE1200ELNS1_3gpuE4ELNS1_3repE0EEENS1_30default_config_static_selectorELNS0_4arch9wavefront6targetE1EEEvT1_,@function
_ZN7rocprim17ROCPRIM_400000_NS6detail17trampoline_kernelINS0_14default_configENS1_29reduce_by_key_config_selectorIhlN6thrust23THRUST_200600_302600_NS4plusIlEEEEZZNS1_33reduce_by_key_impl_wrapped_configILNS1_25lookback_scan_determinismE0ES3_S9_PhNS6_17constant_iteratorIiNS6_11use_defaultESE_EENS6_10device_ptrIhEENSG_IlEEPmS8_NS6_8equal_toIhEEEE10hipError_tPvRmT2_T3_mT4_T5_T6_T7_T8_P12ihipStream_tbENKUlT_T0_E_clISt17integral_constantIbLb1EES13_EEDaSY_SZ_EUlSY_E_NS1_11comp_targetILNS1_3genE10ELNS1_11target_archE1200ELNS1_3gpuE4ELNS1_3repE0EEENS1_30default_config_static_selectorELNS0_4arch9wavefront6targetE1EEEvT1_: ; @_ZN7rocprim17ROCPRIM_400000_NS6detail17trampoline_kernelINS0_14default_configENS1_29reduce_by_key_config_selectorIhlN6thrust23THRUST_200600_302600_NS4plusIlEEEEZZNS1_33reduce_by_key_impl_wrapped_configILNS1_25lookback_scan_determinismE0ES3_S9_PhNS6_17constant_iteratorIiNS6_11use_defaultESE_EENS6_10device_ptrIhEENSG_IlEEPmS8_NS6_8equal_toIhEEEE10hipError_tPvRmT2_T3_mT4_T5_T6_T7_T8_P12ihipStream_tbENKUlT_T0_E_clISt17integral_constantIbLb1EES13_EEDaSY_SZ_EUlSY_E_NS1_11comp_targetILNS1_3genE10ELNS1_11target_archE1200ELNS1_3gpuE4ELNS1_3repE0EEENS1_30default_config_static_selectorELNS0_4arch9wavefront6targetE1EEEvT1_
; %bb.0:
	.section	.rodata,"a",@progbits
	.p2align	6, 0x0
	.amdhsa_kernel _ZN7rocprim17ROCPRIM_400000_NS6detail17trampoline_kernelINS0_14default_configENS1_29reduce_by_key_config_selectorIhlN6thrust23THRUST_200600_302600_NS4plusIlEEEEZZNS1_33reduce_by_key_impl_wrapped_configILNS1_25lookback_scan_determinismE0ES3_S9_PhNS6_17constant_iteratorIiNS6_11use_defaultESE_EENS6_10device_ptrIhEENSG_IlEEPmS8_NS6_8equal_toIhEEEE10hipError_tPvRmT2_T3_mT4_T5_T6_T7_T8_P12ihipStream_tbENKUlT_T0_E_clISt17integral_constantIbLb1EES13_EEDaSY_SZ_EUlSY_E_NS1_11comp_targetILNS1_3genE10ELNS1_11target_archE1200ELNS1_3gpuE4ELNS1_3repE0EEENS1_30default_config_static_selectorELNS0_4arch9wavefront6targetE1EEEvT1_
		.amdhsa_group_segment_fixed_size 0
		.amdhsa_private_segment_fixed_size 0
		.amdhsa_kernarg_size 144
		.amdhsa_user_sgpr_count 6
		.amdhsa_user_sgpr_private_segment_buffer 1
		.amdhsa_user_sgpr_dispatch_ptr 0
		.amdhsa_user_sgpr_queue_ptr 0
		.amdhsa_user_sgpr_kernarg_segment_ptr 1
		.amdhsa_user_sgpr_dispatch_id 0
		.amdhsa_user_sgpr_flat_scratch_init 0
		.amdhsa_user_sgpr_kernarg_preload_length 0
		.amdhsa_user_sgpr_kernarg_preload_offset 0
		.amdhsa_user_sgpr_private_segment_size 0
		.amdhsa_uses_dynamic_stack 0
		.amdhsa_system_sgpr_private_segment_wavefront_offset 0
		.amdhsa_system_sgpr_workgroup_id_x 1
		.amdhsa_system_sgpr_workgroup_id_y 0
		.amdhsa_system_sgpr_workgroup_id_z 0
		.amdhsa_system_sgpr_workgroup_info 0
		.amdhsa_system_vgpr_workitem_id 0
		.amdhsa_next_free_vgpr 1
		.amdhsa_next_free_sgpr 0
		.amdhsa_accum_offset 4
		.amdhsa_reserve_vcc 0
		.amdhsa_reserve_flat_scratch 0
		.amdhsa_float_round_mode_32 0
		.amdhsa_float_round_mode_16_64 0
		.amdhsa_float_denorm_mode_32 3
		.amdhsa_float_denorm_mode_16_64 3
		.amdhsa_dx10_clamp 1
		.amdhsa_ieee_mode 1
		.amdhsa_fp16_overflow 0
		.amdhsa_tg_split 0
		.amdhsa_exception_fp_ieee_invalid_op 0
		.amdhsa_exception_fp_denorm_src 0
		.amdhsa_exception_fp_ieee_div_zero 0
		.amdhsa_exception_fp_ieee_overflow 0
		.amdhsa_exception_fp_ieee_underflow 0
		.amdhsa_exception_fp_ieee_inexact 0
		.amdhsa_exception_int_div_zero 0
	.end_amdhsa_kernel
	.section	.text._ZN7rocprim17ROCPRIM_400000_NS6detail17trampoline_kernelINS0_14default_configENS1_29reduce_by_key_config_selectorIhlN6thrust23THRUST_200600_302600_NS4plusIlEEEEZZNS1_33reduce_by_key_impl_wrapped_configILNS1_25lookback_scan_determinismE0ES3_S9_PhNS6_17constant_iteratorIiNS6_11use_defaultESE_EENS6_10device_ptrIhEENSG_IlEEPmS8_NS6_8equal_toIhEEEE10hipError_tPvRmT2_T3_mT4_T5_T6_T7_T8_P12ihipStream_tbENKUlT_T0_E_clISt17integral_constantIbLb1EES13_EEDaSY_SZ_EUlSY_E_NS1_11comp_targetILNS1_3genE10ELNS1_11target_archE1200ELNS1_3gpuE4ELNS1_3repE0EEENS1_30default_config_static_selectorELNS0_4arch9wavefront6targetE1EEEvT1_,"axG",@progbits,_ZN7rocprim17ROCPRIM_400000_NS6detail17trampoline_kernelINS0_14default_configENS1_29reduce_by_key_config_selectorIhlN6thrust23THRUST_200600_302600_NS4plusIlEEEEZZNS1_33reduce_by_key_impl_wrapped_configILNS1_25lookback_scan_determinismE0ES3_S9_PhNS6_17constant_iteratorIiNS6_11use_defaultESE_EENS6_10device_ptrIhEENSG_IlEEPmS8_NS6_8equal_toIhEEEE10hipError_tPvRmT2_T3_mT4_T5_T6_T7_T8_P12ihipStream_tbENKUlT_T0_E_clISt17integral_constantIbLb1EES13_EEDaSY_SZ_EUlSY_E_NS1_11comp_targetILNS1_3genE10ELNS1_11target_archE1200ELNS1_3gpuE4ELNS1_3repE0EEENS1_30default_config_static_selectorELNS0_4arch9wavefront6targetE1EEEvT1_,comdat
.Lfunc_end380:
	.size	_ZN7rocprim17ROCPRIM_400000_NS6detail17trampoline_kernelINS0_14default_configENS1_29reduce_by_key_config_selectorIhlN6thrust23THRUST_200600_302600_NS4plusIlEEEEZZNS1_33reduce_by_key_impl_wrapped_configILNS1_25lookback_scan_determinismE0ES3_S9_PhNS6_17constant_iteratorIiNS6_11use_defaultESE_EENS6_10device_ptrIhEENSG_IlEEPmS8_NS6_8equal_toIhEEEE10hipError_tPvRmT2_T3_mT4_T5_T6_T7_T8_P12ihipStream_tbENKUlT_T0_E_clISt17integral_constantIbLb1EES13_EEDaSY_SZ_EUlSY_E_NS1_11comp_targetILNS1_3genE10ELNS1_11target_archE1200ELNS1_3gpuE4ELNS1_3repE0EEENS1_30default_config_static_selectorELNS0_4arch9wavefront6targetE1EEEvT1_, .Lfunc_end380-_ZN7rocprim17ROCPRIM_400000_NS6detail17trampoline_kernelINS0_14default_configENS1_29reduce_by_key_config_selectorIhlN6thrust23THRUST_200600_302600_NS4plusIlEEEEZZNS1_33reduce_by_key_impl_wrapped_configILNS1_25lookback_scan_determinismE0ES3_S9_PhNS6_17constant_iteratorIiNS6_11use_defaultESE_EENS6_10device_ptrIhEENSG_IlEEPmS8_NS6_8equal_toIhEEEE10hipError_tPvRmT2_T3_mT4_T5_T6_T7_T8_P12ihipStream_tbENKUlT_T0_E_clISt17integral_constantIbLb1EES13_EEDaSY_SZ_EUlSY_E_NS1_11comp_targetILNS1_3genE10ELNS1_11target_archE1200ELNS1_3gpuE4ELNS1_3repE0EEENS1_30default_config_static_selectorELNS0_4arch9wavefront6targetE1EEEvT1_
                                        ; -- End function
	.section	.AMDGPU.csdata,"",@progbits
; Kernel info:
; codeLenInByte = 0
; NumSgprs: 4
; NumVgprs: 0
; NumAgprs: 0
; TotalNumVgprs: 0
; ScratchSize: 0
; MemoryBound: 0
; FloatMode: 240
; IeeeMode: 1
; LDSByteSize: 0 bytes/workgroup (compile time only)
; SGPRBlocks: 0
; VGPRBlocks: 0
; NumSGPRsForWavesPerEU: 4
; NumVGPRsForWavesPerEU: 1
; AccumOffset: 4
; Occupancy: 8
; WaveLimiterHint : 0
; COMPUTE_PGM_RSRC2:SCRATCH_EN: 0
; COMPUTE_PGM_RSRC2:USER_SGPR: 6
; COMPUTE_PGM_RSRC2:TRAP_HANDLER: 0
; COMPUTE_PGM_RSRC2:TGID_X_EN: 1
; COMPUTE_PGM_RSRC2:TGID_Y_EN: 0
; COMPUTE_PGM_RSRC2:TGID_Z_EN: 0
; COMPUTE_PGM_RSRC2:TIDIG_COMP_CNT: 0
; COMPUTE_PGM_RSRC3_GFX90A:ACCUM_OFFSET: 0
; COMPUTE_PGM_RSRC3_GFX90A:TG_SPLIT: 0
	.section	.text._ZN7rocprim17ROCPRIM_400000_NS6detail17trampoline_kernelINS0_14default_configENS1_29reduce_by_key_config_selectorIhlN6thrust23THRUST_200600_302600_NS4plusIlEEEEZZNS1_33reduce_by_key_impl_wrapped_configILNS1_25lookback_scan_determinismE0ES3_S9_PhNS6_17constant_iteratorIiNS6_11use_defaultESE_EENS6_10device_ptrIhEENSG_IlEEPmS8_NS6_8equal_toIhEEEE10hipError_tPvRmT2_T3_mT4_T5_T6_T7_T8_P12ihipStream_tbENKUlT_T0_E_clISt17integral_constantIbLb1EES13_EEDaSY_SZ_EUlSY_E_NS1_11comp_targetILNS1_3genE9ELNS1_11target_archE1100ELNS1_3gpuE3ELNS1_3repE0EEENS1_30default_config_static_selectorELNS0_4arch9wavefront6targetE1EEEvT1_,"axG",@progbits,_ZN7rocprim17ROCPRIM_400000_NS6detail17trampoline_kernelINS0_14default_configENS1_29reduce_by_key_config_selectorIhlN6thrust23THRUST_200600_302600_NS4plusIlEEEEZZNS1_33reduce_by_key_impl_wrapped_configILNS1_25lookback_scan_determinismE0ES3_S9_PhNS6_17constant_iteratorIiNS6_11use_defaultESE_EENS6_10device_ptrIhEENSG_IlEEPmS8_NS6_8equal_toIhEEEE10hipError_tPvRmT2_T3_mT4_T5_T6_T7_T8_P12ihipStream_tbENKUlT_T0_E_clISt17integral_constantIbLb1EES13_EEDaSY_SZ_EUlSY_E_NS1_11comp_targetILNS1_3genE9ELNS1_11target_archE1100ELNS1_3gpuE3ELNS1_3repE0EEENS1_30default_config_static_selectorELNS0_4arch9wavefront6targetE1EEEvT1_,comdat
	.protected	_ZN7rocprim17ROCPRIM_400000_NS6detail17trampoline_kernelINS0_14default_configENS1_29reduce_by_key_config_selectorIhlN6thrust23THRUST_200600_302600_NS4plusIlEEEEZZNS1_33reduce_by_key_impl_wrapped_configILNS1_25lookback_scan_determinismE0ES3_S9_PhNS6_17constant_iteratorIiNS6_11use_defaultESE_EENS6_10device_ptrIhEENSG_IlEEPmS8_NS6_8equal_toIhEEEE10hipError_tPvRmT2_T3_mT4_T5_T6_T7_T8_P12ihipStream_tbENKUlT_T0_E_clISt17integral_constantIbLb1EES13_EEDaSY_SZ_EUlSY_E_NS1_11comp_targetILNS1_3genE9ELNS1_11target_archE1100ELNS1_3gpuE3ELNS1_3repE0EEENS1_30default_config_static_selectorELNS0_4arch9wavefront6targetE1EEEvT1_ ; -- Begin function _ZN7rocprim17ROCPRIM_400000_NS6detail17trampoline_kernelINS0_14default_configENS1_29reduce_by_key_config_selectorIhlN6thrust23THRUST_200600_302600_NS4plusIlEEEEZZNS1_33reduce_by_key_impl_wrapped_configILNS1_25lookback_scan_determinismE0ES3_S9_PhNS6_17constant_iteratorIiNS6_11use_defaultESE_EENS6_10device_ptrIhEENSG_IlEEPmS8_NS6_8equal_toIhEEEE10hipError_tPvRmT2_T3_mT4_T5_T6_T7_T8_P12ihipStream_tbENKUlT_T0_E_clISt17integral_constantIbLb1EES13_EEDaSY_SZ_EUlSY_E_NS1_11comp_targetILNS1_3genE9ELNS1_11target_archE1100ELNS1_3gpuE3ELNS1_3repE0EEENS1_30default_config_static_selectorELNS0_4arch9wavefront6targetE1EEEvT1_
	.globl	_ZN7rocprim17ROCPRIM_400000_NS6detail17trampoline_kernelINS0_14default_configENS1_29reduce_by_key_config_selectorIhlN6thrust23THRUST_200600_302600_NS4plusIlEEEEZZNS1_33reduce_by_key_impl_wrapped_configILNS1_25lookback_scan_determinismE0ES3_S9_PhNS6_17constant_iteratorIiNS6_11use_defaultESE_EENS6_10device_ptrIhEENSG_IlEEPmS8_NS6_8equal_toIhEEEE10hipError_tPvRmT2_T3_mT4_T5_T6_T7_T8_P12ihipStream_tbENKUlT_T0_E_clISt17integral_constantIbLb1EES13_EEDaSY_SZ_EUlSY_E_NS1_11comp_targetILNS1_3genE9ELNS1_11target_archE1100ELNS1_3gpuE3ELNS1_3repE0EEENS1_30default_config_static_selectorELNS0_4arch9wavefront6targetE1EEEvT1_
	.p2align	8
	.type	_ZN7rocprim17ROCPRIM_400000_NS6detail17trampoline_kernelINS0_14default_configENS1_29reduce_by_key_config_selectorIhlN6thrust23THRUST_200600_302600_NS4plusIlEEEEZZNS1_33reduce_by_key_impl_wrapped_configILNS1_25lookback_scan_determinismE0ES3_S9_PhNS6_17constant_iteratorIiNS6_11use_defaultESE_EENS6_10device_ptrIhEENSG_IlEEPmS8_NS6_8equal_toIhEEEE10hipError_tPvRmT2_T3_mT4_T5_T6_T7_T8_P12ihipStream_tbENKUlT_T0_E_clISt17integral_constantIbLb1EES13_EEDaSY_SZ_EUlSY_E_NS1_11comp_targetILNS1_3genE9ELNS1_11target_archE1100ELNS1_3gpuE3ELNS1_3repE0EEENS1_30default_config_static_selectorELNS0_4arch9wavefront6targetE1EEEvT1_,@function
_ZN7rocprim17ROCPRIM_400000_NS6detail17trampoline_kernelINS0_14default_configENS1_29reduce_by_key_config_selectorIhlN6thrust23THRUST_200600_302600_NS4plusIlEEEEZZNS1_33reduce_by_key_impl_wrapped_configILNS1_25lookback_scan_determinismE0ES3_S9_PhNS6_17constant_iteratorIiNS6_11use_defaultESE_EENS6_10device_ptrIhEENSG_IlEEPmS8_NS6_8equal_toIhEEEE10hipError_tPvRmT2_T3_mT4_T5_T6_T7_T8_P12ihipStream_tbENKUlT_T0_E_clISt17integral_constantIbLb1EES13_EEDaSY_SZ_EUlSY_E_NS1_11comp_targetILNS1_3genE9ELNS1_11target_archE1100ELNS1_3gpuE3ELNS1_3repE0EEENS1_30default_config_static_selectorELNS0_4arch9wavefront6targetE1EEEvT1_: ; @_ZN7rocprim17ROCPRIM_400000_NS6detail17trampoline_kernelINS0_14default_configENS1_29reduce_by_key_config_selectorIhlN6thrust23THRUST_200600_302600_NS4plusIlEEEEZZNS1_33reduce_by_key_impl_wrapped_configILNS1_25lookback_scan_determinismE0ES3_S9_PhNS6_17constant_iteratorIiNS6_11use_defaultESE_EENS6_10device_ptrIhEENSG_IlEEPmS8_NS6_8equal_toIhEEEE10hipError_tPvRmT2_T3_mT4_T5_T6_T7_T8_P12ihipStream_tbENKUlT_T0_E_clISt17integral_constantIbLb1EES13_EEDaSY_SZ_EUlSY_E_NS1_11comp_targetILNS1_3genE9ELNS1_11target_archE1100ELNS1_3gpuE3ELNS1_3repE0EEENS1_30default_config_static_selectorELNS0_4arch9wavefront6targetE1EEEvT1_
; %bb.0:
	.section	.rodata,"a",@progbits
	.p2align	6, 0x0
	.amdhsa_kernel _ZN7rocprim17ROCPRIM_400000_NS6detail17trampoline_kernelINS0_14default_configENS1_29reduce_by_key_config_selectorIhlN6thrust23THRUST_200600_302600_NS4plusIlEEEEZZNS1_33reduce_by_key_impl_wrapped_configILNS1_25lookback_scan_determinismE0ES3_S9_PhNS6_17constant_iteratorIiNS6_11use_defaultESE_EENS6_10device_ptrIhEENSG_IlEEPmS8_NS6_8equal_toIhEEEE10hipError_tPvRmT2_T3_mT4_T5_T6_T7_T8_P12ihipStream_tbENKUlT_T0_E_clISt17integral_constantIbLb1EES13_EEDaSY_SZ_EUlSY_E_NS1_11comp_targetILNS1_3genE9ELNS1_11target_archE1100ELNS1_3gpuE3ELNS1_3repE0EEENS1_30default_config_static_selectorELNS0_4arch9wavefront6targetE1EEEvT1_
		.amdhsa_group_segment_fixed_size 0
		.amdhsa_private_segment_fixed_size 0
		.amdhsa_kernarg_size 144
		.amdhsa_user_sgpr_count 6
		.amdhsa_user_sgpr_private_segment_buffer 1
		.amdhsa_user_sgpr_dispatch_ptr 0
		.amdhsa_user_sgpr_queue_ptr 0
		.amdhsa_user_sgpr_kernarg_segment_ptr 1
		.amdhsa_user_sgpr_dispatch_id 0
		.amdhsa_user_sgpr_flat_scratch_init 0
		.amdhsa_user_sgpr_kernarg_preload_length 0
		.amdhsa_user_sgpr_kernarg_preload_offset 0
		.amdhsa_user_sgpr_private_segment_size 0
		.amdhsa_uses_dynamic_stack 0
		.amdhsa_system_sgpr_private_segment_wavefront_offset 0
		.amdhsa_system_sgpr_workgroup_id_x 1
		.amdhsa_system_sgpr_workgroup_id_y 0
		.amdhsa_system_sgpr_workgroup_id_z 0
		.amdhsa_system_sgpr_workgroup_info 0
		.amdhsa_system_vgpr_workitem_id 0
		.amdhsa_next_free_vgpr 1
		.amdhsa_next_free_sgpr 0
		.amdhsa_accum_offset 4
		.amdhsa_reserve_vcc 0
		.amdhsa_reserve_flat_scratch 0
		.amdhsa_float_round_mode_32 0
		.amdhsa_float_round_mode_16_64 0
		.amdhsa_float_denorm_mode_32 3
		.amdhsa_float_denorm_mode_16_64 3
		.amdhsa_dx10_clamp 1
		.amdhsa_ieee_mode 1
		.amdhsa_fp16_overflow 0
		.amdhsa_tg_split 0
		.amdhsa_exception_fp_ieee_invalid_op 0
		.amdhsa_exception_fp_denorm_src 0
		.amdhsa_exception_fp_ieee_div_zero 0
		.amdhsa_exception_fp_ieee_overflow 0
		.amdhsa_exception_fp_ieee_underflow 0
		.amdhsa_exception_fp_ieee_inexact 0
		.amdhsa_exception_int_div_zero 0
	.end_amdhsa_kernel
	.section	.text._ZN7rocprim17ROCPRIM_400000_NS6detail17trampoline_kernelINS0_14default_configENS1_29reduce_by_key_config_selectorIhlN6thrust23THRUST_200600_302600_NS4plusIlEEEEZZNS1_33reduce_by_key_impl_wrapped_configILNS1_25lookback_scan_determinismE0ES3_S9_PhNS6_17constant_iteratorIiNS6_11use_defaultESE_EENS6_10device_ptrIhEENSG_IlEEPmS8_NS6_8equal_toIhEEEE10hipError_tPvRmT2_T3_mT4_T5_T6_T7_T8_P12ihipStream_tbENKUlT_T0_E_clISt17integral_constantIbLb1EES13_EEDaSY_SZ_EUlSY_E_NS1_11comp_targetILNS1_3genE9ELNS1_11target_archE1100ELNS1_3gpuE3ELNS1_3repE0EEENS1_30default_config_static_selectorELNS0_4arch9wavefront6targetE1EEEvT1_,"axG",@progbits,_ZN7rocprim17ROCPRIM_400000_NS6detail17trampoline_kernelINS0_14default_configENS1_29reduce_by_key_config_selectorIhlN6thrust23THRUST_200600_302600_NS4plusIlEEEEZZNS1_33reduce_by_key_impl_wrapped_configILNS1_25lookback_scan_determinismE0ES3_S9_PhNS6_17constant_iteratorIiNS6_11use_defaultESE_EENS6_10device_ptrIhEENSG_IlEEPmS8_NS6_8equal_toIhEEEE10hipError_tPvRmT2_T3_mT4_T5_T6_T7_T8_P12ihipStream_tbENKUlT_T0_E_clISt17integral_constantIbLb1EES13_EEDaSY_SZ_EUlSY_E_NS1_11comp_targetILNS1_3genE9ELNS1_11target_archE1100ELNS1_3gpuE3ELNS1_3repE0EEENS1_30default_config_static_selectorELNS0_4arch9wavefront6targetE1EEEvT1_,comdat
.Lfunc_end381:
	.size	_ZN7rocprim17ROCPRIM_400000_NS6detail17trampoline_kernelINS0_14default_configENS1_29reduce_by_key_config_selectorIhlN6thrust23THRUST_200600_302600_NS4plusIlEEEEZZNS1_33reduce_by_key_impl_wrapped_configILNS1_25lookback_scan_determinismE0ES3_S9_PhNS6_17constant_iteratorIiNS6_11use_defaultESE_EENS6_10device_ptrIhEENSG_IlEEPmS8_NS6_8equal_toIhEEEE10hipError_tPvRmT2_T3_mT4_T5_T6_T7_T8_P12ihipStream_tbENKUlT_T0_E_clISt17integral_constantIbLb1EES13_EEDaSY_SZ_EUlSY_E_NS1_11comp_targetILNS1_3genE9ELNS1_11target_archE1100ELNS1_3gpuE3ELNS1_3repE0EEENS1_30default_config_static_selectorELNS0_4arch9wavefront6targetE1EEEvT1_, .Lfunc_end381-_ZN7rocprim17ROCPRIM_400000_NS6detail17trampoline_kernelINS0_14default_configENS1_29reduce_by_key_config_selectorIhlN6thrust23THRUST_200600_302600_NS4plusIlEEEEZZNS1_33reduce_by_key_impl_wrapped_configILNS1_25lookback_scan_determinismE0ES3_S9_PhNS6_17constant_iteratorIiNS6_11use_defaultESE_EENS6_10device_ptrIhEENSG_IlEEPmS8_NS6_8equal_toIhEEEE10hipError_tPvRmT2_T3_mT4_T5_T6_T7_T8_P12ihipStream_tbENKUlT_T0_E_clISt17integral_constantIbLb1EES13_EEDaSY_SZ_EUlSY_E_NS1_11comp_targetILNS1_3genE9ELNS1_11target_archE1100ELNS1_3gpuE3ELNS1_3repE0EEENS1_30default_config_static_selectorELNS0_4arch9wavefront6targetE1EEEvT1_
                                        ; -- End function
	.section	.AMDGPU.csdata,"",@progbits
; Kernel info:
; codeLenInByte = 0
; NumSgprs: 4
; NumVgprs: 0
; NumAgprs: 0
; TotalNumVgprs: 0
; ScratchSize: 0
; MemoryBound: 0
; FloatMode: 240
; IeeeMode: 1
; LDSByteSize: 0 bytes/workgroup (compile time only)
; SGPRBlocks: 0
; VGPRBlocks: 0
; NumSGPRsForWavesPerEU: 4
; NumVGPRsForWavesPerEU: 1
; AccumOffset: 4
; Occupancy: 8
; WaveLimiterHint : 0
; COMPUTE_PGM_RSRC2:SCRATCH_EN: 0
; COMPUTE_PGM_RSRC2:USER_SGPR: 6
; COMPUTE_PGM_RSRC2:TRAP_HANDLER: 0
; COMPUTE_PGM_RSRC2:TGID_X_EN: 1
; COMPUTE_PGM_RSRC2:TGID_Y_EN: 0
; COMPUTE_PGM_RSRC2:TGID_Z_EN: 0
; COMPUTE_PGM_RSRC2:TIDIG_COMP_CNT: 0
; COMPUTE_PGM_RSRC3_GFX90A:ACCUM_OFFSET: 0
; COMPUTE_PGM_RSRC3_GFX90A:TG_SPLIT: 0
	.section	.text._ZN7rocprim17ROCPRIM_400000_NS6detail17trampoline_kernelINS0_14default_configENS1_29reduce_by_key_config_selectorIhlN6thrust23THRUST_200600_302600_NS4plusIlEEEEZZNS1_33reduce_by_key_impl_wrapped_configILNS1_25lookback_scan_determinismE0ES3_S9_PhNS6_17constant_iteratorIiNS6_11use_defaultESE_EENS6_10device_ptrIhEENSG_IlEEPmS8_NS6_8equal_toIhEEEE10hipError_tPvRmT2_T3_mT4_T5_T6_T7_T8_P12ihipStream_tbENKUlT_T0_E_clISt17integral_constantIbLb1EES13_EEDaSY_SZ_EUlSY_E_NS1_11comp_targetILNS1_3genE8ELNS1_11target_archE1030ELNS1_3gpuE2ELNS1_3repE0EEENS1_30default_config_static_selectorELNS0_4arch9wavefront6targetE1EEEvT1_,"axG",@progbits,_ZN7rocprim17ROCPRIM_400000_NS6detail17trampoline_kernelINS0_14default_configENS1_29reduce_by_key_config_selectorIhlN6thrust23THRUST_200600_302600_NS4plusIlEEEEZZNS1_33reduce_by_key_impl_wrapped_configILNS1_25lookback_scan_determinismE0ES3_S9_PhNS6_17constant_iteratorIiNS6_11use_defaultESE_EENS6_10device_ptrIhEENSG_IlEEPmS8_NS6_8equal_toIhEEEE10hipError_tPvRmT2_T3_mT4_T5_T6_T7_T8_P12ihipStream_tbENKUlT_T0_E_clISt17integral_constantIbLb1EES13_EEDaSY_SZ_EUlSY_E_NS1_11comp_targetILNS1_3genE8ELNS1_11target_archE1030ELNS1_3gpuE2ELNS1_3repE0EEENS1_30default_config_static_selectorELNS0_4arch9wavefront6targetE1EEEvT1_,comdat
	.protected	_ZN7rocprim17ROCPRIM_400000_NS6detail17trampoline_kernelINS0_14default_configENS1_29reduce_by_key_config_selectorIhlN6thrust23THRUST_200600_302600_NS4plusIlEEEEZZNS1_33reduce_by_key_impl_wrapped_configILNS1_25lookback_scan_determinismE0ES3_S9_PhNS6_17constant_iteratorIiNS6_11use_defaultESE_EENS6_10device_ptrIhEENSG_IlEEPmS8_NS6_8equal_toIhEEEE10hipError_tPvRmT2_T3_mT4_T5_T6_T7_T8_P12ihipStream_tbENKUlT_T0_E_clISt17integral_constantIbLb1EES13_EEDaSY_SZ_EUlSY_E_NS1_11comp_targetILNS1_3genE8ELNS1_11target_archE1030ELNS1_3gpuE2ELNS1_3repE0EEENS1_30default_config_static_selectorELNS0_4arch9wavefront6targetE1EEEvT1_ ; -- Begin function _ZN7rocprim17ROCPRIM_400000_NS6detail17trampoline_kernelINS0_14default_configENS1_29reduce_by_key_config_selectorIhlN6thrust23THRUST_200600_302600_NS4plusIlEEEEZZNS1_33reduce_by_key_impl_wrapped_configILNS1_25lookback_scan_determinismE0ES3_S9_PhNS6_17constant_iteratorIiNS6_11use_defaultESE_EENS6_10device_ptrIhEENSG_IlEEPmS8_NS6_8equal_toIhEEEE10hipError_tPvRmT2_T3_mT4_T5_T6_T7_T8_P12ihipStream_tbENKUlT_T0_E_clISt17integral_constantIbLb1EES13_EEDaSY_SZ_EUlSY_E_NS1_11comp_targetILNS1_3genE8ELNS1_11target_archE1030ELNS1_3gpuE2ELNS1_3repE0EEENS1_30default_config_static_selectorELNS0_4arch9wavefront6targetE1EEEvT1_
	.globl	_ZN7rocprim17ROCPRIM_400000_NS6detail17trampoline_kernelINS0_14default_configENS1_29reduce_by_key_config_selectorIhlN6thrust23THRUST_200600_302600_NS4plusIlEEEEZZNS1_33reduce_by_key_impl_wrapped_configILNS1_25lookback_scan_determinismE0ES3_S9_PhNS6_17constant_iteratorIiNS6_11use_defaultESE_EENS6_10device_ptrIhEENSG_IlEEPmS8_NS6_8equal_toIhEEEE10hipError_tPvRmT2_T3_mT4_T5_T6_T7_T8_P12ihipStream_tbENKUlT_T0_E_clISt17integral_constantIbLb1EES13_EEDaSY_SZ_EUlSY_E_NS1_11comp_targetILNS1_3genE8ELNS1_11target_archE1030ELNS1_3gpuE2ELNS1_3repE0EEENS1_30default_config_static_selectorELNS0_4arch9wavefront6targetE1EEEvT1_
	.p2align	8
	.type	_ZN7rocprim17ROCPRIM_400000_NS6detail17trampoline_kernelINS0_14default_configENS1_29reduce_by_key_config_selectorIhlN6thrust23THRUST_200600_302600_NS4plusIlEEEEZZNS1_33reduce_by_key_impl_wrapped_configILNS1_25lookback_scan_determinismE0ES3_S9_PhNS6_17constant_iteratorIiNS6_11use_defaultESE_EENS6_10device_ptrIhEENSG_IlEEPmS8_NS6_8equal_toIhEEEE10hipError_tPvRmT2_T3_mT4_T5_T6_T7_T8_P12ihipStream_tbENKUlT_T0_E_clISt17integral_constantIbLb1EES13_EEDaSY_SZ_EUlSY_E_NS1_11comp_targetILNS1_3genE8ELNS1_11target_archE1030ELNS1_3gpuE2ELNS1_3repE0EEENS1_30default_config_static_selectorELNS0_4arch9wavefront6targetE1EEEvT1_,@function
_ZN7rocprim17ROCPRIM_400000_NS6detail17trampoline_kernelINS0_14default_configENS1_29reduce_by_key_config_selectorIhlN6thrust23THRUST_200600_302600_NS4plusIlEEEEZZNS1_33reduce_by_key_impl_wrapped_configILNS1_25lookback_scan_determinismE0ES3_S9_PhNS6_17constant_iteratorIiNS6_11use_defaultESE_EENS6_10device_ptrIhEENSG_IlEEPmS8_NS6_8equal_toIhEEEE10hipError_tPvRmT2_T3_mT4_T5_T6_T7_T8_P12ihipStream_tbENKUlT_T0_E_clISt17integral_constantIbLb1EES13_EEDaSY_SZ_EUlSY_E_NS1_11comp_targetILNS1_3genE8ELNS1_11target_archE1030ELNS1_3gpuE2ELNS1_3repE0EEENS1_30default_config_static_selectorELNS0_4arch9wavefront6targetE1EEEvT1_: ; @_ZN7rocprim17ROCPRIM_400000_NS6detail17trampoline_kernelINS0_14default_configENS1_29reduce_by_key_config_selectorIhlN6thrust23THRUST_200600_302600_NS4plusIlEEEEZZNS1_33reduce_by_key_impl_wrapped_configILNS1_25lookback_scan_determinismE0ES3_S9_PhNS6_17constant_iteratorIiNS6_11use_defaultESE_EENS6_10device_ptrIhEENSG_IlEEPmS8_NS6_8equal_toIhEEEE10hipError_tPvRmT2_T3_mT4_T5_T6_T7_T8_P12ihipStream_tbENKUlT_T0_E_clISt17integral_constantIbLb1EES13_EEDaSY_SZ_EUlSY_E_NS1_11comp_targetILNS1_3genE8ELNS1_11target_archE1030ELNS1_3gpuE2ELNS1_3repE0EEENS1_30default_config_static_selectorELNS0_4arch9wavefront6targetE1EEEvT1_
; %bb.0:
	.section	.rodata,"a",@progbits
	.p2align	6, 0x0
	.amdhsa_kernel _ZN7rocprim17ROCPRIM_400000_NS6detail17trampoline_kernelINS0_14default_configENS1_29reduce_by_key_config_selectorIhlN6thrust23THRUST_200600_302600_NS4plusIlEEEEZZNS1_33reduce_by_key_impl_wrapped_configILNS1_25lookback_scan_determinismE0ES3_S9_PhNS6_17constant_iteratorIiNS6_11use_defaultESE_EENS6_10device_ptrIhEENSG_IlEEPmS8_NS6_8equal_toIhEEEE10hipError_tPvRmT2_T3_mT4_T5_T6_T7_T8_P12ihipStream_tbENKUlT_T0_E_clISt17integral_constantIbLb1EES13_EEDaSY_SZ_EUlSY_E_NS1_11comp_targetILNS1_3genE8ELNS1_11target_archE1030ELNS1_3gpuE2ELNS1_3repE0EEENS1_30default_config_static_selectorELNS0_4arch9wavefront6targetE1EEEvT1_
		.amdhsa_group_segment_fixed_size 0
		.amdhsa_private_segment_fixed_size 0
		.amdhsa_kernarg_size 144
		.amdhsa_user_sgpr_count 6
		.amdhsa_user_sgpr_private_segment_buffer 1
		.amdhsa_user_sgpr_dispatch_ptr 0
		.amdhsa_user_sgpr_queue_ptr 0
		.amdhsa_user_sgpr_kernarg_segment_ptr 1
		.amdhsa_user_sgpr_dispatch_id 0
		.amdhsa_user_sgpr_flat_scratch_init 0
		.amdhsa_user_sgpr_kernarg_preload_length 0
		.amdhsa_user_sgpr_kernarg_preload_offset 0
		.amdhsa_user_sgpr_private_segment_size 0
		.amdhsa_uses_dynamic_stack 0
		.amdhsa_system_sgpr_private_segment_wavefront_offset 0
		.amdhsa_system_sgpr_workgroup_id_x 1
		.amdhsa_system_sgpr_workgroup_id_y 0
		.amdhsa_system_sgpr_workgroup_id_z 0
		.amdhsa_system_sgpr_workgroup_info 0
		.amdhsa_system_vgpr_workitem_id 0
		.amdhsa_next_free_vgpr 1
		.amdhsa_next_free_sgpr 0
		.amdhsa_accum_offset 4
		.amdhsa_reserve_vcc 0
		.amdhsa_reserve_flat_scratch 0
		.amdhsa_float_round_mode_32 0
		.amdhsa_float_round_mode_16_64 0
		.amdhsa_float_denorm_mode_32 3
		.amdhsa_float_denorm_mode_16_64 3
		.amdhsa_dx10_clamp 1
		.amdhsa_ieee_mode 1
		.amdhsa_fp16_overflow 0
		.amdhsa_tg_split 0
		.amdhsa_exception_fp_ieee_invalid_op 0
		.amdhsa_exception_fp_denorm_src 0
		.amdhsa_exception_fp_ieee_div_zero 0
		.amdhsa_exception_fp_ieee_overflow 0
		.amdhsa_exception_fp_ieee_underflow 0
		.amdhsa_exception_fp_ieee_inexact 0
		.amdhsa_exception_int_div_zero 0
	.end_amdhsa_kernel
	.section	.text._ZN7rocprim17ROCPRIM_400000_NS6detail17trampoline_kernelINS0_14default_configENS1_29reduce_by_key_config_selectorIhlN6thrust23THRUST_200600_302600_NS4plusIlEEEEZZNS1_33reduce_by_key_impl_wrapped_configILNS1_25lookback_scan_determinismE0ES3_S9_PhNS6_17constant_iteratorIiNS6_11use_defaultESE_EENS6_10device_ptrIhEENSG_IlEEPmS8_NS6_8equal_toIhEEEE10hipError_tPvRmT2_T3_mT4_T5_T6_T7_T8_P12ihipStream_tbENKUlT_T0_E_clISt17integral_constantIbLb1EES13_EEDaSY_SZ_EUlSY_E_NS1_11comp_targetILNS1_3genE8ELNS1_11target_archE1030ELNS1_3gpuE2ELNS1_3repE0EEENS1_30default_config_static_selectorELNS0_4arch9wavefront6targetE1EEEvT1_,"axG",@progbits,_ZN7rocprim17ROCPRIM_400000_NS6detail17trampoline_kernelINS0_14default_configENS1_29reduce_by_key_config_selectorIhlN6thrust23THRUST_200600_302600_NS4plusIlEEEEZZNS1_33reduce_by_key_impl_wrapped_configILNS1_25lookback_scan_determinismE0ES3_S9_PhNS6_17constant_iteratorIiNS6_11use_defaultESE_EENS6_10device_ptrIhEENSG_IlEEPmS8_NS6_8equal_toIhEEEE10hipError_tPvRmT2_T3_mT4_T5_T6_T7_T8_P12ihipStream_tbENKUlT_T0_E_clISt17integral_constantIbLb1EES13_EEDaSY_SZ_EUlSY_E_NS1_11comp_targetILNS1_3genE8ELNS1_11target_archE1030ELNS1_3gpuE2ELNS1_3repE0EEENS1_30default_config_static_selectorELNS0_4arch9wavefront6targetE1EEEvT1_,comdat
.Lfunc_end382:
	.size	_ZN7rocprim17ROCPRIM_400000_NS6detail17trampoline_kernelINS0_14default_configENS1_29reduce_by_key_config_selectorIhlN6thrust23THRUST_200600_302600_NS4plusIlEEEEZZNS1_33reduce_by_key_impl_wrapped_configILNS1_25lookback_scan_determinismE0ES3_S9_PhNS6_17constant_iteratorIiNS6_11use_defaultESE_EENS6_10device_ptrIhEENSG_IlEEPmS8_NS6_8equal_toIhEEEE10hipError_tPvRmT2_T3_mT4_T5_T6_T7_T8_P12ihipStream_tbENKUlT_T0_E_clISt17integral_constantIbLb1EES13_EEDaSY_SZ_EUlSY_E_NS1_11comp_targetILNS1_3genE8ELNS1_11target_archE1030ELNS1_3gpuE2ELNS1_3repE0EEENS1_30default_config_static_selectorELNS0_4arch9wavefront6targetE1EEEvT1_, .Lfunc_end382-_ZN7rocprim17ROCPRIM_400000_NS6detail17trampoline_kernelINS0_14default_configENS1_29reduce_by_key_config_selectorIhlN6thrust23THRUST_200600_302600_NS4plusIlEEEEZZNS1_33reduce_by_key_impl_wrapped_configILNS1_25lookback_scan_determinismE0ES3_S9_PhNS6_17constant_iteratorIiNS6_11use_defaultESE_EENS6_10device_ptrIhEENSG_IlEEPmS8_NS6_8equal_toIhEEEE10hipError_tPvRmT2_T3_mT4_T5_T6_T7_T8_P12ihipStream_tbENKUlT_T0_E_clISt17integral_constantIbLb1EES13_EEDaSY_SZ_EUlSY_E_NS1_11comp_targetILNS1_3genE8ELNS1_11target_archE1030ELNS1_3gpuE2ELNS1_3repE0EEENS1_30default_config_static_selectorELNS0_4arch9wavefront6targetE1EEEvT1_
                                        ; -- End function
	.section	.AMDGPU.csdata,"",@progbits
; Kernel info:
; codeLenInByte = 0
; NumSgprs: 4
; NumVgprs: 0
; NumAgprs: 0
; TotalNumVgprs: 0
; ScratchSize: 0
; MemoryBound: 0
; FloatMode: 240
; IeeeMode: 1
; LDSByteSize: 0 bytes/workgroup (compile time only)
; SGPRBlocks: 0
; VGPRBlocks: 0
; NumSGPRsForWavesPerEU: 4
; NumVGPRsForWavesPerEU: 1
; AccumOffset: 4
; Occupancy: 8
; WaveLimiterHint : 0
; COMPUTE_PGM_RSRC2:SCRATCH_EN: 0
; COMPUTE_PGM_RSRC2:USER_SGPR: 6
; COMPUTE_PGM_RSRC2:TRAP_HANDLER: 0
; COMPUTE_PGM_RSRC2:TGID_X_EN: 1
; COMPUTE_PGM_RSRC2:TGID_Y_EN: 0
; COMPUTE_PGM_RSRC2:TGID_Z_EN: 0
; COMPUTE_PGM_RSRC2:TIDIG_COMP_CNT: 0
; COMPUTE_PGM_RSRC3_GFX90A:ACCUM_OFFSET: 0
; COMPUTE_PGM_RSRC3_GFX90A:TG_SPLIT: 0
	.section	.text._ZN7rocprim17ROCPRIM_400000_NS6detail25reduce_by_key_init_kernelINS1_19lookback_scan_stateINS0_5tupleIJjlEEELb1ELb0EEElNS1_16block_id_wrapperIjLb0EEEEEvT_jbjPmPT0_T1_,"axG",@progbits,_ZN7rocprim17ROCPRIM_400000_NS6detail25reduce_by_key_init_kernelINS1_19lookback_scan_stateINS0_5tupleIJjlEEELb1ELb0EEElNS1_16block_id_wrapperIjLb0EEEEEvT_jbjPmPT0_T1_,comdat
	.protected	_ZN7rocprim17ROCPRIM_400000_NS6detail25reduce_by_key_init_kernelINS1_19lookback_scan_stateINS0_5tupleIJjlEEELb1ELb0EEElNS1_16block_id_wrapperIjLb0EEEEEvT_jbjPmPT0_T1_ ; -- Begin function _ZN7rocprim17ROCPRIM_400000_NS6detail25reduce_by_key_init_kernelINS1_19lookback_scan_stateINS0_5tupleIJjlEEELb1ELb0EEElNS1_16block_id_wrapperIjLb0EEEEEvT_jbjPmPT0_T1_
	.globl	_ZN7rocprim17ROCPRIM_400000_NS6detail25reduce_by_key_init_kernelINS1_19lookback_scan_stateINS0_5tupleIJjlEEELb1ELb0EEElNS1_16block_id_wrapperIjLb0EEEEEvT_jbjPmPT0_T1_
	.p2align	8
	.type	_ZN7rocprim17ROCPRIM_400000_NS6detail25reduce_by_key_init_kernelINS1_19lookback_scan_stateINS0_5tupleIJjlEEELb1ELb0EEElNS1_16block_id_wrapperIjLb0EEEEEvT_jbjPmPT0_T1_,@function
_ZN7rocprim17ROCPRIM_400000_NS6detail25reduce_by_key_init_kernelINS1_19lookback_scan_stateINS0_5tupleIJjlEEELb1ELb0EEElNS1_16block_id_wrapperIjLb0EEEEEvT_jbjPmPT0_T1_: ; @_ZN7rocprim17ROCPRIM_400000_NS6detail25reduce_by_key_init_kernelINS1_19lookback_scan_stateINS0_5tupleIJjlEEELb1ELb0EEElNS1_16block_id_wrapperIjLb0EEEEEvT_jbjPmPT0_T1_
; %bb.0:
	s_load_dwordx8 s[8:15], s[4:5], 0x18
	s_load_dword s0, s[4:5], 0x4c
	s_load_dwordx2 s[16:17], s[4:5], 0x10
	s_waitcnt lgkmcnt(0)
	s_and_b32 s1, s9, 1
	s_and_b32 s0, s0, 0xffff
	s_mul_i32 s6, s6, s0
	s_cmp_eq_u32 s1, 0
	v_add_u32_e32 v0, s6, v0
	s_mov_b64 s[0:1], -1
	s_cbranch_scc1 .LBB383_5
; %bb.1:
	s_andn2_b64 vcc, exec, s[0:1]
	s_cbranch_vccz .LBB383_15
.LBB383_2:
	v_cmp_gt_u32_e32 vcc, s8, v0
	s_and_saveexec_b64 s[0:1], vcc
	s_cbranch_execnz .LBB383_18
.LBB383_3:
	s_or_b64 exec, exec, s[0:1]
	v_cmp_gt_u32_e32 vcc, 64, v0
	s_and_saveexec_b64 s[0:1], vcc
	s_cbranch_execnz .LBB383_19
.LBB383_4:
	s_endpgm
.LBB383_5:
	s_cmp_lt_u32 s10, s8
	s_cselect_b32 s0, s10, 0
	v_cmp_eq_u32_e32 vcc, s0, v0
	s_and_saveexec_b64 s[6:7], vcc
	s_cbranch_execz .LBB383_14
; %bb.6:
	s_add_i32 s10, s10, 64
	v_mov_b32_e32 v1, s10
	global_load_ubyte v1, v1, s[16:17] glc
	s_load_dwordx4 s[0:3], s[4:5], 0x0
	s_add_u32 s4, s16, s10
	s_mov_b32 s11, 0
	s_addc_u32 s5, s17, 0
	s_waitcnt vmcnt(0)
	v_cmp_ne_u16_e32 vcc, 0, v1
	v_readfirstlane_b32 s9, v1
	s_cbranch_vccz .LBB383_8
; %bb.7:
	s_and_b32 s4, 0xffff, s9
	s_branch .LBB383_13
.LBB383_8:
	s_mov_b32 s9, 1
	v_mov_b32_e32 v1, 0
.LBB383_9:                              ; =>This Loop Header: Depth=1
                                        ;     Child Loop BB383_10 Depth 2
	s_max_u32 s18, s9, 1
.LBB383_10:                             ;   Parent Loop BB383_9 Depth=1
                                        ; =>  This Inner Loop Header: Depth=2
	s_add_i32 s18, s18, -1
	s_cmp_eq_u32 s18, 0
	s_sleep 1
	s_cbranch_scc0 .LBB383_10
; %bb.11:                               ;   in Loop: Header=BB383_9 Depth=1
	global_load_ubyte v2, v1, s[4:5] glc
	s_cmp_lt_u32 s9, 32
	s_cselect_b64 s[18:19], -1, 0
	s_cmp_lg_u64 s[18:19], 0
	s_addc_u32 s9, s9, 0
	s_waitcnt vmcnt(0)
	v_cmp_ne_u16_e32 vcc, 0, v2
	v_readfirstlane_b32 s18, v2
	s_cbranch_vccz .LBB383_9
; %bb.12:
	s_and_b32 s4, 0xffff, s18
.LBB383_13:
	s_cmp_eq_u32 s4, 1
	s_waitcnt lgkmcnt(0)
	s_cselect_b32 s3, s1, s3
	s_cselect_b32 s2, s0, s2
	s_lshl_b64 s[0:1], s[10:11], 4
	v_mov_b32_e32 v1, 0
	s_add_u32 s0, s2, s0
	buffer_wbinvl1_vol
	s_addc_u32 s1, s3, s1
	global_load_dwordx2 v[2:3], v1, s[12:13]
	global_load_dword v6, v1, s[0:1]
	global_load_dwordx2 v[4:5], v1, s[0:1] offset:8
	s_waitcnt vmcnt(1)
	v_add_co_u32_e32 v2, vcc, v2, v6
	v_addc_co_u32_e32 v3, vcc, 0, v3, vcc
	global_store_dwordx2 v1, v[2:3], s[12:13]
	s_waitcnt vmcnt(1)
	global_store_dwordx2 v1, v[4:5], s[14:15]
.LBB383_14:
	s_or_b64 exec, exec, s[6:7]
	s_cbranch_execnz .LBB383_2
.LBB383_15:
	s_cmp_lg_u64 s[12:13], 0
	s_cselect_b64 s[0:1], -1, 0
	v_cmp_eq_u32_e32 vcc, 0, v0
	s_and_b64 s[2:3], s[0:1], vcc
	s_and_saveexec_b64 s[0:1], s[2:3]
	s_cbranch_execz .LBB383_17
; %bb.16:
	v_mov_b32_e32 v2, 0
	v_mov_b32_e32 v3, v2
	global_store_dwordx2 v2, v[2:3], s[12:13]
.LBB383_17:
	s_or_b64 exec, exec, s[0:1]
	v_cmp_gt_u32_e32 vcc, s8, v0
	s_and_saveexec_b64 s[0:1], vcc
	s_cbranch_execz .LBB383_3
.LBB383_18:
	v_add_u32_e32 v1, 64, v0
	v_mov_b32_e32 v2, 0
	global_store_byte v1, v2, s[16:17]
	s_or_b64 exec, exec, s[0:1]
	v_cmp_gt_u32_e32 vcc, 64, v0
	s_and_saveexec_b64 s[0:1], vcc
	s_cbranch_execz .LBB383_4
.LBB383_19:
	v_mov_b32_e32 v1, 0xff
	global_store_byte v0, v1, s[16:17]
	s_endpgm
	.section	.rodata,"a",@progbits
	.p2align	6, 0x0
	.amdhsa_kernel _ZN7rocprim17ROCPRIM_400000_NS6detail25reduce_by_key_init_kernelINS1_19lookback_scan_stateINS0_5tupleIJjlEEELb1ELb0EEElNS1_16block_id_wrapperIjLb0EEEEEvT_jbjPmPT0_T1_
		.amdhsa_group_segment_fixed_size 0
		.amdhsa_private_segment_fixed_size 0
		.amdhsa_kernarg_size 320
		.amdhsa_user_sgpr_count 6
		.amdhsa_user_sgpr_private_segment_buffer 1
		.amdhsa_user_sgpr_dispatch_ptr 0
		.amdhsa_user_sgpr_queue_ptr 0
		.amdhsa_user_sgpr_kernarg_segment_ptr 1
		.amdhsa_user_sgpr_dispatch_id 0
		.amdhsa_user_sgpr_flat_scratch_init 0
		.amdhsa_user_sgpr_kernarg_preload_length 0
		.amdhsa_user_sgpr_kernarg_preload_offset 0
		.amdhsa_user_sgpr_private_segment_size 0
		.amdhsa_uses_dynamic_stack 0
		.amdhsa_system_sgpr_private_segment_wavefront_offset 0
		.amdhsa_system_sgpr_workgroup_id_x 1
		.amdhsa_system_sgpr_workgroup_id_y 0
		.amdhsa_system_sgpr_workgroup_id_z 0
		.amdhsa_system_sgpr_workgroup_info 0
		.amdhsa_system_vgpr_workitem_id 0
		.amdhsa_next_free_vgpr 7
		.amdhsa_next_free_sgpr 20
		.amdhsa_accum_offset 8
		.amdhsa_reserve_vcc 1
		.amdhsa_reserve_flat_scratch 0
		.amdhsa_float_round_mode_32 0
		.amdhsa_float_round_mode_16_64 0
		.amdhsa_float_denorm_mode_32 3
		.amdhsa_float_denorm_mode_16_64 3
		.amdhsa_dx10_clamp 1
		.amdhsa_ieee_mode 1
		.amdhsa_fp16_overflow 0
		.amdhsa_tg_split 0
		.amdhsa_exception_fp_ieee_invalid_op 0
		.amdhsa_exception_fp_denorm_src 0
		.amdhsa_exception_fp_ieee_div_zero 0
		.amdhsa_exception_fp_ieee_overflow 0
		.amdhsa_exception_fp_ieee_underflow 0
		.amdhsa_exception_fp_ieee_inexact 0
		.amdhsa_exception_int_div_zero 0
	.end_amdhsa_kernel
	.section	.text._ZN7rocprim17ROCPRIM_400000_NS6detail25reduce_by_key_init_kernelINS1_19lookback_scan_stateINS0_5tupleIJjlEEELb1ELb0EEElNS1_16block_id_wrapperIjLb0EEEEEvT_jbjPmPT0_T1_,"axG",@progbits,_ZN7rocprim17ROCPRIM_400000_NS6detail25reduce_by_key_init_kernelINS1_19lookback_scan_stateINS0_5tupleIJjlEEELb1ELb0EEElNS1_16block_id_wrapperIjLb0EEEEEvT_jbjPmPT0_T1_,comdat
.Lfunc_end383:
	.size	_ZN7rocprim17ROCPRIM_400000_NS6detail25reduce_by_key_init_kernelINS1_19lookback_scan_stateINS0_5tupleIJjlEEELb1ELb0EEElNS1_16block_id_wrapperIjLb0EEEEEvT_jbjPmPT0_T1_, .Lfunc_end383-_ZN7rocprim17ROCPRIM_400000_NS6detail25reduce_by_key_init_kernelINS1_19lookback_scan_stateINS0_5tupleIJjlEEELb1ELb0EEElNS1_16block_id_wrapperIjLb0EEEEEvT_jbjPmPT0_T1_
                                        ; -- End function
	.section	.AMDGPU.csdata,"",@progbits
; Kernel info:
; codeLenInByte = 472
; NumSgprs: 24
; NumVgprs: 7
; NumAgprs: 0
; TotalNumVgprs: 7
; ScratchSize: 0
; MemoryBound: 0
; FloatMode: 240
; IeeeMode: 1
; LDSByteSize: 0 bytes/workgroup (compile time only)
; SGPRBlocks: 2
; VGPRBlocks: 0
; NumSGPRsForWavesPerEU: 24
; NumVGPRsForWavesPerEU: 7
; AccumOffset: 8
; Occupancy: 8
; WaveLimiterHint : 0
; COMPUTE_PGM_RSRC2:SCRATCH_EN: 0
; COMPUTE_PGM_RSRC2:USER_SGPR: 6
; COMPUTE_PGM_RSRC2:TRAP_HANDLER: 0
; COMPUTE_PGM_RSRC2:TGID_X_EN: 1
; COMPUTE_PGM_RSRC2:TGID_Y_EN: 0
; COMPUTE_PGM_RSRC2:TGID_Z_EN: 0
; COMPUTE_PGM_RSRC2:TIDIG_COMP_CNT: 0
; COMPUTE_PGM_RSRC3_GFX90A:ACCUM_OFFSET: 1
; COMPUTE_PGM_RSRC3_GFX90A:TG_SPLIT: 0
	.section	.text._ZN7rocprim17ROCPRIM_400000_NS6detail17trampoline_kernelINS0_14default_configENS1_29reduce_by_key_config_selectorIhlN6thrust23THRUST_200600_302600_NS4plusIlEEEEZZNS1_33reduce_by_key_impl_wrapped_configILNS1_25lookback_scan_determinismE0ES3_S9_PhNS6_17constant_iteratorIiNS6_11use_defaultESE_EENS6_10device_ptrIhEENSG_IlEEPmS8_NS6_8equal_toIhEEEE10hipError_tPvRmT2_T3_mT4_T5_T6_T7_T8_P12ihipStream_tbENKUlT_T0_E_clISt17integral_constantIbLb1EES12_IbLb0EEEEDaSY_SZ_EUlSY_E_NS1_11comp_targetILNS1_3genE0ELNS1_11target_archE4294967295ELNS1_3gpuE0ELNS1_3repE0EEENS1_30default_config_static_selectorELNS0_4arch9wavefront6targetE1EEEvT1_,"axG",@progbits,_ZN7rocprim17ROCPRIM_400000_NS6detail17trampoline_kernelINS0_14default_configENS1_29reduce_by_key_config_selectorIhlN6thrust23THRUST_200600_302600_NS4plusIlEEEEZZNS1_33reduce_by_key_impl_wrapped_configILNS1_25lookback_scan_determinismE0ES3_S9_PhNS6_17constant_iteratorIiNS6_11use_defaultESE_EENS6_10device_ptrIhEENSG_IlEEPmS8_NS6_8equal_toIhEEEE10hipError_tPvRmT2_T3_mT4_T5_T6_T7_T8_P12ihipStream_tbENKUlT_T0_E_clISt17integral_constantIbLb1EES12_IbLb0EEEEDaSY_SZ_EUlSY_E_NS1_11comp_targetILNS1_3genE0ELNS1_11target_archE4294967295ELNS1_3gpuE0ELNS1_3repE0EEENS1_30default_config_static_selectorELNS0_4arch9wavefront6targetE1EEEvT1_,comdat
	.protected	_ZN7rocprim17ROCPRIM_400000_NS6detail17trampoline_kernelINS0_14default_configENS1_29reduce_by_key_config_selectorIhlN6thrust23THRUST_200600_302600_NS4plusIlEEEEZZNS1_33reduce_by_key_impl_wrapped_configILNS1_25lookback_scan_determinismE0ES3_S9_PhNS6_17constant_iteratorIiNS6_11use_defaultESE_EENS6_10device_ptrIhEENSG_IlEEPmS8_NS6_8equal_toIhEEEE10hipError_tPvRmT2_T3_mT4_T5_T6_T7_T8_P12ihipStream_tbENKUlT_T0_E_clISt17integral_constantIbLb1EES12_IbLb0EEEEDaSY_SZ_EUlSY_E_NS1_11comp_targetILNS1_3genE0ELNS1_11target_archE4294967295ELNS1_3gpuE0ELNS1_3repE0EEENS1_30default_config_static_selectorELNS0_4arch9wavefront6targetE1EEEvT1_ ; -- Begin function _ZN7rocprim17ROCPRIM_400000_NS6detail17trampoline_kernelINS0_14default_configENS1_29reduce_by_key_config_selectorIhlN6thrust23THRUST_200600_302600_NS4plusIlEEEEZZNS1_33reduce_by_key_impl_wrapped_configILNS1_25lookback_scan_determinismE0ES3_S9_PhNS6_17constant_iteratorIiNS6_11use_defaultESE_EENS6_10device_ptrIhEENSG_IlEEPmS8_NS6_8equal_toIhEEEE10hipError_tPvRmT2_T3_mT4_T5_T6_T7_T8_P12ihipStream_tbENKUlT_T0_E_clISt17integral_constantIbLb1EES12_IbLb0EEEEDaSY_SZ_EUlSY_E_NS1_11comp_targetILNS1_3genE0ELNS1_11target_archE4294967295ELNS1_3gpuE0ELNS1_3repE0EEENS1_30default_config_static_selectorELNS0_4arch9wavefront6targetE1EEEvT1_
	.globl	_ZN7rocprim17ROCPRIM_400000_NS6detail17trampoline_kernelINS0_14default_configENS1_29reduce_by_key_config_selectorIhlN6thrust23THRUST_200600_302600_NS4plusIlEEEEZZNS1_33reduce_by_key_impl_wrapped_configILNS1_25lookback_scan_determinismE0ES3_S9_PhNS6_17constant_iteratorIiNS6_11use_defaultESE_EENS6_10device_ptrIhEENSG_IlEEPmS8_NS6_8equal_toIhEEEE10hipError_tPvRmT2_T3_mT4_T5_T6_T7_T8_P12ihipStream_tbENKUlT_T0_E_clISt17integral_constantIbLb1EES12_IbLb0EEEEDaSY_SZ_EUlSY_E_NS1_11comp_targetILNS1_3genE0ELNS1_11target_archE4294967295ELNS1_3gpuE0ELNS1_3repE0EEENS1_30default_config_static_selectorELNS0_4arch9wavefront6targetE1EEEvT1_
	.p2align	8
	.type	_ZN7rocprim17ROCPRIM_400000_NS6detail17trampoline_kernelINS0_14default_configENS1_29reduce_by_key_config_selectorIhlN6thrust23THRUST_200600_302600_NS4plusIlEEEEZZNS1_33reduce_by_key_impl_wrapped_configILNS1_25lookback_scan_determinismE0ES3_S9_PhNS6_17constant_iteratorIiNS6_11use_defaultESE_EENS6_10device_ptrIhEENSG_IlEEPmS8_NS6_8equal_toIhEEEE10hipError_tPvRmT2_T3_mT4_T5_T6_T7_T8_P12ihipStream_tbENKUlT_T0_E_clISt17integral_constantIbLb1EES12_IbLb0EEEEDaSY_SZ_EUlSY_E_NS1_11comp_targetILNS1_3genE0ELNS1_11target_archE4294967295ELNS1_3gpuE0ELNS1_3repE0EEENS1_30default_config_static_selectorELNS0_4arch9wavefront6targetE1EEEvT1_,@function
_ZN7rocprim17ROCPRIM_400000_NS6detail17trampoline_kernelINS0_14default_configENS1_29reduce_by_key_config_selectorIhlN6thrust23THRUST_200600_302600_NS4plusIlEEEEZZNS1_33reduce_by_key_impl_wrapped_configILNS1_25lookback_scan_determinismE0ES3_S9_PhNS6_17constant_iteratorIiNS6_11use_defaultESE_EENS6_10device_ptrIhEENSG_IlEEPmS8_NS6_8equal_toIhEEEE10hipError_tPvRmT2_T3_mT4_T5_T6_T7_T8_P12ihipStream_tbENKUlT_T0_E_clISt17integral_constantIbLb1EES12_IbLb0EEEEDaSY_SZ_EUlSY_E_NS1_11comp_targetILNS1_3genE0ELNS1_11target_archE4294967295ELNS1_3gpuE0ELNS1_3repE0EEENS1_30default_config_static_selectorELNS0_4arch9wavefront6targetE1EEEvT1_: ; @_ZN7rocprim17ROCPRIM_400000_NS6detail17trampoline_kernelINS0_14default_configENS1_29reduce_by_key_config_selectorIhlN6thrust23THRUST_200600_302600_NS4plusIlEEEEZZNS1_33reduce_by_key_impl_wrapped_configILNS1_25lookback_scan_determinismE0ES3_S9_PhNS6_17constant_iteratorIiNS6_11use_defaultESE_EENS6_10device_ptrIhEENSG_IlEEPmS8_NS6_8equal_toIhEEEE10hipError_tPvRmT2_T3_mT4_T5_T6_T7_T8_P12ihipStream_tbENKUlT_T0_E_clISt17integral_constantIbLb1EES12_IbLb0EEEEDaSY_SZ_EUlSY_E_NS1_11comp_targetILNS1_3genE0ELNS1_11target_archE4294967295ELNS1_3gpuE0ELNS1_3repE0EEENS1_30default_config_static_selectorELNS0_4arch9wavefront6targetE1EEEvT1_
; %bb.0:
	.section	.rodata,"a",@progbits
	.p2align	6, 0x0
	.amdhsa_kernel _ZN7rocprim17ROCPRIM_400000_NS6detail17trampoline_kernelINS0_14default_configENS1_29reduce_by_key_config_selectorIhlN6thrust23THRUST_200600_302600_NS4plusIlEEEEZZNS1_33reduce_by_key_impl_wrapped_configILNS1_25lookback_scan_determinismE0ES3_S9_PhNS6_17constant_iteratorIiNS6_11use_defaultESE_EENS6_10device_ptrIhEENSG_IlEEPmS8_NS6_8equal_toIhEEEE10hipError_tPvRmT2_T3_mT4_T5_T6_T7_T8_P12ihipStream_tbENKUlT_T0_E_clISt17integral_constantIbLb1EES12_IbLb0EEEEDaSY_SZ_EUlSY_E_NS1_11comp_targetILNS1_3genE0ELNS1_11target_archE4294967295ELNS1_3gpuE0ELNS1_3repE0EEENS1_30default_config_static_selectorELNS0_4arch9wavefront6targetE1EEEvT1_
		.amdhsa_group_segment_fixed_size 0
		.amdhsa_private_segment_fixed_size 0
		.amdhsa_kernarg_size 144
		.amdhsa_user_sgpr_count 6
		.amdhsa_user_sgpr_private_segment_buffer 1
		.amdhsa_user_sgpr_dispatch_ptr 0
		.amdhsa_user_sgpr_queue_ptr 0
		.amdhsa_user_sgpr_kernarg_segment_ptr 1
		.amdhsa_user_sgpr_dispatch_id 0
		.amdhsa_user_sgpr_flat_scratch_init 0
		.amdhsa_user_sgpr_kernarg_preload_length 0
		.amdhsa_user_sgpr_kernarg_preload_offset 0
		.amdhsa_user_sgpr_private_segment_size 0
		.amdhsa_uses_dynamic_stack 0
		.amdhsa_system_sgpr_private_segment_wavefront_offset 0
		.amdhsa_system_sgpr_workgroup_id_x 1
		.amdhsa_system_sgpr_workgroup_id_y 0
		.amdhsa_system_sgpr_workgroup_id_z 0
		.amdhsa_system_sgpr_workgroup_info 0
		.amdhsa_system_vgpr_workitem_id 0
		.amdhsa_next_free_vgpr 1
		.amdhsa_next_free_sgpr 0
		.amdhsa_accum_offset 4
		.amdhsa_reserve_vcc 0
		.amdhsa_reserve_flat_scratch 0
		.amdhsa_float_round_mode_32 0
		.amdhsa_float_round_mode_16_64 0
		.amdhsa_float_denorm_mode_32 3
		.amdhsa_float_denorm_mode_16_64 3
		.amdhsa_dx10_clamp 1
		.amdhsa_ieee_mode 1
		.amdhsa_fp16_overflow 0
		.amdhsa_tg_split 0
		.amdhsa_exception_fp_ieee_invalid_op 0
		.amdhsa_exception_fp_denorm_src 0
		.amdhsa_exception_fp_ieee_div_zero 0
		.amdhsa_exception_fp_ieee_overflow 0
		.amdhsa_exception_fp_ieee_underflow 0
		.amdhsa_exception_fp_ieee_inexact 0
		.amdhsa_exception_int_div_zero 0
	.end_amdhsa_kernel
	.section	.text._ZN7rocprim17ROCPRIM_400000_NS6detail17trampoline_kernelINS0_14default_configENS1_29reduce_by_key_config_selectorIhlN6thrust23THRUST_200600_302600_NS4plusIlEEEEZZNS1_33reduce_by_key_impl_wrapped_configILNS1_25lookback_scan_determinismE0ES3_S9_PhNS6_17constant_iteratorIiNS6_11use_defaultESE_EENS6_10device_ptrIhEENSG_IlEEPmS8_NS6_8equal_toIhEEEE10hipError_tPvRmT2_T3_mT4_T5_T6_T7_T8_P12ihipStream_tbENKUlT_T0_E_clISt17integral_constantIbLb1EES12_IbLb0EEEEDaSY_SZ_EUlSY_E_NS1_11comp_targetILNS1_3genE0ELNS1_11target_archE4294967295ELNS1_3gpuE0ELNS1_3repE0EEENS1_30default_config_static_selectorELNS0_4arch9wavefront6targetE1EEEvT1_,"axG",@progbits,_ZN7rocprim17ROCPRIM_400000_NS6detail17trampoline_kernelINS0_14default_configENS1_29reduce_by_key_config_selectorIhlN6thrust23THRUST_200600_302600_NS4plusIlEEEEZZNS1_33reduce_by_key_impl_wrapped_configILNS1_25lookback_scan_determinismE0ES3_S9_PhNS6_17constant_iteratorIiNS6_11use_defaultESE_EENS6_10device_ptrIhEENSG_IlEEPmS8_NS6_8equal_toIhEEEE10hipError_tPvRmT2_T3_mT4_T5_T6_T7_T8_P12ihipStream_tbENKUlT_T0_E_clISt17integral_constantIbLb1EES12_IbLb0EEEEDaSY_SZ_EUlSY_E_NS1_11comp_targetILNS1_3genE0ELNS1_11target_archE4294967295ELNS1_3gpuE0ELNS1_3repE0EEENS1_30default_config_static_selectorELNS0_4arch9wavefront6targetE1EEEvT1_,comdat
.Lfunc_end384:
	.size	_ZN7rocprim17ROCPRIM_400000_NS6detail17trampoline_kernelINS0_14default_configENS1_29reduce_by_key_config_selectorIhlN6thrust23THRUST_200600_302600_NS4plusIlEEEEZZNS1_33reduce_by_key_impl_wrapped_configILNS1_25lookback_scan_determinismE0ES3_S9_PhNS6_17constant_iteratorIiNS6_11use_defaultESE_EENS6_10device_ptrIhEENSG_IlEEPmS8_NS6_8equal_toIhEEEE10hipError_tPvRmT2_T3_mT4_T5_T6_T7_T8_P12ihipStream_tbENKUlT_T0_E_clISt17integral_constantIbLb1EES12_IbLb0EEEEDaSY_SZ_EUlSY_E_NS1_11comp_targetILNS1_3genE0ELNS1_11target_archE4294967295ELNS1_3gpuE0ELNS1_3repE0EEENS1_30default_config_static_selectorELNS0_4arch9wavefront6targetE1EEEvT1_, .Lfunc_end384-_ZN7rocprim17ROCPRIM_400000_NS6detail17trampoline_kernelINS0_14default_configENS1_29reduce_by_key_config_selectorIhlN6thrust23THRUST_200600_302600_NS4plusIlEEEEZZNS1_33reduce_by_key_impl_wrapped_configILNS1_25lookback_scan_determinismE0ES3_S9_PhNS6_17constant_iteratorIiNS6_11use_defaultESE_EENS6_10device_ptrIhEENSG_IlEEPmS8_NS6_8equal_toIhEEEE10hipError_tPvRmT2_T3_mT4_T5_T6_T7_T8_P12ihipStream_tbENKUlT_T0_E_clISt17integral_constantIbLb1EES12_IbLb0EEEEDaSY_SZ_EUlSY_E_NS1_11comp_targetILNS1_3genE0ELNS1_11target_archE4294967295ELNS1_3gpuE0ELNS1_3repE0EEENS1_30default_config_static_selectorELNS0_4arch9wavefront6targetE1EEEvT1_
                                        ; -- End function
	.section	.AMDGPU.csdata,"",@progbits
; Kernel info:
; codeLenInByte = 0
; NumSgprs: 4
; NumVgprs: 0
; NumAgprs: 0
; TotalNumVgprs: 0
; ScratchSize: 0
; MemoryBound: 0
; FloatMode: 240
; IeeeMode: 1
; LDSByteSize: 0 bytes/workgroup (compile time only)
; SGPRBlocks: 0
; VGPRBlocks: 0
; NumSGPRsForWavesPerEU: 4
; NumVGPRsForWavesPerEU: 1
; AccumOffset: 4
; Occupancy: 8
; WaveLimiterHint : 0
; COMPUTE_PGM_RSRC2:SCRATCH_EN: 0
; COMPUTE_PGM_RSRC2:USER_SGPR: 6
; COMPUTE_PGM_RSRC2:TRAP_HANDLER: 0
; COMPUTE_PGM_RSRC2:TGID_X_EN: 1
; COMPUTE_PGM_RSRC2:TGID_Y_EN: 0
; COMPUTE_PGM_RSRC2:TGID_Z_EN: 0
; COMPUTE_PGM_RSRC2:TIDIG_COMP_CNT: 0
; COMPUTE_PGM_RSRC3_GFX90A:ACCUM_OFFSET: 0
; COMPUTE_PGM_RSRC3_GFX90A:TG_SPLIT: 0
	.section	.text._ZN7rocprim17ROCPRIM_400000_NS6detail17trampoline_kernelINS0_14default_configENS1_29reduce_by_key_config_selectorIhlN6thrust23THRUST_200600_302600_NS4plusIlEEEEZZNS1_33reduce_by_key_impl_wrapped_configILNS1_25lookback_scan_determinismE0ES3_S9_PhNS6_17constant_iteratorIiNS6_11use_defaultESE_EENS6_10device_ptrIhEENSG_IlEEPmS8_NS6_8equal_toIhEEEE10hipError_tPvRmT2_T3_mT4_T5_T6_T7_T8_P12ihipStream_tbENKUlT_T0_E_clISt17integral_constantIbLb1EES12_IbLb0EEEEDaSY_SZ_EUlSY_E_NS1_11comp_targetILNS1_3genE5ELNS1_11target_archE942ELNS1_3gpuE9ELNS1_3repE0EEENS1_30default_config_static_selectorELNS0_4arch9wavefront6targetE1EEEvT1_,"axG",@progbits,_ZN7rocprim17ROCPRIM_400000_NS6detail17trampoline_kernelINS0_14default_configENS1_29reduce_by_key_config_selectorIhlN6thrust23THRUST_200600_302600_NS4plusIlEEEEZZNS1_33reduce_by_key_impl_wrapped_configILNS1_25lookback_scan_determinismE0ES3_S9_PhNS6_17constant_iteratorIiNS6_11use_defaultESE_EENS6_10device_ptrIhEENSG_IlEEPmS8_NS6_8equal_toIhEEEE10hipError_tPvRmT2_T3_mT4_T5_T6_T7_T8_P12ihipStream_tbENKUlT_T0_E_clISt17integral_constantIbLb1EES12_IbLb0EEEEDaSY_SZ_EUlSY_E_NS1_11comp_targetILNS1_3genE5ELNS1_11target_archE942ELNS1_3gpuE9ELNS1_3repE0EEENS1_30default_config_static_selectorELNS0_4arch9wavefront6targetE1EEEvT1_,comdat
	.protected	_ZN7rocprim17ROCPRIM_400000_NS6detail17trampoline_kernelINS0_14default_configENS1_29reduce_by_key_config_selectorIhlN6thrust23THRUST_200600_302600_NS4plusIlEEEEZZNS1_33reduce_by_key_impl_wrapped_configILNS1_25lookback_scan_determinismE0ES3_S9_PhNS6_17constant_iteratorIiNS6_11use_defaultESE_EENS6_10device_ptrIhEENSG_IlEEPmS8_NS6_8equal_toIhEEEE10hipError_tPvRmT2_T3_mT4_T5_T6_T7_T8_P12ihipStream_tbENKUlT_T0_E_clISt17integral_constantIbLb1EES12_IbLb0EEEEDaSY_SZ_EUlSY_E_NS1_11comp_targetILNS1_3genE5ELNS1_11target_archE942ELNS1_3gpuE9ELNS1_3repE0EEENS1_30default_config_static_selectorELNS0_4arch9wavefront6targetE1EEEvT1_ ; -- Begin function _ZN7rocprim17ROCPRIM_400000_NS6detail17trampoline_kernelINS0_14default_configENS1_29reduce_by_key_config_selectorIhlN6thrust23THRUST_200600_302600_NS4plusIlEEEEZZNS1_33reduce_by_key_impl_wrapped_configILNS1_25lookback_scan_determinismE0ES3_S9_PhNS6_17constant_iteratorIiNS6_11use_defaultESE_EENS6_10device_ptrIhEENSG_IlEEPmS8_NS6_8equal_toIhEEEE10hipError_tPvRmT2_T3_mT4_T5_T6_T7_T8_P12ihipStream_tbENKUlT_T0_E_clISt17integral_constantIbLb1EES12_IbLb0EEEEDaSY_SZ_EUlSY_E_NS1_11comp_targetILNS1_3genE5ELNS1_11target_archE942ELNS1_3gpuE9ELNS1_3repE0EEENS1_30default_config_static_selectorELNS0_4arch9wavefront6targetE1EEEvT1_
	.globl	_ZN7rocprim17ROCPRIM_400000_NS6detail17trampoline_kernelINS0_14default_configENS1_29reduce_by_key_config_selectorIhlN6thrust23THRUST_200600_302600_NS4plusIlEEEEZZNS1_33reduce_by_key_impl_wrapped_configILNS1_25lookback_scan_determinismE0ES3_S9_PhNS6_17constant_iteratorIiNS6_11use_defaultESE_EENS6_10device_ptrIhEENSG_IlEEPmS8_NS6_8equal_toIhEEEE10hipError_tPvRmT2_T3_mT4_T5_T6_T7_T8_P12ihipStream_tbENKUlT_T0_E_clISt17integral_constantIbLb1EES12_IbLb0EEEEDaSY_SZ_EUlSY_E_NS1_11comp_targetILNS1_3genE5ELNS1_11target_archE942ELNS1_3gpuE9ELNS1_3repE0EEENS1_30default_config_static_selectorELNS0_4arch9wavefront6targetE1EEEvT1_
	.p2align	8
	.type	_ZN7rocprim17ROCPRIM_400000_NS6detail17trampoline_kernelINS0_14default_configENS1_29reduce_by_key_config_selectorIhlN6thrust23THRUST_200600_302600_NS4plusIlEEEEZZNS1_33reduce_by_key_impl_wrapped_configILNS1_25lookback_scan_determinismE0ES3_S9_PhNS6_17constant_iteratorIiNS6_11use_defaultESE_EENS6_10device_ptrIhEENSG_IlEEPmS8_NS6_8equal_toIhEEEE10hipError_tPvRmT2_T3_mT4_T5_T6_T7_T8_P12ihipStream_tbENKUlT_T0_E_clISt17integral_constantIbLb1EES12_IbLb0EEEEDaSY_SZ_EUlSY_E_NS1_11comp_targetILNS1_3genE5ELNS1_11target_archE942ELNS1_3gpuE9ELNS1_3repE0EEENS1_30default_config_static_selectorELNS0_4arch9wavefront6targetE1EEEvT1_,@function
_ZN7rocprim17ROCPRIM_400000_NS6detail17trampoline_kernelINS0_14default_configENS1_29reduce_by_key_config_selectorIhlN6thrust23THRUST_200600_302600_NS4plusIlEEEEZZNS1_33reduce_by_key_impl_wrapped_configILNS1_25lookback_scan_determinismE0ES3_S9_PhNS6_17constant_iteratorIiNS6_11use_defaultESE_EENS6_10device_ptrIhEENSG_IlEEPmS8_NS6_8equal_toIhEEEE10hipError_tPvRmT2_T3_mT4_T5_T6_T7_T8_P12ihipStream_tbENKUlT_T0_E_clISt17integral_constantIbLb1EES12_IbLb0EEEEDaSY_SZ_EUlSY_E_NS1_11comp_targetILNS1_3genE5ELNS1_11target_archE942ELNS1_3gpuE9ELNS1_3repE0EEENS1_30default_config_static_selectorELNS0_4arch9wavefront6targetE1EEEvT1_: ; @_ZN7rocprim17ROCPRIM_400000_NS6detail17trampoline_kernelINS0_14default_configENS1_29reduce_by_key_config_selectorIhlN6thrust23THRUST_200600_302600_NS4plusIlEEEEZZNS1_33reduce_by_key_impl_wrapped_configILNS1_25lookback_scan_determinismE0ES3_S9_PhNS6_17constant_iteratorIiNS6_11use_defaultESE_EENS6_10device_ptrIhEENSG_IlEEPmS8_NS6_8equal_toIhEEEE10hipError_tPvRmT2_T3_mT4_T5_T6_T7_T8_P12ihipStream_tbENKUlT_T0_E_clISt17integral_constantIbLb1EES12_IbLb0EEEEDaSY_SZ_EUlSY_E_NS1_11comp_targetILNS1_3genE5ELNS1_11target_archE942ELNS1_3gpuE9ELNS1_3repE0EEENS1_30default_config_static_selectorELNS0_4arch9wavefront6targetE1EEEvT1_
; %bb.0:
	.section	.rodata,"a",@progbits
	.p2align	6, 0x0
	.amdhsa_kernel _ZN7rocprim17ROCPRIM_400000_NS6detail17trampoline_kernelINS0_14default_configENS1_29reduce_by_key_config_selectorIhlN6thrust23THRUST_200600_302600_NS4plusIlEEEEZZNS1_33reduce_by_key_impl_wrapped_configILNS1_25lookback_scan_determinismE0ES3_S9_PhNS6_17constant_iteratorIiNS6_11use_defaultESE_EENS6_10device_ptrIhEENSG_IlEEPmS8_NS6_8equal_toIhEEEE10hipError_tPvRmT2_T3_mT4_T5_T6_T7_T8_P12ihipStream_tbENKUlT_T0_E_clISt17integral_constantIbLb1EES12_IbLb0EEEEDaSY_SZ_EUlSY_E_NS1_11comp_targetILNS1_3genE5ELNS1_11target_archE942ELNS1_3gpuE9ELNS1_3repE0EEENS1_30default_config_static_selectorELNS0_4arch9wavefront6targetE1EEEvT1_
		.amdhsa_group_segment_fixed_size 0
		.amdhsa_private_segment_fixed_size 0
		.amdhsa_kernarg_size 144
		.amdhsa_user_sgpr_count 6
		.amdhsa_user_sgpr_private_segment_buffer 1
		.amdhsa_user_sgpr_dispatch_ptr 0
		.amdhsa_user_sgpr_queue_ptr 0
		.amdhsa_user_sgpr_kernarg_segment_ptr 1
		.amdhsa_user_sgpr_dispatch_id 0
		.amdhsa_user_sgpr_flat_scratch_init 0
		.amdhsa_user_sgpr_kernarg_preload_length 0
		.amdhsa_user_sgpr_kernarg_preload_offset 0
		.amdhsa_user_sgpr_private_segment_size 0
		.amdhsa_uses_dynamic_stack 0
		.amdhsa_system_sgpr_private_segment_wavefront_offset 0
		.amdhsa_system_sgpr_workgroup_id_x 1
		.amdhsa_system_sgpr_workgroup_id_y 0
		.amdhsa_system_sgpr_workgroup_id_z 0
		.amdhsa_system_sgpr_workgroup_info 0
		.amdhsa_system_vgpr_workitem_id 0
		.amdhsa_next_free_vgpr 1
		.amdhsa_next_free_sgpr 0
		.amdhsa_accum_offset 4
		.amdhsa_reserve_vcc 0
		.amdhsa_reserve_flat_scratch 0
		.amdhsa_float_round_mode_32 0
		.amdhsa_float_round_mode_16_64 0
		.amdhsa_float_denorm_mode_32 3
		.amdhsa_float_denorm_mode_16_64 3
		.amdhsa_dx10_clamp 1
		.amdhsa_ieee_mode 1
		.amdhsa_fp16_overflow 0
		.amdhsa_tg_split 0
		.amdhsa_exception_fp_ieee_invalid_op 0
		.amdhsa_exception_fp_denorm_src 0
		.amdhsa_exception_fp_ieee_div_zero 0
		.amdhsa_exception_fp_ieee_overflow 0
		.amdhsa_exception_fp_ieee_underflow 0
		.amdhsa_exception_fp_ieee_inexact 0
		.amdhsa_exception_int_div_zero 0
	.end_amdhsa_kernel
	.section	.text._ZN7rocprim17ROCPRIM_400000_NS6detail17trampoline_kernelINS0_14default_configENS1_29reduce_by_key_config_selectorIhlN6thrust23THRUST_200600_302600_NS4plusIlEEEEZZNS1_33reduce_by_key_impl_wrapped_configILNS1_25lookback_scan_determinismE0ES3_S9_PhNS6_17constant_iteratorIiNS6_11use_defaultESE_EENS6_10device_ptrIhEENSG_IlEEPmS8_NS6_8equal_toIhEEEE10hipError_tPvRmT2_T3_mT4_T5_T6_T7_T8_P12ihipStream_tbENKUlT_T0_E_clISt17integral_constantIbLb1EES12_IbLb0EEEEDaSY_SZ_EUlSY_E_NS1_11comp_targetILNS1_3genE5ELNS1_11target_archE942ELNS1_3gpuE9ELNS1_3repE0EEENS1_30default_config_static_selectorELNS0_4arch9wavefront6targetE1EEEvT1_,"axG",@progbits,_ZN7rocprim17ROCPRIM_400000_NS6detail17trampoline_kernelINS0_14default_configENS1_29reduce_by_key_config_selectorIhlN6thrust23THRUST_200600_302600_NS4plusIlEEEEZZNS1_33reduce_by_key_impl_wrapped_configILNS1_25lookback_scan_determinismE0ES3_S9_PhNS6_17constant_iteratorIiNS6_11use_defaultESE_EENS6_10device_ptrIhEENSG_IlEEPmS8_NS6_8equal_toIhEEEE10hipError_tPvRmT2_T3_mT4_T5_T6_T7_T8_P12ihipStream_tbENKUlT_T0_E_clISt17integral_constantIbLb1EES12_IbLb0EEEEDaSY_SZ_EUlSY_E_NS1_11comp_targetILNS1_3genE5ELNS1_11target_archE942ELNS1_3gpuE9ELNS1_3repE0EEENS1_30default_config_static_selectorELNS0_4arch9wavefront6targetE1EEEvT1_,comdat
.Lfunc_end385:
	.size	_ZN7rocprim17ROCPRIM_400000_NS6detail17trampoline_kernelINS0_14default_configENS1_29reduce_by_key_config_selectorIhlN6thrust23THRUST_200600_302600_NS4plusIlEEEEZZNS1_33reduce_by_key_impl_wrapped_configILNS1_25lookback_scan_determinismE0ES3_S9_PhNS6_17constant_iteratorIiNS6_11use_defaultESE_EENS6_10device_ptrIhEENSG_IlEEPmS8_NS6_8equal_toIhEEEE10hipError_tPvRmT2_T3_mT4_T5_T6_T7_T8_P12ihipStream_tbENKUlT_T0_E_clISt17integral_constantIbLb1EES12_IbLb0EEEEDaSY_SZ_EUlSY_E_NS1_11comp_targetILNS1_3genE5ELNS1_11target_archE942ELNS1_3gpuE9ELNS1_3repE0EEENS1_30default_config_static_selectorELNS0_4arch9wavefront6targetE1EEEvT1_, .Lfunc_end385-_ZN7rocprim17ROCPRIM_400000_NS6detail17trampoline_kernelINS0_14default_configENS1_29reduce_by_key_config_selectorIhlN6thrust23THRUST_200600_302600_NS4plusIlEEEEZZNS1_33reduce_by_key_impl_wrapped_configILNS1_25lookback_scan_determinismE0ES3_S9_PhNS6_17constant_iteratorIiNS6_11use_defaultESE_EENS6_10device_ptrIhEENSG_IlEEPmS8_NS6_8equal_toIhEEEE10hipError_tPvRmT2_T3_mT4_T5_T6_T7_T8_P12ihipStream_tbENKUlT_T0_E_clISt17integral_constantIbLb1EES12_IbLb0EEEEDaSY_SZ_EUlSY_E_NS1_11comp_targetILNS1_3genE5ELNS1_11target_archE942ELNS1_3gpuE9ELNS1_3repE0EEENS1_30default_config_static_selectorELNS0_4arch9wavefront6targetE1EEEvT1_
                                        ; -- End function
	.section	.AMDGPU.csdata,"",@progbits
; Kernel info:
; codeLenInByte = 0
; NumSgprs: 4
; NumVgprs: 0
; NumAgprs: 0
; TotalNumVgprs: 0
; ScratchSize: 0
; MemoryBound: 0
; FloatMode: 240
; IeeeMode: 1
; LDSByteSize: 0 bytes/workgroup (compile time only)
; SGPRBlocks: 0
; VGPRBlocks: 0
; NumSGPRsForWavesPerEU: 4
; NumVGPRsForWavesPerEU: 1
; AccumOffset: 4
; Occupancy: 8
; WaveLimiterHint : 0
; COMPUTE_PGM_RSRC2:SCRATCH_EN: 0
; COMPUTE_PGM_RSRC2:USER_SGPR: 6
; COMPUTE_PGM_RSRC2:TRAP_HANDLER: 0
; COMPUTE_PGM_RSRC2:TGID_X_EN: 1
; COMPUTE_PGM_RSRC2:TGID_Y_EN: 0
; COMPUTE_PGM_RSRC2:TGID_Z_EN: 0
; COMPUTE_PGM_RSRC2:TIDIG_COMP_CNT: 0
; COMPUTE_PGM_RSRC3_GFX90A:ACCUM_OFFSET: 0
; COMPUTE_PGM_RSRC3_GFX90A:TG_SPLIT: 0
	.section	.text._ZN7rocprim17ROCPRIM_400000_NS6detail17trampoline_kernelINS0_14default_configENS1_29reduce_by_key_config_selectorIhlN6thrust23THRUST_200600_302600_NS4plusIlEEEEZZNS1_33reduce_by_key_impl_wrapped_configILNS1_25lookback_scan_determinismE0ES3_S9_PhNS6_17constant_iteratorIiNS6_11use_defaultESE_EENS6_10device_ptrIhEENSG_IlEEPmS8_NS6_8equal_toIhEEEE10hipError_tPvRmT2_T3_mT4_T5_T6_T7_T8_P12ihipStream_tbENKUlT_T0_E_clISt17integral_constantIbLb1EES12_IbLb0EEEEDaSY_SZ_EUlSY_E_NS1_11comp_targetILNS1_3genE4ELNS1_11target_archE910ELNS1_3gpuE8ELNS1_3repE0EEENS1_30default_config_static_selectorELNS0_4arch9wavefront6targetE1EEEvT1_,"axG",@progbits,_ZN7rocprim17ROCPRIM_400000_NS6detail17trampoline_kernelINS0_14default_configENS1_29reduce_by_key_config_selectorIhlN6thrust23THRUST_200600_302600_NS4plusIlEEEEZZNS1_33reduce_by_key_impl_wrapped_configILNS1_25lookback_scan_determinismE0ES3_S9_PhNS6_17constant_iteratorIiNS6_11use_defaultESE_EENS6_10device_ptrIhEENSG_IlEEPmS8_NS6_8equal_toIhEEEE10hipError_tPvRmT2_T3_mT4_T5_T6_T7_T8_P12ihipStream_tbENKUlT_T0_E_clISt17integral_constantIbLb1EES12_IbLb0EEEEDaSY_SZ_EUlSY_E_NS1_11comp_targetILNS1_3genE4ELNS1_11target_archE910ELNS1_3gpuE8ELNS1_3repE0EEENS1_30default_config_static_selectorELNS0_4arch9wavefront6targetE1EEEvT1_,comdat
	.protected	_ZN7rocprim17ROCPRIM_400000_NS6detail17trampoline_kernelINS0_14default_configENS1_29reduce_by_key_config_selectorIhlN6thrust23THRUST_200600_302600_NS4plusIlEEEEZZNS1_33reduce_by_key_impl_wrapped_configILNS1_25lookback_scan_determinismE0ES3_S9_PhNS6_17constant_iteratorIiNS6_11use_defaultESE_EENS6_10device_ptrIhEENSG_IlEEPmS8_NS6_8equal_toIhEEEE10hipError_tPvRmT2_T3_mT4_T5_T6_T7_T8_P12ihipStream_tbENKUlT_T0_E_clISt17integral_constantIbLb1EES12_IbLb0EEEEDaSY_SZ_EUlSY_E_NS1_11comp_targetILNS1_3genE4ELNS1_11target_archE910ELNS1_3gpuE8ELNS1_3repE0EEENS1_30default_config_static_selectorELNS0_4arch9wavefront6targetE1EEEvT1_ ; -- Begin function _ZN7rocprim17ROCPRIM_400000_NS6detail17trampoline_kernelINS0_14default_configENS1_29reduce_by_key_config_selectorIhlN6thrust23THRUST_200600_302600_NS4plusIlEEEEZZNS1_33reduce_by_key_impl_wrapped_configILNS1_25lookback_scan_determinismE0ES3_S9_PhNS6_17constant_iteratorIiNS6_11use_defaultESE_EENS6_10device_ptrIhEENSG_IlEEPmS8_NS6_8equal_toIhEEEE10hipError_tPvRmT2_T3_mT4_T5_T6_T7_T8_P12ihipStream_tbENKUlT_T0_E_clISt17integral_constantIbLb1EES12_IbLb0EEEEDaSY_SZ_EUlSY_E_NS1_11comp_targetILNS1_3genE4ELNS1_11target_archE910ELNS1_3gpuE8ELNS1_3repE0EEENS1_30default_config_static_selectorELNS0_4arch9wavefront6targetE1EEEvT1_
	.globl	_ZN7rocprim17ROCPRIM_400000_NS6detail17trampoline_kernelINS0_14default_configENS1_29reduce_by_key_config_selectorIhlN6thrust23THRUST_200600_302600_NS4plusIlEEEEZZNS1_33reduce_by_key_impl_wrapped_configILNS1_25lookback_scan_determinismE0ES3_S9_PhNS6_17constant_iteratorIiNS6_11use_defaultESE_EENS6_10device_ptrIhEENSG_IlEEPmS8_NS6_8equal_toIhEEEE10hipError_tPvRmT2_T3_mT4_T5_T6_T7_T8_P12ihipStream_tbENKUlT_T0_E_clISt17integral_constantIbLb1EES12_IbLb0EEEEDaSY_SZ_EUlSY_E_NS1_11comp_targetILNS1_3genE4ELNS1_11target_archE910ELNS1_3gpuE8ELNS1_3repE0EEENS1_30default_config_static_selectorELNS0_4arch9wavefront6targetE1EEEvT1_
	.p2align	8
	.type	_ZN7rocprim17ROCPRIM_400000_NS6detail17trampoline_kernelINS0_14default_configENS1_29reduce_by_key_config_selectorIhlN6thrust23THRUST_200600_302600_NS4plusIlEEEEZZNS1_33reduce_by_key_impl_wrapped_configILNS1_25lookback_scan_determinismE0ES3_S9_PhNS6_17constant_iteratorIiNS6_11use_defaultESE_EENS6_10device_ptrIhEENSG_IlEEPmS8_NS6_8equal_toIhEEEE10hipError_tPvRmT2_T3_mT4_T5_T6_T7_T8_P12ihipStream_tbENKUlT_T0_E_clISt17integral_constantIbLb1EES12_IbLb0EEEEDaSY_SZ_EUlSY_E_NS1_11comp_targetILNS1_3genE4ELNS1_11target_archE910ELNS1_3gpuE8ELNS1_3repE0EEENS1_30default_config_static_selectorELNS0_4arch9wavefront6targetE1EEEvT1_,@function
_ZN7rocprim17ROCPRIM_400000_NS6detail17trampoline_kernelINS0_14default_configENS1_29reduce_by_key_config_selectorIhlN6thrust23THRUST_200600_302600_NS4plusIlEEEEZZNS1_33reduce_by_key_impl_wrapped_configILNS1_25lookback_scan_determinismE0ES3_S9_PhNS6_17constant_iteratorIiNS6_11use_defaultESE_EENS6_10device_ptrIhEENSG_IlEEPmS8_NS6_8equal_toIhEEEE10hipError_tPvRmT2_T3_mT4_T5_T6_T7_T8_P12ihipStream_tbENKUlT_T0_E_clISt17integral_constantIbLb1EES12_IbLb0EEEEDaSY_SZ_EUlSY_E_NS1_11comp_targetILNS1_3genE4ELNS1_11target_archE910ELNS1_3gpuE8ELNS1_3repE0EEENS1_30default_config_static_selectorELNS0_4arch9wavefront6targetE1EEEvT1_: ; @_ZN7rocprim17ROCPRIM_400000_NS6detail17trampoline_kernelINS0_14default_configENS1_29reduce_by_key_config_selectorIhlN6thrust23THRUST_200600_302600_NS4plusIlEEEEZZNS1_33reduce_by_key_impl_wrapped_configILNS1_25lookback_scan_determinismE0ES3_S9_PhNS6_17constant_iteratorIiNS6_11use_defaultESE_EENS6_10device_ptrIhEENSG_IlEEPmS8_NS6_8equal_toIhEEEE10hipError_tPvRmT2_T3_mT4_T5_T6_T7_T8_P12ihipStream_tbENKUlT_T0_E_clISt17integral_constantIbLb1EES12_IbLb0EEEEDaSY_SZ_EUlSY_E_NS1_11comp_targetILNS1_3genE4ELNS1_11target_archE910ELNS1_3gpuE8ELNS1_3repE0EEENS1_30default_config_static_selectorELNS0_4arch9wavefront6targetE1EEEvT1_
; %bb.0:
	s_load_dwordx16 s[36:51], s[4:5], 0x40
	s_load_dwordx4 s[0:3], s[4:5], 0x0
	s_load_dword s10, s[4:5], 0x18
	s_load_dwordx4 s[52:55], s[4:5], 0x20
	s_load_dwordx2 s[34:35], s[4:5], 0x30
	s_waitcnt lgkmcnt(0)
	s_mul_i32 s7, s44, s43
	s_mul_hi_u32 s8, s44, s42
	s_add_i32 s7, s8, s7
	s_mul_i32 s8, s45, s42
	s_add_i32 s7, s7, s8
	s_add_u32 s0, s0, s2
	s_addc_u32 s1, s1, s3
	s_mul_i32 s2, s6, 0xf00
	s_add_u32 s0, s0, s2
	s_mul_i32 s8, s44, s42
	s_addc_u32 s1, s1, 0
	s_add_u32 s2, s8, s6
	s_addc_u32 s3, s7, 0
	s_add_u32 s14, s46, -1
	s_addc_u32 s15, s47, -1
	s_cmp_eq_u64 s[2:3], s[14:15]
	s_cselect_b64 s[44:45], -1, 0
	s_cmp_lg_u64 s[2:3], s[14:15]
	s_mov_b64 s[12:13], -1
	s_cselect_b64 s[8:9], -1, 0
	s_mul_i32 s33, s14, 0xfffff100
	s_and_b64 vcc, exec, s[44:45]
	v_mad_u32_u24 v6, v0, 14, v0
	s_cbranch_vccnz .LBB386_2
; %bb.1:
	global_load_ubyte v1, v0, s[0:1]
	global_load_ubyte v2, v0, s[0:1] offset:256
	global_load_ubyte v3, v0, s[0:1] offset:512
	;; [unrolled: 1-line block ×14, first 2 shown]
	s_ashr_i32 s11, s10, 31
	v_mul_u32_u24_e32 v7, 15, v0
	v_mad_u32_u24 v20, v0, 15, 1
	v_mad_u32_u24 v19, v0, 15, 2
	;; [unrolled: 1-line block ×14, first 2 shown]
	v_mad_i32_i24 v33, v0, -7, v6
	v_pk_mov_b32 v[22:23], s[10:11], s[10:11] op_sel:[0,1]
	s_waitcnt vmcnt(14)
	ds_write_b8 v0, v1
	s_waitcnt vmcnt(13)
	ds_write_b8 v0, v2 offset:256
	s_waitcnt vmcnt(12)
	ds_write_b8 v0, v3 offset:512
	s_waitcnt vmcnt(11)
	ds_write_b8 v0, v4 offset:768
	s_waitcnt vmcnt(10)
	ds_write_b8 v0, v5 offset:1024
	s_waitcnt vmcnt(9)
	ds_write_b8 v0, v21 offset:1280
	s_waitcnt vmcnt(8)
	ds_write_b8 v0, v24 offset:1536
	s_waitcnt vmcnt(7)
	ds_write_b8 v0, v25 offset:1792
	s_waitcnt vmcnt(6)
	ds_write_b8 v0, v26 offset:2048
	s_waitcnt vmcnt(5)
	ds_write_b8 v0, v27 offset:2304
	s_waitcnt vmcnt(4)
	ds_write_b8 v0, v28 offset:2560
	s_waitcnt vmcnt(3)
	ds_write_b8 v0, v29 offset:2816
	s_waitcnt vmcnt(2)
	ds_write_b8 v0, v30 offset:3072
	s_waitcnt vmcnt(1)
	ds_write_b8 v0, v31 offset:3328
	s_waitcnt vmcnt(0)
	ds_write_b8 v0, v32 offset:3584
	s_waitcnt lgkmcnt(0)
	s_barrier
	ds_read_b96 v[2:4], v6
	ds_read_u8 v72, v6 offset:12
	ds_read_u8 v5, v6 offset:13
	;; [unrolled: 1-line block ×3, first 2 shown]
	s_waitcnt lgkmcnt(0)
	v_lshrrev_b32_e32 v90, 8, v2
	v_lshrrev_b32_e32 v88, 16, v2
	;; [unrolled: 1-line block ×9, first 2 shown]
	s_barrier
	ds_write2st64_b64 v33, v[22:23], v[22:23] offset1:4
	ds_write2st64_b64 v33, v[22:23], v[22:23] offset0:8 offset1:12
	ds_write2st64_b64 v33, v[22:23], v[22:23] offset0:16 offset1:20
	;; [unrolled: 1-line block ×6, first 2 shown]
	ds_write_b64 v33, v[22:23] offset:28672
	s_waitcnt lgkmcnt(0)
	s_barrier
	s_load_dwordx2 s[30:31], s[4:5], 0x80
	s_add_i32 s33, s33, s48
	s_cbranch_execz .LBB386_3
	s_branch .LBB386_34
.LBB386_2:
                                        ; implicit-def: $vgpr16
                                        ; implicit-def: $vgpr17
                                        ; implicit-def: $vgpr34
                                        ; implicit-def: $vgpr8
                                        ; implicit-def: $vgpr9
                                        ; implicit-def: $vgpr10
                                        ; implicit-def: $vgpr11
                                        ; implicit-def: $vgpr12
                                        ; implicit-def: $vgpr13
                                        ; implicit-def: $vgpr14
                                        ; implicit-def: $vgpr15
                                        ; implicit-def: $vgpr18
                                        ; implicit-def: $vgpr19
                                        ; implicit-def: $vgpr20
                                        ; implicit-def: $vgpr7
                                        ; implicit-def: $vgpr2
                                        ; implicit-def: $vgpr90
                                        ; implicit-def: $vgpr88
                                        ; implicit-def: $vgpr87
                                        ; implicit-def: $vgpr85
                                        ; implicit-def: $vgpr83
                                        ; implicit-def: $vgpr81
                                        ; implicit-def: $vgpr79
                                        ; implicit-def: $vgpr78
                                        ; implicit-def: $vgpr76
                                        ; implicit-def: $vgpr72
                                        ; implicit-def: $vgpr5
                                        ; implicit-def: $vgpr1
	s_load_dwordx2 s[30:31], s[4:5], 0x80
	s_andn2_b64 vcc, exec, s[12:13]
	s_add_i32 s33, s33, s48
	s_cbranch_vccnz .LBB386_34
.LBB386_3:
	v_cmp_gt_u32_e32 vcc, s33, v0
                                        ; implicit-def: $vgpr1
	s_and_saveexec_b64 s[4:5], vcc
	s_cbranch_execz .LBB386_5
; %bb.4:
	global_load_ubyte v1, v0, s[0:1]
.LBB386_5:
	s_or_b64 exec, exec, s[4:5]
	v_or_b32_e32 v2, 0x100, v0
	v_cmp_gt_u32_e32 vcc, s33, v2
                                        ; implicit-def: $vgpr2
	s_and_saveexec_b64 s[4:5], vcc
	s_cbranch_execz .LBB386_7
; %bb.6:
	global_load_ubyte v2, v0, s[0:1] offset:256
.LBB386_7:
	s_or_b64 exec, exec, s[4:5]
	v_or_b32_e32 v3, 0x200, v0
	v_cmp_gt_u32_e32 vcc, s33, v3
                                        ; implicit-def: $vgpr3
	s_and_saveexec_b64 s[4:5], vcc
	s_cbranch_execz .LBB386_9
; %bb.8:
	global_load_ubyte v3, v0, s[0:1] offset:512
.LBB386_9:
	s_or_b64 exec, exec, s[4:5]
	v_or_b32_e32 v4, 0x300, v0
	v_cmp_gt_u32_e32 vcc, s33, v4
                                        ; implicit-def: $vgpr4
	s_and_saveexec_b64 s[4:5], vcc
	s_cbranch_execz .LBB386_11
; %bb.10:
	global_load_ubyte v4, v0, s[0:1] offset:768
.LBB386_11:
	s_or_b64 exec, exec, s[4:5]
	v_or_b32_e32 v5, 0x400, v0
	v_cmp_gt_u32_e32 vcc, s33, v5
                                        ; implicit-def: $vgpr5
	s_and_saveexec_b64 s[4:5], vcc
	s_cbranch_execz .LBB386_13
; %bb.12:
	global_load_ubyte v5, v0, s[0:1] offset:1024
.LBB386_13:
	s_or_b64 exec, exec, s[4:5]
	v_or_b32_e32 v7, 0x500, v0
	v_cmp_gt_u32_e32 vcc, s33, v7
                                        ; implicit-def: $vgpr7
	s_and_saveexec_b64 s[4:5], vcc
	s_cbranch_execz .LBB386_15
; %bb.14:
	global_load_ubyte v7, v0, s[0:1] offset:1280
.LBB386_15:
	s_or_b64 exec, exec, s[4:5]
	v_or_b32_e32 v8, 0x600, v0
	v_cmp_gt_u32_e32 vcc, s33, v8
                                        ; implicit-def: $vgpr8
	s_and_saveexec_b64 s[4:5], vcc
	s_cbranch_execz .LBB386_17
; %bb.16:
	global_load_ubyte v8, v0, s[0:1] offset:1536
.LBB386_17:
	s_or_b64 exec, exec, s[4:5]
	v_or_b32_e32 v9, 0x700, v0
	v_cmp_gt_u32_e32 vcc, s33, v9
                                        ; implicit-def: $vgpr9
	s_and_saveexec_b64 s[4:5], vcc
	s_cbranch_execz .LBB386_19
; %bb.18:
	global_load_ubyte v9, v0, s[0:1] offset:1792
.LBB386_19:
	s_or_b64 exec, exec, s[4:5]
	v_or_b32_e32 v10, 0x800, v0
	v_cmp_gt_u32_e32 vcc, s33, v10
                                        ; implicit-def: $vgpr10
	s_and_saveexec_b64 s[4:5], vcc
	s_cbranch_execz .LBB386_21
; %bb.20:
	global_load_ubyte v10, v0, s[0:1] offset:2048
.LBB386_21:
	s_or_b64 exec, exec, s[4:5]
	v_or_b32_e32 v11, 0x900, v0
	v_cmp_gt_u32_e32 vcc, s33, v11
                                        ; implicit-def: $vgpr11
	s_and_saveexec_b64 s[4:5], vcc
	s_cbranch_execz .LBB386_23
; %bb.22:
	global_load_ubyte v11, v0, s[0:1] offset:2304
.LBB386_23:
	s_or_b64 exec, exec, s[4:5]
	v_or_b32_e32 v12, 0xa00, v0
	v_cmp_gt_u32_e32 vcc, s33, v12
                                        ; implicit-def: $vgpr12
	s_and_saveexec_b64 s[4:5], vcc
	s_cbranch_execz .LBB386_25
; %bb.24:
	global_load_ubyte v12, v0, s[0:1] offset:2560
.LBB386_25:
	s_or_b64 exec, exec, s[4:5]
	v_or_b32_e32 v13, 0xb00, v0
	v_cmp_gt_u32_e32 vcc, s33, v13
                                        ; implicit-def: $vgpr13
	s_and_saveexec_b64 s[4:5], vcc
	s_cbranch_execz .LBB386_27
; %bb.26:
	global_load_ubyte v13, v0, s[0:1] offset:2816
.LBB386_27:
	s_or_b64 exec, exec, s[4:5]
	v_or_b32_e32 v14, 0xc00, v0
	v_cmp_gt_u32_e32 vcc, s33, v14
                                        ; implicit-def: $vgpr14
	s_and_saveexec_b64 s[4:5], vcc
	s_cbranch_execz .LBB386_29
; %bb.28:
	global_load_ubyte v14, v0, s[0:1] offset:3072
.LBB386_29:
	s_or_b64 exec, exec, s[4:5]
	v_or_b32_e32 v15, 0xd00, v0
	v_cmp_gt_u32_e32 vcc, s33, v15
                                        ; implicit-def: $vgpr15
	s_and_saveexec_b64 s[4:5], vcc
	s_cbranch_execz .LBB386_31
; %bb.30:
	global_load_ubyte v15, v0, s[0:1] offset:3328
.LBB386_31:
	s_or_b64 exec, exec, s[4:5]
	v_or_b32_e32 v16, 0xe00, v0
	v_cmp_gt_u32_e32 vcc, s33, v16
                                        ; implicit-def: $vgpr16
	s_and_saveexec_b64 s[4:5], vcc
	s_cbranch_execz .LBB386_33
; %bb.32:
	global_load_ubyte v16, v0, s[0:1] offset:3584
.LBB386_33:
	s_or_b64 exec, exec, s[4:5]
	s_waitcnt vmcnt(0)
	ds_write_b8 v0, v1
	ds_write_b8 v0, v2 offset:256
	ds_write_b8 v0, v3 offset:512
	;; [unrolled: 1-line block ×14, first 2 shown]
	s_waitcnt lgkmcnt(0)
	s_barrier
	ds_read_b96 v[2:4], v6
	ds_read_u8 v72, v6 offset:12
	ds_read_u8 v5, v6 offset:13
	;; [unrolled: 1-line block ×3, first 2 shown]
	s_ashr_i32 s11, s10, 31
	v_mul_u32_u24_e32 v7, 15, v0
	v_mad_u32_u24 v20, v0, 15, 1
	s_waitcnt lgkmcnt(3)
	v_lshrrev_b32_e32 v90, 8, v2
	v_lshrrev_b32_e32 v88, 16, v2
	;; [unrolled: 1-line block ×9, first 2 shown]
	v_mad_u32_u24 v19, v0, 15, 2
	v_mad_u32_u24 v18, v0, 15, 3
	;; [unrolled: 1-line block ×13, first 2 shown]
	v_mad_i32_i24 v6, v0, -7, v6
	v_pk_mov_b32 v[22:23], s[10:11], s[10:11] op_sel:[0,1]
	s_waitcnt lgkmcnt(0)
	s_barrier
	ds_write2st64_b64 v6, v[22:23], v[22:23] offset1:4
	ds_write2st64_b64 v6, v[22:23], v[22:23] offset0:8 offset1:12
	ds_write2st64_b64 v6, v[22:23], v[22:23] offset0:16 offset1:20
	;; [unrolled: 1-line block ×6, first 2 shown]
	ds_write_b64 v6, v[22:23] offset:28672
	s_waitcnt lgkmcnt(0)
	s_barrier
.LBB386_34:
	v_lshlrev_b32_e32 v6, 3, v7
	s_waitcnt lgkmcnt(0)
	v_lshlrev_b32_e32 v7, 3, v20
	v_lshlrev_b32_e32 v19, 3, v19
	v_lshlrev_b32_e32 v18, 3, v18
	ds_read_b64 v[32:33], v6
	ds_read_b64 v[30:31], v7
	ds_read_b64 v[28:29], v19
	ds_read_b64 v[24:25], v18
	v_lshlrev_b32_e32 v6, 3, v15
	v_lshlrev_b32_e32 v7, 3, v14
	v_lshlrev_b32_e32 v13, 3, v13
	v_lshlrev_b32_e32 v12, 3, v12
	ds_read_b64 v[26:27], v6
	ds_read_b64 v[22:23], v7
	ds_read_b64 v[20:21], v13
	ds_read_b64 v[14:15], v12
	v_lshlrev_b32_e32 v6, 3, v11
	;; [unrolled: 8-line block ×3, first 2 shown]
	v_lshlrev_b32_e32 v17, 3, v17
	v_lshlrev_b32_e32 v34, 3, v16
	ds_read_b64 v[6:7], v6
	ds_read_b64 v[16:17], v17
	;; [unrolled: 1-line block ×3, first 2 shown]
	s_cmp_eq_u64 s[2:3], 0
	s_cselect_b64 s[46:47], -1, 0
	s_cmp_lg_u64 s[2:3], 0
	s_mov_b64 s[4:5], 0
	s_cselect_b64 s[10:11], -1, 0
	s_and_b64 vcc, exec, s[8:9]
	s_waitcnt lgkmcnt(0)
	s_barrier
	s_cbranch_vccz .LBB386_40
; %bb.35:
	s_and_b64 vcc, exec, s[10:11]
	s_cbranch_vccz .LBB386_41
; %bb.36:
	v_mov_b32_e32 v36, 0
	global_load_ubyte v36, v36, s[0:1] offset:-1
	v_cmp_ne_u16_sdwa s[4:5], v5, v1 src0_sel:BYTE_0 src1_sel:BYTE_0
	v_cmp_ne_u16_sdwa s[8:9], v72, v5 src0_sel:BYTE_0 src1_sel:BYTE_0
	;; [unrolled: 1-line block ×14, first 2 shown]
	v_cmp_ne_u32_e32 vcc, 0, v0
	ds_write_b8 v0, v1
	s_waitcnt lgkmcnt(0)
	s_barrier
	s_and_saveexec_b64 s[62:63], vcc
	s_cbranch_execz .LBB386_38
; %bb.37:
	s_waitcnt vmcnt(0)
	v_add_u32_e32 v36, -1, v0
	ds_read_u8 v36, v36
.LBB386_38:
	s_or_b64 exec, exec, s[62:63]
	s_waitcnt vmcnt(0) lgkmcnt(0)
	v_and_b32_e32 v36, 0xff, v36
	v_cndmask_b32_e64 v73, 0, 1, s[4:5]
	v_cndmask_b32_e64 v74, 0, 1, s[8:9]
	;; [unrolled: 1-line block ×14, first 2 shown]
	v_cmp_ne_u16_sdwa s[8:9], v36, v2 src0_sel:DWORD src1_sel:BYTE_0
	s_mov_b64 s[4:5], -1
.LBB386_39:
                                        ; implicit-def: $sgpr7
	s_branch .LBB386_53
.LBB386_40:
                                        ; implicit-def: $sgpr8_sgpr9
                                        ; implicit-def: $vgpr73
                                        ; implicit-def: $vgpr74
                                        ; implicit-def: $vgpr75
                                        ; implicit-def: $vgpr77
                                        ; implicit-def: $vgpr80
                                        ; implicit-def: $vgpr82
                                        ; implicit-def: $vgpr84
                                        ; implicit-def: $vgpr86
                                        ; implicit-def: $vgpr89
                                        ; implicit-def: $vgpr91
                                        ; implicit-def: $vgpr92
                                        ; implicit-def: $vgpr93
                                        ; implicit-def: $vgpr94
                                        ; implicit-def: $vgpr95
                                        ; implicit-def: $sgpr7
	s_cbranch_execnz .LBB386_45
	s_branch .LBB386_53
.LBB386_41:
                                        ; implicit-def: $sgpr8_sgpr9
                                        ; implicit-def: $vgpr73
                                        ; implicit-def: $vgpr74
                                        ; implicit-def: $vgpr75
                                        ; implicit-def: $vgpr77
                                        ; implicit-def: $vgpr80
                                        ; implicit-def: $vgpr82
                                        ; implicit-def: $vgpr84
                                        ; implicit-def: $vgpr86
                                        ; implicit-def: $vgpr89
                                        ; implicit-def: $vgpr91
                                        ; implicit-def: $vgpr92
                                        ; implicit-def: $vgpr93
                                        ; implicit-def: $vgpr94
                                        ; implicit-def: $vgpr95
	s_cbranch_execz .LBB386_39
; %bb.42:
	v_cmp_ne_u16_sdwa s[8:9], v5, v1 src0_sel:BYTE_0 src1_sel:BYTE_0
	v_cndmask_b32_e64 v73, 0, 1, s[8:9]
	v_cmp_ne_u16_sdwa s[8:9], v72, v5 src0_sel:BYTE_0 src1_sel:BYTE_0
	v_cndmask_b32_e64 v74, 0, 1, s[8:9]
	v_cmp_ne_u16_sdwa s[8:9], v76, v72 src0_sel:BYTE_0 src1_sel:BYTE_0
	v_cndmask_b32_e64 v75, 0, 1, s[8:9]
	v_cmp_ne_u16_sdwa s[8:9], v78, v76 src0_sel:BYTE_0 src1_sel:BYTE_0
	v_cndmask_b32_e64 v77, 0, 1, s[8:9]
	v_cmp_ne_u16_sdwa s[8:9], v79, v78 src0_sel:BYTE_0 src1_sel:BYTE_0
	v_cndmask_b32_e64 v80, 0, 1, s[8:9]
	v_cmp_ne_u16_sdwa s[8:9], v4, v79 src0_sel:BYTE_0 src1_sel:BYTE_0
	v_cndmask_b32_e64 v82, 0, 1, s[8:9]
	v_cmp_ne_u16_sdwa s[8:9], v81, v4 src0_sel:BYTE_0 src1_sel:BYTE_0
	v_cndmask_b32_e64 v84, 0, 1, s[8:9]
	v_cmp_ne_u16_sdwa s[8:9], v83, v81 src0_sel:BYTE_0 src1_sel:BYTE_0
	v_cndmask_b32_e64 v86, 0, 1, s[8:9]
	v_cmp_ne_u16_sdwa s[8:9], v85, v83 src0_sel:BYTE_0 src1_sel:BYTE_0
	v_cndmask_b32_e64 v89, 0, 1, s[8:9]
	v_cmp_ne_u16_sdwa s[8:9], v3, v85 src0_sel:BYTE_0 src1_sel:BYTE_0
	v_cndmask_b32_e64 v91, 0, 1, s[8:9]
	v_cmp_ne_u16_sdwa s[8:9], v87, v3 src0_sel:BYTE_0 src1_sel:BYTE_0
	v_cndmask_b32_e64 v92, 0, 1, s[8:9]
	v_cmp_ne_u16_sdwa s[8:9], v88, v87 src0_sel:BYTE_0 src1_sel:BYTE_0
	v_cndmask_b32_e64 v93, 0, 1, s[8:9]
	v_cmp_ne_u16_sdwa s[8:9], v90, v88 src0_sel:BYTE_0 src1_sel:BYTE_0
	v_cndmask_b32_e64 v94, 0, 1, s[8:9]
	v_cmp_ne_u16_sdwa s[8:9], v2, v90 src0_sel:BYTE_0 src1_sel:BYTE_0
	v_cndmask_b32_e64 v95, 0, 1, s[8:9]
	v_cmp_ne_u32_e32 vcc, 0, v0
	ds_write_b8 v0, v1
	s_waitcnt lgkmcnt(0)
	s_barrier
	s_waitcnt lgkmcnt(0)
                                        ; implicit-def: $sgpr8_sgpr9
	s_and_saveexec_b64 s[12:13], vcc
	s_xor_b64 s[12:13], exec, s[12:13]
	s_cbranch_execz .LBB386_44
; %bb.43:
	v_add_u32_e32 v36, -1, v0
	ds_read_u8 v36, v36
	s_or_b64 s[4:5], s[4:5], exec
	s_waitcnt lgkmcnt(0)
	v_cmp_ne_u16_sdwa s[8:9], v36, v2 src0_sel:DWORD src1_sel:BYTE_0
	s_and_b64 s[8:9], s[8:9], exec
.LBB386_44:
	s_or_b64 exec, exec, s[12:13]
	s_mov_b32 s7, 1
	s_branch .LBB386_53
.LBB386_45:
	s_mul_hi_u32 s7, s2, 0xfffff100
	s_mulk_i32 s3, 0xf100
	s_sub_i32 s7, s7, s2
	s_add_i32 s7, s7, s3
	s_mulk_i32 s2, 0xf100
	s_add_u32 s2, s2, s48
	s_addc_u32 s3, s7, s49
	s_and_b64 vcc, exec, s[10:11]
	s_cbranch_vccz .LBB386_50
; %bb.46:
	v_mov_b32_e32 v37, 0
	global_load_ubyte v40, v37, s[0:1] offset:-1
	v_mad_u32_u24 v36, v0, 15, 14
	v_cmp_gt_u64_e32 vcc, s[2:3], v[36:37]
	v_cmp_ne_u16_sdwa s[0:1], v5, v1 src0_sel:BYTE_0 src1_sel:BYTE_0
	v_mad_u32_u24 v36, v0, 15, 13
	s_and_b64 s[0:1], vcc, s[0:1]
	v_cmp_gt_u64_e32 vcc, s[2:3], v[36:37]
	v_cmp_ne_u16_sdwa s[4:5], v72, v5 src0_sel:BYTE_0 src1_sel:BYTE_0
	v_mad_u32_u24 v36, v0, 15, 12
	s_and_b64 s[4:5], vcc, s[4:5]
	;; [unrolled: 4-line block ×13, first 2 shown]
	v_cmp_gt_u64_e32 vcc, s[2:3], v[36:37]
	v_cmp_ne_u16_sdwa s[48:49], v2, v90 src0_sel:BYTE_0 src1_sel:BYTE_0
	v_mul_u32_u24_e32 v38, 15, v0
	s_and_b64 s[48:49], vcc, s[48:49]
	v_cmp_ne_u32_e32 vcc, 0, v0
	ds_write_b8 v0, v1
	s_waitcnt lgkmcnt(0)
	s_barrier
	s_and_saveexec_b64 s[56:57], vcc
	s_cbranch_execz .LBB386_48
; %bb.47:
	v_add_u32_e32 v36, -1, v0
	s_waitcnt vmcnt(0)
	ds_read_u8 v40, v36
.LBB386_48:
	s_or_b64 exec, exec, s[56:57]
	v_mov_b32_e32 v39, v37
	s_waitcnt vmcnt(0) lgkmcnt(0)
	v_and_b32_e32 v36, 0xff, v40
	v_cndmask_b32_e64 v73, 0, 1, s[0:1]
	v_cmp_gt_u64_e32 vcc, s[2:3], v[38:39]
	v_cmp_ne_u16_sdwa s[0:1], v36, v2 src0_sel:DWORD src1_sel:BYTE_0
	v_cndmask_b32_e64 v74, 0, 1, s[4:5]
	v_cndmask_b32_e64 v75, 0, 1, s[8:9]
	;; [unrolled: 1-line block ×13, first 2 shown]
	s_and_b64 s[8:9], vcc, s[0:1]
	s_mov_b64 s[4:5], -1
.LBB386_49:
                                        ; implicit-def: $sgpr7
	v_mov_b32_e32 v96, s7
	s_and_saveexec_b64 s[0:1], s[4:5]
	s_cbranch_execnz .LBB386_54
	s_branch .LBB386_55
.LBB386_50:
                                        ; implicit-def: $sgpr8_sgpr9
                                        ; implicit-def: $vgpr73
                                        ; implicit-def: $vgpr74
                                        ; implicit-def: $vgpr75
                                        ; implicit-def: $vgpr77
                                        ; implicit-def: $vgpr80
                                        ; implicit-def: $vgpr82
                                        ; implicit-def: $vgpr84
                                        ; implicit-def: $vgpr86
                                        ; implicit-def: $vgpr89
                                        ; implicit-def: $vgpr91
                                        ; implicit-def: $vgpr92
                                        ; implicit-def: $vgpr93
                                        ; implicit-def: $vgpr94
                                        ; implicit-def: $vgpr95
	s_cbranch_execz .LBB386_49
; %bb.51:
	v_mad_u32_u24 v36, v0, 15, 14
	v_mov_b32_e32 v37, 0
	v_cmp_gt_u64_e32 vcc, s[2:3], v[36:37]
	v_cmp_ne_u16_sdwa s[0:1], v5, v1 src0_sel:BYTE_0 src1_sel:BYTE_0
	s_and_b64 s[0:1], vcc, s[0:1]
	v_mad_u32_u24 v36, v0, 15, 13
	v_cndmask_b32_e64 v73, 0, 1, s[0:1]
	v_cmp_gt_u64_e32 vcc, s[2:3], v[36:37]
	v_cmp_ne_u16_sdwa s[0:1], v72, v5 src0_sel:BYTE_0 src1_sel:BYTE_0
	s_and_b64 s[0:1], vcc, s[0:1]
	v_mad_u32_u24 v36, v0, 15, 12
	v_cndmask_b32_e64 v74, 0, 1, s[0:1]
	;; [unrolled: 5-line block ×13, first 2 shown]
	v_cmp_gt_u64_e32 vcc, s[2:3], v[36:37]
	v_cmp_ne_u16_sdwa s[0:1], v2, v90 src0_sel:BYTE_0 src1_sel:BYTE_0
	s_and_b64 s[0:1], vcc, s[0:1]
	s_mov_b32 s7, 1
	v_cndmask_b32_e64 v95, 0, 1, s[0:1]
	v_cmp_ne_u32_e32 vcc, 0, v0
	ds_write_b8 v0, v1
	s_waitcnt lgkmcnt(0)
	s_barrier
	s_waitcnt lgkmcnt(0)
                                        ; implicit-def: $sgpr8_sgpr9
	s_and_saveexec_b64 s[0:1], vcc
	s_cbranch_execz .LBB386_205
; %bb.52:
	v_add_u32_e32 v36, -1, v0
	ds_read_u8 v38, v36
	v_mul_u32_u24_e32 v36, 15, v0
	v_cmp_gt_u64_e32 vcc, s[2:3], v[36:37]
	s_or_b64 s[4:5], s[4:5], exec
	s_waitcnt lgkmcnt(0)
	v_and_b32_e32 v36, 0xff, v38
	v_cmp_ne_u16_sdwa s[2:3], v36, v2 src0_sel:DWORD src1_sel:BYTE_0
	s_and_b64 s[2:3], vcc, s[2:3]
	s_and_b64 s[8:9], s[2:3], exec
	s_or_b64 exec, exec, s[0:1]
.LBB386_53:
	v_mov_b32_e32 v96, s7
	s_and_saveexec_b64 s[0:1], s[4:5]
.LBB386_54:
	v_cndmask_b32_e64 v96, 0, 1, s[8:9]
.LBB386_55:
	s_or_b64 exec, exec, s[0:1]
	s_cmp_eq_u64 s[42:43], 0
	v_add3_u32 v36, v95, v96, v94
	s_cselect_b64 s[42:43], -1, 0
	s_cmp_lg_u32 s6, 0
	v_cmp_eq_u32_e64 s[24:25], 0, v95
	v_cmp_eq_u32_e64 s[22:23], 0, v94
	;; [unrolled: 1-line block ×3, first 2 shown]
	v_add3_u32 v99, v36, v93, v92
	v_cmp_eq_u32_e64 s[18:19], 0, v92
	v_cmp_eq_u32_e64 s[16:17], 0, v91
	;; [unrolled: 1-line block ×10, first 2 shown]
	v_cmp_eq_u32_e32 vcc, 0, v73
	v_mbcnt_lo_u32_b32 v98, -1, 0
	s_cbranch_scc0 .LBB386_126
; %bb.56:
	v_cndmask_b32_e64 v37, 0, v32, s[24:25]
	v_cndmask_b32_e64 v36, 0, v33, s[24:25]
	v_add_co_u32_e64 v37, s[26:27], v37, v30
	v_addc_co_u32_e64 v36, s[26:27], v36, v31, s[26:27]
	v_cndmask_b32_e64 v37, 0, v37, s[22:23]
	v_cndmask_b32_e64 v36, 0, v36, s[22:23]
	v_add_co_u32_e64 v37, s[26:27], v37, v28
	v_addc_co_u32_e64 v36, s[26:27], v36, v29, s[26:27]
	;; [unrolled: 4-line block ×11, first 2 shown]
	v_cndmask_b32_e64 v37, 0, v37, s[2:3]
	v_add3_u32 v38, v99, v91, v89
	v_cndmask_b32_e64 v36, 0, v36, s[2:3]
	v_add_co_u32_e64 v37, s[26:27], v37, v6
	v_add3_u32 v38, v38, v86, v84
	v_addc_co_u32_e64 v36, s[26:27], v36, v7, s[26:27]
	v_cndmask_b32_e64 v37, 0, v37, s[0:1]
	v_add3_u32 v38, v38, v82, v80
	v_cndmask_b32_e64 v36, 0, v36, s[0:1]
	v_add_co_u32_e64 v37, s[26:27], v37, v16
	v_add3_u32 v38, v38, v77, v75
	v_addc_co_u32_e64 v36, s[26:27], v36, v17, s[26:27]
	v_cndmask_b32_e32 v37, 0, v37, vcc
	v_add3_u32 v40, v38, v74, v73
	v_cndmask_b32_e32 v36, 0, v36, vcc
	v_add_co_u32_e32 v38, vcc, v37, v34
	v_mbcnt_hi_u32_b32 v41, -1, v98
	v_addc_co_u32_e32 v39, vcc, v36, v35, vcc
	v_and_b32_e32 v36, 15, v41
	v_mov_b32_dpp v42, v40 row_shr:1 row_mask:0xf bank_mask:0xf
	v_mov_b32_dpp v37, v38 row_shr:1 row_mask:0xf bank_mask:0xf
	;; [unrolled: 1-line block ×3, first 2 shown]
	v_cmp_ne_u32_e32 vcc, 0, v36
	s_and_saveexec_b64 s[26:27], vcc
; %bb.57:
	v_cmp_eq_u32_e32 vcc, 0, v40
	v_cndmask_b32_e32 v37, 0, v37, vcc
	v_add_u32_e32 v42, v42, v40
	v_cndmask_b32_e32 v40, 0, v43, vcc
	v_add_co_u32_e32 v38, vcc, v37, v38
	v_addc_co_u32_e32 v39, vcc, v40, v39, vcc
	v_mov_b32_e32 v40, v42
; %bb.58:
	s_or_b64 exec, exec, s[26:27]
	s_nop 0
	v_mov_b32_dpp v42, v40 row_shr:2 row_mask:0xf bank_mask:0xf
	v_mov_b32_dpp v37, v38 row_shr:2 row_mask:0xf bank_mask:0xf
	v_mov_b32_dpp v43, v39 row_shr:2 row_mask:0xf bank_mask:0xf
	v_cmp_lt_u32_e32 vcc, 1, v36
	s_and_saveexec_b64 s[26:27], vcc
; %bb.59:
	v_cmp_eq_u32_e32 vcc, 0, v40
	v_cndmask_b32_e32 v37, 0, v37, vcc
	v_add_u32_e32 v42, v42, v40
	v_cndmask_b32_e32 v40, 0, v43, vcc
	v_add_co_u32_e32 v38, vcc, v37, v38
	v_addc_co_u32_e32 v39, vcc, v40, v39, vcc
	v_mov_b32_e32 v40, v42
; %bb.60:
	s_or_b64 exec, exec, s[26:27]
	s_nop 0
	v_mov_b32_dpp v42, v40 row_shr:4 row_mask:0xf bank_mask:0xf
	v_mov_b32_dpp v37, v38 row_shr:4 row_mask:0xf bank_mask:0xf
	v_mov_b32_dpp v43, v39 row_shr:4 row_mask:0xf bank_mask:0xf
	v_cmp_lt_u32_e32 vcc, 3, v36
	;; [unrolled: 16-line block ×3, first 2 shown]
	s_and_saveexec_b64 s[26:27], vcc
; %bb.63:
	v_cmp_eq_u32_e32 vcc, 0, v40
	v_cndmask_b32_e32 v37, 0, v37, vcc
	v_add_u32_e32 v36, v42, v40
	v_cndmask_b32_e32 v40, 0, v43, vcc
	v_add_co_u32_e32 v38, vcc, v37, v38
	v_addc_co_u32_e32 v39, vcc, v40, v39, vcc
	v_mov_b32_e32 v40, v36
; %bb.64:
	s_or_b64 exec, exec, s[26:27]
	v_and_b32_e32 v43, 16, v41
	v_mov_b32_dpp v37, v40 row_bcast:15 row_mask:0xf bank_mask:0xf
	v_mov_b32_dpp v36, v38 row_bcast:15 row_mask:0xf bank_mask:0xf
	;; [unrolled: 1-line block ×3, first 2 shown]
	v_cmp_ne_u32_e32 vcc, 0, v43
	s_and_saveexec_b64 s[26:27], vcc
; %bb.65:
	v_cmp_eq_u32_e32 vcc, 0, v40
	v_cndmask_b32_e32 v36, 0, v36, vcc
	v_add_u32_e32 v37, v37, v40
	v_cndmask_b32_e32 v40, 0, v42, vcc
	v_add_co_u32_e32 v38, vcc, v36, v38
	v_addc_co_u32_e32 v39, vcc, v40, v39, vcc
	v_mov_b32_e32 v40, v37
; %bb.66:
	s_or_b64 exec, exec, s[26:27]
	s_nop 0
	v_mov_b32_dpp v37, v40 row_bcast:31 row_mask:0xf bank_mask:0xf
	v_mov_b32_dpp v36, v38 row_bcast:31 row_mask:0xf bank_mask:0xf
	;; [unrolled: 1-line block ×3, first 2 shown]
	v_cmp_lt_u32_e32 vcc, 31, v41
	s_and_saveexec_b64 s[26:27], vcc
; %bb.67:
	v_cmp_eq_u32_e32 vcc, 0, v40
	v_cndmask_b32_e32 v36, 0, v36, vcc
	v_add_u32_e32 v37, v37, v40
	v_cndmask_b32_e32 v40, 0, v42, vcc
	v_add_co_u32_e32 v38, vcc, v36, v38
	v_addc_co_u32_e32 v39, vcc, v40, v39, vcc
	v_mov_b32_e32 v40, v37
; %bb.68:
	s_or_b64 exec, exec, s[26:27]
	v_lshrrev_b32_e32 v36, 6, v0
	v_or_b32_e32 v37, 63, v0
	v_cmp_eq_u32_e32 vcc, v37, v0
	v_lshlrev_b32_e32 v42, 4, v36
	s_and_saveexec_b64 s[26:27], vcc
	s_cbranch_execz .LBB386_70
; %bb.69:
	ds_write_b32 v42, v40 offset:544
	ds_write_b64 v42, v[38:39] offset:552
.LBB386_70:
	s_or_b64 exec, exec, s[26:27]
	v_cmp_gt_u32_e32 vcc, 4, v0
	s_waitcnt lgkmcnt(0)
	s_barrier
	s_and_saveexec_b64 s[26:27], vcc
	s_cbranch_execz .LBB386_76
; %bb.71:
	v_lshlrev_b32_e32 v43, 4, v0
	ds_read_b32 v44, v43 offset:544
	ds_read_b64 v[36:37], v43 offset:552
	v_and_b32_e32 v45, 3, v41
	v_cmp_ne_u32_e32 vcc, 0, v45
	s_waitcnt lgkmcnt(1)
	v_mov_b32_dpp v47, v44 row_shr:1 row_mask:0xf bank_mask:0xf
	s_waitcnt lgkmcnt(0)
	v_mov_b32_dpp v46, v36 row_shr:1 row_mask:0xf bank_mask:0xf
	v_mov_b32_dpp v48, v37 row_shr:1 row_mask:0xf bank_mask:0xf
	s_and_saveexec_b64 s[48:49], vcc
; %bb.72:
	v_cmp_eq_u32_e32 vcc, 0, v44
	v_cndmask_b32_e32 v46, 0, v46, vcc
	v_add_u32_e32 v47, v47, v44
	v_cndmask_b32_e32 v44, 0, v48, vcc
	v_add_co_u32_e32 v36, vcc, v46, v36
	v_addc_co_u32_e32 v37, vcc, v44, v37, vcc
	v_mov_b32_e32 v44, v47
; %bb.73:
	s_or_b64 exec, exec, s[48:49]
	s_nop 0
	v_mov_b32_dpp v47, v44 row_shr:2 row_mask:0xf bank_mask:0xf
	v_mov_b32_dpp v46, v36 row_shr:2 row_mask:0xf bank_mask:0xf
	;; [unrolled: 1-line block ×3, first 2 shown]
	v_cmp_lt_u32_e32 vcc, 1, v45
	s_and_saveexec_b64 s[48:49], vcc
; %bb.74:
	v_cmp_eq_u32_e32 vcc, 0, v44
	v_cndmask_b32_e32 v46, 0, v46, vcc
	v_add_u32_e32 v45, v47, v44
	v_cndmask_b32_e32 v44, 0, v48, vcc
	v_add_co_u32_e32 v36, vcc, v46, v36
	v_addc_co_u32_e32 v37, vcc, v44, v37, vcc
	v_mov_b32_e32 v44, v45
; %bb.75:
	s_or_b64 exec, exec, s[48:49]
	ds_write_b32 v43, v44 offset:544
	ds_write_b64 v43, v[36:37] offset:552
.LBB386_76:
	s_or_b64 exec, exec, s[26:27]
	v_cmp_gt_u32_e32 vcc, 64, v0
	v_cmp_lt_u32_e64 s[26:27], 63, v0
	v_pk_mov_b32 v[36:37], 0, 0
	v_mov_b32_e32 v48, 0
	s_waitcnt lgkmcnt(0)
	s_barrier
	s_and_saveexec_b64 s[48:49], s[26:27]
	s_cbranch_execz .LBB386_78
; %bb.77:
	ds_read_b32 v48, v42 offset:528
	ds_read_b64 v[36:37], v42 offset:536
	v_cmp_eq_u32_e64 s[26:27], 0, v40
	s_waitcnt lgkmcnt(1)
	v_add_u32_e32 v42, v48, v40
	s_waitcnt lgkmcnt(0)
	v_cndmask_b32_e64 v43, 0, v36, s[26:27]
	v_cndmask_b32_e64 v40, 0, v37, s[26:27]
	v_add_co_u32_e64 v38, s[26:27], v43, v38
	v_addc_co_u32_e64 v39, s[26:27], v40, v39, s[26:27]
	v_mov_b32_e32 v40, v42
.LBB386_78:
	s_or_b64 exec, exec, s[48:49]
	v_add_u32_e32 v42, -1, v41
	v_and_b32_e32 v43, 64, v41
	v_cmp_lt_i32_e64 s[26:27], v42, v43
	v_cndmask_b32_e64 v42, v42, v41, s[26:27]
	v_lshlrev_b32_e32 v42, 2, v42
	ds_bpermute_b32 v49, v42, v40
	ds_bpermute_b32 v50, v42, v38
	;; [unrolled: 1-line block ×3, first 2 shown]
	v_cmp_eq_u32_e64 s[26:27], 0, v41
	s_and_saveexec_b64 s[48:49], vcc
	s_cbranch_execz .LBB386_125
; %bb.79:
	v_mov_b32_e32 v43, 0
	ds_read_b32 v52, v43 offset:592
	ds_read_b64 v[38:39], v43 offset:600
	s_and_saveexec_b64 s[56:57], s[26:27]
	s_cbranch_execz .LBB386_81
; %bb.80:
	s_add_i32 s58, s6, 64
	s_mov_b32 s59, 0
	s_lshl_b64 s[60:61], s[58:59], 4
	s_add_u32 s60, s36, s60
	s_addc_u32 s61, s37, s61
	v_mov_b32_e32 v40, s58
	v_mov_b32_e32 v42, 1
	s_waitcnt lgkmcnt(1)
	global_store_dword v43, v52, s[60:61]
	s_waitcnt lgkmcnt(0)
	global_store_dwordx2 v43, v[38:39], s[60:61] offset:8
	s_waitcnt vmcnt(0)
	buffer_wbinvl1_vol
	global_store_byte v40, v42, s[40:41]
.LBB386_81:
	s_or_b64 exec, exec, s[56:57]
	v_xad_u32 v40, v41, -1, s6
	v_add_u32_e32 v42, 64, v40
	global_load_ubyte v53, v42, s[40:41] glc
	s_waitcnt vmcnt(0)
	v_cmp_eq_u16_e32 vcc, 0, v53
	s_and_saveexec_b64 s[56:57], vcc
	s_cbranch_execz .LBB386_87
; %bb.82:
	v_mov_b32_e32 v45, s41
	v_add_co_u32_e32 v44, vcc, s40, v42
	v_addc_co_u32_e32 v45, vcc, 0, v45, vcc
	s_mov_b32 s7, 1
	s_mov_b64 s[58:59], 0
.LBB386_83:                             ; =>This Loop Header: Depth=1
                                        ;     Child Loop BB386_84 Depth 2
	s_max_u32 s60, s7, 1
.LBB386_84:                             ;   Parent Loop BB386_83 Depth=1
                                        ; =>  This Inner Loop Header: Depth=2
	s_add_i32 s60, s60, -1
	s_cmp_eq_u32 s60, 0
	s_sleep 1
	s_cbranch_scc0 .LBB386_84
; %bb.85:                               ;   in Loop: Header=BB386_83 Depth=1
	global_load_ubyte v53, v[44:45], off glc
	s_cmp_lt_u32 s7, 32
	s_cselect_b64 s[60:61], -1, 0
	s_cmp_lg_u64 s[60:61], 0
	s_addc_u32 s7, s7, 0
	s_waitcnt vmcnt(0)
	v_cmp_ne_u16_e32 vcc, 0, v53
	s_or_b64 s[58:59], vcc, s[58:59]
	s_andn2_b64 exec, exec, s[58:59]
	s_cbranch_execnz .LBB386_83
; %bb.86:
	s_or_b64 exec, exec, s[58:59]
.LBB386_87:
	s_or_b64 exec, exec, s[56:57]
	v_mov_b32_e32 v44, s39
	v_mov_b32_e32 v45, s37
	v_cmp_eq_u16_e32 vcc, 1, v53
	v_cndmask_b32_e32 v44, v44, v45, vcc
	v_mov_b32_e32 v45, s38
	v_mov_b32_e32 v46, s36
	v_cndmask_b32_e32 v45, v45, v46, vcc
	v_lshlrev_b64 v[42:43], 4, v[42:43]
	v_add_co_u32_e32 v42, vcc, v45, v42
	v_addc_co_u32_e32 v43, vcc, v44, v43, vcc
	s_waitcnt lgkmcnt(0)
	buffer_wbinvl1_vol
	global_load_dword v68, v[42:43], off
	global_load_dwordx2 v[46:47], v[42:43], off offset:8
	v_cmp_eq_u16_e32 vcc, 2, v53
	v_lshlrev_b64 v[42:43], v41, -1
	v_and_b32_e32 v54, 63, v41
	v_and_b32_e32 v44, vcc_hi, v43
	v_and_b32_e32 v58, vcc_lo, v42
	v_cmp_ne_u32_e32 vcc, 63, v54
	v_addc_co_u32_e32 v45, vcc, 0, v41, vcc
	v_lshlrev_b32_e32 v55, 2, v45
	v_or_b32_e32 v44, 0x80000000, v44
	v_ffbl_b32_e32 v44, v44
	v_add_u32_e32 v44, 32, v44
	v_ffbl_b32_e32 v58, v58
	v_min_u32_e32 v44, v58, v44
	v_cmp_lt_u32_e32 vcc, v54, v44
	s_waitcnt vmcnt(1)
	ds_bpermute_b32 v56, v55, v68
	s_waitcnt vmcnt(0)
	ds_bpermute_b32 v45, v55, v46
	ds_bpermute_b32 v57, v55, v47
	s_and_saveexec_b64 s[56:57], vcc
	s_cbranch_execz .LBB386_89
; %bb.88:
	v_cmp_eq_u32_e32 vcc, 0, v68
	s_waitcnt lgkmcnt(1)
	v_cndmask_b32_e32 v45, 0, v45, vcc
	v_add_u32_e32 v56, v56, v68
	s_waitcnt lgkmcnt(0)
	v_cndmask_b32_e32 v57, 0, v57, vcc
	v_add_co_u32_e32 v46, vcc, v45, v46
	v_addc_co_u32_e32 v47, vcc, v57, v47, vcc
	v_mov_b32_e32 v68, v56
.LBB386_89:
	s_or_b64 exec, exec, s[56:57]
	v_cmp_gt_u32_e32 vcc, 62, v54
	s_waitcnt lgkmcnt(1)
	v_cndmask_b32_e64 v45, 0, 1, vcc
	v_lshlrev_b32_e32 v45, 1, v45
	v_add_lshl_u32 v56, v45, v41, 2
	ds_bpermute_b32 v58, v56, v68
	ds_bpermute_b32 v45, v56, v46
	ds_bpermute_b32 v59, v56, v47
	s_waitcnt lgkmcnt(3)
	v_add_u32_e32 v57, 2, v54
	v_cmp_le_u32_e32 vcc, v57, v44
	s_and_saveexec_b64 s[56:57], vcc
	s_cbranch_execz .LBB386_91
; %bb.90:
	v_cmp_eq_u32_e32 vcc, 0, v68
	s_waitcnt lgkmcnt(1)
	v_cndmask_b32_e32 v45, 0, v45, vcc
	v_add_u32_e32 v58, v58, v68
	s_waitcnt lgkmcnt(0)
	v_cndmask_b32_e32 v59, 0, v59, vcc
	v_add_co_u32_e32 v46, vcc, v45, v46
	v_addc_co_u32_e32 v47, vcc, v59, v47, vcc
	v_mov_b32_e32 v68, v58
.LBB386_91:
	s_or_b64 exec, exec, s[56:57]
	v_cmp_gt_u32_e32 vcc, 60, v54
	s_waitcnt lgkmcnt(1)
	v_cndmask_b32_e64 v45, 0, 1, vcc
	v_lshlrev_b32_e32 v45, 2, v45
	v_add_lshl_u32 v58, v45, v41, 2
	ds_bpermute_b32 v60, v58, v68
	ds_bpermute_b32 v45, v58, v46
	ds_bpermute_b32 v61, v58, v47
	s_waitcnt lgkmcnt(3)
	v_add_u32_e32 v59, 4, v54
	v_cmp_le_u32_e32 vcc, v59, v44
	;; [unrolled: 25-line block ×4, first 2 shown]
	s_and_saveexec_b64 s[56:57], vcc
	s_cbranch_execz .LBB386_97
; %bb.96:
	v_cmp_eq_u32_e32 vcc, 0, v68
	s_waitcnt lgkmcnt(1)
	v_cndmask_b32_e32 v45, 0, v45, vcc
	v_add_u32_e32 v64, v64, v68
	s_waitcnt lgkmcnt(0)
	v_cndmask_b32_e32 v65, 0, v65, vcc
	v_add_co_u32_e32 v46, vcc, v45, v46
	v_addc_co_u32_e32 v47, vcc, v65, v47, vcc
	v_mov_b32_e32 v68, v64
.LBB386_97:
	s_or_b64 exec, exec, s[56:57]
	v_cmp_gt_u32_e32 vcc, 32, v54
	s_waitcnt lgkmcnt(1)
	v_cndmask_b32_e64 v45, 0, 1, vcc
	v_lshlrev_b32_e32 v45, 5, v45
	v_add_lshl_u32 v64, v45, v41, 2
	ds_bpermute_b32 v45, v64, v68
	ds_bpermute_b32 v41, v64, v46
	s_waitcnt lgkmcnt(2)
	ds_bpermute_b32 v65, v64, v47
	v_add_u32_e32 v66, 32, v54
	v_cmp_le_u32_e32 vcc, v66, v44
	s_and_saveexec_b64 s[56:57], vcc
	s_cbranch_execz .LBB386_99
; %bb.98:
	v_cmp_eq_u32_e32 vcc, 0, v68
	s_waitcnt lgkmcnt(1)
	v_cndmask_b32_e32 v41, 0, v41, vcc
	v_add_u32_e32 v44, v45, v68
	s_waitcnt lgkmcnt(0)
	v_cndmask_b32_e32 v45, 0, v65, vcc
	v_add_co_u32_e32 v46, vcc, v41, v46
	v_addc_co_u32_e32 v47, vcc, v45, v47, vcc
	v_mov_b32_e32 v68, v44
.LBB386_99:
	s_or_b64 exec, exec, s[56:57]
	s_waitcnt lgkmcnt(1)
	v_mov_b32_e32 v41, 0
	v_mov_b32_e32 v67, 2
	s_branch .LBB386_101
.LBB386_100:                            ;   in Loop: Header=BB386_101 Depth=1
	s_or_b64 exec, exec, s[56:57]
	v_cmp_eq_u32_e32 vcc, 0, v65
	v_cndmask_b32_e32 v46, 0, v46, vcc
	v_cndmask_b32_e32 v47, 0, v47, vcc
	v_add_co_u32_e32 v46, vcc, v46, v44
	v_subrev_u32_e32 v40, 64, v40
	v_add_u32_e32 v68, v69, v65
	v_addc_co_u32_e32 v47, vcc, v47, v45, vcc
.LBB386_101:                            ; =>This Loop Header: Depth=1
                                        ;     Child Loop BB386_104 Depth 2
                                        ;       Child Loop BB386_105 Depth 3
	v_cmp_ne_u16_sdwa s[56:57], v53, v67 src0_sel:BYTE_0 src1_sel:DWORD
	v_pk_mov_b32 v[44:45], v[46:47], v[46:47] op_sel:[0,1]
	v_cndmask_b32_e64 v46, 0, 1, s[56:57]
	;;#ASMSTART
	;;#ASMEND
	v_cmp_ne_u32_e32 vcc, 0, v46
	s_cmp_lg_u64 vcc, exec
	s_waitcnt lgkmcnt(0)
	v_mov_b32_e32 v65, v68
	s_cbranch_scc1 .LBB386_120
; %bb.102:                              ;   in Loop: Header=BB386_101 Depth=1
	global_load_ubyte v53, v40, s[40:41] glc
	s_waitcnt vmcnt(0)
	v_cmp_eq_u16_e32 vcc, 0, v53
	s_and_saveexec_b64 s[56:57], vcc
	s_cbranch_execz .LBB386_108
; %bb.103:                              ;   in Loop: Header=BB386_101 Depth=1
	v_mov_b32_e32 v47, s41
	v_add_co_u32_e32 v46, vcc, s40, v40
	v_addc_co_u32_e32 v47, vcc, 0, v47, vcc
	s_mov_b32 s7, 1
	s_mov_b64 s[58:59], 0
.LBB386_104:                            ;   Parent Loop BB386_101 Depth=1
                                        ; =>  This Loop Header: Depth=2
                                        ;       Child Loop BB386_105 Depth 3
	s_max_u32 s60, s7, 1
.LBB386_105:                            ;   Parent Loop BB386_101 Depth=1
                                        ;     Parent Loop BB386_104 Depth=2
                                        ; =>    This Inner Loop Header: Depth=3
	s_add_i32 s60, s60, -1
	s_cmp_eq_u32 s60, 0
	s_sleep 1
	s_cbranch_scc0 .LBB386_105
; %bb.106:                              ;   in Loop: Header=BB386_104 Depth=2
	global_load_ubyte v53, v[46:47], off glc
	s_cmp_lt_u32 s7, 32
	s_cselect_b64 s[60:61], -1, 0
	s_cmp_lg_u64 s[60:61], 0
	s_addc_u32 s7, s7, 0
	s_waitcnt vmcnt(0)
	v_cmp_ne_u16_e32 vcc, 0, v53
	s_or_b64 s[58:59], vcc, s[58:59]
	s_andn2_b64 exec, exec, s[58:59]
	s_cbranch_execnz .LBB386_104
; %bb.107:                              ;   in Loop: Header=BB386_101 Depth=1
	s_or_b64 exec, exec, s[58:59]
.LBB386_108:                            ;   in Loop: Header=BB386_101 Depth=1
	s_or_b64 exec, exec, s[56:57]
	v_mov_b32_e32 v46, s39
	v_mov_b32_e32 v47, s37
	v_cmp_eq_u16_e32 vcc, 1, v53
	v_cndmask_b32_e32 v68, v46, v47, vcc
	v_mov_b32_e32 v46, s38
	v_mov_b32_e32 v47, s36
	v_cndmask_b32_e32 v69, v46, v47, vcc
	v_lshlrev_b64 v[46:47], 4, v[40:41]
	v_add_co_u32_e32 v46, vcc, v69, v46
	v_addc_co_u32_e32 v47, vcc, v68, v47, vcc
	buffer_wbinvl1_vol
	global_load_dword v69, v[46:47], off
	s_nop 0
	global_load_dwordx2 v[46:47], v[46:47], off offset:8
	v_cmp_eq_u16_e32 vcc, 2, v53
	v_and_b32_e32 v68, vcc_hi, v43
	v_or_b32_e32 v68, 0x80000000, v68
	v_and_b32_e32 v100, vcc_lo, v42
	v_ffbl_b32_e32 v68, v68
	v_add_u32_e32 v68, 32, v68
	v_ffbl_b32_e32 v100, v100
	v_min_u32_e32 v68, v100, v68
	v_cmp_lt_u32_e32 vcc, v54, v68
	s_waitcnt vmcnt(1)
	ds_bpermute_b32 v71, v55, v69
	s_waitcnt vmcnt(0)
	ds_bpermute_b32 v70, v55, v46
	ds_bpermute_b32 v97, v55, v47
	s_and_saveexec_b64 s[56:57], vcc
	s_cbranch_execz .LBB386_110
; %bb.109:                              ;   in Loop: Header=BB386_101 Depth=1
	v_cmp_eq_u32_e32 vcc, 0, v69
	s_waitcnt lgkmcnt(1)
	v_cndmask_b32_e32 v70, 0, v70, vcc
	v_add_u32_e32 v71, v71, v69
	s_waitcnt lgkmcnt(0)
	v_cndmask_b32_e32 v69, 0, v97, vcc
	v_add_co_u32_e32 v46, vcc, v70, v46
	v_addc_co_u32_e32 v47, vcc, v69, v47, vcc
	v_mov_b32_e32 v69, v71
.LBB386_110:                            ;   in Loop: Header=BB386_101 Depth=1
	s_or_b64 exec, exec, s[56:57]
	s_waitcnt lgkmcnt(2)
	ds_bpermute_b32 v71, v56, v69
	s_waitcnt lgkmcnt(2)
	ds_bpermute_b32 v70, v56, v46
	s_waitcnt lgkmcnt(2)
	ds_bpermute_b32 v97, v56, v47
	v_cmp_le_u32_e32 vcc, v57, v68
	s_and_saveexec_b64 s[56:57], vcc
	s_cbranch_execz .LBB386_112
; %bb.111:                              ;   in Loop: Header=BB386_101 Depth=1
	v_cmp_eq_u32_e32 vcc, 0, v69
	s_waitcnt lgkmcnt(1)
	v_cndmask_b32_e32 v70, 0, v70, vcc
	v_add_u32_e32 v71, v71, v69
	s_waitcnt lgkmcnt(0)
	v_cndmask_b32_e32 v69, 0, v97, vcc
	v_add_co_u32_e32 v46, vcc, v70, v46
	v_addc_co_u32_e32 v47, vcc, v69, v47, vcc
	v_mov_b32_e32 v69, v71
.LBB386_112:                            ;   in Loop: Header=BB386_101 Depth=1
	s_or_b64 exec, exec, s[56:57]
	s_waitcnt lgkmcnt(2)
	ds_bpermute_b32 v71, v58, v69
	s_waitcnt lgkmcnt(2)
	ds_bpermute_b32 v70, v58, v46
	s_waitcnt lgkmcnt(2)
	ds_bpermute_b32 v97, v58, v47
	v_cmp_le_u32_e32 vcc, v59, v68
	;; [unrolled: 21-line block ×5, first 2 shown]
	s_and_saveexec_b64 s[56:57], vcc
	s_cbranch_execz .LBB386_100
; %bb.119:                              ;   in Loop: Header=BB386_101 Depth=1
	v_cmp_eq_u32_e32 vcc, 0, v69
	s_waitcnt lgkmcnt(1)
	v_cndmask_b32_e32 v70, 0, v70, vcc
	v_add_u32_e32 v68, v71, v69
	s_waitcnt lgkmcnt(0)
	v_cndmask_b32_e32 v69, 0, v97, vcc
	v_add_co_u32_e32 v46, vcc, v70, v46
	v_addc_co_u32_e32 v47, vcc, v69, v47, vcc
	v_mov_b32_e32 v69, v68
	s_branch .LBB386_100
.LBB386_120:                            ;   in Loop: Header=BB386_101 Depth=1
                                        ; implicit-def: $vgpr46_vgpr47
                                        ; implicit-def: $vgpr68
                                        ; implicit-def: $vgpr53
	s_cbranch_execz .LBB386_101
; %bb.121:
	s_and_saveexec_b64 s[36:37], s[26:27]
	s_cbranch_execz .LBB386_123
; %bb.122:
	s_mov_b32 s7, 0
	v_cmp_eq_u32_e32 vcc, 0, v52
	s_add_i32 s6, s6, 64
	v_cndmask_b32_e32 v40, 0, v44, vcc
	s_lshl_b64 s[56:57], s[6:7], 4
	v_cndmask_b32_e32 v41, 0, v45, vcc
	v_add_co_u32_e32 v40, vcc, v40, v38
	s_add_u32 s56, s38, s56
	v_add_u32_e32 v42, v65, v52
	v_addc_co_u32_e32 v41, vcc, v41, v39, vcc
	s_addc_u32 s57, s39, s57
	v_mov_b32_e32 v43, 0
	global_store_dword v43, v42, s[56:57]
	global_store_dwordx2 v43, v[40:41], s[56:57] offset:8
	v_mov_b32_e32 v40, s6
	v_mov_b32_e32 v41, 2
	s_waitcnt vmcnt(0) lgkmcnt(0)
	buffer_wbinvl1_vol
	global_store_byte v40, v41, s[40:41]
	ds_write_b32 v43, v52 offset:512
	ds_write_b64 v43, v[38:39] offset:520
	ds_write_b32 v43, v65 offset:528
	ds_write_b64 v43, v[44:45] offset:536
.LBB386_123:
	s_or_b64 exec, exec, s[36:37]
	v_cmp_eq_u32_e32 vcc, 0, v0
	s_and_b64 exec, exec, vcc
	s_cbranch_execz .LBB386_125
; %bb.124:
	v_mov_b32_e32 v38, 0
	ds_write_b32 v38, v65 offset:592
	ds_write_b64 v38, v[44:45] offset:600
.LBB386_125:
	s_or_b64 exec, exec, s[48:49]
	v_mov_b32_e32 v41, 0
	s_waitcnt lgkmcnt(0)
	s_barrier
	ds_read_b32 v40, v41 offset:592
	ds_read_b64 v[38:39], v41 offset:600
	v_cndmask_b32_e64 v42, v49, v48, s[26:27]
	v_cmp_eq_u32_e32 vcc, 0, v42
	v_cndmask_b32_e64 v36, v50, v36, s[26:27]
	v_cndmask_b32_e64 v37, v51, v37, s[26:27]
	s_waitcnt lgkmcnt(0)
	v_cndmask_b32_e32 v44, 0, v38, vcc
	v_cndmask_b32_e32 v43, 0, v39, vcc
	v_add_co_u32_e32 v36, vcc, v44, v36
	v_addc_co_u32_e32 v37, vcc, v43, v37, vcc
	v_cmp_eq_u32_e32 vcc, 0, v0
	v_cndmask_b32_e64 v42, v42, 0, vcc
	v_cndmask_b32_e32 v67, v37, v39, vcc
	v_cndmask_b32_e32 v66, v36, v38, vcc
	v_cmp_eq_u32_e32 vcc, 0, v96
	v_cndmask_b32_e32 v37, 0, v66, vcc
	v_add_u32_e32 v97, v40, v42
	v_cndmask_b32_e32 v36, 0, v67, vcc
	v_add_co_u32_e32 v42, vcc, v37, v32
	v_addc_co_u32_e32 v43, vcc, v36, v33, vcc
	v_cndmask_b32_e64 v37, 0, v42, s[24:25]
	v_cndmask_b32_e64 v36, 0, v43, s[24:25]
	v_add_co_u32_e32 v44, vcc, v37, v30
	v_addc_co_u32_e32 v45, vcc, v36, v31, vcc
	v_cndmask_b32_e64 v37, 0, v44, s[22:23]
	v_cndmask_b32_e64 v36, 0, v45, s[22:23]
	;; [unrolled: 4-line block ×11, first 2 shown]
	v_add_co_u32_e32 v64, vcc, v37, v8
	v_addc_co_u32_e32 v65, vcc, v36, v9, vcc
	s_barrier
	ds_read_b32 v36, v41 offset:512
	ds_read_b64 v[38:39], v41 offset:520
	ds_read_b32 v40, v41 offset:528
	ds_read_b64 v[100:101], v41 offset:536
	v_cndmask_b32_e64 v68, 0, v64, s[2:3]
	v_cndmask_b32_e64 v37, 0, v65, s[2:3]
	v_add_co_u32_e32 v68, vcc, v68, v6
	v_addc_co_u32_e32 v69, vcc, v37, v7, vcc
	s_waitcnt lgkmcnt(3)
	v_cmp_eq_u32_e32 vcc, 0, v36
	s_waitcnt lgkmcnt(0)
	v_cndmask_b32_e32 v41, 0, v100, vcc
	v_cndmask_b32_e32 v37, 0, v101, vcc
	v_add_co_u32_e32 v38, vcc, v41, v38
	v_cndmask_b32_e64 v71, 0, v69, s[0:1]
	v_cndmask_b32_e64 v70, 0, v68, s[0:1]
	v_addc_co_u32_e32 v39, vcc, v37, v39, vcc
	s_branch .LBB386_154
.LBB386_126:
                                        ; implicit-def: $vgpr36
                                        ; implicit-def: $vgpr38_vgpr39
                                        ; implicit-def: $vgpr40
                                        ; implicit-def: $vgpr66_vgpr67
                                        ; implicit-def: $vgpr42_vgpr43
                                        ; implicit-def: $vgpr44_vgpr45
                                        ; implicit-def: $vgpr46_vgpr47
                                        ; implicit-def: $vgpr48_vgpr49
                                        ; implicit-def: $vgpr50_vgpr51
                                        ; implicit-def: $vgpr52_vgpr53
                                        ; implicit-def: $vgpr54_vgpr55
                                        ; implicit-def: $vgpr56_vgpr57
                                        ; implicit-def: $vgpr58_vgpr59
                                        ; implicit-def: $vgpr60_vgpr61
                                        ; implicit-def: $vgpr62_vgpr63
                                        ; implicit-def: $vgpr64_vgpr65
                                        ; implicit-def: $vgpr68_vgpr69
                                        ; implicit-def: $vgpr70_vgpr71
                                        ; implicit-def: $vgpr97
	s_cbranch_execz .LBB386_154
; %bb.127:
	s_and_b64 s[0:1], s[42:43], exec
	s_cselect_b32 s1, 0, s31
	s_cselect_b32 s0, 0, s30
	s_cmp_eq_u64 s[0:1], 0
	v_pk_mov_b32 v[40:41], v[32:33], v[32:33] op_sel:[0,1]
	s_cbranch_scc1 .LBB386_129
; %bb.128:
	v_mov_b32_e32 v36, 0
	global_load_dwordx2 v[40:41], v36, s[0:1]
.LBB386_129:
	v_cmp_eq_u32_e64 s[22:23], 0, v95
	v_cndmask_b32_e64 v37, 0, v32, s[22:23]
	v_cndmask_b32_e64 v36, 0, v33, s[22:23]
	v_add_co_u32_e32 v37, vcc, v37, v30
	v_cmp_eq_u32_e64 s[20:21], 0, v94
	v_addc_co_u32_e32 v36, vcc, v36, v31, vcc
	v_cndmask_b32_e64 v37, 0, v37, s[20:21]
	v_cndmask_b32_e64 v36, 0, v36, s[20:21]
	v_add_co_u32_e32 v37, vcc, v37, v28
	v_cmp_eq_u32_e64 s[18:19], 0, v93
	v_addc_co_u32_e32 v36, vcc, v36, v29, vcc
	;; [unrolled: 5-line block ×11, first 2 shown]
	v_cndmask_b32_e64 v37, 0, v37, s[2:3]
	v_cndmask_b32_e64 v36, 0, v36, s[2:3]
	v_add_co_u32_e32 v37, vcc, v37, v6
	v_addc_co_u32_e32 v36, vcc, v36, v7, vcc
	v_cmp_eq_u32_e32 vcc, 0, v74
	v_cndmask_b32_e32 v37, 0, v37, vcc
	v_add3_u32 v38, v99, v91, v89
	v_cndmask_b32_e32 v36, 0, v36, vcc
	v_add_co_u32_e64 v37, s[24:25], v37, v16
	v_add3_u32 v38, v38, v86, v84
	v_addc_co_u32_e64 v36, s[24:25], v36, v17, s[24:25]
	v_add3_u32 v38, v38, v82, v80
	v_cmp_eq_u32_e64 s[24:25], 0, v73
	v_add3_u32 v38, v38, v77, v75
	v_cndmask_b32_e64 v37, 0, v37, s[24:25]
	v_add3_u32 v39, v38, v74, v73
	v_cndmask_b32_e64 v36, 0, v36, s[24:25]
	v_add_co_u32_e64 v34, s[24:25], v37, v34
	v_mbcnt_hi_u32_b32 v38, -1, v98
	v_addc_co_u32_e64 v35, s[24:25], v36, v35, s[24:25]
	v_and_b32_e32 v36, 15, v38
	v_mov_b32_dpp v42, v39 row_shr:1 row_mask:0xf bank_mask:0xf
	v_mov_b32_dpp v37, v34 row_shr:1 row_mask:0xf bank_mask:0xf
	;; [unrolled: 1-line block ×3, first 2 shown]
	v_cmp_ne_u32_e64 s[24:25], 0, v36
	s_and_saveexec_b64 s[26:27], s[24:25]
; %bb.130:
	v_cmp_eq_u32_e64 s[24:25], 0, v39
	v_cndmask_b32_e64 v37, 0, v37, s[24:25]
	v_add_u32_e32 v42, v42, v39
	v_cndmask_b32_e64 v39, 0, v43, s[24:25]
	v_add_co_u32_e64 v34, s[24:25], v37, v34
	v_addc_co_u32_e64 v35, s[24:25], v39, v35, s[24:25]
	v_mov_b32_e32 v39, v42
; %bb.131:
	s_or_b64 exec, exec, s[26:27]
	s_nop 0
	v_mov_b32_dpp v42, v39 row_shr:2 row_mask:0xf bank_mask:0xf
	v_mov_b32_dpp v37, v34 row_shr:2 row_mask:0xf bank_mask:0xf
	v_mov_b32_dpp v43, v35 row_shr:2 row_mask:0xf bank_mask:0xf
	v_cmp_lt_u32_e64 s[24:25], 1, v36
	s_and_saveexec_b64 s[26:27], s[24:25]
; %bb.132:
	v_cmp_eq_u32_e64 s[24:25], 0, v39
	v_cndmask_b32_e64 v37, 0, v37, s[24:25]
	v_add_u32_e32 v42, v42, v39
	v_cndmask_b32_e64 v39, 0, v43, s[24:25]
	v_add_co_u32_e64 v34, s[24:25], v37, v34
	v_addc_co_u32_e64 v35, s[24:25], v39, v35, s[24:25]
	v_mov_b32_e32 v39, v42
; %bb.133:
	s_or_b64 exec, exec, s[26:27]
	s_nop 0
	v_mov_b32_dpp v42, v39 row_shr:4 row_mask:0xf bank_mask:0xf
	v_mov_b32_dpp v37, v34 row_shr:4 row_mask:0xf bank_mask:0xf
	v_mov_b32_dpp v43, v35 row_shr:4 row_mask:0xf bank_mask:0xf
	v_cmp_lt_u32_e64 s[24:25], 3, v36
	;; [unrolled: 16-line block ×3, first 2 shown]
	s_and_saveexec_b64 s[26:27], s[24:25]
; %bb.136:
	v_cmp_eq_u32_e64 s[24:25], 0, v39
	v_cndmask_b32_e64 v37, 0, v37, s[24:25]
	v_add_u32_e32 v36, v42, v39
	v_cndmask_b32_e64 v39, 0, v43, s[24:25]
	v_add_co_u32_e64 v34, s[24:25], v37, v34
	v_addc_co_u32_e64 v35, s[24:25], v39, v35, s[24:25]
	v_mov_b32_e32 v39, v36
; %bb.137:
	s_or_b64 exec, exec, s[26:27]
	v_and_b32_e32 v43, 16, v38
	v_mov_b32_dpp v37, v39 row_bcast:15 row_mask:0xf bank_mask:0xf
	v_mov_b32_dpp v36, v34 row_bcast:15 row_mask:0xf bank_mask:0xf
	;; [unrolled: 1-line block ×3, first 2 shown]
	v_cmp_ne_u32_e64 s[24:25], 0, v43
	s_and_saveexec_b64 s[26:27], s[24:25]
; %bb.138:
	v_cmp_eq_u32_e64 s[24:25], 0, v39
	v_cndmask_b32_e64 v36, 0, v36, s[24:25]
	v_add_u32_e32 v37, v37, v39
	v_cndmask_b32_e64 v39, 0, v42, s[24:25]
	v_add_co_u32_e64 v34, s[24:25], v36, v34
	v_addc_co_u32_e64 v35, s[24:25], v39, v35, s[24:25]
	v_mov_b32_e32 v39, v37
; %bb.139:
	s_or_b64 exec, exec, s[26:27]
	s_nop 0
	v_mov_b32_dpp v37, v39 row_bcast:31 row_mask:0xf bank_mask:0xf
	v_mov_b32_dpp v36, v34 row_bcast:31 row_mask:0xf bank_mask:0xf
	;; [unrolled: 1-line block ×3, first 2 shown]
	v_cmp_lt_u32_e64 s[24:25], 31, v38
	s_and_saveexec_b64 s[26:27], s[24:25]
; %bb.140:
	v_cmp_eq_u32_e64 s[24:25], 0, v39
	v_cndmask_b32_e64 v36, 0, v36, s[24:25]
	v_add_u32_e32 v37, v37, v39
	v_cndmask_b32_e64 v39, 0, v42, s[24:25]
	v_add_co_u32_e64 v34, s[24:25], v36, v34
	v_addc_co_u32_e64 v35, s[24:25], v39, v35, s[24:25]
	v_mov_b32_e32 v39, v37
; %bb.141:
	s_or_b64 exec, exec, s[26:27]
	v_or_b32_e32 v36, 63, v0
	v_lshrrev_b32_e32 v42, 6, v0
	v_cmp_eq_u32_e64 s[24:25], v36, v0
	s_and_saveexec_b64 s[26:27], s[24:25]
	s_cbranch_execz .LBB386_143
; %bb.142:
	v_lshlrev_b32_e32 v36, 4, v42
	ds_write_b32 v36, v39 offset:544
	ds_write_b64 v36, v[34:35] offset:552
.LBB386_143:
	s_or_b64 exec, exec, s[26:27]
	v_cmp_gt_u32_e64 s[24:25], 4, v0
	s_waitcnt lgkmcnt(0)
	s_barrier
	s_and_saveexec_b64 s[26:27], s[24:25]
	s_cbranch_execz .LBB386_149
; %bb.144:
	v_lshlrev_b32_e32 v43, 4, v0
	ds_read_b32 v44, v43 offset:544
	ds_read_b64 v[36:37], v43 offset:552
	v_and_b32_e32 v45, 3, v38
	v_cmp_ne_u32_e64 s[24:25], 0, v45
	s_waitcnt lgkmcnt(1)
	v_mov_b32_dpp v47, v44 row_shr:1 row_mask:0xf bank_mask:0xf
	s_waitcnt lgkmcnt(0)
	v_mov_b32_dpp v46, v36 row_shr:1 row_mask:0xf bank_mask:0xf
	v_mov_b32_dpp v48, v37 row_shr:1 row_mask:0xf bank_mask:0xf
	s_and_saveexec_b64 s[28:29], s[24:25]
; %bb.145:
	v_cmp_eq_u32_e64 s[24:25], 0, v44
	v_cndmask_b32_e64 v46, 0, v46, s[24:25]
	v_add_u32_e32 v47, v47, v44
	v_cndmask_b32_e64 v44, 0, v48, s[24:25]
	v_add_co_u32_e64 v36, s[24:25], v46, v36
	v_addc_co_u32_e64 v37, s[24:25], v44, v37, s[24:25]
	v_mov_b32_e32 v44, v47
; %bb.146:
	s_or_b64 exec, exec, s[28:29]
	s_nop 0
	v_mov_b32_dpp v47, v44 row_shr:2 row_mask:0xf bank_mask:0xf
	v_mov_b32_dpp v46, v36 row_shr:2 row_mask:0xf bank_mask:0xf
	;; [unrolled: 1-line block ×3, first 2 shown]
	v_cmp_lt_u32_e64 s[24:25], 1, v45
	s_and_saveexec_b64 s[28:29], s[24:25]
; %bb.147:
	v_cmp_eq_u32_e64 s[24:25], 0, v44
	v_cndmask_b32_e64 v46, 0, v46, s[24:25]
	v_add_u32_e32 v45, v47, v44
	v_cndmask_b32_e64 v44, 0, v48, s[24:25]
	v_add_co_u32_e64 v36, s[24:25], v46, v36
	v_addc_co_u32_e64 v37, s[24:25], v44, v37, s[24:25]
	v_mov_b32_e32 v44, v45
; %bb.148:
	s_or_b64 exec, exec, s[28:29]
	ds_write_b32 v43, v44 offset:544
	ds_write_b64 v43, v[36:37] offset:552
.LBB386_149:
	s_or_b64 exec, exec, s[26:27]
	v_cmp_lt_u32_e64 s[24:25], 63, v0
	v_mov_b32_e32 v98, 0
	v_mov_b32_e32 v43, 0
	s_waitcnt vmcnt(0)
	v_pk_mov_b32 v[36:37], v[40:41], v[40:41] op_sel:[0,1]
	s_waitcnt lgkmcnt(0)
	s_barrier
	s_and_saveexec_b64 s[26:27], s[24:25]
	s_cbranch_execz .LBB386_151
; %bb.150:
	v_lshlrev_b32_e32 v36, 4, v42
	ds_read_b32 v43, v36 offset:528
	ds_read_b64 v[36:37], v36 offset:536
	s_waitcnt lgkmcnt(1)
	v_cmp_eq_u32_e64 s[24:25], 0, v43
	v_cndmask_b32_e64 v44, 0, v40, s[24:25]
	v_cndmask_b32_e64 v42, 0, v41, s[24:25]
	s_waitcnt lgkmcnt(0)
	v_add_co_u32_e64 v36, s[24:25], v44, v36
	v_addc_co_u32_e64 v37, s[24:25], v42, v37, s[24:25]
.LBB386_151:
	s_or_b64 exec, exec, s[26:27]
	v_cmp_eq_u32_e64 s[24:25], 0, v39
	v_cndmask_b32_e64 v44, 0, v36, s[24:25]
	v_add_u32_e32 v42, v43, v39
	v_cndmask_b32_e64 v39, 0, v37, s[24:25]
	v_add_co_u32_e64 v34, s[24:25], v44, v34
	v_addc_co_u32_e64 v35, s[24:25], v39, v35, s[24:25]
	v_add_u32_e32 v39, -1, v38
	v_and_b32_e32 v44, 64, v38
	v_cmp_lt_i32_e64 s[24:25], v39, v44
	v_cndmask_b32_e64 v39, v39, v38, s[24:25]
	v_lshlrev_b32_e32 v39, 2, v39
	ds_bpermute_b32 v42, v39, v42
	ds_bpermute_b32 v35, v39, v35
	;; [unrolled: 1-line block ×3, first 2 shown]
	v_cmp_eq_u32_e64 s[24:25], 0, v38
	v_cmp_eq_u32_e64 s[26:27], 0, v96
	s_waitcnt lgkmcnt(2)
	v_cndmask_b32_e64 v97, v42, v43, s[24:25]
	s_waitcnt lgkmcnt(1)
	v_cndmask_b32_e64 v67, v35, v37, s[24:25]
	s_waitcnt lgkmcnt(0)
	v_cndmask_b32_e64 v66, v34, v36, s[24:25]
	v_cmp_eq_u32_e64 s[24:25], 0, v0
	v_cndmask_b32_e64 v34, v66, v40, s[24:25]
	v_cndmask_b32_e64 v35, v67, v41, s[24:25]
	;; [unrolled: 1-line block ×4, first 2 shown]
	v_add_co_u32_e64 v42, s[26:27], v34, v32
	v_addc_co_u32_e64 v43, s[26:27], v35, v33, s[26:27]
	v_cndmask_b32_e64 v33, 0, v42, s[22:23]
	v_cndmask_b32_e64 v32, 0, v43, s[22:23]
	v_add_co_u32_e64 v44, s[22:23], v33, v30
	v_addc_co_u32_e64 v45, s[22:23], v32, v31, s[22:23]
	v_cndmask_b32_e64 v31, 0, v44, s[20:21]
	v_cndmask_b32_e64 v30, 0, v45, s[20:21]
	;; [unrolled: 4-line block ×11, first 2 shown]
	v_add_co_u32_e64 v64, s[0:1], v11, v8
	v_addc_co_u32_e64 v65, s[0:1], v10, v9, s[0:1]
	v_cndmask_b32_e64 v9, 0, v64, s[2:3]
	ds_read_b32 v36, v98 offset:592
	v_cndmask_b32_e64 v8, 0, v65, s[2:3]
	v_add_co_u32_e64 v68, s[0:1], v9, v6
	v_addc_co_u32_e64 v69, s[0:1], v8, v7, s[0:1]
	ds_read_b64 v[6:7], v98 offset:600
	v_cndmask_b32_e32 v71, 0, v69, vcc
	v_cndmask_b32_e32 v70, 0, v68, vcc
	s_waitcnt lgkmcnt(1)
	v_cmp_eq_u32_e32 vcc, 0, v36
	v_cndmask_b32_e32 v9, 0, v40, vcc
	v_cndmask_b32_e32 v8, 0, v41, vcc
	s_waitcnt lgkmcnt(0)
	v_add_co_u32_e32 v38, vcc, v9, v6
	v_addc_co_u32_e32 v39, vcc, v8, v7, vcc
	s_and_saveexec_b64 s[0:1], s[24:25]
	s_cbranch_execz .LBB386_153
; %bb.152:
	v_mov_b32_e32 v97, 0
	v_mov_b32_e32 v6, 2
	v_pk_mov_b32 v[66:67], v[40:41], v[40:41] op_sel:[0,1]
	global_store_dword v97, v36, s[38:39] offset:1024
	global_store_dwordx2 v97, v[38:39], s[38:39] offset:1032
	s_waitcnt vmcnt(0)
	buffer_wbinvl1_vol
	global_store_byte v97, v6, s[40:41] offset:64
.LBB386_153:
	s_or_b64 exec, exec, s[0:1]
	v_mov_b32_e32 v40, 0
.LBB386_154:
	s_and_b64 s[0:1], s[42:43], exec
	s_cselect_b32 s1, 0, s51
	s_cselect_b32 s0, 0, s50
	s_cmp_eq_u64 s[0:1], 0
	v_pk_mov_b32 v[18:19], 0, 0
	s_barrier
	s_cbranch_scc1 .LBB386_156
; %bb.155:
	v_mov_b32_e32 v6, 0
	global_load_dwordx2 v[18:19], v6, s[0:1]
.LBB386_156:
	v_mov_b32_e32 v6, s53
	s_waitcnt vmcnt(0)
	v_add_co_u32_e32 v7, vcc, s52, v18
	v_addc_co_u32_e32 v6, vcc, v6, v19, vcc
	v_add_co_u32_e32 v20, vcc, v7, v40
	v_addc_co_u32_e32 v21, vcc, 0, v6, vcc
	v_cmp_eq_u32_e32 vcc, 0, v96
	v_cndmask_b32_e64 v6, 1, 2, vcc
	v_cmp_eq_u32_e32 vcc, 0, v95
	v_cndmask_b32_e64 v7, 1, 2, vcc
	v_cmp_eq_u32_e32 vcc, 0, v94
	v_and_b32_e32 v6, v7, v6
	v_cndmask_b32_e64 v7, 1, 2, vcc
	v_cmp_eq_u32_e32 vcc, 0, v93
	v_add_u32_e32 v35, v97, v96
	v_and_b32_e32 v6, v6, v7
	v_cndmask_b32_e64 v7, 1, 2, vcc
	v_cmp_eq_u32_e32 vcc, 0, v92
	v_add_u32_e32 v34, v35, v95
	;; [unrolled: 4-line block ×12, first 2 shown]
	v_and_b32_e32 v6, v6, v7
	v_cndmask_b32_e64 v7, 1, 2, vcc
	s_movk_i32 s30, 0x100
	v_add_u32_e32 v23, v24, v75
	v_and_b32_e32 v6, v6, v7
	v_cmp_gt_u32_e32 vcc, s30, v36
	v_add_u32_e32 v22, v23, v74
	v_mov_b32_e32 v41, 0
	v_cmp_ne_u32_e64 s[28:29], 0, v96
	v_cmp_ne_u32_e64 s[26:27], 0, v95
	;; [unrolled: 1-line block ×15, first 2 shown]
	s_mov_b64 s[36:37], -1
	v_cmp_gt_i16_e64 s[30:31], 2, v6
	s_cbranch_vccz .LBB386_163
; %bb.157:
	s_and_saveexec_b64 s[36:37], s[30:31]
	s_cbranch_execz .LBB386_162
; %bb.158:
	v_cmp_ne_u16_e32 vcc, 1, v6
	s_mov_b64 s[38:39], 0
	s_and_saveexec_b64 s[30:31], vcc
	s_xor_b64 s[30:31], exec, s[30:31]
	s_cbranch_execnz .LBB386_206
; %bb.159:
	s_andn2_saveexec_b64 s[30:31], s[30:31]
	s_cbranch_execnz .LBB386_222
.LBB386_160:
	s_or_b64 exec, exec, s[30:31]
	s_and_b64 exec, exec, s[38:39]
	s_cbranch_execz .LBB386_162
.LBB386_161:
	v_sub_u32_e32 v7, v22, v40
	v_readfirstlane_b32 s30, v20
	v_readfirstlane_b32 s31, v21
	s_nop 4
	global_store_byte v7, v1, s[30:31]
.LBB386_162:
	s_or_b64 exec, exec, s[36:37]
	s_mov_b64 s[36:37], 0
.LBB386_163:
	s_and_b64 vcc, exec, s[36:37]
	s_cbranch_vccz .LBB386_184
; %bb.164:
	v_cmp_gt_i16_e32 vcc, 2, v6
	s_and_saveexec_b64 s[30:31], vcc
	s_cbranch_execz .LBB386_169
; %bb.165:
	v_cmp_ne_u16_e32 vcc, 1, v6
	s_mov_b64 s[38:39], 0
	s_and_saveexec_b64 s[36:37], vcc
	s_xor_b64 s[36:37], exec, s[36:37]
	s_cbranch_execnz .LBB386_223
; %bb.166:
	s_andn2_saveexec_b64 s[0:1], s[36:37]
	s_cbranch_execnz .LBB386_239
.LBB386_167:
	s_or_b64 exec, exec, s[0:1]
	s_and_b64 exec, exec, s[38:39]
	s_cbranch_execz .LBB386_169
.LBB386_168:
	v_sub_u32_e32 v2, v22, v40
	ds_write_b8 v2, v1
.LBB386_169:
	s_or_b64 exec, exec, s[30:31]
	v_cmp_lt_u32_e32 vcc, v0, v36
	s_waitcnt lgkmcnt(0)
	s_barrier
	s_and_saveexec_b64 s[0:1], vcc
	s_cbranch_execz .LBB386_183
; %bb.170:
	v_xad_u32 v2, v0, -1, v36
	s_movk_i32 s2, 0x1700
	s_movk_i32 s4, 0x16ff
	v_cmp_gt_u32_e64 s[2:3], s2, v2
	v_cmp_lt_u32_e32 vcc, s4, v2
	v_mov_b32_e32 v1, v0
	s_and_saveexec_b64 s[4:5], vcc
	s_cbranch_execz .LBB386_180
; %bb.171:
	v_sub_u32_e32 v1, v0, v36
	v_or_b32_e32 v1, 0xff, v1
	v_cmp_ge_u32_e32 vcc, v1, v0
	s_mov_b64 s[8:9], -1
	v_mov_b32_e32 v1, v0
	s_and_saveexec_b64 s[6:7], vcc
	s_cbranch_execz .LBB386_179
; %bb.172:
	v_lshrrev_b32_e32 v37, 8, v2
	v_or_b32_e32 v7, 0x700, v0
	v_or_b32_e32 v6, 0x600, v0
	;; [unrolled: 1-line block ×7, first 2 shown]
	v_add_u32_e32 v72, -7, v37
	v_pk_mov_b32 v[14:15], v[6:7], v[6:7] op_sel:[0,1]
	v_cmp_lt_u32_e32 vcc, 7, v72
	v_mov_b32_e32 v79, 0
	v_pk_mov_b32 v[12:13], v[4:5], v[4:5] op_sel:[0,1]
	v_pk_mov_b32 v[10:11], v[2:3], v[2:3] op_sel:[0,1]
	;; [unrolled: 1-line block ×3, first 2 shown]
	s_and_saveexec_b64 s[8:9], vcc
	s_cbranch_execz .LBB386_176
; %bb.173:
	v_lshrrev_b32_e32 v8, 3, v72
	v_add_u32_e32 v8, 1, v8
	v_and_b32_e32 v76, 0x3ffffffe, v8
	v_pk_mov_b32 v[14:15], v[6:7], v[6:7] op_sel:[0,1]
	s_mov_b32 s12, 0
	s_mov_b64 s[10:11], 0
	v_mov_b32_e32 v78, v0
	v_pk_mov_b32 v[12:13], v[4:5], v[4:5] op_sel:[0,1]
	v_pk_mov_b32 v[10:11], v[2:3], v[2:3] op_sel:[0,1]
	;; [unrolled: 1-line block ×3, first 2 shown]
.LBB386_174:                            ; =>This Inner Loop Header: Depth=1
	v_add_co_u32_e32 v2, vcc, v20, v8
	v_addc_co_u32_e32 v3, vcc, 0, v21, vcc
	v_add_co_u32_e32 v4, vcc, v20, v9
	v_addc_co_u32_e32 v5, vcc, 0, v21, vcc
	;; [unrolled: 2-line block ×8, first 2 shown]
	v_add_u32_e32 v108, 0x800, v8
	v_add_co_u32_e32 v108, vcc, v20, v108
	v_add_u32_e32 v110, 0x800, v9
	v_addc_co_u32_e32 v109, vcc, 0, v21, vcc
	v_add_co_u32_e32 v110, vcc, v20, v110
	v_add_u32_e32 v112, 0x800, v10
	v_addc_co_u32_e32 v111, vcc, 0, v21, vcc
	;; [unrolled: 3-line block ×6, first 2 shown]
	v_add_co_u32_e32 v120, vcc, v20, v120
	ds_read_u8 v1, v78
	ds_read_u8 v81, v78 offset:256
	ds_read_u8 v83, v78 offset:512
	;; [unrolled: 1-line block ×7, first 2 shown]
	v_add_u32_e32 v79, 0x800, v15
	ds_read_u8 v125, v78 offset:2048
	ds_read_u8 v126, v78 offset:2304
	;; [unrolled: 1-line block ×8, first 2 shown]
	v_addc_co_u32_e32 v121, vcc, 0, v21, vcc
	v_add_co_u32_e32 v122, vcc, v20, v79
	v_add_u32_e32 v76, -2, v76
	v_addc_co_u32_e32 v123, vcc, 0, v21, vcc
	s_add_i32 s12, s12, 16
	v_cmp_eq_u32_e32 vcc, 0, v76
	v_add_u32_e32 v15, 0x1000, v15
	v_add_u32_e32 v14, 0x1000, v14
	;; [unrolled: 1-line block ×9, first 2 shown]
	v_mov_b32_e32 v79, s12
	s_or_b64 s[10:11], vcc, s[10:11]
	s_waitcnt lgkmcnt(14)
	global_store_byte v[2:3], v1, off
	global_store_byte v[4:5], v81, off
	s_waitcnt lgkmcnt(13)
	global_store_byte v[6:7], v83, off
	s_waitcnt lgkmcnt(12)
	;; [unrolled: 2-line block ×14, first 2 shown]
	global_store_byte v[122:123], v132, off
	s_andn2_b64 exec, exec, s[10:11]
	s_cbranch_execnz .LBB386_174
; %bb.175:
	s_or_b64 exec, exec, s[10:11]
.LBB386_176:
	s_or_b64 exec, exec, s[8:9]
	v_and_b32_e32 v1, 8, v72
	v_cmp_eq_u32_e32 vcc, 0, v1
	s_and_saveexec_b64 s[8:9], vcc
	s_cbranch_execz .LBB386_178
; %bb.177:
	v_add_co_u32_e32 v2, vcc, v20, v8
	v_addc_co_u32_e32 v3, vcc, 0, v21, vcc
	v_add_co_u32_e32 v4, vcc, v20, v9
	v_addc_co_u32_e32 v5, vcc, 0, v21, vcc
	;; [unrolled: 2-line block ×4, first 2 shown]
	v_add_co_u32_e32 v10, vcc, v20, v12
	v_lshl_or_b32 v1, v79, 8, v0
	v_addc_co_u32_e32 v11, vcc, 0, v21, vcc
	v_add_co_u32_e32 v12, vcc, v20, v13
	ds_read_u8 v72, v1
	ds_read_u8 v76, v1 offset:256
	ds_read_u8 v81, v1 offset:512
	;; [unrolled: 1-line block ×7, first 2 shown]
	v_addc_co_u32_e32 v13, vcc, 0, v21, vcc
	v_add_co_u32_e32 v78, vcc, v20, v14
	v_addc_co_u32_e32 v79, vcc, 0, v21, vcc
	v_add_co_u32_e32 v14, vcc, v20, v15
	v_addc_co_u32_e32 v15, vcc, 0, v21, vcc
	s_waitcnt lgkmcnt(7)
	global_store_byte v[2:3], v72, off
	s_waitcnt lgkmcnt(6)
	global_store_byte v[4:5], v76, off
	;; [unrolled: 2-line block ×8, first 2 shown]
.LBB386_178:
	s_or_b64 exec, exec, s[8:9]
	v_add_u32_e32 v2, 1, v37
	v_and_b32_e32 v3, 0x1fffff8, v2
	v_cmp_ne_u32_e32 vcc, v2, v3
	v_lshl_or_b32 v1, v3, 8, v0
	s_orn2_b64 s[8:9], vcc, exec
.LBB386_179:
	s_or_b64 exec, exec, s[6:7]
	s_andn2_b64 s[2:3], s[2:3], exec
	s_and_b64 s[6:7], s[8:9], exec
	s_or_b64 s[2:3], s[2:3], s[6:7]
.LBB386_180:
	s_or_b64 exec, exec, s[4:5]
	s_and_b64 exec, exec, s[2:3]
	s_cbranch_execz .LBB386_183
; %bb.181:
	s_mov_b64 s[2:3], 0
.LBB386_182:                            ; =>This Inner Loop Header: Depth=1
	ds_read_u8 v2, v1
	v_readfirstlane_b32 s4, v20
	v_readfirstlane_b32 s5, v21
	s_waitcnt lgkmcnt(0)
	s_nop 3
	global_store_byte v1, v2, s[4:5]
	v_add_u32_e32 v1, 0x100, v1
	v_cmp_ge_u32_e32 vcc, v1, v36
	s_or_b64 s[2:3], vcc, s[2:3]
	s_andn2_b64 exec, exec, s[2:3]
	s_cbranch_execnz .LBB386_182
.LBB386_183:
	s_or_b64 exec, exec, s[0:1]
.LBB386_184:
	v_add_co_u32_e32 v2, vcc, v70, v16
	s_cmpk_lg_i32 s33, 0xf00
	v_addc_co_u32_e32 v3, vcc, v71, v17, vcc
	s_cselect_b64 s[0:1], -1, 0
	v_cndmask_b32_e64 v8, 0, 1, s[46:47]
	s_and_b64 s[0:1], s[44:45], s[0:1]
	v_cmp_eq_u32_e32 vcc, 0, v0
	v_sub_u32_e32 v1, v36, v8
	v_cndmask_b32_e64 v4, 0, 1, s[0:1]
	s_and_b64 s[0:1], vcc, s[46:47]
	v_add_u32_e32 v1, v1, v4
	v_cndmask_b32_e64 v4, v96, 0, s[0:1]
	s_mul_hi_u32 s0, s33, 0x88888889
	s_lshr_b32 s0, s0, 3
	v_mad_i32_i24 v5, v0, -15, s33
	v_cmp_eq_u32_e32 vcc, s0, v0
	v_cmp_ne_u32_e64 s[0:1], 0, v5
	v_cndmask_b32_e64 v6, 1, v4, s[0:1]
	v_cmp_ne_u32_e64 s[0:1], 1, v5
	v_cndmask_b32_e64 v7, 1, v95, s[0:1]
	;; [unrolled: 2-line block ×15, first 2 shown]
	s_and_b64 vcc, s[44:45], vcc
	v_cndmask_b32_e32 v70, v73, v5, vcc
	v_cndmask_b32_e32 v72, v4, v6, vcc
	v_lshlrev_b64 v[4:5], 3, v[18:19]
	v_cndmask_b32_e32 v37, v74, v37, vcc
	v_cndmask_b32_e32 v21, v75, v21, vcc
	v_cndmask_b32_e32 v20, v77, v20, vcc
	v_cndmask_b32_e32 v17, v80, v17, vcc
	v_cndmask_b32_e32 v16, v82, v16, vcc
	v_cndmask_b32_e32 v15, v84, v15, vcc
	v_cndmask_b32_e32 v14, v86, v14, vcc
	v_cndmask_b32_e32 v13, v89, v13, vcc
	v_cndmask_b32_e32 v12, v91, v12, vcc
	v_cndmask_b32_e32 v11, v92, v11, vcc
	v_cndmask_b32_e32 v10, v93, v10, vcc
	v_cndmask_b32_e32 v9, v94, v9, vcc
	v_cndmask_b32_e32 v71, v95, v7, vcc
	v_mov_b32_e32 v6, s55
	v_add_co_u32_e32 v7, vcc, s54, v4
	v_addc_co_u32_e32 v6, vcc, v6, v5, vcc
	v_lshlrev_b64 v[4:5], 3, v[40:41]
	v_add_co_u32_e32 v4, vcc, v7, v4
	v_addc_co_u32_e32 v5, vcc, v6, v5, vcc
	v_lshlrev_b32_e32 v6, 3, v8
	v_add_co_u32_e32 v6, vcc, v6, v4
	v_addc_co_u32_e32 v7, vcc, 0, v5, vcc
	v_add_co_u32_e32 v6, vcc, -8, v6
	v_addc_co_u32_e32 v7, vcc, -1, v7, vcc
	v_cmp_eq_u32_e32 vcc, 0, v72
	v_cndmask_b32_e64 v41, 1, 2, vcc
	v_cmp_eq_u32_e32 vcc, 0, v71
	v_cmp_ne_u32_e64 s[26:27], 0, v71
	v_cndmask_b32_e64 v71, 1, 2, vcc
	v_cmp_eq_u32_e32 vcc, 0, v9
	v_and_b32_e32 v41, v71, v41
	v_cmp_ne_u32_e64 s[24:25], 0, v9
	v_cndmask_b32_e64 v9, 1, 2, vcc
	v_cmp_eq_u32_e32 vcc, 0, v10
	v_and_b32_e32 v9, v41, v9
	;; [unrolled: 4-line block ×3, first 2 shown]
	v_cndmask_b32_e64 v10, 1, 2, vcc
	v_cmp_eq_u32_e32 vcc, 0, v12
	v_and_b32_e32 v9, v9, v10
	v_cndmask_b32_e64 v10, 1, 2, vcc
	v_cmp_eq_u32_e32 vcc, 0, v13
	v_and_b32_e32 v9, v9, v10
	;; [unrolled: 3-line block ×10, first 2 shown]
	v_cndmask_b32_e64 v10, 1, 2, vcc
	s_movk_i32 s30, 0x100
	v_and_b32_e32 v9, v9, v10
	v_cmp_gt_u32_e32 vcc, s30, v1
	v_add_u32_e32 v8, v40, v8
	v_cmp_ne_u32_e64 s[28:29], 0, v72
	v_cmp_ne_u32_e64 s[20:21], 0, v11
	;; [unrolled: 1-line block ×12, first 2 shown]
	s_mov_b64 s[36:37], -1
	v_cmp_gt_i16_e64 s[30:31], 2, v9
	s_barrier
	s_cbranch_vccz .LBB386_191
; %bb.185:
	s_and_saveexec_b64 s[36:37], s[30:31]
	s_cbranch_execz .LBB386_190
; %bb.186:
	v_cmp_ne_u16_e32 vcc, 1, v9
	s_mov_b64 s[38:39], 0
	s_and_saveexec_b64 s[30:31], vcc
	s_xor_b64 s[30:31], exec, s[30:31]
	s_cbranch_execnz .LBB386_240
; %bb.187:
	s_andn2_saveexec_b64 s[30:31], s[30:31]
	s_cbranch_execnz .LBB386_256
.LBB386_188:
	s_or_b64 exec, exec, s[30:31]
	s_and_b64 exec, exec, s[38:39]
	s_cbranch_execz .LBB386_190
.LBB386_189:
	v_sub_u32_e32 v10, v22, v8
	v_mov_b32_e32 v11, 0
	v_lshlrev_b64 v[10:11], 3, v[10:11]
	v_add_co_u32_e32 v10, vcc, v6, v10
	v_addc_co_u32_e32 v11, vcc, v7, v11, vcc
	global_store_dwordx2 v[10:11], v[2:3], off
.LBB386_190:
	s_or_b64 exec, exec, s[36:37]
	s_mov_b64 s[36:37], 0
.LBB386_191:
	s_and_b64 vcc, exec, s[36:37]
	s_cbranch_vccz .LBB386_201
; %bb.192:
	v_cmp_gt_i16_e32 vcc, 2, v9
	s_and_saveexec_b64 s[30:31], vcc
	s_cbranch_execz .LBB386_197
; %bb.193:
	v_cmp_ne_u16_e32 vcc, 1, v9
	s_mov_b64 s[38:39], 0
	s_and_saveexec_b64 s[36:37], vcc
	s_xor_b64 s[36:37], exec, s[36:37]
	s_cbranch_execnz .LBB386_257
; %bb.194:
	s_andn2_saveexec_b64 s[0:1], s[36:37]
	s_cbranch_execnz .LBB386_273
.LBB386_195:
	s_or_b64 exec, exec, s[0:1]
	s_and_b64 exec, exec, s[38:39]
	s_cbranch_execz .LBB386_197
.LBB386_196:
	v_sub_u32_e32 v8, v22, v8
	v_lshlrev_b32_e32 v8, 3, v8
	ds_write_b64 v8, v[2:3]
.LBB386_197:
	s_or_b64 exec, exec, s[30:31]
	v_cmp_lt_u32_e32 vcc, v0, v1
	s_waitcnt lgkmcnt(0)
	s_barrier
	s_and_saveexec_b64 s[0:1], vcc
	s_cbranch_execz .LBB386_200
; %bb.198:
	v_lshlrev_b32_e32 v8, 3, v0
	s_mov_b64 s[2:3], 0
	v_mov_b32_e32 v3, 0
	v_mov_b32_e32 v2, v0
.LBB386_199:                            ; =>This Inner Loop Header: Depth=1
	v_lshlrev_b64 v[10:11], 3, v[2:3]
	ds_read_b64 v[12:13], v8
	v_add_co_u32_e32 v10, vcc, v6, v10
	v_add_u32_e32 v2, 0x100, v2
	v_addc_co_u32_e32 v11, vcc, v7, v11, vcc
	v_cmp_ge_u32_e32 vcc, v2, v1
	v_add_u32_e32 v8, 0x800, v8
	s_or_b64 s[2:3], vcc, s[2:3]
	s_waitcnt lgkmcnt(0)
	global_store_dwordx2 v[10:11], v[12:13], off
	s_andn2_b64 exec, exec, s[2:3]
	s_cbranch_execnz .LBB386_199
.LBB386_200:
	s_or_b64 exec, exec, s[0:1]
.LBB386_201:
	s_movk_i32 s0, 0xff
	v_cmp_eq_u32_e32 vcc, s0, v0
	s_and_b64 s[0:1], vcc, s[44:45]
	s_and_saveexec_b64 s[2:3], s[0:1]
	s_cbranch_execz .LBB386_204
; %bb.202:
	v_add_co_u32_e32 v0, vcc, v36, v40
	v_addc_co_u32_e64 v1, s[0:1], 0, 0, vcc
	v_add_co_u32_e32 v0, vcc, v0, v18
	v_mov_b32_e32 v37, 0
	v_addc_co_u32_e32 v1, vcc, v1, v19, vcc
	s_cmpk_lg_i32 s33, 0xf00
	global_store_dwordx2 v37, v[0:1], s[34:35]
	s_cbranch_scc1 .LBB386_204
; %bb.203:
	v_lshlrev_b64 v[0:1], 3, v[36:37]
	v_add_co_u32_e32 v0, vcc, v4, v0
	v_addc_co_u32_e32 v1, vcc, v5, v1, vcc
	global_store_dwordx2 v[0:1], v[38:39], off offset:-8
.LBB386_204:
	s_endpgm
.LBB386_205:
	s_or_b64 exec, exec, s[0:1]
	v_mov_b32_e32 v96, s7
	s_and_saveexec_b64 s[0:1], s[4:5]
	s_cbranch_execnz .LBB386_54
	s_branch .LBB386_55
.LBB386_206:
	s_and_saveexec_b64 s[38:39], s[28:29]
	s_cbranch_execnz .LBB386_274
; %bb.207:
	s_or_b64 exec, exec, s[38:39]
	s_and_saveexec_b64 s[38:39], s[26:27]
	s_cbranch_execnz .LBB386_275
.LBB386_208:
	s_or_b64 exec, exec, s[38:39]
	s_and_saveexec_b64 s[38:39], s[24:25]
	s_cbranch_execnz .LBB386_276
.LBB386_209:
	s_or_b64 exec, exec, s[38:39]
	s_and_saveexec_b64 s[38:39], s[22:23]
	s_cbranch_execnz .LBB386_277
.LBB386_210:
	s_or_b64 exec, exec, s[38:39]
	s_and_saveexec_b64 s[38:39], s[20:21]
	s_cbranch_execnz .LBB386_278
.LBB386_211:
	s_or_b64 exec, exec, s[38:39]
	s_and_saveexec_b64 s[38:39], s[18:19]
	s_cbranch_execnz .LBB386_279
.LBB386_212:
	s_or_b64 exec, exec, s[38:39]
	s_and_saveexec_b64 s[38:39], s[16:17]
	s_cbranch_execnz .LBB386_280
.LBB386_213:
	s_or_b64 exec, exec, s[38:39]
	s_and_saveexec_b64 s[38:39], s[14:15]
	s_cbranch_execnz .LBB386_281
.LBB386_214:
	s_or_b64 exec, exec, s[38:39]
	s_and_saveexec_b64 s[38:39], s[12:13]
	s_cbranch_execnz .LBB386_282
.LBB386_215:
	s_or_b64 exec, exec, s[38:39]
	s_and_saveexec_b64 s[38:39], s[10:11]
	s_cbranch_execnz .LBB386_283
.LBB386_216:
	s_or_b64 exec, exec, s[38:39]
	s_and_saveexec_b64 s[38:39], s[8:9]
	s_cbranch_execnz .LBB386_284
.LBB386_217:
	s_or_b64 exec, exec, s[38:39]
	s_and_saveexec_b64 s[38:39], s[6:7]
	s_cbranch_execnz .LBB386_285
.LBB386_218:
	s_or_b64 exec, exec, s[38:39]
	s_and_saveexec_b64 s[38:39], s[4:5]
	s_cbranch_execnz .LBB386_286
.LBB386_219:
	s_or_b64 exec, exec, s[38:39]
	s_and_saveexec_b64 s[38:39], s[2:3]
	s_cbranch_execz .LBB386_221
.LBB386_220:
	v_sub_u32_e32 v7, v23, v40
	v_readfirstlane_b32 s40, v20
	v_readfirstlane_b32 s41, v21
	s_nop 4
	global_store_byte v7, v5, s[40:41]
.LBB386_221:
	s_or_b64 exec, exec, s[38:39]
	s_and_b64 s[38:39], s[0:1], exec
	s_andn2_saveexec_b64 s[30:31], s[30:31]
	s_cbranch_execz .LBB386_160
.LBB386_222:
	v_sub_u32_e32 v7, v97, v40
	v_readfirstlane_b32 s40, v20
	v_readfirstlane_b32 s41, v21
	s_or_b64 s[38:39], s[38:39], exec
	s_nop 3
	global_store_byte v7, v2, s[40:41]
	v_sub_u32_e32 v7, v35, v40
	global_store_byte v7, v90, s[40:41]
	v_sub_u32_e32 v7, v34, v40
	;; [unrolled: 2-line block ×13, first 2 shown]
	global_store_byte v7, v5, s[40:41]
	s_or_b64 exec, exec, s[30:31]
	s_and_b64 exec, exec, s[38:39]
	s_cbranch_execnz .LBB386_161
	s_branch .LBB386_162
.LBB386_223:
	s_and_saveexec_b64 s[38:39], s[28:29]
	s_cbranch_execnz .LBB386_287
; %bb.224:
	s_or_b64 exec, exec, s[38:39]
	s_and_saveexec_b64 s[28:29], s[26:27]
	s_cbranch_execnz .LBB386_288
.LBB386_225:
	s_or_b64 exec, exec, s[28:29]
	s_and_saveexec_b64 s[26:27], s[24:25]
	s_cbranch_execnz .LBB386_289
.LBB386_226:
	s_or_b64 exec, exec, s[26:27]
	s_and_saveexec_b64 s[24:25], s[22:23]
	s_cbranch_execnz .LBB386_290
.LBB386_227:
	s_or_b64 exec, exec, s[24:25]
	s_and_saveexec_b64 s[22:23], s[20:21]
	s_cbranch_execnz .LBB386_291
.LBB386_228:
	s_or_b64 exec, exec, s[22:23]
	s_and_saveexec_b64 s[20:21], s[18:19]
	s_cbranch_execnz .LBB386_292
.LBB386_229:
	s_or_b64 exec, exec, s[20:21]
	s_and_saveexec_b64 s[18:19], s[16:17]
	s_cbranch_execnz .LBB386_293
.LBB386_230:
	s_or_b64 exec, exec, s[18:19]
	s_and_saveexec_b64 s[16:17], s[14:15]
	s_cbranch_execnz .LBB386_294
.LBB386_231:
	s_or_b64 exec, exec, s[16:17]
	s_and_saveexec_b64 s[14:15], s[12:13]
	s_cbranch_execnz .LBB386_295
.LBB386_232:
	s_or_b64 exec, exec, s[14:15]
	s_and_saveexec_b64 s[12:13], s[10:11]
	s_cbranch_execnz .LBB386_296
.LBB386_233:
	s_or_b64 exec, exec, s[12:13]
	s_and_saveexec_b64 s[10:11], s[8:9]
	s_cbranch_execnz .LBB386_297
.LBB386_234:
	s_or_b64 exec, exec, s[10:11]
	s_and_saveexec_b64 s[8:9], s[6:7]
	s_cbranch_execnz .LBB386_298
.LBB386_235:
	s_or_b64 exec, exec, s[8:9]
	s_and_saveexec_b64 s[6:7], s[4:5]
	s_cbranch_execnz .LBB386_299
.LBB386_236:
	s_or_b64 exec, exec, s[6:7]
	s_and_saveexec_b64 s[4:5], s[2:3]
	s_cbranch_execz .LBB386_238
.LBB386_237:
	v_sub_u32_e32 v2, v23, v40
	ds_write_b8 v2, v5
.LBB386_238:
	s_or_b64 exec, exec, s[4:5]
	s_and_b64 s[38:39], s[0:1], exec
                                        ; implicit-def: $vgpr2
                                        ; implicit-def: $vgpr90
                                        ; implicit-def: $vgpr88
                                        ; implicit-def: $vgpr87
                                        ; implicit-def: $vgpr85
                                        ; implicit-def: $vgpr83
                                        ; implicit-def: $vgpr81
                                        ; implicit-def: $vgpr79
                                        ; implicit-def: $vgpr78
                                        ; implicit-def: $vgpr76
                                        ; implicit-def: $vgpr72
                                        ; implicit-def: $vgpr5
	s_andn2_saveexec_b64 s[0:1], s[36:37]
	s_cbranch_execz .LBB386_167
.LBB386_239:
	v_sub_u32_e32 v6, v97, v40
	ds_write_b8 v6, v2
	v_sub_u32_e32 v2, v35, v40
	ds_write_b8 v2, v90
	;; [unrolled: 2-line block ×13, first 2 shown]
	v_sub_u32_e32 v2, v23, v40
	s_or_b64 s[38:39], s[38:39], exec
	ds_write_b8 v2, v5
	s_or_b64 exec, exec, s[0:1]
	s_and_b64 exec, exec, s[38:39]
	s_cbranch_execnz .LBB386_168
	s_branch .LBB386_169
.LBB386_240:
	s_and_saveexec_b64 s[38:39], s[28:29]
	s_cbranch_execnz .LBB386_300
; %bb.241:
	s_or_b64 exec, exec, s[38:39]
	s_and_saveexec_b64 s[38:39], s[26:27]
	s_cbranch_execnz .LBB386_301
.LBB386_242:
	s_or_b64 exec, exec, s[38:39]
	s_and_saveexec_b64 s[38:39], s[24:25]
	s_cbranch_execnz .LBB386_302
.LBB386_243:
	s_or_b64 exec, exec, s[38:39]
	s_and_saveexec_b64 s[38:39], s[22:23]
	s_cbranch_execnz .LBB386_303
.LBB386_244:
	s_or_b64 exec, exec, s[38:39]
	s_and_saveexec_b64 s[38:39], s[20:21]
	s_cbranch_execnz .LBB386_304
.LBB386_245:
	s_or_b64 exec, exec, s[38:39]
	s_and_saveexec_b64 s[38:39], s[18:19]
	s_cbranch_execnz .LBB386_305
.LBB386_246:
	s_or_b64 exec, exec, s[38:39]
	s_and_saveexec_b64 s[38:39], s[16:17]
	s_cbranch_execnz .LBB386_306
.LBB386_247:
	s_or_b64 exec, exec, s[38:39]
	s_and_saveexec_b64 s[38:39], s[14:15]
	s_cbranch_execnz .LBB386_307
.LBB386_248:
	s_or_b64 exec, exec, s[38:39]
	s_and_saveexec_b64 s[38:39], s[12:13]
	s_cbranch_execnz .LBB386_308
.LBB386_249:
	s_or_b64 exec, exec, s[38:39]
	s_and_saveexec_b64 s[38:39], s[10:11]
	s_cbranch_execnz .LBB386_309
.LBB386_250:
	s_or_b64 exec, exec, s[38:39]
	s_and_saveexec_b64 s[38:39], s[8:9]
	s_cbranch_execnz .LBB386_310
.LBB386_251:
	s_or_b64 exec, exec, s[38:39]
	s_and_saveexec_b64 s[38:39], s[6:7]
	s_cbranch_execnz .LBB386_311
.LBB386_252:
	s_or_b64 exec, exec, s[38:39]
	s_and_saveexec_b64 s[38:39], s[4:5]
	s_cbranch_execnz .LBB386_312
.LBB386_253:
	s_or_b64 exec, exec, s[38:39]
	s_and_saveexec_b64 s[38:39], s[2:3]
	s_cbranch_execz .LBB386_255
.LBB386_254:
	v_sub_u32_e32 v10, v23, v8
	v_mov_b32_e32 v11, 0
	v_lshlrev_b64 v[10:11], 3, v[10:11]
	v_add_co_u32_e32 v10, vcc, v6, v10
	v_addc_co_u32_e32 v11, vcc, v7, v11, vcc
	global_store_dwordx2 v[10:11], v[68:69], off
.LBB386_255:
	s_or_b64 exec, exec, s[38:39]
	s_and_b64 s[38:39], s[0:1], exec
	s_andn2_saveexec_b64 s[30:31], s[30:31]
	s_cbranch_execz .LBB386_188
.LBB386_256:
	v_sub_u32_e32 v10, v97, v8
	v_mov_b32_e32 v11, 0
	v_lshlrev_b64 v[12:13], 3, v[10:11]
	v_add_co_u32_e32 v12, vcc, v6, v12
	v_addc_co_u32_e32 v13, vcc, v7, v13, vcc
	v_sub_u32_e32 v10, v35, v8
	global_store_dwordx2 v[12:13], v[66:67], off
	v_lshlrev_b64 v[12:13], 3, v[10:11]
	v_add_co_u32_e32 v12, vcc, v6, v12
	v_addc_co_u32_e32 v13, vcc, v7, v13, vcc
	v_sub_u32_e32 v10, v34, v8
	global_store_dwordx2 v[12:13], v[42:43], off
	;; [unrolled: 5-line block ×12, first 2 shown]
	v_lshlrev_b64 v[12:13], 3, v[10:11]
	v_add_co_u32_e32 v12, vcc, v6, v12
	v_sub_u32_e32 v10, v23, v8
	v_addc_co_u32_e32 v13, vcc, v7, v13, vcc
	v_lshlrev_b64 v[10:11], 3, v[10:11]
	v_add_co_u32_e32 v10, vcc, v6, v10
	v_addc_co_u32_e32 v11, vcc, v7, v11, vcc
	s_or_b64 s[38:39], s[38:39], exec
	global_store_dwordx2 v[12:13], v[64:65], off
	global_store_dwordx2 v[10:11], v[68:69], off
	s_or_b64 exec, exec, s[30:31]
	s_and_b64 exec, exec, s[38:39]
	s_cbranch_execnz .LBB386_189
	s_branch .LBB386_190
.LBB386_257:
	s_and_saveexec_b64 s[38:39], s[28:29]
	s_cbranch_execnz .LBB386_313
; %bb.258:
	s_or_b64 exec, exec, s[38:39]
	s_and_saveexec_b64 s[28:29], s[26:27]
	s_cbranch_execnz .LBB386_314
.LBB386_259:
	s_or_b64 exec, exec, s[28:29]
	s_and_saveexec_b64 s[26:27], s[24:25]
	s_cbranch_execnz .LBB386_315
.LBB386_260:
	s_or_b64 exec, exec, s[26:27]
	s_and_saveexec_b64 s[24:25], s[22:23]
	s_cbranch_execnz .LBB386_316
.LBB386_261:
	s_or_b64 exec, exec, s[24:25]
	s_and_saveexec_b64 s[22:23], s[20:21]
	s_cbranch_execnz .LBB386_317
.LBB386_262:
	s_or_b64 exec, exec, s[22:23]
	s_and_saveexec_b64 s[20:21], s[18:19]
	s_cbranch_execnz .LBB386_318
.LBB386_263:
	s_or_b64 exec, exec, s[20:21]
	s_and_saveexec_b64 s[18:19], s[16:17]
	s_cbranch_execnz .LBB386_319
.LBB386_264:
	s_or_b64 exec, exec, s[18:19]
	s_and_saveexec_b64 s[16:17], s[14:15]
	s_cbranch_execnz .LBB386_320
.LBB386_265:
	s_or_b64 exec, exec, s[16:17]
	s_and_saveexec_b64 s[14:15], s[12:13]
	s_cbranch_execnz .LBB386_321
.LBB386_266:
	s_or_b64 exec, exec, s[14:15]
	s_and_saveexec_b64 s[12:13], s[10:11]
	s_cbranch_execnz .LBB386_322
.LBB386_267:
	s_or_b64 exec, exec, s[12:13]
	s_and_saveexec_b64 s[10:11], s[8:9]
	s_cbranch_execnz .LBB386_323
.LBB386_268:
	s_or_b64 exec, exec, s[10:11]
	s_and_saveexec_b64 s[8:9], s[6:7]
	s_cbranch_execnz .LBB386_324
.LBB386_269:
	s_or_b64 exec, exec, s[8:9]
	s_and_saveexec_b64 s[6:7], s[4:5]
	s_cbranch_execnz .LBB386_325
.LBB386_270:
	s_or_b64 exec, exec, s[6:7]
	s_and_saveexec_b64 s[4:5], s[2:3]
	s_cbranch_execz .LBB386_272
.LBB386_271:
	v_sub_u32_e32 v9, v23, v8
	v_lshlrev_b32_e32 v9, 3, v9
	ds_write_b64 v9, v[68:69]
.LBB386_272:
	s_or_b64 exec, exec, s[4:5]
	s_and_b64 s[38:39], s[0:1], exec
                                        ; implicit-def: $vgpr66_vgpr67
                                        ; implicit-def: $vgpr42_vgpr43
                                        ; implicit-def: $vgpr44_vgpr45
                                        ; implicit-def: $vgpr46_vgpr47
                                        ; implicit-def: $vgpr48_vgpr49
                                        ; implicit-def: $vgpr50_vgpr51
                                        ; implicit-def: $vgpr52_vgpr53
                                        ; implicit-def: $vgpr54_vgpr55
                                        ; implicit-def: $vgpr56_vgpr57
                                        ; implicit-def: $vgpr58_vgpr59
                                        ; implicit-def: $vgpr60_vgpr61
                                        ; implicit-def: $vgpr62_vgpr63
                                        ; implicit-def: $vgpr64_vgpr65
                                        ; implicit-def: $vgpr68_vgpr69
                                        ; implicit-def: $vgpr97
                                        ; implicit-def: $vgpr35
                                        ; implicit-def: $vgpr34
                                        ; implicit-def: $vgpr33
                                        ; implicit-def: $vgpr32
                                        ; implicit-def: $vgpr31
                                        ; implicit-def: $vgpr30
                                        ; implicit-def: $vgpr29
                                        ; implicit-def: $vgpr28
                                        ; implicit-def: $vgpr27
                                        ; implicit-def: $vgpr26
                                        ; implicit-def: $vgpr25
                                        ; implicit-def: $vgpr24
                                        ; implicit-def: $vgpr23
	s_andn2_saveexec_b64 s[0:1], s[36:37]
	s_cbranch_execz .LBB386_195
.LBB386_273:
	v_sub_u32_e32 v9, v97, v8
	v_lshlrev_b32_e32 v9, 3, v9
	ds_write_b64 v9, v[66:67]
	v_sub_u32_e32 v9, v35, v8
	v_lshlrev_b32_e32 v9, 3, v9
	ds_write_b64 v9, v[42:43]
	;; [unrolled: 3-line block ×13, first 2 shown]
	v_sub_u32_e32 v9, v23, v8
	v_lshlrev_b32_e32 v9, 3, v9
	s_or_b64 s[38:39], s[38:39], exec
	ds_write_b64 v9, v[68:69]
	s_or_b64 exec, exec, s[0:1]
	s_and_b64 exec, exec, s[38:39]
	s_cbranch_execnz .LBB386_196
	s_branch .LBB386_197
.LBB386_274:
	v_sub_u32_e32 v7, v97, v40
	v_readfirstlane_b32 s40, v20
	v_readfirstlane_b32 s41, v21
	s_nop 4
	global_store_byte v7, v2, s[40:41]
	s_or_b64 exec, exec, s[38:39]
	s_and_saveexec_b64 s[38:39], s[26:27]
	s_cbranch_execz .LBB386_208
.LBB386_275:
	v_sub_u32_e32 v7, v35, v40
	v_readfirstlane_b32 s40, v20
	v_readfirstlane_b32 s41, v21
	s_nop 4
	global_store_byte v7, v90, s[40:41]
	s_or_b64 exec, exec, s[38:39]
	s_and_saveexec_b64 s[38:39], s[24:25]
	s_cbranch_execz .LBB386_209
.LBB386_276:
	v_sub_u32_e32 v7, v34, v40
	v_readfirstlane_b32 s40, v20
	v_readfirstlane_b32 s41, v21
	s_nop 4
	global_store_byte v7, v88, s[40:41]
	s_or_b64 exec, exec, s[38:39]
	s_and_saveexec_b64 s[38:39], s[22:23]
	s_cbranch_execz .LBB386_210
.LBB386_277:
	v_sub_u32_e32 v7, v33, v40
	v_readfirstlane_b32 s40, v20
	v_readfirstlane_b32 s41, v21
	s_nop 4
	global_store_byte v7, v87, s[40:41]
	s_or_b64 exec, exec, s[38:39]
	s_and_saveexec_b64 s[38:39], s[20:21]
	s_cbranch_execz .LBB386_211
.LBB386_278:
	v_sub_u32_e32 v7, v32, v40
	v_readfirstlane_b32 s40, v20
	v_readfirstlane_b32 s41, v21
	s_nop 4
	global_store_byte v7, v3, s[40:41]
	s_or_b64 exec, exec, s[38:39]
	s_and_saveexec_b64 s[38:39], s[18:19]
	s_cbranch_execz .LBB386_212
.LBB386_279:
	v_sub_u32_e32 v7, v31, v40
	v_readfirstlane_b32 s40, v20
	v_readfirstlane_b32 s41, v21
	s_nop 4
	global_store_byte v7, v85, s[40:41]
	s_or_b64 exec, exec, s[38:39]
	s_and_saveexec_b64 s[38:39], s[16:17]
	s_cbranch_execz .LBB386_213
.LBB386_280:
	v_sub_u32_e32 v7, v30, v40
	v_readfirstlane_b32 s40, v20
	v_readfirstlane_b32 s41, v21
	s_nop 4
	global_store_byte v7, v83, s[40:41]
	s_or_b64 exec, exec, s[38:39]
	s_and_saveexec_b64 s[38:39], s[14:15]
	s_cbranch_execz .LBB386_214
.LBB386_281:
	v_sub_u32_e32 v7, v29, v40
	v_readfirstlane_b32 s40, v20
	v_readfirstlane_b32 s41, v21
	s_nop 4
	global_store_byte v7, v81, s[40:41]
	s_or_b64 exec, exec, s[38:39]
	s_and_saveexec_b64 s[38:39], s[12:13]
	s_cbranch_execz .LBB386_215
.LBB386_282:
	v_sub_u32_e32 v7, v28, v40
	v_readfirstlane_b32 s40, v20
	v_readfirstlane_b32 s41, v21
	s_nop 4
	global_store_byte v7, v4, s[40:41]
	s_or_b64 exec, exec, s[38:39]
	s_and_saveexec_b64 s[38:39], s[10:11]
	s_cbranch_execz .LBB386_216
.LBB386_283:
	v_sub_u32_e32 v7, v27, v40
	v_readfirstlane_b32 s40, v20
	v_readfirstlane_b32 s41, v21
	s_nop 4
	global_store_byte v7, v79, s[40:41]
	s_or_b64 exec, exec, s[38:39]
	s_and_saveexec_b64 s[38:39], s[8:9]
	s_cbranch_execz .LBB386_217
.LBB386_284:
	v_sub_u32_e32 v7, v26, v40
	v_readfirstlane_b32 s40, v20
	v_readfirstlane_b32 s41, v21
	s_nop 4
	global_store_byte v7, v78, s[40:41]
	s_or_b64 exec, exec, s[38:39]
	s_and_saveexec_b64 s[38:39], s[6:7]
	s_cbranch_execz .LBB386_218
.LBB386_285:
	v_sub_u32_e32 v7, v25, v40
	v_readfirstlane_b32 s40, v20
	v_readfirstlane_b32 s41, v21
	s_nop 4
	global_store_byte v7, v76, s[40:41]
	s_or_b64 exec, exec, s[38:39]
	s_and_saveexec_b64 s[38:39], s[4:5]
	s_cbranch_execz .LBB386_219
.LBB386_286:
	v_sub_u32_e32 v7, v24, v40
	v_readfirstlane_b32 s40, v20
	v_readfirstlane_b32 s41, v21
	s_nop 4
	global_store_byte v7, v72, s[40:41]
	s_or_b64 exec, exec, s[38:39]
	s_and_saveexec_b64 s[38:39], s[2:3]
	s_cbranch_execnz .LBB386_220
	s_branch .LBB386_221
.LBB386_287:
	v_sub_u32_e32 v6, v97, v40
	ds_write_b8 v6, v2
	s_or_b64 exec, exec, s[38:39]
	s_and_saveexec_b64 s[28:29], s[26:27]
	s_cbranch_execz .LBB386_225
.LBB386_288:
	v_sub_u32_e32 v2, v35, v40
	ds_write_b8 v2, v90
	s_or_b64 exec, exec, s[28:29]
	s_and_saveexec_b64 s[26:27], s[24:25]
	s_cbranch_execz .LBB386_226
.LBB386_289:
	v_sub_u32_e32 v2, v34, v40
	ds_write_b8 v2, v88
	s_or_b64 exec, exec, s[26:27]
	s_and_saveexec_b64 s[24:25], s[22:23]
	s_cbranch_execz .LBB386_227
.LBB386_290:
	v_sub_u32_e32 v2, v33, v40
	ds_write_b8 v2, v87
	s_or_b64 exec, exec, s[24:25]
	s_and_saveexec_b64 s[22:23], s[20:21]
	s_cbranch_execz .LBB386_228
.LBB386_291:
	v_sub_u32_e32 v2, v32, v40
	ds_write_b8 v2, v3
	s_or_b64 exec, exec, s[22:23]
	s_and_saveexec_b64 s[20:21], s[18:19]
	s_cbranch_execz .LBB386_229
.LBB386_292:
	v_sub_u32_e32 v2, v31, v40
	ds_write_b8 v2, v85
	s_or_b64 exec, exec, s[20:21]
	s_and_saveexec_b64 s[18:19], s[16:17]
	s_cbranch_execz .LBB386_230
.LBB386_293:
	v_sub_u32_e32 v2, v30, v40
	ds_write_b8 v2, v83
	s_or_b64 exec, exec, s[18:19]
	s_and_saveexec_b64 s[16:17], s[14:15]
	s_cbranch_execz .LBB386_231
.LBB386_294:
	v_sub_u32_e32 v2, v29, v40
	ds_write_b8 v2, v81
	s_or_b64 exec, exec, s[16:17]
	s_and_saveexec_b64 s[14:15], s[12:13]
	s_cbranch_execz .LBB386_232
.LBB386_295:
	v_sub_u32_e32 v2, v28, v40
	ds_write_b8 v2, v4
	s_or_b64 exec, exec, s[14:15]
	s_and_saveexec_b64 s[12:13], s[10:11]
	s_cbranch_execz .LBB386_233
.LBB386_296:
	v_sub_u32_e32 v2, v27, v40
	ds_write_b8 v2, v79
	s_or_b64 exec, exec, s[12:13]
	s_and_saveexec_b64 s[10:11], s[8:9]
	s_cbranch_execz .LBB386_234
.LBB386_297:
	v_sub_u32_e32 v2, v26, v40
	ds_write_b8 v2, v78
	s_or_b64 exec, exec, s[10:11]
	s_and_saveexec_b64 s[8:9], s[6:7]
	s_cbranch_execz .LBB386_235
.LBB386_298:
	v_sub_u32_e32 v2, v25, v40
	ds_write_b8 v2, v76
	s_or_b64 exec, exec, s[8:9]
	s_and_saveexec_b64 s[6:7], s[4:5]
	s_cbranch_execz .LBB386_236
.LBB386_299:
	v_sub_u32_e32 v2, v24, v40
	ds_write_b8 v2, v72
	s_or_b64 exec, exec, s[6:7]
	s_and_saveexec_b64 s[4:5], s[2:3]
	s_cbranch_execnz .LBB386_237
	s_branch .LBB386_238
.LBB386_300:
	v_sub_u32_e32 v10, v97, v8
	v_mov_b32_e32 v11, 0
	v_lshlrev_b64 v[10:11], 3, v[10:11]
	v_add_co_u32_e32 v10, vcc, v6, v10
	v_addc_co_u32_e32 v11, vcc, v7, v11, vcc
	global_store_dwordx2 v[10:11], v[66:67], off
	s_or_b64 exec, exec, s[38:39]
	s_and_saveexec_b64 s[38:39], s[26:27]
	s_cbranch_execz .LBB386_242
.LBB386_301:
	v_sub_u32_e32 v10, v35, v8
	v_mov_b32_e32 v11, 0
	v_lshlrev_b64 v[10:11], 3, v[10:11]
	v_add_co_u32_e32 v10, vcc, v6, v10
	v_addc_co_u32_e32 v11, vcc, v7, v11, vcc
	global_store_dwordx2 v[10:11], v[42:43], off
	s_or_b64 exec, exec, s[38:39]
	s_and_saveexec_b64 s[38:39], s[24:25]
	s_cbranch_execz .LBB386_243
.LBB386_302:
	v_sub_u32_e32 v10, v34, v8
	v_mov_b32_e32 v11, 0
	v_lshlrev_b64 v[10:11], 3, v[10:11]
	v_add_co_u32_e32 v10, vcc, v6, v10
	v_addc_co_u32_e32 v11, vcc, v7, v11, vcc
	global_store_dwordx2 v[10:11], v[44:45], off
	s_or_b64 exec, exec, s[38:39]
	s_and_saveexec_b64 s[38:39], s[22:23]
	s_cbranch_execz .LBB386_244
.LBB386_303:
	v_sub_u32_e32 v10, v33, v8
	v_mov_b32_e32 v11, 0
	v_lshlrev_b64 v[10:11], 3, v[10:11]
	v_add_co_u32_e32 v10, vcc, v6, v10
	v_addc_co_u32_e32 v11, vcc, v7, v11, vcc
	global_store_dwordx2 v[10:11], v[46:47], off
	s_or_b64 exec, exec, s[38:39]
	s_and_saveexec_b64 s[38:39], s[20:21]
	s_cbranch_execz .LBB386_245
.LBB386_304:
	v_sub_u32_e32 v10, v32, v8
	v_mov_b32_e32 v11, 0
	v_lshlrev_b64 v[10:11], 3, v[10:11]
	v_add_co_u32_e32 v10, vcc, v6, v10
	v_addc_co_u32_e32 v11, vcc, v7, v11, vcc
	global_store_dwordx2 v[10:11], v[48:49], off
	s_or_b64 exec, exec, s[38:39]
	s_and_saveexec_b64 s[38:39], s[18:19]
	s_cbranch_execz .LBB386_246
.LBB386_305:
	v_sub_u32_e32 v10, v31, v8
	v_mov_b32_e32 v11, 0
	v_lshlrev_b64 v[10:11], 3, v[10:11]
	v_add_co_u32_e32 v10, vcc, v6, v10
	v_addc_co_u32_e32 v11, vcc, v7, v11, vcc
	global_store_dwordx2 v[10:11], v[50:51], off
	s_or_b64 exec, exec, s[38:39]
	s_and_saveexec_b64 s[38:39], s[16:17]
	s_cbranch_execz .LBB386_247
.LBB386_306:
	v_sub_u32_e32 v10, v30, v8
	v_mov_b32_e32 v11, 0
	v_lshlrev_b64 v[10:11], 3, v[10:11]
	v_add_co_u32_e32 v10, vcc, v6, v10
	v_addc_co_u32_e32 v11, vcc, v7, v11, vcc
	global_store_dwordx2 v[10:11], v[52:53], off
	s_or_b64 exec, exec, s[38:39]
	s_and_saveexec_b64 s[38:39], s[14:15]
	s_cbranch_execz .LBB386_248
.LBB386_307:
	v_sub_u32_e32 v10, v29, v8
	v_mov_b32_e32 v11, 0
	v_lshlrev_b64 v[10:11], 3, v[10:11]
	v_add_co_u32_e32 v10, vcc, v6, v10
	v_addc_co_u32_e32 v11, vcc, v7, v11, vcc
	global_store_dwordx2 v[10:11], v[54:55], off
	s_or_b64 exec, exec, s[38:39]
	s_and_saveexec_b64 s[38:39], s[12:13]
	s_cbranch_execz .LBB386_249
.LBB386_308:
	v_sub_u32_e32 v10, v28, v8
	v_mov_b32_e32 v11, 0
	v_lshlrev_b64 v[10:11], 3, v[10:11]
	v_add_co_u32_e32 v10, vcc, v6, v10
	v_addc_co_u32_e32 v11, vcc, v7, v11, vcc
	global_store_dwordx2 v[10:11], v[56:57], off
	s_or_b64 exec, exec, s[38:39]
	s_and_saveexec_b64 s[38:39], s[10:11]
	s_cbranch_execz .LBB386_250
.LBB386_309:
	v_sub_u32_e32 v10, v27, v8
	v_mov_b32_e32 v11, 0
	v_lshlrev_b64 v[10:11], 3, v[10:11]
	v_add_co_u32_e32 v10, vcc, v6, v10
	v_addc_co_u32_e32 v11, vcc, v7, v11, vcc
	global_store_dwordx2 v[10:11], v[58:59], off
	s_or_b64 exec, exec, s[38:39]
	s_and_saveexec_b64 s[38:39], s[8:9]
	s_cbranch_execz .LBB386_251
.LBB386_310:
	v_sub_u32_e32 v10, v26, v8
	v_mov_b32_e32 v11, 0
	v_lshlrev_b64 v[10:11], 3, v[10:11]
	v_add_co_u32_e32 v10, vcc, v6, v10
	v_addc_co_u32_e32 v11, vcc, v7, v11, vcc
	global_store_dwordx2 v[10:11], v[60:61], off
	s_or_b64 exec, exec, s[38:39]
	s_and_saveexec_b64 s[38:39], s[6:7]
	s_cbranch_execz .LBB386_252
.LBB386_311:
	v_sub_u32_e32 v10, v25, v8
	v_mov_b32_e32 v11, 0
	v_lshlrev_b64 v[10:11], 3, v[10:11]
	v_add_co_u32_e32 v10, vcc, v6, v10
	v_addc_co_u32_e32 v11, vcc, v7, v11, vcc
	global_store_dwordx2 v[10:11], v[62:63], off
	s_or_b64 exec, exec, s[38:39]
	s_and_saveexec_b64 s[38:39], s[4:5]
	s_cbranch_execz .LBB386_253
.LBB386_312:
	v_sub_u32_e32 v10, v24, v8
	v_mov_b32_e32 v11, 0
	v_lshlrev_b64 v[10:11], 3, v[10:11]
	v_add_co_u32_e32 v10, vcc, v6, v10
	v_addc_co_u32_e32 v11, vcc, v7, v11, vcc
	global_store_dwordx2 v[10:11], v[64:65], off
	s_or_b64 exec, exec, s[38:39]
	s_and_saveexec_b64 s[38:39], s[2:3]
	s_cbranch_execnz .LBB386_254
	s_branch .LBB386_255
.LBB386_313:
	v_sub_u32_e32 v9, v97, v8
	v_lshlrev_b32_e32 v9, 3, v9
	ds_write_b64 v9, v[66:67]
	s_or_b64 exec, exec, s[38:39]
	s_and_saveexec_b64 s[28:29], s[26:27]
	s_cbranch_execz .LBB386_259
.LBB386_314:
	v_sub_u32_e32 v9, v35, v8
	v_lshlrev_b32_e32 v9, 3, v9
	ds_write_b64 v9, v[42:43]
	s_or_b64 exec, exec, s[28:29]
	s_and_saveexec_b64 s[26:27], s[24:25]
	s_cbranch_execz .LBB386_260
.LBB386_315:
	v_sub_u32_e32 v9, v34, v8
	v_lshlrev_b32_e32 v9, 3, v9
	ds_write_b64 v9, v[44:45]
	s_or_b64 exec, exec, s[26:27]
	s_and_saveexec_b64 s[24:25], s[22:23]
	s_cbranch_execz .LBB386_261
.LBB386_316:
	v_sub_u32_e32 v9, v33, v8
	v_lshlrev_b32_e32 v9, 3, v9
	ds_write_b64 v9, v[46:47]
	s_or_b64 exec, exec, s[24:25]
	s_and_saveexec_b64 s[22:23], s[20:21]
	s_cbranch_execz .LBB386_262
.LBB386_317:
	v_sub_u32_e32 v9, v32, v8
	v_lshlrev_b32_e32 v9, 3, v9
	ds_write_b64 v9, v[48:49]
	s_or_b64 exec, exec, s[22:23]
	s_and_saveexec_b64 s[20:21], s[18:19]
	s_cbranch_execz .LBB386_263
.LBB386_318:
	v_sub_u32_e32 v9, v31, v8
	v_lshlrev_b32_e32 v9, 3, v9
	ds_write_b64 v9, v[50:51]
	s_or_b64 exec, exec, s[20:21]
	s_and_saveexec_b64 s[18:19], s[16:17]
	s_cbranch_execz .LBB386_264
.LBB386_319:
	v_sub_u32_e32 v9, v30, v8
	v_lshlrev_b32_e32 v9, 3, v9
	ds_write_b64 v9, v[52:53]
	s_or_b64 exec, exec, s[18:19]
	s_and_saveexec_b64 s[16:17], s[14:15]
	s_cbranch_execz .LBB386_265
.LBB386_320:
	v_sub_u32_e32 v9, v29, v8
	v_lshlrev_b32_e32 v9, 3, v9
	ds_write_b64 v9, v[54:55]
	s_or_b64 exec, exec, s[16:17]
	s_and_saveexec_b64 s[14:15], s[12:13]
	s_cbranch_execz .LBB386_266
.LBB386_321:
	v_sub_u32_e32 v9, v28, v8
	v_lshlrev_b32_e32 v9, 3, v9
	ds_write_b64 v9, v[56:57]
	s_or_b64 exec, exec, s[14:15]
	s_and_saveexec_b64 s[12:13], s[10:11]
	s_cbranch_execz .LBB386_267
.LBB386_322:
	v_sub_u32_e32 v9, v27, v8
	v_lshlrev_b32_e32 v9, 3, v9
	ds_write_b64 v9, v[58:59]
	s_or_b64 exec, exec, s[12:13]
	s_and_saveexec_b64 s[10:11], s[8:9]
	s_cbranch_execz .LBB386_268
.LBB386_323:
	v_sub_u32_e32 v9, v26, v8
	v_lshlrev_b32_e32 v9, 3, v9
	ds_write_b64 v9, v[60:61]
	s_or_b64 exec, exec, s[10:11]
	s_and_saveexec_b64 s[8:9], s[6:7]
	s_cbranch_execz .LBB386_269
.LBB386_324:
	v_sub_u32_e32 v9, v25, v8
	v_lshlrev_b32_e32 v9, 3, v9
	ds_write_b64 v9, v[62:63]
	s_or_b64 exec, exec, s[8:9]
	s_and_saveexec_b64 s[6:7], s[4:5]
	s_cbranch_execz .LBB386_270
.LBB386_325:
	v_sub_u32_e32 v9, v24, v8
	v_lshlrev_b32_e32 v9, 3, v9
	ds_write_b64 v9, v[64:65]
	s_or_b64 exec, exec, s[6:7]
	s_and_saveexec_b64 s[4:5], s[2:3]
	s_cbranch_execnz .LBB386_271
	s_branch .LBB386_272
	.section	.rodata,"a",@progbits
	.p2align	6, 0x0
	.amdhsa_kernel _ZN7rocprim17ROCPRIM_400000_NS6detail17trampoline_kernelINS0_14default_configENS1_29reduce_by_key_config_selectorIhlN6thrust23THRUST_200600_302600_NS4plusIlEEEEZZNS1_33reduce_by_key_impl_wrapped_configILNS1_25lookback_scan_determinismE0ES3_S9_PhNS6_17constant_iteratorIiNS6_11use_defaultESE_EENS6_10device_ptrIhEENSG_IlEEPmS8_NS6_8equal_toIhEEEE10hipError_tPvRmT2_T3_mT4_T5_T6_T7_T8_P12ihipStream_tbENKUlT_T0_E_clISt17integral_constantIbLb1EES12_IbLb0EEEEDaSY_SZ_EUlSY_E_NS1_11comp_targetILNS1_3genE4ELNS1_11target_archE910ELNS1_3gpuE8ELNS1_3repE0EEENS1_30default_config_static_selectorELNS0_4arch9wavefront6targetE1EEEvT1_
		.amdhsa_group_segment_fixed_size 30720
		.amdhsa_private_segment_fixed_size 0
		.amdhsa_kernarg_size 144
		.amdhsa_user_sgpr_count 6
		.amdhsa_user_sgpr_private_segment_buffer 1
		.amdhsa_user_sgpr_dispatch_ptr 0
		.amdhsa_user_sgpr_queue_ptr 0
		.amdhsa_user_sgpr_kernarg_segment_ptr 1
		.amdhsa_user_sgpr_dispatch_id 0
		.amdhsa_user_sgpr_flat_scratch_init 0
		.amdhsa_user_sgpr_kernarg_preload_length 0
		.amdhsa_user_sgpr_kernarg_preload_offset 0
		.amdhsa_user_sgpr_private_segment_size 0
		.amdhsa_uses_dynamic_stack 0
		.amdhsa_system_sgpr_private_segment_wavefront_offset 0
		.amdhsa_system_sgpr_workgroup_id_x 1
		.amdhsa_system_sgpr_workgroup_id_y 0
		.amdhsa_system_sgpr_workgroup_id_z 0
		.amdhsa_system_sgpr_workgroup_info 0
		.amdhsa_system_vgpr_workitem_id 0
		.amdhsa_next_free_vgpr 133
		.amdhsa_next_free_sgpr 64
		.amdhsa_accum_offset 136
		.amdhsa_reserve_vcc 1
		.amdhsa_reserve_flat_scratch 0
		.amdhsa_float_round_mode_32 0
		.amdhsa_float_round_mode_16_64 0
		.amdhsa_float_denorm_mode_32 3
		.amdhsa_float_denorm_mode_16_64 3
		.amdhsa_dx10_clamp 1
		.amdhsa_ieee_mode 1
		.amdhsa_fp16_overflow 0
		.amdhsa_tg_split 0
		.amdhsa_exception_fp_ieee_invalid_op 0
		.amdhsa_exception_fp_denorm_src 0
		.amdhsa_exception_fp_ieee_div_zero 0
		.amdhsa_exception_fp_ieee_overflow 0
		.amdhsa_exception_fp_ieee_underflow 0
		.amdhsa_exception_fp_ieee_inexact 0
		.amdhsa_exception_int_div_zero 0
	.end_amdhsa_kernel
	.section	.text._ZN7rocprim17ROCPRIM_400000_NS6detail17trampoline_kernelINS0_14default_configENS1_29reduce_by_key_config_selectorIhlN6thrust23THRUST_200600_302600_NS4plusIlEEEEZZNS1_33reduce_by_key_impl_wrapped_configILNS1_25lookback_scan_determinismE0ES3_S9_PhNS6_17constant_iteratorIiNS6_11use_defaultESE_EENS6_10device_ptrIhEENSG_IlEEPmS8_NS6_8equal_toIhEEEE10hipError_tPvRmT2_T3_mT4_T5_T6_T7_T8_P12ihipStream_tbENKUlT_T0_E_clISt17integral_constantIbLb1EES12_IbLb0EEEEDaSY_SZ_EUlSY_E_NS1_11comp_targetILNS1_3genE4ELNS1_11target_archE910ELNS1_3gpuE8ELNS1_3repE0EEENS1_30default_config_static_selectorELNS0_4arch9wavefront6targetE1EEEvT1_,"axG",@progbits,_ZN7rocprim17ROCPRIM_400000_NS6detail17trampoline_kernelINS0_14default_configENS1_29reduce_by_key_config_selectorIhlN6thrust23THRUST_200600_302600_NS4plusIlEEEEZZNS1_33reduce_by_key_impl_wrapped_configILNS1_25lookback_scan_determinismE0ES3_S9_PhNS6_17constant_iteratorIiNS6_11use_defaultESE_EENS6_10device_ptrIhEENSG_IlEEPmS8_NS6_8equal_toIhEEEE10hipError_tPvRmT2_T3_mT4_T5_T6_T7_T8_P12ihipStream_tbENKUlT_T0_E_clISt17integral_constantIbLb1EES12_IbLb0EEEEDaSY_SZ_EUlSY_E_NS1_11comp_targetILNS1_3genE4ELNS1_11target_archE910ELNS1_3gpuE8ELNS1_3repE0EEENS1_30default_config_static_selectorELNS0_4arch9wavefront6targetE1EEEvT1_,comdat
.Lfunc_end386:
	.size	_ZN7rocprim17ROCPRIM_400000_NS6detail17trampoline_kernelINS0_14default_configENS1_29reduce_by_key_config_selectorIhlN6thrust23THRUST_200600_302600_NS4plusIlEEEEZZNS1_33reduce_by_key_impl_wrapped_configILNS1_25lookback_scan_determinismE0ES3_S9_PhNS6_17constant_iteratorIiNS6_11use_defaultESE_EENS6_10device_ptrIhEENSG_IlEEPmS8_NS6_8equal_toIhEEEE10hipError_tPvRmT2_T3_mT4_T5_T6_T7_T8_P12ihipStream_tbENKUlT_T0_E_clISt17integral_constantIbLb1EES12_IbLb0EEEEDaSY_SZ_EUlSY_E_NS1_11comp_targetILNS1_3genE4ELNS1_11target_archE910ELNS1_3gpuE8ELNS1_3repE0EEENS1_30default_config_static_selectorELNS0_4arch9wavefront6targetE1EEEvT1_, .Lfunc_end386-_ZN7rocprim17ROCPRIM_400000_NS6detail17trampoline_kernelINS0_14default_configENS1_29reduce_by_key_config_selectorIhlN6thrust23THRUST_200600_302600_NS4plusIlEEEEZZNS1_33reduce_by_key_impl_wrapped_configILNS1_25lookback_scan_determinismE0ES3_S9_PhNS6_17constant_iteratorIiNS6_11use_defaultESE_EENS6_10device_ptrIhEENSG_IlEEPmS8_NS6_8equal_toIhEEEE10hipError_tPvRmT2_T3_mT4_T5_T6_T7_T8_P12ihipStream_tbENKUlT_T0_E_clISt17integral_constantIbLb1EES12_IbLb0EEEEDaSY_SZ_EUlSY_E_NS1_11comp_targetILNS1_3genE4ELNS1_11target_archE910ELNS1_3gpuE8ELNS1_3repE0EEENS1_30default_config_static_selectorELNS0_4arch9wavefront6targetE1EEEvT1_
                                        ; -- End function
	.section	.AMDGPU.csdata,"",@progbits
; Kernel info:
; codeLenInByte = 16628
; NumSgprs: 68
; NumVgprs: 133
; NumAgprs: 0
; TotalNumVgprs: 133
; ScratchSize: 0
; MemoryBound: 0
; FloatMode: 240
; IeeeMode: 1
; LDSByteSize: 30720 bytes/workgroup (compile time only)
; SGPRBlocks: 8
; VGPRBlocks: 16
; NumSGPRsForWavesPerEU: 68
; NumVGPRsForWavesPerEU: 133
; AccumOffset: 136
; Occupancy: 2
; WaveLimiterHint : 1
; COMPUTE_PGM_RSRC2:SCRATCH_EN: 0
; COMPUTE_PGM_RSRC2:USER_SGPR: 6
; COMPUTE_PGM_RSRC2:TRAP_HANDLER: 0
; COMPUTE_PGM_RSRC2:TGID_X_EN: 1
; COMPUTE_PGM_RSRC2:TGID_Y_EN: 0
; COMPUTE_PGM_RSRC2:TGID_Z_EN: 0
; COMPUTE_PGM_RSRC2:TIDIG_COMP_CNT: 0
; COMPUTE_PGM_RSRC3_GFX90A:ACCUM_OFFSET: 33
; COMPUTE_PGM_RSRC3_GFX90A:TG_SPLIT: 0
	.section	.text._ZN7rocprim17ROCPRIM_400000_NS6detail17trampoline_kernelINS0_14default_configENS1_29reduce_by_key_config_selectorIhlN6thrust23THRUST_200600_302600_NS4plusIlEEEEZZNS1_33reduce_by_key_impl_wrapped_configILNS1_25lookback_scan_determinismE0ES3_S9_PhNS6_17constant_iteratorIiNS6_11use_defaultESE_EENS6_10device_ptrIhEENSG_IlEEPmS8_NS6_8equal_toIhEEEE10hipError_tPvRmT2_T3_mT4_T5_T6_T7_T8_P12ihipStream_tbENKUlT_T0_E_clISt17integral_constantIbLb1EES12_IbLb0EEEEDaSY_SZ_EUlSY_E_NS1_11comp_targetILNS1_3genE3ELNS1_11target_archE908ELNS1_3gpuE7ELNS1_3repE0EEENS1_30default_config_static_selectorELNS0_4arch9wavefront6targetE1EEEvT1_,"axG",@progbits,_ZN7rocprim17ROCPRIM_400000_NS6detail17trampoline_kernelINS0_14default_configENS1_29reduce_by_key_config_selectorIhlN6thrust23THRUST_200600_302600_NS4plusIlEEEEZZNS1_33reduce_by_key_impl_wrapped_configILNS1_25lookback_scan_determinismE0ES3_S9_PhNS6_17constant_iteratorIiNS6_11use_defaultESE_EENS6_10device_ptrIhEENSG_IlEEPmS8_NS6_8equal_toIhEEEE10hipError_tPvRmT2_T3_mT4_T5_T6_T7_T8_P12ihipStream_tbENKUlT_T0_E_clISt17integral_constantIbLb1EES12_IbLb0EEEEDaSY_SZ_EUlSY_E_NS1_11comp_targetILNS1_3genE3ELNS1_11target_archE908ELNS1_3gpuE7ELNS1_3repE0EEENS1_30default_config_static_selectorELNS0_4arch9wavefront6targetE1EEEvT1_,comdat
	.protected	_ZN7rocprim17ROCPRIM_400000_NS6detail17trampoline_kernelINS0_14default_configENS1_29reduce_by_key_config_selectorIhlN6thrust23THRUST_200600_302600_NS4plusIlEEEEZZNS1_33reduce_by_key_impl_wrapped_configILNS1_25lookback_scan_determinismE0ES3_S9_PhNS6_17constant_iteratorIiNS6_11use_defaultESE_EENS6_10device_ptrIhEENSG_IlEEPmS8_NS6_8equal_toIhEEEE10hipError_tPvRmT2_T3_mT4_T5_T6_T7_T8_P12ihipStream_tbENKUlT_T0_E_clISt17integral_constantIbLb1EES12_IbLb0EEEEDaSY_SZ_EUlSY_E_NS1_11comp_targetILNS1_3genE3ELNS1_11target_archE908ELNS1_3gpuE7ELNS1_3repE0EEENS1_30default_config_static_selectorELNS0_4arch9wavefront6targetE1EEEvT1_ ; -- Begin function _ZN7rocprim17ROCPRIM_400000_NS6detail17trampoline_kernelINS0_14default_configENS1_29reduce_by_key_config_selectorIhlN6thrust23THRUST_200600_302600_NS4plusIlEEEEZZNS1_33reduce_by_key_impl_wrapped_configILNS1_25lookback_scan_determinismE0ES3_S9_PhNS6_17constant_iteratorIiNS6_11use_defaultESE_EENS6_10device_ptrIhEENSG_IlEEPmS8_NS6_8equal_toIhEEEE10hipError_tPvRmT2_T3_mT4_T5_T6_T7_T8_P12ihipStream_tbENKUlT_T0_E_clISt17integral_constantIbLb1EES12_IbLb0EEEEDaSY_SZ_EUlSY_E_NS1_11comp_targetILNS1_3genE3ELNS1_11target_archE908ELNS1_3gpuE7ELNS1_3repE0EEENS1_30default_config_static_selectorELNS0_4arch9wavefront6targetE1EEEvT1_
	.globl	_ZN7rocprim17ROCPRIM_400000_NS6detail17trampoline_kernelINS0_14default_configENS1_29reduce_by_key_config_selectorIhlN6thrust23THRUST_200600_302600_NS4plusIlEEEEZZNS1_33reduce_by_key_impl_wrapped_configILNS1_25lookback_scan_determinismE0ES3_S9_PhNS6_17constant_iteratorIiNS6_11use_defaultESE_EENS6_10device_ptrIhEENSG_IlEEPmS8_NS6_8equal_toIhEEEE10hipError_tPvRmT2_T3_mT4_T5_T6_T7_T8_P12ihipStream_tbENKUlT_T0_E_clISt17integral_constantIbLb1EES12_IbLb0EEEEDaSY_SZ_EUlSY_E_NS1_11comp_targetILNS1_3genE3ELNS1_11target_archE908ELNS1_3gpuE7ELNS1_3repE0EEENS1_30default_config_static_selectorELNS0_4arch9wavefront6targetE1EEEvT1_
	.p2align	8
	.type	_ZN7rocprim17ROCPRIM_400000_NS6detail17trampoline_kernelINS0_14default_configENS1_29reduce_by_key_config_selectorIhlN6thrust23THRUST_200600_302600_NS4plusIlEEEEZZNS1_33reduce_by_key_impl_wrapped_configILNS1_25lookback_scan_determinismE0ES3_S9_PhNS6_17constant_iteratorIiNS6_11use_defaultESE_EENS6_10device_ptrIhEENSG_IlEEPmS8_NS6_8equal_toIhEEEE10hipError_tPvRmT2_T3_mT4_T5_T6_T7_T8_P12ihipStream_tbENKUlT_T0_E_clISt17integral_constantIbLb1EES12_IbLb0EEEEDaSY_SZ_EUlSY_E_NS1_11comp_targetILNS1_3genE3ELNS1_11target_archE908ELNS1_3gpuE7ELNS1_3repE0EEENS1_30default_config_static_selectorELNS0_4arch9wavefront6targetE1EEEvT1_,@function
_ZN7rocprim17ROCPRIM_400000_NS6detail17trampoline_kernelINS0_14default_configENS1_29reduce_by_key_config_selectorIhlN6thrust23THRUST_200600_302600_NS4plusIlEEEEZZNS1_33reduce_by_key_impl_wrapped_configILNS1_25lookback_scan_determinismE0ES3_S9_PhNS6_17constant_iteratorIiNS6_11use_defaultESE_EENS6_10device_ptrIhEENSG_IlEEPmS8_NS6_8equal_toIhEEEE10hipError_tPvRmT2_T3_mT4_T5_T6_T7_T8_P12ihipStream_tbENKUlT_T0_E_clISt17integral_constantIbLb1EES12_IbLb0EEEEDaSY_SZ_EUlSY_E_NS1_11comp_targetILNS1_3genE3ELNS1_11target_archE908ELNS1_3gpuE7ELNS1_3repE0EEENS1_30default_config_static_selectorELNS0_4arch9wavefront6targetE1EEEvT1_: ; @_ZN7rocprim17ROCPRIM_400000_NS6detail17trampoline_kernelINS0_14default_configENS1_29reduce_by_key_config_selectorIhlN6thrust23THRUST_200600_302600_NS4plusIlEEEEZZNS1_33reduce_by_key_impl_wrapped_configILNS1_25lookback_scan_determinismE0ES3_S9_PhNS6_17constant_iteratorIiNS6_11use_defaultESE_EENS6_10device_ptrIhEENSG_IlEEPmS8_NS6_8equal_toIhEEEE10hipError_tPvRmT2_T3_mT4_T5_T6_T7_T8_P12ihipStream_tbENKUlT_T0_E_clISt17integral_constantIbLb1EES12_IbLb0EEEEDaSY_SZ_EUlSY_E_NS1_11comp_targetILNS1_3genE3ELNS1_11target_archE908ELNS1_3gpuE7ELNS1_3repE0EEENS1_30default_config_static_selectorELNS0_4arch9wavefront6targetE1EEEvT1_
; %bb.0:
	.section	.rodata,"a",@progbits
	.p2align	6, 0x0
	.amdhsa_kernel _ZN7rocprim17ROCPRIM_400000_NS6detail17trampoline_kernelINS0_14default_configENS1_29reduce_by_key_config_selectorIhlN6thrust23THRUST_200600_302600_NS4plusIlEEEEZZNS1_33reduce_by_key_impl_wrapped_configILNS1_25lookback_scan_determinismE0ES3_S9_PhNS6_17constant_iteratorIiNS6_11use_defaultESE_EENS6_10device_ptrIhEENSG_IlEEPmS8_NS6_8equal_toIhEEEE10hipError_tPvRmT2_T3_mT4_T5_T6_T7_T8_P12ihipStream_tbENKUlT_T0_E_clISt17integral_constantIbLb1EES12_IbLb0EEEEDaSY_SZ_EUlSY_E_NS1_11comp_targetILNS1_3genE3ELNS1_11target_archE908ELNS1_3gpuE7ELNS1_3repE0EEENS1_30default_config_static_selectorELNS0_4arch9wavefront6targetE1EEEvT1_
		.amdhsa_group_segment_fixed_size 0
		.amdhsa_private_segment_fixed_size 0
		.amdhsa_kernarg_size 144
		.amdhsa_user_sgpr_count 6
		.amdhsa_user_sgpr_private_segment_buffer 1
		.amdhsa_user_sgpr_dispatch_ptr 0
		.amdhsa_user_sgpr_queue_ptr 0
		.amdhsa_user_sgpr_kernarg_segment_ptr 1
		.amdhsa_user_sgpr_dispatch_id 0
		.amdhsa_user_sgpr_flat_scratch_init 0
		.amdhsa_user_sgpr_kernarg_preload_length 0
		.amdhsa_user_sgpr_kernarg_preload_offset 0
		.amdhsa_user_sgpr_private_segment_size 0
		.amdhsa_uses_dynamic_stack 0
		.amdhsa_system_sgpr_private_segment_wavefront_offset 0
		.amdhsa_system_sgpr_workgroup_id_x 1
		.amdhsa_system_sgpr_workgroup_id_y 0
		.amdhsa_system_sgpr_workgroup_id_z 0
		.amdhsa_system_sgpr_workgroup_info 0
		.amdhsa_system_vgpr_workitem_id 0
		.amdhsa_next_free_vgpr 1
		.amdhsa_next_free_sgpr 0
		.amdhsa_accum_offset 4
		.amdhsa_reserve_vcc 0
		.amdhsa_reserve_flat_scratch 0
		.amdhsa_float_round_mode_32 0
		.amdhsa_float_round_mode_16_64 0
		.amdhsa_float_denorm_mode_32 3
		.amdhsa_float_denorm_mode_16_64 3
		.amdhsa_dx10_clamp 1
		.amdhsa_ieee_mode 1
		.amdhsa_fp16_overflow 0
		.amdhsa_tg_split 0
		.amdhsa_exception_fp_ieee_invalid_op 0
		.amdhsa_exception_fp_denorm_src 0
		.amdhsa_exception_fp_ieee_div_zero 0
		.amdhsa_exception_fp_ieee_overflow 0
		.amdhsa_exception_fp_ieee_underflow 0
		.amdhsa_exception_fp_ieee_inexact 0
		.amdhsa_exception_int_div_zero 0
	.end_amdhsa_kernel
	.section	.text._ZN7rocprim17ROCPRIM_400000_NS6detail17trampoline_kernelINS0_14default_configENS1_29reduce_by_key_config_selectorIhlN6thrust23THRUST_200600_302600_NS4plusIlEEEEZZNS1_33reduce_by_key_impl_wrapped_configILNS1_25lookback_scan_determinismE0ES3_S9_PhNS6_17constant_iteratorIiNS6_11use_defaultESE_EENS6_10device_ptrIhEENSG_IlEEPmS8_NS6_8equal_toIhEEEE10hipError_tPvRmT2_T3_mT4_T5_T6_T7_T8_P12ihipStream_tbENKUlT_T0_E_clISt17integral_constantIbLb1EES12_IbLb0EEEEDaSY_SZ_EUlSY_E_NS1_11comp_targetILNS1_3genE3ELNS1_11target_archE908ELNS1_3gpuE7ELNS1_3repE0EEENS1_30default_config_static_selectorELNS0_4arch9wavefront6targetE1EEEvT1_,"axG",@progbits,_ZN7rocprim17ROCPRIM_400000_NS6detail17trampoline_kernelINS0_14default_configENS1_29reduce_by_key_config_selectorIhlN6thrust23THRUST_200600_302600_NS4plusIlEEEEZZNS1_33reduce_by_key_impl_wrapped_configILNS1_25lookback_scan_determinismE0ES3_S9_PhNS6_17constant_iteratorIiNS6_11use_defaultESE_EENS6_10device_ptrIhEENSG_IlEEPmS8_NS6_8equal_toIhEEEE10hipError_tPvRmT2_T3_mT4_T5_T6_T7_T8_P12ihipStream_tbENKUlT_T0_E_clISt17integral_constantIbLb1EES12_IbLb0EEEEDaSY_SZ_EUlSY_E_NS1_11comp_targetILNS1_3genE3ELNS1_11target_archE908ELNS1_3gpuE7ELNS1_3repE0EEENS1_30default_config_static_selectorELNS0_4arch9wavefront6targetE1EEEvT1_,comdat
.Lfunc_end387:
	.size	_ZN7rocprim17ROCPRIM_400000_NS6detail17trampoline_kernelINS0_14default_configENS1_29reduce_by_key_config_selectorIhlN6thrust23THRUST_200600_302600_NS4plusIlEEEEZZNS1_33reduce_by_key_impl_wrapped_configILNS1_25lookback_scan_determinismE0ES3_S9_PhNS6_17constant_iteratorIiNS6_11use_defaultESE_EENS6_10device_ptrIhEENSG_IlEEPmS8_NS6_8equal_toIhEEEE10hipError_tPvRmT2_T3_mT4_T5_T6_T7_T8_P12ihipStream_tbENKUlT_T0_E_clISt17integral_constantIbLb1EES12_IbLb0EEEEDaSY_SZ_EUlSY_E_NS1_11comp_targetILNS1_3genE3ELNS1_11target_archE908ELNS1_3gpuE7ELNS1_3repE0EEENS1_30default_config_static_selectorELNS0_4arch9wavefront6targetE1EEEvT1_, .Lfunc_end387-_ZN7rocprim17ROCPRIM_400000_NS6detail17trampoline_kernelINS0_14default_configENS1_29reduce_by_key_config_selectorIhlN6thrust23THRUST_200600_302600_NS4plusIlEEEEZZNS1_33reduce_by_key_impl_wrapped_configILNS1_25lookback_scan_determinismE0ES3_S9_PhNS6_17constant_iteratorIiNS6_11use_defaultESE_EENS6_10device_ptrIhEENSG_IlEEPmS8_NS6_8equal_toIhEEEE10hipError_tPvRmT2_T3_mT4_T5_T6_T7_T8_P12ihipStream_tbENKUlT_T0_E_clISt17integral_constantIbLb1EES12_IbLb0EEEEDaSY_SZ_EUlSY_E_NS1_11comp_targetILNS1_3genE3ELNS1_11target_archE908ELNS1_3gpuE7ELNS1_3repE0EEENS1_30default_config_static_selectorELNS0_4arch9wavefront6targetE1EEEvT1_
                                        ; -- End function
	.section	.AMDGPU.csdata,"",@progbits
; Kernel info:
; codeLenInByte = 0
; NumSgprs: 4
; NumVgprs: 0
; NumAgprs: 0
; TotalNumVgprs: 0
; ScratchSize: 0
; MemoryBound: 0
; FloatMode: 240
; IeeeMode: 1
; LDSByteSize: 0 bytes/workgroup (compile time only)
; SGPRBlocks: 0
; VGPRBlocks: 0
; NumSGPRsForWavesPerEU: 4
; NumVGPRsForWavesPerEU: 1
; AccumOffset: 4
; Occupancy: 8
; WaveLimiterHint : 0
; COMPUTE_PGM_RSRC2:SCRATCH_EN: 0
; COMPUTE_PGM_RSRC2:USER_SGPR: 6
; COMPUTE_PGM_RSRC2:TRAP_HANDLER: 0
; COMPUTE_PGM_RSRC2:TGID_X_EN: 1
; COMPUTE_PGM_RSRC2:TGID_Y_EN: 0
; COMPUTE_PGM_RSRC2:TGID_Z_EN: 0
; COMPUTE_PGM_RSRC2:TIDIG_COMP_CNT: 0
; COMPUTE_PGM_RSRC3_GFX90A:ACCUM_OFFSET: 0
; COMPUTE_PGM_RSRC3_GFX90A:TG_SPLIT: 0
	.section	.text._ZN7rocprim17ROCPRIM_400000_NS6detail17trampoline_kernelINS0_14default_configENS1_29reduce_by_key_config_selectorIhlN6thrust23THRUST_200600_302600_NS4plusIlEEEEZZNS1_33reduce_by_key_impl_wrapped_configILNS1_25lookback_scan_determinismE0ES3_S9_PhNS6_17constant_iteratorIiNS6_11use_defaultESE_EENS6_10device_ptrIhEENSG_IlEEPmS8_NS6_8equal_toIhEEEE10hipError_tPvRmT2_T3_mT4_T5_T6_T7_T8_P12ihipStream_tbENKUlT_T0_E_clISt17integral_constantIbLb1EES12_IbLb0EEEEDaSY_SZ_EUlSY_E_NS1_11comp_targetILNS1_3genE2ELNS1_11target_archE906ELNS1_3gpuE6ELNS1_3repE0EEENS1_30default_config_static_selectorELNS0_4arch9wavefront6targetE1EEEvT1_,"axG",@progbits,_ZN7rocprim17ROCPRIM_400000_NS6detail17trampoline_kernelINS0_14default_configENS1_29reduce_by_key_config_selectorIhlN6thrust23THRUST_200600_302600_NS4plusIlEEEEZZNS1_33reduce_by_key_impl_wrapped_configILNS1_25lookback_scan_determinismE0ES3_S9_PhNS6_17constant_iteratorIiNS6_11use_defaultESE_EENS6_10device_ptrIhEENSG_IlEEPmS8_NS6_8equal_toIhEEEE10hipError_tPvRmT2_T3_mT4_T5_T6_T7_T8_P12ihipStream_tbENKUlT_T0_E_clISt17integral_constantIbLb1EES12_IbLb0EEEEDaSY_SZ_EUlSY_E_NS1_11comp_targetILNS1_3genE2ELNS1_11target_archE906ELNS1_3gpuE6ELNS1_3repE0EEENS1_30default_config_static_selectorELNS0_4arch9wavefront6targetE1EEEvT1_,comdat
	.protected	_ZN7rocprim17ROCPRIM_400000_NS6detail17trampoline_kernelINS0_14default_configENS1_29reduce_by_key_config_selectorIhlN6thrust23THRUST_200600_302600_NS4plusIlEEEEZZNS1_33reduce_by_key_impl_wrapped_configILNS1_25lookback_scan_determinismE0ES3_S9_PhNS6_17constant_iteratorIiNS6_11use_defaultESE_EENS6_10device_ptrIhEENSG_IlEEPmS8_NS6_8equal_toIhEEEE10hipError_tPvRmT2_T3_mT4_T5_T6_T7_T8_P12ihipStream_tbENKUlT_T0_E_clISt17integral_constantIbLb1EES12_IbLb0EEEEDaSY_SZ_EUlSY_E_NS1_11comp_targetILNS1_3genE2ELNS1_11target_archE906ELNS1_3gpuE6ELNS1_3repE0EEENS1_30default_config_static_selectorELNS0_4arch9wavefront6targetE1EEEvT1_ ; -- Begin function _ZN7rocprim17ROCPRIM_400000_NS6detail17trampoline_kernelINS0_14default_configENS1_29reduce_by_key_config_selectorIhlN6thrust23THRUST_200600_302600_NS4plusIlEEEEZZNS1_33reduce_by_key_impl_wrapped_configILNS1_25lookback_scan_determinismE0ES3_S9_PhNS6_17constant_iteratorIiNS6_11use_defaultESE_EENS6_10device_ptrIhEENSG_IlEEPmS8_NS6_8equal_toIhEEEE10hipError_tPvRmT2_T3_mT4_T5_T6_T7_T8_P12ihipStream_tbENKUlT_T0_E_clISt17integral_constantIbLb1EES12_IbLb0EEEEDaSY_SZ_EUlSY_E_NS1_11comp_targetILNS1_3genE2ELNS1_11target_archE906ELNS1_3gpuE6ELNS1_3repE0EEENS1_30default_config_static_selectorELNS0_4arch9wavefront6targetE1EEEvT1_
	.globl	_ZN7rocprim17ROCPRIM_400000_NS6detail17trampoline_kernelINS0_14default_configENS1_29reduce_by_key_config_selectorIhlN6thrust23THRUST_200600_302600_NS4plusIlEEEEZZNS1_33reduce_by_key_impl_wrapped_configILNS1_25lookback_scan_determinismE0ES3_S9_PhNS6_17constant_iteratorIiNS6_11use_defaultESE_EENS6_10device_ptrIhEENSG_IlEEPmS8_NS6_8equal_toIhEEEE10hipError_tPvRmT2_T3_mT4_T5_T6_T7_T8_P12ihipStream_tbENKUlT_T0_E_clISt17integral_constantIbLb1EES12_IbLb0EEEEDaSY_SZ_EUlSY_E_NS1_11comp_targetILNS1_3genE2ELNS1_11target_archE906ELNS1_3gpuE6ELNS1_3repE0EEENS1_30default_config_static_selectorELNS0_4arch9wavefront6targetE1EEEvT1_
	.p2align	8
	.type	_ZN7rocprim17ROCPRIM_400000_NS6detail17trampoline_kernelINS0_14default_configENS1_29reduce_by_key_config_selectorIhlN6thrust23THRUST_200600_302600_NS4plusIlEEEEZZNS1_33reduce_by_key_impl_wrapped_configILNS1_25lookback_scan_determinismE0ES3_S9_PhNS6_17constant_iteratorIiNS6_11use_defaultESE_EENS6_10device_ptrIhEENSG_IlEEPmS8_NS6_8equal_toIhEEEE10hipError_tPvRmT2_T3_mT4_T5_T6_T7_T8_P12ihipStream_tbENKUlT_T0_E_clISt17integral_constantIbLb1EES12_IbLb0EEEEDaSY_SZ_EUlSY_E_NS1_11comp_targetILNS1_3genE2ELNS1_11target_archE906ELNS1_3gpuE6ELNS1_3repE0EEENS1_30default_config_static_selectorELNS0_4arch9wavefront6targetE1EEEvT1_,@function
_ZN7rocprim17ROCPRIM_400000_NS6detail17trampoline_kernelINS0_14default_configENS1_29reduce_by_key_config_selectorIhlN6thrust23THRUST_200600_302600_NS4plusIlEEEEZZNS1_33reduce_by_key_impl_wrapped_configILNS1_25lookback_scan_determinismE0ES3_S9_PhNS6_17constant_iteratorIiNS6_11use_defaultESE_EENS6_10device_ptrIhEENSG_IlEEPmS8_NS6_8equal_toIhEEEE10hipError_tPvRmT2_T3_mT4_T5_T6_T7_T8_P12ihipStream_tbENKUlT_T0_E_clISt17integral_constantIbLb1EES12_IbLb0EEEEDaSY_SZ_EUlSY_E_NS1_11comp_targetILNS1_3genE2ELNS1_11target_archE906ELNS1_3gpuE6ELNS1_3repE0EEENS1_30default_config_static_selectorELNS0_4arch9wavefront6targetE1EEEvT1_: ; @_ZN7rocprim17ROCPRIM_400000_NS6detail17trampoline_kernelINS0_14default_configENS1_29reduce_by_key_config_selectorIhlN6thrust23THRUST_200600_302600_NS4plusIlEEEEZZNS1_33reduce_by_key_impl_wrapped_configILNS1_25lookback_scan_determinismE0ES3_S9_PhNS6_17constant_iteratorIiNS6_11use_defaultESE_EENS6_10device_ptrIhEENSG_IlEEPmS8_NS6_8equal_toIhEEEE10hipError_tPvRmT2_T3_mT4_T5_T6_T7_T8_P12ihipStream_tbENKUlT_T0_E_clISt17integral_constantIbLb1EES12_IbLb0EEEEDaSY_SZ_EUlSY_E_NS1_11comp_targetILNS1_3genE2ELNS1_11target_archE906ELNS1_3gpuE6ELNS1_3repE0EEENS1_30default_config_static_selectorELNS0_4arch9wavefront6targetE1EEEvT1_
; %bb.0:
	.section	.rodata,"a",@progbits
	.p2align	6, 0x0
	.amdhsa_kernel _ZN7rocprim17ROCPRIM_400000_NS6detail17trampoline_kernelINS0_14default_configENS1_29reduce_by_key_config_selectorIhlN6thrust23THRUST_200600_302600_NS4plusIlEEEEZZNS1_33reduce_by_key_impl_wrapped_configILNS1_25lookback_scan_determinismE0ES3_S9_PhNS6_17constant_iteratorIiNS6_11use_defaultESE_EENS6_10device_ptrIhEENSG_IlEEPmS8_NS6_8equal_toIhEEEE10hipError_tPvRmT2_T3_mT4_T5_T6_T7_T8_P12ihipStream_tbENKUlT_T0_E_clISt17integral_constantIbLb1EES12_IbLb0EEEEDaSY_SZ_EUlSY_E_NS1_11comp_targetILNS1_3genE2ELNS1_11target_archE906ELNS1_3gpuE6ELNS1_3repE0EEENS1_30default_config_static_selectorELNS0_4arch9wavefront6targetE1EEEvT1_
		.amdhsa_group_segment_fixed_size 0
		.amdhsa_private_segment_fixed_size 0
		.amdhsa_kernarg_size 144
		.amdhsa_user_sgpr_count 6
		.amdhsa_user_sgpr_private_segment_buffer 1
		.amdhsa_user_sgpr_dispatch_ptr 0
		.amdhsa_user_sgpr_queue_ptr 0
		.amdhsa_user_sgpr_kernarg_segment_ptr 1
		.amdhsa_user_sgpr_dispatch_id 0
		.amdhsa_user_sgpr_flat_scratch_init 0
		.amdhsa_user_sgpr_kernarg_preload_length 0
		.amdhsa_user_sgpr_kernarg_preload_offset 0
		.amdhsa_user_sgpr_private_segment_size 0
		.amdhsa_uses_dynamic_stack 0
		.amdhsa_system_sgpr_private_segment_wavefront_offset 0
		.amdhsa_system_sgpr_workgroup_id_x 1
		.amdhsa_system_sgpr_workgroup_id_y 0
		.amdhsa_system_sgpr_workgroup_id_z 0
		.amdhsa_system_sgpr_workgroup_info 0
		.amdhsa_system_vgpr_workitem_id 0
		.amdhsa_next_free_vgpr 1
		.amdhsa_next_free_sgpr 0
		.amdhsa_accum_offset 4
		.amdhsa_reserve_vcc 0
		.amdhsa_reserve_flat_scratch 0
		.amdhsa_float_round_mode_32 0
		.amdhsa_float_round_mode_16_64 0
		.amdhsa_float_denorm_mode_32 3
		.amdhsa_float_denorm_mode_16_64 3
		.amdhsa_dx10_clamp 1
		.amdhsa_ieee_mode 1
		.amdhsa_fp16_overflow 0
		.amdhsa_tg_split 0
		.amdhsa_exception_fp_ieee_invalid_op 0
		.amdhsa_exception_fp_denorm_src 0
		.amdhsa_exception_fp_ieee_div_zero 0
		.amdhsa_exception_fp_ieee_overflow 0
		.amdhsa_exception_fp_ieee_underflow 0
		.amdhsa_exception_fp_ieee_inexact 0
		.amdhsa_exception_int_div_zero 0
	.end_amdhsa_kernel
	.section	.text._ZN7rocprim17ROCPRIM_400000_NS6detail17trampoline_kernelINS0_14default_configENS1_29reduce_by_key_config_selectorIhlN6thrust23THRUST_200600_302600_NS4plusIlEEEEZZNS1_33reduce_by_key_impl_wrapped_configILNS1_25lookback_scan_determinismE0ES3_S9_PhNS6_17constant_iteratorIiNS6_11use_defaultESE_EENS6_10device_ptrIhEENSG_IlEEPmS8_NS6_8equal_toIhEEEE10hipError_tPvRmT2_T3_mT4_T5_T6_T7_T8_P12ihipStream_tbENKUlT_T0_E_clISt17integral_constantIbLb1EES12_IbLb0EEEEDaSY_SZ_EUlSY_E_NS1_11comp_targetILNS1_3genE2ELNS1_11target_archE906ELNS1_3gpuE6ELNS1_3repE0EEENS1_30default_config_static_selectorELNS0_4arch9wavefront6targetE1EEEvT1_,"axG",@progbits,_ZN7rocprim17ROCPRIM_400000_NS6detail17trampoline_kernelINS0_14default_configENS1_29reduce_by_key_config_selectorIhlN6thrust23THRUST_200600_302600_NS4plusIlEEEEZZNS1_33reduce_by_key_impl_wrapped_configILNS1_25lookback_scan_determinismE0ES3_S9_PhNS6_17constant_iteratorIiNS6_11use_defaultESE_EENS6_10device_ptrIhEENSG_IlEEPmS8_NS6_8equal_toIhEEEE10hipError_tPvRmT2_T3_mT4_T5_T6_T7_T8_P12ihipStream_tbENKUlT_T0_E_clISt17integral_constantIbLb1EES12_IbLb0EEEEDaSY_SZ_EUlSY_E_NS1_11comp_targetILNS1_3genE2ELNS1_11target_archE906ELNS1_3gpuE6ELNS1_3repE0EEENS1_30default_config_static_selectorELNS0_4arch9wavefront6targetE1EEEvT1_,comdat
.Lfunc_end388:
	.size	_ZN7rocprim17ROCPRIM_400000_NS6detail17trampoline_kernelINS0_14default_configENS1_29reduce_by_key_config_selectorIhlN6thrust23THRUST_200600_302600_NS4plusIlEEEEZZNS1_33reduce_by_key_impl_wrapped_configILNS1_25lookback_scan_determinismE0ES3_S9_PhNS6_17constant_iteratorIiNS6_11use_defaultESE_EENS6_10device_ptrIhEENSG_IlEEPmS8_NS6_8equal_toIhEEEE10hipError_tPvRmT2_T3_mT4_T5_T6_T7_T8_P12ihipStream_tbENKUlT_T0_E_clISt17integral_constantIbLb1EES12_IbLb0EEEEDaSY_SZ_EUlSY_E_NS1_11comp_targetILNS1_3genE2ELNS1_11target_archE906ELNS1_3gpuE6ELNS1_3repE0EEENS1_30default_config_static_selectorELNS0_4arch9wavefront6targetE1EEEvT1_, .Lfunc_end388-_ZN7rocprim17ROCPRIM_400000_NS6detail17trampoline_kernelINS0_14default_configENS1_29reduce_by_key_config_selectorIhlN6thrust23THRUST_200600_302600_NS4plusIlEEEEZZNS1_33reduce_by_key_impl_wrapped_configILNS1_25lookback_scan_determinismE0ES3_S9_PhNS6_17constant_iteratorIiNS6_11use_defaultESE_EENS6_10device_ptrIhEENSG_IlEEPmS8_NS6_8equal_toIhEEEE10hipError_tPvRmT2_T3_mT4_T5_T6_T7_T8_P12ihipStream_tbENKUlT_T0_E_clISt17integral_constantIbLb1EES12_IbLb0EEEEDaSY_SZ_EUlSY_E_NS1_11comp_targetILNS1_3genE2ELNS1_11target_archE906ELNS1_3gpuE6ELNS1_3repE0EEENS1_30default_config_static_selectorELNS0_4arch9wavefront6targetE1EEEvT1_
                                        ; -- End function
	.section	.AMDGPU.csdata,"",@progbits
; Kernel info:
; codeLenInByte = 0
; NumSgprs: 4
; NumVgprs: 0
; NumAgprs: 0
; TotalNumVgprs: 0
; ScratchSize: 0
; MemoryBound: 0
; FloatMode: 240
; IeeeMode: 1
; LDSByteSize: 0 bytes/workgroup (compile time only)
; SGPRBlocks: 0
; VGPRBlocks: 0
; NumSGPRsForWavesPerEU: 4
; NumVGPRsForWavesPerEU: 1
; AccumOffset: 4
; Occupancy: 8
; WaveLimiterHint : 0
; COMPUTE_PGM_RSRC2:SCRATCH_EN: 0
; COMPUTE_PGM_RSRC2:USER_SGPR: 6
; COMPUTE_PGM_RSRC2:TRAP_HANDLER: 0
; COMPUTE_PGM_RSRC2:TGID_X_EN: 1
; COMPUTE_PGM_RSRC2:TGID_Y_EN: 0
; COMPUTE_PGM_RSRC2:TGID_Z_EN: 0
; COMPUTE_PGM_RSRC2:TIDIG_COMP_CNT: 0
; COMPUTE_PGM_RSRC3_GFX90A:ACCUM_OFFSET: 0
; COMPUTE_PGM_RSRC3_GFX90A:TG_SPLIT: 0
	.section	.text._ZN7rocprim17ROCPRIM_400000_NS6detail17trampoline_kernelINS0_14default_configENS1_29reduce_by_key_config_selectorIhlN6thrust23THRUST_200600_302600_NS4plusIlEEEEZZNS1_33reduce_by_key_impl_wrapped_configILNS1_25lookback_scan_determinismE0ES3_S9_PhNS6_17constant_iteratorIiNS6_11use_defaultESE_EENS6_10device_ptrIhEENSG_IlEEPmS8_NS6_8equal_toIhEEEE10hipError_tPvRmT2_T3_mT4_T5_T6_T7_T8_P12ihipStream_tbENKUlT_T0_E_clISt17integral_constantIbLb1EES12_IbLb0EEEEDaSY_SZ_EUlSY_E_NS1_11comp_targetILNS1_3genE10ELNS1_11target_archE1201ELNS1_3gpuE5ELNS1_3repE0EEENS1_30default_config_static_selectorELNS0_4arch9wavefront6targetE1EEEvT1_,"axG",@progbits,_ZN7rocprim17ROCPRIM_400000_NS6detail17trampoline_kernelINS0_14default_configENS1_29reduce_by_key_config_selectorIhlN6thrust23THRUST_200600_302600_NS4plusIlEEEEZZNS1_33reduce_by_key_impl_wrapped_configILNS1_25lookback_scan_determinismE0ES3_S9_PhNS6_17constant_iteratorIiNS6_11use_defaultESE_EENS6_10device_ptrIhEENSG_IlEEPmS8_NS6_8equal_toIhEEEE10hipError_tPvRmT2_T3_mT4_T5_T6_T7_T8_P12ihipStream_tbENKUlT_T0_E_clISt17integral_constantIbLb1EES12_IbLb0EEEEDaSY_SZ_EUlSY_E_NS1_11comp_targetILNS1_3genE10ELNS1_11target_archE1201ELNS1_3gpuE5ELNS1_3repE0EEENS1_30default_config_static_selectorELNS0_4arch9wavefront6targetE1EEEvT1_,comdat
	.protected	_ZN7rocprim17ROCPRIM_400000_NS6detail17trampoline_kernelINS0_14default_configENS1_29reduce_by_key_config_selectorIhlN6thrust23THRUST_200600_302600_NS4plusIlEEEEZZNS1_33reduce_by_key_impl_wrapped_configILNS1_25lookback_scan_determinismE0ES3_S9_PhNS6_17constant_iteratorIiNS6_11use_defaultESE_EENS6_10device_ptrIhEENSG_IlEEPmS8_NS6_8equal_toIhEEEE10hipError_tPvRmT2_T3_mT4_T5_T6_T7_T8_P12ihipStream_tbENKUlT_T0_E_clISt17integral_constantIbLb1EES12_IbLb0EEEEDaSY_SZ_EUlSY_E_NS1_11comp_targetILNS1_3genE10ELNS1_11target_archE1201ELNS1_3gpuE5ELNS1_3repE0EEENS1_30default_config_static_selectorELNS0_4arch9wavefront6targetE1EEEvT1_ ; -- Begin function _ZN7rocprim17ROCPRIM_400000_NS6detail17trampoline_kernelINS0_14default_configENS1_29reduce_by_key_config_selectorIhlN6thrust23THRUST_200600_302600_NS4plusIlEEEEZZNS1_33reduce_by_key_impl_wrapped_configILNS1_25lookback_scan_determinismE0ES3_S9_PhNS6_17constant_iteratorIiNS6_11use_defaultESE_EENS6_10device_ptrIhEENSG_IlEEPmS8_NS6_8equal_toIhEEEE10hipError_tPvRmT2_T3_mT4_T5_T6_T7_T8_P12ihipStream_tbENKUlT_T0_E_clISt17integral_constantIbLb1EES12_IbLb0EEEEDaSY_SZ_EUlSY_E_NS1_11comp_targetILNS1_3genE10ELNS1_11target_archE1201ELNS1_3gpuE5ELNS1_3repE0EEENS1_30default_config_static_selectorELNS0_4arch9wavefront6targetE1EEEvT1_
	.globl	_ZN7rocprim17ROCPRIM_400000_NS6detail17trampoline_kernelINS0_14default_configENS1_29reduce_by_key_config_selectorIhlN6thrust23THRUST_200600_302600_NS4plusIlEEEEZZNS1_33reduce_by_key_impl_wrapped_configILNS1_25lookback_scan_determinismE0ES3_S9_PhNS6_17constant_iteratorIiNS6_11use_defaultESE_EENS6_10device_ptrIhEENSG_IlEEPmS8_NS6_8equal_toIhEEEE10hipError_tPvRmT2_T3_mT4_T5_T6_T7_T8_P12ihipStream_tbENKUlT_T0_E_clISt17integral_constantIbLb1EES12_IbLb0EEEEDaSY_SZ_EUlSY_E_NS1_11comp_targetILNS1_3genE10ELNS1_11target_archE1201ELNS1_3gpuE5ELNS1_3repE0EEENS1_30default_config_static_selectorELNS0_4arch9wavefront6targetE1EEEvT1_
	.p2align	8
	.type	_ZN7rocprim17ROCPRIM_400000_NS6detail17trampoline_kernelINS0_14default_configENS1_29reduce_by_key_config_selectorIhlN6thrust23THRUST_200600_302600_NS4plusIlEEEEZZNS1_33reduce_by_key_impl_wrapped_configILNS1_25lookback_scan_determinismE0ES3_S9_PhNS6_17constant_iteratorIiNS6_11use_defaultESE_EENS6_10device_ptrIhEENSG_IlEEPmS8_NS6_8equal_toIhEEEE10hipError_tPvRmT2_T3_mT4_T5_T6_T7_T8_P12ihipStream_tbENKUlT_T0_E_clISt17integral_constantIbLb1EES12_IbLb0EEEEDaSY_SZ_EUlSY_E_NS1_11comp_targetILNS1_3genE10ELNS1_11target_archE1201ELNS1_3gpuE5ELNS1_3repE0EEENS1_30default_config_static_selectorELNS0_4arch9wavefront6targetE1EEEvT1_,@function
_ZN7rocprim17ROCPRIM_400000_NS6detail17trampoline_kernelINS0_14default_configENS1_29reduce_by_key_config_selectorIhlN6thrust23THRUST_200600_302600_NS4plusIlEEEEZZNS1_33reduce_by_key_impl_wrapped_configILNS1_25lookback_scan_determinismE0ES3_S9_PhNS6_17constant_iteratorIiNS6_11use_defaultESE_EENS6_10device_ptrIhEENSG_IlEEPmS8_NS6_8equal_toIhEEEE10hipError_tPvRmT2_T3_mT4_T5_T6_T7_T8_P12ihipStream_tbENKUlT_T0_E_clISt17integral_constantIbLb1EES12_IbLb0EEEEDaSY_SZ_EUlSY_E_NS1_11comp_targetILNS1_3genE10ELNS1_11target_archE1201ELNS1_3gpuE5ELNS1_3repE0EEENS1_30default_config_static_selectorELNS0_4arch9wavefront6targetE1EEEvT1_: ; @_ZN7rocprim17ROCPRIM_400000_NS6detail17trampoline_kernelINS0_14default_configENS1_29reduce_by_key_config_selectorIhlN6thrust23THRUST_200600_302600_NS4plusIlEEEEZZNS1_33reduce_by_key_impl_wrapped_configILNS1_25lookback_scan_determinismE0ES3_S9_PhNS6_17constant_iteratorIiNS6_11use_defaultESE_EENS6_10device_ptrIhEENSG_IlEEPmS8_NS6_8equal_toIhEEEE10hipError_tPvRmT2_T3_mT4_T5_T6_T7_T8_P12ihipStream_tbENKUlT_T0_E_clISt17integral_constantIbLb1EES12_IbLb0EEEEDaSY_SZ_EUlSY_E_NS1_11comp_targetILNS1_3genE10ELNS1_11target_archE1201ELNS1_3gpuE5ELNS1_3repE0EEENS1_30default_config_static_selectorELNS0_4arch9wavefront6targetE1EEEvT1_
; %bb.0:
	.section	.rodata,"a",@progbits
	.p2align	6, 0x0
	.amdhsa_kernel _ZN7rocprim17ROCPRIM_400000_NS6detail17trampoline_kernelINS0_14default_configENS1_29reduce_by_key_config_selectorIhlN6thrust23THRUST_200600_302600_NS4plusIlEEEEZZNS1_33reduce_by_key_impl_wrapped_configILNS1_25lookback_scan_determinismE0ES3_S9_PhNS6_17constant_iteratorIiNS6_11use_defaultESE_EENS6_10device_ptrIhEENSG_IlEEPmS8_NS6_8equal_toIhEEEE10hipError_tPvRmT2_T3_mT4_T5_T6_T7_T8_P12ihipStream_tbENKUlT_T0_E_clISt17integral_constantIbLb1EES12_IbLb0EEEEDaSY_SZ_EUlSY_E_NS1_11comp_targetILNS1_3genE10ELNS1_11target_archE1201ELNS1_3gpuE5ELNS1_3repE0EEENS1_30default_config_static_selectorELNS0_4arch9wavefront6targetE1EEEvT1_
		.amdhsa_group_segment_fixed_size 0
		.amdhsa_private_segment_fixed_size 0
		.amdhsa_kernarg_size 144
		.amdhsa_user_sgpr_count 6
		.amdhsa_user_sgpr_private_segment_buffer 1
		.amdhsa_user_sgpr_dispatch_ptr 0
		.amdhsa_user_sgpr_queue_ptr 0
		.amdhsa_user_sgpr_kernarg_segment_ptr 1
		.amdhsa_user_sgpr_dispatch_id 0
		.amdhsa_user_sgpr_flat_scratch_init 0
		.amdhsa_user_sgpr_kernarg_preload_length 0
		.amdhsa_user_sgpr_kernarg_preload_offset 0
		.amdhsa_user_sgpr_private_segment_size 0
		.amdhsa_uses_dynamic_stack 0
		.amdhsa_system_sgpr_private_segment_wavefront_offset 0
		.amdhsa_system_sgpr_workgroup_id_x 1
		.amdhsa_system_sgpr_workgroup_id_y 0
		.amdhsa_system_sgpr_workgroup_id_z 0
		.amdhsa_system_sgpr_workgroup_info 0
		.amdhsa_system_vgpr_workitem_id 0
		.amdhsa_next_free_vgpr 1
		.amdhsa_next_free_sgpr 0
		.amdhsa_accum_offset 4
		.amdhsa_reserve_vcc 0
		.amdhsa_reserve_flat_scratch 0
		.amdhsa_float_round_mode_32 0
		.amdhsa_float_round_mode_16_64 0
		.amdhsa_float_denorm_mode_32 3
		.amdhsa_float_denorm_mode_16_64 3
		.amdhsa_dx10_clamp 1
		.amdhsa_ieee_mode 1
		.amdhsa_fp16_overflow 0
		.amdhsa_tg_split 0
		.amdhsa_exception_fp_ieee_invalid_op 0
		.amdhsa_exception_fp_denorm_src 0
		.amdhsa_exception_fp_ieee_div_zero 0
		.amdhsa_exception_fp_ieee_overflow 0
		.amdhsa_exception_fp_ieee_underflow 0
		.amdhsa_exception_fp_ieee_inexact 0
		.amdhsa_exception_int_div_zero 0
	.end_amdhsa_kernel
	.section	.text._ZN7rocprim17ROCPRIM_400000_NS6detail17trampoline_kernelINS0_14default_configENS1_29reduce_by_key_config_selectorIhlN6thrust23THRUST_200600_302600_NS4plusIlEEEEZZNS1_33reduce_by_key_impl_wrapped_configILNS1_25lookback_scan_determinismE0ES3_S9_PhNS6_17constant_iteratorIiNS6_11use_defaultESE_EENS6_10device_ptrIhEENSG_IlEEPmS8_NS6_8equal_toIhEEEE10hipError_tPvRmT2_T3_mT4_T5_T6_T7_T8_P12ihipStream_tbENKUlT_T0_E_clISt17integral_constantIbLb1EES12_IbLb0EEEEDaSY_SZ_EUlSY_E_NS1_11comp_targetILNS1_3genE10ELNS1_11target_archE1201ELNS1_3gpuE5ELNS1_3repE0EEENS1_30default_config_static_selectorELNS0_4arch9wavefront6targetE1EEEvT1_,"axG",@progbits,_ZN7rocprim17ROCPRIM_400000_NS6detail17trampoline_kernelINS0_14default_configENS1_29reduce_by_key_config_selectorIhlN6thrust23THRUST_200600_302600_NS4plusIlEEEEZZNS1_33reduce_by_key_impl_wrapped_configILNS1_25lookback_scan_determinismE0ES3_S9_PhNS6_17constant_iteratorIiNS6_11use_defaultESE_EENS6_10device_ptrIhEENSG_IlEEPmS8_NS6_8equal_toIhEEEE10hipError_tPvRmT2_T3_mT4_T5_T6_T7_T8_P12ihipStream_tbENKUlT_T0_E_clISt17integral_constantIbLb1EES12_IbLb0EEEEDaSY_SZ_EUlSY_E_NS1_11comp_targetILNS1_3genE10ELNS1_11target_archE1201ELNS1_3gpuE5ELNS1_3repE0EEENS1_30default_config_static_selectorELNS0_4arch9wavefront6targetE1EEEvT1_,comdat
.Lfunc_end389:
	.size	_ZN7rocprim17ROCPRIM_400000_NS6detail17trampoline_kernelINS0_14default_configENS1_29reduce_by_key_config_selectorIhlN6thrust23THRUST_200600_302600_NS4plusIlEEEEZZNS1_33reduce_by_key_impl_wrapped_configILNS1_25lookback_scan_determinismE0ES3_S9_PhNS6_17constant_iteratorIiNS6_11use_defaultESE_EENS6_10device_ptrIhEENSG_IlEEPmS8_NS6_8equal_toIhEEEE10hipError_tPvRmT2_T3_mT4_T5_T6_T7_T8_P12ihipStream_tbENKUlT_T0_E_clISt17integral_constantIbLb1EES12_IbLb0EEEEDaSY_SZ_EUlSY_E_NS1_11comp_targetILNS1_3genE10ELNS1_11target_archE1201ELNS1_3gpuE5ELNS1_3repE0EEENS1_30default_config_static_selectorELNS0_4arch9wavefront6targetE1EEEvT1_, .Lfunc_end389-_ZN7rocprim17ROCPRIM_400000_NS6detail17trampoline_kernelINS0_14default_configENS1_29reduce_by_key_config_selectorIhlN6thrust23THRUST_200600_302600_NS4plusIlEEEEZZNS1_33reduce_by_key_impl_wrapped_configILNS1_25lookback_scan_determinismE0ES3_S9_PhNS6_17constant_iteratorIiNS6_11use_defaultESE_EENS6_10device_ptrIhEENSG_IlEEPmS8_NS6_8equal_toIhEEEE10hipError_tPvRmT2_T3_mT4_T5_T6_T7_T8_P12ihipStream_tbENKUlT_T0_E_clISt17integral_constantIbLb1EES12_IbLb0EEEEDaSY_SZ_EUlSY_E_NS1_11comp_targetILNS1_3genE10ELNS1_11target_archE1201ELNS1_3gpuE5ELNS1_3repE0EEENS1_30default_config_static_selectorELNS0_4arch9wavefront6targetE1EEEvT1_
                                        ; -- End function
	.section	.AMDGPU.csdata,"",@progbits
; Kernel info:
; codeLenInByte = 0
; NumSgprs: 4
; NumVgprs: 0
; NumAgprs: 0
; TotalNumVgprs: 0
; ScratchSize: 0
; MemoryBound: 0
; FloatMode: 240
; IeeeMode: 1
; LDSByteSize: 0 bytes/workgroup (compile time only)
; SGPRBlocks: 0
; VGPRBlocks: 0
; NumSGPRsForWavesPerEU: 4
; NumVGPRsForWavesPerEU: 1
; AccumOffset: 4
; Occupancy: 8
; WaveLimiterHint : 0
; COMPUTE_PGM_RSRC2:SCRATCH_EN: 0
; COMPUTE_PGM_RSRC2:USER_SGPR: 6
; COMPUTE_PGM_RSRC2:TRAP_HANDLER: 0
; COMPUTE_PGM_RSRC2:TGID_X_EN: 1
; COMPUTE_PGM_RSRC2:TGID_Y_EN: 0
; COMPUTE_PGM_RSRC2:TGID_Z_EN: 0
; COMPUTE_PGM_RSRC2:TIDIG_COMP_CNT: 0
; COMPUTE_PGM_RSRC3_GFX90A:ACCUM_OFFSET: 0
; COMPUTE_PGM_RSRC3_GFX90A:TG_SPLIT: 0
	.section	.text._ZN7rocprim17ROCPRIM_400000_NS6detail17trampoline_kernelINS0_14default_configENS1_29reduce_by_key_config_selectorIhlN6thrust23THRUST_200600_302600_NS4plusIlEEEEZZNS1_33reduce_by_key_impl_wrapped_configILNS1_25lookback_scan_determinismE0ES3_S9_PhNS6_17constant_iteratorIiNS6_11use_defaultESE_EENS6_10device_ptrIhEENSG_IlEEPmS8_NS6_8equal_toIhEEEE10hipError_tPvRmT2_T3_mT4_T5_T6_T7_T8_P12ihipStream_tbENKUlT_T0_E_clISt17integral_constantIbLb1EES12_IbLb0EEEEDaSY_SZ_EUlSY_E_NS1_11comp_targetILNS1_3genE10ELNS1_11target_archE1200ELNS1_3gpuE4ELNS1_3repE0EEENS1_30default_config_static_selectorELNS0_4arch9wavefront6targetE1EEEvT1_,"axG",@progbits,_ZN7rocprim17ROCPRIM_400000_NS6detail17trampoline_kernelINS0_14default_configENS1_29reduce_by_key_config_selectorIhlN6thrust23THRUST_200600_302600_NS4plusIlEEEEZZNS1_33reduce_by_key_impl_wrapped_configILNS1_25lookback_scan_determinismE0ES3_S9_PhNS6_17constant_iteratorIiNS6_11use_defaultESE_EENS6_10device_ptrIhEENSG_IlEEPmS8_NS6_8equal_toIhEEEE10hipError_tPvRmT2_T3_mT4_T5_T6_T7_T8_P12ihipStream_tbENKUlT_T0_E_clISt17integral_constantIbLb1EES12_IbLb0EEEEDaSY_SZ_EUlSY_E_NS1_11comp_targetILNS1_3genE10ELNS1_11target_archE1200ELNS1_3gpuE4ELNS1_3repE0EEENS1_30default_config_static_selectorELNS0_4arch9wavefront6targetE1EEEvT1_,comdat
	.protected	_ZN7rocprim17ROCPRIM_400000_NS6detail17trampoline_kernelINS0_14default_configENS1_29reduce_by_key_config_selectorIhlN6thrust23THRUST_200600_302600_NS4plusIlEEEEZZNS1_33reduce_by_key_impl_wrapped_configILNS1_25lookback_scan_determinismE0ES3_S9_PhNS6_17constant_iteratorIiNS6_11use_defaultESE_EENS6_10device_ptrIhEENSG_IlEEPmS8_NS6_8equal_toIhEEEE10hipError_tPvRmT2_T3_mT4_T5_T6_T7_T8_P12ihipStream_tbENKUlT_T0_E_clISt17integral_constantIbLb1EES12_IbLb0EEEEDaSY_SZ_EUlSY_E_NS1_11comp_targetILNS1_3genE10ELNS1_11target_archE1200ELNS1_3gpuE4ELNS1_3repE0EEENS1_30default_config_static_selectorELNS0_4arch9wavefront6targetE1EEEvT1_ ; -- Begin function _ZN7rocprim17ROCPRIM_400000_NS6detail17trampoline_kernelINS0_14default_configENS1_29reduce_by_key_config_selectorIhlN6thrust23THRUST_200600_302600_NS4plusIlEEEEZZNS1_33reduce_by_key_impl_wrapped_configILNS1_25lookback_scan_determinismE0ES3_S9_PhNS6_17constant_iteratorIiNS6_11use_defaultESE_EENS6_10device_ptrIhEENSG_IlEEPmS8_NS6_8equal_toIhEEEE10hipError_tPvRmT2_T3_mT4_T5_T6_T7_T8_P12ihipStream_tbENKUlT_T0_E_clISt17integral_constantIbLb1EES12_IbLb0EEEEDaSY_SZ_EUlSY_E_NS1_11comp_targetILNS1_3genE10ELNS1_11target_archE1200ELNS1_3gpuE4ELNS1_3repE0EEENS1_30default_config_static_selectorELNS0_4arch9wavefront6targetE1EEEvT1_
	.globl	_ZN7rocprim17ROCPRIM_400000_NS6detail17trampoline_kernelINS0_14default_configENS1_29reduce_by_key_config_selectorIhlN6thrust23THRUST_200600_302600_NS4plusIlEEEEZZNS1_33reduce_by_key_impl_wrapped_configILNS1_25lookback_scan_determinismE0ES3_S9_PhNS6_17constant_iteratorIiNS6_11use_defaultESE_EENS6_10device_ptrIhEENSG_IlEEPmS8_NS6_8equal_toIhEEEE10hipError_tPvRmT2_T3_mT4_T5_T6_T7_T8_P12ihipStream_tbENKUlT_T0_E_clISt17integral_constantIbLb1EES12_IbLb0EEEEDaSY_SZ_EUlSY_E_NS1_11comp_targetILNS1_3genE10ELNS1_11target_archE1200ELNS1_3gpuE4ELNS1_3repE0EEENS1_30default_config_static_selectorELNS0_4arch9wavefront6targetE1EEEvT1_
	.p2align	8
	.type	_ZN7rocprim17ROCPRIM_400000_NS6detail17trampoline_kernelINS0_14default_configENS1_29reduce_by_key_config_selectorIhlN6thrust23THRUST_200600_302600_NS4plusIlEEEEZZNS1_33reduce_by_key_impl_wrapped_configILNS1_25lookback_scan_determinismE0ES3_S9_PhNS6_17constant_iteratorIiNS6_11use_defaultESE_EENS6_10device_ptrIhEENSG_IlEEPmS8_NS6_8equal_toIhEEEE10hipError_tPvRmT2_T3_mT4_T5_T6_T7_T8_P12ihipStream_tbENKUlT_T0_E_clISt17integral_constantIbLb1EES12_IbLb0EEEEDaSY_SZ_EUlSY_E_NS1_11comp_targetILNS1_3genE10ELNS1_11target_archE1200ELNS1_3gpuE4ELNS1_3repE0EEENS1_30default_config_static_selectorELNS0_4arch9wavefront6targetE1EEEvT1_,@function
_ZN7rocprim17ROCPRIM_400000_NS6detail17trampoline_kernelINS0_14default_configENS1_29reduce_by_key_config_selectorIhlN6thrust23THRUST_200600_302600_NS4plusIlEEEEZZNS1_33reduce_by_key_impl_wrapped_configILNS1_25lookback_scan_determinismE0ES3_S9_PhNS6_17constant_iteratorIiNS6_11use_defaultESE_EENS6_10device_ptrIhEENSG_IlEEPmS8_NS6_8equal_toIhEEEE10hipError_tPvRmT2_T3_mT4_T5_T6_T7_T8_P12ihipStream_tbENKUlT_T0_E_clISt17integral_constantIbLb1EES12_IbLb0EEEEDaSY_SZ_EUlSY_E_NS1_11comp_targetILNS1_3genE10ELNS1_11target_archE1200ELNS1_3gpuE4ELNS1_3repE0EEENS1_30default_config_static_selectorELNS0_4arch9wavefront6targetE1EEEvT1_: ; @_ZN7rocprim17ROCPRIM_400000_NS6detail17trampoline_kernelINS0_14default_configENS1_29reduce_by_key_config_selectorIhlN6thrust23THRUST_200600_302600_NS4plusIlEEEEZZNS1_33reduce_by_key_impl_wrapped_configILNS1_25lookback_scan_determinismE0ES3_S9_PhNS6_17constant_iteratorIiNS6_11use_defaultESE_EENS6_10device_ptrIhEENSG_IlEEPmS8_NS6_8equal_toIhEEEE10hipError_tPvRmT2_T3_mT4_T5_T6_T7_T8_P12ihipStream_tbENKUlT_T0_E_clISt17integral_constantIbLb1EES12_IbLb0EEEEDaSY_SZ_EUlSY_E_NS1_11comp_targetILNS1_3genE10ELNS1_11target_archE1200ELNS1_3gpuE4ELNS1_3repE0EEENS1_30default_config_static_selectorELNS0_4arch9wavefront6targetE1EEEvT1_
; %bb.0:
	.section	.rodata,"a",@progbits
	.p2align	6, 0x0
	.amdhsa_kernel _ZN7rocprim17ROCPRIM_400000_NS6detail17trampoline_kernelINS0_14default_configENS1_29reduce_by_key_config_selectorIhlN6thrust23THRUST_200600_302600_NS4plusIlEEEEZZNS1_33reduce_by_key_impl_wrapped_configILNS1_25lookback_scan_determinismE0ES3_S9_PhNS6_17constant_iteratorIiNS6_11use_defaultESE_EENS6_10device_ptrIhEENSG_IlEEPmS8_NS6_8equal_toIhEEEE10hipError_tPvRmT2_T3_mT4_T5_T6_T7_T8_P12ihipStream_tbENKUlT_T0_E_clISt17integral_constantIbLb1EES12_IbLb0EEEEDaSY_SZ_EUlSY_E_NS1_11comp_targetILNS1_3genE10ELNS1_11target_archE1200ELNS1_3gpuE4ELNS1_3repE0EEENS1_30default_config_static_selectorELNS0_4arch9wavefront6targetE1EEEvT1_
		.amdhsa_group_segment_fixed_size 0
		.amdhsa_private_segment_fixed_size 0
		.amdhsa_kernarg_size 144
		.amdhsa_user_sgpr_count 6
		.amdhsa_user_sgpr_private_segment_buffer 1
		.amdhsa_user_sgpr_dispatch_ptr 0
		.amdhsa_user_sgpr_queue_ptr 0
		.amdhsa_user_sgpr_kernarg_segment_ptr 1
		.amdhsa_user_sgpr_dispatch_id 0
		.amdhsa_user_sgpr_flat_scratch_init 0
		.amdhsa_user_sgpr_kernarg_preload_length 0
		.amdhsa_user_sgpr_kernarg_preload_offset 0
		.amdhsa_user_sgpr_private_segment_size 0
		.amdhsa_uses_dynamic_stack 0
		.amdhsa_system_sgpr_private_segment_wavefront_offset 0
		.amdhsa_system_sgpr_workgroup_id_x 1
		.amdhsa_system_sgpr_workgroup_id_y 0
		.amdhsa_system_sgpr_workgroup_id_z 0
		.amdhsa_system_sgpr_workgroup_info 0
		.amdhsa_system_vgpr_workitem_id 0
		.amdhsa_next_free_vgpr 1
		.amdhsa_next_free_sgpr 0
		.amdhsa_accum_offset 4
		.amdhsa_reserve_vcc 0
		.amdhsa_reserve_flat_scratch 0
		.amdhsa_float_round_mode_32 0
		.amdhsa_float_round_mode_16_64 0
		.amdhsa_float_denorm_mode_32 3
		.amdhsa_float_denorm_mode_16_64 3
		.amdhsa_dx10_clamp 1
		.amdhsa_ieee_mode 1
		.amdhsa_fp16_overflow 0
		.amdhsa_tg_split 0
		.amdhsa_exception_fp_ieee_invalid_op 0
		.amdhsa_exception_fp_denorm_src 0
		.amdhsa_exception_fp_ieee_div_zero 0
		.amdhsa_exception_fp_ieee_overflow 0
		.amdhsa_exception_fp_ieee_underflow 0
		.amdhsa_exception_fp_ieee_inexact 0
		.amdhsa_exception_int_div_zero 0
	.end_amdhsa_kernel
	.section	.text._ZN7rocprim17ROCPRIM_400000_NS6detail17trampoline_kernelINS0_14default_configENS1_29reduce_by_key_config_selectorIhlN6thrust23THRUST_200600_302600_NS4plusIlEEEEZZNS1_33reduce_by_key_impl_wrapped_configILNS1_25lookback_scan_determinismE0ES3_S9_PhNS6_17constant_iteratorIiNS6_11use_defaultESE_EENS6_10device_ptrIhEENSG_IlEEPmS8_NS6_8equal_toIhEEEE10hipError_tPvRmT2_T3_mT4_T5_T6_T7_T8_P12ihipStream_tbENKUlT_T0_E_clISt17integral_constantIbLb1EES12_IbLb0EEEEDaSY_SZ_EUlSY_E_NS1_11comp_targetILNS1_3genE10ELNS1_11target_archE1200ELNS1_3gpuE4ELNS1_3repE0EEENS1_30default_config_static_selectorELNS0_4arch9wavefront6targetE1EEEvT1_,"axG",@progbits,_ZN7rocprim17ROCPRIM_400000_NS6detail17trampoline_kernelINS0_14default_configENS1_29reduce_by_key_config_selectorIhlN6thrust23THRUST_200600_302600_NS4plusIlEEEEZZNS1_33reduce_by_key_impl_wrapped_configILNS1_25lookback_scan_determinismE0ES3_S9_PhNS6_17constant_iteratorIiNS6_11use_defaultESE_EENS6_10device_ptrIhEENSG_IlEEPmS8_NS6_8equal_toIhEEEE10hipError_tPvRmT2_T3_mT4_T5_T6_T7_T8_P12ihipStream_tbENKUlT_T0_E_clISt17integral_constantIbLb1EES12_IbLb0EEEEDaSY_SZ_EUlSY_E_NS1_11comp_targetILNS1_3genE10ELNS1_11target_archE1200ELNS1_3gpuE4ELNS1_3repE0EEENS1_30default_config_static_selectorELNS0_4arch9wavefront6targetE1EEEvT1_,comdat
.Lfunc_end390:
	.size	_ZN7rocprim17ROCPRIM_400000_NS6detail17trampoline_kernelINS0_14default_configENS1_29reduce_by_key_config_selectorIhlN6thrust23THRUST_200600_302600_NS4plusIlEEEEZZNS1_33reduce_by_key_impl_wrapped_configILNS1_25lookback_scan_determinismE0ES3_S9_PhNS6_17constant_iteratorIiNS6_11use_defaultESE_EENS6_10device_ptrIhEENSG_IlEEPmS8_NS6_8equal_toIhEEEE10hipError_tPvRmT2_T3_mT4_T5_T6_T7_T8_P12ihipStream_tbENKUlT_T0_E_clISt17integral_constantIbLb1EES12_IbLb0EEEEDaSY_SZ_EUlSY_E_NS1_11comp_targetILNS1_3genE10ELNS1_11target_archE1200ELNS1_3gpuE4ELNS1_3repE0EEENS1_30default_config_static_selectorELNS0_4arch9wavefront6targetE1EEEvT1_, .Lfunc_end390-_ZN7rocprim17ROCPRIM_400000_NS6detail17trampoline_kernelINS0_14default_configENS1_29reduce_by_key_config_selectorIhlN6thrust23THRUST_200600_302600_NS4plusIlEEEEZZNS1_33reduce_by_key_impl_wrapped_configILNS1_25lookback_scan_determinismE0ES3_S9_PhNS6_17constant_iteratorIiNS6_11use_defaultESE_EENS6_10device_ptrIhEENSG_IlEEPmS8_NS6_8equal_toIhEEEE10hipError_tPvRmT2_T3_mT4_T5_T6_T7_T8_P12ihipStream_tbENKUlT_T0_E_clISt17integral_constantIbLb1EES12_IbLb0EEEEDaSY_SZ_EUlSY_E_NS1_11comp_targetILNS1_3genE10ELNS1_11target_archE1200ELNS1_3gpuE4ELNS1_3repE0EEENS1_30default_config_static_selectorELNS0_4arch9wavefront6targetE1EEEvT1_
                                        ; -- End function
	.section	.AMDGPU.csdata,"",@progbits
; Kernel info:
; codeLenInByte = 0
; NumSgprs: 4
; NumVgprs: 0
; NumAgprs: 0
; TotalNumVgprs: 0
; ScratchSize: 0
; MemoryBound: 0
; FloatMode: 240
; IeeeMode: 1
; LDSByteSize: 0 bytes/workgroup (compile time only)
; SGPRBlocks: 0
; VGPRBlocks: 0
; NumSGPRsForWavesPerEU: 4
; NumVGPRsForWavesPerEU: 1
; AccumOffset: 4
; Occupancy: 8
; WaveLimiterHint : 0
; COMPUTE_PGM_RSRC2:SCRATCH_EN: 0
; COMPUTE_PGM_RSRC2:USER_SGPR: 6
; COMPUTE_PGM_RSRC2:TRAP_HANDLER: 0
; COMPUTE_PGM_RSRC2:TGID_X_EN: 1
; COMPUTE_PGM_RSRC2:TGID_Y_EN: 0
; COMPUTE_PGM_RSRC2:TGID_Z_EN: 0
; COMPUTE_PGM_RSRC2:TIDIG_COMP_CNT: 0
; COMPUTE_PGM_RSRC3_GFX90A:ACCUM_OFFSET: 0
; COMPUTE_PGM_RSRC3_GFX90A:TG_SPLIT: 0
	.section	.text._ZN7rocprim17ROCPRIM_400000_NS6detail17trampoline_kernelINS0_14default_configENS1_29reduce_by_key_config_selectorIhlN6thrust23THRUST_200600_302600_NS4plusIlEEEEZZNS1_33reduce_by_key_impl_wrapped_configILNS1_25lookback_scan_determinismE0ES3_S9_PhNS6_17constant_iteratorIiNS6_11use_defaultESE_EENS6_10device_ptrIhEENSG_IlEEPmS8_NS6_8equal_toIhEEEE10hipError_tPvRmT2_T3_mT4_T5_T6_T7_T8_P12ihipStream_tbENKUlT_T0_E_clISt17integral_constantIbLb1EES12_IbLb0EEEEDaSY_SZ_EUlSY_E_NS1_11comp_targetILNS1_3genE9ELNS1_11target_archE1100ELNS1_3gpuE3ELNS1_3repE0EEENS1_30default_config_static_selectorELNS0_4arch9wavefront6targetE1EEEvT1_,"axG",@progbits,_ZN7rocprim17ROCPRIM_400000_NS6detail17trampoline_kernelINS0_14default_configENS1_29reduce_by_key_config_selectorIhlN6thrust23THRUST_200600_302600_NS4plusIlEEEEZZNS1_33reduce_by_key_impl_wrapped_configILNS1_25lookback_scan_determinismE0ES3_S9_PhNS6_17constant_iteratorIiNS6_11use_defaultESE_EENS6_10device_ptrIhEENSG_IlEEPmS8_NS6_8equal_toIhEEEE10hipError_tPvRmT2_T3_mT4_T5_T6_T7_T8_P12ihipStream_tbENKUlT_T0_E_clISt17integral_constantIbLb1EES12_IbLb0EEEEDaSY_SZ_EUlSY_E_NS1_11comp_targetILNS1_3genE9ELNS1_11target_archE1100ELNS1_3gpuE3ELNS1_3repE0EEENS1_30default_config_static_selectorELNS0_4arch9wavefront6targetE1EEEvT1_,comdat
	.protected	_ZN7rocprim17ROCPRIM_400000_NS6detail17trampoline_kernelINS0_14default_configENS1_29reduce_by_key_config_selectorIhlN6thrust23THRUST_200600_302600_NS4plusIlEEEEZZNS1_33reduce_by_key_impl_wrapped_configILNS1_25lookback_scan_determinismE0ES3_S9_PhNS6_17constant_iteratorIiNS6_11use_defaultESE_EENS6_10device_ptrIhEENSG_IlEEPmS8_NS6_8equal_toIhEEEE10hipError_tPvRmT2_T3_mT4_T5_T6_T7_T8_P12ihipStream_tbENKUlT_T0_E_clISt17integral_constantIbLb1EES12_IbLb0EEEEDaSY_SZ_EUlSY_E_NS1_11comp_targetILNS1_3genE9ELNS1_11target_archE1100ELNS1_3gpuE3ELNS1_3repE0EEENS1_30default_config_static_selectorELNS0_4arch9wavefront6targetE1EEEvT1_ ; -- Begin function _ZN7rocprim17ROCPRIM_400000_NS6detail17trampoline_kernelINS0_14default_configENS1_29reduce_by_key_config_selectorIhlN6thrust23THRUST_200600_302600_NS4plusIlEEEEZZNS1_33reduce_by_key_impl_wrapped_configILNS1_25lookback_scan_determinismE0ES3_S9_PhNS6_17constant_iteratorIiNS6_11use_defaultESE_EENS6_10device_ptrIhEENSG_IlEEPmS8_NS6_8equal_toIhEEEE10hipError_tPvRmT2_T3_mT4_T5_T6_T7_T8_P12ihipStream_tbENKUlT_T0_E_clISt17integral_constantIbLb1EES12_IbLb0EEEEDaSY_SZ_EUlSY_E_NS1_11comp_targetILNS1_3genE9ELNS1_11target_archE1100ELNS1_3gpuE3ELNS1_3repE0EEENS1_30default_config_static_selectorELNS0_4arch9wavefront6targetE1EEEvT1_
	.globl	_ZN7rocprim17ROCPRIM_400000_NS6detail17trampoline_kernelINS0_14default_configENS1_29reduce_by_key_config_selectorIhlN6thrust23THRUST_200600_302600_NS4plusIlEEEEZZNS1_33reduce_by_key_impl_wrapped_configILNS1_25lookback_scan_determinismE0ES3_S9_PhNS6_17constant_iteratorIiNS6_11use_defaultESE_EENS6_10device_ptrIhEENSG_IlEEPmS8_NS6_8equal_toIhEEEE10hipError_tPvRmT2_T3_mT4_T5_T6_T7_T8_P12ihipStream_tbENKUlT_T0_E_clISt17integral_constantIbLb1EES12_IbLb0EEEEDaSY_SZ_EUlSY_E_NS1_11comp_targetILNS1_3genE9ELNS1_11target_archE1100ELNS1_3gpuE3ELNS1_3repE0EEENS1_30default_config_static_selectorELNS0_4arch9wavefront6targetE1EEEvT1_
	.p2align	8
	.type	_ZN7rocprim17ROCPRIM_400000_NS6detail17trampoline_kernelINS0_14default_configENS1_29reduce_by_key_config_selectorIhlN6thrust23THRUST_200600_302600_NS4plusIlEEEEZZNS1_33reduce_by_key_impl_wrapped_configILNS1_25lookback_scan_determinismE0ES3_S9_PhNS6_17constant_iteratorIiNS6_11use_defaultESE_EENS6_10device_ptrIhEENSG_IlEEPmS8_NS6_8equal_toIhEEEE10hipError_tPvRmT2_T3_mT4_T5_T6_T7_T8_P12ihipStream_tbENKUlT_T0_E_clISt17integral_constantIbLb1EES12_IbLb0EEEEDaSY_SZ_EUlSY_E_NS1_11comp_targetILNS1_3genE9ELNS1_11target_archE1100ELNS1_3gpuE3ELNS1_3repE0EEENS1_30default_config_static_selectorELNS0_4arch9wavefront6targetE1EEEvT1_,@function
_ZN7rocprim17ROCPRIM_400000_NS6detail17trampoline_kernelINS0_14default_configENS1_29reduce_by_key_config_selectorIhlN6thrust23THRUST_200600_302600_NS4plusIlEEEEZZNS1_33reduce_by_key_impl_wrapped_configILNS1_25lookback_scan_determinismE0ES3_S9_PhNS6_17constant_iteratorIiNS6_11use_defaultESE_EENS6_10device_ptrIhEENSG_IlEEPmS8_NS6_8equal_toIhEEEE10hipError_tPvRmT2_T3_mT4_T5_T6_T7_T8_P12ihipStream_tbENKUlT_T0_E_clISt17integral_constantIbLb1EES12_IbLb0EEEEDaSY_SZ_EUlSY_E_NS1_11comp_targetILNS1_3genE9ELNS1_11target_archE1100ELNS1_3gpuE3ELNS1_3repE0EEENS1_30default_config_static_selectorELNS0_4arch9wavefront6targetE1EEEvT1_: ; @_ZN7rocprim17ROCPRIM_400000_NS6detail17trampoline_kernelINS0_14default_configENS1_29reduce_by_key_config_selectorIhlN6thrust23THRUST_200600_302600_NS4plusIlEEEEZZNS1_33reduce_by_key_impl_wrapped_configILNS1_25lookback_scan_determinismE0ES3_S9_PhNS6_17constant_iteratorIiNS6_11use_defaultESE_EENS6_10device_ptrIhEENSG_IlEEPmS8_NS6_8equal_toIhEEEE10hipError_tPvRmT2_T3_mT4_T5_T6_T7_T8_P12ihipStream_tbENKUlT_T0_E_clISt17integral_constantIbLb1EES12_IbLb0EEEEDaSY_SZ_EUlSY_E_NS1_11comp_targetILNS1_3genE9ELNS1_11target_archE1100ELNS1_3gpuE3ELNS1_3repE0EEENS1_30default_config_static_selectorELNS0_4arch9wavefront6targetE1EEEvT1_
; %bb.0:
	.section	.rodata,"a",@progbits
	.p2align	6, 0x0
	.amdhsa_kernel _ZN7rocprim17ROCPRIM_400000_NS6detail17trampoline_kernelINS0_14default_configENS1_29reduce_by_key_config_selectorIhlN6thrust23THRUST_200600_302600_NS4plusIlEEEEZZNS1_33reduce_by_key_impl_wrapped_configILNS1_25lookback_scan_determinismE0ES3_S9_PhNS6_17constant_iteratorIiNS6_11use_defaultESE_EENS6_10device_ptrIhEENSG_IlEEPmS8_NS6_8equal_toIhEEEE10hipError_tPvRmT2_T3_mT4_T5_T6_T7_T8_P12ihipStream_tbENKUlT_T0_E_clISt17integral_constantIbLb1EES12_IbLb0EEEEDaSY_SZ_EUlSY_E_NS1_11comp_targetILNS1_3genE9ELNS1_11target_archE1100ELNS1_3gpuE3ELNS1_3repE0EEENS1_30default_config_static_selectorELNS0_4arch9wavefront6targetE1EEEvT1_
		.amdhsa_group_segment_fixed_size 0
		.amdhsa_private_segment_fixed_size 0
		.amdhsa_kernarg_size 144
		.amdhsa_user_sgpr_count 6
		.amdhsa_user_sgpr_private_segment_buffer 1
		.amdhsa_user_sgpr_dispatch_ptr 0
		.amdhsa_user_sgpr_queue_ptr 0
		.amdhsa_user_sgpr_kernarg_segment_ptr 1
		.amdhsa_user_sgpr_dispatch_id 0
		.amdhsa_user_sgpr_flat_scratch_init 0
		.amdhsa_user_sgpr_kernarg_preload_length 0
		.amdhsa_user_sgpr_kernarg_preload_offset 0
		.amdhsa_user_sgpr_private_segment_size 0
		.amdhsa_uses_dynamic_stack 0
		.amdhsa_system_sgpr_private_segment_wavefront_offset 0
		.amdhsa_system_sgpr_workgroup_id_x 1
		.amdhsa_system_sgpr_workgroup_id_y 0
		.amdhsa_system_sgpr_workgroup_id_z 0
		.amdhsa_system_sgpr_workgroup_info 0
		.amdhsa_system_vgpr_workitem_id 0
		.amdhsa_next_free_vgpr 1
		.amdhsa_next_free_sgpr 0
		.amdhsa_accum_offset 4
		.amdhsa_reserve_vcc 0
		.amdhsa_reserve_flat_scratch 0
		.amdhsa_float_round_mode_32 0
		.amdhsa_float_round_mode_16_64 0
		.amdhsa_float_denorm_mode_32 3
		.amdhsa_float_denorm_mode_16_64 3
		.amdhsa_dx10_clamp 1
		.amdhsa_ieee_mode 1
		.amdhsa_fp16_overflow 0
		.amdhsa_tg_split 0
		.amdhsa_exception_fp_ieee_invalid_op 0
		.amdhsa_exception_fp_denorm_src 0
		.amdhsa_exception_fp_ieee_div_zero 0
		.amdhsa_exception_fp_ieee_overflow 0
		.amdhsa_exception_fp_ieee_underflow 0
		.amdhsa_exception_fp_ieee_inexact 0
		.amdhsa_exception_int_div_zero 0
	.end_amdhsa_kernel
	.section	.text._ZN7rocprim17ROCPRIM_400000_NS6detail17trampoline_kernelINS0_14default_configENS1_29reduce_by_key_config_selectorIhlN6thrust23THRUST_200600_302600_NS4plusIlEEEEZZNS1_33reduce_by_key_impl_wrapped_configILNS1_25lookback_scan_determinismE0ES3_S9_PhNS6_17constant_iteratorIiNS6_11use_defaultESE_EENS6_10device_ptrIhEENSG_IlEEPmS8_NS6_8equal_toIhEEEE10hipError_tPvRmT2_T3_mT4_T5_T6_T7_T8_P12ihipStream_tbENKUlT_T0_E_clISt17integral_constantIbLb1EES12_IbLb0EEEEDaSY_SZ_EUlSY_E_NS1_11comp_targetILNS1_3genE9ELNS1_11target_archE1100ELNS1_3gpuE3ELNS1_3repE0EEENS1_30default_config_static_selectorELNS0_4arch9wavefront6targetE1EEEvT1_,"axG",@progbits,_ZN7rocprim17ROCPRIM_400000_NS6detail17trampoline_kernelINS0_14default_configENS1_29reduce_by_key_config_selectorIhlN6thrust23THRUST_200600_302600_NS4plusIlEEEEZZNS1_33reduce_by_key_impl_wrapped_configILNS1_25lookback_scan_determinismE0ES3_S9_PhNS6_17constant_iteratorIiNS6_11use_defaultESE_EENS6_10device_ptrIhEENSG_IlEEPmS8_NS6_8equal_toIhEEEE10hipError_tPvRmT2_T3_mT4_T5_T6_T7_T8_P12ihipStream_tbENKUlT_T0_E_clISt17integral_constantIbLb1EES12_IbLb0EEEEDaSY_SZ_EUlSY_E_NS1_11comp_targetILNS1_3genE9ELNS1_11target_archE1100ELNS1_3gpuE3ELNS1_3repE0EEENS1_30default_config_static_selectorELNS0_4arch9wavefront6targetE1EEEvT1_,comdat
.Lfunc_end391:
	.size	_ZN7rocprim17ROCPRIM_400000_NS6detail17trampoline_kernelINS0_14default_configENS1_29reduce_by_key_config_selectorIhlN6thrust23THRUST_200600_302600_NS4plusIlEEEEZZNS1_33reduce_by_key_impl_wrapped_configILNS1_25lookback_scan_determinismE0ES3_S9_PhNS6_17constant_iteratorIiNS6_11use_defaultESE_EENS6_10device_ptrIhEENSG_IlEEPmS8_NS6_8equal_toIhEEEE10hipError_tPvRmT2_T3_mT4_T5_T6_T7_T8_P12ihipStream_tbENKUlT_T0_E_clISt17integral_constantIbLb1EES12_IbLb0EEEEDaSY_SZ_EUlSY_E_NS1_11comp_targetILNS1_3genE9ELNS1_11target_archE1100ELNS1_3gpuE3ELNS1_3repE0EEENS1_30default_config_static_selectorELNS0_4arch9wavefront6targetE1EEEvT1_, .Lfunc_end391-_ZN7rocprim17ROCPRIM_400000_NS6detail17trampoline_kernelINS0_14default_configENS1_29reduce_by_key_config_selectorIhlN6thrust23THRUST_200600_302600_NS4plusIlEEEEZZNS1_33reduce_by_key_impl_wrapped_configILNS1_25lookback_scan_determinismE0ES3_S9_PhNS6_17constant_iteratorIiNS6_11use_defaultESE_EENS6_10device_ptrIhEENSG_IlEEPmS8_NS6_8equal_toIhEEEE10hipError_tPvRmT2_T3_mT4_T5_T6_T7_T8_P12ihipStream_tbENKUlT_T0_E_clISt17integral_constantIbLb1EES12_IbLb0EEEEDaSY_SZ_EUlSY_E_NS1_11comp_targetILNS1_3genE9ELNS1_11target_archE1100ELNS1_3gpuE3ELNS1_3repE0EEENS1_30default_config_static_selectorELNS0_4arch9wavefront6targetE1EEEvT1_
                                        ; -- End function
	.section	.AMDGPU.csdata,"",@progbits
; Kernel info:
; codeLenInByte = 0
; NumSgprs: 4
; NumVgprs: 0
; NumAgprs: 0
; TotalNumVgprs: 0
; ScratchSize: 0
; MemoryBound: 0
; FloatMode: 240
; IeeeMode: 1
; LDSByteSize: 0 bytes/workgroup (compile time only)
; SGPRBlocks: 0
; VGPRBlocks: 0
; NumSGPRsForWavesPerEU: 4
; NumVGPRsForWavesPerEU: 1
; AccumOffset: 4
; Occupancy: 8
; WaveLimiterHint : 0
; COMPUTE_PGM_RSRC2:SCRATCH_EN: 0
; COMPUTE_PGM_RSRC2:USER_SGPR: 6
; COMPUTE_PGM_RSRC2:TRAP_HANDLER: 0
; COMPUTE_PGM_RSRC2:TGID_X_EN: 1
; COMPUTE_PGM_RSRC2:TGID_Y_EN: 0
; COMPUTE_PGM_RSRC2:TGID_Z_EN: 0
; COMPUTE_PGM_RSRC2:TIDIG_COMP_CNT: 0
; COMPUTE_PGM_RSRC3_GFX90A:ACCUM_OFFSET: 0
; COMPUTE_PGM_RSRC3_GFX90A:TG_SPLIT: 0
	.section	.text._ZN7rocprim17ROCPRIM_400000_NS6detail17trampoline_kernelINS0_14default_configENS1_29reduce_by_key_config_selectorIhlN6thrust23THRUST_200600_302600_NS4plusIlEEEEZZNS1_33reduce_by_key_impl_wrapped_configILNS1_25lookback_scan_determinismE0ES3_S9_PhNS6_17constant_iteratorIiNS6_11use_defaultESE_EENS6_10device_ptrIhEENSG_IlEEPmS8_NS6_8equal_toIhEEEE10hipError_tPvRmT2_T3_mT4_T5_T6_T7_T8_P12ihipStream_tbENKUlT_T0_E_clISt17integral_constantIbLb1EES12_IbLb0EEEEDaSY_SZ_EUlSY_E_NS1_11comp_targetILNS1_3genE8ELNS1_11target_archE1030ELNS1_3gpuE2ELNS1_3repE0EEENS1_30default_config_static_selectorELNS0_4arch9wavefront6targetE1EEEvT1_,"axG",@progbits,_ZN7rocprim17ROCPRIM_400000_NS6detail17trampoline_kernelINS0_14default_configENS1_29reduce_by_key_config_selectorIhlN6thrust23THRUST_200600_302600_NS4plusIlEEEEZZNS1_33reduce_by_key_impl_wrapped_configILNS1_25lookback_scan_determinismE0ES3_S9_PhNS6_17constant_iteratorIiNS6_11use_defaultESE_EENS6_10device_ptrIhEENSG_IlEEPmS8_NS6_8equal_toIhEEEE10hipError_tPvRmT2_T3_mT4_T5_T6_T7_T8_P12ihipStream_tbENKUlT_T0_E_clISt17integral_constantIbLb1EES12_IbLb0EEEEDaSY_SZ_EUlSY_E_NS1_11comp_targetILNS1_3genE8ELNS1_11target_archE1030ELNS1_3gpuE2ELNS1_3repE0EEENS1_30default_config_static_selectorELNS0_4arch9wavefront6targetE1EEEvT1_,comdat
	.protected	_ZN7rocprim17ROCPRIM_400000_NS6detail17trampoline_kernelINS0_14default_configENS1_29reduce_by_key_config_selectorIhlN6thrust23THRUST_200600_302600_NS4plusIlEEEEZZNS1_33reduce_by_key_impl_wrapped_configILNS1_25lookback_scan_determinismE0ES3_S9_PhNS6_17constant_iteratorIiNS6_11use_defaultESE_EENS6_10device_ptrIhEENSG_IlEEPmS8_NS6_8equal_toIhEEEE10hipError_tPvRmT2_T3_mT4_T5_T6_T7_T8_P12ihipStream_tbENKUlT_T0_E_clISt17integral_constantIbLb1EES12_IbLb0EEEEDaSY_SZ_EUlSY_E_NS1_11comp_targetILNS1_3genE8ELNS1_11target_archE1030ELNS1_3gpuE2ELNS1_3repE0EEENS1_30default_config_static_selectorELNS0_4arch9wavefront6targetE1EEEvT1_ ; -- Begin function _ZN7rocprim17ROCPRIM_400000_NS6detail17trampoline_kernelINS0_14default_configENS1_29reduce_by_key_config_selectorIhlN6thrust23THRUST_200600_302600_NS4plusIlEEEEZZNS1_33reduce_by_key_impl_wrapped_configILNS1_25lookback_scan_determinismE0ES3_S9_PhNS6_17constant_iteratorIiNS6_11use_defaultESE_EENS6_10device_ptrIhEENSG_IlEEPmS8_NS6_8equal_toIhEEEE10hipError_tPvRmT2_T3_mT4_T5_T6_T7_T8_P12ihipStream_tbENKUlT_T0_E_clISt17integral_constantIbLb1EES12_IbLb0EEEEDaSY_SZ_EUlSY_E_NS1_11comp_targetILNS1_3genE8ELNS1_11target_archE1030ELNS1_3gpuE2ELNS1_3repE0EEENS1_30default_config_static_selectorELNS0_4arch9wavefront6targetE1EEEvT1_
	.globl	_ZN7rocprim17ROCPRIM_400000_NS6detail17trampoline_kernelINS0_14default_configENS1_29reduce_by_key_config_selectorIhlN6thrust23THRUST_200600_302600_NS4plusIlEEEEZZNS1_33reduce_by_key_impl_wrapped_configILNS1_25lookback_scan_determinismE0ES3_S9_PhNS6_17constant_iteratorIiNS6_11use_defaultESE_EENS6_10device_ptrIhEENSG_IlEEPmS8_NS6_8equal_toIhEEEE10hipError_tPvRmT2_T3_mT4_T5_T6_T7_T8_P12ihipStream_tbENKUlT_T0_E_clISt17integral_constantIbLb1EES12_IbLb0EEEEDaSY_SZ_EUlSY_E_NS1_11comp_targetILNS1_3genE8ELNS1_11target_archE1030ELNS1_3gpuE2ELNS1_3repE0EEENS1_30default_config_static_selectorELNS0_4arch9wavefront6targetE1EEEvT1_
	.p2align	8
	.type	_ZN7rocprim17ROCPRIM_400000_NS6detail17trampoline_kernelINS0_14default_configENS1_29reduce_by_key_config_selectorIhlN6thrust23THRUST_200600_302600_NS4plusIlEEEEZZNS1_33reduce_by_key_impl_wrapped_configILNS1_25lookback_scan_determinismE0ES3_S9_PhNS6_17constant_iteratorIiNS6_11use_defaultESE_EENS6_10device_ptrIhEENSG_IlEEPmS8_NS6_8equal_toIhEEEE10hipError_tPvRmT2_T3_mT4_T5_T6_T7_T8_P12ihipStream_tbENKUlT_T0_E_clISt17integral_constantIbLb1EES12_IbLb0EEEEDaSY_SZ_EUlSY_E_NS1_11comp_targetILNS1_3genE8ELNS1_11target_archE1030ELNS1_3gpuE2ELNS1_3repE0EEENS1_30default_config_static_selectorELNS0_4arch9wavefront6targetE1EEEvT1_,@function
_ZN7rocprim17ROCPRIM_400000_NS6detail17trampoline_kernelINS0_14default_configENS1_29reduce_by_key_config_selectorIhlN6thrust23THRUST_200600_302600_NS4plusIlEEEEZZNS1_33reduce_by_key_impl_wrapped_configILNS1_25lookback_scan_determinismE0ES3_S9_PhNS6_17constant_iteratorIiNS6_11use_defaultESE_EENS6_10device_ptrIhEENSG_IlEEPmS8_NS6_8equal_toIhEEEE10hipError_tPvRmT2_T3_mT4_T5_T6_T7_T8_P12ihipStream_tbENKUlT_T0_E_clISt17integral_constantIbLb1EES12_IbLb0EEEEDaSY_SZ_EUlSY_E_NS1_11comp_targetILNS1_3genE8ELNS1_11target_archE1030ELNS1_3gpuE2ELNS1_3repE0EEENS1_30default_config_static_selectorELNS0_4arch9wavefront6targetE1EEEvT1_: ; @_ZN7rocprim17ROCPRIM_400000_NS6detail17trampoline_kernelINS0_14default_configENS1_29reduce_by_key_config_selectorIhlN6thrust23THRUST_200600_302600_NS4plusIlEEEEZZNS1_33reduce_by_key_impl_wrapped_configILNS1_25lookback_scan_determinismE0ES3_S9_PhNS6_17constant_iteratorIiNS6_11use_defaultESE_EENS6_10device_ptrIhEENSG_IlEEPmS8_NS6_8equal_toIhEEEE10hipError_tPvRmT2_T3_mT4_T5_T6_T7_T8_P12ihipStream_tbENKUlT_T0_E_clISt17integral_constantIbLb1EES12_IbLb0EEEEDaSY_SZ_EUlSY_E_NS1_11comp_targetILNS1_3genE8ELNS1_11target_archE1030ELNS1_3gpuE2ELNS1_3repE0EEENS1_30default_config_static_selectorELNS0_4arch9wavefront6targetE1EEEvT1_
; %bb.0:
	.section	.rodata,"a",@progbits
	.p2align	6, 0x0
	.amdhsa_kernel _ZN7rocprim17ROCPRIM_400000_NS6detail17trampoline_kernelINS0_14default_configENS1_29reduce_by_key_config_selectorIhlN6thrust23THRUST_200600_302600_NS4plusIlEEEEZZNS1_33reduce_by_key_impl_wrapped_configILNS1_25lookback_scan_determinismE0ES3_S9_PhNS6_17constant_iteratorIiNS6_11use_defaultESE_EENS6_10device_ptrIhEENSG_IlEEPmS8_NS6_8equal_toIhEEEE10hipError_tPvRmT2_T3_mT4_T5_T6_T7_T8_P12ihipStream_tbENKUlT_T0_E_clISt17integral_constantIbLb1EES12_IbLb0EEEEDaSY_SZ_EUlSY_E_NS1_11comp_targetILNS1_3genE8ELNS1_11target_archE1030ELNS1_3gpuE2ELNS1_3repE0EEENS1_30default_config_static_selectorELNS0_4arch9wavefront6targetE1EEEvT1_
		.amdhsa_group_segment_fixed_size 0
		.amdhsa_private_segment_fixed_size 0
		.amdhsa_kernarg_size 144
		.amdhsa_user_sgpr_count 6
		.amdhsa_user_sgpr_private_segment_buffer 1
		.amdhsa_user_sgpr_dispatch_ptr 0
		.amdhsa_user_sgpr_queue_ptr 0
		.amdhsa_user_sgpr_kernarg_segment_ptr 1
		.amdhsa_user_sgpr_dispatch_id 0
		.amdhsa_user_sgpr_flat_scratch_init 0
		.amdhsa_user_sgpr_kernarg_preload_length 0
		.amdhsa_user_sgpr_kernarg_preload_offset 0
		.amdhsa_user_sgpr_private_segment_size 0
		.amdhsa_uses_dynamic_stack 0
		.amdhsa_system_sgpr_private_segment_wavefront_offset 0
		.amdhsa_system_sgpr_workgroup_id_x 1
		.amdhsa_system_sgpr_workgroup_id_y 0
		.amdhsa_system_sgpr_workgroup_id_z 0
		.amdhsa_system_sgpr_workgroup_info 0
		.amdhsa_system_vgpr_workitem_id 0
		.amdhsa_next_free_vgpr 1
		.amdhsa_next_free_sgpr 0
		.amdhsa_accum_offset 4
		.amdhsa_reserve_vcc 0
		.amdhsa_reserve_flat_scratch 0
		.amdhsa_float_round_mode_32 0
		.amdhsa_float_round_mode_16_64 0
		.amdhsa_float_denorm_mode_32 3
		.amdhsa_float_denorm_mode_16_64 3
		.amdhsa_dx10_clamp 1
		.amdhsa_ieee_mode 1
		.amdhsa_fp16_overflow 0
		.amdhsa_tg_split 0
		.amdhsa_exception_fp_ieee_invalid_op 0
		.amdhsa_exception_fp_denorm_src 0
		.amdhsa_exception_fp_ieee_div_zero 0
		.amdhsa_exception_fp_ieee_overflow 0
		.amdhsa_exception_fp_ieee_underflow 0
		.amdhsa_exception_fp_ieee_inexact 0
		.amdhsa_exception_int_div_zero 0
	.end_amdhsa_kernel
	.section	.text._ZN7rocprim17ROCPRIM_400000_NS6detail17trampoline_kernelINS0_14default_configENS1_29reduce_by_key_config_selectorIhlN6thrust23THRUST_200600_302600_NS4plusIlEEEEZZNS1_33reduce_by_key_impl_wrapped_configILNS1_25lookback_scan_determinismE0ES3_S9_PhNS6_17constant_iteratorIiNS6_11use_defaultESE_EENS6_10device_ptrIhEENSG_IlEEPmS8_NS6_8equal_toIhEEEE10hipError_tPvRmT2_T3_mT4_T5_T6_T7_T8_P12ihipStream_tbENKUlT_T0_E_clISt17integral_constantIbLb1EES12_IbLb0EEEEDaSY_SZ_EUlSY_E_NS1_11comp_targetILNS1_3genE8ELNS1_11target_archE1030ELNS1_3gpuE2ELNS1_3repE0EEENS1_30default_config_static_selectorELNS0_4arch9wavefront6targetE1EEEvT1_,"axG",@progbits,_ZN7rocprim17ROCPRIM_400000_NS6detail17trampoline_kernelINS0_14default_configENS1_29reduce_by_key_config_selectorIhlN6thrust23THRUST_200600_302600_NS4plusIlEEEEZZNS1_33reduce_by_key_impl_wrapped_configILNS1_25lookback_scan_determinismE0ES3_S9_PhNS6_17constant_iteratorIiNS6_11use_defaultESE_EENS6_10device_ptrIhEENSG_IlEEPmS8_NS6_8equal_toIhEEEE10hipError_tPvRmT2_T3_mT4_T5_T6_T7_T8_P12ihipStream_tbENKUlT_T0_E_clISt17integral_constantIbLb1EES12_IbLb0EEEEDaSY_SZ_EUlSY_E_NS1_11comp_targetILNS1_3genE8ELNS1_11target_archE1030ELNS1_3gpuE2ELNS1_3repE0EEENS1_30default_config_static_selectorELNS0_4arch9wavefront6targetE1EEEvT1_,comdat
.Lfunc_end392:
	.size	_ZN7rocprim17ROCPRIM_400000_NS6detail17trampoline_kernelINS0_14default_configENS1_29reduce_by_key_config_selectorIhlN6thrust23THRUST_200600_302600_NS4plusIlEEEEZZNS1_33reduce_by_key_impl_wrapped_configILNS1_25lookback_scan_determinismE0ES3_S9_PhNS6_17constant_iteratorIiNS6_11use_defaultESE_EENS6_10device_ptrIhEENSG_IlEEPmS8_NS6_8equal_toIhEEEE10hipError_tPvRmT2_T3_mT4_T5_T6_T7_T8_P12ihipStream_tbENKUlT_T0_E_clISt17integral_constantIbLb1EES12_IbLb0EEEEDaSY_SZ_EUlSY_E_NS1_11comp_targetILNS1_3genE8ELNS1_11target_archE1030ELNS1_3gpuE2ELNS1_3repE0EEENS1_30default_config_static_selectorELNS0_4arch9wavefront6targetE1EEEvT1_, .Lfunc_end392-_ZN7rocprim17ROCPRIM_400000_NS6detail17trampoline_kernelINS0_14default_configENS1_29reduce_by_key_config_selectorIhlN6thrust23THRUST_200600_302600_NS4plusIlEEEEZZNS1_33reduce_by_key_impl_wrapped_configILNS1_25lookback_scan_determinismE0ES3_S9_PhNS6_17constant_iteratorIiNS6_11use_defaultESE_EENS6_10device_ptrIhEENSG_IlEEPmS8_NS6_8equal_toIhEEEE10hipError_tPvRmT2_T3_mT4_T5_T6_T7_T8_P12ihipStream_tbENKUlT_T0_E_clISt17integral_constantIbLb1EES12_IbLb0EEEEDaSY_SZ_EUlSY_E_NS1_11comp_targetILNS1_3genE8ELNS1_11target_archE1030ELNS1_3gpuE2ELNS1_3repE0EEENS1_30default_config_static_selectorELNS0_4arch9wavefront6targetE1EEEvT1_
                                        ; -- End function
	.section	.AMDGPU.csdata,"",@progbits
; Kernel info:
; codeLenInByte = 0
; NumSgprs: 4
; NumVgprs: 0
; NumAgprs: 0
; TotalNumVgprs: 0
; ScratchSize: 0
; MemoryBound: 0
; FloatMode: 240
; IeeeMode: 1
; LDSByteSize: 0 bytes/workgroup (compile time only)
; SGPRBlocks: 0
; VGPRBlocks: 0
; NumSGPRsForWavesPerEU: 4
; NumVGPRsForWavesPerEU: 1
; AccumOffset: 4
; Occupancy: 8
; WaveLimiterHint : 0
; COMPUTE_PGM_RSRC2:SCRATCH_EN: 0
; COMPUTE_PGM_RSRC2:USER_SGPR: 6
; COMPUTE_PGM_RSRC2:TRAP_HANDLER: 0
; COMPUTE_PGM_RSRC2:TGID_X_EN: 1
; COMPUTE_PGM_RSRC2:TGID_Y_EN: 0
; COMPUTE_PGM_RSRC2:TGID_Z_EN: 0
; COMPUTE_PGM_RSRC2:TIDIG_COMP_CNT: 0
; COMPUTE_PGM_RSRC3_GFX90A:ACCUM_OFFSET: 0
; COMPUTE_PGM_RSRC3_GFX90A:TG_SPLIT: 0
	.section	.text._ZN7rocprim17ROCPRIM_400000_NS6detail25reduce_by_key_init_kernelINS1_19lookback_scan_stateINS0_5tupleIJjlEEELb0ELb0EEElNS1_16block_id_wrapperIjLb1EEEEEvT_jbjPmPT0_T1_,"axG",@progbits,_ZN7rocprim17ROCPRIM_400000_NS6detail25reduce_by_key_init_kernelINS1_19lookback_scan_stateINS0_5tupleIJjlEEELb0ELb0EEElNS1_16block_id_wrapperIjLb1EEEEEvT_jbjPmPT0_T1_,comdat
	.protected	_ZN7rocprim17ROCPRIM_400000_NS6detail25reduce_by_key_init_kernelINS1_19lookback_scan_stateINS0_5tupleIJjlEEELb0ELb0EEElNS1_16block_id_wrapperIjLb1EEEEEvT_jbjPmPT0_T1_ ; -- Begin function _ZN7rocprim17ROCPRIM_400000_NS6detail25reduce_by_key_init_kernelINS1_19lookback_scan_stateINS0_5tupleIJjlEEELb0ELb0EEElNS1_16block_id_wrapperIjLb1EEEEEvT_jbjPmPT0_T1_
	.globl	_ZN7rocprim17ROCPRIM_400000_NS6detail25reduce_by_key_init_kernelINS1_19lookback_scan_stateINS0_5tupleIJjlEEELb0ELb0EEElNS1_16block_id_wrapperIjLb1EEEEEvT_jbjPmPT0_T1_
	.p2align	8
	.type	_ZN7rocprim17ROCPRIM_400000_NS6detail25reduce_by_key_init_kernelINS1_19lookback_scan_stateINS0_5tupleIJjlEEELb0ELb0EEElNS1_16block_id_wrapperIjLb1EEEEEvT_jbjPmPT0_T1_,@function
_ZN7rocprim17ROCPRIM_400000_NS6detail25reduce_by_key_init_kernelINS1_19lookback_scan_stateINS0_5tupleIJjlEEELb0ELb0EEElNS1_16block_id_wrapperIjLb1EEEEEvT_jbjPmPT0_T1_: ; @_ZN7rocprim17ROCPRIM_400000_NS6detail25reduce_by_key_init_kernelINS1_19lookback_scan_stateINS0_5tupleIJjlEEELb0ELb0EEElNS1_16block_id_wrapperIjLb1EEEEEvT_jbjPmPT0_T1_
; %bb.0:
	s_load_dwordx8 s[8:15], s[4:5], 0x18
	s_load_dword s0, s[4:5], 0x4c
	s_load_dwordx2 s[18:19], s[4:5], 0x38
	s_load_dwordx2 s[16:17], s[4:5], 0x10
	s_waitcnt lgkmcnt(0)
	s_and_b32 s1, s9, 1
	s_and_b32 s0, s0, 0xffff
	s_mul_i32 s6, s6, s0
	s_cmp_eq_u32 s1, 0
	v_add_u32_e32 v0, s6, v0
	s_mov_b64 s[0:1], -1
	s_cbranch_scc1 .LBB393_6
; %bb.1:
	s_andn2_b64 vcc, exec, s[0:1]
	v_cmp_eq_u32_e64 s[0:1], 0, v0
	s_cbranch_vccz .LBB393_12
.LBB393_2:
	v_cmp_eq_u32_e32 vcc, 0, v0
	s_and_saveexec_b64 s[0:1], vcc
	s_cbranch_execnz .LBB393_15
.LBB393_3:
	s_or_b64 exec, exec, s[0:1]
	v_cmp_gt_u32_e32 vcc, s8, v0
	s_and_saveexec_b64 s[0:1], vcc
	s_cbranch_execnz .LBB393_16
.LBB393_4:
	s_or_b64 exec, exec, s[0:1]
	v_cmp_gt_u32_e32 vcc, 64, v0
	s_and_saveexec_b64 s[0:1], vcc
	s_cbranch_execnz .LBB393_17
.LBB393_5:
	s_endpgm
.LBB393_6:
	s_cmp_lt_u32 s10, s8
	s_cselect_b32 s0, s10, 0
	v_cmp_eq_u32_e32 vcc, s0, v0
	s_and_saveexec_b64 s[6:7], vcc
	s_cbranch_execz .LBB393_11
; %bb.7:
	s_add_i32 s10, s10, 64
	v_mov_b32_e32 v1, s10
	global_load_ubyte v1, v1, s[16:17] glc
	s_load_dwordx4 s[0:3], s[4:5], 0x0
	s_add_u32 s4, s16, s10
	s_mov_b32 s11, 0
	s_addc_u32 s5, s17, 0
	s_waitcnt vmcnt(0)
	v_cmp_ne_u16_e32 vcc, 0, v1
	v_readfirstlane_b32 s9, v1
	s_cbranch_vccnz .LBB393_10
; %bb.8:
	v_mov_b32_e32 v1, 0
.LBB393_9:                              ; =>This Inner Loop Header: Depth=1
	global_load_ubyte v2, v1, s[4:5] glc
	s_waitcnt vmcnt(0)
	v_cmp_eq_u16_e32 vcc, 0, v2
	v_readfirstlane_b32 s9, v2
	s_cbranch_vccnz .LBB393_9
.LBB393_10:
	s_and_b32 s4, 0xffff, s9
	s_cmp_eq_u32 s4, 1
	s_waitcnt lgkmcnt(0)
	s_cselect_b32 s3, s1, s3
	s_cselect_b32 s2, s0, s2
	s_lshl_b64 s[0:1], s[10:11], 4
	v_mov_b32_e32 v1, 0
	s_add_u32 s0, s2, s0
	buffer_wbinvl1_vol
	s_addc_u32 s1, s3, s1
	global_load_dwordx2 v[2:3], v1, s[12:13]
	global_load_dword v6, v1, s[0:1]
	global_load_dwordx2 v[4:5], v1, s[0:1] offset:8
	s_waitcnt vmcnt(1)
	v_add_co_u32_e32 v2, vcc, v2, v6
	v_addc_co_u32_e32 v3, vcc, 0, v3, vcc
	global_store_dwordx2 v1, v[2:3], s[12:13]
	s_waitcnt vmcnt(1)
	global_store_dwordx2 v1, v[4:5], s[14:15]
.LBB393_11:
	s_or_b64 exec, exec, s[6:7]
	v_cmp_eq_u32_e64 s[0:1], 0, v0
	s_cbranch_execnz .LBB393_2
.LBB393_12:
	s_cmp_lg_u64 s[12:13], 0
	s_cselect_b64 s[2:3], -1, 0
	s_and_b64 s[2:3], s[2:3], s[0:1]
	s_and_saveexec_b64 s[0:1], s[2:3]
	s_cbranch_execz .LBB393_14
; %bb.13:
	v_mov_b32_e32 v2, 0
	v_mov_b32_e32 v3, v2
	global_store_dwordx2 v2, v[2:3], s[12:13]
.LBB393_14:
	s_or_b64 exec, exec, s[0:1]
	v_cmp_eq_u32_e32 vcc, 0, v0
	s_and_saveexec_b64 s[0:1], vcc
	s_cbranch_execz .LBB393_3
.LBB393_15:
	v_mov_b32_e32 v1, 0
	global_store_dword v1, v1, s[18:19]
	s_or_b64 exec, exec, s[0:1]
	v_cmp_gt_u32_e32 vcc, s8, v0
	s_and_saveexec_b64 s[0:1], vcc
	s_cbranch_execz .LBB393_4
.LBB393_16:
	v_add_u32_e32 v1, 64, v0
	v_mov_b32_e32 v2, 0
	global_store_byte v1, v2, s[16:17]
	s_or_b64 exec, exec, s[0:1]
	v_cmp_gt_u32_e32 vcc, 64, v0
	s_and_saveexec_b64 s[0:1], vcc
	s_cbranch_execz .LBB393_5
.LBB393_17:
	v_mov_b32_e32 v1, 0xff
	global_store_byte v0, v1, s[16:17]
	s_endpgm
	.section	.rodata,"a",@progbits
	.p2align	6, 0x0
	.amdhsa_kernel _ZN7rocprim17ROCPRIM_400000_NS6detail25reduce_by_key_init_kernelINS1_19lookback_scan_stateINS0_5tupleIJjlEEELb0ELb0EEElNS1_16block_id_wrapperIjLb1EEEEEvT_jbjPmPT0_T1_
		.amdhsa_group_segment_fixed_size 0
		.amdhsa_private_segment_fixed_size 0
		.amdhsa_kernarg_size 320
		.amdhsa_user_sgpr_count 6
		.amdhsa_user_sgpr_private_segment_buffer 1
		.amdhsa_user_sgpr_dispatch_ptr 0
		.amdhsa_user_sgpr_queue_ptr 0
		.amdhsa_user_sgpr_kernarg_segment_ptr 1
		.amdhsa_user_sgpr_dispatch_id 0
		.amdhsa_user_sgpr_flat_scratch_init 0
		.amdhsa_user_sgpr_kernarg_preload_length 0
		.amdhsa_user_sgpr_kernarg_preload_offset 0
		.amdhsa_user_sgpr_private_segment_size 0
		.amdhsa_uses_dynamic_stack 0
		.amdhsa_system_sgpr_private_segment_wavefront_offset 0
		.amdhsa_system_sgpr_workgroup_id_x 1
		.amdhsa_system_sgpr_workgroup_id_y 0
		.amdhsa_system_sgpr_workgroup_id_z 0
		.amdhsa_system_sgpr_workgroup_info 0
		.amdhsa_system_vgpr_workitem_id 0
		.amdhsa_next_free_vgpr 7
		.amdhsa_next_free_sgpr 20
		.amdhsa_accum_offset 8
		.amdhsa_reserve_vcc 1
		.amdhsa_reserve_flat_scratch 0
		.amdhsa_float_round_mode_32 0
		.amdhsa_float_round_mode_16_64 0
		.amdhsa_float_denorm_mode_32 3
		.amdhsa_float_denorm_mode_16_64 3
		.amdhsa_dx10_clamp 1
		.amdhsa_ieee_mode 1
		.amdhsa_fp16_overflow 0
		.amdhsa_tg_split 0
		.amdhsa_exception_fp_ieee_invalid_op 0
		.amdhsa_exception_fp_denorm_src 0
		.amdhsa_exception_fp_ieee_div_zero 0
		.amdhsa_exception_fp_ieee_overflow 0
		.amdhsa_exception_fp_ieee_underflow 0
		.amdhsa_exception_fp_ieee_inexact 0
		.amdhsa_exception_int_div_zero 0
	.end_amdhsa_kernel
	.section	.text._ZN7rocprim17ROCPRIM_400000_NS6detail25reduce_by_key_init_kernelINS1_19lookback_scan_stateINS0_5tupleIJjlEEELb0ELb0EEElNS1_16block_id_wrapperIjLb1EEEEEvT_jbjPmPT0_T1_,"axG",@progbits,_ZN7rocprim17ROCPRIM_400000_NS6detail25reduce_by_key_init_kernelINS1_19lookback_scan_stateINS0_5tupleIJjlEEELb0ELb0EEElNS1_16block_id_wrapperIjLb1EEEEEvT_jbjPmPT0_T1_,comdat
.Lfunc_end393:
	.size	_ZN7rocprim17ROCPRIM_400000_NS6detail25reduce_by_key_init_kernelINS1_19lookback_scan_stateINS0_5tupleIJjlEEELb0ELb0EEElNS1_16block_id_wrapperIjLb1EEEEEvT_jbjPmPT0_T1_, .Lfunc_end393-_ZN7rocprim17ROCPRIM_400000_NS6detail25reduce_by_key_init_kernelINS1_19lookback_scan_stateINS0_5tupleIJjlEEELb0ELb0EEElNS1_16block_id_wrapperIjLb1EEEEEvT_jbjPmPT0_T1_
                                        ; -- End function
	.section	.AMDGPU.csdata,"",@progbits
; Kernel info:
; codeLenInByte = 484
; NumSgprs: 24
; NumVgprs: 7
; NumAgprs: 0
; TotalNumVgprs: 7
; ScratchSize: 0
; MemoryBound: 0
; FloatMode: 240
; IeeeMode: 1
; LDSByteSize: 0 bytes/workgroup (compile time only)
; SGPRBlocks: 2
; VGPRBlocks: 0
; NumSGPRsForWavesPerEU: 24
; NumVGPRsForWavesPerEU: 7
; AccumOffset: 8
; Occupancy: 8
; WaveLimiterHint : 0
; COMPUTE_PGM_RSRC2:SCRATCH_EN: 0
; COMPUTE_PGM_RSRC2:USER_SGPR: 6
; COMPUTE_PGM_RSRC2:TRAP_HANDLER: 0
; COMPUTE_PGM_RSRC2:TGID_X_EN: 1
; COMPUTE_PGM_RSRC2:TGID_Y_EN: 0
; COMPUTE_PGM_RSRC2:TGID_Z_EN: 0
; COMPUTE_PGM_RSRC2:TIDIG_COMP_CNT: 0
; COMPUTE_PGM_RSRC3_GFX90A:ACCUM_OFFSET: 1
; COMPUTE_PGM_RSRC3_GFX90A:TG_SPLIT: 0
	.section	.text._ZN7rocprim17ROCPRIM_400000_NS6detail17trampoline_kernelINS0_14default_configENS1_29reduce_by_key_config_selectorIhlN6thrust23THRUST_200600_302600_NS4plusIlEEEEZZNS1_33reduce_by_key_impl_wrapped_configILNS1_25lookback_scan_determinismE0ES3_S9_PhNS6_17constant_iteratorIiNS6_11use_defaultESE_EENS6_10device_ptrIhEENSG_IlEEPmS8_NS6_8equal_toIhEEEE10hipError_tPvRmT2_T3_mT4_T5_T6_T7_T8_P12ihipStream_tbENKUlT_T0_E_clISt17integral_constantIbLb0EES12_IbLb1EEEEDaSY_SZ_EUlSY_E_NS1_11comp_targetILNS1_3genE0ELNS1_11target_archE4294967295ELNS1_3gpuE0ELNS1_3repE0EEENS1_30default_config_static_selectorELNS0_4arch9wavefront6targetE1EEEvT1_,"axG",@progbits,_ZN7rocprim17ROCPRIM_400000_NS6detail17trampoline_kernelINS0_14default_configENS1_29reduce_by_key_config_selectorIhlN6thrust23THRUST_200600_302600_NS4plusIlEEEEZZNS1_33reduce_by_key_impl_wrapped_configILNS1_25lookback_scan_determinismE0ES3_S9_PhNS6_17constant_iteratorIiNS6_11use_defaultESE_EENS6_10device_ptrIhEENSG_IlEEPmS8_NS6_8equal_toIhEEEE10hipError_tPvRmT2_T3_mT4_T5_T6_T7_T8_P12ihipStream_tbENKUlT_T0_E_clISt17integral_constantIbLb0EES12_IbLb1EEEEDaSY_SZ_EUlSY_E_NS1_11comp_targetILNS1_3genE0ELNS1_11target_archE4294967295ELNS1_3gpuE0ELNS1_3repE0EEENS1_30default_config_static_selectorELNS0_4arch9wavefront6targetE1EEEvT1_,comdat
	.protected	_ZN7rocprim17ROCPRIM_400000_NS6detail17trampoline_kernelINS0_14default_configENS1_29reduce_by_key_config_selectorIhlN6thrust23THRUST_200600_302600_NS4plusIlEEEEZZNS1_33reduce_by_key_impl_wrapped_configILNS1_25lookback_scan_determinismE0ES3_S9_PhNS6_17constant_iteratorIiNS6_11use_defaultESE_EENS6_10device_ptrIhEENSG_IlEEPmS8_NS6_8equal_toIhEEEE10hipError_tPvRmT2_T3_mT4_T5_T6_T7_T8_P12ihipStream_tbENKUlT_T0_E_clISt17integral_constantIbLb0EES12_IbLb1EEEEDaSY_SZ_EUlSY_E_NS1_11comp_targetILNS1_3genE0ELNS1_11target_archE4294967295ELNS1_3gpuE0ELNS1_3repE0EEENS1_30default_config_static_selectorELNS0_4arch9wavefront6targetE1EEEvT1_ ; -- Begin function _ZN7rocprim17ROCPRIM_400000_NS6detail17trampoline_kernelINS0_14default_configENS1_29reduce_by_key_config_selectorIhlN6thrust23THRUST_200600_302600_NS4plusIlEEEEZZNS1_33reduce_by_key_impl_wrapped_configILNS1_25lookback_scan_determinismE0ES3_S9_PhNS6_17constant_iteratorIiNS6_11use_defaultESE_EENS6_10device_ptrIhEENSG_IlEEPmS8_NS6_8equal_toIhEEEE10hipError_tPvRmT2_T3_mT4_T5_T6_T7_T8_P12ihipStream_tbENKUlT_T0_E_clISt17integral_constantIbLb0EES12_IbLb1EEEEDaSY_SZ_EUlSY_E_NS1_11comp_targetILNS1_3genE0ELNS1_11target_archE4294967295ELNS1_3gpuE0ELNS1_3repE0EEENS1_30default_config_static_selectorELNS0_4arch9wavefront6targetE1EEEvT1_
	.globl	_ZN7rocprim17ROCPRIM_400000_NS6detail17trampoline_kernelINS0_14default_configENS1_29reduce_by_key_config_selectorIhlN6thrust23THRUST_200600_302600_NS4plusIlEEEEZZNS1_33reduce_by_key_impl_wrapped_configILNS1_25lookback_scan_determinismE0ES3_S9_PhNS6_17constant_iteratorIiNS6_11use_defaultESE_EENS6_10device_ptrIhEENSG_IlEEPmS8_NS6_8equal_toIhEEEE10hipError_tPvRmT2_T3_mT4_T5_T6_T7_T8_P12ihipStream_tbENKUlT_T0_E_clISt17integral_constantIbLb0EES12_IbLb1EEEEDaSY_SZ_EUlSY_E_NS1_11comp_targetILNS1_3genE0ELNS1_11target_archE4294967295ELNS1_3gpuE0ELNS1_3repE0EEENS1_30default_config_static_selectorELNS0_4arch9wavefront6targetE1EEEvT1_
	.p2align	8
	.type	_ZN7rocprim17ROCPRIM_400000_NS6detail17trampoline_kernelINS0_14default_configENS1_29reduce_by_key_config_selectorIhlN6thrust23THRUST_200600_302600_NS4plusIlEEEEZZNS1_33reduce_by_key_impl_wrapped_configILNS1_25lookback_scan_determinismE0ES3_S9_PhNS6_17constant_iteratorIiNS6_11use_defaultESE_EENS6_10device_ptrIhEENSG_IlEEPmS8_NS6_8equal_toIhEEEE10hipError_tPvRmT2_T3_mT4_T5_T6_T7_T8_P12ihipStream_tbENKUlT_T0_E_clISt17integral_constantIbLb0EES12_IbLb1EEEEDaSY_SZ_EUlSY_E_NS1_11comp_targetILNS1_3genE0ELNS1_11target_archE4294967295ELNS1_3gpuE0ELNS1_3repE0EEENS1_30default_config_static_selectorELNS0_4arch9wavefront6targetE1EEEvT1_,@function
_ZN7rocprim17ROCPRIM_400000_NS6detail17trampoline_kernelINS0_14default_configENS1_29reduce_by_key_config_selectorIhlN6thrust23THRUST_200600_302600_NS4plusIlEEEEZZNS1_33reduce_by_key_impl_wrapped_configILNS1_25lookback_scan_determinismE0ES3_S9_PhNS6_17constant_iteratorIiNS6_11use_defaultESE_EENS6_10device_ptrIhEENSG_IlEEPmS8_NS6_8equal_toIhEEEE10hipError_tPvRmT2_T3_mT4_T5_T6_T7_T8_P12ihipStream_tbENKUlT_T0_E_clISt17integral_constantIbLb0EES12_IbLb1EEEEDaSY_SZ_EUlSY_E_NS1_11comp_targetILNS1_3genE0ELNS1_11target_archE4294967295ELNS1_3gpuE0ELNS1_3repE0EEENS1_30default_config_static_selectorELNS0_4arch9wavefront6targetE1EEEvT1_: ; @_ZN7rocprim17ROCPRIM_400000_NS6detail17trampoline_kernelINS0_14default_configENS1_29reduce_by_key_config_selectorIhlN6thrust23THRUST_200600_302600_NS4plusIlEEEEZZNS1_33reduce_by_key_impl_wrapped_configILNS1_25lookback_scan_determinismE0ES3_S9_PhNS6_17constant_iteratorIiNS6_11use_defaultESE_EENS6_10device_ptrIhEENSG_IlEEPmS8_NS6_8equal_toIhEEEE10hipError_tPvRmT2_T3_mT4_T5_T6_T7_T8_P12ihipStream_tbENKUlT_T0_E_clISt17integral_constantIbLb0EES12_IbLb1EEEEDaSY_SZ_EUlSY_E_NS1_11comp_targetILNS1_3genE0ELNS1_11target_archE4294967295ELNS1_3gpuE0ELNS1_3repE0EEENS1_30default_config_static_selectorELNS0_4arch9wavefront6targetE1EEEvT1_
; %bb.0:
	.section	.rodata,"a",@progbits
	.p2align	6, 0x0
	.amdhsa_kernel _ZN7rocprim17ROCPRIM_400000_NS6detail17trampoline_kernelINS0_14default_configENS1_29reduce_by_key_config_selectorIhlN6thrust23THRUST_200600_302600_NS4plusIlEEEEZZNS1_33reduce_by_key_impl_wrapped_configILNS1_25lookback_scan_determinismE0ES3_S9_PhNS6_17constant_iteratorIiNS6_11use_defaultESE_EENS6_10device_ptrIhEENSG_IlEEPmS8_NS6_8equal_toIhEEEE10hipError_tPvRmT2_T3_mT4_T5_T6_T7_T8_P12ihipStream_tbENKUlT_T0_E_clISt17integral_constantIbLb0EES12_IbLb1EEEEDaSY_SZ_EUlSY_E_NS1_11comp_targetILNS1_3genE0ELNS1_11target_archE4294967295ELNS1_3gpuE0ELNS1_3repE0EEENS1_30default_config_static_selectorELNS0_4arch9wavefront6targetE1EEEvT1_
		.amdhsa_group_segment_fixed_size 0
		.amdhsa_private_segment_fixed_size 0
		.amdhsa_kernarg_size 144
		.amdhsa_user_sgpr_count 6
		.amdhsa_user_sgpr_private_segment_buffer 1
		.amdhsa_user_sgpr_dispatch_ptr 0
		.amdhsa_user_sgpr_queue_ptr 0
		.amdhsa_user_sgpr_kernarg_segment_ptr 1
		.amdhsa_user_sgpr_dispatch_id 0
		.amdhsa_user_sgpr_flat_scratch_init 0
		.amdhsa_user_sgpr_kernarg_preload_length 0
		.amdhsa_user_sgpr_kernarg_preload_offset 0
		.amdhsa_user_sgpr_private_segment_size 0
		.amdhsa_uses_dynamic_stack 0
		.amdhsa_system_sgpr_private_segment_wavefront_offset 0
		.amdhsa_system_sgpr_workgroup_id_x 1
		.amdhsa_system_sgpr_workgroup_id_y 0
		.amdhsa_system_sgpr_workgroup_id_z 0
		.amdhsa_system_sgpr_workgroup_info 0
		.amdhsa_system_vgpr_workitem_id 0
		.amdhsa_next_free_vgpr 1
		.amdhsa_next_free_sgpr 0
		.amdhsa_accum_offset 4
		.amdhsa_reserve_vcc 0
		.amdhsa_reserve_flat_scratch 0
		.amdhsa_float_round_mode_32 0
		.amdhsa_float_round_mode_16_64 0
		.amdhsa_float_denorm_mode_32 3
		.amdhsa_float_denorm_mode_16_64 3
		.amdhsa_dx10_clamp 1
		.amdhsa_ieee_mode 1
		.amdhsa_fp16_overflow 0
		.amdhsa_tg_split 0
		.amdhsa_exception_fp_ieee_invalid_op 0
		.amdhsa_exception_fp_denorm_src 0
		.amdhsa_exception_fp_ieee_div_zero 0
		.amdhsa_exception_fp_ieee_overflow 0
		.amdhsa_exception_fp_ieee_underflow 0
		.amdhsa_exception_fp_ieee_inexact 0
		.amdhsa_exception_int_div_zero 0
	.end_amdhsa_kernel
	.section	.text._ZN7rocprim17ROCPRIM_400000_NS6detail17trampoline_kernelINS0_14default_configENS1_29reduce_by_key_config_selectorIhlN6thrust23THRUST_200600_302600_NS4plusIlEEEEZZNS1_33reduce_by_key_impl_wrapped_configILNS1_25lookback_scan_determinismE0ES3_S9_PhNS6_17constant_iteratorIiNS6_11use_defaultESE_EENS6_10device_ptrIhEENSG_IlEEPmS8_NS6_8equal_toIhEEEE10hipError_tPvRmT2_T3_mT4_T5_T6_T7_T8_P12ihipStream_tbENKUlT_T0_E_clISt17integral_constantIbLb0EES12_IbLb1EEEEDaSY_SZ_EUlSY_E_NS1_11comp_targetILNS1_3genE0ELNS1_11target_archE4294967295ELNS1_3gpuE0ELNS1_3repE0EEENS1_30default_config_static_selectorELNS0_4arch9wavefront6targetE1EEEvT1_,"axG",@progbits,_ZN7rocprim17ROCPRIM_400000_NS6detail17trampoline_kernelINS0_14default_configENS1_29reduce_by_key_config_selectorIhlN6thrust23THRUST_200600_302600_NS4plusIlEEEEZZNS1_33reduce_by_key_impl_wrapped_configILNS1_25lookback_scan_determinismE0ES3_S9_PhNS6_17constant_iteratorIiNS6_11use_defaultESE_EENS6_10device_ptrIhEENSG_IlEEPmS8_NS6_8equal_toIhEEEE10hipError_tPvRmT2_T3_mT4_T5_T6_T7_T8_P12ihipStream_tbENKUlT_T0_E_clISt17integral_constantIbLb0EES12_IbLb1EEEEDaSY_SZ_EUlSY_E_NS1_11comp_targetILNS1_3genE0ELNS1_11target_archE4294967295ELNS1_3gpuE0ELNS1_3repE0EEENS1_30default_config_static_selectorELNS0_4arch9wavefront6targetE1EEEvT1_,comdat
.Lfunc_end394:
	.size	_ZN7rocprim17ROCPRIM_400000_NS6detail17trampoline_kernelINS0_14default_configENS1_29reduce_by_key_config_selectorIhlN6thrust23THRUST_200600_302600_NS4plusIlEEEEZZNS1_33reduce_by_key_impl_wrapped_configILNS1_25lookback_scan_determinismE0ES3_S9_PhNS6_17constant_iteratorIiNS6_11use_defaultESE_EENS6_10device_ptrIhEENSG_IlEEPmS8_NS6_8equal_toIhEEEE10hipError_tPvRmT2_T3_mT4_T5_T6_T7_T8_P12ihipStream_tbENKUlT_T0_E_clISt17integral_constantIbLb0EES12_IbLb1EEEEDaSY_SZ_EUlSY_E_NS1_11comp_targetILNS1_3genE0ELNS1_11target_archE4294967295ELNS1_3gpuE0ELNS1_3repE0EEENS1_30default_config_static_selectorELNS0_4arch9wavefront6targetE1EEEvT1_, .Lfunc_end394-_ZN7rocprim17ROCPRIM_400000_NS6detail17trampoline_kernelINS0_14default_configENS1_29reduce_by_key_config_selectorIhlN6thrust23THRUST_200600_302600_NS4plusIlEEEEZZNS1_33reduce_by_key_impl_wrapped_configILNS1_25lookback_scan_determinismE0ES3_S9_PhNS6_17constant_iteratorIiNS6_11use_defaultESE_EENS6_10device_ptrIhEENSG_IlEEPmS8_NS6_8equal_toIhEEEE10hipError_tPvRmT2_T3_mT4_T5_T6_T7_T8_P12ihipStream_tbENKUlT_T0_E_clISt17integral_constantIbLb0EES12_IbLb1EEEEDaSY_SZ_EUlSY_E_NS1_11comp_targetILNS1_3genE0ELNS1_11target_archE4294967295ELNS1_3gpuE0ELNS1_3repE0EEENS1_30default_config_static_selectorELNS0_4arch9wavefront6targetE1EEEvT1_
                                        ; -- End function
	.section	.AMDGPU.csdata,"",@progbits
; Kernel info:
; codeLenInByte = 0
; NumSgprs: 4
; NumVgprs: 0
; NumAgprs: 0
; TotalNumVgprs: 0
; ScratchSize: 0
; MemoryBound: 0
; FloatMode: 240
; IeeeMode: 1
; LDSByteSize: 0 bytes/workgroup (compile time only)
; SGPRBlocks: 0
; VGPRBlocks: 0
; NumSGPRsForWavesPerEU: 4
; NumVGPRsForWavesPerEU: 1
; AccumOffset: 4
; Occupancy: 8
; WaveLimiterHint : 0
; COMPUTE_PGM_RSRC2:SCRATCH_EN: 0
; COMPUTE_PGM_RSRC2:USER_SGPR: 6
; COMPUTE_PGM_RSRC2:TRAP_HANDLER: 0
; COMPUTE_PGM_RSRC2:TGID_X_EN: 1
; COMPUTE_PGM_RSRC2:TGID_Y_EN: 0
; COMPUTE_PGM_RSRC2:TGID_Z_EN: 0
; COMPUTE_PGM_RSRC2:TIDIG_COMP_CNT: 0
; COMPUTE_PGM_RSRC3_GFX90A:ACCUM_OFFSET: 0
; COMPUTE_PGM_RSRC3_GFX90A:TG_SPLIT: 0
	.section	.text._ZN7rocprim17ROCPRIM_400000_NS6detail17trampoline_kernelINS0_14default_configENS1_29reduce_by_key_config_selectorIhlN6thrust23THRUST_200600_302600_NS4plusIlEEEEZZNS1_33reduce_by_key_impl_wrapped_configILNS1_25lookback_scan_determinismE0ES3_S9_PhNS6_17constant_iteratorIiNS6_11use_defaultESE_EENS6_10device_ptrIhEENSG_IlEEPmS8_NS6_8equal_toIhEEEE10hipError_tPvRmT2_T3_mT4_T5_T6_T7_T8_P12ihipStream_tbENKUlT_T0_E_clISt17integral_constantIbLb0EES12_IbLb1EEEEDaSY_SZ_EUlSY_E_NS1_11comp_targetILNS1_3genE5ELNS1_11target_archE942ELNS1_3gpuE9ELNS1_3repE0EEENS1_30default_config_static_selectorELNS0_4arch9wavefront6targetE1EEEvT1_,"axG",@progbits,_ZN7rocprim17ROCPRIM_400000_NS6detail17trampoline_kernelINS0_14default_configENS1_29reduce_by_key_config_selectorIhlN6thrust23THRUST_200600_302600_NS4plusIlEEEEZZNS1_33reduce_by_key_impl_wrapped_configILNS1_25lookback_scan_determinismE0ES3_S9_PhNS6_17constant_iteratorIiNS6_11use_defaultESE_EENS6_10device_ptrIhEENSG_IlEEPmS8_NS6_8equal_toIhEEEE10hipError_tPvRmT2_T3_mT4_T5_T6_T7_T8_P12ihipStream_tbENKUlT_T0_E_clISt17integral_constantIbLb0EES12_IbLb1EEEEDaSY_SZ_EUlSY_E_NS1_11comp_targetILNS1_3genE5ELNS1_11target_archE942ELNS1_3gpuE9ELNS1_3repE0EEENS1_30default_config_static_selectorELNS0_4arch9wavefront6targetE1EEEvT1_,comdat
	.protected	_ZN7rocprim17ROCPRIM_400000_NS6detail17trampoline_kernelINS0_14default_configENS1_29reduce_by_key_config_selectorIhlN6thrust23THRUST_200600_302600_NS4plusIlEEEEZZNS1_33reduce_by_key_impl_wrapped_configILNS1_25lookback_scan_determinismE0ES3_S9_PhNS6_17constant_iteratorIiNS6_11use_defaultESE_EENS6_10device_ptrIhEENSG_IlEEPmS8_NS6_8equal_toIhEEEE10hipError_tPvRmT2_T3_mT4_T5_T6_T7_T8_P12ihipStream_tbENKUlT_T0_E_clISt17integral_constantIbLb0EES12_IbLb1EEEEDaSY_SZ_EUlSY_E_NS1_11comp_targetILNS1_3genE5ELNS1_11target_archE942ELNS1_3gpuE9ELNS1_3repE0EEENS1_30default_config_static_selectorELNS0_4arch9wavefront6targetE1EEEvT1_ ; -- Begin function _ZN7rocprim17ROCPRIM_400000_NS6detail17trampoline_kernelINS0_14default_configENS1_29reduce_by_key_config_selectorIhlN6thrust23THRUST_200600_302600_NS4plusIlEEEEZZNS1_33reduce_by_key_impl_wrapped_configILNS1_25lookback_scan_determinismE0ES3_S9_PhNS6_17constant_iteratorIiNS6_11use_defaultESE_EENS6_10device_ptrIhEENSG_IlEEPmS8_NS6_8equal_toIhEEEE10hipError_tPvRmT2_T3_mT4_T5_T6_T7_T8_P12ihipStream_tbENKUlT_T0_E_clISt17integral_constantIbLb0EES12_IbLb1EEEEDaSY_SZ_EUlSY_E_NS1_11comp_targetILNS1_3genE5ELNS1_11target_archE942ELNS1_3gpuE9ELNS1_3repE0EEENS1_30default_config_static_selectorELNS0_4arch9wavefront6targetE1EEEvT1_
	.globl	_ZN7rocprim17ROCPRIM_400000_NS6detail17trampoline_kernelINS0_14default_configENS1_29reduce_by_key_config_selectorIhlN6thrust23THRUST_200600_302600_NS4plusIlEEEEZZNS1_33reduce_by_key_impl_wrapped_configILNS1_25lookback_scan_determinismE0ES3_S9_PhNS6_17constant_iteratorIiNS6_11use_defaultESE_EENS6_10device_ptrIhEENSG_IlEEPmS8_NS6_8equal_toIhEEEE10hipError_tPvRmT2_T3_mT4_T5_T6_T7_T8_P12ihipStream_tbENKUlT_T0_E_clISt17integral_constantIbLb0EES12_IbLb1EEEEDaSY_SZ_EUlSY_E_NS1_11comp_targetILNS1_3genE5ELNS1_11target_archE942ELNS1_3gpuE9ELNS1_3repE0EEENS1_30default_config_static_selectorELNS0_4arch9wavefront6targetE1EEEvT1_
	.p2align	8
	.type	_ZN7rocprim17ROCPRIM_400000_NS6detail17trampoline_kernelINS0_14default_configENS1_29reduce_by_key_config_selectorIhlN6thrust23THRUST_200600_302600_NS4plusIlEEEEZZNS1_33reduce_by_key_impl_wrapped_configILNS1_25lookback_scan_determinismE0ES3_S9_PhNS6_17constant_iteratorIiNS6_11use_defaultESE_EENS6_10device_ptrIhEENSG_IlEEPmS8_NS6_8equal_toIhEEEE10hipError_tPvRmT2_T3_mT4_T5_T6_T7_T8_P12ihipStream_tbENKUlT_T0_E_clISt17integral_constantIbLb0EES12_IbLb1EEEEDaSY_SZ_EUlSY_E_NS1_11comp_targetILNS1_3genE5ELNS1_11target_archE942ELNS1_3gpuE9ELNS1_3repE0EEENS1_30default_config_static_selectorELNS0_4arch9wavefront6targetE1EEEvT1_,@function
_ZN7rocprim17ROCPRIM_400000_NS6detail17trampoline_kernelINS0_14default_configENS1_29reduce_by_key_config_selectorIhlN6thrust23THRUST_200600_302600_NS4plusIlEEEEZZNS1_33reduce_by_key_impl_wrapped_configILNS1_25lookback_scan_determinismE0ES3_S9_PhNS6_17constant_iteratorIiNS6_11use_defaultESE_EENS6_10device_ptrIhEENSG_IlEEPmS8_NS6_8equal_toIhEEEE10hipError_tPvRmT2_T3_mT4_T5_T6_T7_T8_P12ihipStream_tbENKUlT_T0_E_clISt17integral_constantIbLb0EES12_IbLb1EEEEDaSY_SZ_EUlSY_E_NS1_11comp_targetILNS1_3genE5ELNS1_11target_archE942ELNS1_3gpuE9ELNS1_3repE0EEENS1_30default_config_static_selectorELNS0_4arch9wavefront6targetE1EEEvT1_: ; @_ZN7rocprim17ROCPRIM_400000_NS6detail17trampoline_kernelINS0_14default_configENS1_29reduce_by_key_config_selectorIhlN6thrust23THRUST_200600_302600_NS4plusIlEEEEZZNS1_33reduce_by_key_impl_wrapped_configILNS1_25lookback_scan_determinismE0ES3_S9_PhNS6_17constant_iteratorIiNS6_11use_defaultESE_EENS6_10device_ptrIhEENSG_IlEEPmS8_NS6_8equal_toIhEEEE10hipError_tPvRmT2_T3_mT4_T5_T6_T7_T8_P12ihipStream_tbENKUlT_T0_E_clISt17integral_constantIbLb0EES12_IbLb1EEEEDaSY_SZ_EUlSY_E_NS1_11comp_targetILNS1_3genE5ELNS1_11target_archE942ELNS1_3gpuE9ELNS1_3repE0EEENS1_30default_config_static_selectorELNS0_4arch9wavefront6targetE1EEEvT1_
; %bb.0:
	.section	.rodata,"a",@progbits
	.p2align	6, 0x0
	.amdhsa_kernel _ZN7rocprim17ROCPRIM_400000_NS6detail17trampoline_kernelINS0_14default_configENS1_29reduce_by_key_config_selectorIhlN6thrust23THRUST_200600_302600_NS4plusIlEEEEZZNS1_33reduce_by_key_impl_wrapped_configILNS1_25lookback_scan_determinismE0ES3_S9_PhNS6_17constant_iteratorIiNS6_11use_defaultESE_EENS6_10device_ptrIhEENSG_IlEEPmS8_NS6_8equal_toIhEEEE10hipError_tPvRmT2_T3_mT4_T5_T6_T7_T8_P12ihipStream_tbENKUlT_T0_E_clISt17integral_constantIbLb0EES12_IbLb1EEEEDaSY_SZ_EUlSY_E_NS1_11comp_targetILNS1_3genE5ELNS1_11target_archE942ELNS1_3gpuE9ELNS1_3repE0EEENS1_30default_config_static_selectorELNS0_4arch9wavefront6targetE1EEEvT1_
		.amdhsa_group_segment_fixed_size 0
		.amdhsa_private_segment_fixed_size 0
		.amdhsa_kernarg_size 144
		.amdhsa_user_sgpr_count 6
		.amdhsa_user_sgpr_private_segment_buffer 1
		.amdhsa_user_sgpr_dispatch_ptr 0
		.amdhsa_user_sgpr_queue_ptr 0
		.amdhsa_user_sgpr_kernarg_segment_ptr 1
		.amdhsa_user_sgpr_dispatch_id 0
		.amdhsa_user_sgpr_flat_scratch_init 0
		.amdhsa_user_sgpr_kernarg_preload_length 0
		.amdhsa_user_sgpr_kernarg_preload_offset 0
		.amdhsa_user_sgpr_private_segment_size 0
		.amdhsa_uses_dynamic_stack 0
		.amdhsa_system_sgpr_private_segment_wavefront_offset 0
		.amdhsa_system_sgpr_workgroup_id_x 1
		.amdhsa_system_sgpr_workgroup_id_y 0
		.amdhsa_system_sgpr_workgroup_id_z 0
		.amdhsa_system_sgpr_workgroup_info 0
		.amdhsa_system_vgpr_workitem_id 0
		.amdhsa_next_free_vgpr 1
		.amdhsa_next_free_sgpr 0
		.amdhsa_accum_offset 4
		.amdhsa_reserve_vcc 0
		.amdhsa_reserve_flat_scratch 0
		.amdhsa_float_round_mode_32 0
		.amdhsa_float_round_mode_16_64 0
		.amdhsa_float_denorm_mode_32 3
		.amdhsa_float_denorm_mode_16_64 3
		.amdhsa_dx10_clamp 1
		.amdhsa_ieee_mode 1
		.amdhsa_fp16_overflow 0
		.amdhsa_tg_split 0
		.amdhsa_exception_fp_ieee_invalid_op 0
		.amdhsa_exception_fp_denorm_src 0
		.amdhsa_exception_fp_ieee_div_zero 0
		.amdhsa_exception_fp_ieee_overflow 0
		.amdhsa_exception_fp_ieee_underflow 0
		.amdhsa_exception_fp_ieee_inexact 0
		.amdhsa_exception_int_div_zero 0
	.end_amdhsa_kernel
	.section	.text._ZN7rocprim17ROCPRIM_400000_NS6detail17trampoline_kernelINS0_14default_configENS1_29reduce_by_key_config_selectorIhlN6thrust23THRUST_200600_302600_NS4plusIlEEEEZZNS1_33reduce_by_key_impl_wrapped_configILNS1_25lookback_scan_determinismE0ES3_S9_PhNS6_17constant_iteratorIiNS6_11use_defaultESE_EENS6_10device_ptrIhEENSG_IlEEPmS8_NS6_8equal_toIhEEEE10hipError_tPvRmT2_T3_mT4_T5_T6_T7_T8_P12ihipStream_tbENKUlT_T0_E_clISt17integral_constantIbLb0EES12_IbLb1EEEEDaSY_SZ_EUlSY_E_NS1_11comp_targetILNS1_3genE5ELNS1_11target_archE942ELNS1_3gpuE9ELNS1_3repE0EEENS1_30default_config_static_selectorELNS0_4arch9wavefront6targetE1EEEvT1_,"axG",@progbits,_ZN7rocprim17ROCPRIM_400000_NS6detail17trampoline_kernelINS0_14default_configENS1_29reduce_by_key_config_selectorIhlN6thrust23THRUST_200600_302600_NS4plusIlEEEEZZNS1_33reduce_by_key_impl_wrapped_configILNS1_25lookback_scan_determinismE0ES3_S9_PhNS6_17constant_iteratorIiNS6_11use_defaultESE_EENS6_10device_ptrIhEENSG_IlEEPmS8_NS6_8equal_toIhEEEE10hipError_tPvRmT2_T3_mT4_T5_T6_T7_T8_P12ihipStream_tbENKUlT_T0_E_clISt17integral_constantIbLb0EES12_IbLb1EEEEDaSY_SZ_EUlSY_E_NS1_11comp_targetILNS1_3genE5ELNS1_11target_archE942ELNS1_3gpuE9ELNS1_3repE0EEENS1_30default_config_static_selectorELNS0_4arch9wavefront6targetE1EEEvT1_,comdat
.Lfunc_end395:
	.size	_ZN7rocprim17ROCPRIM_400000_NS6detail17trampoline_kernelINS0_14default_configENS1_29reduce_by_key_config_selectorIhlN6thrust23THRUST_200600_302600_NS4plusIlEEEEZZNS1_33reduce_by_key_impl_wrapped_configILNS1_25lookback_scan_determinismE0ES3_S9_PhNS6_17constant_iteratorIiNS6_11use_defaultESE_EENS6_10device_ptrIhEENSG_IlEEPmS8_NS6_8equal_toIhEEEE10hipError_tPvRmT2_T3_mT4_T5_T6_T7_T8_P12ihipStream_tbENKUlT_T0_E_clISt17integral_constantIbLb0EES12_IbLb1EEEEDaSY_SZ_EUlSY_E_NS1_11comp_targetILNS1_3genE5ELNS1_11target_archE942ELNS1_3gpuE9ELNS1_3repE0EEENS1_30default_config_static_selectorELNS0_4arch9wavefront6targetE1EEEvT1_, .Lfunc_end395-_ZN7rocprim17ROCPRIM_400000_NS6detail17trampoline_kernelINS0_14default_configENS1_29reduce_by_key_config_selectorIhlN6thrust23THRUST_200600_302600_NS4plusIlEEEEZZNS1_33reduce_by_key_impl_wrapped_configILNS1_25lookback_scan_determinismE0ES3_S9_PhNS6_17constant_iteratorIiNS6_11use_defaultESE_EENS6_10device_ptrIhEENSG_IlEEPmS8_NS6_8equal_toIhEEEE10hipError_tPvRmT2_T3_mT4_T5_T6_T7_T8_P12ihipStream_tbENKUlT_T0_E_clISt17integral_constantIbLb0EES12_IbLb1EEEEDaSY_SZ_EUlSY_E_NS1_11comp_targetILNS1_3genE5ELNS1_11target_archE942ELNS1_3gpuE9ELNS1_3repE0EEENS1_30default_config_static_selectorELNS0_4arch9wavefront6targetE1EEEvT1_
                                        ; -- End function
	.section	.AMDGPU.csdata,"",@progbits
; Kernel info:
; codeLenInByte = 0
; NumSgprs: 4
; NumVgprs: 0
; NumAgprs: 0
; TotalNumVgprs: 0
; ScratchSize: 0
; MemoryBound: 0
; FloatMode: 240
; IeeeMode: 1
; LDSByteSize: 0 bytes/workgroup (compile time only)
; SGPRBlocks: 0
; VGPRBlocks: 0
; NumSGPRsForWavesPerEU: 4
; NumVGPRsForWavesPerEU: 1
; AccumOffset: 4
; Occupancy: 8
; WaveLimiterHint : 0
; COMPUTE_PGM_RSRC2:SCRATCH_EN: 0
; COMPUTE_PGM_RSRC2:USER_SGPR: 6
; COMPUTE_PGM_RSRC2:TRAP_HANDLER: 0
; COMPUTE_PGM_RSRC2:TGID_X_EN: 1
; COMPUTE_PGM_RSRC2:TGID_Y_EN: 0
; COMPUTE_PGM_RSRC2:TGID_Z_EN: 0
; COMPUTE_PGM_RSRC2:TIDIG_COMP_CNT: 0
; COMPUTE_PGM_RSRC3_GFX90A:ACCUM_OFFSET: 0
; COMPUTE_PGM_RSRC3_GFX90A:TG_SPLIT: 0
	.section	.text._ZN7rocprim17ROCPRIM_400000_NS6detail17trampoline_kernelINS0_14default_configENS1_29reduce_by_key_config_selectorIhlN6thrust23THRUST_200600_302600_NS4plusIlEEEEZZNS1_33reduce_by_key_impl_wrapped_configILNS1_25lookback_scan_determinismE0ES3_S9_PhNS6_17constant_iteratorIiNS6_11use_defaultESE_EENS6_10device_ptrIhEENSG_IlEEPmS8_NS6_8equal_toIhEEEE10hipError_tPvRmT2_T3_mT4_T5_T6_T7_T8_P12ihipStream_tbENKUlT_T0_E_clISt17integral_constantIbLb0EES12_IbLb1EEEEDaSY_SZ_EUlSY_E_NS1_11comp_targetILNS1_3genE4ELNS1_11target_archE910ELNS1_3gpuE8ELNS1_3repE0EEENS1_30default_config_static_selectorELNS0_4arch9wavefront6targetE1EEEvT1_,"axG",@progbits,_ZN7rocprim17ROCPRIM_400000_NS6detail17trampoline_kernelINS0_14default_configENS1_29reduce_by_key_config_selectorIhlN6thrust23THRUST_200600_302600_NS4plusIlEEEEZZNS1_33reduce_by_key_impl_wrapped_configILNS1_25lookback_scan_determinismE0ES3_S9_PhNS6_17constant_iteratorIiNS6_11use_defaultESE_EENS6_10device_ptrIhEENSG_IlEEPmS8_NS6_8equal_toIhEEEE10hipError_tPvRmT2_T3_mT4_T5_T6_T7_T8_P12ihipStream_tbENKUlT_T0_E_clISt17integral_constantIbLb0EES12_IbLb1EEEEDaSY_SZ_EUlSY_E_NS1_11comp_targetILNS1_3genE4ELNS1_11target_archE910ELNS1_3gpuE8ELNS1_3repE0EEENS1_30default_config_static_selectorELNS0_4arch9wavefront6targetE1EEEvT1_,comdat
	.protected	_ZN7rocprim17ROCPRIM_400000_NS6detail17trampoline_kernelINS0_14default_configENS1_29reduce_by_key_config_selectorIhlN6thrust23THRUST_200600_302600_NS4plusIlEEEEZZNS1_33reduce_by_key_impl_wrapped_configILNS1_25lookback_scan_determinismE0ES3_S9_PhNS6_17constant_iteratorIiNS6_11use_defaultESE_EENS6_10device_ptrIhEENSG_IlEEPmS8_NS6_8equal_toIhEEEE10hipError_tPvRmT2_T3_mT4_T5_T6_T7_T8_P12ihipStream_tbENKUlT_T0_E_clISt17integral_constantIbLb0EES12_IbLb1EEEEDaSY_SZ_EUlSY_E_NS1_11comp_targetILNS1_3genE4ELNS1_11target_archE910ELNS1_3gpuE8ELNS1_3repE0EEENS1_30default_config_static_selectorELNS0_4arch9wavefront6targetE1EEEvT1_ ; -- Begin function _ZN7rocprim17ROCPRIM_400000_NS6detail17trampoline_kernelINS0_14default_configENS1_29reduce_by_key_config_selectorIhlN6thrust23THRUST_200600_302600_NS4plusIlEEEEZZNS1_33reduce_by_key_impl_wrapped_configILNS1_25lookback_scan_determinismE0ES3_S9_PhNS6_17constant_iteratorIiNS6_11use_defaultESE_EENS6_10device_ptrIhEENSG_IlEEPmS8_NS6_8equal_toIhEEEE10hipError_tPvRmT2_T3_mT4_T5_T6_T7_T8_P12ihipStream_tbENKUlT_T0_E_clISt17integral_constantIbLb0EES12_IbLb1EEEEDaSY_SZ_EUlSY_E_NS1_11comp_targetILNS1_3genE4ELNS1_11target_archE910ELNS1_3gpuE8ELNS1_3repE0EEENS1_30default_config_static_selectorELNS0_4arch9wavefront6targetE1EEEvT1_
	.globl	_ZN7rocprim17ROCPRIM_400000_NS6detail17trampoline_kernelINS0_14default_configENS1_29reduce_by_key_config_selectorIhlN6thrust23THRUST_200600_302600_NS4plusIlEEEEZZNS1_33reduce_by_key_impl_wrapped_configILNS1_25lookback_scan_determinismE0ES3_S9_PhNS6_17constant_iteratorIiNS6_11use_defaultESE_EENS6_10device_ptrIhEENSG_IlEEPmS8_NS6_8equal_toIhEEEE10hipError_tPvRmT2_T3_mT4_T5_T6_T7_T8_P12ihipStream_tbENKUlT_T0_E_clISt17integral_constantIbLb0EES12_IbLb1EEEEDaSY_SZ_EUlSY_E_NS1_11comp_targetILNS1_3genE4ELNS1_11target_archE910ELNS1_3gpuE8ELNS1_3repE0EEENS1_30default_config_static_selectorELNS0_4arch9wavefront6targetE1EEEvT1_
	.p2align	8
	.type	_ZN7rocprim17ROCPRIM_400000_NS6detail17trampoline_kernelINS0_14default_configENS1_29reduce_by_key_config_selectorIhlN6thrust23THRUST_200600_302600_NS4plusIlEEEEZZNS1_33reduce_by_key_impl_wrapped_configILNS1_25lookback_scan_determinismE0ES3_S9_PhNS6_17constant_iteratorIiNS6_11use_defaultESE_EENS6_10device_ptrIhEENSG_IlEEPmS8_NS6_8equal_toIhEEEE10hipError_tPvRmT2_T3_mT4_T5_T6_T7_T8_P12ihipStream_tbENKUlT_T0_E_clISt17integral_constantIbLb0EES12_IbLb1EEEEDaSY_SZ_EUlSY_E_NS1_11comp_targetILNS1_3genE4ELNS1_11target_archE910ELNS1_3gpuE8ELNS1_3repE0EEENS1_30default_config_static_selectorELNS0_4arch9wavefront6targetE1EEEvT1_,@function
_ZN7rocprim17ROCPRIM_400000_NS6detail17trampoline_kernelINS0_14default_configENS1_29reduce_by_key_config_selectorIhlN6thrust23THRUST_200600_302600_NS4plusIlEEEEZZNS1_33reduce_by_key_impl_wrapped_configILNS1_25lookback_scan_determinismE0ES3_S9_PhNS6_17constant_iteratorIiNS6_11use_defaultESE_EENS6_10device_ptrIhEENSG_IlEEPmS8_NS6_8equal_toIhEEEE10hipError_tPvRmT2_T3_mT4_T5_T6_T7_T8_P12ihipStream_tbENKUlT_T0_E_clISt17integral_constantIbLb0EES12_IbLb1EEEEDaSY_SZ_EUlSY_E_NS1_11comp_targetILNS1_3genE4ELNS1_11target_archE910ELNS1_3gpuE8ELNS1_3repE0EEENS1_30default_config_static_selectorELNS0_4arch9wavefront6targetE1EEEvT1_: ; @_ZN7rocprim17ROCPRIM_400000_NS6detail17trampoline_kernelINS0_14default_configENS1_29reduce_by_key_config_selectorIhlN6thrust23THRUST_200600_302600_NS4plusIlEEEEZZNS1_33reduce_by_key_impl_wrapped_configILNS1_25lookback_scan_determinismE0ES3_S9_PhNS6_17constant_iteratorIiNS6_11use_defaultESE_EENS6_10device_ptrIhEENSG_IlEEPmS8_NS6_8equal_toIhEEEE10hipError_tPvRmT2_T3_mT4_T5_T6_T7_T8_P12ihipStream_tbENKUlT_T0_E_clISt17integral_constantIbLb0EES12_IbLb1EEEEDaSY_SZ_EUlSY_E_NS1_11comp_targetILNS1_3genE4ELNS1_11target_archE910ELNS1_3gpuE8ELNS1_3repE0EEENS1_30default_config_static_selectorELNS0_4arch9wavefront6targetE1EEEvT1_
; %bb.0:
	s_load_dwordx4 s[52:55], s[4:5], 0x20
	s_load_dwordx2 s[56:57], s[4:5], 0x30
	s_load_dwordx2 s[30:31], s[4:5], 0x80
	v_cmp_ne_u32_e64 s[2:3], 0, v0
	v_cmp_eq_u32_e64 s[0:1], 0, v0
	s_and_saveexec_b64 s[6:7], s[0:1]
	s_cbranch_execz .LBB396_4
; %bb.1:
	s_mov_b64 s[10:11], exec
	v_mbcnt_lo_u32_b32 v1, s10, 0
	v_mbcnt_hi_u32_b32 v1, s11, v1
	v_cmp_eq_u32_e32 vcc, 0, v1
                                        ; implicit-def: $vgpr2
	s_and_saveexec_b64 s[8:9], vcc
	s_cbranch_execz .LBB396_3
; %bb.2:
	s_load_dwordx2 s[12:13], s[4:5], 0x88
	s_bcnt1_i32_b64 s10, s[10:11]
	v_mov_b32_e32 v2, 0
	v_mov_b32_e32 v3, s10
	s_waitcnt lgkmcnt(0)
	global_atomic_add v2, v2, v3, s[12:13] glc
.LBB396_3:
	s_or_b64 exec, exec, s[8:9]
	s_waitcnt vmcnt(0)
	v_readfirstlane_b32 s8, v2
	v_add_u32_e32 v1, s8, v1
	v_mov_b32_e32 v2, 0
	ds_write_b32 v2, v1
.LBB396_4:
	s_or_b64 exec, exec, s[6:7]
	s_load_dwordx4 s[8:11], s[4:5], 0x0
	s_load_dword s6, s[4:5], 0x18
	s_load_dwordx16 s[36:51], s[4:5], 0x40
	v_mov_b32_e32 v1, 0
	s_waitcnt lgkmcnt(0)
	s_barrier
	ds_read_b32 v1, v1
	s_mul_i32 s4, s44, s43
	s_mul_hi_u32 s5, s44, s42
	s_add_i32 s4, s5, s4
	s_mul_i32 s5, s45, s42
	s_add_i32 s5, s4, s5
	s_add_u32 s7, s8, s10
	s_mul_i32 s4, s44, s42
	s_addc_u32 s8, s9, s11
	s_waitcnt lgkmcnt(0)
	v_readfirstlane_b32 s64, v1
	s_add_u32 s4, s4, s64
	s_addc_u32 s5, s5, 0
	s_movk_i32 s9, 0xf00
	s_add_u32 s12, s46, -1
	v_mul_lo_u32 v1, v1, s9
	s_addc_u32 s13, s47, -1
	v_mov_b32_e32 v2, s8
	v_add_co_u32_e32 v64, vcc, s7, v1
	s_cmp_eq_u64 s[4:5], s[12:13]
	v_addc_co_u32_e32 v65, vcc, 0, v2, vcc
	s_cselect_b64 s[44:45], -1, 0
	s_cmp_lg_u64 s[4:5], s[12:13]
	s_mov_b64 s[10:11], -1
	s_cselect_b64 s[8:9], -1, 0
	s_mul_i32 s33, s12, 0xfffff100
	s_and_b64 vcc, exec, s[44:45]
	v_mad_u32_u24 v6, v0, 14, v0
	v_mad_u32_u24 v38, v0, 15, 1
	;; [unrolled: 1-line block ×15, first 2 shown]
	s_barrier
	s_cbranch_vccnz .LBB396_6
; %bb.5:
	v_readfirstlane_b32 s10, v64
	v_readfirstlane_b32 s11, v65
	s_nop 4
	global_load_ubyte v1, v0, s[10:11]
	global_load_ubyte v2, v0, s[10:11] offset:256
	global_load_ubyte v3, v0, s[10:11] offset:512
	;; [unrolled: 1-line block ×14, first 2 shown]
	s_ashr_i32 s7, s6, 31
	v_mul_u32_u24_e32 v7, 15, v0
	v_mad_u32_u24 v20, v0, 15, 1
	v_mad_u32_u24 v19, v0, 15, 2
	v_mad_u32_u24 v18, v0, 15, 3
	v_mad_u32_u24 v15, v0, 15, 4
	v_mad_u32_u24 v14, v0, 15, 5
	v_mad_u32_u24 v13, v0, 15, 6
	v_mad_u32_u24 v12, v0, 15, 7
	v_mad_u32_u24 v11, v0, 15, 8
	v_mad_u32_u24 v10, v0, 15, 9
	v_mad_u32_u24 v9, v0, 15, 10
	v_mad_u32_u24 v8, v0, 15, 11
	v_mad_u32_u24 v34, v0, 15, 12
	v_mad_u32_u24 v17, v0, 15, 13
	v_mad_u32_u24 v16, v0, 15, 14
	v_mad_i32_i24 v33, v0, -7, v6
	v_pk_mov_b32 v[22:23], s[6:7], s[6:7] op_sel:[0,1]
	s_waitcnt vmcnt(14)
	ds_write_b8 v0, v1
	s_waitcnt vmcnt(13)
	ds_write_b8 v0, v2 offset:256
	s_waitcnt vmcnt(12)
	ds_write_b8 v0, v3 offset:512
	;; [unrolled: 2-line block ×14, first 2 shown]
	s_waitcnt lgkmcnt(0)
	s_barrier
	ds_read_b96 v[2:4], v6
	ds_read_u8 v73, v6 offset:12
	ds_read_u8 v5, v6 offset:13
	;; [unrolled: 1-line block ×3, first 2 shown]
	s_waitcnt lgkmcnt(0)
	v_lshrrev_b32_e32 v93, 8, v2
	v_lshrrev_b32_e32 v92, 16, v2
	;; [unrolled: 1-line block ×9, first 2 shown]
	s_barrier
	ds_write2st64_b64 v33, v[22:23], v[22:23] offset1:4
	ds_write2st64_b64 v33, v[22:23], v[22:23] offset0:8 offset1:12
	ds_write2st64_b64 v33, v[22:23], v[22:23] offset0:16 offset1:20
	;; [unrolled: 1-line block ×6, first 2 shown]
	ds_write_b64 v33, v[22:23] offset:28672
	s_waitcnt lgkmcnt(0)
	s_barrier
	s_add_i32 s33, s33, s48
	s_cbranch_execz .LBB396_7
	s_branch .LBB396_38
.LBB396_6:
                                        ; implicit-def: $vgpr16
                                        ; implicit-def: $vgpr17
                                        ; implicit-def: $vgpr34
                                        ; implicit-def: $vgpr8
                                        ; implicit-def: $vgpr9
                                        ; implicit-def: $vgpr10
                                        ; implicit-def: $vgpr11
                                        ; implicit-def: $vgpr12
                                        ; implicit-def: $vgpr13
                                        ; implicit-def: $vgpr14
                                        ; implicit-def: $vgpr15
                                        ; implicit-def: $vgpr18
                                        ; implicit-def: $vgpr19
                                        ; implicit-def: $vgpr20
                                        ; implicit-def: $vgpr7
                                        ; implicit-def: $vgpr2
                                        ; implicit-def: $vgpr93
                                        ; implicit-def: $vgpr92
                                        ; implicit-def: $vgpr90
                                        ; implicit-def: $vgpr88
                                        ; implicit-def: $vgpr86
                                        ; implicit-def: $vgpr84
                                        ; implicit-def: $vgpr82
                                        ; implicit-def: $vgpr81
                                        ; implicit-def: $vgpr79
                                        ; implicit-def: $vgpr73
                                        ; implicit-def: $vgpr5
                                        ; implicit-def: $vgpr1
	s_andn2_b64 vcc, exec, s[10:11]
	s_add_i32 s33, s33, s48
	s_cbranch_vccnz .LBB396_38
.LBB396_7:
	v_cmp_gt_u32_e32 vcc, s33, v0
                                        ; implicit-def: $vgpr1
	s_and_saveexec_b64 s[10:11], vcc
	s_cbranch_execz .LBB396_9
; %bb.8:
	v_readfirstlane_b32 s12, v64
	v_readfirstlane_b32 s13, v65
	s_nop 4
	global_load_ubyte v1, v0, s[12:13]
.LBB396_9:
	s_or_b64 exec, exec, s[10:11]
	v_or_b32_e32 v2, 0x100, v0
	v_cmp_gt_u32_e32 vcc, s33, v2
                                        ; implicit-def: $vgpr2
	s_and_saveexec_b64 s[10:11], vcc
	s_cbranch_execz .LBB396_11
; %bb.10:
	v_readfirstlane_b32 s12, v64
	v_readfirstlane_b32 s13, v65
	s_nop 4
	global_load_ubyte v2, v0, s[12:13] offset:256
.LBB396_11:
	s_or_b64 exec, exec, s[10:11]
	v_or_b32_e32 v3, 0x200, v0
	v_cmp_gt_u32_e32 vcc, s33, v3
                                        ; implicit-def: $vgpr3
	s_and_saveexec_b64 s[10:11], vcc
	s_cbranch_execz .LBB396_13
; %bb.12:
	v_readfirstlane_b32 s12, v64
	v_readfirstlane_b32 s13, v65
	s_nop 4
	global_load_ubyte v3, v0, s[12:13] offset:512
.LBB396_13:
	s_or_b64 exec, exec, s[10:11]
	v_or_b32_e32 v4, 0x300, v0
	v_cmp_gt_u32_e32 vcc, s33, v4
                                        ; implicit-def: $vgpr4
	s_and_saveexec_b64 s[10:11], vcc
	s_cbranch_execz .LBB396_15
; %bb.14:
	v_readfirstlane_b32 s12, v64
	v_readfirstlane_b32 s13, v65
	s_nop 4
	global_load_ubyte v4, v0, s[12:13] offset:768
.LBB396_15:
	s_or_b64 exec, exec, s[10:11]
	v_or_b32_e32 v5, 0x400, v0
	v_cmp_gt_u32_e32 vcc, s33, v5
                                        ; implicit-def: $vgpr5
	s_and_saveexec_b64 s[10:11], vcc
	s_cbranch_execz .LBB396_17
; %bb.16:
	v_readfirstlane_b32 s12, v64
	v_readfirstlane_b32 s13, v65
	s_nop 4
	global_load_ubyte v5, v0, s[12:13] offset:1024
.LBB396_17:
	s_or_b64 exec, exec, s[10:11]
	v_or_b32_e32 v7, 0x500, v0
	v_cmp_gt_u32_e32 vcc, s33, v7
                                        ; implicit-def: $vgpr7
	s_and_saveexec_b64 s[10:11], vcc
	s_cbranch_execz .LBB396_19
; %bb.18:
	v_readfirstlane_b32 s12, v64
	v_readfirstlane_b32 s13, v65
	s_nop 4
	global_load_ubyte v7, v0, s[12:13] offset:1280
.LBB396_19:
	s_or_b64 exec, exec, s[10:11]
	v_or_b32_e32 v8, 0x600, v0
	v_cmp_gt_u32_e32 vcc, s33, v8
                                        ; implicit-def: $vgpr8
	s_and_saveexec_b64 s[10:11], vcc
	s_cbranch_execz .LBB396_21
; %bb.20:
	v_readfirstlane_b32 s12, v64
	v_readfirstlane_b32 s13, v65
	s_nop 4
	global_load_ubyte v8, v0, s[12:13] offset:1536
.LBB396_21:
	s_or_b64 exec, exec, s[10:11]
	v_or_b32_e32 v9, 0x700, v0
	v_cmp_gt_u32_e32 vcc, s33, v9
                                        ; implicit-def: $vgpr9
	s_and_saveexec_b64 s[10:11], vcc
	s_cbranch_execz .LBB396_23
; %bb.22:
	v_readfirstlane_b32 s12, v64
	v_readfirstlane_b32 s13, v65
	s_nop 4
	global_load_ubyte v9, v0, s[12:13] offset:1792
.LBB396_23:
	s_or_b64 exec, exec, s[10:11]
	v_or_b32_e32 v10, 0x800, v0
	v_cmp_gt_u32_e32 vcc, s33, v10
                                        ; implicit-def: $vgpr10
	s_and_saveexec_b64 s[10:11], vcc
	s_cbranch_execz .LBB396_25
; %bb.24:
	v_readfirstlane_b32 s12, v64
	v_readfirstlane_b32 s13, v65
	s_nop 4
	global_load_ubyte v10, v0, s[12:13] offset:2048
.LBB396_25:
	s_or_b64 exec, exec, s[10:11]
	v_or_b32_e32 v11, 0x900, v0
	v_cmp_gt_u32_e32 vcc, s33, v11
                                        ; implicit-def: $vgpr11
	s_and_saveexec_b64 s[10:11], vcc
	s_cbranch_execz .LBB396_27
; %bb.26:
	v_readfirstlane_b32 s12, v64
	v_readfirstlane_b32 s13, v65
	s_nop 4
	global_load_ubyte v11, v0, s[12:13] offset:2304
.LBB396_27:
	s_or_b64 exec, exec, s[10:11]
	v_or_b32_e32 v12, 0xa00, v0
	v_cmp_gt_u32_e32 vcc, s33, v12
                                        ; implicit-def: $vgpr12
	s_and_saveexec_b64 s[10:11], vcc
	s_cbranch_execz .LBB396_29
; %bb.28:
	v_readfirstlane_b32 s12, v64
	v_readfirstlane_b32 s13, v65
	s_nop 4
	global_load_ubyte v12, v0, s[12:13] offset:2560
.LBB396_29:
	s_or_b64 exec, exec, s[10:11]
	v_or_b32_e32 v13, 0xb00, v0
	v_cmp_gt_u32_e32 vcc, s33, v13
                                        ; implicit-def: $vgpr13
	s_and_saveexec_b64 s[10:11], vcc
	s_cbranch_execz .LBB396_31
; %bb.30:
	v_readfirstlane_b32 s12, v64
	v_readfirstlane_b32 s13, v65
	s_nop 4
	global_load_ubyte v13, v0, s[12:13] offset:2816
.LBB396_31:
	s_or_b64 exec, exec, s[10:11]
	v_or_b32_e32 v14, 0xc00, v0
	v_cmp_gt_u32_e32 vcc, s33, v14
                                        ; implicit-def: $vgpr14
	s_and_saveexec_b64 s[10:11], vcc
	s_cbranch_execz .LBB396_33
; %bb.32:
	v_readfirstlane_b32 s12, v64
	v_readfirstlane_b32 s13, v65
	s_nop 4
	global_load_ubyte v14, v0, s[12:13] offset:3072
.LBB396_33:
	s_or_b64 exec, exec, s[10:11]
	v_or_b32_e32 v15, 0xd00, v0
	v_cmp_gt_u32_e32 vcc, s33, v15
                                        ; implicit-def: $vgpr15
	s_and_saveexec_b64 s[10:11], vcc
	s_cbranch_execz .LBB396_35
; %bb.34:
	v_readfirstlane_b32 s12, v64
	v_readfirstlane_b32 s13, v65
	s_nop 4
	global_load_ubyte v15, v0, s[12:13] offset:3328
.LBB396_35:
	s_or_b64 exec, exec, s[10:11]
	v_or_b32_e32 v16, 0xe00, v0
	v_cmp_gt_u32_e32 vcc, s33, v16
                                        ; implicit-def: $vgpr16
	s_and_saveexec_b64 s[10:11], vcc
	s_cbranch_execz .LBB396_37
; %bb.36:
	v_readfirstlane_b32 s12, v64
	v_readfirstlane_b32 s13, v65
	s_nop 4
	global_load_ubyte v16, v0, s[12:13] offset:3584
.LBB396_37:
	s_or_b64 exec, exec, s[10:11]
	s_waitcnt vmcnt(0)
	ds_write_b8 v0, v1
	ds_write_b8 v0, v2 offset:256
	ds_write_b8 v0, v3 offset:512
	;; [unrolled: 1-line block ×14, first 2 shown]
	s_waitcnt lgkmcnt(0)
	s_barrier
	ds_read_b96 v[2:4], v6
	ds_read_u8 v73, v6 offset:12
	ds_read_u8 v5, v6 offset:13
	;; [unrolled: 1-line block ×3, first 2 shown]
	s_ashr_i32 s7, s6, 31
	v_mad_i32_i24 v6, v0, -7, v6
	v_pk_mov_b32 v[8:9], s[6:7], s[6:7] op_sel:[0,1]
	v_mul_u32_u24_e32 v7, 15, v0
	s_waitcnt lgkmcnt(3)
	v_lshrrev_b32_e32 v93, 8, v2
	v_lshrrev_b32_e32 v92, 16, v2
	v_lshrrev_b32_e32 v90, 24, v2
	v_lshrrev_b32_e32 v88, 8, v3
	v_lshrrev_b32_e32 v86, 16, v3
	v_lshrrev_b32_e32 v84, 24, v3
	v_lshrrev_b32_e32 v82, 8, v4
	v_lshrrev_b32_e32 v81, 16, v4
	v_lshrrev_b32_e32 v79, 24, v4
	s_waitcnt lgkmcnt(0)
	s_barrier
	ds_write2st64_b64 v6, v[8:9], v[8:9] offset1:4
	ds_write2st64_b64 v6, v[8:9], v[8:9] offset0:8 offset1:12
	ds_write2st64_b64 v6, v[8:9], v[8:9] offset0:16 offset1:20
	;; [unrolled: 1-line block ×6, first 2 shown]
	ds_write_b64 v6, v[8:9] offset:28672
	v_mov_b32_e32 v16, v36
	v_mov_b32_e32 v17, v62
	;; [unrolled: 1-line block ×14, first 2 shown]
	s_waitcnt lgkmcnt(0)
	s_barrier
.LBB396_38:
	v_lshlrev_b32_e32 v6, 3, v7
	v_lshlrev_b32_e32 v7, 3, v20
	v_lshlrev_b32_e32 v19, 3, v19
	v_lshlrev_b32_e32 v18, 3, v18
	ds_read_b64 v[32:33], v6
	ds_read_b64 v[30:31], v7
	ds_read_b64 v[28:29], v19
	ds_read_b64 v[24:25], v18
	v_lshlrev_b32_e32 v6, 3, v15
	v_lshlrev_b32_e32 v7, 3, v14
	v_lshlrev_b32_e32 v13, 3, v13
	v_lshlrev_b32_e32 v12, 3, v12
	ds_read_b64 v[26:27], v6
	ds_read_b64 v[22:23], v7
	ds_read_b64 v[20:21], v13
	ds_read_b64 v[14:15], v12
	;; [unrolled: 8-line block ×3, first 2 shown]
	v_lshlrev_b32_e32 v6, 3, v34
	v_lshlrev_b32_e32 v17, 3, v17
	;; [unrolled: 1-line block ×3, first 2 shown]
	ds_read_b64 v[6:7], v6
	ds_read_b64 v[16:17], v17
	;; [unrolled: 1-line block ×3, first 2 shown]
	s_cmp_eq_u64 s[4:5], 0
	s_cselect_b64 s[46:47], -1, 0
	s_cmp_lg_u64 s[4:5], 0
	s_mov_b64 s[6:7], 0
	s_cselect_b64 s[10:11], -1, 0
	s_and_b64 vcc, exec, s[8:9]
	s_waitcnt lgkmcnt(0)
	s_barrier
	s_cbranch_vccz .LBB396_44
; %bb.39:
	s_and_b64 vcc, exec, s[10:11]
	s_cbranch_vccz .LBB396_45
; %bb.40:
	global_load_ubyte v37, v[64:65], off offset:-1
	v_cmp_ne_u16_sdwa s[6:7], v5, v1 src0_sel:BYTE_0 src1_sel:BYTE_0
	v_cmp_ne_u16_sdwa s[8:9], v73, v5 src0_sel:BYTE_0 src1_sel:BYTE_0
	;; [unrolled: 1-line block ×14, first 2 shown]
	ds_write_b8 v0, v1
	s_waitcnt lgkmcnt(0)
	s_barrier
	s_and_saveexec_b64 s[62:63], s[2:3]
	s_cbranch_execz .LBB396_42
; %bb.41:
	s_waitcnt vmcnt(0)
	v_add_u32_e32 v37, -1, v0
	ds_read_u8 v37, v37
.LBB396_42:
	s_or_b64 exec, exec, s[62:63]
	s_waitcnt vmcnt(0) lgkmcnt(0)
	v_and_b32_e32 v37, 0xff, v37
	v_cndmask_b32_e64 v72, 0, 1, s[6:7]
	v_cndmask_b32_e64 v74, 0, 1, s[8:9]
	v_cndmask_b32_e64 v75, 0, 1, s[12:13]
	v_cndmask_b32_e64 v76, 0, 1, s[14:15]
	v_cndmask_b32_e64 v77, 0, 1, s[16:17]
	v_cndmask_b32_e64 v78, 0, 1, s[18:19]
	v_cndmask_b32_e64 v80, 0, 1, s[20:21]
	v_cndmask_b32_e64 v83, 0, 1, s[22:23]
	v_cndmask_b32_e64 v85, 0, 1, s[24:25]
	v_cndmask_b32_e64 v87, 0, 1, s[26:27]
	v_cndmask_b32_e64 v89, 0, 1, s[28:29]
	v_cndmask_b32_e64 v91, 0, 1, s[34:35]
	v_cndmask_b32_e64 v94, 0, 1, s[58:59]
	v_cndmask_b32_e64 v95, 0, 1, s[60:61]
	v_cmp_ne_u16_sdwa s[8:9], v37, v2 src0_sel:DWORD src1_sel:BYTE_0
	s_mov_b64 s[6:7], -1
.LBB396_43:
                                        ; implicit-def: $sgpr14
	s_branch .LBB396_57
.LBB396_44:
                                        ; implicit-def: $sgpr8_sgpr9
                                        ; implicit-def: $vgpr72
                                        ; implicit-def: $vgpr74
                                        ; implicit-def: $vgpr75
                                        ; implicit-def: $vgpr76
                                        ; implicit-def: $vgpr77
                                        ; implicit-def: $vgpr78
                                        ; implicit-def: $vgpr80
                                        ; implicit-def: $vgpr83
                                        ; implicit-def: $vgpr85
                                        ; implicit-def: $vgpr87
                                        ; implicit-def: $vgpr89
                                        ; implicit-def: $vgpr91
                                        ; implicit-def: $vgpr94
                                        ; implicit-def: $vgpr95
                                        ; implicit-def: $sgpr14
	s_cbranch_execnz .LBB396_49
	s_branch .LBB396_57
.LBB396_45:
                                        ; implicit-def: $sgpr8_sgpr9
                                        ; implicit-def: $vgpr72
                                        ; implicit-def: $vgpr74
                                        ; implicit-def: $vgpr75
                                        ; implicit-def: $vgpr76
                                        ; implicit-def: $vgpr77
                                        ; implicit-def: $vgpr78
                                        ; implicit-def: $vgpr80
                                        ; implicit-def: $vgpr83
                                        ; implicit-def: $vgpr85
                                        ; implicit-def: $vgpr87
                                        ; implicit-def: $vgpr89
                                        ; implicit-def: $vgpr91
                                        ; implicit-def: $vgpr94
                                        ; implicit-def: $vgpr95
	s_cbranch_execz .LBB396_43
; %bb.46:
	v_cmp_ne_u16_sdwa s[8:9], v5, v1 src0_sel:BYTE_0 src1_sel:BYTE_0
	v_cndmask_b32_e64 v72, 0, 1, s[8:9]
	v_cmp_ne_u16_sdwa s[8:9], v73, v5 src0_sel:BYTE_0 src1_sel:BYTE_0
	v_cndmask_b32_e64 v74, 0, 1, s[8:9]
	;; [unrolled: 2-line block ×14, first 2 shown]
	ds_write_b8 v0, v1
	s_waitcnt lgkmcnt(0)
	s_barrier
	s_waitcnt lgkmcnt(0)
                                        ; implicit-def: $sgpr8_sgpr9
	s_and_saveexec_b64 s[12:13], s[2:3]
	s_xor_b64 s[12:13], exec, s[12:13]
	s_cbranch_execz .LBB396_48
; %bb.47:
	v_add_u32_e32 v37, -1, v0
	ds_read_u8 v37, v37
	s_or_b64 s[6:7], s[6:7], exec
	s_waitcnt lgkmcnt(0)
	v_cmp_ne_u16_sdwa s[8:9], v37, v2 src0_sel:DWORD src1_sel:BYTE_0
	s_and_b64 s[8:9], s[8:9], exec
.LBB396_48:
	s_or_b64 exec, exec, s[12:13]
	s_mov_b32 s14, 1
	s_branch .LBB396_57
.LBB396_49:
	s_mul_hi_u32 s8, s4, 0xfffff100
	s_mulk_i32 s5, 0xf100
	s_sub_i32 s8, s8, s4
	s_add_i32 s8, s8, s5
	s_mulk_i32 s4, 0xf100
	s_add_u32 s4, s4, s48
	s_addc_u32 s5, s8, s49
	s_and_b64 vcc, exec, s[10:11]
	v_cmp_ne_u16_sdwa s[58:59], v5, v1 src0_sel:BYTE_0 src1_sel:BYTE_0
	v_cmp_ne_u16_sdwa s[8:9], v73, v5 src0_sel:BYTE_0 src1_sel:BYTE_0
	v_cmp_ne_u16_sdwa s[10:11], v79, v73 src0_sel:BYTE_0 src1_sel:BYTE_0
	v_cmp_ne_u16_sdwa s[14:15], v81, v79 src0_sel:BYTE_0 src1_sel:BYTE_0
	v_cmp_ne_u16_sdwa s[18:19], v82, v81 src0_sel:BYTE_0 src1_sel:BYTE_0
	v_cmp_ne_u16_sdwa s[22:23], v4, v82 src0_sel:BYTE_0 src1_sel:BYTE_0
	v_cmp_ne_u16_sdwa s[26:27], v84, v4 src0_sel:BYTE_0 src1_sel:BYTE_0
	v_cmp_ne_u16_sdwa s[34:35], v86, v84 src0_sel:BYTE_0 src1_sel:BYTE_0
	v_cmp_ne_u16_sdwa s[48:49], v88, v86 src0_sel:BYTE_0 src1_sel:BYTE_0
	v_cmp_ne_u16_sdwa s[28:29], v3, v88 src0_sel:BYTE_0 src1_sel:BYTE_0
	v_cmp_ne_u16_sdwa s[24:25], v90, v3 src0_sel:BYTE_0 src1_sel:BYTE_0
	v_cmp_ne_u16_sdwa s[20:21], v92, v90 src0_sel:BYTE_0 src1_sel:BYTE_0
	v_cmp_ne_u16_sdwa s[16:17], v93, v92 src0_sel:BYTE_0 src1_sel:BYTE_0
	v_cmp_ne_u16_sdwa s[12:13], v2, v93 src0_sel:BYTE_0 src1_sel:BYTE_0
	s_cbranch_vccz .LBB396_54
; %bb.50:
	global_load_ubyte v66, v[64:65], off offset:-1
	v_mov_b32_e32 v37, 0
	v_cmp_gt_u64_e32 vcc, s[4:5], v[36:37]
	v_mov_b32_e32 v63, v37
	s_and_b64 s[6:7], vcc, s[58:59]
	v_cmp_gt_u64_e32 vcc, s[4:5], v[62:63]
	v_mov_b32_e32 v61, v37
	s_and_b64 s[8:9], vcc, s[8:9]
	;; [unrolled: 3-line block ×13, first 2 shown]
	v_cmp_gt_u64_e32 vcc, s[4:5], v[38:39]
	v_mul_u32_u24_e32 v64, 15, v0
	s_and_b64 s[12:13], vcc, s[12:13]
	ds_write_b8 v0, v1
	s_waitcnt lgkmcnt(0)
	s_barrier
	s_and_saveexec_b64 s[58:59], s[2:3]
	s_cbranch_execz .LBB396_52
; %bb.51:
	v_add_u32_e32 v39, -1, v0
	s_waitcnt vmcnt(0)
	ds_read_u8 v66, v39
.LBB396_52:
	s_or_b64 exec, exec, s[58:59]
	v_mov_b32_e32 v65, v37
	s_waitcnt vmcnt(0) lgkmcnt(0)
	v_and_b32_e32 v37, 0xff, v66
	v_cndmask_b32_e64 v72, 0, 1, s[6:7]
	v_cmp_gt_u64_e32 vcc, s[4:5], v[64:65]
	v_cmp_ne_u16_sdwa s[6:7], v37, v2 src0_sel:DWORD src1_sel:BYTE_0
	v_cndmask_b32_e64 v74, 0, 1, s[8:9]
	v_cndmask_b32_e64 v75, 0, 1, s[10:11]
	;; [unrolled: 1-line block ×13, first 2 shown]
	s_and_b64 s[8:9], vcc, s[6:7]
	s_mov_b64 s[6:7], -1
.LBB396_53:
                                        ; implicit-def: $sgpr14
	v_mov_b32_e32 v96, s14
	s_and_saveexec_b64 s[2:3], s[6:7]
	s_cbranch_execnz .LBB396_58
	s_branch .LBB396_59
.LBB396_54:
                                        ; implicit-def: $sgpr8_sgpr9
                                        ; implicit-def: $vgpr72
                                        ; implicit-def: $vgpr74
                                        ; implicit-def: $vgpr75
                                        ; implicit-def: $vgpr76
                                        ; implicit-def: $vgpr77
                                        ; implicit-def: $vgpr78
                                        ; implicit-def: $vgpr80
                                        ; implicit-def: $vgpr83
                                        ; implicit-def: $vgpr85
                                        ; implicit-def: $vgpr87
                                        ; implicit-def: $vgpr89
                                        ; implicit-def: $vgpr91
                                        ; implicit-def: $vgpr94
                                        ; implicit-def: $vgpr95
	s_cbranch_execz .LBB396_53
; %bb.55:
	v_mov_b32_e32 v37, 0
	v_cmp_gt_u64_e32 vcc, s[4:5], v[36:37]
	v_cmp_ne_u16_sdwa s[8:9], v5, v1 src0_sel:BYTE_0 src1_sel:BYTE_0
	s_and_b64 s[8:9], vcc, s[8:9]
	v_mov_b32_e32 v63, v37
	v_cndmask_b32_e64 v72, 0, 1, s[8:9]
	v_cmp_gt_u64_e32 vcc, s[4:5], v[62:63]
	v_cmp_ne_u16_sdwa s[8:9], v73, v5 src0_sel:BYTE_0 src1_sel:BYTE_0
	s_and_b64 s[8:9], vcc, s[8:9]
	v_mov_b32_e32 v61, v37
	v_cndmask_b32_e64 v74, 0, 1, s[8:9]
	v_cmp_gt_u64_e32 vcc, s[4:5], v[60:61]
	v_cmp_ne_u16_sdwa s[8:9], v79, v73 src0_sel:BYTE_0 src1_sel:BYTE_0
	s_and_b64 s[8:9], vcc, s[8:9]
	v_mov_b32_e32 v59, v37
	v_cndmask_b32_e64 v75, 0, 1, s[8:9]
	v_cmp_gt_u64_e32 vcc, s[4:5], v[58:59]
	v_cmp_ne_u16_sdwa s[8:9], v81, v79 src0_sel:BYTE_0 src1_sel:BYTE_0
	s_and_b64 s[8:9], vcc, s[8:9]
	v_mov_b32_e32 v57, v37
	v_cndmask_b32_e64 v76, 0, 1, s[8:9]
	v_cmp_gt_u64_e32 vcc, s[4:5], v[56:57]
	v_cmp_ne_u16_sdwa s[8:9], v82, v81 src0_sel:BYTE_0 src1_sel:BYTE_0
	s_and_b64 s[8:9], vcc, s[8:9]
	v_mov_b32_e32 v55, v37
	v_cndmask_b32_e64 v77, 0, 1, s[8:9]
	v_cmp_gt_u64_e32 vcc, s[4:5], v[54:55]
	v_cmp_ne_u16_sdwa s[8:9], v4, v82 src0_sel:BYTE_0 src1_sel:BYTE_0
	s_and_b64 s[8:9], vcc, s[8:9]
	v_mov_b32_e32 v53, v37
	v_cndmask_b32_e64 v78, 0, 1, s[8:9]
	v_cmp_gt_u64_e32 vcc, s[4:5], v[52:53]
	v_cmp_ne_u16_sdwa s[8:9], v84, v4 src0_sel:BYTE_0 src1_sel:BYTE_0
	s_and_b64 s[8:9], vcc, s[8:9]
	v_mov_b32_e32 v51, v37
	v_cndmask_b32_e64 v80, 0, 1, s[8:9]
	v_cmp_gt_u64_e32 vcc, s[4:5], v[50:51]
	v_cmp_ne_u16_sdwa s[8:9], v86, v84 src0_sel:BYTE_0 src1_sel:BYTE_0
	s_and_b64 s[8:9], vcc, s[8:9]
	v_mov_b32_e32 v49, v37
	v_cndmask_b32_e64 v83, 0, 1, s[8:9]
	v_cmp_gt_u64_e32 vcc, s[4:5], v[48:49]
	v_cmp_ne_u16_sdwa s[8:9], v88, v86 src0_sel:BYTE_0 src1_sel:BYTE_0
	s_and_b64 s[8:9], vcc, s[8:9]
	v_mov_b32_e32 v47, v37
	v_cndmask_b32_e64 v85, 0, 1, s[8:9]
	v_cmp_gt_u64_e32 vcc, s[4:5], v[46:47]
	v_cmp_ne_u16_sdwa s[8:9], v3, v88 src0_sel:BYTE_0 src1_sel:BYTE_0
	s_and_b64 s[8:9], vcc, s[8:9]
	v_mov_b32_e32 v45, v37
	v_cndmask_b32_e64 v87, 0, 1, s[8:9]
	v_cmp_gt_u64_e32 vcc, s[4:5], v[44:45]
	v_cmp_ne_u16_sdwa s[8:9], v90, v3 src0_sel:BYTE_0 src1_sel:BYTE_0
	s_and_b64 s[8:9], vcc, s[8:9]
	v_mov_b32_e32 v43, v37
	v_cndmask_b32_e64 v89, 0, 1, s[8:9]
	v_cmp_gt_u64_e32 vcc, s[4:5], v[42:43]
	v_cmp_ne_u16_sdwa s[8:9], v92, v90 src0_sel:BYTE_0 src1_sel:BYTE_0
	s_and_b64 s[8:9], vcc, s[8:9]
	v_mov_b32_e32 v41, v37
	v_cndmask_b32_e64 v91, 0, 1, s[8:9]
	v_cmp_gt_u64_e32 vcc, s[4:5], v[40:41]
	v_cmp_ne_u16_sdwa s[8:9], v93, v92 src0_sel:BYTE_0 src1_sel:BYTE_0
	s_and_b64 s[8:9], vcc, s[8:9]
	v_mov_b32_e32 v39, v37
	v_cndmask_b32_e64 v94, 0, 1, s[8:9]
	v_cmp_gt_u64_e32 vcc, s[4:5], v[38:39]
	v_cmp_ne_u16_sdwa s[8:9], v2, v93 src0_sel:BYTE_0 src1_sel:BYTE_0
	s_and_b64 s[8:9], vcc, s[8:9]
	s_mov_b32 s14, 1
	v_cndmask_b32_e64 v95, 0, 1, s[8:9]
	ds_write_b8 v0, v1
	s_waitcnt lgkmcnt(0)
	s_barrier
	s_waitcnt lgkmcnt(0)
                                        ; implicit-def: $sgpr8_sgpr9
	s_and_saveexec_b64 s[10:11], s[2:3]
	s_cbranch_execz .LBB396_205
; %bb.56:
	v_add_u32_e32 v36, -1, v0
	ds_read_u8 v38, v36
	v_mul_u32_u24_e32 v36, 15, v0
	v_cmp_gt_u64_e32 vcc, s[4:5], v[36:37]
	s_or_b64 s[6:7], s[6:7], exec
	s_waitcnt lgkmcnt(0)
	v_and_b32_e32 v36, 0xff, v38
	v_cmp_ne_u16_sdwa s[2:3], v36, v2 src0_sel:DWORD src1_sel:BYTE_0
	s_and_b64 s[2:3], vcc, s[2:3]
	s_and_b64 s[8:9], s[2:3], exec
	s_or_b64 exec, exec, s[10:11]
.LBB396_57:
	v_mov_b32_e32 v96, s14
	s_and_saveexec_b64 s[2:3], s[6:7]
.LBB396_58:
	v_cndmask_b32_e64 v96, 0, 1, s[8:9]
.LBB396_59:
	s_or_b64 exec, exec, s[2:3]
	s_cmp_eq_u64 s[42:43], 0
	v_add3_u32 v36, v95, v96, v94
	s_cselect_b64 s[34:35], -1, 0
	s_cmp_lg_u32 s64, 0
	v_cmp_eq_u32_e64 s[26:27], 0, v95
	v_cmp_eq_u32_e64 s[24:25], 0, v94
	;; [unrolled: 1-line block ×3, first 2 shown]
	v_add3_u32 v99, v36, v91, v89
	v_cmp_eq_u32_e64 s[20:21], 0, v89
	v_cmp_eq_u32_e64 s[18:19], 0, v87
	;; [unrolled: 1-line block ×10, first 2 shown]
	v_cmp_eq_u32_e32 vcc, 0, v72
	v_mbcnt_lo_u32_b32 v98, -1, 0
	s_cbranch_scc0 .LBB396_126
; %bb.60:
	v_cndmask_b32_e64 v37, 0, v32, s[26:27]
	v_cndmask_b32_e64 v36, 0, v33, s[26:27]
	v_add_co_u32_e64 v37, s[28:29], v37, v30
	v_addc_co_u32_e64 v36, s[28:29], v36, v31, s[28:29]
	v_cndmask_b32_e64 v37, 0, v37, s[24:25]
	v_cndmask_b32_e64 v36, 0, v36, s[24:25]
	v_add_co_u32_e64 v37, s[28:29], v37, v28
	v_addc_co_u32_e64 v36, s[28:29], v36, v29, s[28:29]
	;; [unrolled: 4-line block ×11, first 2 shown]
	v_cndmask_b32_e64 v37, 0, v37, s[4:5]
	v_add3_u32 v38, v99, v87, v85
	v_cndmask_b32_e64 v36, 0, v36, s[4:5]
	v_add_co_u32_e64 v37, s[28:29], v37, v6
	v_add3_u32 v38, v38, v83, v80
	v_addc_co_u32_e64 v36, s[28:29], v36, v7, s[28:29]
	v_cndmask_b32_e64 v37, 0, v37, s[2:3]
	v_add3_u32 v38, v38, v78, v77
	v_cndmask_b32_e64 v36, 0, v36, s[2:3]
	v_add_co_u32_e64 v37, s[28:29], v37, v16
	v_add3_u32 v38, v38, v76, v75
	v_addc_co_u32_e64 v36, s[28:29], v36, v17, s[28:29]
	v_cndmask_b32_e32 v37, 0, v37, vcc
	v_add3_u32 v40, v38, v74, v72
	v_cndmask_b32_e32 v36, 0, v36, vcc
	v_add_co_u32_e32 v38, vcc, v37, v34
	v_mbcnt_hi_u32_b32 v41, -1, v98
	v_addc_co_u32_e32 v39, vcc, v36, v35, vcc
	v_and_b32_e32 v36, 15, v41
	v_mov_b32_dpp v42, v40 row_shr:1 row_mask:0xf bank_mask:0xf
	v_mov_b32_dpp v37, v38 row_shr:1 row_mask:0xf bank_mask:0xf
	;; [unrolled: 1-line block ×3, first 2 shown]
	v_cmp_ne_u32_e32 vcc, 0, v36
	s_and_saveexec_b64 s[28:29], vcc
; %bb.61:
	v_cmp_eq_u32_e32 vcc, 0, v40
	v_cndmask_b32_e32 v37, 0, v37, vcc
	v_add_u32_e32 v42, v42, v40
	v_cndmask_b32_e32 v40, 0, v43, vcc
	v_add_co_u32_e32 v38, vcc, v37, v38
	v_addc_co_u32_e32 v39, vcc, v40, v39, vcc
	v_mov_b32_e32 v40, v42
; %bb.62:
	s_or_b64 exec, exec, s[28:29]
	s_nop 0
	v_mov_b32_dpp v42, v40 row_shr:2 row_mask:0xf bank_mask:0xf
	v_mov_b32_dpp v37, v38 row_shr:2 row_mask:0xf bank_mask:0xf
	v_mov_b32_dpp v43, v39 row_shr:2 row_mask:0xf bank_mask:0xf
	v_cmp_lt_u32_e32 vcc, 1, v36
	s_and_saveexec_b64 s[28:29], vcc
; %bb.63:
	v_cmp_eq_u32_e32 vcc, 0, v40
	v_cndmask_b32_e32 v37, 0, v37, vcc
	v_add_u32_e32 v42, v42, v40
	v_cndmask_b32_e32 v40, 0, v43, vcc
	v_add_co_u32_e32 v38, vcc, v37, v38
	v_addc_co_u32_e32 v39, vcc, v40, v39, vcc
	v_mov_b32_e32 v40, v42
; %bb.64:
	s_or_b64 exec, exec, s[28:29]
	s_nop 0
	v_mov_b32_dpp v42, v40 row_shr:4 row_mask:0xf bank_mask:0xf
	v_mov_b32_dpp v37, v38 row_shr:4 row_mask:0xf bank_mask:0xf
	v_mov_b32_dpp v43, v39 row_shr:4 row_mask:0xf bank_mask:0xf
	v_cmp_lt_u32_e32 vcc, 3, v36
	;; [unrolled: 16-line block ×3, first 2 shown]
	s_and_saveexec_b64 s[28:29], vcc
; %bb.67:
	v_cmp_eq_u32_e32 vcc, 0, v40
	v_cndmask_b32_e32 v37, 0, v37, vcc
	v_add_u32_e32 v36, v42, v40
	v_cndmask_b32_e32 v40, 0, v43, vcc
	v_add_co_u32_e32 v38, vcc, v37, v38
	v_addc_co_u32_e32 v39, vcc, v40, v39, vcc
	v_mov_b32_e32 v40, v36
; %bb.68:
	s_or_b64 exec, exec, s[28:29]
	v_and_b32_e32 v43, 16, v41
	v_mov_b32_dpp v37, v40 row_bcast:15 row_mask:0xf bank_mask:0xf
	v_mov_b32_dpp v36, v38 row_bcast:15 row_mask:0xf bank_mask:0xf
	;; [unrolled: 1-line block ×3, first 2 shown]
	v_cmp_ne_u32_e32 vcc, 0, v43
	s_and_saveexec_b64 s[28:29], vcc
; %bb.69:
	v_cmp_eq_u32_e32 vcc, 0, v40
	v_cndmask_b32_e32 v36, 0, v36, vcc
	v_add_u32_e32 v37, v37, v40
	v_cndmask_b32_e32 v40, 0, v42, vcc
	v_add_co_u32_e32 v38, vcc, v36, v38
	v_addc_co_u32_e32 v39, vcc, v40, v39, vcc
	v_mov_b32_e32 v40, v37
; %bb.70:
	s_or_b64 exec, exec, s[28:29]
	s_nop 0
	v_mov_b32_dpp v37, v40 row_bcast:31 row_mask:0xf bank_mask:0xf
	v_mov_b32_dpp v36, v38 row_bcast:31 row_mask:0xf bank_mask:0xf
	;; [unrolled: 1-line block ×3, first 2 shown]
	v_cmp_lt_u32_e32 vcc, 31, v41
	s_and_saveexec_b64 s[28:29], vcc
; %bb.71:
	v_cmp_eq_u32_e32 vcc, 0, v40
	v_cndmask_b32_e32 v36, 0, v36, vcc
	v_add_u32_e32 v37, v37, v40
	v_cndmask_b32_e32 v40, 0, v42, vcc
	v_add_co_u32_e32 v38, vcc, v36, v38
	v_addc_co_u32_e32 v39, vcc, v40, v39, vcc
	v_mov_b32_e32 v40, v37
; %bb.72:
	s_or_b64 exec, exec, s[28:29]
	v_lshrrev_b32_e32 v36, 6, v0
	v_or_b32_e32 v37, 63, v0
	v_cmp_eq_u32_e32 vcc, v37, v0
	v_lshlrev_b32_e32 v42, 4, v36
	s_and_saveexec_b64 s[28:29], vcc
	s_cbranch_execz .LBB396_74
; %bb.73:
	ds_write_b32 v42, v40 offset:544
	ds_write_b64 v42, v[38:39] offset:552
.LBB396_74:
	s_or_b64 exec, exec, s[28:29]
	v_cmp_gt_u32_e32 vcc, 4, v0
	s_waitcnt lgkmcnt(0)
	s_barrier
	s_and_saveexec_b64 s[28:29], vcc
	s_cbranch_execz .LBB396_80
; %bb.75:
	v_lshlrev_b32_e32 v43, 4, v0
	ds_read_b32 v44, v43 offset:544
	ds_read_b64 v[36:37], v43 offset:552
	v_and_b32_e32 v45, 3, v41
	v_cmp_ne_u32_e32 vcc, 0, v45
	s_waitcnt lgkmcnt(1)
	v_mov_b32_dpp v47, v44 row_shr:1 row_mask:0xf bank_mask:0xf
	s_waitcnt lgkmcnt(0)
	v_mov_b32_dpp v46, v36 row_shr:1 row_mask:0xf bank_mask:0xf
	v_mov_b32_dpp v48, v37 row_shr:1 row_mask:0xf bank_mask:0xf
	s_and_saveexec_b64 s[42:43], vcc
; %bb.76:
	v_cmp_eq_u32_e32 vcc, 0, v44
	v_cndmask_b32_e32 v46, 0, v46, vcc
	v_add_u32_e32 v47, v47, v44
	v_cndmask_b32_e32 v44, 0, v48, vcc
	v_add_co_u32_e32 v36, vcc, v46, v36
	v_addc_co_u32_e32 v37, vcc, v44, v37, vcc
	v_mov_b32_e32 v44, v47
; %bb.77:
	s_or_b64 exec, exec, s[42:43]
	s_nop 0
	v_mov_b32_dpp v47, v44 row_shr:2 row_mask:0xf bank_mask:0xf
	v_mov_b32_dpp v46, v36 row_shr:2 row_mask:0xf bank_mask:0xf
	;; [unrolled: 1-line block ×3, first 2 shown]
	v_cmp_lt_u32_e32 vcc, 1, v45
	s_and_saveexec_b64 s[42:43], vcc
; %bb.78:
	v_cmp_eq_u32_e32 vcc, 0, v44
	v_cndmask_b32_e32 v46, 0, v46, vcc
	v_add_u32_e32 v45, v47, v44
	v_cndmask_b32_e32 v44, 0, v48, vcc
	v_add_co_u32_e32 v36, vcc, v46, v36
	v_addc_co_u32_e32 v37, vcc, v44, v37, vcc
	v_mov_b32_e32 v44, v45
; %bb.79:
	s_or_b64 exec, exec, s[42:43]
	ds_write_b32 v43, v44 offset:544
	ds_write_b64 v43, v[36:37] offset:552
.LBB396_80:
	s_or_b64 exec, exec, s[28:29]
	v_cmp_gt_u32_e32 vcc, 64, v0
	v_cmp_lt_u32_e64 s[28:29], 63, v0
	v_pk_mov_b32 v[36:37], 0, 0
	v_mov_b32_e32 v48, 0
	s_waitcnt lgkmcnt(0)
	s_barrier
	s_and_saveexec_b64 s[42:43], s[28:29]
	s_cbranch_execz .LBB396_82
; %bb.81:
	ds_read_b32 v48, v42 offset:528
	ds_read_b64 v[36:37], v42 offset:536
	v_cmp_eq_u32_e64 s[28:29], 0, v40
	s_waitcnt lgkmcnt(1)
	v_add_u32_e32 v42, v48, v40
	s_waitcnt lgkmcnt(0)
	v_cndmask_b32_e64 v43, 0, v36, s[28:29]
	v_cndmask_b32_e64 v40, 0, v37, s[28:29]
	v_add_co_u32_e64 v38, s[28:29], v43, v38
	v_addc_co_u32_e64 v39, s[28:29], v40, v39, s[28:29]
	v_mov_b32_e32 v40, v42
.LBB396_82:
	s_or_b64 exec, exec, s[42:43]
	v_add_u32_e32 v42, -1, v41
	v_and_b32_e32 v43, 64, v41
	v_cmp_lt_i32_e64 s[28:29], v42, v43
	v_cndmask_b32_e64 v42, v42, v41, s[28:29]
	v_lshlrev_b32_e32 v42, 2, v42
	ds_bpermute_b32 v49, v42, v40
	ds_bpermute_b32 v50, v42, v38
	;; [unrolled: 1-line block ×3, first 2 shown]
	v_cmp_eq_u32_e64 s[28:29], 0, v41
	s_and_saveexec_b64 s[42:43], vcc
	s_cbranch_execz .LBB396_125
; %bb.83:
	v_mov_b32_e32 v43, 0
	ds_read_b32 v52, v43 offset:592
	ds_read_b64 v[38:39], v43 offset:600
	s_and_saveexec_b64 s[48:49], s[28:29]
	s_cbranch_execz .LBB396_85
; %bb.84:
	s_add_i32 s58, s64, 64
	s_mov_b32 s59, 0
	s_lshl_b64 s[60:61], s[58:59], 4
	s_add_u32 s60, s36, s60
	s_addc_u32 s61, s37, s61
	v_mov_b32_e32 v40, s58
	v_mov_b32_e32 v42, 1
	s_waitcnt lgkmcnt(1)
	global_store_dword v43, v52, s[60:61]
	s_waitcnt lgkmcnt(0)
	global_store_dwordx2 v43, v[38:39], s[60:61] offset:8
	s_waitcnt vmcnt(0)
	buffer_wbinvl1_vol
	global_store_byte v40, v42, s[40:41]
.LBB396_85:
	s_or_b64 exec, exec, s[48:49]
	v_xad_u32 v40, v41, -1, s64
	v_add_u32_e32 v42, 64, v40
	global_load_ubyte v53, v42, s[40:41] glc
	s_waitcnt vmcnt(0)
	v_cmp_eq_u16_e32 vcc, 0, v53
	s_and_saveexec_b64 s[48:49], vcc
	s_cbranch_execz .LBB396_89
; %bb.86:
	v_mov_b32_e32 v45, s41
	v_add_co_u32_e32 v44, vcc, s40, v42
	v_addc_co_u32_e32 v45, vcc, 0, v45, vcc
	s_mov_b64 s[58:59], 0
.LBB396_87:                             ; =>This Inner Loop Header: Depth=1
	global_load_ubyte v53, v[44:45], off glc
	s_waitcnt vmcnt(0)
	v_cmp_ne_u16_e32 vcc, 0, v53
	s_or_b64 s[58:59], vcc, s[58:59]
	s_andn2_b64 exec, exec, s[58:59]
	s_cbranch_execnz .LBB396_87
; %bb.88:
	s_or_b64 exec, exec, s[58:59]
.LBB396_89:
	s_or_b64 exec, exec, s[48:49]
	v_mov_b32_e32 v44, s39
	v_mov_b32_e32 v45, s37
	v_cmp_eq_u16_e32 vcc, 1, v53
	v_cndmask_b32_e32 v44, v44, v45, vcc
	v_mov_b32_e32 v45, s38
	v_mov_b32_e32 v46, s36
	v_cndmask_b32_e32 v45, v45, v46, vcc
	v_lshlrev_b64 v[42:43], 4, v[42:43]
	v_add_co_u32_e32 v42, vcc, v45, v42
	v_addc_co_u32_e32 v43, vcc, v44, v43, vcc
	s_waitcnt lgkmcnt(0)
	buffer_wbinvl1_vol
	global_load_dword v68, v[42:43], off
	global_load_dwordx2 v[46:47], v[42:43], off offset:8
	v_cmp_eq_u16_e32 vcc, 2, v53
	v_lshlrev_b64 v[42:43], v41, -1
	v_and_b32_e32 v54, 63, v41
	v_and_b32_e32 v44, vcc_hi, v43
	v_and_b32_e32 v58, vcc_lo, v42
	v_cmp_ne_u32_e32 vcc, 63, v54
	v_addc_co_u32_e32 v45, vcc, 0, v41, vcc
	v_lshlrev_b32_e32 v55, 2, v45
	v_or_b32_e32 v44, 0x80000000, v44
	v_ffbl_b32_e32 v44, v44
	v_add_u32_e32 v44, 32, v44
	v_ffbl_b32_e32 v58, v58
	v_min_u32_e32 v44, v58, v44
	v_cmp_lt_u32_e32 vcc, v54, v44
	s_waitcnt vmcnt(1)
	ds_bpermute_b32 v56, v55, v68
	s_waitcnt vmcnt(0)
	ds_bpermute_b32 v45, v55, v46
	ds_bpermute_b32 v57, v55, v47
	s_and_saveexec_b64 s[48:49], vcc
	s_cbranch_execz .LBB396_91
; %bb.90:
	v_cmp_eq_u32_e32 vcc, 0, v68
	s_waitcnt lgkmcnt(1)
	v_cndmask_b32_e32 v45, 0, v45, vcc
	v_add_u32_e32 v56, v56, v68
	s_waitcnt lgkmcnt(0)
	v_cndmask_b32_e32 v57, 0, v57, vcc
	v_add_co_u32_e32 v46, vcc, v45, v46
	v_addc_co_u32_e32 v47, vcc, v57, v47, vcc
	v_mov_b32_e32 v68, v56
.LBB396_91:
	s_or_b64 exec, exec, s[48:49]
	v_cmp_gt_u32_e32 vcc, 62, v54
	s_waitcnt lgkmcnt(1)
	v_cndmask_b32_e64 v45, 0, 1, vcc
	v_lshlrev_b32_e32 v45, 1, v45
	v_add_lshl_u32 v56, v45, v41, 2
	ds_bpermute_b32 v58, v56, v68
	ds_bpermute_b32 v45, v56, v46
	ds_bpermute_b32 v59, v56, v47
	s_waitcnt lgkmcnt(3)
	v_add_u32_e32 v57, 2, v54
	v_cmp_le_u32_e32 vcc, v57, v44
	s_and_saveexec_b64 s[48:49], vcc
	s_cbranch_execz .LBB396_93
; %bb.92:
	v_cmp_eq_u32_e32 vcc, 0, v68
	s_waitcnt lgkmcnt(1)
	v_cndmask_b32_e32 v45, 0, v45, vcc
	v_add_u32_e32 v58, v58, v68
	s_waitcnt lgkmcnt(0)
	v_cndmask_b32_e32 v59, 0, v59, vcc
	v_add_co_u32_e32 v46, vcc, v45, v46
	v_addc_co_u32_e32 v47, vcc, v59, v47, vcc
	v_mov_b32_e32 v68, v58
.LBB396_93:
	s_or_b64 exec, exec, s[48:49]
	v_cmp_gt_u32_e32 vcc, 60, v54
	s_waitcnt lgkmcnt(1)
	v_cndmask_b32_e64 v45, 0, 1, vcc
	v_lshlrev_b32_e32 v45, 2, v45
	v_add_lshl_u32 v58, v45, v41, 2
	ds_bpermute_b32 v60, v58, v68
	ds_bpermute_b32 v45, v58, v46
	ds_bpermute_b32 v61, v58, v47
	s_waitcnt lgkmcnt(3)
	v_add_u32_e32 v59, 4, v54
	v_cmp_le_u32_e32 vcc, v59, v44
	;; [unrolled: 25-line block ×4, first 2 shown]
	s_and_saveexec_b64 s[48:49], vcc
	s_cbranch_execz .LBB396_99
; %bb.98:
	v_cmp_eq_u32_e32 vcc, 0, v68
	s_waitcnt lgkmcnt(1)
	v_cndmask_b32_e32 v45, 0, v45, vcc
	v_add_u32_e32 v64, v64, v68
	s_waitcnt lgkmcnt(0)
	v_cndmask_b32_e32 v65, 0, v65, vcc
	v_add_co_u32_e32 v46, vcc, v45, v46
	v_addc_co_u32_e32 v47, vcc, v65, v47, vcc
	v_mov_b32_e32 v68, v64
.LBB396_99:
	s_or_b64 exec, exec, s[48:49]
	v_cmp_gt_u32_e32 vcc, 32, v54
	s_waitcnt lgkmcnt(1)
	v_cndmask_b32_e64 v45, 0, 1, vcc
	v_lshlrev_b32_e32 v45, 5, v45
	v_add_lshl_u32 v64, v45, v41, 2
	ds_bpermute_b32 v45, v64, v68
	ds_bpermute_b32 v41, v64, v46
	s_waitcnt lgkmcnt(2)
	ds_bpermute_b32 v65, v64, v47
	v_add_u32_e32 v66, 32, v54
	v_cmp_le_u32_e32 vcc, v66, v44
	s_and_saveexec_b64 s[48:49], vcc
	s_cbranch_execz .LBB396_101
; %bb.100:
	v_cmp_eq_u32_e32 vcc, 0, v68
	s_waitcnt lgkmcnt(1)
	v_cndmask_b32_e32 v41, 0, v41, vcc
	v_add_u32_e32 v44, v45, v68
	s_waitcnt lgkmcnt(0)
	v_cndmask_b32_e32 v45, 0, v65, vcc
	v_add_co_u32_e32 v46, vcc, v41, v46
	v_addc_co_u32_e32 v47, vcc, v45, v47, vcc
	v_mov_b32_e32 v68, v44
.LBB396_101:
	s_or_b64 exec, exec, s[48:49]
	s_waitcnt lgkmcnt(1)
	v_mov_b32_e32 v41, 0
	v_mov_b32_e32 v67, 2
	s_branch .LBB396_103
.LBB396_102:                            ;   in Loop: Header=BB396_103 Depth=1
	s_or_b64 exec, exec, s[48:49]
	v_cmp_eq_u32_e32 vcc, 0, v65
	v_cndmask_b32_e32 v46, 0, v46, vcc
	v_cndmask_b32_e32 v47, 0, v47, vcc
	v_add_co_u32_e32 v46, vcc, v46, v44
	v_subrev_u32_e32 v40, 64, v40
	v_add_u32_e32 v68, v69, v65
	v_addc_co_u32_e32 v47, vcc, v47, v45, vcc
.LBB396_103:                            ; =>This Loop Header: Depth=1
                                        ;     Child Loop BB396_106 Depth 2
	v_cmp_ne_u16_sdwa s[48:49], v53, v67 src0_sel:BYTE_0 src1_sel:DWORD
	v_pk_mov_b32 v[44:45], v[46:47], v[46:47] op_sel:[0,1]
	v_cndmask_b32_e64 v46, 0, 1, s[48:49]
	;;#ASMSTART
	;;#ASMEND
	v_cmp_ne_u32_e32 vcc, 0, v46
	s_cmp_lg_u64 vcc, exec
	s_waitcnt lgkmcnt(0)
	v_mov_b32_e32 v65, v68
	s_cbranch_scc1 .LBB396_120
; %bb.104:                              ;   in Loop: Header=BB396_103 Depth=1
	global_load_ubyte v53, v40, s[40:41] glc
	s_waitcnt vmcnt(0)
	v_cmp_eq_u16_e32 vcc, 0, v53
	s_and_saveexec_b64 s[48:49], vcc
	s_cbranch_execz .LBB396_108
; %bb.105:                              ;   in Loop: Header=BB396_103 Depth=1
	v_mov_b32_e32 v47, s41
	v_add_co_u32_e32 v46, vcc, s40, v40
	v_addc_co_u32_e32 v47, vcc, 0, v47, vcc
	s_mov_b64 s[58:59], 0
.LBB396_106:                            ;   Parent Loop BB396_103 Depth=1
                                        ; =>  This Inner Loop Header: Depth=2
	global_load_ubyte v53, v[46:47], off glc
	s_waitcnt vmcnt(0)
	v_cmp_ne_u16_e32 vcc, 0, v53
	s_or_b64 s[58:59], vcc, s[58:59]
	s_andn2_b64 exec, exec, s[58:59]
	s_cbranch_execnz .LBB396_106
; %bb.107:                              ;   in Loop: Header=BB396_103 Depth=1
	s_or_b64 exec, exec, s[58:59]
.LBB396_108:                            ;   in Loop: Header=BB396_103 Depth=1
	s_or_b64 exec, exec, s[48:49]
	v_mov_b32_e32 v46, s39
	v_mov_b32_e32 v47, s37
	v_cmp_eq_u16_e32 vcc, 1, v53
	v_cndmask_b32_e32 v68, v46, v47, vcc
	v_mov_b32_e32 v46, s38
	v_mov_b32_e32 v47, s36
	v_cndmask_b32_e32 v69, v46, v47, vcc
	v_lshlrev_b64 v[46:47], 4, v[40:41]
	v_add_co_u32_e32 v46, vcc, v69, v46
	v_addc_co_u32_e32 v47, vcc, v68, v47, vcc
	buffer_wbinvl1_vol
	global_load_dword v69, v[46:47], off
	s_nop 0
	global_load_dwordx2 v[46:47], v[46:47], off offset:8
	v_cmp_eq_u16_e32 vcc, 2, v53
	v_and_b32_e32 v68, vcc_hi, v43
	v_or_b32_e32 v68, 0x80000000, v68
	v_and_b32_e32 v100, vcc_lo, v42
	v_ffbl_b32_e32 v68, v68
	v_add_u32_e32 v68, 32, v68
	v_ffbl_b32_e32 v100, v100
	v_min_u32_e32 v68, v100, v68
	v_cmp_lt_u32_e32 vcc, v54, v68
	s_waitcnt vmcnt(1)
	ds_bpermute_b32 v71, v55, v69
	s_waitcnt vmcnt(0)
	ds_bpermute_b32 v70, v55, v46
	ds_bpermute_b32 v97, v55, v47
	s_and_saveexec_b64 s[48:49], vcc
	s_cbranch_execz .LBB396_110
; %bb.109:                              ;   in Loop: Header=BB396_103 Depth=1
	v_cmp_eq_u32_e32 vcc, 0, v69
	s_waitcnt lgkmcnt(1)
	v_cndmask_b32_e32 v70, 0, v70, vcc
	v_add_u32_e32 v71, v71, v69
	s_waitcnt lgkmcnt(0)
	v_cndmask_b32_e32 v69, 0, v97, vcc
	v_add_co_u32_e32 v46, vcc, v70, v46
	v_addc_co_u32_e32 v47, vcc, v69, v47, vcc
	v_mov_b32_e32 v69, v71
.LBB396_110:                            ;   in Loop: Header=BB396_103 Depth=1
	s_or_b64 exec, exec, s[48:49]
	s_waitcnt lgkmcnt(2)
	ds_bpermute_b32 v71, v56, v69
	s_waitcnt lgkmcnt(2)
	ds_bpermute_b32 v70, v56, v46
	s_waitcnt lgkmcnt(2)
	ds_bpermute_b32 v97, v56, v47
	v_cmp_le_u32_e32 vcc, v57, v68
	s_and_saveexec_b64 s[48:49], vcc
	s_cbranch_execz .LBB396_112
; %bb.111:                              ;   in Loop: Header=BB396_103 Depth=1
	v_cmp_eq_u32_e32 vcc, 0, v69
	s_waitcnt lgkmcnt(1)
	v_cndmask_b32_e32 v70, 0, v70, vcc
	v_add_u32_e32 v71, v71, v69
	s_waitcnt lgkmcnt(0)
	v_cndmask_b32_e32 v69, 0, v97, vcc
	v_add_co_u32_e32 v46, vcc, v70, v46
	v_addc_co_u32_e32 v47, vcc, v69, v47, vcc
	v_mov_b32_e32 v69, v71
.LBB396_112:                            ;   in Loop: Header=BB396_103 Depth=1
	s_or_b64 exec, exec, s[48:49]
	s_waitcnt lgkmcnt(2)
	ds_bpermute_b32 v71, v58, v69
	s_waitcnt lgkmcnt(2)
	ds_bpermute_b32 v70, v58, v46
	s_waitcnt lgkmcnt(2)
	ds_bpermute_b32 v97, v58, v47
	v_cmp_le_u32_e32 vcc, v59, v68
	;; [unrolled: 21-line block ×5, first 2 shown]
	s_and_saveexec_b64 s[48:49], vcc
	s_cbranch_execz .LBB396_102
; %bb.119:                              ;   in Loop: Header=BB396_103 Depth=1
	v_cmp_eq_u32_e32 vcc, 0, v69
	s_waitcnt lgkmcnt(1)
	v_cndmask_b32_e32 v70, 0, v70, vcc
	v_add_u32_e32 v68, v71, v69
	s_waitcnt lgkmcnt(0)
	v_cndmask_b32_e32 v69, 0, v97, vcc
	v_add_co_u32_e32 v46, vcc, v70, v46
	v_addc_co_u32_e32 v47, vcc, v69, v47, vcc
	v_mov_b32_e32 v69, v68
	s_branch .LBB396_102
.LBB396_120:                            ;   in Loop: Header=BB396_103 Depth=1
                                        ; implicit-def: $vgpr46_vgpr47
                                        ; implicit-def: $vgpr68
                                        ; implicit-def: $vgpr53
	s_cbranch_execz .LBB396_103
; %bb.121:
	s_and_saveexec_b64 s[36:37], s[28:29]
	s_cbranch_execz .LBB396_123
; %bb.122:
	s_mov_b32 s49, 0
	v_cmp_eq_u32_e32 vcc, 0, v52
	s_add_i32 s48, s64, 64
	v_cndmask_b32_e32 v40, 0, v44, vcc
	s_lshl_b64 s[58:59], s[48:49], 4
	v_cndmask_b32_e32 v41, 0, v45, vcc
	v_add_co_u32_e32 v40, vcc, v40, v38
	s_add_u32 s58, s38, s58
	v_add_u32_e32 v42, v65, v52
	v_addc_co_u32_e32 v41, vcc, v41, v39, vcc
	s_addc_u32 s59, s39, s59
	v_mov_b32_e32 v43, 0
	global_store_dword v43, v42, s[58:59]
	global_store_dwordx2 v43, v[40:41], s[58:59] offset:8
	v_mov_b32_e32 v40, s48
	v_mov_b32_e32 v41, 2
	s_waitcnt vmcnt(0) lgkmcnt(0)
	buffer_wbinvl1_vol
	global_store_byte v40, v41, s[40:41]
	ds_write_b32 v43, v52 offset:512
	ds_write_b64 v43, v[38:39] offset:520
	ds_write_b32 v43, v65 offset:528
	ds_write_b64 v43, v[44:45] offset:536
.LBB396_123:
	s_or_b64 exec, exec, s[36:37]
	s_and_b64 exec, exec, s[0:1]
	s_cbranch_execz .LBB396_125
; %bb.124:
	v_mov_b32_e32 v38, 0
	ds_write_b32 v38, v65 offset:592
	ds_write_b64 v38, v[44:45] offset:600
.LBB396_125:
	s_or_b64 exec, exec, s[42:43]
	v_mov_b32_e32 v41, 0
	s_waitcnt lgkmcnt(0)
	s_barrier
	ds_read_b32 v40, v41 offset:592
	ds_read_b64 v[38:39], v41 offset:600
	v_cndmask_b32_e64 v42, v49, v48, s[28:29]
	v_cmp_eq_u32_e32 vcc, 0, v42
	v_cndmask_b32_e64 v36, v50, v36, s[28:29]
	v_cndmask_b32_e64 v37, v51, v37, s[28:29]
	s_waitcnt lgkmcnt(0)
	v_cndmask_b32_e32 v44, 0, v38, vcc
	v_cndmask_b32_e32 v43, 0, v39, vcc
	v_add_co_u32_e32 v36, vcc, v44, v36
	v_addc_co_u32_e32 v37, vcc, v43, v37, vcc
	v_cndmask_b32_e64 v66, v36, v38, s[0:1]
	v_cmp_eq_u32_e32 vcc, 0, v96
	v_cndmask_b32_e64 v42, v42, 0, s[0:1]
	v_cndmask_b32_e64 v67, v37, v39, s[0:1]
	v_cndmask_b32_e32 v37, 0, v66, vcc
	v_add_u32_e32 v97, v40, v42
	v_cndmask_b32_e32 v36, 0, v67, vcc
	v_add_co_u32_e32 v42, vcc, v37, v32
	v_addc_co_u32_e32 v43, vcc, v36, v33, vcc
	v_cndmask_b32_e64 v37, 0, v42, s[26:27]
	v_cndmask_b32_e64 v36, 0, v43, s[26:27]
	v_add_co_u32_e32 v44, vcc, v37, v30
	v_addc_co_u32_e32 v45, vcc, v36, v31, vcc
	v_cndmask_b32_e64 v37, 0, v44, s[24:25]
	v_cndmask_b32_e64 v36, 0, v45, s[24:25]
	;; [unrolled: 4-line block ×11, first 2 shown]
	v_add_co_u32_e32 v64, vcc, v37, v8
	v_addc_co_u32_e32 v65, vcc, v36, v9, vcc
	s_barrier
	ds_read_b32 v36, v41 offset:512
	ds_read_b64 v[38:39], v41 offset:520
	ds_read_b32 v40, v41 offset:528
	ds_read_b64 v[100:101], v41 offset:536
	v_cndmask_b32_e64 v68, 0, v64, s[4:5]
	v_cndmask_b32_e64 v37, 0, v65, s[4:5]
	v_add_co_u32_e32 v68, vcc, v68, v6
	v_addc_co_u32_e32 v69, vcc, v37, v7, vcc
	s_waitcnt lgkmcnt(3)
	v_cmp_eq_u32_e32 vcc, 0, v36
	s_waitcnt lgkmcnt(0)
	v_cndmask_b32_e32 v41, 0, v100, vcc
	v_cndmask_b32_e32 v37, 0, v101, vcc
	v_add_co_u32_e32 v38, vcc, v41, v38
	v_cndmask_b32_e64 v71, 0, v69, s[2:3]
	v_cndmask_b32_e64 v70, 0, v68, s[2:3]
	v_addc_co_u32_e32 v39, vcc, v37, v39, vcc
	s_branch .LBB396_154
.LBB396_126:
                                        ; implicit-def: $vgpr36
                                        ; implicit-def: $vgpr38_vgpr39
                                        ; implicit-def: $vgpr40
                                        ; implicit-def: $vgpr66_vgpr67
                                        ; implicit-def: $vgpr42_vgpr43
                                        ; implicit-def: $vgpr44_vgpr45
                                        ; implicit-def: $vgpr46_vgpr47
                                        ; implicit-def: $vgpr48_vgpr49
                                        ; implicit-def: $vgpr50_vgpr51
                                        ; implicit-def: $vgpr52_vgpr53
                                        ; implicit-def: $vgpr54_vgpr55
                                        ; implicit-def: $vgpr56_vgpr57
                                        ; implicit-def: $vgpr58_vgpr59
                                        ; implicit-def: $vgpr60_vgpr61
                                        ; implicit-def: $vgpr62_vgpr63
                                        ; implicit-def: $vgpr64_vgpr65
                                        ; implicit-def: $vgpr68_vgpr69
                                        ; implicit-def: $vgpr70_vgpr71
                                        ; implicit-def: $vgpr97
	s_cbranch_execz .LBB396_154
; %bb.127:
	s_and_b64 s[2:3], s[34:35], exec
	s_cselect_b32 s3, 0, s31
	s_cselect_b32 s2, 0, s30
	s_cmp_eq_u64 s[2:3], 0
	v_pk_mov_b32 v[40:41], v[32:33], v[32:33] op_sel:[0,1]
	s_cbranch_scc1 .LBB396_129
; %bb.128:
	v_mov_b32_e32 v36, 0
	global_load_dwordx2 v[40:41], v36, s[2:3]
.LBB396_129:
	v_cmp_eq_u32_e64 s[24:25], 0, v95
	v_cndmask_b32_e64 v37, 0, v32, s[24:25]
	v_cndmask_b32_e64 v36, 0, v33, s[24:25]
	v_add_co_u32_e32 v37, vcc, v37, v30
	v_cmp_eq_u32_e64 s[22:23], 0, v94
	v_addc_co_u32_e32 v36, vcc, v36, v31, vcc
	v_cndmask_b32_e64 v37, 0, v37, s[22:23]
	v_cndmask_b32_e64 v36, 0, v36, s[22:23]
	v_add_co_u32_e32 v37, vcc, v37, v28
	v_cmp_eq_u32_e64 s[20:21], 0, v91
	v_addc_co_u32_e32 v36, vcc, v36, v29, vcc
	;; [unrolled: 5-line block ×11, first 2 shown]
	v_cndmask_b32_e64 v37, 0, v37, s[4:5]
	v_cndmask_b32_e64 v36, 0, v36, s[4:5]
	v_add_co_u32_e32 v37, vcc, v37, v6
	v_addc_co_u32_e32 v36, vcc, v36, v7, vcc
	v_cmp_eq_u32_e32 vcc, 0, v74
	v_cndmask_b32_e32 v37, 0, v37, vcc
	v_add3_u32 v38, v99, v87, v85
	v_cndmask_b32_e32 v36, 0, v36, vcc
	v_add_co_u32_e64 v37, s[26:27], v37, v16
	v_add3_u32 v38, v38, v83, v80
	v_addc_co_u32_e64 v36, s[26:27], v36, v17, s[26:27]
	v_add3_u32 v38, v38, v78, v77
	v_cmp_eq_u32_e64 s[26:27], 0, v72
	v_add3_u32 v38, v38, v76, v75
	v_cndmask_b32_e64 v37, 0, v37, s[26:27]
	v_add3_u32 v39, v38, v74, v72
	v_cndmask_b32_e64 v36, 0, v36, s[26:27]
	v_add_co_u32_e64 v34, s[26:27], v37, v34
	v_mbcnt_hi_u32_b32 v38, -1, v98
	v_addc_co_u32_e64 v35, s[26:27], v36, v35, s[26:27]
	v_and_b32_e32 v36, 15, v38
	v_mov_b32_dpp v42, v39 row_shr:1 row_mask:0xf bank_mask:0xf
	v_mov_b32_dpp v37, v34 row_shr:1 row_mask:0xf bank_mask:0xf
	v_mov_b32_dpp v43, v35 row_shr:1 row_mask:0xf bank_mask:0xf
	v_cmp_ne_u32_e64 s[26:27], 0, v36
	s_and_saveexec_b64 s[28:29], s[26:27]
; %bb.130:
	v_cmp_eq_u32_e64 s[26:27], 0, v39
	v_cndmask_b32_e64 v37, 0, v37, s[26:27]
	v_add_u32_e32 v42, v42, v39
	v_cndmask_b32_e64 v39, 0, v43, s[26:27]
	v_add_co_u32_e64 v34, s[26:27], v37, v34
	v_addc_co_u32_e64 v35, s[26:27], v39, v35, s[26:27]
	v_mov_b32_e32 v39, v42
; %bb.131:
	s_or_b64 exec, exec, s[28:29]
	s_nop 0
	v_mov_b32_dpp v42, v39 row_shr:2 row_mask:0xf bank_mask:0xf
	v_mov_b32_dpp v37, v34 row_shr:2 row_mask:0xf bank_mask:0xf
	v_mov_b32_dpp v43, v35 row_shr:2 row_mask:0xf bank_mask:0xf
	v_cmp_lt_u32_e64 s[26:27], 1, v36
	s_and_saveexec_b64 s[28:29], s[26:27]
; %bb.132:
	v_cmp_eq_u32_e64 s[26:27], 0, v39
	v_cndmask_b32_e64 v37, 0, v37, s[26:27]
	v_add_u32_e32 v42, v42, v39
	v_cndmask_b32_e64 v39, 0, v43, s[26:27]
	v_add_co_u32_e64 v34, s[26:27], v37, v34
	v_addc_co_u32_e64 v35, s[26:27], v39, v35, s[26:27]
	v_mov_b32_e32 v39, v42
; %bb.133:
	s_or_b64 exec, exec, s[28:29]
	s_nop 0
	v_mov_b32_dpp v42, v39 row_shr:4 row_mask:0xf bank_mask:0xf
	v_mov_b32_dpp v37, v34 row_shr:4 row_mask:0xf bank_mask:0xf
	v_mov_b32_dpp v43, v35 row_shr:4 row_mask:0xf bank_mask:0xf
	v_cmp_lt_u32_e64 s[26:27], 3, v36
	;; [unrolled: 16-line block ×3, first 2 shown]
	s_and_saveexec_b64 s[28:29], s[26:27]
; %bb.136:
	v_cmp_eq_u32_e64 s[26:27], 0, v39
	v_cndmask_b32_e64 v37, 0, v37, s[26:27]
	v_add_u32_e32 v36, v42, v39
	v_cndmask_b32_e64 v39, 0, v43, s[26:27]
	v_add_co_u32_e64 v34, s[26:27], v37, v34
	v_addc_co_u32_e64 v35, s[26:27], v39, v35, s[26:27]
	v_mov_b32_e32 v39, v36
; %bb.137:
	s_or_b64 exec, exec, s[28:29]
	v_and_b32_e32 v43, 16, v38
	v_mov_b32_dpp v37, v39 row_bcast:15 row_mask:0xf bank_mask:0xf
	v_mov_b32_dpp v36, v34 row_bcast:15 row_mask:0xf bank_mask:0xf
	;; [unrolled: 1-line block ×3, first 2 shown]
	v_cmp_ne_u32_e64 s[26:27], 0, v43
	s_and_saveexec_b64 s[28:29], s[26:27]
; %bb.138:
	v_cmp_eq_u32_e64 s[26:27], 0, v39
	v_cndmask_b32_e64 v36, 0, v36, s[26:27]
	v_add_u32_e32 v37, v37, v39
	v_cndmask_b32_e64 v39, 0, v42, s[26:27]
	v_add_co_u32_e64 v34, s[26:27], v36, v34
	v_addc_co_u32_e64 v35, s[26:27], v39, v35, s[26:27]
	v_mov_b32_e32 v39, v37
; %bb.139:
	s_or_b64 exec, exec, s[28:29]
	s_nop 0
	v_mov_b32_dpp v37, v39 row_bcast:31 row_mask:0xf bank_mask:0xf
	v_mov_b32_dpp v36, v34 row_bcast:31 row_mask:0xf bank_mask:0xf
	;; [unrolled: 1-line block ×3, first 2 shown]
	v_cmp_lt_u32_e64 s[26:27], 31, v38
	s_and_saveexec_b64 s[28:29], s[26:27]
; %bb.140:
	v_cmp_eq_u32_e64 s[26:27], 0, v39
	v_cndmask_b32_e64 v36, 0, v36, s[26:27]
	v_add_u32_e32 v37, v37, v39
	v_cndmask_b32_e64 v39, 0, v42, s[26:27]
	v_add_co_u32_e64 v34, s[26:27], v36, v34
	v_addc_co_u32_e64 v35, s[26:27], v39, v35, s[26:27]
	v_mov_b32_e32 v39, v37
; %bb.141:
	s_or_b64 exec, exec, s[28:29]
	v_lshrrev_b32_e32 v36, 6, v0
	v_or_b32_e32 v37, 63, v0
	v_cmp_eq_u32_e64 s[26:27], v37, v0
	v_lshlrev_b32_e32 v42, 4, v36
	s_and_saveexec_b64 s[28:29], s[26:27]
	s_cbranch_execz .LBB396_143
; %bb.142:
	ds_write_b32 v42, v39 offset:544
	ds_write_b64 v42, v[34:35] offset:552
.LBB396_143:
	s_or_b64 exec, exec, s[28:29]
	v_cmp_gt_u32_e64 s[26:27], 4, v0
	s_waitcnt lgkmcnt(0)
	s_barrier
	s_and_saveexec_b64 s[28:29], s[26:27]
	s_cbranch_execz .LBB396_149
; %bb.144:
	v_lshlrev_b32_e32 v43, 4, v0
	ds_read_b32 v44, v43 offset:544
	ds_read_b64 v[36:37], v43 offset:552
	v_and_b32_e32 v45, 3, v38
	v_cmp_ne_u32_e64 s[26:27], 0, v45
	s_waitcnt lgkmcnt(1)
	v_mov_b32_dpp v47, v44 row_shr:1 row_mask:0xf bank_mask:0xf
	s_waitcnt lgkmcnt(0)
	v_mov_b32_dpp v46, v36 row_shr:1 row_mask:0xf bank_mask:0xf
	v_mov_b32_dpp v48, v37 row_shr:1 row_mask:0xf bank_mask:0xf
	s_and_saveexec_b64 s[30:31], s[26:27]
; %bb.145:
	v_cmp_eq_u32_e64 s[26:27], 0, v44
	v_cndmask_b32_e64 v46, 0, v46, s[26:27]
	v_add_u32_e32 v47, v47, v44
	v_cndmask_b32_e64 v44, 0, v48, s[26:27]
	v_add_co_u32_e64 v36, s[26:27], v46, v36
	v_addc_co_u32_e64 v37, s[26:27], v44, v37, s[26:27]
	v_mov_b32_e32 v44, v47
; %bb.146:
	s_or_b64 exec, exec, s[30:31]
	s_nop 0
	v_mov_b32_dpp v47, v44 row_shr:2 row_mask:0xf bank_mask:0xf
	v_mov_b32_dpp v46, v36 row_shr:2 row_mask:0xf bank_mask:0xf
	;; [unrolled: 1-line block ×3, first 2 shown]
	v_cmp_lt_u32_e64 s[26:27], 1, v45
	s_and_saveexec_b64 s[30:31], s[26:27]
; %bb.147:
	v_cmp_eq_u32_e64 s[26:27], 0, v44
	v_cndmask_b32_e64 v46, 0, v46, s[26:27]
	v_add_u32_e32 v45, v47, v44
	v_cndmask_b32_e64 v44, 0, v48, s[26:27]
	v_add_co_u32_e64 v36, s[26:27], v46, v36
	v_addc_co_u32_e64 v37, s[26:27], v44, v37, s[26:27]
	v_mov_b32_e32 v44, v45
; %bb.148:
	s_or_b64 exec, exec, s[30:31]
	ds_write_b32 v43, v44 offset:544
	ds_write_b64 v43, v[36:37] offset:552
.LBB396_149:
	s_or_b64 exec, exec, s[28:29]
	v_cmp_lt_u32_e64 s[26:27], 63, v0
	v_mov_b32_e32 v98, 0
	v_mov_b32_e32 v43, 0
	s_waitcnt vmcnt(0)
	v_pk_mov_b32 v[36:37], v[40:41], v[40:41] op_sel:[0,1]
	s_waitcnt lgkmcnt(0)
	s_barrier
	s_and_saveexec_b64 s[28:29], s[26:27]
	s_cbranch_execz .LBB396_151
; %bb.150:
	ds_read_b32 v43, v42 offset:528
	ds_read_b64 v[36:37], v42 offset:536
	s_waitcnt lgkmcnt(1)
	v_cmp_eq_u32_e64 s[26:27], 0, v43
	v_cndmask_b32_e64 v44, 0, v40, s[26:27]
	v_cndmask_b32_e64 v42, 0, v41, s[26:27]
	s_waitcnt lgkmcnt(0)
	v_add_co_u32_e64 v36, s[26:27], v44, v36
	v_addc_co_u32_e64 v37, s[26:27], v42, v37, s[26:27]
.LBB396_151:
	s_or_b64 exec, exec, s[28:29]
	v_cmp_eq_u32_e64 s[26:27], 0, v39
	v_cndmask_b32_e64 v44, 0, v36, s[26:27]
	v_add_u32_e32 v42, v43, v39
	v_cndmask_b32_e64 v39, 0, v37, s[26:27]
	v_add_co_u32_e64 v34, s[26:27], v44, v34
	v_addc_co_u32_e64 v35, s[26:27], v39, v35, s[26:27]
	v_add_u32_e32 v39, -1, v38
	v_and_b32_e32 v44, 64, v38
	v_cmp_lt_i32_e64 s[26:27], v39, v44
	v_cndmask_b32_e64 v39, v39, v38, s[26:27]
	v_lshlrev_b32_e32 v39, 2, v39
	ds_bpermute_b32 v34, v39, v34
	ds_bpermute_b32 v42, v39, v42
	;; [unrolled: 1-line block ×3, first 2 shown]
	v_cmp_eq_u32_e64 s[26:27], 0, v38
	s_waitcnt lgkmcnt(2)
	v_cndmask_b32_e64 v66, v34, v36, s[26:27]
	s_waitcnt lgkmcnt(1)
	v_cndmask_b32_e64 v97, v42, v43, s[26:27]
	;; [unrolled: 2-line block ×3, first 2 shown]
	v_cndmask_b32_e64 v34, v66, v40, s[0:1]
	v_cmp_eq_u32_e64 s[26:27], 0, v96
	v_cndmask_b32_e64 v35, v67, v41, s[0:1]
	v_cndmask_b32_e64 v34, 0, v34, s[26:27]
	;; [unrolled: 1-line block ×3, first 2 shown]
	v_add_co_u32_e64 v42, s[26:27], v34, v32
	v_addc_co_u32_e64 v43, s[26:27], v35, v33, s[26:27]
	v_cndmask_b32_e64 v33, 0, v42, s[24:25]
	v_cndmask_b32_e64 v32, 0, v43, s[24:25]
	v_add_co_u32_e64 v44, s[24:25], v33, v30
	v_addc_co_u32_e64 v45, s[24:25], v32, v31, s[24:25]
	v_cndmask_b32_e64 v31, 0, v44, s[22:23]
	v_cndmask_b32_e64 v30, 0, v45, s[22:23]
	;; [unrolled: 4-line block ×11, first 2 shown]
	v_add_co_u32_e64 v64, s[2:3], v11, v8
	v_addc_co_u32_e64 v65, s[2:3], v10, v9, s[2:3]
	v_cndmask_b32_e64 v9, 0, v64, s[4:5]
	ds_read_b32 v36, v98 offset:592
	v_cndmask_b32_e64 v8, 0, v65, s[4:5]
	v_add_co_u32_e64 v68, s[2:3], v9, v6
	v_addc_co_u32_e64 v69, s[2:3], v8, v7, s[2:3]
	ds_read_b64 v[6:7], v98 offset:600
	v_cndmask_b32_e32 v71, 0, v69, vcc
	v_cndmask_b32_e32 v70, 0, v68, vcc
	s_waitcnt lgkmcnt(1)
	v_cmp_eq_u32_e32 vcc, 0, v36
	v_cndmask_b32_e32 v9, 0, v40, vcc
	v_cndmask_b32_e32 v8, 0, v41, vcc
	s_waitcnt lgkmcnt(0)
	v_add_co_u32_e32 v38, vcc, v9, v6
	v_addc_co_u32_e32 v39, vcc, v8, v7, vcc
	s_and_saveexec_b64 s[2:3], s[0:1]
	s_cbranch_execz .LBB396_153
; %bb.152:
	v_mov_b32_e32 v97, 0
	v_mov_b32_e32 v6, 2
	v_pk_mov_b32 v[66:67], v[40:41], v[40:41] op_sel:[0,1]
	global_store_dword v97, v36, s[38:39] offset:1024
	global_store_dwordx2 v97, v[38:39], s[38:39] offset:1032
	s_waitcnt vmcnt(0)
	buffer_wbinvl1_vol
	global_store_byte v97, v6, s[40:41] offset:64
.LBB396_153:
	s_or_b64 exec, exec, s[2:3]
	v_mov_b32_e32 v40, 0
.LBB396_154:
	s_and_b64 s[2:3], s[34:35], exec
	s_cselect_b32 s3, 0, s51
	s_cselect_b32 s2, 0, s50
	s_cmp_eq_u64 s[2:3], 0
	v_pk_mov_b32 v[18:19], 0, 0
	s_barrier
	s_cbranch_scc1 .LBB396_156
; %bb.155:
	v_mov_b32_e32 v6, 0
	global_load_dwordx2 v[18:19], v6, s[2:3]
.LBB396_156:
	v_mov_b32_e32 v6, s53
	s_waitcnt vmcnt(0)
	v_add_co_u32_e32 v7, vcc, s52, v18
	v_addc_co_u32_e32 v6, vcc, v6, v19, vcc
	v_add_co_u32_e32 v20, vcc, v7, v40
	v_addc_co_u32_e32 v21, vcc, 0, v6, vcc
	v_cmp_eq_u32_e32 vcc, 0, v96
	v_cndmask_b32_e64 v6, 1, 2, vcc
	v_cmp_eq_u32_e32 vcc, 0, v95
	v_cndmask_b32_e64 v7, 1, 2, vcc
	v_cmp_eq_u32_e32 vcc, 0, v94
	v_and_b32_e32 v6, v7, v6
	v_cndmask_b32_e64 v7, 1, 2, vcc
	v_cmp_eq_u32_e32 vcc, 0, v91
	v_add_u32_e32 v35, v97, v96
	v_and_b32_e32 v6, v6, v7
	v_cndmask_b32_e64 v7, 1, 2, vcc
	v_cmp_eq_u32_e32 vcc, 0, v89
	v_add_u32_e32 v34, v35, v95
	;; [unrolled: 4-line block ×12, first 2 shown]
	v_and_b32_e32 v6, v6, v7
	v_cndmask_b32_e64 v7, 1, 2, vcc
	s_movk_i32 s34, 0x100
	v_add_u32_e32 v23, v24, v75
	v_and_b32_e32 v6, v6, v7
	v_cmp_gt_u32_e32 vcc, s34, v36
	v_add_u32_e32 v22, v23, v74
	v_mov_b32_e32 v41, 0
	v_cmp_ne_u32_e64 s[30:31], 0, v96
	v_cmp_ne_u32_e64 s[28:29], 0, v95
	;; [unrolled: 1-line block ×15, first 2 shown]
	s_mov_b64 s[36:37], -1
	v_cmp_gt_i16_e64 s[34:35], 2, v6
	s_cbranch_vccz .LBB396_163
; %bb.157:
	s_and_saveexec_b64 s[36:37], s[34:35]
	s_cbranch_execz .LBB396_162
; %bb.158:
	v_cmp_ne_u16_e32 vcc, 1, v6
	s_mov_b64 s[38:39], 0
	s_and_saveexec_b64 s[34:35], vcc
	s_xor_b64 s[34:35], exec, s[34:35]
	s_cbranch_execnz .LBB396_206
; %bb.159:
	s_andn2_saveexec_b64 s[34:35], s[34:35]
	s_cbranch_execnz .LBB396_222
.LBB396_160:
	s_or_b64 exec, exec, s[34:35]
	s_and_b64 exec, exec, s[38:39]
	s_cbranch_execz .LBB396_162
.LBB396_161:
	v_sub_u32_e32 v7, v22, v40
	v_readfirstlane_b32 s34, v20
	v_readfirstlane_b32 s35, v21
	s_nop 4
	global_store_byte v7, v1, s[34:35]
.LBB396_162:
	s_or_b64 exec, exec, s[36:37]
	s_mov_b64 s[36:37], 0
.LBB396_163:
	s_and_b64 vcc, exec, s[36:37]
	s_cbranch_vccz .LBB396_184
; %bb.164:
	v_cmp_gt_i16_e32 vcc, 2, v6
	s_and_saveexec_b64 s[34:35], vcc
	s_cbranch_execz .LBB396_169
; %bb.165:
	v_cmp_ne_u16_e32 vcc, 1, v6
	s_mov_b64 s[38:39], 0
	s_and_saveexec_b64 s[36:37], vcc
	s_xor_b64 s[36:37], exec, s[36:37]
	s_cbranch_execnz .LBB396_223
; %bb.166:
	s_andn2_saveexec_b64 s[2:3], s[36:37]
	s_cbranch_execnz .LBB396_239
.LBB396_167:
	s_or_b64 exec, exec, s[2:3]
	s_and_b64 exec, exec, s[38:39]
	s_cbranch_execz .LBB396_169
.LBB396_168:
	v_sub_u32_e32 v2, v22, v40
	ds_write_b8 v2, v1
.LBB396_169:
	s_or_b64 exec, exec, s[34:35]
	v_cmp_lt_u32_e32 vcc, v0, v36
	s_waitcnt lgkmcnt(0)
	s_barrier
	s_and_saveexec_b64 s[2:3], vcc
	s_cbranch_execz .LBB396_183
; %bb.170:
	v_xad_u32 v2, v0, -1, v36
	s_movk_i32 s4, 0x1700
	s_movk_i32 s6, 0x16ff
	v_cmp_gt_u32_e64 s[4:5], s4, v2
	v_cmp_lt_u32_e32 vcc, s6, v2
	v_mov_b32_e32 v1, v0
	s_and_saveexec_b64 s[6:7], vcc
	s_cbranch_execz .LBB396_180
; %bb.171:
	v_sub_u32_e32 v1, v0, v36
	v_or_b32_e32 v1, 0xff, v1
	v_cmp_ge_u32_e32 vcc, v1, v0
	s_mov_b64 s[10:11], -1
	v_mov_b32_e32 v1, v0
	s_and_saveexec_b64 s[8:9], vcc
	s_cbranch_execz .LBB396_179
; %bb.172:
	v_lshrrev_b32_e32 v37, 8, v2
	v_or_b32_e32 v7, 0x700, v0
	v_or_b32_e32 v6, 0x600, v0
	;; [unrolled: 1-line block ×7, first 2 shown]
	v_add_u32_e32 v73, -7, v37
	v_pk_mov_b32 v[14:15], v[6:7], v[6:7] op_sel:[0,1]
	v_cmp_lt_u32_e32 vcc, 7, v73
	v_mov_b32_e32 v82, 0
	v_pk_mov_b32 v[12:13], v[4:5], v[4:5] op_sel:[0,1]
	v_pk_mov_b32 v[10:11], v[2:3], v[2:3] op_sel:[0,1]
	;; [unrolled: 1-line block ×3, first 2 shown]
	s_and_saveexec_b64 s[10:11], vcc
	s_cbranch_execz .LBB396_176
; %bb.173:
	v_lshrrev_b32_e32 v8, 3, v73
	v_add_u32_e32 v8, 1, v8
	v_and_b32_e32 v79, 0x3ffffffe, v8
	v_pk_mov_b32 v[14:15], v[6:7], v[6:7] op_sel:[0,1]
	s_mov_b32 s14, 0
	s_mov_b64 s[12:13], 0
	v_mov_b32_e32 v81, v0
	v_pk_mov_b32 v[12:13], v[4:5], v[4:5] op_sel:[0,1]
	v_pk_mov_b32 v[10:11], v[2:3], v[2:3] op_sel:[0,1]
	;; [unrolled: 1-line block ×3, first 2 shown]
.LBB396_174:                            ; =>This Inner Loop Header: Depth=1
	v_add_co_u32_e32 v2, vcc, v20, v8
	v_addc_co_u32_e32 v3, vcc, 0, v21, vcc
	v_add_co_u32_e32 v4, vcc, v20, v9
	v_addc_co_u32_e32 v5, vcc, 0, v21, vcc
	;; [unrolled: 2-line block ×8, first 2 shown]
	v_add_u32_e32 v106, 0x800, v8
	v_add_co_u32_e32 v106, vcc, v20, v106
	v_add_u32_e32 v108, 0x800, v9
	v_addc_co_u32_e32 v107, vcc, 0, v21, vcc
	v_add_co_u32_e32 v108, vcc, v20, v108
	v_add_u32_e32 v110, 0x800, v10
	v_addc_co_u32_e32 v109, vcc, 0, v21, vcc
	;; [unrolled: 3-line block ×6, first 2 shown]
	v_add_co_u32_e32 v118, vcc, v20, v118
	ds_read_u8 v1, v81
	ds_read_u8 v84, v81 offset:256
	ds_read_u8 v86, v81 offset:512
	;; [unrolled: 1-line block ×7, first 2 shown]
	v_add_u32_e32 v82, 0x800, v15
	ds_read_u8 v125, v81 offset:2048
	ds_read_u8 v126, v81 offset:2304
	;; [unrolled: 1-line block ×8, first 2 shown]
	v_addc_co_u32_e32 v119, vcc, 0, v21, vcc
	v_add_co_u32_e32 v120, vcc, v20, v82
	v_add_u32_e32 v79, -2, v79
	v_addc_co_u32_e32 v121, vcc, 0, v21, vcc
	s_add_i32 s14, s14, 16
	v_cmp_eq_u32_e32 vcc, 0, v79
	v_add_u32_e32 v15, 0x1000, v15
	v_add_u32_e32 v14, 0x1000, v14
	;; [unrolled: 1-line block ×9, first 2 shown]
	v_mov_b32_e32 v82, s14
	s_or_b64 s[12:13], vcc, s[12:13]
	s_waitcnt lgkmcnt(14)
	global_store_byte v[2:3], v1, off
	global_store_byte v[4:5], v84, off
	s_waitcnt lgkmcnt(13)
	global_store_byte v[6:7], v86, off
	s_waitcnt lgkmcnt(12)
	;; [unrolled: 2-line block ×14, first 2 shown]
	global_store_byte v[120:121], v132, off
	s_andn2_b64 exec, exec, s[12:13]
	s_cbranch_execnz .LBB396_174
; %bb.175:
	s_or_b64 exec, exec, s[12:13]
.LBB396_176:
	s_or_b64 exec, exec, s[10:11]
	v_and_b32_e32 v1, 8, v73
	v_cmp_eq_u32_e32 vcc, 0, v1
	s_and_saveexec_b64 s[10:11], vcc
	s_cbranch_execz .LBB396_178
; %bb.177:
	v_add_co_u32_e32 v2, vcc, v20, v8
	v_addc_co_u32_e32 v3, vcc, 0, v21, vcc
	v_add_co_u32_e32 v4, vcc, v20, v9
	v_addc_co_u32_e32 v5, vcc, 0, v21, vcc
	;; [unrolled: 2-line block ×4, first 2 shown]
	v_add_co_u32_e32 v10, vcc, v20, v12
	v_lshl_or_b32 v1, v82, 8, v0
	v_addc_co_u32_e32 v11, vcc, 0, v21, vcc
	v_add_co_u32_e32 v12, vcc, v20, v13
	ds_read_u8 v73, v1
	ds_read_u8 v79, v1 offset:256
	ds_read_u8 v81, v1 offset:512
	;; [unrolled: 1-line block ×7, first 2 shown]
	v_addc_co_u32_e32 v13, vcc, 0, v21, vcc
	v_add_co_u32_e32 v92, vcc, v20, v14
	v_addc_co_u32_e32 v93, vcc, 0, v21, vcc
	v_add_co_u32_e32 v14, vcc, v20, v15
	v_addc_co_u32_e32 v15, vcc, 0, v21, vcc
	s_waitcnt lgkmcnt(7)
	global_store_byte v[2:3], v73, off
	s_waitcnt lgkmcnt(6)
	global_store_byte v[4:5], v79, off
	;; [unrolled: 2-line block ×8, first 2 shown]
.LBB396_178:
	s_or_b64 exec, exec, s[10:11]
	v_add_u32_e32 v2, 1, v37
	v_and_b32_e32 v3, 0x1fffff8, v2
	v_cmp_ne_u32_e32 vcc, v2, v3
	v_lshl_or_b32 v1, v3, 8, v0
	s_orn2_b64 s[10:11], vcc, exec
.LBB396_179:
	s_or_b64 exec, exec, s[8:9]
	s_andn2_b64 s[4:5], s[4:5], exec
	s_and_b64 s[8:9], s[10:11], exec
	s_or_b64 s[4:5], s[4:5], s[8:9]
.LBB396_180:
	s_or_b64 exec, exec, s[6:7]
	s_and_b64 exec, exec, s[4:5]
	s_cbranch_execz .LBB396_183
; %bb.181:
	s_mov_b64 s[4:5], 0
.LBB396_182:                            ; =>This Inner Loop Header: Depth=1
	ds_read_u8 v2, v1
	v_readfirstlane_b32 s6, v20
	v_readfirstlane_b32 s7, v21
	s_waitcnt lgkmcnt(0)
	s_nop 3
	global_store_byte v1, v2, s[6:7]
	v_add_u32_e32 v1, 0x100, v1
	v_cmp_ge_u32_e32 vcc, v1, v36
	s_or_b64 s[4:5], vcc, s[4:5]
	s_andn2_b64 exec, exec, s[4:5]
	s_cbranch_execnz .LBB396_182
.LBB396_183:
	s_or_b64 exec, exec, s[2:3]
.LBB396_184:
	s_cmpk_lg_i32 s33, 0xf00
	s_cselect_b64 s[2:3], -1, 0
	v_cndmask_b32_e64 v8, 0, 1, s[46:47]
	s_and_b64 s[2:3], s[2:3], s[44:45]
	v_sub_u32_e32 v1, v36, v8
	v_cndmask_b32_e64 v4, 0, 1, s[2:3]
	s_and_b64 s[0:1], s[0:1], s[46:47]
	v_add_co_u32_e32 v2, vcc, v70, v16
	v_add_u32_e32 v1, v1, v4
	v_cndmask_b32_e64 v4, v96, 0, s[0:1]
	s_mul_hi_u32 s0, s33, 0x88888889
	v_addc_co_u32_e32 v3, vcc, v71, v17, vcc
	s_lshr_b32 s0, s0, 3
	v_mad_i32_i24 v5, v0, -15, s33
	v_cmp_eq_u32_e32 vcc, s0, v0
	v_cmp_ne_u32_e64 s[0:1], 0, v5
	v_cndmask_b32_e64 v6, 1, v4, s[0:1]
	v_cmp_ne_u32_e64 s[0:1], 1, v5
	v_cndmask_b32_e64 v7, 1, v95, s[0:1]
	;; [unrolled: 2-line block ×15, first 2 shown]
	s_and_b64 vcc, vcc, s[44:45]
	v_cndmask_b32_e32 v70, v72, v5, vcc
	v_cndmask_b32_e32 v72, v4, v6, vcc
	v_lshlrev_b64 v[4:5], 3, v[18:19]
	v_cndmask_b32_e32 v37, v74, v37, vcc
	v_cndmask_b32_e32 v21, v75, v21, vcc
	;; [unrolled: 1-line block ×13, first 2 shown]
	v_mov_b32_e32 v6, s55
	v_add_co_u32_e32 v7, vcc, s54, v4
	v_addc_co_u32_e32 v6, vcc, v6, v5, vcc
	v_lshlrev_b64 v[4:5], 3, v[40:41]
	v_add_co_u32_e32 v4, vcc, v7, v4
	v_addc_co_u32_e32 v5, vcc, v6, v5, vcc
	v_lshlrev_b32_e32 v6, 3, v8
	v_add_co_u32_e32 v6, vcc, v6, v4
	v_addc_co_u32_e32 v7, vcc, 0, v5, vcc
	v_add_co_u32_e32 v6, vcc, -8, v6
	v_addc_co_u32_e32 v7, vcc, -1, v7, vcc
	v_cmp_eq_u32_e32 vcc, 0, v72
	v_cndmask_b32_e64 v41, 1, 2, vcc
	v_cmp_eq_u32_e32 vcc, 0, v71
	v_cmp_ne_u32_e64 s[26:27], 0, v71
	v_cndmask_b32_e64 v71, 1, 2, vcc
	v_cmp_eq_u32_e32 vcc, 0, v9
	v_and_b32_e32 v41, v71, v41
	v_cmp_ne_u32_e64 s[24:25], 0, v9
	v_cndmask_b32_e64 v9, 1, 2, vcc
	v_cmp_eq_u32_e32 vcc, 0, v10
	v_and_b32_e32 v9, v41, v9
	;; [unrolled: 4-line block ×3, first 2 shown]
	v_cndmask_b32_e64 v10, 1, 2, vcc
	v_cmp_eq_u32_e32 vcc, 0, v12
	v_and_b32_e32 v9, v9, v10
	v_cndmask_b32_e64 v10, 1, 2, vcc
	v_cmp_eq_u32_e32 vcc, 0, v13
	v_and_b32_e32 v9, v9, v10
	;; [unrolled: 3-line block ×10, first 2 shown]
	v_cndmask_b32_e64 v10, 1, 2, vcc
	s_movk_i32 s30, 0x100
	v_and_b32_e32 v9, v9, v10
	v_cmp_gt_u32_e32 vcc, s30, v1
	v_add_u32_e32 v8, v40, v8
	v_cmp_ne_u32_e64 s[28:29], 0, v72
	v_cmp_ne_u32_e64 s[20:21], 0, v11
	;; [unrolled: 1-line block ×12, first 2 shown]
	s_mov_b64 s[34:35], -1
	v_cmp_gt_i16_e64 s[30:31], 2, v9
	s_barrier
	s_cbranch_vccz .LBB396_191
; %bb.185:
	s_and_saveexec_b64 s[34:35], s[30:31]
	s_cbranch_execz .LBB396_190
; %bb.186:
	v_cmp_ne_u16_e32 vcc, 1, v9
	s_mov_b64 s[36:37], 0
	s_and_saveexec_b64 s[30:31], vcc
	s_xor_b64 s[30:31], exec, s[30:31]
	s_cbranch_execnz .LBB396_240
; %bb.187:
	s_andn2_saveexec_b64 s[30:31], s[30:31]
	s_cbranch_execnz .LBB396_256
.LBB396_188:
	s_or_b64 exec, exec, s[30:31]
	s_and_b64 exec, exec, s[36:37]
	s_cbranch_execz .LBB396_190
.LBB396_189:
	v_sub_u32_e32 v10, v22, v8
	v_mov_b32_e32 v11, 0
	v_lshlrev_b64 v[10:11], 3, v[10:11]
	v_add_co_u32_e32 v10, vcc, v6, v10
	v_addc_co_u32_e32 v11, vcc, v7, v11, vcc
	global_store_dwordx2 v[10:11], v[2:3], off
.LBB396_190:
	s_or_b64 exec, exec, s[34:35]
	s_mov_b64 s[34:35], 0
.LBB396_191:
	s_and_b64 vcc, exec, s[34:35]
	s_cbranch_vccz .LBB396_201
; %bb.192:
	v_cmp_gt_i16_e32 vcc, 2, v9
	s_and_saveexec_b64 s[30:31], vcc
	s_cbranch_execz .LBB396_197
; %bb.193:
	v_cmp_ne_u16_e32 vcc, 1, v9
	s_mov_b64 s[36:37], 0
	s_and_saveexec_b64 s[34:35], vcc
	s_xor_b64 s[34:35], exec, s[34:35]
	s_cbranch_execnz .LBB396_257
; %bb.194:
	s_andn2_saveexec_b64 s[0:1], s[34:35]
	s_cbranch_execnz .LBB396_273
.LBB396_195:
	s_or_b64 exec, exec, s[0:1]
	s_and_b64 exec, exec, s[36:37]
	s_cbranch_execz .LBB396_197
.LBB396_196:
	v_sub_u32_e32 v8, v22, v8
	v_lshlrev_b32_e32 v8, 3, v8
	ds_write_b64 v8, v[2:3]
.LBB396_197:
	s_or_b64 exec, exec, s[30:31]
	v_cmp_lt_u32_e32 vcc, v0, v1
	s_waitcnt lgkmcnt(0)
	s_barrier
	s_and_saveexec_b64 s[0:1], vcc
	s_cbranch_execz .LBB396_200
; %bb.198:
	v_lshlrev_b32_e32 v8, 3, v0
	s_mov_b64 s[2:3], 0
	v_mov_b32_e32 v3, 0
	v_mov_b32_e32 v2, v0
.LBB396_199:                            ; =>This Inner Loop Header: Depth=1
	v_lshlrev_b64 v[10:11], 3, v[2:3]
	ds_read_b64 v[12:13], v8
	v_add_co_u32_e32 v10, vcc, v6, v10
	v_add_u32_e32 v2, 0x100, v2
	v_addc_co_u32_e32 v11, vcc, v7, v11, vcc
	v_cmp_ge_u32_e32 vcc, v2, v1
	v_add_u32_e32 v8, 0x800, v8
	s_or_b64 s[2:3], vcc, s[2:3]
	s_waitcnt lgkmcnt(0)
	global_store_dwordx2 v[10:11], v[12:13], off
	s_andn2_b64 exec, exec, s[2:3]
	s_cbranch_execnz .LBB396_199
.LBB396_200:
	s_or_b64 exec, exec, s[0:1]
.LBB396_201:
	s_movk_i32 s0, 0xff
	v_cmp_eq_u32_e32 vcc, s0, v0
	s_and_b64 s[0:1], vcc, s[44:45]
	s_and_saveexec_b64 s[2:3], s[0:1]
	s_cbranch_execz .LBB396_204
; %bb.202:
	v_add_co_u32_e32 v0, vcc, v36, v40
	v_addc_co_u32_e64 v1, s[0:1], 0, 0, vcc
	v_add_co_u32_e32 v0, vcc, v0, v18
	v_mov_b32_e32 v37, 0
	v_addc_co_u32_e32 v1, vcc, v1, v19, vcc
	s_cmpk_lg_i32 s33, 0xf00
	global_store_dwordx2 v37, v[0:1], s[56:57]
	s_cbranch_scc1 .LBB396_204
; %bb.203:
	v_lshlrev_b64 v[0:1], 3, v[36:37]
	v_add_co_u32_e32 v0, vcc, v4, v0
	v_addc_co_u32_e32 v1, vcc, v5, v1, vcc
	global_store_dwordx2 v[0:1], v[38:39], off offset:-8
.LBB396_204:
	s_endpgm
.LBB396_205:
	s_or_b64 exec, exec, s[10:11]
	v_mov_b32_e32 v96, s14
	s_and_saveexec_b64 s[2:3], s[6:7]
	s_cbranch_execnz .LBB396_58
	s_branch .LBB396_59
.LBB396_206:
	s_and_saveexec_b64 s[38:39], s[30:31]
	s_cbranch_execnz .LBB396_274
; %bb.207:
	s_or_b64 exec, exec, s[38:39]
	s_and_saveexec_b64 s[38:39], s[28:29]
	s_cbranch_execnz .LBB396_275
.LBB396_208:
	s_or_b64 exec, exec, s[38:39]
	s_and_saveexec_b64 s[38:39], s[26:27]
	s_cbranch_execnz .LBB396_276
.LBB396_209:
	s_or_b64 exec, exec, s[38:39]
	s_and_saveexec_b64 s[38:39], s[24:25]
	s_cbranch_execnz .LBB396_277
.LBB396_210:
	s_or_b64 exec, exec, s[38:39]
	s_and_saveexec_b64 s[38:39], s[22:23]
	s_cbranch_execnz .LBB396_278
.LBB396_211:
	s_or_b64 exec, exec, s[38:39]
	s_and_saveexec_b64 s[38:39], s[20:21]
	s_cbranch_execnz .LBB396_279
.LBB396_212:
	s_or_b64 exec, exec, s[38:39]
	s_and_saveexec_b64 s[38:39], s[18:19]
	s_cbranch_execnz .LBB396_280
.LBB396_213:
	s_or_b64 exec, exec, s[38:39]
	s_and_saveexec_b64 s[38:39], s[16:17]
	s_cbranch_execnz .LBB396_281
.LBB396_214:
	s_or_b64 exec, exec, s[38:39]
	s_and_saveexec_b64 s[38:39], s[14:15]
	s_cbranch_execnz .LBB396_282
.LBB396_215:
	s_or_b64 exec, exec, s[38:39]
	s_and_saveexec_b64 s[38:39], s[12:13]
	s_cbranch_execnz .LBB396_283
.LBB396_216:
	s_or_b64 exec, exec, s[38:39]
	s_and_saveexec_b64 s[38:39], s[10:11]
	s_cbranch_execnz .LBB396_284
.LBB396_217:
	s_or_b64 exec, exec, s[38:39]
	s_and_saveexec_b64 s[38:39], s[8:9]
	s_cbranch_execnz .LBB396_285
.LBB396_218:
	s_or_b64 exec, exec, s[38:39]
	s_and_saveexec_b64 s[38:39], s[6:7]
	s_cbranch_execnz .LBB396_286
.LBB396_219:
	s_or_b64 exec, exec, s[38:39]
	s_and_saveexec_b64 s[38:39], s[4:5]
	s_cbranch_execz .LBB396_221
.LBB396_220:
	v_sub_u32_e32 v7, v23, v40
	v_readfirstlane_b32 s40, v20
	v_readfirstlane_b32 s41, v21
	s_nop 4
	global_store_byte v7, v5, s[40:41]
.LBB396_221:
	s_or_b64 exec, exec, s[38:39]
	s_and_b64 s[38:39], s[2:3], exec
	s_andn2_saveexec_b64 s[34:35], s[34:35]
	s_cbranch_execz .LBB396_160
.LBB396_222:
	v_sub_u32_e32 v7, v97, v40
	v_readfirstlane_b32 s40, v20
	v_readfirstlane_b32 s41, v21
	s_or_b64 s[38:39], s[38:39], exec
	s_nop 3
	global_store_byte v7, v2, s[40:41]
	v_sub_u32_e32 v7, v35, v40
	global_store_byte v7, v93, s[40:41]
	v_sub_u32_e32 v7, v34, v40
	;; [unrolled: 2-line block ×13, first 2 shown]
	global_store_byte v7, v5, s[40:41]
	s_or_b64 exec, exec, s[34:35]
	s_and_b64 exec, exec, s[38:39]
	s_cbranch_execnz .LBB396_161
	s_branch .LBB396_162
.LBB396_223:
	s_and_saveexec_b64 s[38:39], s[30:31]
	s_cbranch_execnz .LBB396_287
; %bb.224:
	s_or_b64 exec, exec, s[38:39]
	s_and_saveexec_b64 s[30:31], s[28:29]
	s_cbranch_execnz .LBB396_288
.LBB396_225:
	s_or_b64 exec, exec, s[30:31]
	s_and_saveexec_b64 s[28:29], s[26:27]
	s_cbranch_execnz .LBB396_289
.LBB396_226:
	s_or_b64 exec, exec, s[28:29]
	s_and_saveexec_b64 s[26:27], s[24:25]
	s_cbranch_execnz .LBB396_290
.LBB396_227:
	s_or_b64 exec, exec, s[26:27]
	s_and_saveexec_b64 s[24:25], s[22:23]
	s_cbranch_execnz .LBB396_291
.LBB396_228:
	s_or_b64 exec, exec, s[24:25]
	s_and_saveexec_b64 s[22:23], s[20:21]
	s_cbranch_execnz .LBB396_292
.LBB396_229:
	s_or_b64 exec, exec, s[22:23]
	s_and_saveexec_b64 s[20:21], s[18:19]
	s_cbranch_execnz .LBB396_293
.LBB396_230:
	s_or_b64 exec, exec, s[20:21]
	s_and_saveexec_b64 s[18:19], s[16:17]
	s_cbranch_execnz .LBB396_294
.LBB396_231:
	s_or_b64 exec, exec, s[18:19]
	s_and_saveexec_b64 s[16:17], s[14:15]
	s_cbranch_execnz .LBB396_295
.LBB396_232:
	s_or_b64 exec, exec, s[16:17]
	s_and_saveexec_b64 s[14:15], s[12:13]
	s_cbranch_execnz .LBB396_296
.LBB396_233:
	s_or_b64 exec, exec, s[14:15]
	s_and_saveexec_b64 s[12:13], s[10:11]
	s_cbranch_execnz .LBB396_297
.LBB396_234:
	s_or_b64 exec, exec, s[12:13]
	s_and_saveexec_b64 s[10:11], s[8:9]
	s_cbranch_execnz .LBB396_298
.LBB396_235:
	s_or_b64 exec, exec, s[10:11]
	s_and_saveexec_b64 s[8:9], s[6:7]
	s_cbranch_execnz .LBB396_299
.LBB396_236:
	s_or_b64 exec, exec, s[8:9]
	s_and_saveexec_b64 s[6:7], s[4:5]
	s_cbranch_execz .LBB396_238
.LBB396_237:
	v_sub_u32_e32 v2, v23, v40
	ds_write_b8 v2, v5
.LBB396_238:
	s_or_b64 exec, exec, s[6:7]
	s_and_b64 s[38:39], s[2:3], exec
                                        ; implicit-def: $vgpr2
                                        ; implicit-def: $vgpr93
                                        ; implicit-def: $vgpr92
                                        ; implicit-def: $vgpr90
                                        ; implicit-def: $vgpr88
                                        ; implicit-def: $vgpr86
                                        ; implicit-def: $vgpr84
                                        ; implicit-def: $vgpr82
                                        ; implicit-def: $vgpr81
                                        ; implicit-def: $vgpr79
                                        ; implicit-def: $vgpr73
                                        ; implicit-def: $vgpr5
	s_andn2_saveexec_b64 s[2:3], s[36:37]
	s_cbranch_execz .LBB396_167
.LBB396_239:
	v_sub_u32_e32 v6, v97, v40
	ds_write_b8 v6, v2
	v_sub_u32_e32 v2, v35, v40
	ds_write_b8 v2, v93
	;; [unrolled: 2-line block ×13, first 2 shown]
	v_sub_u32_e32 v2, v23, v40
	s_or_b64 s[38:39], s[38:39], exec
	ds_write_b8 v2, v5
	s_or_b64 exec, exec, s[2:3]
	s_and_b64 exec, exec, s[38:39]
	s_cbranch_execnz .LBB396_168
	s_branch .LBB396_169
.LBB396_240:
	s_and_saveexec_b64 s[36:37], s[28:29]
	s_cbranch_execnz .LBB396_300
; %bb.241:
	s_or_b64 exec, exec, s[36:37]
	s_and_saveexec_b64 s[36:37], s[26:27]
	s_cbranch_execnz .LBB396_301
.LBB396_242:
	s_or_b64 exec, exec, s[36:37]
	s_and_saveexec_b64 s[36:37], s[24:25]
	s_cbranch_execnz .LBB396_302
.LBB396_243:
	s_or_b64 exec, exec, s[36:37]
	s_and_saveexec_b64 s[36:37], s[22:23]
	s_cbranch_execnz .LBB396_303
.LBB396_244:
	s_or_b64 exec, exec, s[36:37]
	s_and_saveexec_b64 s[36:37], s[20:21]
	s_cbranch_execnz .LBB396_304
.LBB396_245:
	s_or_b64 exec, exec, s[36:37]
	s_and_saveexec_b64 s[36:37], s[18:19]
	s_cbranch_execnz .LBB396_305
.LBB396_246:
	s_or_b64 exec, exec, s[36:37]
	s_and_saveexec_b64 s[36:37], s[16:17]
	s_cbranch_execnz .LBB396_306
.LBB396_247:
	s_or_b64 exec, exec, s[36:37]
	s_and_saveexec_b64 s[36:37], s[14:15]
	s_cbranch_execnz .LBB396_307
.LBB396_248:
	s_or_b64 exec, exec, s[36:37]
	s_and_saveexec_b64 s[36:37], s[12:13]
	s_cbranch_execnz .LBB396_308
.LBB396_249:
	s_or_b64 exec, exec, s[36:37]
	s_and_saveexec_b64 s[36:37], s[10:11]
	s_cbranch_execnz .LBB396_309
.LBB396_250:
	s_or_b64 exec, exec, s[36:37]
	s_and_saveexec_b64 s[36:37], s[8:9]
	s_cbranch_execnz .LBB396_310
.LBB396_251:
	s_or_b64 exec, exec, s[36:37]
	s_and_saveexec_b64 s[36:37], s[6:7]
	s_cbranch_execnz .LBB396_311
.LBB396_252:
	s_or_b64 exec, exec, s[36:37]
	s_and_saveexec_b64 s[36:37], s[4:5]
	s_cbranch_execnz .LBB396_312
.LBB396_253:
	s_or_b64 exec, exec, s[36:37]
	s_and_saveexec_b64 s[36:37], s[2:3]
	s_cbranch_execz .LBB396_255
.LBB396_254:
	v_sub_u32_e32 v10, v23, v8
	v_mov_b32_e32 v11, 0
	v_lshlrev_b64 v[10:11], 3, v[10:11]
	v_add_co_u32_e32 v10, vcc, v6, v10
	v_addc_co_u32_e32 v11, vcc, v7, v11, vcc
	global_store_dwordx2 v[10:11], v[68:69], off
.LBB396_255:
	s_or_b64 exec, exec, s[36:37]
	s_and_b64 s[36:37], s[0:1], exec
	s_andn2_saveexec_b64 s[30:31], s[30:31]
	s_cbranch_execz .LBB396_188
.LBB396_256:
	v_sub_u32_e32 v10, v97, v8
	v_mov_b32_e32 v11, 0
	v_lshlrev_b64 v[12:13], 3, v[10:11]
	v_add_co_u32_e32 v12, vcc, v6, v12
	v_addc_co_u32_e32 v13, vcc, v7, v13, vcc
	v_sub_u32_e32 v10, v35, v8
	global_store_dwordx2 v[12:13], v[66:67], off
	v_lshlrev_b64 v[12:13], 3, v[10:11]
	v_add_co_u32_e32 v12, vcc, v6, v12
	v_addc_co_u32_e32 v13, vcc, v7, v13, vcc
	v_sub_u32_e32 v10, v34, v8
	global_store_dwordx2 v[12:13], v[42:43], off
	;; [unrolled: 5-line block ×12, first 2 shown]
	v_lshlrev_b64 v[12:13], 3, v[10:11]
	v_add_co_u32_e32 v12, vcc, v6, v12
	v_sub_u32_e32 v10, v23, v8
	v_addc_co_u32_e32 v13, vcc, v7, v13, vcc
	v_lshlrev_b64 v[10:11], 3, v[10:11]
	v_add_co_u32_e32 v10, vcc, v6, v10
	v_addc_co_u32_e32 v11, vcc, v7, v11, vcc
	s_or_b64 s[36:37], s[36:37], exec
	global_store_dwordx2 v[12:13], v[64:65], off
	global_store_dwordx2 v[10:11], v[68:69], off
	s_or_b64 exec, exec, s[30:31]
	s_and_b64 exec, exec, s[36:37]
	s_cbranch_execnz .LBB396_189
	s_branch .LBB396_190
.LBB396_257:
	s_and_saveexec_b64 s[36:37], s[28:29]
	s_cbranch_execnz .LBB396_313
; %bb.258:
	s_or_b64 exec, exec, s[36:37]
	s_and_saveexec_b64 s[28:29], s[26:27]
	s_cbranch_execnz .LBB396_314
.LBB396_259:
	s_or_b64 exec, exec, s[28:29]
	s_and_saveexec_b64 s[26:27], s[24:25]
	s_cbranch_execnz .LBB396_315
.LBB396_260:
	s_or_b64 exec, exec, s[26:27]
	s_and_saveexec_b64 s[24:25], s[22:23]
	s_cbranch_execnz .LBB396_316
.LBB396_261:
	s_or_b64 exec, exec, s[24:25]
	s_and_saveexec_b64 s[22:23], s[20:21]
	s_cbranch_execnz .LBB396_317
.LBB396_262:
	s_or_b64 exec, exec, s[22:23]
	s_and_saveexec_b64 s[20:21], s[18:19]
	s_cbranch_execnz .LBB396_318
.LBB396_263:
	s_or_b64 exec, exec, s[20:21]
	s_and_saveexec_b64 s[18:19], s[16:17]
	s_cbranch_execnz .LBB396_319
.LBB396_264:
	s_or_b64 exec, exec, s[18:19]
	s_and_saveexec_b64 s[16:17], s[14:15]
	s_cbranch_execnz .LBB396_320
.LBB396_265:
	s_or_b64 exec, exec, s[16:17]
	s_and_saveexec_b64 s[14:15], s[12:13]
	s_cbranch_execnz .LBB396_321
.LBB396_266:
	s_or_b64 exec, exec, s[14:15]
	s_and_saveexec_b64 s[12:13], s[10:11]
	s_cbranch_execnz .LBB396_322
.LBB396_267:
	s_or_b64 exec, exec, s[12:13]
	s_and_saveexec_b64 s[10:11], s[8:9]
	s_cbranch_execnz .LBB396_323
.LBB396_268:
	s_or_b64 exec, exec, s[10:11]
	s_and_saveexec_b64 s[8:9], s[6:7]
	s_cbranch_execnz .LBB396_324
.LBB396_269:
	s_or_b64 exec, exec, s[8:9]
	s_and_saveexec_b64 s[6:7], s[4:5]
	s_cbranch_execnz .LBB396_325
.LBB396_270:
	s_or_b64 exec, exec, s[6:7]
	s_and_saveexec_b64 s[4:5], s[2:3]
	s_cbranch_execz .LBB396_272
.LBB396_271:
	v_sub_u32_e32 v9, v23, v8
	v_lshlrev_b32_e32 v9, 3, v9
	ds_write_b64 v9, v[68:69]
.LBB396_272:
	s_or_b64 exec, exec, s[4:5]
	s_and_b64 s[36:37], s[0:1], exec
                                        ; implicit-def: $vgpr66_vgpr67
                                        ; implicit-def: $vgpr42_vgpr43
                                        ; implicit-def: $vgpr44_vgpr45
                                        ; implicit-def: $vgpr46_vgpr47
                                        ; implicit-def: $vgpr48_vgpr49
                                        ; implicit-def: $vgpr50_vgpr51
                                        ; implicit-def: $vgpr52_vgpr53
                                        ; implicit-def: $vgpr54_vgpr55
                                        ; implicit-def: $vgpr56_vgpr57
                                        ; implicit-def: $vgpr58_vgpr59
                                        ; implicit-def: $vgpr60_vgpr61
                                        ; implicit-def: $vgpr62_vgpr63
                                        ; implicit-def: $vgpr64_vgpr65
                                        ; implicit-def: $vgpr68_vgpr69
                                        ; implicit-def: $vgpr97
                                        ; implicit-def: $vgpr35
                                        ; implicit-def: $vgpr34
                                        ; implicit-def: $vgpr33
                                        ; implicit-def: $vgpr32
                                        ; implicit-def: $vgpr31
                                        ; implicit-def: $vgpr30
                                        ; implicit-def: $vgpr29
                                        ; implicit-def: $vgpr28
                                        ; implicit-def: $vgpr27
                                        ; implicit-def: $vgpr26
                                        ; implicit-def: $vgpr25
                                        ; implicit-def: $vgpr24
                                        ; implicit-def: $vgpr23
	s_andn2_saveexec_b64 s[0:1], s[34:35]
	s_cbranch_execz .LBB396_195
.LBB396_273:
	v_sub_u32_e32 v9, v97, v8
	v_lshlrev_b32_e32 v9, 3, v9
	ds_write_b64 v9, v[66:67]
	v_sub_u32_e32 v9, v35, v8
	v_lshlrev_b32_e32 v9, 3, v9
	ds_write_b64 v9, v[42:43]
	;; [unrolled: 3-line block ×13, first 2 shown]
	v_sub_u32_e32 v9, v23, v8
	v_lshlrev_b32_e32 v9, 3, v9
	s_or_b64 s[36:37], s[36:37], exec
	ds_write_b64 v9, v[68:69]
	s_or_b64 exec, exec, s[0:1]
	s_and_b64 exec, exec, s[36:37]
	s_cbranch_execnz .LBB396_196
	s_branch .LBB396_197
.LBB396_274:
	v_sub_u32_e32 v7, v97, v40
	v_readfirstlane_b32 s40, v20
	v_readfirstlane_b32 s41, v21
	s_nop 4
	global_store_byte v7, v2, s[40:41]
	s_or_b64 exec, exec, s[38:39]
	s_and_saveexec_b64 s[38:39], s[28:29]
	s_cbranch_execz .LBB396_208
.LBB396_275:
	v_sub_u32_e32 v7, v35, v40
	v_readfirstlane_b32 s40, v20
	v_readfirstlane_b32 s41, v21
	s_nop 4
	global_store_byte v7, v93, s[40:41]
	s_or_b64 exec, exec, s[38:39]
	s_and_saveexec_b64 s[38:39], s[26:27]
	s_cbranch_execz .LBB396_209
.LBB396_276:
	v_sub_u32_e32 v7, v34, v40
	v_readfirstlane_b32 s40, v20
	v_readfirstlane_b32 s41, v21
	s_nop 4
	global_store_byte v7, v92, s[40:41]
	s_or_b64 exec, exec, s[38:39]
	s_and_saveexec_b64 s[38:39], s[24:25]
	s_cbranch_execz .LBB396_210
.LBB396_277:
	v_sub_u32_e32 v7, v33, v40
	v_readfirstlane_b32 s40, v20
	v_readfirstlane_b32 s41, v21
	s_nop 4
	global_store_byte v7, v90, s[40:41]
	s_or_b64 exec, exec, s[38:39]
	s_and_saveexec_b64 s[38:39], s[22:23]
	s_cbranch_execz .LBB396_211
.LBB396_278:
	v_sub_u32_e32 v7, v32, v40
	v_readfirstlane_b32 s40, v20
	v_readfirstlane_b32 s41, v21
	s_nop 4
	global_store_byte v7, v3, s[40:41]
	s_or_b64 exec, exec, s[38:39]
	s_and_saveexec_b64 s[38:39], s[20:21]
	s_cbranch_execz .LBB396_212
.LBB396_279:
	v_sub_u32_e32 v7, v31, v40
	v_readfirstlane_b32 s40, v20
	v_readfirstlane_b32 s41, v21
	s_nop 4
	global_store_byte v7, v88, s[40:41]
	s_or_b64 exec, exec, s[38:39]
	s_and_saveexec_b64 s[38:39], s[18:19]
	s_cbranch_execz .LBB396_213
.LBB396_280:
	v_sub_u32_e32 v7, v30, v40
	v_readfirstlane_b32 s40, v20
	v_readfirstlane_b32 s41, v21
	s_nop 4
	global_store_byte v7, v86, s[40:41]
	s_or_b64 exec, exec, s[38:39]
	s_and_saveexec_b64 s[38:39], s[16:17]
	s_cbranch_execz .LBB396_214
.LBB396_281:
	v_sub_u32_e32 v7, v29, v40
	v_readfirstlane_b32 s40, v20
	v_readfirstlane_b32 s41, v21
	s_nop 4
	global_store_byte v7, v84, s[40:41]
	s_or_b64 exec, exec, s[38:39]
	s_and_saveexec_b64 s[38:39], s[14:15]
	s_cbranch_execz .LBB396_215
.LBB396_282:
	v_sub_u32_e32 v7, v28, v40
	v_readfirstlane_b32 s40, v20
	v_readfirstlane_b32 s41, v21
	s_nop 4
	global_store_byte v7, v4, s[40:41]
	s_or_b64 exec, exec, s[38:39]
	s_and_saveexec_b64 s[38:39], s[12:13]
	s_cbranch_execz .LBB396_216
.LBB396_283:
	v_sub_u32_e32 v7, v27, v40
	v_readfirstlane_b32 s40, v20
	v_readfirstlane_b32 s41, v21
	s_nop 4
	global_store_byte v7, v82, s[40:41]
	s_or_b64 exec, exec, s[38:39]
	s_and_saveexec_b64 s[38:39], s[10:11]
	s_cbranch_execz .LBB396_217
.LBB396_284:
	v_sub_u32_e32 v7, v26, v40
	v_readfirstlane_b32 s40, v20
	v_readfirstlane_b32 s41, v21
	s_nop 4
	global_store_byte v7, v81, s[40:41]
	s_or_b64 exec, exec, s[38:39]
	s_and_saveexec_b64 s[38:39], s[8:9]
	s_cbranch_execz .LBB396_218
.LBB396_285:
	v_sub_u32_e32 v7, v25, v40
	v_readfirstlane_b32 s40, v20
	v_readfirstlane_b32 s41, v21
	s_nop 4
	global_store_byte v7, v79, s[40:41]
	s_or_b64 exec, exec, s[38:39]
	s_and_saveexec_b64 s[38:39], s[6:7]
	s_cbranch_execz .LBB396_219
.LBB396_286:
	v_sub_u32_e32 v7, v24, v40
	v_readfirstlane_b32 s40, v20
	v_readfirstlane_b32 s41, v21
	s_nop 4
	global_store_byte v7, v73, s[40:41]
	s_or_b64 exec, exec, s[38:39]
	s_and_saveexec_b64 s[38:39], s[4:5]
	s_cbranch_execnz .LBB396_220
	s_branch .LBB396_221
.LBB396_287:
	v_sub_u32_e32 v6, v97, v40
	ds_write_b8 v6, v2
	s_or_b64 exec, exec, s[38:39]
	s_and_saveexec_b64 s[30:31], s[28:29]
	s_cbranch_execz .LBB396_225
.LBB396_288:
	v_sub_u32_e32 v2, v35, v40
	ds_write_b8 v2, v93
	s_or_b64 exec, exec, s[30:31]
	s_and_saveexec_b64 s[28:29], s[26:27]
	s_cbranch_execz .LBB396_226
.LBB396_289:
	v_sub_u32_e32 v2, v34, v40
	ds_write_b8 v2, v92
	s_or_b64 exec, exec, s[28:29]
	s_and_saveexec_b64 s[26:27], s[24:25]
	s_cbranch_execz .LBB396_227
.LBB396_290:
	v_sub_u32_e32 v2, v33, v40
	ds_write_b8 v2, v90
	s_or_b64 exec, exec, s[26:27]
	s_and_saveexec_b64 s[24:25], s[22:23]
	s_cbranch_execz .LBB396_228
.LBB396_291:
	v_sub_u32_e32 v2, v32, v40
	ds_write_b8 v2, v3
	s_or_b64 exec, exec, s[24:25]
	s_and_saveexec_b64 s[22:23], s[20:21]
	s_cbranch_execz .LBB396_229
.LBB396_292:
	v_sub_u32_e32 v2, v31, v40
	ds_write_b8 v2, v88
	s_or_b64 exec, exec, s[22:23]
	s_and_saveexec_b64 s[20:21], s[18:19]
	s_cbranch_execz .LBB396_230
.LBB396_293:
	v_sub_u32_e32 v2, v30, v40
	ds_write_b8 v2, v86
	s_or_b64 exec, exec, s[20:21]
	s_and_saveexec_b64 s[18:19], s[16:17]
	s_cbranch_execz .LBB396_231
.LBB396_294:
	v_sub_u32_e32 v2, v29, v40
	ds_write_b8 v2, v84
	s_or_b64 exec, exec, s[18:19]
	s_and_saveexec_b64 s[16:17], s[14:15]
	s_cbranch_execz .LBB396_232
.LBB396_295:
	v_sub_u32_e32 v2, v28, v40
	ds_write_b8 v2, v4
	s_or_b64 exec, exec, s[16:17]
	s_and_saveexec_b64 s[14:15], s[12:13]
	s_cbranch_execz .LBB396_233
.LBB396_296:
	v_sub_u32_e32 v2, v27, v40
	ds_write_b8 v2, v82
	s_or_b64 exec, exec, s[14:15]
	s_and_saveexec_b64 s[12:13], s[10:11]
	s_cbranch_execz .LBB396_234
.LBB396_297:
	v_sub_u32_e32 v2, v26, v40
	ds_write_b8 v2, v81
	s_or_b64 exec, exec, s[12:13]
	s_and_saveexec_b64 s[10:11], s[8:9]
	s_cbranch_execz .LBB396_235
.LBB396_298:
	v_sub_u32_e32 v2, v25, v40
	ds_write_b8 v2, v79
	s_or_b64 exec, exec, s[10:11]
	s_and_saveexec_b64 s[8:9], s[6:7]
	s_cbranch_execz .LBB396_236
.LBB396_299:
	v_sub_u32_e32 v2, v24, v40
	ds_write_b8 v2, v73
	s_or_b64 exec, exec, s[8:9]
	s_and_saveexec_b64 s[6:7], s[4:5]
	s_cbranch_execnz .LBB396_237
	s_branch .LBB396_238
.LBB396_300:
	v_sub_u32_e32 v10, v97, v8
	v_mov_b32_e32 v11, 0
	v_lshlrev_b64 v[10:11], 3, v[10:11]
	v_add_co_u32_e32 v10, vcc, v6, v10
	v_addc_co_u32_e32 v11, vcc, v7, v11, vcc
	global_store_dwordx2 v[10:11], v[66:67], off
	s_or_b64 exec, exec, s[36:37]
	s_and_saveexec_b64 s[36:37], s[26:27]
	s_cbranch_execz .LBB396_242
.LBB396_301:
	v_sub_u32_e32 v10, v35, v8
	v_mov_b32_e32 v11, 0
	v_lshlrev_b64 v[10:11], 3, v[10:11]
	v_add_co_u32_e32 v10, vcc, v6, v10
	v_addc_co_u32_e32 v11, vcc, v7, v11, vcc
	global_store_dwordx2 v[10:11], v[42:43], off
	s_or_b64 exec, exec, s[36:37]
	s_and_saveexec_b64 s[36:37], s[24:25]
	s_cbranch_execz .LBB396_243
.LBB396_302:
	v_sub_u32_e32 v10, v34, v8
	v_mov_b32_e32 v11, 0
	v_lshlrev_b64 v[10:11], 3, v[10:11]
	v_add_co_u32_e32 v10, vcc, v6, v10
	v_addc_co_u32_e32 v11, vcc, v7, v11, vcc
	global_store_dwordx2 v[10:11], v[44:45], off
	s_or_b64 exec, exec, s[36:37]
	s_and_saveexec_b64 s[36:37], s[22:23]
	s_cbranch_execz .LBB396_244
.LBB396_303:
	v_sub_u32_e32 v10, v33, v8
	v_mov_b32_e32 v11, 0
	v_lshlrev_b64 v[10:11], 3, v[10:11]
	v_add_co_u32_e32 v10, vcc, v6, v10
	v_addc_co_u32_e32 v11, vcc, v7, v11, vcc
	global_store_dwordx2 v[10:11], v[46:47], off
	s_or_b64 exec, exec, s[36:37]
	s_and_saveexec_b64 s[36:37], s[20:21]
	s_cbranch_execz .LBB396_245
.LBB396_304:
	v_sub_u32_e32 v10, v32, v8
	v_mov_b32_e32 v11, 0
	v_lshlrev_b64 v[10:11], 3, v[10:11]
	v_add_co_u32_e32 v10, vcc, v6, v10
	v_addc_co_u32_e32 v11, vcc, v7, v11, vcc
	global_store_dwordx2 v[10:11], v[48:49], off
	s_or_b64 exec, exec, s[36:37]
	s_and_saveexec_b64 s[36:37], s[18:19]
	s_cbranch_execz .LBB396_246
.LBB396_305:
	v_sub_u32_e32 v10, v31, v8
	v_mov_b32_e32 v11, 0
	v_lshlrev_b64 v[10:11], 3, v[10:11]
	v_add_co_u32_e32 v10, vcc, v6, v10
	v_addc_co_u32_e32 v11, vcc, v7, v11, vcc
	global_store_dwordx2 v[10:11], v[50:51], off
	s_or_b64 exec, exec, s[36:37]
	s_and_saveexec_b64 s[36:37], s[16:17]
	s_cbranch_execz .LBB396_247
.LBB396_306:
	v_sub_u32_e32 v10, v30, v8
	v_mov_b32_e32 v11, 0
	v_lshlrev_b64 v[10:11], 3, v[10:11]
	v_add_co_u32_e32 v10, vcc, v6, v10
	v_addc_co_u32_e32 v11, vcc, v7, v11, vcc
	global_store_dwordx2 v[10:11], v[52:53], off
	s_or_b64 exec, exec, s[36:37]
	s_and_saveexec_b64 s[36:37], s[14:15]
	s_cbranch_execz .LBB396_248
.LBB396_307:
	v_sub_u32_e32 v10, v29, v8
	v_mov_b32_e32 v11, 0
	v_lshlrev_b64 v[10:11], 3, v[10:11]
	v_add_co_u32_e32 v10, vcc, v6, v10
	v_addc_co_u32_e32 v11, vcc, v7, v11, vcc
	global_store_dwordx2 v[10:11], v[54:55], off
	s_or_b64 exec, exec, s[36:37]
	s_and_saveexec_b64 s[36:37], s[12:13]
	s_cbranch_execz .LBB396_249
.LBB396_308:
	v_sub_u32_e32 v10, v28, v8
	v_mov_b32_e32 v11, 0
	v_lshlrev_b64 v[10:11], 3, v[10:11]
	v_add_co_u32_e32 v10, vcc, v6, v10
	v_addc_co_u32_e32 v11, vcc, v7, v11, vcc
	global_store_dwordx2 v[10:11], v[56:57], off
	s_or_b64 exec, exec, s[36:37]
	s_and_saveexec_b64 s[36:37], s[10:11]
	s_cbranch_execz .LBB396_250
.LBB396_309:
	v_sub_u32_e32 v10, v27, v8
	v_mov_b32_e32 v11, 0
	v_lshlrev_b64 v[10:11], 3, v[10:11]
	v_add_co_u32_e32 v10, vcc, v6, v10
	v_addc_co_u32_e32 v11, vcc, v7, v11, vcc
	global_store_dwordx2 v[10:11], v[58:59], off
	s_or_b64 exec, exec, s[36:37]
	s_and_saveexec_b64 s[36:37], s[8:9]
	s_cbranch_execz .LBB396_251
.LBB396_310:
	v_sub_u32_e32 v10, v26, v8
	v_mov_b32_e32 v11, 0
	v_lshlrev_b64 v[10:11], 3, v[10:11]
	v_add_co_u32_e32 v10, vcc, v6, v10
	v_addc_co_u32_e32 v11, vcc, v7, v11, vcc
	global_store_dwordx2 v[10:11], v[60:61], off
	s_or_b64 exec, exec, s[36:37]
	s_and_saveexec_b64 s[36:37], s[6:7]
	s_cbranch_execz .LBB396_252
.LBB396_311:
	v_sub_u32_e32 v10, v25, v8
	v_mov_b32_e32 v11, 0
	v_lshlrev_b64 v[10:11], 3, v[10:11]
	v_add_co_u32_e32 v10, vcc, v6, v10
	v_addc_co_u32_e32 v11, vcc, v7, v11, vcc
	global_store_dwordx2 v[10:11], v[62:63], off
	s_or_b64 exec, exec, s[36:37]
	s_and_saveexec_b64 s[36:37], s[4:5]
	s_cbranch_execz .LBB396_253
.LBB396_312:
	v_sub_u32_e32 v10, v24, v8
	v_mov_b32_e32 v11, 0
	v_lshlrev_b64 v[10:11], 3, v[10:11]
	v_add_co_u32_e32 v10, vcc, v6, v10
	v_addc_co_u32_e32 v11, vcc, v7, v11, vcc
	global_store_dwordx2 v[10:11], v[64:65], off
	s_or_b64 exec, exec, s[36:37]
	s_and_saveexec_b64 s[36:37], s[2:3]
	s_cbranch_execnz .LBB396_254
	s_branch .LBB396_255
.LBB396_313:
	v_sub_u32_e32 v9, v97, v8
	v_lshlrev_b32_e32 v9, 3, v9
	ds_write_b64 v9, v[66:67]
	s_or_b64 exec, exec, s[36:37]
	s_and_saveexec_b64 s[28:29], s[26:27]
	s_cbranch_execz .LBB396_259
.LBB396_314:
	v_sub_u32_e32 v9, v35, v8
	v_lshlrev_b32_e32 v9, 3, v9
	ds_write_b64 v9, v[42:43]
	s_or_b64 exec, exec, s[28:29]
	s_and_saveexec_b64 s[26:27], s[24:25]
	s_cbranch_execz .LBB396_260
.LBB396_315:
	v_sub_u32_e32 v9, v34, v8
	v_lshlrev_b32_e32 v9, 3, v9
	ds_write_b64 v9, v[44:45]
	s_or_b64 exec, exec, s[26:27]
	s_and_saveexec_b64 s[24:25], s[22:23]
	s_cbranch_execz .LBB396_261
.LBB396_316:
	v_sub_u32_e32 v9, v33, v8
	v_lshlrev_b32_e32 v9, 3, v9
	ds_write_b64 v9, v[46:47]
	s_or_b64 exec, exec, s[24:25]
	s_and_saveexec_b64 s[22:23], s[20:21]
	s_cbranch_execz .LBB396_262
.LBB396_317:
	v_sub_u32_e32 v9, v32, v8
	v_lshlrev_b32_e32 v9, 3, v9
	ds_write_b64 v9, v[48:49]
	s_or_b64 exec, exec, s[22:23]
	s_and_saveexec_b64 s[20:21], s[18:19]
	s_cbranch_execz .LBB396_263
.LBB396_318:
	v_sub_u32_e32 v9, v31, v8
	v_lshlrev_b32_e32 v9, 3, v9
	ds_write_b64 v9, v[50:51]
	s_or_b64 exec, exec, s[20:21]
	s_and_saveexec_b64 s[18:19], s[16:17]
	s_cbranch_execz .LBB396_264
.LBB396_319:
	v_sub_u32_e32 v9, v30, v8
	v_lshlrev_b32_e32 v9, 3, v9
	ds_write_b64 v9, v[52:53]
	s_or_b64 exec, exec, s[18:19]
	s_and_saveexec_b64 s[16:17], s[14:15]
	s_cbranch_execz .LBB396_265
.LBB396_320:
	v_sub_u32_e32 v9, v29, v8
	v_lshlrev_b32_e32 v9, 3, v9
	ds_write_b64 v9, v[54:55]
	s_or_b64 exec, exec, s[16:17]
	s_and_saveexec_b64 s[14:15], s[12:13]
	s_cbranch_execz .LBB396_266
.LBB396_321:
	v_sub_u32_e32 v9, v28, v8
	v_lshlrev_b32_e32 v9, 3, v9
	ds_write_b64 v9, v[56:57]
	s_or_b64 exec, exec, s[14:15]
	s_and_saveexec_b64 s[12:13], s[10:11]
	s_cbranch_execz .LBB396_267
.LBB396_322:
	v_sub_u32_e32 v9, v27, v8
	v_lshlrev_b32_e32 v9, 3, v9
	ds_write_b64 v9, v[58:59]
	s_or_b64 exec, exec, s[12:13]
	s_and_saveexec_b64 s[10:11], s[8:9]
	s_cbranch_execz .LBB396_268
.LBB396_323:
	v_sub_u32_e32 v9, v26, v8
	v_lshlrev_b32_e32 v9, 3, v9
	ds_write_b64 v9, v[60:61]
	s_or_b64 exec, exec, s[10:11]
	s_and_saveexec_b64 s[8:9], s[6:7]
	s_cbranch_execz .LBB396_269
.LBB396_324:
	v_sub_u32_e32 v9, v25, v8
	v_lshlrev_b32_e32 v9, 3, v9
	ds_write_b64 v9, v[62:63]
	s_or_b64 exec, exec, s[8:9]
	s_and_saveexec_b64 s[6:7], s[4:5]
	s_cbranch_execz .LBB396_270
.LBB396_325:
	v_sub_u32_e32 v9, v24, v8
	v_lshlrev_b32_e32 v9, 3, v9
	ds_write_b64 v9, v[64:65]
	s_or_b64 exec, exec, s[6:7]
	s_and_saveexec_b64 s[4:5], s[2:3]
	s_cbranch_execnz .LBB396_271
	s_branch .LBB396_272
	.section	.rodata,"a",@progbits
	.p2align	6, 0x0
	.amdhsa_kernel _ZN7rocprim17ROCPRIM_400000_NS6detail17trampoline_kernelINS0_14default_configENS1_29reduce_by_key_config_selectorIhlN6thrust23THRUST_200600_302600_NS4plusIlEEEEZZNS1_33reduce_by_key_impl_wrapped_configILNS1_25lookback_scan_determinismE0ES3_S9_PhNS6_17constant_iteratorIiNS6_11use_defaultESE_EENS6_10device_ptrIhEENSG_IlEEPmS8_NS6_8equal_toIhEEEE10hipError_tPvRmT2_T3_mT4_T5_T6_T7_T8_P12ihipStream_tbENKUlT_T0_E_clISt17integral_constantIbLb0EES12_IbLb1EEEEDaSY_SZ_EUlSY_E_NS1_11comp_targetILNS1_3genE4ELNS1_11target_archE910ELNS1_3gpuE8ELNS1_3repE0EEENS1_30default_config_static_selectorELNS0_4arch9wavefront6targetE1EEEvT1_
		.amdhsa_group_segment_fixed_size 30720
		.amdhsa_private_segment_fixed_size 0
		.amdhsa_kernarg_size 144
		.amdhsa_user_sgpr_count 6
		.amdhsa_user_sgpr_private_segment_buffer 1
		.amdhsa_user_sgpr_dispatch_ptr 0
		.amdhsa_user_sgpr_queue_ptr 0
		.amdhsa_user_sgpr_kernarg_segment_ptr 1
		.amdhsa_user_sgpr_dispatch_id 0
		.amdhsa_user_sgpr_flat_scratch_init 0
		.amdhsa_user_sgpr_kernarg_preload_length 0
		.amdhsa_user_sgpr_kernarg_preload_offset 0
		.amdhsa_user_sgpr_private_segment_size 0
		.amdhsa_uses_dynamic_stack 0
		.amdhsa_system_sgpr_private_segment_wavefront_offset 0
		.amdhsa_system_sgpr_workgroup_id_x 1
		.amdhsa_system_sgpr_workgroup_id_y 0
		.amdhsa_system_sgpr_workgroup_id_z 0
		.amdhsa_system_sgpr_workgroup_info 0
		.amdhsa_system_vgpr_workitem_id 0
		.amdhsa_next_free_vgpr 133
		.amdhsa_next_free_sgpr 65
		.amdhsa_accum_offset 136
		.amdhsa_reserve_vcc 1
		.amdhsa_reserve_flat_scratch 0
		.amdhsa_float_round_mode_32 0
		.amdhsa_float_round_mode_16_64 0
		.amdhsa_float_denorm_mode_32 3
		.amdhsa_float_denorm_mode_16_64 3
		.amdhsa_dx10_clamp 1
		.amdhsa_ieee_mode 1
		.amdhsa_fp16_overflow 0
		.amdhsa_tg_split 0
		.amdhsa_exception_fp_ieee_invalid_op 0
		.amdhsa_exception_fp_denorm_src 0
		.amdhsa_exception_fp_ieee_div_zero 0
		.amdhsa_exception_fp_ieee_overflow 0
		.amdhsa_exception_fp_ieee_underflow 0
		.amdhsa_exception_fp_ieee_inexact 0
		.amdhsa_exception_int_div_zero 0
	.end_amdhsa_kernel
	.section	.text._ZN7rocprim17ROCPRIM_400000_NS6detail17trampoline_kernelINS0_14default_configENS1_29reduce_by_key_config_selectorIhlN6thrust23THRUST_200600_302600_NS4plusIlEEEEZZNS1_33reduce_by_key_impl_wrapped_configILNS1_25lookback_scan_determinismE0ES3_S9_PhNS6_17constant_iteratorIiNS6_11use_defaultESE_EENS6_10device_ptrIhEENSG_IlEEPmS8_NS6_8equal_toIhEEEE10hipError_tPvRmT2_T3_mT4_T5_T6_T7_T8_P12ihipStream_tbENKUlT_T0_E_clISt17integral_constantIbLb0EES12_IbLb1EEEEDaSY_SZ_EUlSY_E_NS1_11comp_targetILNS1_3genE4ELNS1_11target_archE910ELNS1_3gpuE8ELNS1_3repE0EEENS1_30default_config_static_selectorELNS0_4arch9wavefront6targetE1EEEvT1_,"axG",@progbits,_ZN7rocprim17ROCPRIM_400000_NS6detail17trampoline_kernelINS0_14default_configENS1_29reduce_by_key_config_selectorIhlN6thrust23THRUST_200600_302600_NS4plusIlEEEEZZNS1_33reduce_by_key_impl_wrapped_configILNS1_25lookback_scan_determinismE0ES3_S9_PhNS6_17constant_iteratorIiNS6_11use_defaultESE_EENS6_10device_ptrIhEENSG_IlEEPmS8_NS6_8equal_toIhEEEE10hipError_tPvRmT2_T3_mT4_T5_T6_T7_T8_P12ihipStream_tbENKUlT_T0_E_clISt17integral_constantIbLb0EES12_IbLb1EEEEDaSY_SZ_EUlSY_E_NS1_11comp_targetILNS1_3genE4ELNS1_11target_archE910ELNS1_3gpuE8ELNS1_3repE0EEENS1_30default_config_static_selectorELNS0_4arch9wavefront6targetE1EEEvT1_,comdat
.Lfunc_end396:
	.size	_ZN7rocprim17ROCPRIM_400000_NS6detail17trampoline_kernelINS0_14default_configENS1_29reduce_by_key_config_selectorIhlN6thrust23THRUST_200600_302600_NS4plusIlEEEEZZNS1_33reduce_by_key_impl_wrapped_configILNS1_25lookback_scan_determinismE0ES3_S9_PhNS6_17constant_iteratorIiNS6_11use_defaultESE_EENS6_10device_ptrIhEENSG_IlEEPmS8_NS6_8equal_toIhEEEE10hipError_tPvRmT2_T3_mT4_T5_T6_T7_T8_P12ihipStream_tbENKUlT_T0_E_clISt17integral_constantIbLb0EES12_IbLb1EEEEDaSY_SZ_EUlSY_E_NS1_11comp_targetILNS1_3genE4ELNS1_11target_archE910ELNS1_3gpuE8ELNS1_3repE0EEENS1_30default_config_static_selectorELNS0_4arch9wavefront6targetE1EEEvT1_, .Lfunc_end396-_ZN7rocprim17ROCPRIM_400000_NS6detail17trampoline_kernelINS0_14default_configENS1_29reduce_by_key_config_selectorIhlN6thrust23THRUST_200600_302600_NS4plusIlEEEEZZNS1_33reduce_by_key_impl_wrapped_configILNS1_25lookback_scan_determinismE0ES3_S9_PhNS6_17constant_iteratorIiNS6_11use_defaultESE_EENS6_10device_ptrIhEENSG_IlEEPmS8_NS6_8equal_toIhEEEE10hipError_tPvRmT2_T3_mT4_T5_T6_T7_T8_P12ihipStream_tbENKUlT_T0_E_clISt17integral_constantIbLb0EES12_IbLb1EEEEDaSY_SZ_EUlSY_E_NS1_11comp_targetILNS1_3genE4ELNS1_11target_archE910ELNS1_3gpuE8ELNS1_3repE0EEENS1_30default_config_static_selectorELNS0_4arch9wavefront6targetE1EEEvT1_
                                        ; -- End function
	.section	.AMDGPU.csdata,"",@progbits
; Kernel info:
; codeLenInByte = 16784
; NumSgprs: 69
; NumVgprs: 133
; NumAgprs: 0
; TotalNumVgprs: 133
; ScratchSize: 0
; MemoryBound: 0
; FloatMode: 240
; IeeeMode: 1
; LDSByteSize: 30720 bytes/workgroup (compile time only)
; SGPRBlocks: 8
; VGPRBlocks: 16
; NumSGPRsForWavesPerEU: 69
; NumVGPRsForWavesPerEU: 133
; AccumOffset: 136
; Occupancy: 2
; WaveLimiterHint : 1
; COMPUTE_PGM_RSRC2:SCRATCH_EN: 0
; COMPUTE_PGM_RSRC2:USER_SGPR: 6
; COMPUTE_PGM_RSRC2:TRAP_HANDLER: 0
; COMPUTE_PGM_RSRC2:TGID_X_EN: 1
; COMPUTE_PGM_RSRC2:TGID_Y_EN: 0
; COMPUTE_PGM_RSRC2:TGID_Z_EN: 0
; COMPUTE_PGM_RSRC2:TIDIG_COMP_CNT: 0
; COMPUTE_PGM_RSRC3_GFX90A:ACCUM_OFFSET: 33
; COMPUTE_PGM_RSRC3_GFX90A:TG_SPLIT: 0
	.section	.text._ZN7rocprim17ROCPRIM_400000_NS6detail17trampoline_kernelINS0_14default_configENS1_29reduce_by_key_config_selectorIhlN6thrust23THRUST_200600_302600_NS4plusIlEEEEZZNS1_33reduce_by_key_impl_wrapped_configILNS1_25lookback_scan_determinismE0ES3_S9_PhNS6_17constant_iteratorIiNS6_11use_defaultESE_EENS6_10device_ptrIhEENSG_IlEEPmS8_NS6_8equal_toIhEEEE10hipError_tPvRmT2_T3_mT4_T5_T6_T7_T8_P12ihipStream_tbENKUlT_T0_E_clISt17integral_constantIbLb0EES12_IbLb1EEEEDaSY_SZ_EUlSY_E_NS1_11comp_targetILNS1_3genE3ELNS1_11target_archE908ELNS1_3gpuE7ELNS1_3repE0EEENS1_30default_config_static_selectorELNS0_4arch9wavefront6targetE1EEEvT1_,"axG",@progbits,_ZN7rocprim17ROCPRIM_400000_NS6detail17trampoline_kernelINS0_14default_configENS1_29reduce_by_key_config_selectorIhlN6thrust23THRUST_200600_302600_NS4plusIlEEEEZZNS1_33reduce_by_key_impl_wrapped_configILNS1_25lookback_scan_determinismE0ES3_S9_PhNS6_17constant_iteratorIiNS6_11use_defaultESE_EENS6_10device_ptrIhEENSG_IlEEPmS8_NS6_8equal_toIhEEEE10hipError_tPvRmT2_T3_mT4_T5_T6_T7_T8_P12ihipStream_tbENKUlT_T0_E_clISt17integral_constantIbLb0EES12_IbLb1EEEEDaSY_SZ_EUlSY_E_NS1_11comp_targetILNS1_3genE3ELNS1_11target_archE908ELNS1_3gpuE7ELNS1_3repE0EEENS1_30default_config_static_selectorELNS0_4arch9wavefront6targetE1EEEvT1_,comdat
	.protected	_ZN7rocprim17ROCPRIM_400000_NS6detail17trampoline_kernelINS0_14default_configENS1_29reduce_by_key_config_selectorIhlN6thrust23THRUST_200600_302600_NS4plusIlEEEEZZNS1_33reduce_by_key_impl_wrapped_configILNS1_25lookback_scan_determinismE0ES3_S9_PhNS6_17constant_iteratorIiNS6_11use_defaultESE_EENS6_10device_ptrIhEENSG_IlEEPmS8_NS6_8equal_toIhEEEE10hipError_tPvRmT2_T3_mT4_T5_T6_T7_T8_P12ihipStream_tbENKUlT_T0_E_clISt17integral_constantIbLb0EES12_IbLb1EEEEDaSY_SZ_EUlSY_E_NS1_11comp_targetILNS1_3genE3ELNS1_11target_archE908ELNS1_3gpuE7ELNS1_3repE0EEENS1_30default_config_static_selectorELNS0_4arch9wavefront6targetE1EEEvT1_ ; -- Begin function _ZN7rocprim17ROCPRIM_400000_NS6detail17trampoline_kernelINS0_14default_configENS1_29reduce_by_key_config_selectorIhlN6thrust23THRUST_200600_302600_NS4plusIlEEEEZZNS1_33reduce_by_key_impl_wrapped_configILNS1_25lookback_scan_determinismE0ES3_S9_PhNS6_17constant_iteratorIiNS6_11use_defaultESE_EENS6_10device_ptrIhEENSG_IlEEPmS8_NS6_8equal_toIhEEEE10hipError_tPvRmT2_T3_mT4_T5_T6_T7_T8_P12ihipStream_tbENKUlT_T0_E_clISt17integral_constantIbLb0EES12_IbLb1EEEEDaSY_SZ_EUlSY_E_NS1_11comp_targetILNS1_3genE3ELNS1_11target_archE908ELNS1_3gpuE7ELNS1_3repE0EEENS1_30default_config_static_selectorELNS0_4arch9wavefront6targetE1EEEvT1_
	.globl	_ZN7rocprim17ROCPRIM_400000_NS6detail17trampoline_kernelINS0_14default_configENS1_29reduce_by_key_config_selectorIhlN6thrust23THRUST_200600_302600_NS4plusIlEEEEZZNS1_33reduce_by_key_impl_wrapped_configILNS1_25lookback_scan_determinismE0ES3_S9_PhNS6_17constant_iteratorIiNS6_11use_defaultESE_EENS6_10device_ptrIhEENSG_IlEEPmS8_NS6_8equal_toIhEEEE10hipError_tPvRmT2_T3_mT4_T5_T6_T7_T8_P12ihipStream_tbENKUlT_T0_E_clISt17integral_constantIbLb0EES12_IbLb1EEEEDaSY_SZ_EUlSY_E_NS1_11comp_targetILNS1_3genE3ELNS1_11target_archE908ELNS1_3gpuE7ELNS1_3repE0EEENS1_30default_config_static_selectorELNS0_4arch9wavefront6targetE1EEEvT1_
	.p2align	8
	.type	_ZN7rocprim17ROCPRIM_400000_NS6detail17trampoline_kernelINS0_14default_configENS1_29reduce_by_key_config_selectorIhlN6thrust23THRUST_200600_302600_NS4plusIlEEEEZZNS1_33reduce_by_key_impl_wrapped_configILNS1_25lookback_scan_determinismE0ES3_S9_PhNS6_17constant_iteratorIiNS6_11use_defaultESE_EENS6_10device_ptrIhEENSG_IlEEPmS8_NS6_8equal_toIhEEEE10hipError_tPvRmT2_T3_mT4_T5_T6_T7_T8_P12ihipStream_tbENKUlT_T0_E_clISt17integral_constantIbLb0EES12_IbLb1EEEEDaSY_SZ_EUlSY_E_NS1_11comp_targetILNS1_3genE3ELNS1_11target_archE908ELNS1_3gpuE7ELNS1_3repE0EEENS1_30default_config_static_selectorELNS0_4arch9wavefront6targetE1EEEvT1_,@function
_ZN7rocprim17ROCPRIM_400000_NS6detail17trampoline_kernelINS0_14default_configENS1_29reduce_by_key_config_selectorIhlN6thrust23THRUST_200600_302600_NS4plusIlEEEEZZNS1_33reduce_by_key_impl_wrapped_configILNS1_25lookback_scan_determinismE0ES3_S9_PhNS6_17constant_iteratorIiNS6_11use_defaultESE_EENS6_10device_ptrIhEENSG_IlEEPmS8_NS6_8equal_toIhEEEE10hipError_tPvRmT2_T3_mT4_T5_T6_T7_T8_P12ihipStream_tbENKUlT_T0_E_clISt17integral_constantIbLb0EES12_IbLb1EEEEDaSY_SZ_EUlSY_E_NS1_11comp_targetILNS1_3genE3ELNS1_11target_archE908ELNS1_3gpuE7ELNS1_3repE0EEENS1_30default_config_static_selectorELNS0_4arch9wavefront6targetE1EEEvT1_: ; @_ZN7rocprim17ROCPRIM_400000_NS6detail17trampoline_kernelINS0_14default_configENS1_29reduce_by_key_config_selectorIhlN6thrust23THRUST_200600_302600_NS4plusIlEEEEZZNS1_33reduce_by_key_impl_wrapped_configILNS1_25lookback_scan_determinismE0ES3_S9_PhNS6_17constant_iteratorIiNS6_11use_defaultESE_EENS6_10device_ptrIhEENSG_IlEEPmS8_NS6_8equal_toIhEEEE10hipError_tPvRmT2_T3_mT4_T5_T6_T7_T8_P12ihipStream_tbENKUlT_T0_E_clISt17integral_constantIbLb0EES12_IbLb1EEEEDaSY_SZ_EUlSY_E_NS1_11comp_targetILNS1_3genE3ELNS1_11target_archE908ELNS1_3gpuE7ELNS1_3repE0EEENS1_30default_config_static_selectorELNS0_4arch9wavefront6targetE1EEEvT1_
; %bb.0:
	.section	.rodata,"a",@progbits
	.p2align	6, 0x0
	.amdhsa_kernel _ZN7rocprim17ROCPRIM_400000_NS6detail17trampoline_kernelINS0_14default_configENS1_29reduce_by_key_config_selectorIhlN6thrust23THRUST_200600_302600_NS4plusIlEEEEZZNS1_33reduce_by_key_impl_wrapped_configILNS1_25lookback_scan_determinismE0ES3_S9_PhNS6_17constant_iteratorIiNS6_11use_defaultESE_EENS6_10device_ptrIhEENSG_IlEEPmS8_NS6_8equal_toIhEEEE10hipError_tPvRmT2_T3_mT4_T5_T6_T7_T8_P12ihipStream_tbENKUlT_T0_E_clISt17integral_constantIbLb0EES12_IbLb1EEEEDaSY_SZ_EUlSY_E_NS1_11comp_targetILNS1_3genE3ELNS1_11target_archE908ELNS1_3gpuE7ELNS1_3repE0EEENS1_30default_config_static_selectorELNS0_4arch9wavefront6targetE1EEEvT1_
		.amdhsa_group_segment_fixed_size 0
		.amdhsa_private_segment_fixed_size 0
		.amdhsa_kernarg_size 144
		.amdhsa_user_sgpr_count 6
		.amdhsa_user_sgpr_private_segment_buffer 1
		.amdhsa_user_sgpr_dispatch_ptr 0
		.amdhsa_user_sgpr_queue_ptr 0
		.amdhsa_user_sgpr_kernarg_segment_ptr 1
		.amdhsa_user_sgpr_dispatch_id 0
		.amdhsa_user_sgpr_flat_scratch_init 0
		.amdhsa_user_sgpr_kernarg_preload_length 0
		.amdhsa_user_sgpr_kernarg_preload_offset 0
		.amdhsa_user_sgpr_private_segment_size 0
		.amdhsa_uses_dynamic_stack 0
		.amdhsa_system_sgpr_private_segment_wavefront_offset 0
		.amdhsa_system_sgpr_workgroup_id_x 1
		.amdhsa_system_sgpr_workgroup_id_y 0
		.amdhsa_system_sgpr_workgroup_id_z 0
		.amdhsa_system_sgpr_workgroup_info 0
		.amdhsa_system_vgpr_workitem_id 0
		.amdhsa_next_free_vgpr 1
		.amdhsa_next_free_sgpr 0
		.amdhsa_accum_offset 4
		.amdhsa_reserve_vcc 0
		.amdhsa_reserve_flat_scratch 0
		.amdhsa_float_round_mode_32 0
		.amdhsa_float_round_mode_16_64 0
		.amdhsa_float_denorm_mode_32 3
		.amdhsa_float_denorm_mode_16_64 3
		.amdhsa_dx10_clamp 1
		.amdhsa_ieee_mode 1
		.amdhsa_fp16_overflow 0
		.amdhsa_tg_split 0
		.amdhsa_exception_fp_ieee_invalid_op 0
		.amdhsa_exception_fp_denorm_src 0
		.amdhsa_exception_fp_ieee_div_zero 0
		.amdhsa_exception_fp_ieee_overflow 0
		.amdhsa_exception_fp_ieee_underflow 0
		.amdhsa_exception_fp_ieee_inexact 0
		.amdhsa_exception_int_div_zero 0
	.end_amdhsa_kernel
	.section	.text._ZN7rocprim17ROCPRIM_400000_NS6detail17trampoline_kernelINS0_14default_configENS1_29reduce_by_key_config_selectorIhlN6thrust23THRUST_200600_302600_NS4plusIlEEEEZZNS1_33reduce_by_key_impl_wrapped_configILNS1_25lookback_scan_determinismE0ES3_S9_PhNS6_17constant_iteratorIiNS6_11use_defaultESE_EENS6_10device_ptrIhEENSG_IlEEPmS8_NS6_8equal_toIhEEEE10hipError_tPvRmT2_T3_mT4_T5_T6_T7_T8_P12ihipStream_tbENKUlT_T0_E_clISt17integral_constantIbLb0EES12_IbLb1EEEEDaSY_SZ_EUlSY_E_NS1_11comp_targetILNS1_3genE3ELNS1_11target_archE908ELNS1_3gpuE7ELNS1_3repE0EEENS1_30default_config_static_selectorELNS0_4arch9wavefront6targetE1EEEvT1_,"axG",@progbits,_ZN7rocprim17ROCPRIM_400000_NS6detail17trampoline_kernelINS0_14default_configENS1_29reduce_by_key_config_selectorIhlN6thrust23THRUST_200600_302600_NS4plusIlEEEEZZNS1_33reduce_by_key_impl_wrapped_configILNS1_25lookback_scan_determinismE0ES3_S9_PhNS6_17constant_iteratorIiNS6_11use_defaultESE_EENS6_10device_ptrIhEENSG_IlEEPmS8_NS6_8equal_toIhEEEE10hipError_tPvRmT2_T3_mT4_T5_T6_T7_T8_P12ihipStream_tbENKUlT_T0_E_clISt17integral_constantIbLb0EES12_IbLb1EEEEDaSY_SZ_EUlSY_E_NS1_11comp_targetILNS1_3genE3ELNS1_11target_archE908ELNS1_3gpuE7ELNS1_3repE0EEENS1_30default_config_static_selectorELNS0_4arch9wavefront6targetE1EEEvT1_,comdat
.Lfunc_end397:
	.size	_ZN7rocprim17ROCPRIM_400000_NS6detail17trampoline_kernelINS0_14default_configENS1_29reduce_by_key_config_selectorIhlN6thrust23THRUST_200600_302600_NS4plusIlEEEEZZNS1_33reduce_by_key_impl_wrapped_configILNS1_25lookback_scan_determinismE0ES3_S9_PhNS6_17constant_iteratorIiNS6_11use_defaultESE_EENS6_10device_ptrIhEENSG_IlEEPmS8_NS6_8equal_toIhEEEE10hipError_tPvRmT2_T3_mT4_T5_T6_T7_T8_P12ihipStream_tbENKUlT_T0_E_clISt17integral_constantIbLb0EES12_IbLb1EEEEDaSY_SZ_EUlSY_E_NS1_11comp_targetILNS1_3genE3ELNS1_11target_archE908ELNS1_3gpuE7ELNS1_3repE0EEENS1_30default_config_static_selectorELNS0_4arch9wavefront6targetE1EEEvT1_, .Lfunc_end397-_ZN7rocprim17ROCPRIM_400000_NS6detail17trampoline_kernelINS0_14default_configENS1_29reduce_by_key_config_selectorIhlN6thrust23THRUST_200600_302600_NS4plusIlEEEEZZNS1_33reduce_by_key_impl_wrapped_configILNS1_25lookback_scan_determinismE0ES3_S9_PhNS6_17constant_iteratorIiNS6_11use_defaultESE_EENS6_10device_ptrIhEENSG_IlEEPmS8_NS6_8equal_toIhEEEE10hipError_tPvRmT2_T3_mT4_T5_T6_T7_T8_P12ihipStream_tbENKUlT_T0_E_clISt17integral_constantIbLb0EES12_IbLb1EEEEDaSY_SZ_EUlSY_E_NS1_11comp_targetILNS1_3genE3ELNS1_11target_archE908ELNS1_3gpuE7ELNS1_3repE0EEENS1_30default_config_static_selectorELNS0_4arch9wavefront6targetE1EEEvT1_
                                        ; -- End function
	.section	.AMDGPU.csdata,"",@progbits
; Kernel info:
; codeLenInByte = 0
; NumSgprs: 4
; NumVgprs: 0
; NumAgprs: 0
; TotalNumVgprs: 0
; ScratchSize: 0
; MemoryBound: 0
; FloatMode: 240
; IeeeMode: 1
; LDSByteSize: 0 bytes/workgroup (compile time only)
; SGPRBlocks: 0
; VGPRBlocks: 0
; NumSGPRsForWavesPerEU: 4
; NumVGPRsForWavesPerEU: 1
; AccumOffset: 4
; Occupancy: 8
; WaveLimiterHint : 0
; COMPUTE_PGM_RSRC2:SCRATCH_EN: 0
; COMPUTE_PGM_RSRC2:USER_SGPR: 6
; COMPUTE_PGM_RSRC2:TRAP_HANDLER: 0
; COMPUTE_PGM_RSRC2:TGID_X_EN: 1
; COMPUTE_PGM_RSRC2:TGID_Y_EN: 0
; COMPUTE_PGM_RSRC2:TGID_Z_EN: 0
; COMPUTE_PGM_RSRC2:TIDIG_COMP_CNT: 0
; COMPUTE_PGM_RSRC3_GFX90A:ACCUM_OFFSET: 0
; COMPUTE_PGM_RSRC3_GFX90A:TG_SPLIT: 0
	.section	.text._ZN7rocprim17ROCPRIM_400000_NS6detail17trampoline_kernelINS0_14default_configENS1_29reduce_by_key_config_selectorIhlN6thrust23THRUST_200600_302600_NS4plusIlEEEEZZNS1_33reduce_by_key_impl_wrapped_configILNS1_25lookback_scan_determinismE0ES3_S9_PhNS6_17constant_iteratorIiNS6_11use_defaultESE_EENS6_10device_ptrIhEENSG_IlEEPmS8_NS6_8equal_toIhEEEE10hipError_tPvRmT2_T3_mT4_T5_T6_T7_T8_P12ihipStream_tbENKUlT_T0_E_clISt17integral_constantIbLb0EES12_IbLb1EEEEDaSY_SZ_EUlSY_E_NS1_11comp_targetILNS1_3genE2ELNS1_11target_archE906ELNS1_3gpuE6ELNS1_3repE0EEENS1_30default_config_static_selectorELNS0_4arch9wavefront6targetE1EEEvT1_,"axG",@progbits,_ZN7rocprim17ROCPRIM_400000_NS6detail17trampoline_kernelINS0_14default_configENS1_29reduce_by_key_config_selectorIhlN6thrust23THRUST_200600_302600_NS4plusIlEEEEZZNS1_33reduce_by_key_impl_wrapped_configILNS1_25lookback_scan_determinismE0ES3_S9_PhNS6_17constant_iteratorIiNS6_11use_defaultESE_EENS6_10device_ptrIhEENSG_IlEEPmS8_NS6_8equal_toIhEEEE10hipError_tPvRmT2_T3_mT4_T5_T6_T7_T8_P12ihipStream_tbENKUlT_T0_E_clISt17integral_constantIbLb0EES12_IbLb1EEEEDaSY_SZ_EUlSY_E_NS1_11comp_targetILNS1_3genE2ELNS1_11target_archE906ELNS1_3gpuE6ELNS1_3repE0EEENS1_30default_config_static_selectorELNS0_4arch9wavefront6targetE1EEEvT1_,comdat
	.protected	_ZN7rocprim17ROCPRIM_400000_NS6detail17trampoline_kernelINS0_14default_configENS1_29reduce_by_key_config_selectorIhlN6thrust23THRUST_200600_302600_NS4plusIlEEEEZZNS1_33reduce_by_key_impl_wrapped_configILNS1_25lookback_scan_determinismE0ES3_S9_PhNS6_17constant_iteratorIiNS6_11use_defaultESE_EENS6_10device_ptrIhEENSG_IlEEPmS8_NS6_8equal_toIhEEEE10hipError_tPvRmT2_T3_mT4_T5_T6_T7_T8_P12ihipStream_tbENKUlT_T0_E_clISt17integral_constantIbLb0EES12_IbLb1EEEEDaSY_SZ_EUlSY_E_NS1_11comp_targetILNS1_3genE2ELNS1_11target_archE906ELNS1_3gpuE6ELNS1_3repE0EEENS1_30default_config_static_selectorELNS0_4arch9wavefront6targetE1EEEvT1_ ; -- Begin function _ZN7rocprim17ROCPRIM_400000_NS6detail17trampoline_kernelINS0_14default_configENS1_29reduce_by_key_config_selectorIhlN6thrust23THRUST_200600_302600_NS4plusIlEEEEZZNS1_33reduce_by_key_impl_wrapped_configILNS1_25lookback_scan_determinismE0ES3_S9_PhNS6_17constant_iteratorIiNS6_11use_defaultESE_EENS6_10device_ptrIhEENSG_IlEEPmS8_NS6_8equal_toIhEEEE10hipError_tPvRmT2_T3_mT4_T5_T6_T7_T8_P12ihipStream_tbENKUlT_T0_E_clISt17integral_constantIbLb0EES12_IbLb1EEEEDaSY_SZ_EUlSY_E_NS1_11comp_targetILNS1_3genE2ELNS1_11target_archE906ELNS1_3gpuE6ELNS1_3repE0EEENS1_30default_config_static_selectorELNS0_4arch9wavefront6targetE1EEEvT1_
	.globl	_ZN7rocprim17ROCPRIM_400000_NS6detail17trampoline_kernelINS0_14default_configENS1_29reduce_by_key_config_selectorIhlN6thrust23THRUST_200600_302600_NS4plusIlEEEEZZNS1_33reduce_by_key_impl_wrapped_configILNS1_25lookback_scan_determinismE0ES3_S9_PhNS6_17constant_iteratorIiNS6_11use_defaultESE_EENS6_10device_ptrIhEENSG_IlEEPmS8_NS6_8equal_toIhEEEE10hipError_tPvRmT2_T3_mT4_T5_T6_T7_T8_P12ihipStream_tbENKUlT_T0_E_clISt17integral_constantIbLb0EES12_IbLb1EEEEDaSY_SZ_EUlSY_E_NS1_11comp_targetILNS1_3genE2ELNS1_11target_archE906ELNS1_3gpuE6ELNS1_3repE0EEENS1_30default_config_static_selectorELNS0_4arch9wavefront6targetE1EEEvT1_
	.p2align	8
	.type	_ZN7rocprim17ROCPRIM_400000_NS6detail17trampoline_kernelINS0_14default_configENS1_29reduce_by_key_config_selectorIhlN6thrust23THRUST_200600_302600_NS4plusIlEEEEZZNS1_33reduce_by_key_impl_wrapped_configILNS1_25lookback_scan_determinismE0ES3_S9_PhNS6_17constant_iteratorIiNS6_11use_defaultESE_EENS6_10device_ptrIhEENSG_IlEEPmS8_NS6_8equal_toIhEEEE10hipError_tPvRmT2_T3_mT4_T5_T6_T7_T8_P12ihipStream_tbENKUlT_T0_E_clISt17integral_constantIbLb0EES12_IbLb1EEEEDaSY_SZ_EUlSY_E_NS1_11comp_targetILNS1_3genE2ELNS1_11target_archE906ELNS1_3gpuE6ELNS1_3repE0EEENS1_30default_config_static_selectorELNS0_4arch9wavefront6targetE1EEEvT1_,@function
_ZN7rocprim17ROCPRIM_400000_NS6detail17trampoline_kernelINS0_14default_configENS1_29reduce_by_key_config_selectorIhlN6thrust23THRUST_200600_302600_NS4plusIlEEEEZZNS1_33reduce_by_key_impl_wrapped_configILNS1_25lookback_scan_determinismE0ES3_S9_PhNS6_17constant_iteratorIiNS6_11use_defaultESE_EENS6_10device_ptrIhEENSG_IlEEPmS8_NS6_8equal_toIhEEEE10hipError_tPvRmT2_T3_mT4_T5_T6_T7_T8_P12ihipStream_tbENKUlT_T0_E_clISt17integral_constantIbLb0EES12_IbLb1EEEEDaSY_SZ_EUlSY_E_NS1_11comp_targetILNS1_3genE2ELNS1_11target_archE906ELNS1_3gpuE6ELNS1_3repE0EEENS1_30default_config_static_selectorELNS0_4arch9wavefront6targetE1EEEvT1_: ; @_ZN7rocprim17ROCPRIM_400000_NS6detail17trampoline_kernelINS0_14default_configENS1_29reduce_by_key_config_selectorIhlN6thrust23THRUST_200600_302600_NS4plusIlEEEEZZNS1_33reduce_by_key_impl_wrapped_configILNS1_25lookback_scan_determinismE0ES3_S9_PhNS6_17constant_iteratorIiNS6_11use_defaultESE_EENS6_10device_ptrIhEENSG_IlEEPmS8_NS6_8equal_toIhEEEE10hipError_tPvRmT2_T3_mT4_T5_T6_T7_T8_P12ihipStream_tbENKUlT_T0_E_clISt17integral_constantIbLb0EES12_IbLb1EEEEDaSY_SZ_EUlSY_E_NS1_11comp_targetILNS1_3genE2ELNS1_11target_archE906ELNS1_3gpuE6ELNS1_3repE0EEENS1_30default_config_static_selectorELNS0_4arch9wavefront6targetE1EEEvT1_
; %bb.0:
	.section	.rodata,"a",@progbits
	.p2align	6, 0x0
	.amdhsa_kernel _ZN7rocprim17ROCPRIM_400000_NS6detail17trampoline_kernelINS0_14default_configENS1_29reduce_by_key_config_selectorIhlN6thrust23THRUST_200600_302600_NS4plusIlEEEEZZNS1_33reduce_by_key_impl_wrapped_configILNS1_25lookback_scan_determinismE0ES3_S9_PhNS6_17constant_iteratorIiNS6_11use_defaultESE_EENS6_10device_ptrIhEENSG_IlEEPmS8_NS6_8equal_toIhEEEE10hipError_tPvRmT2_T3_mT4_T5_T6_T7_T8_P12ihipStream_tbENKUlT_T0_E_clISt17integral_constantIbLb0EES12_IbLb1EEEEDaSY_SZ_EUlSY_E_NS1_11comp_targetILNS1_3genE2ELNS1_11target_archE906ELNS1_3gpuE6ELNS1_3repE0EEENS1_30default_config_static_selectorELNS0_4arch9wavefront6targetE1EEEvT1_
		.amdhsa_group_segment_fixed_size 0
		.amdhsa_private_segment_fixed_size 0
		.amdhsa_kernarg_size 144
		.amdhsa_user_sgpr_count 6
		.amdhsa_user_sgpr_private_segment_buffer 1
		.amdhsa_user_sgpr_dispatch_ptr 0
		.amdhsa_user_sgpr_queue_ptr 0
		.amdhsa_user_sgpr_kernarg_segment_ptr 1
		.amdhsa_user_sgpr_dispatch_id 0
		.amdhsa_user_sgpr_flat_scratch_init 0
		.amdhsa_user_sgpr_kernarg_preload_length 0
		.amdhsa_user_sgpr_kernarg_preload_offset 0
		.amdhsa_user_sgpr_private_segment_size 0
		.amdhsa_uses_dynamic_stack 0
		.amdhsa_system_sgpr_private_segment_wavefront_offset 0
		.amdhsa_system_sgpr_workgroup_id_x 1
		.amdhsa_system_sgpr_workgroup_id_y 0
		.amdhsa_system_sgpr_workgroup_id_z 0
		.amdhsa_system_sgpr_workgroup_info 0
		.amdhsa_system_vgpr_workitem_id 0
		.amdhsa_next_free_vgpr 1
		.amdhsa_next_free_sgpr 0
		.amdhsa_accum_offset 4
		.amdhsa_reserve_vcc 0
		.amdhsa_reserve_flat_scratch 0
		.amdhsa_float_round_mode_32 0
		.amdhsa_float_round_mode_16_64 0
		.amdhsa_float_denorm_mode_32 3
		.amdhsa_float_denorm_mode_16_64 3
		.amdhsa_dx10_clamp 1
		.amdhsa_ieee_mode 1
		.amdhsa_fp16_overflow 0
		.amdhsa_tg_split 0
		.amdhsa_exception_fp_ieee_invalid_op 0
		.amdhsa_exception_fp_denorm_src 0
		.amdhsa_exception_fp_ieee_div_zero 0
		.amdhsa_exception_fp_ieee_overflow 0
		.amdhsa_exception_fp_ieee_underflow 0
		.amdhsa_exception_fp_ieee_inexact 0
		.amdhsa_exception_int_div_zero 0
	.end_amdhsa_kernel
	.section	.text._ZN7rocprim17ROCPRIM_400000_NS6detail17trampoline_kernelINS0_14default_configENS1_29reduce_by_key_config_selectorIhlN6thrust23THRUST_200600_302600_NS4plusIlEEEEZZNS1_33reduce_by_key_impl_wrapped_configILNS1_25lookback_scan_determinismE0ES3_S9_PhNS6_17constant_iteratorIiNS6_11use_defaultESE_EENS6_10device_ptrIhEENSG_IlEEPmS8_NS6_8equal_toIhEEEE10hipError_tPvRmT2_T3_mT4_T5_T6_T7_T8_P12ihipStream_tbENKUlT_T0_E_clISt17integral_constantIbLb0EES12_IbLb1EEEEDaSY_SZ_EUlSY_E_NS1_11comp_targetILNS1_3genE2ELNS1_11target_archE906ELNS1_3gpuE6ELNS1_3repE0EEENS1_30default_config_static_selectorELNS0_4arch9wavefront6targetE1EEEvT1_,"axG",@progbits,_ZN7rocprim17ROCPRIM_400000_NS6detail17trampoline_kernelINS0_14default_configENS1_29reduce_by_key_config_selectorIhlN6thrust23THRUST_200600_302600_NS4plusIlEEEEZZNS1_33reduce_by_key_impl_wrapped_configILNS1_25lookback_scan_determinismE0ES3_S9_PhNS6_17constant_iteratorIiNS6_11use_defaultESE_EENS6_10device_ptrIhEENSG_IlEEPmS8_NS6_8equal_toIhEEEE10hipError_tPvRmT2_T3_mT4_T5_T6_T7_T8_P12ihipStream_tbENKUlT_T0_E_clISt17integral_constantIbLb0EES12_IbLb1EEEEDaSY_SZ_EUlSY_E_NS1_11comp_targetILNS1_3genE2ELNS1_11target_archE906ELNS1_3gpuE6ELNS1_3repE0EEENS1_30default_config_static_selectorELNS0_4arch9wavefront6targetE1EEEvT1_,comdat
.Lfunc_end398:
	.size	_ZN7rocprim17ROCPRIM_400000_NS6detail17trampoline_kernelINS0_14default_configENS1_29reduce_by_key_config_selectorIhlN6thrust23THRUST_200600_302600_NS4plusIlEEEEZZNS1_33reduce_by_key_impl_wrapped_configILNS1_25lookback_scan_determinismE0ES3_S9_PhNS6_17constant_iteratorIiNS6_11use_defaultESE_EENS6_10device_ptrIhEENSG_IlEEPmS8_NS6_8equal_toIhEEEE10hipError_tPvRmT2_T3_mT4_T5_T6_T7_T8_P12ihipStream_tbENKUlT_T0_E_clISt17integral_constantIbLb0EES12_IbLb1EEEEDaSY_SZ_EUlSY_E_NS1_11comp_targetILNS1_3genE2ELNS1_11target_archE906ELNS1_3gpuE6ELNS1_3repE0EEENS1_30default_config_static_selectorELNS0_4arch9wavefront6targetE1EEEvT1_, .Lfunc_end398-_ZN7rocprim17ROCPRIM_400000_NS6detail17trampoline_kernelINS0_14default_configENS1_29reduce_by_key_config_selectorIhlN6thrust23THRUST_200600_302600_NS4plusIlEEEEZZNS1_33reduce_by_key_impl_wrapped_configILNS1_25lookback_scan_determinismE0ES3_S9_PhNS6_17constant_iteratorIiNS6_11use_defaultESE_EENS6_10device_ptrIhEENSG_IlEEPmS8_NS6_8equal_toIhEEEE10hipError_tPvRmT2_T3_mT4_T5_T6_T7_T8_P12ihipStream_tbENKUlT_T0_E_clISt17integral_constantIbLb0EES12_IbLb1EEEEDaSY_SZ_EUlSY_E_NS1_11comp_targetILNS1_3genE2ELNS1_11target_archE906ELNS1_3gpuE6ELNS1_3repE0EEENS1_30default_config_static_selectorELNS0_4arch9wavefront6targetE1EEEvT1_
                                        ; -- End function
	.section	.AMDGPU.csdata,"",@progbits
; Kernel info:
; codeLenInByte = 0
; NumSgprs: 4
; NumVgprs: 0
; NumAgprs: 0
; TotalNumVgprs: 0
; ScratchSize: 0
; MemoryBound: 0
; FloatMode: 240
; IeeeMode: 1
; LDSByteSize: 0 bytes/workgroup (compile time only)
; SGPRBlocks: 0
; VGPRBlocks: 0
; NumSGPRsForWavesPerEU: 4
; NumVGPRsForWavesPerEU: 1
; AccumOffset: 4
; Occupancy: 8
; WaveLimiterHint : 0
; COMPUTE_PGM_RSRC2:SCRATCH_EN: 0
; COMPUTE_PGM_RSRC2:USER_SGPR: 6
; COMPUTE_PGM_RSRC2:TRAP_HANDLER: 0
; COMPUTE_PGM_RSRC2:TGID_X_EN: 1
; COMPUTE_PGM_RSRC2:TGID_Y_EN: 0
; COMPUTE_PGM_RSRC2:TGID_Z_EN: 0
; COMPUTE_PGM_RSRC2:TIDIG_COMP_CNT: 0
; COMPUTE_PGM_RSRC3_GFX90A:ACCUM_OFFSET: 0
; COMPUTE_PGM_RSRC3_GFX90A:TG_SPLIT: 0
	.section	.text._ZN7rocprim17ROCPRIM_400000_NS6detail17trampoline_kernelINS0_14default_configENS1_29reduce_by_key_config_selectorIhlN6thrust23THRUST_200600_302600_NS4plusIlEEEEZZNS1_33reduce_by_key_impl_wrapped_configILNS1_25lookback_scan_determinismE0ES3_S9_PhNS6_17constant_iteratorIiNS6_11use_defaultESE_EENS6_10device_ptrIhEENSG_IlEEPmS8_NS6_8equal_toIhEEEE10hipError_tPvRmT2_T3_mT4_T5_T6_T7_T8_P12ihipStream_tbENKUlT_T0_E_clISt17integral_constantIbLb0EES12_IbLb1EEEEDaSY_SZ_EUlSY_E_NS1_11comp_targetILNS1_3genE10ELNS1_11target_archE1201ELNS1_3gpuE5ELNS1_3repE0EEENS1_30default_config_static_selectorELNS0_4arch9wavefront6targetE1EEEvT1_,"axG",@progbits,_ZN7rocprim17ROCPRIM_400000_NS6detail17trampoline_kernelINS0_14default_configENS1_29reduce_by_key_config_selectorIhlN6thrust23THRUST_200600_302600_NS4plusIlEEEEZZNS1_33reduce_by_key_impl_wrapped_configILNS1_25lookback_scan_determinismE0ES3_S9_PhNS6_17constant_iteratorIiNS6_11use_defaultESE_EENS6_10device_ptrIhEENSG_IlEEPmS8_NS6_8equal_toIhEEEE10hipError_tPvRmT2_T3_mT4_T5_T6_T7_T8_P12ihipStream_tbENKUlT_T0_E_clISt17integral_constantIbLb0EES12_IbLb1EEEEDaSY_SZ_EUlSY_E_NS1_11comp_targetILNS1_3genE10ELNS1_11target_archE1201ELNS1_3gpuE5ELNS1_3repE0EEENS1_30default_config_static_selectorELNS0_4arch9wavefront6targetE1EEEvT1_,comdat
	.protected	_ZN7rocprim17ROCPRIM_400000_NS6detail17trampoline_kernelINS0_14default_configENS1_29reduce_by_key_config_selectorIhlN6thrust23THRUST_200600_302600_NS4plusIlEEEEZZNS1_33reduce_by_key_impl_wrapped_configILNS1_25lookback_scan_determinismE0ES3_S9_PhNS6_17constant_iteratorIiNS6_11use_defaultESE_EENS6_10device_ptrIhEENSG_IlEEPmS8_NS6_8equal_toIhEEEE10hipError_tPvRmT2_T3_mT4_T5_T6_T7_T8_P12ihipStream_tbENKUlT_T0_E_clISt17integral_constantIbLb0EES12_IbLb1EEEEDaSY_SZ_EUlSY_E_NS1_11comp_targetILNS1_3genE10ELNS1_11target_archE1201ELNS1_3gpuE5ELNS1_3repE0EEENS1_30default_config_static_selectorELNS0_4arch9wavefront6targetE1EEEvT1_ ; -- Begin function _ZN7rocprim17ROCPRIM_400000_NS6detail17trampoline_kernelINS0_14default_configENS1_29reduce_by_key_config_selectorIhlN6thrust23THRUST_200600_302600_NS4plusIlEEEEZZNS1_33reduce_by_key_impl_wrapped_configILNS1_25lookback_scan_determinismE0ES3_S9_PhNS6_17constant_iteratorIiNS6_11use_defaultESE_EENS6_10device_ptrIhEENSG_IlEEPmS8_NS6_8equal_toIhEEEE10hipError_tPvRmT2_T3_mT4_T5_T6_T7_T8_P12ihipStream_tbENKUlT_T0_E_clISt17integral_constantIbLb0EES12_IbLb1EEEEDaSY_SZ_EUlSY_E_NS1_11comp_targetILNS1_3genE10ELNS1_11target_archE1201ELNS1_3gpuE5ELNS1_3repE0EEENS1_30default_config_static_selectorELNS0_4arch9wavefront6targetE1EEEvT1_
	.globl	_ZN7rocprim17ROCPRIM_400000_NS6detail17trampoline_kernelINS0_14default_configENS1_29reduce_by_key_config_selectorIhlN6thrust23THRUST_200600_302600_NS4plusIlEEEEZZNS1_33reduce_by_key_impl_wrapped_configILNS1_25lookback_scan_determinismE0ES3_S9_PhNS6_17constant_iteratorIiNS6_11use_defaultESE_EENS6_10device_ptrIhEENSG_IlEEPmS8_NS6_8equal_toIhEEEE10hipError_tPvRmT2_T3_mT4_T5_T6_T7_T8_P12ihipStream_tbENKUlT_T0_E_clISt17integral_constantIbLb0EES12_IbLb1EEEEDaSY_SZ_EUlSY_E_NS1_11comp_targetILNS1_3genE10ELNS1_11target_archE1201ELNS1_3gpuE5ELNS1_3repE0EEENS1_30default_config_static_selectorELNS0_4arch9wavefront6targetE1EEEvT1_
	.p2align	8
	.type	_ZN7rocprim17ROCPRIM_400000_NS6detail17trampoline_kernelINS0_14default_configENS1_29reduce_by_key_config_selectorIhlN6thrust23THRUST_200600_302600_NS4plusIlEEEEZZNS1_33reduce_by_key_impl_wrapped_configILNS1_25lookback_scan_determinismE0ES3_S9_PhNS6_17constant_iteratorIiNS6_11use_defaultESE_EENS6_10device_ptrIhEENSG_IlEEPmS8_NS6_8equal_toIhEEEE10hipError_tPvRmT2_T3_mT4_T5_T6_T7_T8_P12ihipStream_tbENKUlT_T0_E_clISt17integral_constantIbLb0EES12_IbLb1EEEEDaSY_SZ_EUlSY_E_NS1_11comp_targetILNS1_3genE10ELNS1_11target_archE1201ELNS1_3gpuE5ELNS1_3repE0EEENS1_30default_config_static_selectorELNS0_4arch9wavefront6targetE1EEEvT1_,@function
_ZN7rocprim17ROCPRIM_400000_NS6detail17trampoline_kernelINS0_14default_configENS1_29reduce_by_key_config_selectorIhlN6thrust23THRUST_200600_302600_NS4plusIlEEEEZZNS1_33reduce_by_key_impl_wrapped_configILNS1_25lookback_scan_determinismE0ES3_S9_PhNS6_17constant_iteratorIiNS6_11use_defaultESE_EENS6_10device_ptrIhEENSG_IlEEPmS8_NS6_8equal_toIhEEEE10hipError_tPvRmT2_T3_mT4_T5_T6_T7_T8_P12ihipStream_tbENKUlT_T0_E_clISt17integral_constantIbLb0EES12_IbLb1EEEEDaSY_SZ_EUlSY_E_NS1_11comp_targetILNS1_3genE10ELNS1_11target_archE1201ELNS1_3gpuE5ELNS1_3repE0EEENS1_30default_config_static_selectorELNS0_4arch9wavefront6targetE1EEEvT1_: ; @_ZN7rocprim17ROCPRIM_400000_NS6detail17trampoline_kernelINS0_14default_configENS1_29reduce_by_key_config_selectorIhlN6thrust23THRUST_200600_302600_NS4plusIlEEEEZZNS1_33reduce_by_key_impl_wrapped_configILNS1_25lookback_scan_determinismE0ES3_S9_PhNS6_17constant_iteratorIiNS6_11use_defaultESE_EENS6_10device_ptrIhEENSG_IlEEPmS8_NS6_8equal_toIhEEEE10hipError_tPvRmT2_T3_mT4_T5_T6_T7_T8_P12ihipStream_tbENKUlT_T0_E_clISt17integral_constantIbLb0EES12_IbLb1EEEEDaSY_SZ_EUlSY_E_NS1_11comp_targetILNS1_3genE10ELNS1_11target_archE1201ELNS1_3gpuE5ELNS1_3repE0EEENS1_30default_config_static_selectorELNS0_4arch9wavefront6targetE1EEEvT1_
; %bb.0:
	.section	.rodata,"a",@progbits
	.p2align	6, 0x0
	.amdhsa_kernel _ZN7rocprim17ROCPRIM_400000_NS6detail17trampoline_kernelINS0_14default_configENS1_29reduce_by_key_config_selectorIhlN6thrust23THRUST_200600_302600_NS4plusIlEEEEZZNS1_33reduce_by_key_impl_wrapped_configILNS1_25lookback_scan_determinismE0ES3_S9_PhNS6_17constant_iteratorIiNS6_11use_defaultESE_EENS6_10device_ptrIhEENSG_IlEEPmS8_NS6_8equal_toIhEEEE10hipError_tPvRmT2_T3_mT4_T5_T6_T7_T8_P12ihipStream_tbENKUlT_T0_E_clISt17integral_constantIbLb0EES12_IbLb1EEEEDaSY_SZ_EUlSY_E_NS1_11comp_targetILNS1_3genE10ELNS1_11target_archE1201ELNS1_3gpuE5ELNS1_3repE0EEENS1_30default_config_static_selectorELNS0_4arch9wavefront6targetE1EEEvT1_
		.amdhsa_group_segment_fixed_size 0
		.amdhsa_private_segment_fixed_size 0
		.amdhsa_kernarg_size 144
		.amdhsa_user_sgpr_count 6
		.amdhsa_user_sgpr_private_segment_buffer 1
		.amdhsa_user_sgpr_dispatch_ptr 0
		.amdhsa_user_sgpr_queue_ptr 0
		.amdhsa_user_sgpr_kernarg_segment_ptr 1
		.amdhsa_user_sgpr_dispatch_id 0
		.amdhsa_user_sgpr_flat_scratch_init 0
		.amdhsa_user_sgpr_kernarg_preload_length 0
		.amdhsa_user_sgpr_kernarg_preload_offset 0
		.amdhsa_user_sgpr_private_segment_size 0
		.amdhsa_uses_dynamic_stack 0
		.amdhsa_system_sgpr_private_segment_wavefront_offset 0
		.amdhsa_system_sgpr_workgroup_id_x 1
		.amdhsa_system_sgpr_workgroup_id_y 0
		.amdhsa_system_sgpr_workgroup_id_z 0
		.amdhsa_system_sgpr_workgroup_info 0
		.amdhsa_system_vgpr_workitem_id 0
		.amdhsa_next_free_vgpr 1
		.amdhsa_next_free_sgpr 0
		.amdhsa_accum_offset 4
		.amdhsa_reserve_vcc 0
		.amdhsa_reserve_flat_scratch 0
		.amdhsa_float_round_mode_32 0
		.amdhsa_float_round_mode_16_64 0
		.amdhsa_float_denorm_mode_32 3
		.amdhsa_float_denorm_mode_16_64 3
		.amdhsa_dx10_clamp 1
		.amdhsa_ieee_mode 1
		.amdhsa_fp16_overflow 0
		.amdhsa_tg_split 0
		.amdhsa_exception_fp_ieee_invalid_op 0
		.amdhsa_exception_fp_denorm_src 0
		.amdhsa_exception_fp_ieee_div_zero 0
		.amdhsa_exception_fp_ieee_overflow 0
		.amdhsa_exception_fp_ieee_underflow 0
		.amdhsa_exception_fp_ieee_inexact 0
		.amdhsa_exception_int_div_zero 0
	.end_amdhsa_kernel
	.section	.text._ZN7rocprim17ROCPRIM_400000_NS6detail17trampoline_kernelINS0_14default_configENS1_29reduce_by_key_config_selectorIhlN6thrust23THRUST_200600_302600_NS4plusIlEEEEZZNS1_33reduce_by_key_impl_wrapped_configILNS1_25lookback_scan_determinismE0ES3_S9_PhNS6_17constant_iteratorIiNS6_11use_defaultESE_EENS6_10device_ptrIhEENSG_IlEEPmS8_NS6_8equal_toIhEEEE10hipError_tPvRmT2_T3_mT4_T5_T6_T7_T8_P12ihipStream_tbENKUlT_T0_E_clISt17integral_constantIbLb0EES12_IbLb1EEEEDaSY_SZ_EUlSY_E_NS1_11comp_targetILNS1_3genE10ELNS1_11target_archE1201ELNS1_3gpuE5ELNS1_3repE0EEENS1_30default_config_static_selectorELNS0_4arch9wavefront6targetE1EEEvT1_,"axG",@progbits,_ZN7rocprim17ROCPRIM_400000_NS6detail17trampoline_kernelINS0_14default_configENS1_29reduce_by_key_config_selectorIhlN6thrust23THRUST_200600_302600_NS4plusIlEEEEZZNS1_33reduce_by_key_impl_wrapped_configILNS1_25lookback_scan_determinismE0ES3_S9_PhNS6_17constant_iteratorIiNS6_11use_defaultESE_EENS6_10device_ptrIhEENSG_IlEEPmS8_NS6_8equal_toIhEEEE10hipError_tPvRmT2_T3_mT4_T5_T6_T7_T8_P12ihipStream_tbENKUlT_T0_E_clISt17integral_constantIbLb0EES12_IbLb1EEEEDaSY_SZ_EUlSY_E_NS1_11comp_targetILNS1_3genE10ELNS1_11target_archE1201ELNS1_3gpuE5ELNS1_3repE0EEENS1_30default_config_static_selectorELNS0_4arch9wavefront6targetE1EEEvT1_,comdat
.Lfunc_end399:
	.size	_ZN7rocprim17ROCPRIM_400000_NS6detail17trampoline_kernelINS0_14default_configENS1_29reduce_by_key_config_selectorIhlN6thrust23THRUST_200600_302600_NS4plusIlEEEEZZNS1_33reduce_by_key_impl_wrapped_configILNS1_25lookback_scan_determinismE0ES3_S9_PhNS6_17constant_iteratorIiNS6_11use_defaultESE_EENS6_10device_ptrIhEENSG_IlEEPmS8_NS6_8equal_toIhEEEE10hipError_tPvRmT2_T3_mT4_T5_T6_T7_T8_P12ihipStream_tbENKUlT_T0_E_clISt17integral_constantIbLb0EES12_IbLb1EEEEDaSY_SZ_EUlSY_E_NS1_11comp_targetILNS1_3genE10ELNS1_11target_archE1201ELNS1_3gpuE5ELNS1_3repE0EEENS1_30default_config_static_selectorELNS0_4arch9wavefront6targetE1EEEvT1_, .Lfunc_end399-_ZN7rocprim17ROCPRIM_400000_NS6detail17trampoline_kernelINS0_14default_configENS1_29reduce_by_key_config_selectorIhlN6thrust23THRUST_200600_302600_NS4plusIlEEEEZZNS1_33reduce_by_key_impl_wrapped_configILNS1_25lookback_scan_determinismE0ES3_S9_PhNS6_17constant_iteratorIiNS6_11use_defaultESE_EENS6_10device_ptrIhEENSG_IlEEPmS8_NS6_8equal_toIhEEEE10hipError_tPvRmT2_T3_mT4_T5_T6_T7_T8_P12ihipStream_tbENKUlT_T0_E_clISt17integral_constantIbLb0EES12_IbLb1EEEEDaSY_SZ_EUlSY_E_NS1_11comp_targetILNS1_3genE10ELNS1_11target_archE1201ELNS1_3gpuE5ELNS1_3repE0EEENS1_30default_config_static_selectorELNS0_4arch9wavefront6targetE1EEEvT1_
                                        ; -- End function
	.section	.AMDGPU.csdata,"",@progbits
; Kernel info:
; codeLenInByte = 0
; NumSgprs: 4
; NumVgprs: 0
; NumAgprs: 0
; TotalNumVgprs: 0
; ScratchSize: 0
; MemoryBound: 0
; FloatMode: 240
; IeeeMode: 1
; LDSByteSize: 0 bytes/workgroup (compile time only)
; SGPRBlocks: 0
; VGPRBlocks: 0
; NumSGPRsForWavesPerEU: 4
; NumVGPRsForWavesPerEU: 1
; AccumOffset: 4
; Occupancy: 8
; WaveLimiterHint : 0
; COMPUTE_PGM_RSRC2:SCRATCH_EN: 0
; COMPUTE_PGM_RSRC2:USER_SGPR: 6
; COMPUTE_PGM_RSRC2:TRAP_HANDLER: 0
; COMPUTE_PGM_RSRC2:TGID_X_EN: 1
; COMPUTE_PGM_RSRC2:TGID_Y_EN: 0
; COMPUTE_PGM_RSRC2:TGID_Z_EN: 0
; COMPUTE_PGM_RSRC2:TIDIG_COMP_CNT: 0
; COMPUTE_PGM_RSRC3_GFX90A:ACCUM_OFFSET: 0
; COMPUTE_PGM_RSRC3_GFX90A:TG_SPLIT: 0
	.section	.text._ZN7rocprim17ROCPRIM_400000_NS6detail17trampoline_kernelINS0_14default_configENS1_29reduce_by_key_config_selectorIhlN6thrust23THRUST_200600_302600_NS4plusIlEEEEZZNS1_33reduce_by_key_impl_wrapped_configILNS1_25lookback_scan_determinismE0ES3_S9_PhNS6_17constant_iteratorIiNS6_11use_defaultESE_EENS6_10device_ptrIhEENSG_IlEEPmS8_NS6_8equal_toIhEEEE10hipError_tPvRmT2_T3_mT4_T5_T6_T7_T8_P12ihipStream_tbENKUlT_T0_E_clISt17integral_constantIbLb0EES12_IbLb1EEEEDaSY_SZ_EUlSY_E_NS1_11comp_targetILNS1_3genE10ELNS1_11target_archE1200ELNS1_3gpuE4ELNS1_3repE0EEENS1_30default_config_static_selectorELNS0_4arch9wavefront6targetE1EEEvT1_,"axG",@progbits,_ZN7rocprim17ROCPRIM_400000_NS6detail17trampoline_kernelINS0_14default_configENS1_29reduce_by_key_config_selectorIhlN6thrust23THRUST_200600_302600_NS4plusIlEEEEZZNS1_33reduce_by_key_impl_wrapped_configILNS1_25lookback_scan_determinismE0ES3_S9_PhNS6_17constant_iteratorIiNS6_11use_defaultESE_EENS6_10device_ptrIhEENSG_IlEEPmS8_NS6_8equal_toIhEEEE10hipError_tPvRmT2_T3_mT4_T5_T6_T7_T8_P12ihipStream_tbENKUlT_T0_E_clISt17integral_constantIbLb0EES12_IbLb1EEEEDaSY_SZ_EUlSY_E_NS1_11comp_targetILNS1_3genE10ELNS1_11target_archE1200ELNS1_3gpuE4ELNS1_3repE0EEENS1_30default_config_static_selectorELNS0_4arch9wavefront6targetE1EEEvT1_,comdat
	.protected	_ZN7rocprim17ROCPRIM_400000_NS6detail17trampoline_kernelINS0_14default_configENS1_29reduce_by_key_config_selectorIhlN6thrust23THRUST_200600_302600_NS4plusIlEEEEZZNS1_33reduce_by_key_impl_wrapped_configILNS1_25lookback_scan_determinismE0ES3_S9_PhNS6_17constant_iteratorIiNS6_11use_defaultESE_EENS6_10device_ptrIhEENSG_IlEEPmS8_NS6_8equal_toIhEEEE10hipError_tPvRmT2_T3_mT4_T5_T6_T7_T8_P12ihipStream_tbENKUlT_T0_E_clISt17integral_constantIbLb0EES12_IbLb1EEEEDaSY_SZ_EUlSY_E_NS1_11comp_targetILNS1_3genE10ELNS1_11target_archE1200ELNS1_3gpuE4ELNS1_3repE0EEENS1_30default_config_static_selectorELNS0_4arch9wavefront6targetE1EEEvT1_ ; -- Begin function _ZN7rocprim17ROCPRIM_400000_NS6detail17trampoline_kernelINS0_14default_configENS1_29reduce_by_key_config_selectorIhlN6thrust23THRUST_200600_302600_NS4plusIlEEEEZZNS1_33reduce_by_key_impl_wrapped_configILNS1_25lookback_scan_determinismE0ES3_S9_PhNS6_17constant_iteratorIiNS6_11use_defaultESE_EENS6_10device_ptrIhEENSG_IlEEPmS8_NS6_8equal_toIhEEEE10hipError_tPvRmT2_T3_mT4_T5_T6_T7_T8_P12ihipStream_tbENKUlT_T0_E_clISt17integral_constantIbLb0EES12_IbLb1EEEEDaSY_SZ_EUlSY_E_NS1_11comp_targetILNS1_3genE10ELNS1_11target_archE1200ELNS1_3gpuE4ELNS1_3repE0EEENS1_30default_config_static_selectorELNS0_4arch9wavefront6targetE1EEEvT1_
	.globl	_ZN7rocprim17ROCPRIM_400000_NS6detail17trampoline_kernelINS0_14default_configENS1_29reduce_by_key_config_selectorIhlN6thrust23THRUST_200600_302600_NS4plusIlEEEEZZNS1_33reduce_by_key_impl_wrapped_configILNS1_25lookback_scan_determinismE0ES3_S9_PhNS6_17constant_iteratorIiNS6_11use_defaultESE_EENS6_10device_ptrIhEENSG_IlEEPmS8_NS6_8equal_toIhEEEE10hipError_tPvRmT2_T3_mT4_T5_T6_T7_T8_P12ihipStream_tbENKUlT_T0_E_clISt17integral_constantIbLb0EES12_IbLb1EEEEDaSY_SZ_EUlSY_E_NS1_11comp_targetILNS1_3genE10ELNS1_11target_archE1200ELNS1_3gpuE4ELNS1_3repE0EEENS1_30default_config_static_selectorELNS0_4arch9wavefront6targetE1EEEvT1_
	.p2align	8
	.type	_ZN7rocprim17ROCPRIM_400000_NS6detail17trampoline_kernelINS0_14default_configENS1_29reduce_by_key_config_selectorIhlN6thrust23THRUST_200600_302600_NS4plusIlEEEEZZNS1_33reduce_by_key_impl_wrapped_configILNS1_25lookback_scan_determinismE0ES3_S9_PhNS6_17constant_iteratorIiNS6_11use_defaultESE_EENS6_10device_ptrIhEENSG_IlEEPmS8_NS6_8equal_toIhEEEE10hipError_tPvRmT2_T3_mT4_T5_T6_T7_T8_P12ihipStream_tbENKUlT_T0_E_clISt17integral_constantIbLb0EES12_IbLb1EEEEDaSY_SZ_EUlSY_E_NS1_11comp_targetILNS1_3genE10ELNS1_11target_archE1200ELNS1_3gpuE4ELNS1_3repE0EEENS1_30default_config_static_selectorELNS0_4arch9wavefront6targetE1EEEvT1_,@function
_ZN7rocprim17ROCPRIM_400000_NS6detail17trampoline_kernelINS0_14default_configENS1_29reduce_by_key_config_selectorIhlN6thrust23THRUST_200600_302600_NS4plusIlEEEEZZNS1_33reduce_by_key_impl_wrapped_configILNS1_25lookback_scan_determinismE0ES3_S9_PhNS6_17constant_iteratorIiNS6_11use_defaultESE_EENS6_10device_ptrIhEENSG_IlEEPmS8_NS6_8equal_toIhEEEE10hipError_tPvRmT2_T3_mT4_T5_T6_T7_T8_P12ihipStream_tbENKUlT_T0_E_clISt17integral_constantIbLb0EES12_IbLb1EEEEDaSY_SZ_EUlSY_E_NS1_11comp_targetILNS1_3genE10ELNS1_11target_archE1200ELNS1_3gpuE4ELNS1_3repE0EEENS1_30default_config_static_selectorELNS0_4arch9wavefront6targetE1EEEvT1_: ; @_ZN7rocprim17ROCPRIM_400000_NS6detail17trampoline_kernelINS0_14default_configENS1_29reduce_by_key_config_selectorIhlN6thrust23THRUST_200600_302600_NS4plusIlEEEEZZNS1_33reduce_by_key_impl_wrapped_configILNS1_25lookback_scan_determinismE0ES3_S9_PhNS6_17constant_iteratorIiNS6_11use_defaultESE_EENS6_10device_ptrIhEENSG_IlEEPmS8_NS6_8equal_toIhEEEE10hipError_tPvRmT2_T3_mT4_T5_T6_T7_T8_P12ihipStream_tbENKUlT_T0_E_clISt17integral_constantIbLb0EES12_IbLb1EEEEDaSY_SZ_EUlSY_E_NS1_11comp_targetILNS1_3genE10ELNS1_11target_archE1200ELNS1_3gpuE4ELNS1_3repE0EEENS1_30default_config_static_selectorELNS0_4arch9wavefront6targetE1EEEvT1_
; %bb.0:
	.section	.rodata,"a",@progbits
	.p2align	6, 0x0
	.amdhsa_kernel _ZN7rocprim17ROCPRIM_400000_NS6detail17trampoline_kernelINS0_14default_configENS1_29reduce_by_key_config_selectorIhlN6thrust23THRUST_200600_302600_NS4plusIlEEEEZZNS1_33reduce_by_key_impl_wrapped_configILNS1_25lookback_scan_determinismE0ES3_S9_PhNS6_17constant_iteratorIiNS6_11use_defaultESE_EENS6_10device_ptrIhEENSG_IlEEPmS8_NS6_8equal_toIhEEEE10hipError_tPvRmT2_T3_mT4_T5_T6_T7_T8_P12ihipStream_tbENKUlT_T0_E_clISt17integral_constantIbLb0EES12_IbLb1EEEEDaSY_SZ_EUlSY_E_NS1_11comp_targetILNS1_3genE10ELNS1_11target_archE1200ELNS1_3gpuE4ELNS1_3repE0EEENS1_30default_config_static_selectorELNS0_4arch9wavefront6targetE1EEEvT1_
		.amdhsa_group_segment_fixed_size 0
		.amdhsa_private_segment_fixed_size 0
		.amdhsa_kernarg_size 144
		.amdhsa_user_sgpr_count 6
		.amdhsa_user_sgpr_private_segment_buffer 1
		.amdhsa_user_sgpr_dispatch_ptr 0
		.amdhsa_user_sgpr_queue_ptr 0
		.amdhsa_user_sgpr_kernarg_segment_ptr 1
		.amdhsa_user_sgpr_dispatch_id 0
		.amdhsa_user_sgpr_flat_scratch_init 0
		.amdhsa_user_sgpr_kernarg_preload_length 0
		.amdhsa_user_sgpr_kernarg_preload_offset 0
		.amdhsa_user_sgpr_private_segment_size 0
		.amdhsa_uses_dynamic_stack 0
		.amdhsa_system_sgpr_private_segment_wavefront_offset 0
		.amdhsa_system_sgpr_workgroup_id_x 1
		.amdhsa_system_sgpr_workgroup_id_y 0
		.amdhsa_system_sgpr_workgroup_id_z 0
		.amdhsa_system_sgpr_workgroup_info 0
		.amdhsa_system_vgpr_workitem_id 0
		.amdhsa_next_free_vgpr 1
		.amdhsa_next_free_sgpr 0
		.amdhsa_accum_offset 4
		.amdhsa_reserve_vcc 0
		.amdhsa_reserve_flat_scratch 0
		.amdhsa_float_round_mode_32 0
		.amdhsa_float_round_mode_16_64 0
		.amdhsa_float_denorm_mode_32 3
		.amdhsa_float_denorm_mode_16_64 3
		.amdhsa_dx10_clamp 1
		.amdhsa_ieee_mode 1
		.amdhsa_fp16_overflow 0
		.amdhsa_tg_split 0
		.amdhsa_exception_fp_ieee_invalid_op 0
		.amdhsa_exception_fp_denorm_src 0
		.amdhsa_exception_fp_ieee_div_zero 0
		.amdhsa_exception_fp_ieee_overflow 0
		.amdhsa_exception_fp_ieee_underflow 0
		.amdhsa_exception_fp_ieee_inexact 0
		.amdhsa_exception_int_div_zero 0
	.end_amdhsa_kernel
	.section	.text._ZN7rocprim17ROCPRIM_400000_NS6detail17trampoline_kernelINS0_14default_configENS1_29reduce_by_key_config_selectorIhlN6thrust23THRUST_200600_302600_NS4plusIlEEEEZZNS1_33reduce_by_key_impl_wrapped_configILNS1_25lookback_scan_determinismE0ES3_S9_PhNS6_17constant_iteratorIiNS6_11use_defaultESE_EENS6_10device_ptrIhEENSG_IlEEPmS8_NS6_8equal_toIhEEEE10hipError_tPvRmT2_T3_mT4_T5_T6_T7_T8_P12ihipStream_tbENKUlT_T0_E_clISt17integral_constantIbLb0EES12_IbLb1EEEEDaSY_SZ_EUlSY_E_NS1_11comp_targetILNS1_3genE10ELNS1_11target_archE1200ELNS1_3gpuE4ELNS1_3repE0EEENS1_30default_config_static_selectorELNS0_4arch9wavefront6targetE1EEEvT1_,"axG",@progbits,_ZN7rocprim17ROCPRIM_400000_NS6detail17trampoline_kernelINS0_14default_configENS1_29reduce_by_key_config_selectorIhlN6thrust23THRUST_200600_302600_NS4plusIlEEEEZZNS1_33reduce_by_key_impl_wrapped_configILNS1_25lookback_scan_determinismE0ES3_S9_PhNS6_17constant_iteratorIiNS6_11use_defaultESE_EENS6_10device_ptrIhEENSG_IlEEPmS8_NS6_8equal_toIhEEEE10hipError_tPvRmT2_T3_mT4_T5_T6_T7_T8_P12ihipStream_tbENKUlT_T0_E_clISt17integral_constantIbLb0EES12_IbLb1EEEEDaSY_SZ_EUlSY_E_NS1_11comp_targetILNS1_3genE10ELNS1_11target_archE1200ELNS1_3gpuE4ELNS1_3repE0EEENS1_30default_config_static_selectorELNS0_4arch9wavefront6targetE1EEEvT1_,comdat
.Lfunc_end400:
	.size	_ZN7rocprim17ROCPRIM_400000_NS6detail17trampoline_kernelINS0_14default_configENS1_29reduce_by_key_config_selectorIhlN6thrust23THRUST_200600_302600_NS4plusIlEEEEZZNS1_33reduce_by_key_impl_wrapped_configILNS1_25lookback_scan_determinismE0ES3_S9_PhNS6_17constant_iteratorIiNS6_11use_defaultESE_EENS6_10device_ptrIhEENSG_IlEEPmS8_NS6_8equal_toIhEEEE10hipError_tPvRmT2_T3_mT4_T5_T6_T7_T8_P12ihipStream_tbENKUlT_T0_E_clISt17integral_constantIbLb0EES12_IbLb1EEEEDaSY_SZ_EUlSY_E_NS1_11comp_targetILNS1_3genE10ELNS1_11target_archE1200ELNS1_3gpuE4ELNS1_3repE0EEENS1_30default_config_static_selectorELNS0_4arch9wavefront6targetE1EEEvT1_, .Lfunc_end400-_ZN7rocprim17ROCPRIM_400000_NS6detail17trampoline_kernelINS0_14default_configENS1_29reduce_by_key_config_selectorIhlN6thrust23THRUST_200600_302600_NS4plusIlEEEEZZNS1_33reduce_by_key_impl_wrapped_configILNS1_25lookback_scan_determinismE0ES3_S9_PhNS6_17constant_iteratorIiNS6_11use_defaultESE_EENS6_10device_ptrIhEENSG_IlEEPmS8_NS6_8equal_toIhEEEE10hipError_tPvRmT2_T3_mT4_T5_T6_T7_T8_P12ihipStream_tbENKUlT_T0_E_clISt17integral_constantIbLb0EES12_IbLb1EEEEDaSY_SZ_EUlSY_E_NS1_11comp_targetILNS1_3genE10ELNS1_11target_archE1200ELNS1_3gpuE4ELNS1_3repE0EEENS1_30default_config_static_selectorELNS0_4arch9wavefront6targetE1EEEvT1_
                                        ; -- End function
	.section	.AMDGPU.csdata,"",@progbits
; Kernel info:
; codeLenInByte = 0
; NumSgprs: 4
; NumVgprs: 0
; NumAgprs: 0
; TotalNumVgprs: 0
; ScratchSize: 0
; MemoryBound: 0
; FloatMode: 240
; IeeeMode: 1
; LDSByteSize: 0 bytes/workgroup (compile time only)
; SGPRBlocks: 0
; VGPRBlocks: 0
; NumSGPRsForWavesPerEU: 4
; NumVGPRsForWavesPerEU: 1
; AccumOffset: 4
; Occupancy: 8
; WaveLimiterHint : 0
; COMPUTE_PGM_RSRC2:SCRATCH_EN: 0
; COMPUTE_PGM_RSRC2:USER_SGPR: 6
; COMPUTE_PGM_RSRC2:TRAP_HANDLER: 0
; COMPUTE_PGM_RSRC2:TGID_X_EN: 1
; COMPUTE_PGM_RSRC2:TGID_Y_EN: 0
; COMPUTE_PGM_RSRC2:TGID_Z_EN: 0
; COMPUTE_PGM_RSRC2:TIDIG_COMP_CNT: 0
; COMPUTE_PGM_RSRC3_GFX90A:ACCUM_OFFSET: 0
; COMPUTE_PGM_RSRC3_GFX90A:TG_SPLIT: 0
	.section	.text._ZN7rocprim17ROCPRIM_400000_NS6detail17trampoline_kernelINS0_14default_configENS1_29reduce_by_key_config_selectorIhlN6thrust23THRUST_200600_302600_NS4plusIlEEEEZZNS1_33reduce_by_key_impl_wrapped_configILNS1_25lookback_scan_determinismE0ES3_S9_PhNS6_17constant_iteratorIiNS6_11use_defaultESE_EENS6_10device_ptrIhEENSG_IlEEPmS8_NS6_8equal_toIhEEEE10hipError_tPvRmT2_T3_mT4_T5_T6_T7_T8_P12ihipStream_tbENKUlT_T0_E_clISt17integral_constantIbLb0EES12_IbLb1EEEEDaSY_SZ_EUlSY_E_NS1_11comp_targetILNS1_3genE9ELNS1_11target_archE1100ELNS1_3gpuE3ELNS1_3repE0EEENS1_30default_config_static_selectorELNS0_4arch9wavefront6targetE1EEEvT1_,"axG",@progbits,_ZN7rocprim17ROCPRIM_400000_NS6detail17trampoline_kernelINS0_14default_configENS1_29reduce_by_key_config_selectorIhlN6thrust23THRUST_200600_302600_NS4plusIlEEEEZZNS1_33reduce_by_key_impl_wrapped_configILNS1_25lookback_scan_determinismE0ES3_S9_PhNS6_17constant_iteratorIiNS6_11use_defaultESE_EENS6_10device_ptrIhEENSG_IlEEPmS8_NS6_8equal_toIhEEEE10hipError_tPvRmT2_T3_mT4_T5_T6_T7_T8_P12ihipStream_tbENKUlT_T0_E_clISt17integral_constantIbLb0EES12_IbLb1EEEEDaSY_SZ_EUlSY_E_NS1_11comp_targetILNS1_3genE9ELNS1_11target_archE1100ELNS1_3gpuE3ELNS1_3repE0EEENS1_30default_config_static_selectorELNS0_4arch9wavefront6targetE1EEEvT1_,comdat
	.protected	_ZN7rocprim17ROCPRIM_400000_NS6detail17trampoline_kernelINS0_14default_configENS1_29reduce_by_key_config_selectorIhlN6thrust23THRUST_200600_302600_NS4plusIlEEEEZZNS1_33reduce_by_key_impl_wrapped_configILNS1_25lookback_scan_determinismE0ES3_S9_PhNS6_17constant_iteratorIiNS6_11use_defaultESE_EENS6_10device_ptrIhEENSG_IlEEPmS8_NS6_8equal_toIhEEEE10hipError_tPvRmT2_T3_mT4_T5_T6_T7_T8_P12ihipStream_tbENKUlT_T0_E_clISt17integral_constantIbLb0EES12_IbLb1EEEEDaSY_SZ_EUlSY_E_NS1_11comp_targetILNS1_3genE9ELNS1_11target_archE1100ELNS1_3gpuE3ELNS1_3repE0EEENS1_30default_config_static_selectorELNS0_4arch9wavefront6targetE1EEEvT1_ ; -- Begin function _ZN7rocprim17ROCPRIM_400000_NS6detail17trampoline_kernelINS0_14default_configENS1_29reduce_by_key_config_selectorIhlN6thrust23THRUST_200600_302600_NS4plusIlEEEEZZNS1_33reduce_by_key_impl_wrapped_configILNS1_25lookback_scan_determinismE0ES3_S9_PhNS6_17constant_iteratorIiNS6_11use_defaultESE_EENS6_10device_ptrIhEENSG_IlEEPmS8_NS6_8equal_toIhEEEE10hipError_tPvRmT2_T3_mT4_T5_T6_T7_T8_P12ihipStream_tbENKUlT_T0_E_clISt17integral_constantIbLb0EES12_IbLb1EEEEDaSY_SZ_EUlSY_E_NS1_11comp_targetILNS1_3genE9ELNS1_11target_archE1100ELNS1_3gpuE3ELNS1_3repE0EEENS1_30default_config_static_selectorELNS0_4arch9wavefront6targetE1EEEvT1_
	.globl	_ZN7rocprim17ROCPRIM_400000_NS6detail17trampoline_kernelINS0_14default_configENS1_29reduce_by_key_config_selectorIhlN6thrust23THRUST_200600_302600_NS4plusIlEEEEZZNS1_33reduce_by_key_impl_wrapped_configILNS1_25lookback_scan_determinismE0ES3_S9_PhNS6_17constant_iteratorIiNS6_11use_defaultESE_EENS6_10device_ptrIhEENSG_IlEEPmS8_NS6_8equal_toIhEEEE10hipError_tPvRmT2_T3_mT4_T5_T6_T7_T8_P12ihipStream_tbENKUlT_T0_E_clISt17integral_constantIbLb0EES12_IbLb1EEEEDaSY_SZ_EUlSY_E_NS1_11comp_targetILNS1_3genE9ELNS1_11target_archE1100ELNS1_3gpuE3ELNS1_3repE0EEENS1_30default_config_static_selectorELNS0_4arch9wavefront6targetE1EEEvT1_
	.p2align	8
	.type	_ZN7rocprim17ROCPRIM_400000_NS6detail17trampoline_kernelINS0_14default_configENS1_29reduce_by_key_config_selectorIhlN6thrust23THRUST_200600_302600_NS4plusIlEEEEZZNS1_33reduce_by_key_impl_wrapped_configILNS1_25lookback_scan_determinismE0ES3_S9_PhNS6_17constant_iteratorIiNS6_11use_defaultESE_EENS6_10device_ptrIhEENSG_IlEEPmS8_NS6_8equal_toIhEEEE10hipError_tPvRmT2_T3_mT4_T5_T6_T7_T8_P12ihipStream_tbENKUlT_T0_E_clISt17integral_constantIbLb0EES12_IbLb1EEEEDaSY_SZ_EUlSY_E_NS1_11comp_targetILNS1_3genE9ELNS1_11target_archE1100ELNS1_3gpuE3ELNS1_3repE0EEENS1_30default_config_static_selectorELNS0_4arch9wavefront6targetE1EEEvT1_,@function
_ZN7rocprim17ROCPRIM_400000_NS6detail17trampoline_kernelINS0_14default_configENS1_29reduce_by_key_config_selectorIhlN6thrust23THRUST_200600_302600_NS4plusIlEEEEZZNS1_33reduce_by_key_impl_wrapped_configILNS1_25lookback_scan_determinismE0ES3_S9_PhNS6_17constant_iteratorIiNS6_11use_defaultESE_EENS6_10device_ptrIhEENSG_IlEEPmS8_NS6_8equal_toIhEEEE10hipError_tPvRmT2_T3_mT4_T5_T6_T7_T8_P12ihipStream_tbENKUlT_T0_E_clISt17integral_constantIbLb0EES12_IbLb1EEEEDaSY_SZ_EUlSY_E_NS1_11comp_targetILNS1_3genE9ELNS1_11target_archE1100ELNS1_3gpuE3ELNS1_3repE0EEENS1_30default_config_static_selectorELNS0_4arch9wavefront6targetE1EEEvT1_: ; @_ZN7rocprim17ROCPRIM_400000_NS6detail17trampoline_kernelINS0_14default_configENS1_29reduce_by_key_config_selectorIhlN6thrust23THRUST_200600_302600_NS4plusIlEEEEZZNS1_33reduce_by_key_impl_wrapped_configILNS1_25lookback_scan_determinismE0ES3_S9_PhNS6_17constant_iteratorIiNS6_11use_defaultESE_EENS6_10device_ptrIhEENSG_IlEEPmS8_NS6_8equal_toIhEEEE10hipError_tPvRmT2_T3_mT4_T5_T6_T7_T8_P12ihipStream_tbENKUlT_T0_E_clISt17integral_constantIbLb0EES12_IbLb1EEEEDaSY_SZ_EUlSY_E_NS1_11comp_targetILNS1_3genE9ELNS1_11target_archE1100ELNS1_3gpuE3ELNS1_3repE0EEENS1_30default_config_static_selectorELNS0_4arch9wavefront6targetE1EEEvT1_
; %bb.0:
	.section	.rodata,"a",@progbits
	.p2align	6, 0x0
	.amdhsa_kernel _ZN7rocprim17ROCPRIM_400000_NS6detail17trampoline_kernelINS0_14default_configENS1_29reduce_by_key_config_selectorIhlN6thrust23THRUST_200600_302600_NS4plusIlEEEEZZNS1_33reduce_by_key_impl_wrapped_configILNS1_25lookback_scan_determinismE0ES3_S9_PhNS6_17constant_iteratorIiNS6_11use_defaultESE_EENS6_10device_ptrIhEENSG_IlEEPmS8_NS6_8equal_toIhEEEE10hipError_tPvRmT2_T3_mT4_T5_T6_T7_T8_P12ihipStream_tbENKUlT_T0_E_clISt17integral_constantIbLb0EES12_IbLb1EEEEDaSY_SZ_EUlSY_E_NS1_11comp_targetILNS1_3genE9ELNS1_11target_archE1100ELNS1_3gpuE3ELNS1_3repE0EEENS1_30default_config_static_selectorELNS0_4arch9wavefront6targetE1EEEvT1_
		.amdhsa_group_segment_fixed_size 0
		.amdhsa_private_segment_fixed_size 0
		.amdhsa_kernarg_size 144
		.amdhsa_user_sgpr_count 6
		.amdhsa_user_sgpr_private_segment_buffer 1
		.amdhsa_user_sgpr_dispatch_ptr 0
		.amdhsa_user_sgpr_queue_ptr 0
		.amdhsa_user_sgpr_kernarg_segment_ptr 1
		.amdhsa_user_sgpr_dispatch_id 0
		.amdhsa_user_sgpr_flat_scratch_init 0
		.amdhsa_user_sgpr_kernarg_preload_length 0
		.amdhsa_user_sgpr_kernarg_preload_offset 0
		.amdhsa_user_sgpr_private_segment_size 0
		.amdhsa_uses_dynamic_stack 0
		.amdhsa_system_sgpr_private_segment_wavefront_offset 0
		.amdhsa_system_sgpr_workgroup_id_x 1
		.amdhsa_system_sgpr_workgroup_id_y 0
		.amdhsa_system_sgpr_workgroup_id_z 0
		.amdhsa_system_sgpr_workgroup_info 0
		.amdhsa_system_vgpr_workitem_id 0
		.amdhsa_next_free_vgpr 1
		.amdhsa_next_free_sgpr 0
		.amdhsa_accum_offset 4
		.amdhsa_reserve_vcc 0
		.amdhsa_reserve_flat_scratch 0
		.amdhsa_float_round_mode_32 0
		.amdhsa_float_round_mode_16_64 0
		.amdhsa_float_denorm_mode_32 3
		.amdhsa_float_denorm_mode_16_64 3
		.amdhsa_dx10_clamp 1
		.amdhsa_ieee_mode 1
		.amdhsa_fp16_overflow 0
		.amdhsa_tg_split 0
		.amdhsa_exception_fp_ieee_invalid_op 0
		.amdhsa_exception_fp_denorm_src 0
		.amdhsa_exception_fp_ieee_div_zero 0
		.amdhsa_exception_fp_ieee_overflow 0
		.amdhsa_exception_fp_ieee_underflow 0
		.amdhsa_exception_fp_ieee_inexact 0
		.amdhsa_exception_int_div_zero 0
	.end_amdhsa_kernel
	.section	.text._ZN7rocprim17ROCPRIM_400000_NS6detail17trampoline_kernelINS0_14default_configENS1_29reduce_by_key_config_selectorIhlN6thrust23THRUST_200600_302600_NS4plusIlEEEEZZNS1_33reduce_by_key_impl_wrapped_configILNS1_25lookback_scan_determinismE0ES3_S9_PhNS6_17constant_iteratorIiNS6_11use_defaultESE_EENS6_10device_ptrIhEENSG_IlEEPmS8_NS6_8equal_toIhEEEE10hipError_tPvRmT2_T3_mT4_T5_T6_T7_T8_P12ihipStream_tbENKUlT_T0_E_clISt17integral_constantIbLb0EES12_IbLb1EEEEDaSY_SZ_EUlSY_E_NS1_11comp_targetILNS1_3genE9ELNS1_11target_archE1100ELNS1_3gpuE3ELNS1_3repE0EEENS1_30default_config_static_selectorELNS0_4arch9wavefront6targetE1EEEvT1_,"axG",@progbits,_ZN7rocprim17ROCPRIM_400000_NS6detail17trampoline_kernelINS0_14default_configENS1_29reduce_by_key_config_selectorIhlN6thrust23THRUST_200600_302600_NS4plusIlEEEEZZNS1_33reduce_by_key_impl_wrapped_configILNS1_25lookback_scan_determinismE0ES3_S9_PhNS6_17constant_iteratorIiNS6_11use_defaultESE_EENS6_10device_ptrIhEENSG_IlEEPmS8_NS6_8equal_toIhEEEE10hipError_tPvRmT2_T3_mT4_T5_T6_T7_T8_P12ihipStream_tbENKUlT_T0_E_clISt17integral_constantIbLb0EES12_IbLb1EEEEDaSY_SZ_EUlSY_E_NS1_11comp_targetILNS1_3genE9ELNS1_11target_archE1100ELNS1_3gpuE3ELNS1_3repE0EEENS1_30default_config_static_selectorELNS0_4arch9wavefront6targetE1EEEvT1_,comdat
.Lfunc_end401:
	.size	_ZN7rocprim17ROCPRIM_400000_NS6detail17trampoline_kernelINS0_14default_configENS1_29reduce_by_key_config_selectorIhlN6thrust23THRUST_200600_302600_NS4plusIlEEEEZZNS1_33reduce_by_key_impl_wrapped_configILNS1_25lookback_scan_determinismE0ES3_S9_PhNS6_17constant_iteratorIiNS6_11use_defaultESE_EENS6_10device_ptrIhEENSG_IlEEPmS8_NS6_8equal_toIhEEEE10hipError_tPvRmT2_T3_mT4_T5_T6_T7_T8_P12ihipStream_tbENKUlT_T0_E_clISt17integral_constantIbLb0EES12_IbLb1EEEEDaSY_SZ_EUlSY_E_NS1_11comp_targetILNS1_3genE9ELNS1_11target_archE1100ELNS1_3gpuE3ELNS1_3repE0EEENS1_30default_config_static_selectorELNS0_4arch9wavefront6targetE1EEEvT1_, .Lfunc_end401-_ZN7rocprim17ROCPRIM_400000_NS6detail17trampoline_kernelINS0_14default_configENS1_29reduce_by_key_config_selectorIhlN6thrust23THRUST_200600_302600_NS4plusIlEEEEZZNS1_33reduce_by_key_impl_wrapped_configILNS1_25lookback_scan_determinismE0ES3_S9_PhNS6_17constant_iteratorIiNS6_11use_defaultESE_EENS6_10device_ptrIhEENSG_IlEEPmS8_NS6_8equal_toIhEEEE10hipError_tPvRmT2_T3_mT4_T5_T6_T7_T8_P12ihipStream_tbENKUlT_T0_E_clISt17integral_constantIbLb0EES12_IbLb1EEEEDaSY_SZ_EUlSY_E_NS1_11comp_targetILNS1_3genE9ELNS1_11target_archE1100ELNS1_3gpuE3ELNS1_3repE0EEENS1_30default_config_static_selectorELNS0_4arch9wavefront6targetE1EEEvT1_
                                        ; -- End function
	.section	.AMDGPU.csdata,"",@progbits
; Kernel info:
; codeLenInByte = 0
; NumSgprs: 4
; NumVgprs: 0
; NumAgprs: 0
; TotalNumVgprs: 0
; ScratchSize: 0
; MemoryBound: 0
; FloatMode: 240
; IeeeMode: 1
; LDSByteSize: 0 bytes/workgroup (compile time only)
; SGPRBlocks: 0
; VGPRBlocks: 0
; NumSGPRsForWavesPerEU: 4
; NumVGPRsForWavesPerEU: 1
; AccumOffset: 4
; Occupancy: 8
; WaveLimiterHint : 0
; COMPUTE_PGM_RSRC2:SCRATCH_EN: 0
; COMPUTE_PGM_RSRC2:USER_SGPR: 6
; COMPUTE_PGM_RSRC2:TRAP_HANDLER: 0
; COMPUTE_PGM_RSRC2:TGID_X_EN: 1
; COMPUTE_PGM_RSRC2:TGID_Y_EN: 0
; COMPUTE_PGM_RSRC2:TGID_Z_EN: 0
; COMPUTE_PGM_RSRC2:TIDIG_COMP_CNT: 0
; COMPUTE_PGM_RSRC3_GFX90A:ACCUM_OFFSET: 0
; COMPUTE_PGM_RSRC3_GFX90A:TG_SPLIT: 0
	.section	.text._ZN7rocprim17ROCPRIM_400000_NS6detail17trampoline_kernelINS0_14default_configENS1_29reduce_by_key_config_selectorIhlN6thrust23THRUST_200600_302600_NS4plusIlEEEEZZNS1_33reduce_by_key_impl_wrapped_configILNS1_25lookback_scan_determinismE0ES3_S9_PhNS6_17constant_iteratorIiNS6_11use_defaultESE_EENS6_10device_ptrIhEENSG_IlEEPmS8_NS6_8equal_toIhEEEE10hipError_tPvRmT2_T3_mT4_T5_T6_T7_T8_P12ihipStream_tbENKUlT_T0_E_clISt17integral_constantIbLb0EES12_IbLb1EEEEDaSY_SZ_EUlSY_E_NS1_11comp_targetILNS1_3genE8ELNS1_11target_archE1030ELNS1_3gpuE2ELNS1_3repE0EEENS1_30default_config_static_selectorELNS0_4arch9wavefront6targetE1EEEvT1_,"axG",@progbits,_ZN7rocprim17ROCPRIM_400000_NS6detail17trampoline_kernelINS0_14default_configENS1_29reduce_by_key_config_selectorIhlN6thrust23THRUST_200600_302600_NS4plusIlEEEEZZNS1_33reduce_by_key_impl_wrapped_configILNS1_25lookback_scan_determinismE0ES3_S9_PhNS6_17constant_iteratorIiNS6_11use_defaultESE_EENS6_10device_ptrIhEENSG_IlEEPmS8_NS6_8equal_toIhEEEE10hipError_tPvRmT2_T3_mT4_T5_T6_T7_T8_P12ihipStream_tbENKUlT_T0_E_clISt17integral_constantIbLb0EES12_IbLb1EEEEDaSY_SZ_EUlSY_E_NS1_11comp_targetILNS1_3genE8ELNS1_11target_archE1030ELNS1_3gpuE2ELNS1_3repE0EEENS1_30default_config_static_selectorELNS0_4arch9wavefront6targetE1EEEvT1_,comdat
	.protected	_ZN7rocprim17ROCPRIM_400000_NS6detail17trampoline_kernelINS0_14default_configENS1_29reduce_by_key_config_selectorIhlN6thrust23THRUST_200600_302600_NS4plusIlEEEEZZNS1_33reduce_by_key_impl_wrapped_configILNS1_25lookback_scan_determinismE0ES3_S9_PhNS6_17constant_iteratorIiNS6_11use_defaultESE_EENS6_10device_ptrIhEENSG_IlEEPmS8_NS6_8equal_toIhEEEE10hipError_tPvRmT2_T3_mT4_T5_T6_T7_T8_P12ihipStream_tbENKUlT_T0_E_clISt17integral_constantIbLb0EES12_IbLb1EEEEDaSY_SZ_EUlSY_E_NS1_11comp_targetILNS1_3genE8ELNS1_11target_archE1030ELNS1_3gpuE2ELNS1_3repE0EEENS1_30default_config_static_selectorELNS0_4arch9wavefront6targetE1EEEvT1_ ; -- Begin function _ZN7rocprim17ROCPRIM_400000_NS6detail17trampoline_kernelINS0_14default_configENS1_29reduce_by_key_config_selectorIhlN6thrust23THRUST_200600_302600_NS4plusIlEEEEZZNS1_33reduce_by_key_impl_wrapped_configILNS1_25lookback_scan_determinismE0ES3_S9_PhNS6_17constant_iteratorIiNS6_11use_defaultESE_EENS6_10device_ptrIhEENSG_IlEEPmS8_NS6_8equal_toIhEEEE10hipError_tPvRmT2_T3_mT4_T5_T6_T7_T8_P12ihipStream_tbENKUlT_T0_E_clISt17integral_constantIbLb0EES12_IbLb1EEEEDaSY_SZ_EUlSY_E_NS1_11comp_targetILNS1_3genE8ELNS1_11target_archE1030ELNS1_3gpuE2ELNS1_3repE0EEENS1_30default_config_static_selectorELNS0_4arch9wavefront6targetE1EEEvT1_
	.globl	_ZN7rocprim17ROCPRIM_400000_NS6detail17trampoline_kernelINS0_14default_configENS1_29reduce_by_key_config_selectorIhlN6thrust23THRUST_200600_302600_NS4plusIlEEEEZZNS1_33reduce_by_key_impl_wrapped_configILNS1_25lookback_scan_determinismE0ES3_S9_PhNS6_17constant_iteratorIiNS6_11use_defaultESE_EENS6_10device_ptrIhEENSG_IlEEPmS8_NS6_8equal_toIhEEEE10hipError_tPvRmT2_T3_mT4_T5_T6_T7_T8_P12ihipStream_tbENKUlT_T0_E_clISt17integral_constantIbLb0EES12_IbLb1EEEEDaSY_SZ_EUlSY_E_NS1_11comp_targetILNS1_3genE8ELNS1_11target_archE1030ELNS1_3gpuE2ELNS1_3repE0EEENS1_30default_config_static_selectorELNS0_4arch9wavefront6targetE1EEEvT1_
	.p2align	8
	.type	_ZN7rocprim17ROCPRIM_400000_NS6detail17trampoline_kernelINS0_14default_configENS1_29reduce_by_key_config_selectorIhlN6thrust23THRUST_200600_302600_NS4plusIlEEEEZZNS1_33reduce_by_key_impl_wrapped_configILNS1_25lookback_scan_determinismE0ES3_S9_PhNS6_17constant_iteratorIiNS6_11use_defaultESE_EENS6_10device_ptrIhEENSG_IlEEPmS8_NS6_8equal_toIhEEEE10hipError_tPvRmT2_T3_mT4_T5_T6_T7_T8_P12ihipStream_tbENKUlT_T0_E_clISt17integral_constantIbLb0EES12_IbLb1EEEEDaSY_SZ_EUlSY_E_NS1_11comp_targetILNS1_3genE8ELNS1_11target_archE1030ELNS1_3gpuE2ELNS1_3repE0EEENS1_30default_config_static_selectorELNS0_4arch9wavefront6targetE1EEEvT1_,@function
_ZN7rocprim17ROCPRIM_400000_NS6detail17trampoline_kernelINS0_14default_configENS1_29reduce_by_key_config_selectorIhlN6thrust23THRUST_200600_302600_NS4plusIlEEEEZZNS1_33reduce_by_key_impl_wrapped_configILNS1_25lookback_scan_determinismE0ES3_S9_PhNS6_17constant_iteratorIiNS6_11use_defaultESE_EENS6_10device_ptrIhEENSG_IlEEPmS8_NS6_8equal_toIhEEEE10hipError_tPvRmT2_T3_mT4_T5_T6_T7_T8_P12ihipStream_tbENKUlT_T0_E_clISt17integral_constantIbLb0EES12_IbLb1EEEEDaSY_SZ_EUlSY_E_NS1_11comp_targetILNS1_3genE8ELNS1_11target_archE1030ELNS1_3gpuE2ELNS1_3repE0EEENS1_30default_config_static_selectorELNS0_4arch9wavefront6targetE1EEEvT1_: ; @_ZN7rocprim17ROCPRIM_400000_NS6detail17trampoline_kernelINS0_14default_configENS1_29reduce_by_key_config_selectorIhlN6thrust23THRUST_200600_302600_NS4plusIlEEEEZZNS1_33reduce_by_key_impl_wrapped_configILNS1_25lookback_scan_determinismE0ES3_S9_PhNS6_17constant_iteratorIiNS6_11use_defaultESE_EENS6_10device_ptrIhEENSG_IlEEPmS8_NS6_8equal_toIhEEEE10hipError_tPvRmT2_T3_mT4_T5_T6_T7_T8_P12ihipStream_tbENKUlT_T0_E_clISt17integral_constantIbLb0EES12_IbLb1EEEEDaSY_SZ_EUlSY_E_NS1_11comp_targetILNS1_3genE8ELNS1_11target_archE1030ELNS1_3gpuE2ELNS1_3repE0EEENS1_30default_config_static_selectorELNS0_4arch9wavefront6targetE1EEEvT1_
; %bb.0:
	.section	.rodata,"a",@progbits
	.p2align	6, 0x0
	.amdhsa_kernel _ZN7rocprim17ROCPRIM_400000_NS6detail17trampoline_kernelINS0_14default_configENS1_29reduce_by_key_config_selectorIhlN6thrust23THRUST_200600_302600_NS4plusIlEEEEZZNS1_33reduce_by_key_impl_wrapped_configILNS1_25lookback_scan_determinismE0ES3_S9_PhNS6_17constant_iteratorIiNS6_11use_defaultESE_EENS6_10device_ptrIhEENSG_IlEEPmS8_NS6_8equal_toIhEEEE10hipError_tPvRmT2_T3_mT4_T5_T6_T7_T8_P12ihipStream_tbENKUlT_T0_E_clISt17integral_constantIbLb0EES12_IbLb1EEEEDaSY_SZ_EUlSY_E_NS1_11comp_targetILNS1_3genE8ELNS1_11target_archE1030ELNS1_3gpuE2ELNS1_3repE0EEENS1_30default_config_static_selectorELNS0_4arch9wavefront6targetE1EEEvT1_
		.amdhsa_group_segment_fixed_size 0
		.amdhsa_private_segment_fixed_size 0
		.amdhsa_kernarg_size 144
		.amdhsa_user_sgpr_count 6
		.amdhsa_user_sgpr_private_segment_buffer 1
		.amdhsa_user_sgpr_dispatch_ptr 0
		.amdhsa_user_sgpr_queue_ptr 0
		.amdhsa_user_sgpr_kernarg_segment_ptr 1
		.amdhsa_user_sgpr_dispatch_id 0
		.amdhsa_user_sgpr_flat_scratch_init 0
		.amdhsa_user_sgpr_kernarg_preload_length 0
		.amdhsa_user_sgpr_kernarg_preload_offset 0
		.amdhsa_user_sgpr_private_segment_size 0
		.amdhsa_uses_dynamic_stack 0
		.amdhsa_system_sgpr_private_segment_wavefront_offset 0
		.amdhsa_system_sgpr_workgroup_id_x 1
		.amdhsa_system_sgpr_workgroup_id_y 0
		.amdhsa_system_sgpr_workgroup_id_z 0
		.amdhsa_system_sgpr_workgroup_info 0
		.amdhsa_system_vgpr_workitem_id 0
		.amdhsa_next_free_vgpr 1
		.amdhsa_next_free_sgpr 0
		.amdhsa_accum_offset 4
		.amdhsa_reserve_vcc 0
		.amdhsa_reserve_flat_scratch 0
		.amdhsa_float_round_mode_32 0
		.amdhsa_float_round_mode_16_64 0
		.amdhsa_float_denorm_mode_32 3
		.amdhsa_float_denorm_mode_16_64 3
		.amdhsa_dx10_clamp 1
		.amdhsa_ieee_mode 1
		.amdhsa_fp16_overflow 0
		.amdhsa_tg_split 0
		.amdhsa_exception_fp_ieee_invalid_op 0
		.amdhsa_exception_fp_denorm_src 0
		.amdhsa_exception_fp_ieee_div_zero 0
		.amdhsa_exception_fp_ieee_overflow 0
		.amdhsa_exception_fp_ieee_underflow 0
		.amdhsa_exception_fp_ieee_inexact 0
		.amdhsa_exception_int_div_zero 0
	.end_amdhsa_kernel
	.section	.text._ZN7rocprim17ROCPRIM_400000_NS6detail17trampoline_kernelINS0_14default_configENS1_29reduce_by_key_config_selectorIhlN6thrust23THRUST_200600_302600_NS4plusIlEEEEZZNS1_33reduce_by_key_impl_wrapped_configILNS1_25lookback_scan_determinismE0ES3_S9_PhNS6_17constant_iteratorIiNS6_11use_defaultESE_EENS6_10device_ptrIhEENSG_IlEEPmS8_NS6_8equal_toIhEEEE10hipError_tPvRmT2_T3_mT4_T5_T6_T7_T8_P12ihipStream_tbENKUlT_T0_E_clISt17integral_constantIbLb0EES12_IbLb1EEEEDaSY_SZ_EUlSY_E_NS1_11comp_targetILNS1_3genE8ELNS1_11target_archE1030ELNS1_3gpuE2ELNS1_3repE0EEENS1_30default_config_static_selectorELNS0_4arch9wavefront6targetE1EEEvT1_,"axG",@progbits,_ZN7rocprim17ROCPRIM_400000_NS6detail17trampoline_kernelINS0_14default_configENS1_29reduce_by_key_config_selectorIhlN6thrust23THRUST_200600_302600_NS4plusIlEEEEZZNS1_33reduce_by_key_impl_wrapped_configILNS1_25lookback_scan_determinismE0ES3_S9_PhNS6_17constant_iteratorIiNS6_11use_defaultESE_EENS6_10device_ptrIhEENSG_IlEEPmS8_NS6_8equal_toIhEEEE10hipError_tPvRmT2_T3_mT4_T5_T6_T7_T8_P12ihipStream_tbENKUlT_T0_E_clISt17integral_constantIbLb0EES12_IbLb1EEEEDaSY_SZ_EUlSY_E_NS1_11comp_targetILNS1_3genE8ELNS1_11target_archE1030ELNS1_3gpuE2ELNS1_3repE0EEENS1_30default_config_static_selectorELNS0_4arch9wavefront6targetE1EEEvT1_,comdat
.Lfunc_end402:
	.size	_ZN7rocprim17ROCPRIM_400000_NS6detail17trampoline_kernelINS0_14default_configENS1_29reduce_by_key_config_selectorIhlN6thrust23THRUST_200600_302600_NS4plusIlEEEEZZNS1_33reduce_by_key_impl_wrapped_configILNS1_25lookback_scan_determinismE0ES3_S9_PhNS6_17constant_iteratorIiNS6_11use_defaultESE_EENS6_10device_ptrIhEENSG_IlEEPmS8_NS6_8equal_toIhEEEE10hipError_tPvRmT2_T3_mT4_T5_T6_T7_T8_P12ihipStream_tbENKUlT_T0_E_clISt17integral_constantIbLb0EES12_IbLb1EEEEDaSY_SZ_EUlSY_E_NS1_11comp_targetILNS1_3genE8ELNS1_11target_archE1030ELNS1_3gpuE2ELNS1_3repE0EEENS1_30default_config_static_selectorELNS0_4arch9wavefront6targetE1EEEvT1_, .Lfunc_end402-_ZN7rocprim17ROCPRIM_400000_NS6detail17trampoline_kernelINS0_14default_configENS1_29reduce_by_key_config_selectorIhlN6thrust23THRUST_200600_302600_NS4plusIlEEEEZZNS1_33reduce_by_key_impl_wrapped_configILNS1_25lookback_scan_determinismE0ES3_S9_PhNS6_17constant_iteratorIiNS6_11use_defaultESE_EENS6_10device_ptrIhEENSG_IlEEPmS8_NS6_8equal_toIhEEEE10hipError_tPvRmT2_T3_mT4_T5_T6_T7_T8_P12ihipStream_tbENKUlT_T0_E_clISt17integral_constantIbLb0EES12_IbLb1EEEEDaSY_SZ_EUlSY_E_NS1_11comp_targetILNS1_3genE8ELNS1_11target_archE1030ELNS1_3gpuE2ELNS1_3repE0EEENS1_30default_config_static_selectorELNS0_4arch9wavefront6targetE1EEEvT1_
                                        ; -- End function
	.section	.AMDGPU.csdata,"",@progbits
; Kernel info:
; codeLenInByte = 0
; NumSgprs: 4
; NumVgprs: 0
; NumAgprs: 0
; TotalNumVgprs: 0
; ScratchSize: 0
; MemoryBound: 0
; FloatMode: 240
; IeeeMode: 1
; LDSByteSize: 0 bytes/workgroup (compile time only)
; SGPRBlocks: 0
; VGPRBlocks: 0
; NumSGPRsForWavesPerEU: 4
; NumVGPRsForWavesPerEU: 1
; AccumOffset: 4
; Occupancy: 8
; WaveLimiterHint : 0
; COMPUTE_PGM_RSRC2:SCRATCH_EN: 0
; COMPUTE_PGM_RSRC2:USER_SGPR: 6
; COMPUTE_PGM_RSRC2:TRAP_HANDLER: 0
; COMPUTE_PGM_RSRC2:TGID_X_EN: 1
; COMPUTE_PGM_RSRC2:TGID_Y_EN: 0
; COMPUTE_PGM_RSRC2:TGID_Z_EN: 0
; COMPUTE_PGM_RSRC2:TIDIG_COMP_CNT: 0
; COMPUTE_PGM_RSRC3_GFX90A:ACCUM_OFFSET: 0
; COMPUTE_PGM_RSRC3_GFX90A:TG_SPLIT: 0
	.section	.text._ZN7rocprim17ROCPRIM_400000_NS6detail17trampoline_kernelINS0_14default_configENS1_22reduce_config_selectorIN6thrust23THRUST_200600_302600_NS5tupleIllNS6_9null_typeES8_S8_S8_S8_S8_S8_S8_EEEEZNS1_11reduce_implILb0ES3_PS9_SC_S9_NS6_11hip_rocprim9__extrema9arg_max_fIllNS6_4lessIlEEEEEE10hipError_tPvRmT1_T2_T3_mT4_P12ihipStream_tbEUlT_E0_NS1_11comp_targetILNS1_3genE0ELNS1_11target_archE4294967295ELNS1_3gpuE0ELNS1_3repE0EEENS1_30default_config_static_selectorELNS0_4arch9wavefront6targetE1EEEvSM_,"axG",@progbits,_ZN7rocprim17ROCPRIM_400000_NS6detail17trampoline_kernelINS0_14default_configENS1_22reduce_config_selectorIN6thrust23THRUST_200600_302600_NS5tupleIllNS6_9null_typeES8_S8_S8_S8_S8_S8_S8_EEEEZNS1_11reduce_implILb0ES3_PS9_SC_S9_NS6_11hip_rocprim9__extrema9arg_max_fIllNS6_4lessIlEEEEEE10hipError_tPvRmT1_T2_T3_mT4_P12ihipStream_tbEUlT_E0_NS1_11comp_targetILNS1_3genE0ELNS1_11target_archE4294967295ELNS1_3gpuE0ELNS1_3repE0EEENS1_30default_config_static_selectorELNS0_4arch9wavefront6targetE1EEEvSM_,comdat
	.protected	_ZN7rocprim17ROCPRIM_400000_NS6detail17trampoline_kernelINS0_14default_configENS1_22reduce_config_selectorIN6thrust23THRUST_200600_302600_NS5tupleIllNS6_9null_typeES8_S8_S8_S8_S8_S8_S8_EEEEZNS1_11reduce_implILb0ES3_PS9_SC_S9_NS6_11hip_rocprim9__extrema9arg_max_fIllNS6_4lessIlEEEEEE10hipError_tPvRmT1_T2_T3_mT4_P12ihipStream_tbEUlT_E0_NS1_11comp_targetILNS1_3genE0ELNS1_11target_archE4294967295ELNS1_3gpuE0ELNS1_3repE0EEENS1_30default_config_static_selectorELNS0_4arch9wavefront6targetE1EEEvSM_ ; -- Begin function _ZN7rocprim17ROCPRIM_400000_NS6detail17trampoline_kernelINS0_14default_configENS1_22reduce_config_selectorIN6thrust23THRUST_200600_302600_NS5tupleIllNS6_9null_typeES8_S8_S8_S8_S8_S8_S8_EEEEZNS1_11reduce_implILb0ES3_PS9_SC_S9_NS6_11hip_rocprim9__extrema9arg_max_fIllNS6_4lessIlEEEEEE10hipError_tPvRmT1_T2_T3_mT4_P12ihipStream_tbEUlT_E0_NS1_11comp_targetILNS1_3genE0ELNS1_11target_archE4294967295ELNS1_3gpuE0ELNS1_3repE0EEENS1_30default_config_static_selectorELNS0_4arch9wavefront6targetE1EEEvSM_
	.globl	_ZN7rocprim17ROCPRIM_400000_NS6detail17trampoline_kernelINS0_14default_configENS1_22reduce_config_selectorIN6thrust23THRUST_200600_302600_NS5tupleIllNS6_9null_typeES8_S8_S8_S8_S8_S8_S8_EEEEZNS1_11reduce_implILb0ES3_PS9_SC_S9_NS6_11hip_rocprim9__extrema9arg_max_fIllNS6_4lessIlEEEEEE10hipError_tPvRmT1_T2_T3_mT4_P12ihipStream_tbEUlT_E0_NS1_11comp_targetILNS1_3genE0ELNS1_11target_archE4294967295ELNS1_3gpuE0ELNS1_3repE0EEENS1_30default_config_static_selectorELNS0_4arch9wavefront6targetE1EEEvSM_
	.p2align	8
	.type	_ZN7rocprim17ROCPRIM_400000_NS6detail17trampoline_kernelINS0_14default_configENS1_22reduce_config_selectorIN6thrust23THRUST_200600_302600_NS5tupleIllNS6_9null_typeES8_S8_S8_S8_S8_S8_S8_EEEEZNS1_11reduce_implILb0ES3_PS9_SC_S9_NS6_11hip_rocprim9__extrema9arg_max_fIllNS6_4lessIlEEEEEE10hipError_tPvRmT1_T2_T3_mT4_P12ihipStream_tbEUlT_E0_NS1_11comp_targetILNS1_3genE0ELNS1_11target_archE4294967295ELNS1_3gpuE0ELNS1_3repE0EEENS1_30default_config_static_selectorELNS0_4arch9wavefront6targetE1EEEvSM_,@function
_ZN7rocprim17ROCPRIM_400000_NS6detail17trampoline_kernelINS0_14default_configENS1_22reduce_config_selectorIN6thrust23THRUST_200600_302600_NS5tupleIllNS6_9null_typeES8_S8_S8_S8_S8_S8_S8_EEEEZNS1_11reduce_implILb0ES3_PS9_SC_S9_NS6_11hip_rocprim9__extrema9arg_max_fIllNS6_4lessIlEEEEEE10hipError_tPvRmT1_T2_T3_mT4_P12ihipStream_tbEUlT_E0_NS1_11comp_targetILNS1_3genE0ELNS1_11target_archE4294967295ELNS1_3gpuE0ELNS1_3repE0EEENS1_30default_config_static_selectorELNS0_4arch9wavefront6targetE1EEEvSM_: ; @_ZN7rocprim17ROCPRIM_400000_NS6detail17trampoline_kernelINS0_14default_configENS1_22reduce_config_selectorIN6thrust23THRUST_200600_302600_NS5tupleIllNS6_9null_typeES8_S8_S8_S8_S8_S8_S8_EEEEZNS1_11reduce_implILb0ES3_PS9_SC_S9_NS6_11hip_rocprim9__extrema9arg_max_fIllNS6_4lessIlEEEEEE10hipError_tPvRmT1_T2_T3_mT4_P12ihipStream_tbEUlT_E0_NS1_11comp_targetILNS1_3genE0ELNS1_11target_archE4294967295ELNS1_3gpuE0ELNS1_3repE0EEENS1_30default_config_static_selectorELNS0_4arch9wavefront6targetE1EEEvSM_
; %bb.0:
	.section	.rodata,"a",@progbits
	.p2align	6, 0x0
	.amdhsa_kernel _ZN7rocprim17ROCPRIM_400000_NS6detail17trampoline_kernelINS0_14default_configENS1_22reduce_config_selectorIN6thrust23THRUST_200600_302600_NS5tupleIllNS6_9null_typeES8_S8_S8_S8_S8_S8_S8_EEEEZNS1_11reduce_implILb0ES3_PS9_SC_S9_NS6_11hip_rocprim9__extrema9arg_max_fIllNS6_4lessIlEEEEEE10hipError_tPvRmT1_T2_T3_mT4_P12ihipStream_tbEUlT_E0_NS1_11comp_targetILNS1_3genE0ELNS1_11target_archE4294967295ELNS1_3gpuE0ELNS1_3repE0EEENS1_30default_config_static_selectorELNS0_4arch9wavefront6targetE1EEEvSM_
		.amdhsa_group_segment_fixed_size 0
		.amdhsa_private_segment_fixed_size 0
		.amdhsa_kernarg_size 72
		.amdhsa_user_sgpr_count 6
		.amdhsa_user_sgpr_private_segment_buffer 1
		.amdhsa_user_sgpr_dispatch_ptr 0
		.amdhsa_user_sgpr_queue_ptr 0
		.amdhsa_user_sgpr_kernarg_segment_ptr 1
		.amdhsa_user_sgpr_dispatch_id 0
		.amdhsa_user_sgpr_flat_scratch_init 0
		.amdhsa_user_sgpr_kernarg_preload_length 0
		.amdhsa_user_sgpr_kernarg_preload_offset 0
		.amdhsa_user_sgpr_private_segment_size 0
		.amdhsa_uses_dynamic_stack 0
		.amdhsa_system_sgpr_private_segment_wavefront_offset 0
		.amdhsa_system_sgpr_workgroup_id_x 1
		.amdhsa_system_sgpr_workgroup_id_y 0
		.amdhsa_system_sgpr_workgroup_id_z 0
		.amdhsa_system_sgpr_workgroup_info 0
		.amdhsa_system_vgpr_workitem_id 0
		.amdhsa_next_free_vgpr 1
		.amdhsa_next_free_sgpr 0
		.amdhsa_accum_offset 4
		.amdhsa_reserve_vcc 0
		.amdhsa_reserve_flat_scratch 0
		.amdhsa_float_round_mode_32 0
		.amdhsa_float_round_mode_16_64 0
		.amdhsa_float_denorm_mode_32 3
		.amdhsa_float_denorm_mode_16_64 3
		.amdhsa_dx10_clamp 1
		.amdhsa_ieee_mode 1
		.amdhsa_fp16_overflow 0
		.amdhsa_tg_split 0
		.amdhsa_exception_fp_ieee_invalid_op 0
		.amdhsa_exception_fp_denorm_src 0
		.amdhsa_exception_fp_ieee_div_zero 0
		.amdhsa_exception_fp_ieee_overflow 0
		.amdhsa_exception_fp_ieee_underflow 0
		.amdhsa_exception_fp_ieee_inexact 0
		.amdhsa_exception_int_div_zero 0
	.end_amdhsa_kernel
	.section	.text._ZN7rocprim17ROCPRIM_400000_NS6detail17trampoline_kernelINS0_14default_configENS1_22reduce_config_selectorIN6thrust23THRUST_200600_302600_NS5tupleIllNS6_9null_typeES8_S8_S8_S8_S8_S8_S8_EEEEZNS1_11reduce_implILb0ES3_PS9_SC_S9_NS6_11hip_rocprim9__extrema9arg_max_fIllNS6_4lessIlEEEEEE10hipError_tPvRmT1_T2_T3_mT4_P12ihipStream_tbEUlT_E0_NS1_11comp_targetILNS1_3genE0ELNS1_11target_archE4294967295ELNS1_3gpuE0ELNS1_3repE0EEENS1_30default_config_static_selectorELNS0_4arch9wavefront6targetE1EEEvSM_,"axG",@progbits,_ZN7rocprim17ROCPRIM_400000_NS6detail17trampoline_kernelINS0_14default_configENS1_22reduce_config_selectorIN6thrust23THRUST_200600_302600_NS5tupleIllNS6_9null_typeES8_S8_S8_S8_S8_S8_S8_EEEEZNS1_11reduce_implILb0ES3_PS9_SC_S9_NS6_11hip_rocprim9__extrema9arg_max_fIllNS6_4lessIlEEEEEE10hipError_tPvRmT1_T2_T3_mT4_P12ihipStream_tbEUlT_E0_NS1_11comp_targetILNS1_3genE0ELNS1_11target_archE4294967295ELNS1_3gpuE0ELNS1_3repE0EEENS1_30default_config_static_selectorELNS0_4arch9wavefront6targetE1EEEvSM_,comdat
.Lfunc_end403:
	.size	_ZN7rocprim17ROCPRIM_400000_NS6detail17trampoline_kernelINS0_14default_configENS1_22reduce_config_selectorIN6thrust23THRUST_200600_302600_NS5tupleIllNS6_9null_typeES8_S8_S8_S8_S8_S8_S8_EEEEZNS1_11reduce_implILb0ES3_PS9_SC_S9_NS6_11hip_rocprim9__extrema9arg_max_fIllNS6_4lessIlEEEEEE10hipError_tPvRmT1_T2_T3_mT4_P12ihipStream_tbEUlT_E0_NS1_11comp_targetILNS1_3genE0ELNS1_11target_archE4294967295ELNS1_3gpuE0ELNS1_3repE0EEENS1_30default_config_static_selectorELNS0_4arch9wavefront6targetE1EEEvSM_, .Lfunc_end403-_ZN7rocprim17ROCPRIM_400000_NS6detail17trampoline_kernelINS0_14default_configENS1_22reduce_config_selectorIN6thrust23THRUST_200600_302600_NS5tupleIllNS6_9null_typeES8_S8_S8_S8_S8_S8_S8_EEEEZNS1_11reduce_implILb0ES3_PS9_SC_S9_NS6_11hip_rocprim9__extrema9arg_max_fIllNS6_4lessIlEEEEEE10hipError_tPvRmT1_T2_T3_mT4_P12ihipStream_tbEUlT_E0_NS1_11comp_targetILNS1_3genE0ELNS1_11target_archE4294967295ELNS1_3gpuE0ELNS1_3repE0EEENS1_30default_config_static_selectorELNS0_4arch9wavefront6targetE1EEEvSM_
                                        ; -- End function
	.section	.AMDGPU.csdata,"",@progbits
; Kernel info:
; codeLenInByte = 0
; NumSgprs: 4
; NumVgprs: 0
; NumAgprs: 0
; TotalNumVgprs: 0
; ScratchSize: 0
; MemoryBound: 0
; FloatMode: 240
; IeeeMode: 1
; LDSByteSize: 0 bytes/workgroup (compile time only)
; SGPRBlocks: 0
; VGPRBlocks: 0
; NumSGPRsForWavesPerEU: 4
; NumVGPRsForWavesPerEU: 1
; AccumOffset: 4
; Occupancy: 8
; WaveLimiterHint : 0
; COMPUTE_PGM_RSRC2:SCRATCH_EN: 0
; COMPUTE_PGM_RSRC2:USER_SGPR: 6
; COMPUTE_PGM_RSRC2:TRAP_HANDLER: 0
; COMPUTE_PGM_RSRC2:TGID_X_EN: 1
; COMPUTE_PGM_RSRC2:TGID_Y_EN: 0
; COMPUTE_PGM_RSRC2:TGID_Z_EN: 0
; COMPUTE_PGM_RSRC2:TIDIG_COMP_CNT: 0
; COMPUTE_PGM_RSRC3_GFX90A:ACCUM_OFFSET: 0
; COMPUTE_PGM_RSRC3_GFX90A:TG_SPLIT: 0
	.section	.text._ZN7rocprim17ROCPRIM_400000_NS6detail17trampoline_kernelINS0_14default_configENS1_22reduce_config_selectorIN6thrust23THRUST_200600_302600_NS5tupleIllNS6_9null_typeES8_S8_S8_S8_S8_S8_S8_EEEEZNS1_11reduce_implILb0ES3_PS9_SC_S9_NS6_11hip_rocprim9__extrema9arg_max_fIllNS6_4lessIlEEEEEE10hipError_tPvRmT1_T2_T3_mT4_P12ihipStream_tbEUlT_E0_NS1_11comp_targetILNS1_3genE5ELNS1_11target_archE942ELNS1_3gpuE9ELNS1_3repE0EEENS1_30default_config_static_selectorELNS0_4arch9wavefront6targetE1EEEvSM_,"axG",@progbits,_ZN7rocprim17ROCPRIM_400000_NS6detail17trampoline_kernelINS0_14default_configENS1_22reduce_config_selectorIN6thrust23THRUST_200600_302600_NS5tupleIllNS6_9null_typeES8_S8_S8_S8_S8_S8_S8_EEEEZNS1_11reduce_implILb0ES3_PS9_SC_S9_NS6_11hip_rocprim9__extrema9arg_max_fIllNS6_4lessIlEEEEEE10hipError_tPvRmT1_T2_T3_mT4_P12ihipStream_tbEUlT_E0_NS1_11comp_targetILNS1_3genE5ELNS1_11target_archE942ELNS1_3gpuE9ELNS1_3repE0EEENS1_30default_config_static_selectorELNS0_4arch9wavefront6targetE1EEEvSM_,comdat
	.protected	_ZN7rocprim17ROCPRIM_400000_NS6detail17trampoline_kernelINS0_14default_configENS1_22reduce_config_selectorIN6thrust23THRUST_200600_302600_NS5tupleIllNS6_9null_typeES8_S8_S8_S8_S8_S8_S8_EEEEZNS1_11reduce_implILb0ES3_PS9_SC_S9_NS6_11hip_rocprim9__extrema9arg_max_fIllNS6_4lessIlEEEEEE10hipError_tPvRmT1_T2_T3_mT4_P12ihipStream_tbEUlT_E0_NS1_11comp_targetILNS1_3genE5ELNS1_11target_archE942ELNS1_3gpuE9ELNS1_3repE0EEENS1_30default_config_static_selectorELNS0_4arch9wavefront6targetE1EEEvSM_ ; -- Begin function _ZN7rocprim17ROCPRIM_400000_NS6detail17trampoline_kernelINS0_14default_configENS1_22reduce_config_selectorIN6thrust23THRUST_200600_302600_NS5tupleIllNS6_9null_typeES8_S8_S8_S8_S8_S8_S8_EEEEZNS1_11reduce_implILb0ES3_PS9_SC_S9_NS6_11hip_rocprim9__extrema9arg_max_fIllNS6_4lessIlEEEEEE10hipError_tPvRmT1_T2_T3_mT4_P12ihipStream_tbEUlT_E0_NS1_11comp_targetILNS1_3genE5ELNS1_11target_archE942ELNS1_3gpuE9ELNS1_3repE0EEENS1_30default_config_static_selectorELNS0_4arch9wavefront6targetE1EEEvSM_
	.globl	_ZN7rocprim17ROCPRIM_400000_NS6detail17trampoline_kernelINS0_14default_configENS1_22reduce_config_selectorIN6thrust23THRUST_200600_302600_NS5tupleIllNS6_9null_typeES8_S8_S8_S8_S8_S8_S8_EEEEZNS1_11reduce_implILb0ES3_PS9_SC_S9_NS6_11hip_rocprim9__extrema9arg_max_fIllNS6_4lessIlEEEEEE10hipError_tPvRmT1_T2_T3_mT4_P12ihipStream_tbEUlT_E0_NS1_11comp_targetILNS1_3genE5ELNS1_11target_archE942ELNS1_3gpuE9ELNS1_3repE0EEENS1_30default_config_static_selectorELNS0_4arch9wavefront6targetE1EEEvSM_
	.p2align	8
	.type	_ZN7rocprim17ROCPRIM_400000_NS6detail17trampoline_kernelINS0_14default_configENS1_22reduce_config_selectorIN6thrust23THRUST_200600_302600_NS5tupleIllNS6_9null_typeES8_S8_S8_S8_S8_S8_S8_EEEEZNS1_11reduce_implILb0ES3_PS9_SC_S9_NS6_11hip_rocprim9__extrema9arg_max_fIllNS6_4lessIlEEEEEE10hipError_tPvRmT1_T2_T3_mT4_P12ihipStream_tbEUlT_E0_NS1_11comp_targetILNS1_3genE5ELNS1_11target_archE942ELNS1_3gpuE9ELNS1_3repE0EEENS1_30default_config_static_selectorELNS0_4arch9wavefront6targetE1EEEvSM_,@function
_ZN7rocprim17ROCPRIM_400000_NS6detail17trampoline_kernelINS0_14default_configENS1_22reduce_config_selectorIN6thrust23THRUST_200600_302600_NS5tupleIllNS6_9null_typeES8_S8_S8_S8_S8_S8_S8_EEEEZNS1_11reduce_implILb0ES3_PS9_SC_S9_NS6_11hip_rocprim9__extrema9arg_max_fIllNS6_4lessIlEEEEEE10hipError_tPvRmT1_T2_T3_mT4_P12ihipStream_tbEUlT_E0_NS1_11comp_targetILNS1_3genE5ELNS1_11target_archE942ELNS1_3gpuE9ELNS1_3repE0EEENS1_30default_config_static_selectorELNS0_4arch9wavefront6targetE1EEEvSM_: ; @_ZN7rocprim17ROCPRIM_400000_NS6detail17trampoline_kernelINS0_14default_configENS1_22reduce_config_selectorIN6thrust23THRUST_200600_302600_NS5tupleIllNS6_9null_typeES8_S8_S8_S8_S8_S8_S8_EEEEZNS1_11reduce_implILb0ES3_PS9_SC_S9_NS6_11hip_rocprim9__extrema9arg_max_fIllNS6_4lessIlEEEEEE10hipError_tPvRmT1_T2_T3_mT4_P12ihipStream_tbEUlT_E0_NS1_11comp_targetILNS1_3genE5ELNS1_11target_archE942ELNS1_3gpuE9ELNS1_3repE0EEENS1_30default_config_static_selectorELNS0_4arch9wavefront6targetE1EEEvSM_
; %bb.0:
	.section	.rodata,"a",@progbits
	.p2align	6, 0x0
	.amdhsa_kernel _ZN7rocprim17ROCPRIM_400000_NS6detail17trampoline_kernelINS0_14default_configENS1_22reduce_config_selectorIN6thrust23THRUST_200600_302600_NS5tupleIllNS6_9null_typeES8_S8_S8_S8_S8_S8_S8_EEEEZNS1_11reduce_implILb0ES3_PS9_SC_S9_NS6_11hip_rocprim9__extrema9arg_max_fIllNS6_4lessIlEEEEEE10hipError_tPvRmT1_T2_T3_mT4_P12ihipStream_tbEUlT_E0_NS1_11comp_targetILNS1_3genE5ELNS1_11target_archE942ELNS1_3gpuE9ELNS1_3repE0EEENS1_30default_config_static_selectorELNS0_4arch9wavefront6targetE1EEEvSM_
		.amdhsa_group_segment_fixed_size 0
		.amdhsa_private_segment_fixed_size 0
		.amdhsa_kernarg_size 72
		.amdhsa_user_sgpr_count 6
		.amdhsa_user_sgpr_private_segment_buffer 1
		.amdhsa_user_sgpr_dispatch_ptr 0
		.amdhsa_user_sgpr_queue_ptr 0
		.amdhsa_user_sgpr_kernarg_segment_ptr 1
		.amdhsa_user_sgpr_dispatch_id 0
		.amdhsa_user_sgpr_flat_scratch_init 0
		.amdhsa_user_sgpr_kernarg_preload_length 0
		.amdhsa_user_sgpr_kernarg_preload_offset 0
		.amdhsa_user_sgpr_private_segment_size 0
		.amdhsa_uses_dynamic_stack 0
		.amdhsa_system_sgpr_private_segment_wavefront_offset 0
		.amdhsa_system_sgpr_workgroup_id_x 1
		.amdhsa_system_sgpr_workgroup_id_y 0
		.amdhsa_system_sgpr_workgroup_id_z 0
		.amdhsa_system_sgpr_workgroup_info 0
		.amdhsa_system_vgpr_workitem_id 0
		.amdhsa_next_free_vgpr 1
		.amdhsa_next_free_sgpr 0
		.amdhsa_accum_offset 4
		.amdhsa_reserve_vcc 0
		.amdhsa_reserve_flat_scratch 0
		.amdhsa_float_round_mode_32 0
		.amdhsa_float_round_mode_16_64 0
		.amdhsa_float_denorm_mode_32 3
		.amdhsa_float_denorm_mode_16_64 3
		.amdhsa_dx10_clamp 1
		.amdhsa_ieee_mode 1
		.amdhsa_fp16_overflow 0
		.amdhsa_tg_split 0
		.amdhsa_exception_fp_ieee_invalid_op 0
		.amdhsa_exception_fp_denorm_src 0
		.amdhsa_exception_fp_ieee_div_zero 0
		.amdhsa_exception_fp_ieee_overflow 0
		.amdhsa_exception_fp_ieee_underflow 0
		.amdhsa_exception_fp_ieee_inexact 0
		.amdhsa_exception_int_div_zero 0
	.end_amdhsa_kernel
	.section	.text._ZN7rocprim17ROCPRIM_400000_NS6detail17trampoline_kernelINS0_14default_configENS1_22reduce_config_selectorIN6thrust23THRUST_200600_302600_NS5tupleIllNS6_9null_typeES8_S8_S8_S8_S8_S8_S8_EEEEZNS1_11reduce_implILb0ES3_PS9_SC_S9_NS6_11hip_rocprim9__extrema9arg_max_fIllNS6_4lessIlEEEEEE10hipError_tPvRmT1_T2_T3_mT4_P12ihipStream_tbEUlT_E0_NS1_11comp_targetILNS1_3genE5ELNS1_11target_archE942ELNS1_3gpuE9ELNS1_3repE0EEENS1_30default_config_static_selectorELNS0_4arch9wavefront6targetE1EEEvSM_,"axG",@progbits,_ZN7rocprim17ROCPRIM_400000_NS6detail17trampoline_kernelINS0_14default_configENS1_22reduce_config_selectorIN6thrust23THRUST_200600_302600_NS5tupleIllNS6_9null_typeES8_S8_S8_S8_S8_S8_S8_EEEEZNS1_11reduce_implILb0ES3_PS9_SC_S9_NS6_11hip_rocprim9__extrema9arg_max_fIllNS6_4lessIlEEEEEE10hipError_tPvRmT1_T2_T3_mT4_P12ihipStream_tbEUlT_E0_NS1_11comp_targetILNS1_3genE5ELNS1_11target_archE942ELNS1_3gpuE9ELNS1_3repE0EEENS1_30default_config_static_selectorELNS0_4arch9wavefront6targetE1EEEvSM_,comdat
.Lfunc_end404:
	.size	_ZN7rocprim17ROCPRIM_400000_NS6detail17trampoline_kernelINS0_14default_configENS1_22reduce_config_selectorIN6thrust23THRUST_200600_302600_NS5tupleIllNS6_9null_typeES8_S8_S8_S8_S8_S8_S8_EEEEZNS1_11reduce_implILb0ES3_PS9_SC_S9_NS6_11hip_rocprim9__extrema9arg_max_fIllNS6_4lessIlEEEEEE10hipError_tPvRmT1_T2_T3_mT4_P12ihipStream_tbEUlT_E0_NS1_11comp_targetILNS1_3genE5ELNS1_11target_archE942ELNS1_3gpuE9ELNS1_3repE0EEENS1_30default_config_static_selectorELNS0_4arch9wavefront6targetE1EEEvSM_, .Lfunc_end404-_ZN7rocprim17ROCPRIM_400000_NS6detail17trampoline_kernelINS0_14default_configENS1_22reduce_config_selectorIN6thrust23THRUST_200600_302600_NS5tupleIllNS6_9null_typeES8_S8_S8_S8_S8_S8_S8_EEEEZNS1_11reduce_implILb0ES3_PS9_SC_S9_NS6_11hip_rocprim9__extrema9arg_max_fIllNS6_4lessIlEEEEEE10hipError_tPvRmT1_T2_T3_mT4_P12ihipStream_tbEUlT_E0_NS1_11comp_targetILNS1_3genE5ELNS1_11target_archE942ELNS1_3gpuE9ELNS1_3repE0EEENS1_30default_config_static_selectorELNS0_4arch9wavefront6targetE1EEEvSM_
                                        ; -- End function
	.section	.AMDGPU.csdata,"",@progbits
; Kernel info:
; codeLenInByte = 0
; NumSgprs: 4
; NumVgprs: 0
; NumAgprs: 0
; TotalNumVgprs: 0
; ScratchSize: 0
; MemoryBound: 0
; FloatMode: 240
; IeeeMode: 1
; LDSByteSize: 0 bytes/workgroup (compile time only)
; SGPRBlocks: 0
; VGPRBlocks: 0
; NumSGPRsForWavesPerEU: 4
; NumVGPRsForWavesPerEU: 1
; AccumOffset: 4
; Occupancy: 8
; WaveLimiterHint : 0
; COMPUTE_PGM_RSRC2:SCRATCH_EN: 0
; COMPUTE_PGM_RSRC2:USER_SGPR: 6
; COMPUTE_PGM_RSRC2:TRAP_HANDLER: 0
; COMPUTE_PGM_RSRC2:TGID_X_EN: 1
; COMPUTE_PGM_RSRC2:TGID_Y_EN: 0
; COMPUTE_PGM_RSRC2:TGID_Z_EN: 0
; COMPUTE_PGM_RSRC2:TIDIG_COMP_CNT: 0
; COMPUTE_PGM_RSRC3_GFX90A:ACCUM_OFFSET: 0
; COMPUTE_PGM_RSRC3_GFX90A:TG_SPLIT: 0
	.section	.text._ZN7rocprim17ROCPRIM_400000_NS6detail17trampoline_kernelINS0_14default_configENS1_22reduce_config_selectorIN6thrust23THRUST_200600_302600_NS5tupleIllNS6_9null_typeES8_S8_S8_S8_S8_S8_S8_EEEEZNS1_11reduce_implILb0ES3_PS9_SC_S9_NS6_11hip_rocprim9__extrema9arg_max_fIllNS6_4lessIlEEEEEE10hipError_tPvRmT1_T2_T3_mT4_P12ihipStream_tbEUlT_E0_NS1_11comp_targetILNS1_3genE4ELNS1_11target_archE910ELNS1_3gpuE8ELNS1_3repE0EEENS1_30default_config_static_selectorELNS0_4arch9wavefront6targetE1EEEvSM_,"axG",@progbits,_ZN7rocprim17ROCPRIM_400000_NS6detail17trampoline_kernelINS0_14default_configENS1_22reduce_config_selectorIN6thrust23THRUST_200600_302600_NS5tupleIllNS6_9null_typeES8_S8_S8_S8_S8_S8_S8_EEEEZNS1_11reduce_implILb0ES3_PS9_SC_S9_NS6_11hip_rocprim9__extrema9arg_max_fIllNS6_4lessIlEEEEEE10hipError_tPvRmT1_T2_T3_mT4_P12ihipStream_tbEUlT_E0_NS1_11comp_targetILNS1_3genE4ELNS1_11target_archE910ELNS1_3gpuE8ELNS1_3repE0EEENS1_30default_config_static_selectorELNS0_4arch9wavefront6targetE1EEEvSM_,comdat
	.protected	_ZN7rocprim17ROCPRIM_400000_NS6detail17trampoline_kernelINS0_14default_configENS1_22reduce_config_selectorIN6thrust23THRUST_200600_302600_NS5tupleIllNS6_9null_typeES8_S8_S8_S8_S8_S8_S8_EEEEZNS1_11reduce_implILb0ES3_PS9_SC_S9_NS6_11hip_rocprim9__extrema9arg_max_fIllNS6_4lessIlEEEEEE10hipError_tPvRmT1_T2_T3_mT4_P12ihipStream_tbEUlT_E0_NS1_11comp_targetILNS1_3genE4ELNS1_11target_archE910ELNS1_3gpuE8ELNS1_3repE0EEENS1_30default_config_static_selectorELNS0_4arch9wavefront6targetE1EEEvSM_ ; -- Begin function _ZN7rocprim17ROCPRIM_400000_NS6detail17trampoline_kernelINS0_14default_configENS1_22reduce_config_selectorIN6thrust23THRUST_200600_302600_NS5tupleIllNS6_9null_typeES8_S8_S8_S8_S8_S8_S8_EEEEZNS1_11reduce_implILb0ES3_PS9_SC_S9_NS6_11hip_rocprim9__extrema9arg_max_fIllNS6_4lessIlEEEEEE10hipError_tPvRmT1_T2_T3_mT4_P12ihipStream_tbEUlT_E0_NS1_11comp_targetILNS1_3genE4ELNS1_11target_archE910ELNS1_3gpuE8ELNS1_3repE0EEENS1_30default_config_static_selectorELNS0_4arch9wavefront6targetE1EEEvSM_
	.globl	_ZN7rocprim17ROCPRIM_400000_NS6detail17trampoline_kernelINS0_14default_configENS1_22reduce_config_selectorIN6thrust23THRUST_200600_302600_NS5tupleIllNS6_9null_typeES8_S8_S8_S8_S8_S8_S8_EEEEZNS1_11reduce_implILb0ES3_PS9_SC_S9_NS6_11hip_rocprim9__extrema9arg_max_fIllNS6_4lessIlEEEEEE10hipError_tPvRmT1_T2_T3_mT4_P12ihipStream_tbEUlT_E0_NS1_11comp_targetILNS1_3genE4ELNS1_11target_archE910ELNS1_3gpuE8ELNS1_3repE0EEENS1_30default_config_static_selectorELNS0_4arch9wavefront6targetE1EEEvSM_
	.p2align	8
	.type	_ZN7rocprim17ROCPRIM_400000_NS6detail17trampoline_kernelINS0_14default_configENS1_22reduce_config_selectorIN6thrust23THRUST_200600_302600_NS5tupleIllNS6_9null_typeES8_S8_S8_S8_S8_S8_S8_EEEEZNS1_11reduce_implILb0ES3_PS9_SC_S9_NS6_11hip_rocprim9__extrema9arg_max_fIllNS6_4lessIlEEEEEE10hipError_tPvRmT1_T2_T3_mT4_P12ihipStream_tbEUlT_E0_NS1_11comp_targetILNS1_3genE4ELNS1_11target_archE910ELNS1_3gpuE8ELNS1_3repE0EEENS1_30default_config_static_selectorELNS0_4arch9wavefront6targetE1EEEvSM_,@function
_ZN7rocprim17ROCPRIM_400000_NS6detail17trampoline_kernelINS0_14default_configENS1_22reduce_config_selectorIN6thrust23THRUST_200600_302600_NS5tupleIllNS6_9null_typeES8_S8_S8_S8_S8_S8_S8_EEEEZNS1_11reduce_implILb0ES3_PS9_SC_S9_NS6_11hip_rocprim9__extrema9arg_max_fIllNS6_4lessIlEEEEEE10hipError_tPvRmT1_T2_T3_mT4_P12ihipStream_tbEUlT_E0_NS1_11comp_targetILNS1_3genE4ELNS1_11target_archE910ELNS1_3gpuE8ELNS1_3repE0EEENS1_30default_config_static_selectorELNS0_4arch9wavefront6targetE1EEEvSM_: ; @_ZN7rocprim17ROCPRIM_400000_NS6detail17trampoline_kernelINS0_14default_configENS1_22reduce_config_selectorIN6thrust23THRUST_200600_302600_NS5tupleIllNS6_9null_typeES8_S8_S8_S8_S8_S8_S8_EEEEZNS1_11reduce_implILb0ES3_PS9_SC_S9_NS6_11hip_rocprim9__extrema9arg_max_fIllNS6_4lessIlEEEEEE10hipError_tPvRmT1_T2_T3_mT4_P12ihipStream_tbEUlT_E0_NS1_11comp_targetILNS1_3genE4ELNS1_11target_archE910ELNS1_3gpuE8ELNS1_3repE0EEENS1_30default_config_static_selectorELNS0_4arch9wavefront6targetE1EEEvSM_
; %bb.0:
	s_load_dwordx16 s[8:23], s[4:5], 0x0
	s_mov_b32 s5, 0
	s_mov_b32 s7, s5
	s_waitcnt lgkmcnt(0)
	s_lshl_b64 s[0:1], s[10:11], 4
	s_add_u32 s8, s8, s0
	s_addc_u32 s9, s9, s1
	s_lshl_b32 s4, s6, 9
	s_lshr_b64 s[0:1], s[12:13], 9
	s_lshl_b64 s[2:3], s[4:5], 4
	s_add_u32 s2, s8, s2
	s_addc_u32 s3, s9, s3
	s_cmp_lg_u64 s[0:1], s[6:7]
	s_cbranch_scc0 .LBB405_18
; %bb.1:
	v_lshlrev_b32_e32 v1, 4, v0
	v_mov_b32_e32 v2, s3
	v_add_co_u32_e32 v3, vcc, s2, v1
	v_addc_co_u32_e32 v2, vcc, 0, v2, vcc
	v_add_co_u32_e32 v10, vcc, 0x1000, v3
	v_addc_co_u32_e32 v11, vcc, 0, v2, vcc
	global_load_dwordx4 v[2:5], v1, s[2:3]
	global_load_dwordx4 v[6:9], v[10:11], off
	s_waitcnt vmcnt(0)
	v_cmp_lt_i64_e32 vcc, v[6:7], v[2:3]
	v_cmp_lt_i64_e64 s[0:1], v[4:5], v[8:9]
	s_or_b64 vcc, vcc, s[0:1]
	v_cndmask_b32_e32 v1, v6, v2, vcc
	v_cndmask_b32_e32 v10, v7, v3, vcc
	;; [unrolled: 1-line block ×4, first 2 shown]
	v_cmp_lt_i64_e32 vcc, v[2:3], v[6:7]
	v_cndmask_b32_e32 v3, v10, v7, vcc
	v_cndmask_b32_e32 v2, v1, v6, vcc
	;; [unrolled: 1-line block ×4, first 2 shown]
	v_mov_b32_dpp v6, v2 quad_perm:[1,0,3,2] row_mask:0xf bank_mask:0xf bound_ctrl:1
	v_mov_b32_dpp v7, v3 quad_perm:[1,0,3,2] row_mask:0xf bank_mask:0xf bound_ctrl:1
	;; [unrolled: 1-line block ×4, first 2 shown]
	v_cmp_ge_i64_e32 vcc, v[6:7], v[2:3]
	s_and_saveexec_b64 s[8:9], vcc
; %bb.2:
	v_mov_b32_e32 v9, v10
	v_cmp_gt_i64_e32 vcc, v[6:7], v[2:3]
	v_cmp_lt_i64_e64 s[0:1], v[8:9], v[4:5]
	s_or_b64 vcc, vcc, s[0:1]
	v_cndmask_b32_e32 v5, v5, v10, vcc
	v_cndmask_b32_e32 v4, v4, v8, vcc
	;; [unrolled: 1-line block ×4, first 2 shown]
; %bb.3:
	s_or_b64 exec, exec, s[8:9]
	s_nop 0
	v_mov_b32_dpp v6, v2 quad_perm:[2,3,0,1] row_mask:0xf bank_mask:0xf bound_ctrl:1
	v_mov_b32_dpp v7, v3 quad_perm:[2,3,0,1] row_mask:0xf bank_mask:0xf bound_ctrl:1
	;; [unrolled: 1-line block ×4, first 2 shown]
	v_cmp_ge_i64_e32 vcc, v[6:7], v[2:3]
	s_and_saveexec_b64 s[8:9], vcc
; %bb.4:
	v_mov_b32_e32 v9, v10
	v_cmp_lt_i64_e32 vcc, v[2:3], v[6:7]
	v_cmp_lt_i64_e64 s[0:1], v[8:9], v[4:5]
	s_or_b64 vcc, vcc, s[0:1]
	v_cndmask_b32_e32 v5, v5, v10, vcc
	v_cndmask_b32_e32 v4, v4, v8, vcc
	;; [unrolled: 1-line block ×4, first 2 shown]
; %bb.5:
	s_or_b64 exec, exec, s[8:9]
	s_nop 0
	v_mov_b32_dpp v6, v2 row_ror:4 row_mask:0xf bank_mask:0xf bound_ctrl:1
	v_mov_b32_dpp v7, v3 row_ror:4 row_mask:0xf bank_mask:0xf bound_ctrl:1
	;; [unrolled: 1-line block ×4, first 2 shown]
	v_cmp_ge_i64_e32 vcc, v[6:7], v[2:3]
	s_and_saveexec_b64 s[8:9], vcc
; %bb.6:
	v_mov_b32_e32 v9, v10
	v_cmp_lt_i64_e32 vcc, v[2:3], v[6:7]
	v_cmp_lt_i64_e64 s[0:1], v[8:9], v[4:5]
	s_or_b64 vcc, vcc, s[0:1]
	v_cndmask_b32_e32 v5, v5, v10, vcc
	v_cndmask_b32_e32 v4, v4, v8, vcc
	v_cndmask_b32_e32 v3, v3, v7, vcc
	v_cndmask_b32_e32 v2, v2, v6, vcc
; %bb.7:
	s_or_b64 exec, exec, s[8:9]
	s_nop 0
	v_mov_b32_dpp v6, v2 row_ror:8 row_mask:0xf bank_mask:0xf bound_ctrl:1
	v_mov_b32_dpp v7, v3 row_ror:8 row_mask:0xf bank_mask:0xf bound_ctrl:1
	;; [unrolled: 1-line block ×4, first 2 shown]
	v_cmp_ge_i64_e32 vcc, v[6:7], v[2:3]
	s_and_saveexec_b64 s[8:9], vcc
; %bb.8:
	v_mov_b32_e32 v9, v10
	v_cmp_lt_i64_e32 vcc, v[2:3], v[6:7]
	v_cmp_lt_i64_e64 s[0:1], v[8:9], v[4:5]
	s_or_b64 vcc, vcc, s[0:1]
	v_cndmask_b32_e32 v5, v5, v10, vcc
	v_cndmask_b32_e32 v4, v4, v8, vcc
	;; [unrolled: 1-line block ×4, first 2 shown]
; %bb.9:
	s_or_b64 exec, exec, s[8:9]
	s_nop 0
	v_mov_b32_dpp v6, v2 row_bcast:15 row_mask:0xf bank_mask:0xf bound_ctrl:1
	v_mov_b32_dpp v7, v3 row_bcast:15 row_mask:0xf bank_mask:0xf bound_ctrl:1
	v_mov_b32_dpp v8, v4 row_bcast:15 row_mask:0xf bank_mask:0xf bound_ctrl:1
	v_mov_b32_dpp v10, v5 row_bcast:15 row_mask:0xf bank_mask:0xf bound_ctrl:1
	v_cmp_ge_i64_e32 vcc, v[6:7], v[2:3]
	s_and_saveexec_b64 s[8:9], vcc
; %bb.10:
	v_mov_b32_e32 v9, v10
	v_cmp_lt_i64_e32 vcc, v[2:3], v[6:7]
	v_cmp_lt_i64_e64 s[0:1], v[8:9], v[4:5]
	s_or_b64 vcc, vcc, s[0:1]
	v_cndmask_b32_e32 v5, v5, v10, vcc
	v_cndmask_b32_e32 v4, v4, v8, vcc
	;; [unrolled: 1-line block ×4, first 2 shown]
; %bb.11:
	s_or_b64 exec, exec, s[8:9]
	s_nop 0
	v_mov_b32_dpp v6, v2 row_bcast:31 row_mask:0xf bank_mask:0xf bound_ctrl:1
	v_mov_b32_dpp v7, v3 row_bcast:31 row_mask:0xf bank_mask:0xf bound_ctrl:1
	;; [unrolled: 1-line block ×4, first 2 shown]
	v_cmp_ge_i64_e32 vcc, v[6:7], v[2:3]
	s_and_saveexec_b64 s[8:9], vcc
; %bb.12:
	v_mov_b32_e32 v9, v10
	v_cmp_lt_i64_e32 vcc, v[2:3], v[6:7]
	v_cmp_lt_i64_e64 s[0:1], v[8:9], v[4:5]
	s_or_b64 vcc, vcc, s[0:1]
	v_cndmask_b32_e32 v5, v5, v10, vcc
	v_cndmask_b32_e32 v4, v4, v8, vcc
	;; [unrolled: 1-line block ×4, first 2 shown]
; %bb.13:
	s_or_b64 exec, exec, s[8:9]
	v_mbcnt_lo_u32_b32 v1, -1, 0
	v_mbcnt_hi_u32_b32 v1, -1, v1
	v_bfrev_b32_e32 v6, 0.5
	v_lshl_or_b32 v6, v1, 2, v6
	ds_bpermute_b32 v2, v6, v2
	ds_bpermute_b32 v3, v6, v3
	;; [unrolled: 1-line block ×4, first 2 shown]
	v_cmp_eq_u32_e32 vcc, 0, v1
	s_and_saveexec_b64 s[0:1], vcc
	s_cbranch_execz .LBB405_15
; %bb.14:
	v_lshrrev_b32_e32 v6, 2, v0
	v_and_b32_e32 v6, 48, v6
	s_waitcnt lgkmcnt(0)
	ds_write2_b64 v6, v[2:3], v[4:5] offset1:1
.LBB405_15:
	s_or_b64 exec, exec, s[0:1]
	v_cmp_gt_u32_e32 vcc, 64, v0
	s_waitcnt lgkmcnt(0)
	s_barrier
	s_and_saveexec_b64 s[8:9], vcc
	s_cbranch_execz .LBB405_17
; %bb.16:
	v_and_b32_e32 v9, 3, v1
	v_lshlrev_b32_e32 v2, 4, v9
	ds_read2_b64 v[2:5], v2 offset1:1
	v_cmp_ne_u32_e32 vcc, 3, v9
	v_addc_co_u32_e32 v6, vcc, 0, v1, vcc
	v_lshlrev_b32_e32 v10, 2, v6
	s_waitcnt lgkmcnt(0)
	ds_bpermute_b32 v8, v10, v5
	ds_bpermute_b32 v6, v10, v2
	;; [unrolled: 1-line block ×4, first 2 shown]
	s_waitcnt lgkmcnt(3)
	v_mov_b32_e32 v11, v8
	s_waitcnt lgkmcnt(1)
	v_cmp_lt_i64_e32 vcc, v[6:7], v[2:3]
	s_waitcnt lgkmcnt(0)
	v_cmp_gt_i64_e64 s[0:1], v[10:11], v[4:5]
	s_or_b64 vcc, vcc, s[0:1]
	v_cndmask_b32_e32 v11, v6, v2, vcc
	v_cndmask_b32_e32 v12, v7, v3, vcc
	;; [unrolled: 1-line block ×4, first 2 shown]
	v_cmp_gt_i64_e32 vcc, v[6:7], v[2:3]
	v_cndmask_b32_e32 v3, v5, v8, vcc
	v_cndmask_b32_e32 v2, v4, v10, vcc
	;; [unrolled: 1-line block ×4, first 2 shown]
	v_cmp_gt_u32_e32 vcc, 2, v9
	v_cndmask_b32_e64 v6, 0, 1, vcc
	v_lshlrev_b32_e32 v6, 1, v6
	v_add_lshl_u32 v1, v6, v1, 2
	ds_bpermute_b32 v8, v1, v3
	ds_bpermute_b32 v6, v1, v4
	;; [unrolled: 1-line block ×4, first 2 shown]
	s_waitcnt lgkmcnt(3)
	v_mov_b32_e32 v11, v8
	s_waitcnt lgkmcnt(1)
	v_cmp_lt_i64_e32 vcc, v[6:7], v[4:5]
	s_waitcnt lgkmcnt(0)
	v_cmp_lt_i64_e64 s[0:1], v[2:3], v[10:11]
	s_or_b64 vcc, vcc, s[0:1]
	v_cndmask_b32_e32 v1, v6, v4, vcc
	v_cndmask_b32_e32 v9, v7, v5, vcc
	;; [unrolled: 1-line block ×4, first 2 shown]
	v_cmp_lt_i64_e32 vcc, v[4:5], v[6:7]
	v_cndmask_b32_e32 v5, v3, v8, vcc
	v_cndmask_b32_e32 v4, v2, v10, vcc
	v_cndmask_b32_e32 v3, v9, v7, vcc
	v_cndmask_b32_e32 v2, v1, v6, vcc
.LBB405_17:
	s_or_b64 exec, exec, s[8:9]
	s_branch .LBB405_46
.LBB405_18:
                                        ; implicit-def: $vgpr2_vgpr3
	s_cbranch_execz .LBB405_46
; %bb.19:
	s_sub_i32 s4, s12, s4
	v_pk_mov_b32 v[8:9], 0, 0
	v_cmp_gt_u32_e32 vcc, s4, v0
	v_pk_mov_b32 v[4:5], v[8:9], v[8:9] op_sel:[0,1]
	v_pk_mov_b32 v[2:3], v[8:9], v[8:9] op_sel:[0,1]
	s_and_saveexec_b64 s[0:1], vcc
	s_cbranch_execz .LBB405_21
; %bb.20:
	v_lshlrev_b32_e32 v1, 4, v0
	global_load_dwordx4 v[2:5], v1, s[2:3]
.LBB405_21:
	s_or_b64 exec, exec, s[0:1]
	v_or_b32_e32 v1, 0x100, v0
	v_cmp_gt_u32_e32 vcc, s4, v1
	v_pk_mov_b32 v[6:7], v[8:9], v[8:9] op_sel:[0,1]
	s_and_saveexec_b64 s[0:1], vcc
	s_cbranch_execz .LBB405_23
; %bb.22:
	v_lshlrev_b32_e32 v1, 4, v1
	global_load_dwordx4 v[6:9], v1, s[2:3]
.LBB405_23:
	s_or_b64 exec, exec, s[0:1]
	s_and_saveexec_b64 s[2:3], vcc
	s_cbranch_execz .LBB405_25
; %bb.24:
	s_waitcnt vmcnt(0)
	v_cmp_lt_i64_e32 vcc, v[6:7], v[2:3]
	v_cmp_lt_i64_e64 s[0:1], v[4:5], v[8:9]
	s_or_b64 vcc, vcc, s[0:1]
	v_cndmask_b32_e32 v1, v6, v2, vcc
	v_cndmask_b32_e32 v10, v7, v3, vcc
	;; [unrolled: 1-line block ×4, first 2 shown]
	v_cmp_lt_i64_e32 vcc, v[2:3], v[6:7]
	v_cndmask_b32_e32 v5, v5, v9, vcc
	v_cndmask_b32_e32 v4, v4, v8, vcc
	;; [unrolled: 1-line block ×4, first 2 shown]
.LBB405_25:
	s_or_b64 exec, exec, s[2:3]
	v_mbcnt_lo_u32_b32 v1, -1, 0
	v_mbcnt_hi_u32_b32 v1, -1, v1
	v_and_b32_e32 v11, 63, v1
	v_cmp_ne_u32_e32 vcc, 63, v11
	s_waitcnt vmcnt(0)
	v_addc_co_u32_e32 v6, vcc, 0, v1, vcc
	v_lshlrev_b32_e32 v9, 2, v6
	ds_bpermute_b32 v6, v9, v2
	ds_bpermute_b32 v7, v9, v3
	;; [unrolled: 1-line block ×4, first 2 shown]
	s_min_u32 s4, s4, 0x100
	v_and_b32_e32 v9, 0xc0, v0
	v_sub_u32_e64 v12, s4, v9 clamp
	v_add_u32_e32 v9, 1, v11
	v_cmp_lt_u32_e32 vcc, v9, v12
	s_and_saveexec_b64 s[2:3], vcc
	s_cbranch_execz .LBB405_27
; %bb.26:
	s_waitcnt lgkmcnt(0)
	v_mov_b32_e32 v9, v10
	v_cmp_lt_i64_e32 vcc, v[6:7], v[2:3]
	v_cmp_lt_i64_e64 s[0:1], v[4:5], v[8:9]
	s_or_b64 vcc, vcc, s[0:1]
	v_cndmask_b32_e32 v9, v6, v2, vcc
	v_cndmask_b32_e32 v13, v7, v3, vcc
	v_cndmask_b32_e32 v4, v8, v4, vcc
	v_cndmask_b32_e32 v5, v10, v5, vcc
	v_cmp_lt_i64_e32 vcc, v[2:3], v[6:7]
	v_cndmask_b32_e32 v5, v5, v10, vcc
	v_cndmask_b32_e32 v4, v4, v8, vcc
	v_cndmask_b32_e32 v3, v13, v7, vcc
	v_cndmask_b32_e32 v2, v9, v6, vcc
.LBB405_27:
	s_or_b64 exec, exec, s[2:3]
	v_cmp_gt_u32_e32 vcc, 62, v11
	s_waitcnt lgkmcnt(3)
	v_cndmask_b32_e64 v6, 0, 1, vcc
	v_lshlrev_b32_e32 v6, 1, v6
	v_add_lshl_u32 v9, v6, v1, 2
	ds_bpermute_b32 v6, v9, v2
	s_waitcnt lgkmcnt(3)
	ds_bpermute_b32 v7, v9, v3
	s_waitcnt lgkmcnt(3)
	ds_bpermute_b32 v8, v9, v4
	s_waitcnt lgkmcnt(3)
	ds_bpermute_b32 v10, v9, v5
	v_add_u32_e32 v9, 2, v11
	v_cmp_lt_u32_e32 vcc, v9, v12
	s_and_saveexec_b64 s[2:3], vcc
	s_cbranch_execz .LBB405_29
; %bb.28:
	s_waitcnt lgkmcnt(0)
	v_mov_b32_e32 v9, v10
	v_cmp_lt_i64_e32 vcc, v[6:7], v[2:3]
	v_cmp_lt_i64_e64 s[0:1], v[4:5], v[8:9]
	s_or_b64 vcc, vcc, s[0:1]
	v_cndmask_b32_e32 v9, v6, v2, vcc
	v_cndmask_b32_e32 v13, v7, v3, vcc
	v_cndmask_b32_e32 v4, v8, v4, vcc
	v_cndmask_b32_e32 v5, v10, v5, vcc
	v_cmp_lt_i64_e32 vcc, v[2:3], v[6:7]
	v_cndmask_b32_e32 v5, v5, v10, vcc
	v_cndmask_b32_e32 v4, v4, v8, vcc
	v_cndmask_b32_e32 v3, v13, v7, vcc
	v_cndmask_b32_e32 v2, v9, v6, vcc
.LBB405_29:
	s_or_b64 exec, exec, s[2:3]
	v_cmp_gt_u32_e32 vcc, 60, v11
	s_waitcnt lgkmcnt(3)
	v_cndmask_b32_e64 v6, 0, 1, vcc
	v_lshlrev_b32_e32 v6, 2, v6
	v_add_lshl_u32 v9, v6, v1, 2
	ds_bpermute_b32 v6, v9, v2
	s_waitcnt lgkmcnt(3)
	ds_bpermute_b32 v7, v9, v3
	s_waitcnt lgkmcnt(3)
	ds_bpermute_b32 v8, v9, v4
	s_waitcnt lgkmcnt(3)
	ds_bpermute_b32 v10, v9, v5
	;; [unrolled: 33-line block ×4, first 2 shown]
	v_add_u32_e32 v9, 16, v11
	v_cmp_lt_u32_e32 vcc, v9, v12
	s_and_saveexec_b64 s[2:3], vcc
	s_cbranch_execz .LBB405_35
; %bb.34:
	s_waitcnt lgkmcnt(0)
	v_mov_b32_e32 v9, v10
	v_cmp_lt_i64_e32 vcc, v[6:7], v[2:3]
	v_cmp_lt_i64_e64 s[0:1], v[4:5], v[8:9]
	s_or_b64 vcc, vcc, s[0:1]
	v_cndmask_b32_e32 v9, v6, v2, vcc
	v_cndmask_b32_e32 v13, v7, v3, vcc
	;; [unrolled: 1-line block ×4, first 2 shown]
	v_cmp_lt_i64_e32 vcc, v[2:3], v[6:7]
	v_cndmask_b32_e32 v5, v5, v10, vcc
	v_cndmask_b32_e32 v4, v4, v8, vcc
	;; [unrolled: 1-line block ×4, first 2 shown]
.LBB405_35:
	s_or_b64 exec, exec, s[2:3]
	v_cmp_gt_u32_e32 vcc, 32, v11
	s_waitcnt lgkmcnt(3)
	v_cndmask_b32_e64 v6, 0, 1, vcc
	v_lshlrev_b32_e32 v6, 5, v6
	v_add_lshl_u32 v9, v6, v1, 2
	ds_bpermute_b32 v6, v9, v2
	s_waitcnt lgkmcnt(3)
	ds_bpermute_b32 v7, v9, v3
	s_waitcnt lgkmcnt(3)
	ds_bpermute_b32 v8, v9, v4
	ds_bpermute_b32 v9, v9, v5
	s_waitcnt lgkmcnt(4)
	v_add_u32_e32 v10, 32, v11
	v_cmp_lt_u32_e32 vcc, v10, v12
	s_and_saveexec_b64 s[2:3], vcc
	s_cbranch_execz .LBB405_37
; %bb.36:
	s_waitcnt lgkmcnt(2)
	v_cmp_lt_i64_e32 vcc, v[6:7], v[2:3]
	s_waitcnt lgkmcnt(0)
	v_cmp_lt_i64_e64 s[0:1], v[4:5], v[8:9]
	s_or_b64 vcc, vcc, s[0:1]
	v_cndmask_b32_e32 v10, v6, v2, vcc
	v_cndmask_b32_e32 v11, v7, v3, vcc
	;; [unrolled: 1-line block ×4, first 2 shown]
	v_cmp_lt_i64_e32 vcc, v[2:3], v[6:7]
	v_cndmask_b32_e32 v5, v5, v9, vcc
	v_cndmask_b32_e32 v4, v4, v8, vcc
	;; [unrolled: 1-line block ×4, first 2 shown]
.LBB405_37:
	s_or_b64 exec, exec, s[2:3]
	v_cmp_eq_u32_e32 vcc, 0, v1
	s_and_saveexec_b64 s[0:1], vcc
	s_cbranch_execz .LBB405_39
; %bb.38:
	s_waitcnt lgkmcnt(3)
	v_lshrrev_b32_e32 v6, 2, v0
	v_and_b32_e32 v6, 48, v6
	ds_write2_b64 v6, v[2:3], v[4:5] offset0:8 offset1:9
.LBB405_39:
	s_or_b64 exec, exec, s[0:1]
	v_cmp_gt_u32_e32 vcc, 4, v0
	s_waitcnt lgkmcnt(0)
	s_barrier
	s_and_saveexec_b64 s[2:3], vcc
	s_cbranch_execz .LBB405_45
; %bb.40:
	v_lshlrev_b32_e32 v2, 4, v1
	ds_read2_b64 v[2:5], v2 offset0:8 offset1:9
	v_and_b32_e32 v11, 3, v1
	v_cmp_ne_u32_e32 vcc, 3, v11
	v_addc_co_u32_e32 v6, vcc, 0, v1, vcc
	v_lshlrev_b32_e32 v9, 2, v6
	s_waitcnt lgkmcnt(0)
	ds_bpermute_b32 v6, v9, v2
	ds_bpermute_b32 v7, v9, v3
	;; [unrolled: 1-line block ×4, first 2 shown]
	s_add_i32 s4, s4, 63
	s_lshr_b32 s8, s4, 6
	v_add_u32_e32 v9, 1, v11
	v_cmp_gt_u32_e32 vcc, s8, v9
	s_and_saveexec_b64 s[4:5], vcc
	s_cbranch_execz .LBB405_42
; %bb.41:
	s_waitcnt lgkmcnt(0)
	v_mov_b32_e32 v9, v10
	v_cmp_lt_i64_e32 vcc, v[6:7], v[2:3]
	v_cmp_lt_i64_e64 s[0:1], v[4:5], v[8:9]
	s_or_b64 vcc, vcc, s[0:1]
	v_cndmask_b32_e32 v9, v6, v2, vcc
	v_cndmask_b32_e32 v12, v7, v3, vcc
	;; [unrolled: 1-line block ×4, first 2 shown]
	v_cmp_lt_i64_e32 vcc, v[2:3], v[6:7]
	v_cndmask_b32_e32 v5, v5, v10, vcc
	v_cndmask_b32_e32 v4, v4, v8, vcc
	;; [unrolled: 1-line block ×4, first 2 shown]
.LBB405_42:
	s_or_b64 exec, exec, s[4:5]
	v_cmp_gt_u32_e32 vcc, 2, v11
	s_waitcnt lgkmcnt(3)
	v_cndmask_b32_e64 v6, 0, 1, vcc
	v_lshlrev_b32_e32 v6, 1, v6
	v_add_lshl_u32 v1, v6, v1, 2
	ds_bpermute_b32 v6, v1, v2
	s_waitcnt lgkmcnt(3)
	ds_bpermute_b32 v7, v1, v3
	s_waitcnt lgkmcnt(3)
	ds_bpermute_b32 v8, v1, v4
	ds_bpermute_b32 v9, v1, v5
	v_add_u32_e32 v1, 2, v11
	v_cmp_gt_u32_e32 vcc, s8, v1
	s_and_saveexec_b64 s[4:5], vcc
	s_cbranch_execz .LBB405_44
; %bb.43:
	s_waitcnt lgkmcnt(2)
	v_cmp_lt_i64_e32 vcc, v[6:7], v[2:3]
	s_waitcnt lgkmcnt(0)
	v_cmp_lt_i64_e64 s[0:1], v[4:5], v[8:9]
	s_or_b64 vcc, vcc, s[0:1]
	v_cndmask_b32_e32 v1, v6, v2, vcc
	v_cndmask_b32_e32 v10, v7, v3, vcc
	v_cndmask_b32_e32 v4, v8, v4, vcc
	v_cndmask_b32_e32 v5, v9, v5, vcc
	v_cmp_lt_i64_e32 vcc, v[2:3], v[6:7]
	v_cndmask_b32_e32 v5, v5, v9, vcc
	v_cndmask_b32_e32 v4, v4, v8, vcc
	;; [unrolled: 1-line block ×4, first 2 shown]
.LBB405_44:
	s_or_b64 exec, exec, s[4:5]
.LBB405_45:
	s_or_b64 exec, exec, s[2:3]
.LBB405_46:
	v_cmp_eq_u32_e32 vcc, 0, v0
	s_and_saveexec_b64 s[0:1], vcc
	s_cbranch_execnz .LBB405_48
; %bb.47:
	s_endpgm
.LBB405_48:
	s_mul_i32 s0, s18, s17
	s_mul_hi_u32 s1, s18, s16
	s_add_i32 s0, s1, s0
	s_mul_i32 s1, s19, s16
	s_add_i32 s1, s0, s1
	s_mul_i32 s0, s18, s16
	s_lshl_b64 s[0:1], s[0:1], 4
	s_add_u32 s2, s14, s0
	s_addc_u32 s3, s15, s1
	s_cmp_eq_u64 s[12:13], 0
	v_mov_b32_e32 v0, s23
	s_cselect_b64 vcc, -1, 0
	v_cndmask_b32_e32 v5, v5, v0, vcc
	v_mov_b32_e32 v0, s22
	v_cndmask_b32_e32 v4, v4, v0, vcc
	v_mov_b32_e32 v0, s21
	s_lshl_b64 s[0:1], s[6:7], 4
	v_cndmask_b32_e32 v3, v3, v0, vcc
	v_mov_b32_e32 v0, s20
	s_add_u32 s0, s2, s0
	v_cndmask_b32_e32 v2, v2, v0, vcc
	s_addc_u32 s1, s3, s1
	v_mov_b32_e32 v0, 0
	global_store_dwordx4 v0, v[2:5], s[0:1]
	s_endpgm
	.section	.rodata,"a",@progbits
	.p2align	6, 0x0
	.amdhsa_kernel _ZN7rocprim17ROCPRIM_400000_NS6detail17trampoline_kernelINS0_14default_configENS1_22reduce_config_selectorIN6thrust23THRUST_200600_302600_NS5tupleIllNS6_9null_typeES8_S8_S8_S8_S8_S8_S8_EEEEZNS1_11reduce_implILb0ES3_PS9_SC_S9_NS6_11hip_rocprim9__extrema9arg_max_fIllNS6_4lessIlEEEEEE10hipError_tPvRmT1_T2_T3_mT4_P12ihipStream_tbEUlT_E0_NS1_11comp_targetILNS1_3genE4ELNS1_11target_archE910ELNS1_3gpuE8ELNS1_3repE0EEENS1_30default_config_static_selectorELNS0_4arch9wavefront6targetE1EEEvSM_
		.amdhsa_group_segment_fixed_size 128
		.amdhsa_private_segment_fixed_size 0
		.amdhsa_kernarg_size 72
		.amdhsa_user_sgpr_count 6
		.amdhsa_user_sgpr_private_segment_buffer 1
		.amdhsa_user_sgpr_dispatch_ptr 0
		.amdhsa_user_sgpr_queue_ptr 0
		.amdhsa_user_sgpr_kernarg_segment_ptr 1
		.amdhsa_user_sgpr_dispatch_id 0
		.amdhsa_user_sgpr_flat_scratch_init 0
		.amdhsa_user_sgpr_kernarg_preload_length 0
		.amdhsa_user_sgpr_kernarg_preload_offset 0
		.amdhsa_user_sgpr_private_segment_size 0
		.amdhsa_uses_dynamic_stack 0
		.amdhsa_system_sgpr_private_segment_wavefront_offset 0
		.amdhsa_system_sgpr_workgroup_id_x 1
		.amdhsa_system_sgpr_workgroup_id_y 0
		.amdhsa_system_sgpr_workgroup_id_z 0
		.amdhsa_system_sgpr_workgroup_info 0
		.amdhsa_system_vgpr_workitem_id 0
		.amdhsa_next_free_vgpr 14
		.amdhsa_next_free_sgpr 24
		.amdhsa_accum_offset 16
		.amdhsa_reserve_vcc 1
		.amdhsa_reserve_flat_scratch 0
		.amdhsa_float_round_mode_32 0
		.amdhsa_float_round_mode_16_64 0
		.amdhsa_float_denorm_mode_32 3
		.amdhsa_float_denorm_mode_16_64 3
		.amdhsa_dx10_clamp 1
		.amdhsa_ieee_mode 1
		.amdhsa_fp16_overflow 0
		.amdhsa_tg_split 0
		.amdhsa_exception_fp_ieee_invalid_op 0
		.amdhsa_exception_fp_denorm_src 0
		.amdhsa_exception_fp_ieee_div_zero 0
		.amdhsa_exception_fp_ieee_overflow 0
		.amdhsa_exception_fp_ieee_underflow 0
		.amdhsa_exception_fp_ieee_inexact 0
		.amdhsa_exception_int_div_zero 0
	.end_amdhsa_kernel
	.section	.text._ZN7rocprim17ROCPRIM_400000_NS6detail17trampoline_kernelINS0_14default_configENS1_22reduce_config_selectorIN6thrust23THRUST_200600_302600_NS5tupleIllNS6_9null_typeES8_S8_S8_S8_S8_S8_S8_EEEEZNS1_11reduce_implILb0ES3_PS9_SC_S9_NS6_11hip_rocprim9__extrema9arg_max_fIllNS6_4lessIlEEEEEE10hipError_tPvRmT1_T2_T3_mT4_P12ihipStream_tbEUlT_E0_NS1_11comp_targetILNS1_3genE4ELNS1_11target_archE910ELNS1_3gpuE8ELNS1_3repE0EEENS1_30default_config_static_selectorELNS0_4arch9wavefront6targetE1EEEvSM_,"axG",@progbits,_ZN7rocprim17ROCPRIM_400000_NS6detail17trampoline_kernelINS0_14default_configENS1_22reduce_config_selectorIN6thrust23THRUST_200600_302600_NS5tupleIllNS6_9null_typeES8_S8_S8_S8_S8_S8_S8_EEEEZNS1_11reduce_implILb0ES3_PS9_SC_S9_NS6_11hip_rocprim9__extrema9arg_max_fIllNS6_4lessIlEEEEEE10hipError_tPvRmT1_T2_T3_mT4_P12ihipStream_tbEUlT_E0_NS1_11comp_targetILNS1_3genE4ELNS1_11target_archE910ELNS1_3gpuE8ELNS1_3repE0EEENS1_30default_config_static_selectorELNS0_4arch9wavefront6targetE1EEEvSM_,comdat
.Lfunc_end405:
	.size	_ZN7rocprim17ROCPRIM_400000_NS6detail17trampoline_kernelINS0_14default_configENS1_22reduce_config_selectorIN6thrust23THRUST_200600_302600_NS5tupleIllNS6_9null_typeES8_S8_S8_S8_S8_S8_S8_EEEEZNS1_11reduce_implILb0ES3_PS9_SC_S9_NS6_11hip_rocprim9__extrema9arg_max_fIllNS6_4lessIlEEEEEE10hipError_tPvRmT1_T2_T3_mT4_P12ihipStream_tbEUlT_E0_NS1_11comp_targetILNS1_3genE4ELNS1_11target_archE910ELNS1_3gpuE8ELNS1_3repE0EEENS1_30default_config_static_selectorELNS0_4arch9wavefront6targetE1EEEvSM_, .Lfunc_end405-_ZN7rocprim17ROCPRIM_400000_NS6detail17trampoline_kernelINS0_14default_configENS1_22reduce_config_selectorIN6thrust23THRUST_200600_302600_NS5tupleIllNS6_9null_typeES8_S8_S8_S8_S8_S8_S8_EEEEZNS1_11reduce_implILb0ES3_PS9_SC_S9_NS6_11hip_rocprim9__extrema9arg_max_fIllNS6_4lessIlEEEEEE10hipError_tPvRmT1_T2_T3_mT4_P12ihipStream_tbEUlT_E0_NS1_11comp_targetILNS1_3genE4ELNS1_11target_archE910ELNS1_3gpuE8ELNS1_3repE0EEENS1_30default_config_static_selectorELNS0_4arch9wavefront6targetE1EEEvSM_
                                        ; -- End function
	.section	.AMDGPU.csdata,"",@progbits
; Kernel info:
; codeLenInByte = 2624
; NumSgprs: 28
; NumVgprs: 14
; NumAgprs: 0
; TotalNumVgprs: 14
; ScratchSize: 0
; MemoryBound: 1
; FloatMode: 240
; IeeeMode: 1
; LDSByteSize: 128 bytes/workgroup (compile time only)
; SGPRBlocks: 3
; VGPRBlocks: 1
; NumSGPRsForWavesPerEU: 28
; NumVGPRsForWavesPerEU: 14
; AccumOffset: 16
; Occupancy: 8
; WaveLimiterHint : 1
; COMPUTE_PGM_RSRC2:SCRATCH_EN: 0
; COMPUTE_PGM_RSRC2:USER_SGPR: 6
; COMPUTE_PGM_RSRC2:TRAP_HANDLER: 0
; COMPUTE_PGM_RSRC2:TGID_X_EN: 1
; COMPUTE_PGM_RSRC2:TGID_Y_EN: 0
; COMPUTE_PGM_RSRC2:TGID_Z_EN: 0
; COMPUTE_PGM_RSRC2:TIDIG_COMP_CNT: 0
; COMPUTE_PGM_RSRC3_GFX90A:ACCUM_OFFSET: 3
; COMPUTE_PGM_RSRC3_GFX90A:TG_SPLIT: 0
	.section	.text._ZN7rocprim17ROCPRIM_400000_NS6detail17trampoline_kernelINS0_14default_configENS1_22reduce_config_selectorIN6thrust23THRUST_200600_302600_NS5tupleIllNS6_9null_typeES8_S8_S8_S8_S8_S8_S8_EEEEZNS1_11reduce_implILb0ES3_PS9_SC_S9_NS6_11hip_rocprim9__extrema9arg_max_fIllNS6_4lessIlEEEEEE10hipError_tPvRmT1_T2_T3_mT4_P12ihipStream_tbEUlT_E0_NS1_11comp_targetILNS1_3genE3ELNS1_11target_archE908ELNS1_3gpuE7ELNS1_3repE0EEENS1_30default_config_static_selectorELNS0_4arch9wavefront6targetE1EEEvSM_,"axG",@progbits,_ZN7rocprim17ROCPRIM_400000_NS6detail17trampoline_kernelINS0_14default_configENS1_22reduce_config_selectorIN6thrust23THRUST_200600_302600_NS5tupleIllNS6_9null_typeES8_S8_S8_S8_S8_S8_S8_EEEEZNS1_11reduce_implILb0ES3_PS9_SC_S9_NS6_11hip_rocprim9__extrema9arg_max_fIllNS6_4lessIlEEEEEE10hipError_tPvRmT1_T2_T3_mT4_P12ihipStream_tbEUlT_E0_NS1_11comp_targetILNS1_3genE3ELNS1_11target_archE908ELNS1_3gpuE7ELNS1_3repE0EEENS1_30default_config_static_selectorELNS0_4arch9wavefront6targetE1EEEvSM_,comdat
	.protected	_ZN7rocprim17ROCPRIM_400000_NS6detail17trampoline_kernelINS0_14default_configENS1_22reduce_config_selectorIN6thrust23THRUST_200600_302600_NS5tupleIllNS6_9null_typeES8_S8_S8_S8_S8_S8_S8_EEEEZNS1_11reduce_implILb0ES3_PS9_SC_S9_NS6_11hip_rocprim9__extrema9arg_max_fIllNS6_4lessIlEEEEEE10hipError_tPvRmT1_T2_T3_mT4_P12ihipStream_tbEUlT_E0_NS1_11comp_targetILNS1_3genE3ELNS1_11target_archE908ELNS1_3gpuE7ELNS1_3repE0EEENS1_30default_config_static_selectorELNS0_4arch9wavefront6targetE1EEEvSM_ ; -- Begin function _ZN7rocprim17ROCPRIM_400000_NS6detail17trampoline_kernelINS0_14default_configENS1_22reduce_config_selectorIN6thrust23THRUST_200600_302600_NS5tupleIllNS6_9null_typeES8_S8_S8_S8_S8_S8_S8_EEEEZNS1_11reduce_implILb0ES3_PS9_SC_S9_NS6_11hip_rocprim9__extrema9arg_max_fIllNS6_4lessIlEEEEEE10hipError_tPvRmT1_T2_T3_mT4_P12ihipStream_tbEUlT_E0_NS1_11comp_targetILNS1_3genE3ELNS1_11target_archE908ELNS1_3gpuE7ELNS1_3repE0EEENS1_30default_config_static_selectorELNS0_4arch9wavefront6targetE1EEEvSM_
	.globl	_ZN7rocprim17ROCPRIM_400000_NS6detail17trampoline_kernelINS0_14default_configENS1_22reduce_config_selectorIN6thrust23THRUST_200600_302600_NS5tupleIllNS6_9null_typeES8_S8_S8_S8_S8_S8_S8_EEEEZNS1_11reduce_implILb0ES3_PS9_SC_S9_NS6_11hip_rocprim9__extrema9arg_max_fIllNS6_4lessIlEEEEEE10hipError_tPvRmT1_T2_T3_mT4_P12ihipStream_tbEUlT_E0_NS1_11comp_targetILNS1_3genE3ELNS1_11target_archE908ELNS1_3gpuE7ELNS1_3repE0EEENS1_30default_config_static_selectorELNS0_4arch9wavefront6targetE1EEEvSM_
	.p2align	8
	.type	_ZN7rocprim17ROCPRIM_400000_NS6detail17trampoline_kernelINS0_14default_configENS1_22reduce_config_selectorIN6thrust23THRUST_200600_302600_NS5tupleIllNS6_9null_typeES8_S8_S8_S8_S8_S8_S8_EEEEZNS1_11reduce_implILb0ES3_PS9_SC_S9_NS6_11hip_rocprim9__extrema9arg_max_fIllNS6_4lessIlEEEEEE10hipError_tPvRmT1_T2_T3_mT4_P12ihipStream_tbEUlT_E0_NS1_11comp_targetILNS1_3genE3ELNS1_11target_archE908ELNS1_3gpuE7ELNS1_3repE0EEENS1_30default_config_static_selectorELNS0_4arch9wavefront6targetE1EEEvSM_,@function
_ZN7rocprim17ROCPRIM_400000_NS6detail17trampoline_kernelINS0_14default_configENS1_22reduce_config_selectorIN6thrust23THRUST_200600_302600_NS5tupleIllNS6_9null_typeES8_S8_S8_S8_S8_S8_S8_EEEEZNS1_11reduce_implILb0ES3_PS9_SC_S9_NS6_11hip_rocprim9__extrema9arg_max_fIllNS6_4lessIlEEEEEE10hipError_tPvRmT1_T2_T3_mT4_P12ihipStream_tbEUlT_E0_NS1_11comp_targetILNS1_3genE3ELNS1_11target_archE908ELNS1_3gpuE7ELNS1_3repE0EEENS1_30default_config_static_selectorELNS0_4arch9wavefront6targetE1EEEvSM_: ; @_ZN7rocprim17ROCPRIM_400000_NS6detail17trampoline_kernelINS0_14default_configENS1_22reduce_config_selectorIN6thrust23THRUST_200600_302600_NS5tupleIllNS6_9null_typeES8_S8_S8_S8_S8_S8_S8_EEEEZNS1_11reduce_implILb0ES3_PS9_SC_S9_NS6_11hip_rocprim9__extrema9arg_max_fIllNS6_4lessIlEEEEEE10hipError_tPvRmT1_T2_T3_mT4_P12ihipStream_tbEUlT_E0_NS1_11comp_targetILNS1_3genE3ELNS1_11target_archE908ELNS1_3gpuE7ELNS1_3repE0EEENS1_30default_config_static_selectorELNS0_4arch9wavefront6targetE1EEEvSM_
; %bb.0:
	.section	.rodata,"a",@progbits
	.p2align	6, 0x0
	.amdhsa_kernel _ZN7rocprim17ROCPRIM_400000_NS6detail17trampoline_kernelINS0_14default_configENS1_22reduce_config_selectorIN6thrust23THRUST_200600_302600_NS5tupleIllNS6_9null_typeES8_S8_S8_S8_S8_S8_S8_EEEEZNS1_11reduce_implILb0ES3_PS9_SC_S9_NS6_11hip_rocprim9__extrema9arg_max_fIllNS6_4lessIlEEEEEE10hipError_tPvRmT1_T2_T3_mT4_P12ihipStream_tbEUlT_E0_NS1_11comp_targetILNS1_3genE3ELNS1_11target_archE908ELNS1_3gpuE7ELNS1_3repE0EEENS1_30default_config_static_selectorELNS0_4arch9wavefront6targetE1EEEvSM_
		.amdhsa_group_segment_fixed_size 0
		.amdhsa_private_segment_fixed_size 0
		.amdhsa_kernarg_size 72
		.amdhsa_user_sgpr_count 6
		.amdhsa_user_sgpr_private_segment_buffer 1
		.amdhsa_user_sgpr_dispatch_ptr 0
		.amdhsa_user_sgpr_queue_ptr 0
		.amdhsa_user_sgpr_kernarg_segment_ptr 1
		.amdhsa_user_sgpr_dispatch_id 0
		.amdhsa_user_sgpr_flat_scratch_init 0
		.amdhsa_user_sgpr_kernarg_preload_length 0
		.amdhsa_user_sgpr_kernarg_preload_offset 0
		.amdhsa_user_sgpr_private_segment_size 0
		.amdhsa_uses_dynamic_stack 0
		.amdhsa_system_sgpr_private_segment_wavefront_offset 0
		.amdhsa_system_sgpr_workgroup_id_x 1
		.amdhsa_system_sgpr_workgroup_id_y 0
		.amdhsa_system_sgpr_workgroup_id_z 0
		.amdhsa_system_sgpr_workgroup_info 0
		.amdhsa_system_vgpr_workitem_id 0
		.amdhsa_next_free_vgpr 1
		.amdhsa_next_free_sgpr 0
		.amdhsa_accum_offset 4
		.amdhsa_reserve_vcc 0
		.amdhsa_reserve_flat_scratch 0
		.amdhsa_float_round_mode_32 0
		.amdhsa_float_round_mode_16_64 0
		.amdhsa_float_denorm_mode_32 3
		.amdhsa_float_denorm_mode_16_64 3
		.amdhsa_dx10_clamp 1
		.amdhsa_ieee_mode 1
		.amdhsa_fp16_overflow 0
		.amdhsa_tg_split 0
		.amdhsa_exception_fp_ieee_invalid_op 0
		.amdhsa_exception_fp_denorm_src 0
		.amdhsa_exception_fp_ieee_div_zero 0
		.amdhsa_exception_fp_ieee_overflow 0
		.amdhsa_exception_fp_ieee_underflow 0
		.amdhsa_exception_fp_ieee_inexact 0
		.amdhsa_exception_int_div_zero 0
	.end_amdhsa_kernel
	.section	.text._ZN7rocprim17ROCPRIM_400000_NS6detail17trampoline_kernelINS0_14default_configENS1_22reduce_config_selectorIN6thrust23THRUST_200600_302600_NS5tupleIllNS6_9null_typeES8_S8_S8_S8_S8_S8_S8_EEEEZNS1_11reduce_implILb0ES3_PS9_SC_S9_NS6_11hip_rocprim9__extrema9arg_max_fIllNS6_4lessIlEEEEEE10hipError_tPvRmT1_T2_T3_mT4_P12ihipStream_tbEUlT_E0_NS1_11comp_targetILNS1_3genE3ELNS1_11target_archE908ELNS1_3gpuE7ELNS1_3repE0EEENS1_30default_config_static_selectorELNS0_4arch9wavefront6targetE1EEEvSM_,"axG",@progbits,_ZN7rocprim17ROCPRIM_400000_NS6detail17trampoline_kernelINS0_14default_configENS1_22reduce_config_selectorIN6thrust23THRUST_200600_302600_NS5tupleIllNS6_9null_typeES8_S8_S8_S8_S8_S8_S8_EEEEZNS1_11reduce_implILb0ES3_PS9_SC_S9_NS6_11hip_rocprim9__extrema9arg_max_fIllNS6_4lessIlEEEEEE10hipError_tPvRmT1_T2_T3_mT4_P12ihipStream_tbEUlT_E0_NS1_11comp_targetILNS1_3genE3ELNS1_11target_archE908ELNS1_3gpuE7ELNS1_3repE0EEENS1_30default_config_static_selectorELNS0_4arch9wavefront6targetE1EEEvSM_,comdat
.Lfunc_end406:
	.size	_ZN7rocprim17ROCPRIM_400000_NS6detail17trampoline_kernelINS0_14default_configENS1_22reduce_config_selectorIN6thrust23THRUST_200600_302600_NS5tupleIllNS6_9null_typeES8_S8_S8_S8_S8_S8_S8_EEEEZNS1_11reduce_implILb0ES3_PS9_SC_S9_NS6_11hip_rocprim9__extrema9arg_max_fIllNS6_4lessIlEEEEEE10hipError_tPvRmT1_T2_T3_mT4_P12ihipStream_tbEUlT_E0_NS1_11comp_targetILNS1_3genE3ELNS1_11target_archE908ELNS1_3gpuE7ELNS1_3repE0EEENS1_30default_config_static_selectorELNS0_4arch9wavefront6targetE1EEEvSM_, .Lfunc_end406-_ZN7rocprim17ROCPRIM_400000_NS6detail17trampoline_kernelINS0_14default_configENS1_22reduce_config_selectorIN6thrust23THRUST_200600_302600_NS5tupleIllNS6_9null_typeES8_S8_S8_S8_S8_S8_S8_EEEEZNS1_11reduce_implILb0ES3_PS9_SC_S9_NS6_11hip_rocprim9__extrema9arg_max_fIllNS6_4lessIlEEEEEE10hipError_tPvRmT1_T2_T3_mT4_P12ihipStream_tbEUlT_E0_NS1_11comp_targetILNS1_3genE3ELNS1_11target_archE908ELNS1_3gpuE7ELNS1_3repE0EEENS1_30default_config_static_selectorELNS0_4arch9wavefront6targetE1EEEvSM_
                                        ; -- End function
	.section	.AMDGPU.csdata,"",@progbits
; Kernel info:
; codeLenInByte = 0
; NumSgprs: 4
; NumVgprs: 0
; NumAgprs: 0
; TotalNumVgprs: 0
; ScratchSize: 0
; MemoryBound: 0
; FloatMode: 240
; IeeeMode: 1
; LDSByteSize: 0 bytes/workgroup (compile time only)
; SGPRBlocks: 0
; VGPRBlocks: 0
; NumSGPRsForWavesPerEU: 4
; NumVGPRsForWavesPerEU: 1
; AccumOffset: 4
; Occupancy: 8
; WaveLimiterHint : 0
; COMPUTE_PGM_RSRC2:SCRATCH_EN: 0
; COMPUTE_PGM_RSRC2:USER_SGPR: 6
; COMPUTE_PGM_RSRC2:TRAP_HANDLER: 0
; COMPUTE_PGM_RSRC2:TGID_X_EN: 1
; COMPUTE_PGM_RSRC2:TGID_Y_EN: 0
; COMPUTE_PGM_RSRC2:TGID_Z_EN: 0
; COMPUTE_PGM_RSRC2:TIDIG_COMP_CNT: 0
; COMPUTE_PGM_RSRC3_GFX90A:ACCUM_OFFSET: 0
; COMPUTE_PGM_RSRC3_GFX90A:TG_SPLIT: 0
	.section	.text._ZN7rocprim17ROCPRIM_400000_NS6detail17trampoline_kernelINS0_14default_configENS1_22reduce_config_selectorIN6thrust23THRUST_200600_302600_NS5tupleIllNS6_9null_typeES8_S8_S8_S8_S8_S8_S8_EEEEZNS1_11reduce_implILb0ES3_PS9_SC_S9_NS6_11hip_rocprim9__extrema9arg_max_fIllNS6_4lessIlEEEEEE10hipError_tPvRmT1_T2_T3_mT4_P12ihipStream_tbEUlT_E0_NS1_11comp_targetILNS1_3genE2ELNS1_11target_archE906ELNS1_3gpuE6ELNS1_3repE0EEENS1_30default_config_static_selectorELNS0_4arch9wavefront6targetE1EEEvSM_,"axG",@progbits,_ZN7rocprim17ROCPRIM_400000_NS6detail17trampoline_kernelINS0_14default_configENS1_22reduce_config_selectorIN6thrust23THRUST_200600_302600_NS5tupleIllNS6_9null_typeES8_S8_S8_S8_S8_S8_S8_EEEEZNS1_11reduce_implILb0ES3_PS9_SC_S9_NS6_11hip_rocprim9__extrema9arg_max_fIllNS6_4lessIlEEEEEE10hipError_tPvRmT1_T2_T3_mT4_P12ihipStream_tbEUlT_E0_NS1_11comp_targetILNS1_3genE2ELNS1_11target_archE906ELNS1_3gpuE6ELNS1_3repE0EEENS1_30default_config_static_selectorELNS0_4arch9wavefront6targetE1EEEvSM_,comdat
	.protected	_ZN7rocprim17ROCPRIM_400000_NS6detail17trampoline_kernelINS0_14default_configENS1_22reduce_config_selectorIN6thrust23THRUST_200600_302600_NS5tupleIllNS6_9null_typeES8_S8_S8_S8_S8_S8_S8_EEEEZNS1_11reduce_implILb0ES3_PS9_SC_S9_NS6_11hip_rocprim9__extrema9arg_max_fIllNS6_4lessIlEEEEEE10hipError_tPvRmT1_T2_T3_mT4_P12ihipStream_tbEUlT_E0_NS1_11comp_targetILNS1_3genE2ELNS1_11target_archE906ELNS1_3gpuE6ELNS1_3repE0EEENS1_30default_config_static_selectorELNS0_4arch9wavefront6targetE1EEEvSM_ ; -- Begin function _ZN7rocprim17ROCPRIM_400000_NS6detail17trampoline_kernelINS0_14default_configENS1_22reduce_config_selectorIN6thrust23THRUST_200600_302600_NS5tupleIllNS6_9null_typeES8_S8_S8_S8_S8_S8_S8_EEEEZNS1_11reduce_implILb0ES3_PS9_SC_S9_NS6_11hip_rocprim9__extrema9arg_max_fIllNS6_4lessIlEEEEEE10hipError_tPvRmT1_T2_T3_mT4_P12ihipStream_tbEUlT_E0_NS1_11comp_targetILNS1_3genE2ELNS1_11target_archE906ELNS1_3gpuE6ELNS1_3repE0EEENS1_30default_config_static_selectorELNS0_4arch9wavefront6targetE1EEEvSM_
	.globl	_ZN7rocprim17ROCPRIM_400000_NS6detail17trampoline_kernelINS0_14default_configENS1_22reduce_config_selectorIN6thrust23THRUST_200600_302600_NS5tupleIllNS6_9null_typeES8_S8_S8_S8_S8_S8_S8_EEEEZNS1_11reduce_implILb0ES3_PS9_SC_S9_NS6_11hip_rocprim9__extrema9arg_max_fIllNS6_4lessIlEEEEEE10hipError_tPvRmT1_T2_T3_mT4_P12ihipStream_tbEUlT_E0_NS1_11comp_targetILNS1_3genE2ELNS1_11target_archE906ELNS1_3gpuE6ELNS1_3repE0EEENS1_30default_config_static_selectorELNS0_4arch9wavefront6targetE1EEEvSM_
	.p2align	8
	.type	_ZN7rocprim17ROCPRIM_400000_NS6detail17trampoline_kernelINS0_14default_configENS1_22reduce_config_selectorIN6thrust23THRUST_200600_302600_NS5tupleIllNS6_9null_typeES8_S8_S8_S8_S8_S8_S8_EEEEZNS1_11reduce_implILb0ES3_PS9_SC_S9_NS6_11hip_rocprim9__extrema9arg_max_fIllNS6_4lessIlEEEEEE10hipError_tPvRmT1_T2_T3_mT4_P12ihipStream_tbEUlT_E0_NS1_11comp_targetILNS1_3genE2ELNS1_11target_archE906ELNS1_3gpuE6ELNS1_3repE0EEENS1_30default_config_static_selectorELNS0_4arch9wavefront6targetE1EEEvSM_,@function
_ZN7rocprim17ROCPRIM_400000_NS6detail17trampoline_kernelINS0_14default_configENS1_22reduce_config_selectorIN6thrust23THRUST_200600_302600_NS5tupleIllNS6_9null_typeES8_S8_S8_S8_S8_S8_S8_EEEEZNS1_11reduce_implILb0ES3_PS9_SC_S9_NS6_11hip_rocprim9__extrema9arg_max_fIllNS6_4lessIlEEEEEE10hipError_tPvRmT1_T2_T3_mT4_P12ihipStream_tbEUlT_E0_NS1_11comp_targetILNS1_3genE2ELNS1_11target_archE906ELNS1_3gpuE6ELNS1_3repE0EEENS1_30default_config_static_selectorELNS0_4arch9wavefront6targetE1EEEvSM_: ; @_ZN7rocprim17ROCPRIM_400000_NS6detail17trampoline_kernelINS0_14default_configENS1_22reduce_config_selectorIN6thrust23THRUST_200600_302600_NS5tupleIllNS6_9null_typeES8_S8_S8_S8_S8_S8_S8_EEEEZNS1_11reduce_implILb0ES3_PS9_SC_S9_NS6_11hip_rocprim9__extrema9arg_max_fIllNS6_4lessIlEEEEEE10hipError_tPvRmT1_T2_T3_mT4_P12ihipStream_tbEUlT_E0_NS1_11comp_targetILNS1_3genE2ELNS1_11target_archE906ELNS1_3gpuE6ELNS1_3repE0EEENS1_30default_config_static_selectorELNS0_4arch9wavefront6targetE1EEEvSM_
; %bb.0:
	.section	.rodata,"a",@progbits
	.p2align	6, 0x0
	.amdhsa_kernel _ZN7rocprim17ROCPRIM_400000_NS6detail17trampoline_kernelINS0_14default_configENS1_22reduce_config_selectorIN6thrust23THRUST_200600_302600_NS5tupleIllNS6_9null_typeES8_S8_S8_S8_S8_S8_S8_EEEEZNS1_11reduce_implILb0ES3_PS9_SC_S9_NS6_11hip_rocprim9__extrema9arg_max_fIllNS6_4lessIlEEEEEE10hipError_tPvRmT1_T2_T3_mT4_P12ihipStream_tbEUlT_E0_NS1_11comp_targetILNS1_3genE2ELNS1_11target_archE906ELNS1_3gpuE6ELNS1_3repE0EEENS1_30default_config_static_selectorELNS0_4arch9wavefront6targetE1EEEvSM_
		.amdhsa_group_segment_fixed_size 0
		.amdhsa_private_segment_fixed_size 0
		.amdhsa_kernarg_size 72
		.amdhsa_user_sgpr_count 6
		.amdhsa_user_sgpr_private_segment_buffer 1
		.amdhsa_user_sgpr_dispatch_ptr 0
		.amdhsa_user_sgpr_queue_ptr 0
		.amdhsa_user_sgpr_kernarg_segment_ptr 1
		.amdhsa_user_sgpr_dispatch_id 0
		.amdhsa_user_sgpr_flat_scratch_init 0
		.amdhsa_user_sgpr_kernarg_preload_length 0
		.amdhsa_user_sgpr_kernarg_preload_offset 0
		.amdhsa_user_sgpr_private_segment_size 0
		.amdhsa_uses_dynamic_stack 0
		.amdhsa_system_sgpr_private_segment_wavefront_offset 0
		.amdhsa_system_sgpr_workgroup_id_x 1
		.amdhsa_system_sgpr_workgroup_id_y 0
		.amdhsa_system_sgpr_workgroup_id_z 0
		.amdhsa_system_sgpr_workgroup_info 0
		.amdhsa_system_vgpr_workitem_id 0
		.amdhsa_next_free_vgpr 1
		.amdhsa_next_free_sgpr 0
		.amdhsa_accum_offset 4
		.amdhsa_reserve_vcc 0
		.amdhsa_reserve_flat_scratch 0
		.amdhsa_float_round_mode_32 0
		.amdhsa_float_round_mode_16_64 0
		.amdhsa_float_denorm_mode_32 3
		.amdhsa_float_denorm_mode_16_64 3
		.amdhsa_dx10_clamp 1
		.amdhsa_ieee_mode 1
		.amdhsa_fp16_overflow 0
		.amdhsa_tg_split 0
		.amdhsa_exception_fp_ieee_invalid_op 0
		.amdhsa_exception_fp_denorm_src 0
		.amdhsa_exception_fp_ieee_div_zero 0
		.amdhsa_exception_fp_ieee_overflow 0
		.amdhsa_exception_fp_ieee_underflow 0
		.amdhsa_exception_fp_ieee_inexact 0
		.amdhsa_exception_int_div_zero 0
	.end_amdhsa_kernel
	.section	.text._ZN7rocprim17ROCPRIM_400000_NS6detail17trampoline_kernelINS0_14default_configENS1_22reduce_config_selectorIN6thrust23THRUST_200600_302600_NS5tupleIllNS6_9null_typeES8_S8_S8_S8_S8_S8_S8_EEEEZNS1_11reduce_implILb0ES3_PS9_SC_S9_NS6_11hip_rocprim9__extrema9arg_max_fIllNS6_4lessIlEEEEEE10hipError_tPvRmT1_T2_T3_mT4_P12ihipStream_tbEUlT_E0_NS1_11comp_targetILNS1_3genE2ELNS1_11target_archE906ELNS1_3gpuE6ELNS1_3repE0EEENS1_30default_config_static_selectorELNS0_4arch9wavefront6targetE1EEEvSM_,"axG",@progbits,_ZN7rocprim17ROCPRIM_400000_NS6detail17trampoline_kernelINS0_14default_configENS1_22reduce_config_selectorIN6thrust23THRUST_200600_302600_NS5tupleIllNS6_9null_typeES8_S8_S8_S8_S8_S8_S8_EEEEZNS1_11reduce_implILb0ES3_PS9_SC_S9_NS6_11hip_rocprim9__extrema9arg_max_fIllNS6_4lessIlEEEEEE10hipError_tPvRmT1_T2_T3_mT4_P12ihipStream_tbEUlT_E0_NS1_11comp_targetILNS1_3genE2ELNS1_11target_archE906ELNS1_3gpuE6ELNS1_3repE0EEENS1_30default_config_static_selectorELNS0_4arch9wavefront6targetE1EEEvSM_,comdat
.Lfunc_end407:
	.size	_ZN7rocprim17ROCPRIM_400000_NS6detail17trampoline_kernelINS0_14default_configENS1_22reduce_config_selectorIN6thrust23THRUST_200600_302600_NS5tupleIllNS6_9null_typeES8_S8_S8_S8_S8_S8_S8_EEEEZNS1_11reduce_implILb0ES3_PS9_SC_S9_NS6_11hip_rocprim9__extrema9arg_max_fIllNS6_4lessIlEEEEEE10hipError_tPvRmT1_T2_T3_mT4_P12ihipStream_tbEUlT_E0_NS1_11comp_targetILNS1_3genE2ELNS1_11target_archE906ELNS1_3gpuE6ELNS1_3repE0EEENS1_30default_config_static_selectorELNS0_4arch9wavefront6targetE1EEEvSM_, .Lfunc_end407-_ZN7rocprim17ROCPRIM_400000_NS6detail17trampoline_kernelINS0_14default_configENS1_22reduce_config_selectorIN6thrust23THRUST_200600_302600_NS5tupleIllNS6_9null_typeES8_S8_S8_S8_S8_S8_S8_EEEEZNS1_11reduce_implILb0ES3_PS9_SC_S9_NS6_11hip_rocprim9__extrema9arg_max_fIllNS6_4lessIlEEEEEE10hipError_tPvRmT1_T2_T3_mT4_P12ihipStream_tbEUlT_E0_NS1_11comp_targetILNS1_3genE2ELNS1_11target_archE906ELNS1_3gpuE6ELNS1_3repE0EEENS1_30default_config_static_selectorELNS0_4arch9wavefront6targetE1EEEvSM_
                                        ; -- End function
	.section	.AMDGPU.csdata,"",@progbits
; Kernel info:
; codeLenInByte = 0
; NumSgprs: 4
; NumVgprs: 0
; NumAgprs: 0
; TotalNumVgprs: 0
; ScratchSize: 0
; MemoryBound: 0
; FloatMode: 240
; IeeeMode: 1
; LDSByteSize: 0 bytes/workgroup (compile time only)
; SGPRBlocks: 0
; VGPRBlocks: 0
; NumSGPRsForWavesPerEU: 4
; NumVGPRsForWavesPerEU: 1
; AccumOffset: 4
; Occupancy: 8
; WaveLimiterHint : 0
; COMPUTE_PGM_RSRC2:SCRATCH_EN: 0
; COMPUTE_PGM_RSRC2:USER_SGPR: 6
; COMPUTE_PGM_RSRC2:TRAP_HANDLER: 0
; COMPUTE_PGM_RSRC2:TGID_X_EN: 1
; COMPUTE_PGM_RSRC2:TGID_Y_EN: 0
; COMPUTE_PGM_RSRC2:TGID_Z_EN: 0
; COMPUTE_PGM_RSRC2:TIDIG_COMP_CNT: 0
; COMPUTE_PGM_RSRC3_GFX90A:ACCUM_OFFSET: 0
; COMPUTE_PGM_RSRC3_GFX90A:TG_SPLIT: 0
	.section	.text._ZN7rocprim17ROCPRIM_400000_NS6detail17trampoline_kernelINS0_14default_configENS1_22reduce_config_selectorIN6thrust23THRUST_200600_302600_NS5tupleIllNS6_9null_typeES8_S8_S8_S8_S8_S8_S8_EEEEZNS1_11reduce_implILb0ES3_PS9_SC_S9_NS6_11hip_rocprim9__extrema9arg_max_fIllNS6_4lessIlEEEEEE10hipError_tPvRmT1_T2_T3_mT4_P12ihipStream_tbEUlT_E0_NS1_11comp_targetILNS1_3genE10ELNS1_11target_archE1201ELNS1_3gpuE5ELNS1_3repE0EEENS1_30default_config_static_selectorELNS0_4arch9wavefront6targetE1EEEvSM_,"axG",@progbits,_ZN7rocprim17ROCPRIM_400000_NS6detail17trampoline_kernelINS0_14default_configENS1_22reduce_config_selectorIN6thrust23THRUST_200600_302600_NS5tupleIllNS6_9null_typeES8_S8_S8_S8_S8_S8_S8_EEEEZNS1_11reduce_implILb0ES3_PS9_SC_S9_NS6_11hip_rocprim9__extrema9arg_max_fIllNS6_4lessIlEEEEEE10hipError_tPvRmT1_T2_T3_mT4_P12ihipStream_tbEUlT_E0_NS1_11comp_targetILNS1_3genE10ELNS1_11target_archE1201ELNS1_3gpuE5ELNS1_3repE0EEENS1_30default_config_static_selectorELNS0_4arch9wavefront6targetE1EEEvSM_,comdat
	.protected	_ZN7rocprim17ROCPRIM_400000_NS6detail17trampoline_kernelINS0_14default_configENS1_22reduce_config_selectorIN6thrust23THRUST_200600_302600_NS5tupleIllNS6_9null_typeES8_S8_S8_S8_S8_S8_S8_EEEEZNS1_11reduce_implILb0ES3_PS9_SC_S9_NS6_11hip_rocprim9__extrema9arg_max_fIllNS6_4lessIlEEEEEE10hipError_tPvRmT1_T2_T3_mT4_P12ihipStream_tbEUlT_E0_NS1_11comp_targetILNS1_3genE10ELNS1_11target_archE1201ELNS1_3gpuE5ELNS1_3repE0EEENS1_30default_config_static_selectorELNS0_4arch9wavefront6targetE1EEEvSM_ ; -- Begin function _ZN7rocprim17ROCPRIM_400000_NS6detail17trampoline_kernelINS0_14default_configENS1_22reduce_config_selectorIN6thrust23THRUST_200600_302600_NS5tupleIllNS6_9null_typeES8_S8_S8_S8_S8_S8_S8_EEEEZNS1_11reduce_implILb0ES3_PS9_SC_S9_NS6_11hip_rocprim9__extrema9arg_max_fIllNS6_4lessIlEEEEEE10hipError_tPvRmT1_T2_T3_mT4_P12ihipStream_tbEUlT_E0_NS1_11comp_targetILNS1_3genE10ELNS1_11target_archE1201ELNS1_3gpuE5ELNS1_3repE0EEENS1_30default_config_static_selectorELNS0_4arch9wavefront6targetE1EEEvSM_
	.globl	_ZN7rocprim17ROCPRIM_400000_NS6detail17trampoline_kernelINS0_14default_configENS1_22reduce_config_selectorIN6thrust23THRUST_200600_302600_NS5tupleIllNS6_9null_typeES8_S8_S8_S8_S8_S8_S8_EEEEZNS1_11reduce_implILb0ES3_PS9_SC_S9_NS6_11hip_rocprim9__extrema9arg_max_fIllNS6_4lessIlEEEEEE10hipError_tPvRmT1_T2_T3_mT4_P12ihipStream_tbEUlT_E0_NS1_11comp_targetILNS1_3genE10ELNS1_11target_archE1201ELNS1_3gpuE5ELNS1_3repE0EEENS1_30default_config_static_selectorELNS0_4arch9wavefront6targetE1EEEvSM_
	.p2align	8
	.type	_ZN7rocprim17ROCPRIM_400000_NS6detail17trampoline_kernelINS0_14default_configENS1_22reduce_config_selectorIN6thrust23THRUST_200600_302600_NS5tupleIllNS6_9null_typeES8_S8_S8_S8_S8_S8_S8_EEEEZNS1_11reduce_implILb0ES3_PS9_SC_S9_NS6_11hip_rocprim9__extrema9arg_max_fIllNS6_4lessIlEEEEEE10hipError_tPvRmT1_T2_T3_mT4_P12ihipStream_tbEUlT_E0_NS1_11comp_targetILNS1_3genE10ELNS1_11target_archE1201ELNS1_3gpuE5ELNS1_3repE0EEENS1_30default_config_static_selectorELNS0_4arch9wavefront6targetE1EEEvSM_,@function
_ZN7rocprim17ROCPRIM_400000_NS6detail17trampoline_kernelINS0_14default_configENS1_22reduce_config_selectorIN6thrust23THRUST_200600_302600_NS5tupleIllNS6_9null_typeES8_S8_S8_S8_S8_S8_S8_EEEEZNS1_11reduce_implILb0ES3_PS9_SC_S9_NS6_11hip_rocprim9__extrema9arg_max_fIllNS6_4lessIlEEEEEE10hipError_tPvRmT1_T2_T3_mT4_P12ihipStream_tbEUlT_E0_NS1_11comp_targetILNS1_3genE10ELNS1_11target_archE1201ELNS1_3gpuE5ELNS1_3repE0EEENS1_30default_config_static_selectorELNS0_4arch9wavefront6targetE1EEEvSM_: ; @_ZN7rocprim17ROCPRIM_400000_NS6detail17trampoline_kernelINS0_14default_configENS1_22reduce_config_selectorIN6thrust23THRUST_200600_302600_NS5tupleIllNS6_9null_typeES8_S8_S8_S8_S8_S8_S8_EEEEZNS1_11reduce_implILb0ES3_PS9_SC_S9_NS6_11hip_rocprim9__extrema9arg_max_fIllNS6_4lessIlEEEEEE10hipError_tPvRmT1_T2_T3_mT4_P12ihipStream_tbEUlT_E0_NS1_11comp_targetILNS1_3genE10ELNS1_11target_archE1201ELNS1_3gpuE5ELNS1_3repE0EEENS1_30default_config_static_selectorELNS0_4arch9wavefront6targetE1EEEvSM_
; %bb.0:
	.section	.rodata,"a",@progbits
	.p2align	6, 0x0
	.amdhsa_kernel _ZN7rocprim17ROCPRIM_400000_NS6detail17trampoline_kernelINS0_14default_configENS1_22reduce_config_selectorIN6thrust23THRUST_200600_302600_NS5tupleIllNS6_9null_typeES8_S8_S8_S8_S8_S8_S8_EEEEZNS1_11reduce_implILb0ES3_PS9_SC_S9_NS6_11hip_rocprim9__extrema9arg_max_fIllNS6_4lessIlEEEEEE10hipError_tPvRmT1_T2_T3_mT4_P12ihipStream_tbEUlT_E0_NS1_11comp_targetILNS1_3genE10ELNS1_11target_archE1201ELNS1_3gpuE5ELNS1_3repE0EEENS1_30default_config_static_selectorELNS0_4arch9wavefront6targetE1EEEvSM_
		.amdhsa_group_segment_fixed_size 0
		.amdhsa_private_segment_fixed_size 0
		.amdhsa_kernarg_size 72
		.amdhsa_user_sgpr_count 6
		.amdhsa_user_sgpr_private_segment_buffer 1
		.amdhsa_user_sgpr_dispatch_ptr 0
		.amdhsa_user_sgpr_queue_ptr 0
		.amdhsa_user_sgpr_kernarg_segment_ptr 1
		.amdhsa_user_sgpr_dispatch_id 0
		.amdhsa_user_sgpr_flat_scratch_init 0
		.amdhsa_user_sgpr_kernarg_preload_length 0
		.amdhsa_user_sgpr_kernarg_preload_offset 0
		.amdhsa_user_sgpr_private_segment_size 0
		.amdhsa_uses_dynamic_stack 0
		.amdhsa_system_sgpr_private_segment_wavefront_offset 0
		.amdhsa_system_sgpr_workgroup_id_x 1
		.amdhsa_system_sgpr_workgroup_id_y 0
		.amdhsa_system_sgpr_workgroup_id_z 0
		.amdhsa_system_sgpr_workgroup_info 0
		.amdhsa_system_vgpr_workitem_id 0
		.amdhsa_next_free_vgpr 1
		.amdhsa_next_free_sgpr 0
		.amdhsa_accum_offset 4
		.amdhsa_reserve_vcc 0
		.amdhsa_reserve_flat_scratch 0
		.amdhsa_float_round_mode_32 0
		.amdhsa_float_round_mode_16_64 0
		.amdhsa_float_denorm_mode_32 3
		.amdhsa_float_denorm_mode_16_64 3
		.amdhsa_dx10_clamp 1
		.amdhsa_ieee_mode 1
		.amdhsa_fp16_overflow 0
		.amdhsa_tg_split 0
		.amdhsa_exception_fp_ieee_invalid_op 0
		.amdhsa_exception_fp_denorm_src 0
		.amdhsa_exception_fp_ieee_div_zero 0
		.amdhsa_exception_fp_ieee_overflow 0
		.amdhsa_exception_fp_ieee_underflow 0
		.amdhsa_exception_fp_ieee_inexact 0
		.amdhsa_exception_int_div_zero 0
	.end_amdhsa_kernel
	.section	.text._ZN7rocprim17ROCPRIM_400000_NS6detail17trampoline_kernelINS0_14default_configENS1_22reduce_config_selectorIN6thrust23THRUST_200600_302600_NS5tupleIllNS6_9null_typeES8_S8_S8_S8_S8_S8_S8_EEEEZNS1_11reduce_implILb0ES3_PS9_SC_S9_NS6_11hip_rocprim9__extrema9arg_max_fIllNS6_4lessIlEEEEEE10hipError_tPvRmT1_T2_T3_mT4_P12ihipStream_tbEUlT_E0_NS1_11comp_targetILNS1_3genE10ELNS1_11target_archE1201ELNS1_3gpuE5ELNS1_3repE0EEENS1_30default_config_static_selectorELNS0_4arch9wavefront6targetE1EEEvSM_,"axG",@progbits,_ZN7rocprim17ROCPRIM_400000_NS6detail17trampoline_kernelINS0_14default_configENS1_22reduce_config_selectorIN6thrust23THRUST_200600_302600_NS5tupleIllNS6_9null_typeES8_S8_S8_S8_S8_S8_S8_EEEEZNS1_11reduce_implILb0ES3_PS9_SC_S9_NS6_11hip_rocprim9__extrema9arg_max_fIllNS6_4lessIlEEEEEE10hipError_tPvRmT1_T2_T3_mT4_P12ihipStream_tbEUlT_E0_NS1_11comp_targetILNS1_3genE10ELNS1_11target_archE1201ELNS1_3gpuE5ELNS1_3repE0EEENS1_30default_config_static_selectorELNS0_4arch9wavefront6targetE1EEEvSM_,comdat
.Lfunc_end408:
	.size	_ZN7rocprim17ROCPRIM_400000_NS6detail17trampoline_kernelINS0_14default_configENS1_22reduce_config_selectorIN6thrust23THRUST_200600_302600_NS5tupleIllNS6_9null_typeES8_S8_S8_S8_S8_S8_S8_EEEEZNS1_11reduce_implILb0ES3_PS9_SC_S9_NS6_11hip_rocprim9__extrema9arg_max_fIllNS6_4lessIlEEEEEE10hipError_tPvRmT1_T2_T3_mT4_P12ihipStream_tbEUlT_E0_NS1_11comp_targetILNS1_3genE10ELNS1_11target_archE1201ELNS1_3gpuE5ELNS1_3repE0EEENS1_30default_config_static_selectorELNS0_4arch9wavefront6targetE1EEEvSM_, .Lfunc_end408-_ZN7rocprim17ROCPRIM_400000_NS6detail17trampoline_kernelINS0_14default_configENS1_22reduce_config_selectorIN6thrust23THRUST_200600_302600_NS5tupleIllNS6_9null_typeES8_S8_S8_S8_S8_S8_S8_EEEEZNS1_11reduce_implILb0ES3_PS9_SC_S9_NS6_11hip_rocprim9__extrema9arg_max_fIllNS6_4lessIlEEEEEE10hipError_tPvRmT1_T2_T3_mT4_P12ihipStream_tbEUlT_E0_NS1_11comp_targetILNS1_3genE10ELNS1_11target_archE1201ELNS1_3gpuE5ELNS1_3repE0EEENS1_30default_config_static_selectorELNS0_4arch9wavefront6targetE1EEEvSM_
                                        ; -- End function
	.section	.AMDGPU.csdata,"",@progbits
; Kernel info:
; codeLenInByte = 0
; NumSgprs: 4
; NumVgprs: 0
; NumAgprs: 0
; TotalNumVgprs: 0
; ScratchSize: 0
; MemoryBound: 0
; FloatMode: 240
; IeeeMode: 1
; LDSByteSize: 0 bytes/workgroup (compile time only)
; SGPRBlocks: 0
; VGPRBlocks: 0
; NumSGPRsForWavesPerEU: 4
; NumVGPRsForWavesPerEU: 1
; AccumOffset: 4
; Occupancy: 8
; WaveLimiterHint : 0
; COMPUTE_PGM_RSRC2:SCRATCH_EN: 0
; COMPUTE_PGM_RSRC2:USER_SGPR: 6
; COMPUTE_PGM_RSRC2:TRAP_HANDLER: 0
; COMPUTE_PGM_RSRC2:TGID_X_EN: 1
; COMPUTE_PGM_RSRC2:TGID_Y_EN: 0
; COMPUTE_PGM_RSRC2:TGID_Z_EN: 0
; COMPUTE_PGM_RSRC2:TIDIG_COMP_CNT: 0
; COMPUTE_PGM_RSRC3_GFX90A:ACCUM_OFFSET: 0
; COMPUTE_PGM_RSRC3_GFX90A:TG_SPLIT: 0
	.section	.text._ZN7rocprim17ROCPRIM_400000_NS6detail17trampoline_kernelINS0_14default_configENS1_22reduce_config_selectorIN6thrust23THRUST_200600_302600_NS5tupleIllNS6_9null_typeES8_S8_S8_S8_S8_S8_S8_EEEEZNS1_11reduce_implILb0ES3_PS9_SC_S9_NS6_11hip_rocprim9__extrema9arg_max_fIllNS6_4lessIlEEEEEE10hipError_tPvRmT1_T2_T3_mT4_P12ihipStream_tbEUlT_E0_NS1_11comp_targetILNS1_3genE10ELNS1_11target_archE1200ELNS1_3gpuE4ELNS1_3repE0EEENS1_30default_config_static_selectorELNS0_4arch9wavefront6targetE1EEEvSM_,"axG",@progbits,_ZN7rocprim17ROCPRIM_400000_NS6detail17trampoline_kernelINS0_14default_configENS1_22reduce_config_selectorIN6thrust23THRUST_200600_302600_NS5tupleIllNS6_9null_typeES8_S8_S8_S8_S8_S8_S8_EEEEZNS1_11reduce_implILb0ES3_PS9_SC_S9_NS6_11hip_rocprim9__extrema9arg_max_fIllNS6_4lessIlEEEEEE10hipError_tPvRmT1_T2_T3_mT4_P12ihipStream_tbEUlT_E0_NS1_11comp_targetILNS1_3genE10ELNS1_11target_archE1200ELNS1_3gpuE4ELNS1_3repE0EEENS1_30default_config_static_selectorELNS0_4arch9wavefront6targetE1EEEvSM_,comdat
	.protected	_ZN7rocprim17ROCPRIM_400000_NS6detail17trampoline_kernelINS0_14default_configENS1_22reduce_config_selectorIN6thrust23THRUST_200600_302600_NS5tupleIllNS6_9null_typeES8_S8_S8_S8_S8_S8_S8_EEEEZNS1_11reduce_implILb0ES3_PS9_SC_S9_NS6_11hip_rocprim9__extrema9arg_max_fIllNS6_4lessIlEEEEEE10hipError_tPvRmT1_T2_T3_mT4_P12ihipStream_tbEUlT_E0_NS1_11comp_targetILNS1_3genE10ELNS1_11target_archE1200ELNS1_3gpuE4ELNS1_3repE0EEENS1_30default_config_static_selectorELNS0_4arch9wavefront6targetE1EEEvSM_ ; -- Begin function _ZN7rocprim17ROCPRIM_400000_NS6detail17trampoline_kernelINS0_14default_configENS1_22reduce_config_selectorIN6thrust23THRUST_200600_302600_NS5tupleIllNS6_9null_typeES8_S8_S8_S8_S8_S8_S8_EEEEZNS1_11reduce_implILb0ES3_PS9_SC_S9_NS6_11hip_rocprim9__extrema9arg_max_fIllNS6_4lessIlEEEEEE10hipError_tPvRmT1_T2_T3_mT4_P12ihipStream_tbEUlT_E0_NS1_11comp_targetILNS1_3genE10ELNS1_11target_archE1200ELNS1_3gpuE4ELNS1_3repE0EEENS1_30default_config_static_selectorELNS0_4arch9wavefront6targetE1EEEvSM_
	.globl	_ZN7rocprim17ROCPRIM_400000_NS6detail17trampoline_kernelINS0_14default_configENS1_22reduce_config_selectorIN6thrust23THRUST_200600_302600_NS5tupleIllNS6_9null_typeES8_S8_S8_S8_S8_S8_S8_EEEEZNS1_11reduce_implILb0ES3_PS9_SC_S9_NS6_11hip_rocprim9__extrema9arg_max_fIllNS6_4lessIlEEEEEE10hipError_tPvRmT1_T2_T3_mT4_P12ihipStream_tbEUlT_E0_NS1_11comp_targetILNS1_3genE10ELNS1_11target_archE1200ELNS1_3gpuE4ELNS1_3repE0EEENS1_30default_config_static_selectorELNS0_4arch9wavefront6targetE1EEEvSM_
	.p2align	8
	.type	_ZN7rocprim17ROCPRIM_400000_NS6detail17trampoline_kernelINS0_14default_configENS1_22reduce_config_selectorIN6thrust23THRUST_200600_302600_NS5tupleIllNS6_9null_typeES8_S8_S8_S8_S8_S8_S8_EEEEZNS1_11reduce_implILb0ES3_PS9_SC_S9_NS6_11hip_rocprim9__extrema9arg_max_fIllNS6_4lessIlEEEEEE10hipError_tPvRmT1_T2_T3_mT4_P12ihipStream_tbEUlT_E0_NS1_11comp_targetILNS1_3genE10ELNS1_11target_archE1200ELNS1_3gpuE4ELNS1_3repE0EEENS1_30default_config_static_selectorELNS0_4arch9wavefront6targetE1EEEvSM_,@function
_ZN7rocprim17ROCPRIM_400000_NS6detail17trampoline_kernelINS0_14default_configENS1_22reduce_config_selectorIN6thrust23THRUST_200600_302600_NS5tupleIllNS6_9null_typeES8_S8_S8_S8_S8_S8_S8_EEEEZNS1_11reduce_implILb0ES3_PS9_SC_S9_NS6_11hip_rocprim9__extrema9arg_max_fIllNS6_4lessIlEEEEEE10hipError_tPvRmT1_T2_T3_mT4_P12ihipStream_tbEUlT_E0_NS1_11comp_targetILNS1_3genE10ELNS1_11target_archE1200ELNS1_3gpuE4ELNS1_3repE0EEENS1_30default_config_static_selectorELNS0_4arch9wavefront6targetE1EEEvSM_: ; @_ZN7rocprim17ROCPRIM_400000_NS6detail17trampoline_kernelINS0_14default_configENS1_22reduce_config_selectorIN6thrust23THRUST_200600_302600_NS5tupleIllNS6_9null_typeES8_S8_S8_S8_S8_S8_S8_EEEEZNS1_11reduce_implILb0ES3_PS9_SC_S9_NS6_11hip_rocprim9__extrema9arg_max_fIllNS6_4lessIlEEEEEE10hipError_tPvRmT1_T2_T3_mT4_P12ihipStream_tbEUlT_E0_NS1_11comp_targetILNS1_3genE10ELNS1_11target_archE1200ELNS1_3gpuE4ELNS1_3repE0EEENS1_30default_config_static_selectorELNS0_4arch9wavefront6targetE1EEEvSM_
; %bb.0:
	.section	.rodata,"a",@progbits
	.p2align	6, 0x0
	.amdhsa_kernel _ZN7rocprim17ROCPRIM_400000_NS6detail17trampoline_kernelINS0_14default_configENS1_22reduce_config_selectorIN6thrust23THRUST_200600_302600_NS5tupleIllNS6_9null_typeES8_S8_S8_S8_S8_S8_S8_EEEEZNS1_11reduce_implILb0ES3_PS9_SC_S9_NS6_11hip_rocprim9__extrema9arg_max_fIllNS6_4lessIlEEEEEE10hipError_tPvRmT1_T2_T3_mT4_P12ihipStream_tbEUlT_E0_NS1_11comp_targetILNS1_3genE10ELNS1_11target_archE1200ELNS1_3gpuE4ELNS1_3repE0EEENS1_30default_config_static_selectorELNS0_4arch9wavefront6targetE1EEEvSM_
		.amdhsa_group_segment_fixed_size 0
		.amdhsa_private_segment_fixed_size 0
		.amdhsa_kernarg_size 72
		.amdhsa_user_sgpr_count 6
		.amdhsa_user_sgpr_private_segment_buffer 1
		.amdhsa_user_sgpr_dispatch_ptr 0
		.amdhsa_user_sgpr_queue_ptr 0
		.amdhsa_user_sgpr_kernarg_segment_ptr 1
		.amdhsa_user_sgpr_dispatch_id 0
		.amdhsa_user_sgpr_flat_scratch_init 0
		.amdhsa_user_sgpr_kernarg_preload_length 0
		.amdhsa_user_sgpr_kernarg_preload_offset 0
		.amdhsa_user_sgpr_private_segment_size 0
		.amdhsa_uses_dynamic_stack 0
		.amdhsa_system_sgpr_private_segment_wavefront_offset 0
		.amdhsa_system_sgpr_workgroup_id_x 1
		.amdhsa_system_sgpr_workgroup_id_y 0
		.amdhsa_system_sgpr_workgroup_id_z 0
		.amdhsa_system_sgpr_workgroup_info 0
		.amdhsa_system_vgpr_workitem_id 0
		.amdhsa_next_free_vgpr 1
		.amdhsa_next_free_sgpr 0
		.amdhsa_accum_offset 4
		.amdhsa_reserve_vcc 0
		.amdhsa_reserve_flat_scratch 0
		.amdhsa_float_round_mode_32 0
		.amdhsa_float_round_mode_16_64 0
		.amdhsa_float_denorm_mode_32 3
		.amdhsa_float_denorm_mode_16_64 3
		.amdhsa_dx10_clamp 1
		.amdhsa_ieee_mode 1
		.amdhsa_fp16_overflow 0
		.amdhsa_tg_split 0
		.amdhsa_exception_fp_ieee_invalid_op 0
		.amdhsa_exception_fp_denorm_src 0
		.amdhsa_exception_fp_ieee_div_zero 0
		.amdhsa_exception_fp_ieee_overflow 0
		.amdhsa_exception_fp_ieee_underflow 0
		.amdhsa_exception_fp_ieee_inexact 0
		.amdhsa_exception_int_div_zero 0
	.end_amdhsa_kernel
	.section	.text._ZN7rocprim17ROCPRIM_400000_NS6detail17trampoline_kernelINS0_14default_configENS1_22reduce_config_selectorIN6thrust23THRUST_200600_302600_NS5tupleIllNS6_9null_typeES8_S8_S8_S8_S8_S8_S8_EEEEZNS1_11reduce_implILb0ES3_PS9_SC_S9_NS6_11hip_rocprim9__extrema9arg_max_fIllNS6_4lessIlEEEEEE10hipError_tPvRmT1_T2_T3_mT4_P12ihipStream_tbEUlT_E0_NS1_11comp_targetILNS1_3genE10ELNS1_11target_archE1200ELNS1_3gpuE4ELNS1_3repE0EEENS1_30default_config_static_selectorELNS0_4arch9wavefront6targetE1EEEvSM_,"axG",@progbits,_ZN7rocprim17ROCPRIM_400000_NS6detail17trampoline_kernelINS0_14default_configENS1_22reduce_config_selectorIN6thrust23THRUST_200600_302600_NS5tupleIllNS6_9null_typeES8_S8_S8_S8_S8_S8_S8_EEEEZNS1_11reduce_implILb0ES3_PS9_SC_S9_NS6_11hip_rocprim9__extrema9arg_max_fIllNS6_4lessIlEEEEEE10hipError_tPvRmT1_T2_T3_mT4_P12ihipStream_tbEUlT_E0_NS1_11comp_targetILNS1_3genE10ELNS1_11target_archE1200ELNS1_3gpuE4ELNS1_3repE0EEENS1_30default_config_static_selectorELNS0_4arch9wavefront6targetE1EEEvSM_,comdat
.Lfunc_end409:
	.size	_ZN7rocprim17ROCPRIM_400000_NS6detail17trampoline_kernelINS0_14default_configENS1_22reduce_config_selectorIN6thrust23THRUST_200600_302600_NS5tupleIllNS6_9null_typeES8_S8_S8_S8_S8_S8_S8_EEEEZNS1_11reduce_implILb0ES3_PS9_SC_S9_NS6_11hip_rocprim9__extrema9arg_max_fIllNS6_4lessIlEEEEEE10hipError_tPvRmT1_T2_T3_mT4_P12ihipStream_tbEUlT_E0_NS1_11comp_targetILNS1_3genE10ELNS1_11target_archE1200ELNS1_3gpuE4ELNS1_3repE0EEENS1_30default_config_static_selectorELNS0_4arch9wavefront6targetE1EEEvSM_, .Lfunc_end409-_ZN7rocprim17ROCPRIM_400000_NS6detail17trampoline_kernelINS0_14default_configENS1_22reduce_config_selectorIN6thrust23THRUST_200600_302600_NS5tupleIllNS6_9null_typeES8_S8_S8_S8_S8_S8_S8_EEEEZNS1_11reduce_implILb0ES3_PS9_SC_S9_NS6_11hip_rocprim9__extrema9arg_max_fIllNS6_4lessIlEEEEEE10hipError_tPvRmT1_T2_T3_mT4_P12ihipStream_tbEUlT_E0_NS1_11comp_targetILNS1_3genE10ELNS1_11target_archE1200ELNS1_3gpuE4ELNS1_3repE0EEENS1_30default_config_static_selectorELNS0_4arch9wavefront6targetE1EEEvSM_
                                        ; -- End function
	.section	.AMDGPU.csdata,"",@progbits
; Kernel info:
; codeLenInByte = 0
; NumSgprs: 4
; NumVgprs: 0
; NumAgprs: 0
; TotalNumVgprs: 0
; ScratchSize: 0
; MemoryBound: 0
; FloatMode: 240
; IeeeMode: 1
; LDSByteSize: 0 bytes/workgroup (compile time only)
; SGPRBlocks: 0
; VGPRBlocks: 0
; NumSGPRsForWavesPerEU: 4
; NumVGPRsForWavesPerEU: 1
; AccumOffset: 4
; Occupancy: 8
; WaveLimiterHint : 0
; COMPUTE_PGM_RSRC2:SCRATCH_EN: 0
; COMPUTE_PGM_RSRC2:USER_SGPR: 6
; COMPUTE_PGM_RSRC2:TRAP_HANDLER: 0
; COMPUTE_PGM_RSRC2:TGID_X_EN: 1
; COMPUTE_PGM_RSRC2:TGID_Y_EN: 0
; COMPUTE_PGM_RSRC2:TGID_Z_EN: 0
; COMPUTE_PGM_RSRC2:TIDIG_COMP_CNT: 0
; COMPUTE_PGM_RSRC3_GFX90A:ACCUM_OFFSET: 0
; COMPUTE_PGM_RSRC3_GFX90A:TG_SPLIT: 0
	.section	.text._ZN7rocprim17ROCPRIM_400000_NS6detail17trampoline_kernelINS0_14default_configENS1_22reduce_config_selectorIN6thrust23THRUST_200600_302600_NS5tupleIllNS6_9null_typeES8_S8_S8_S8_S8_S8_S8_EEEEZNS1_11reduce_implILb0ES3_PS9_SC_S9_NS6_11hip_rocprim9__extrema9arg_max_fIllNS6_4lessIlEEEEEE10hipError_tPvRmT1_T2_T3_mT4_P12ihipStream_tbEUlT_E0_NS1_11comp_targetILNS1_3genE9ELNS1_11target_archE1100ELNS1_3gpuE3ELNS1_3repE0EEENS1_30default_config_static_selectorELNS0_4arch9wavefront6targetE1EEEvSM_,"axG",@progbits,_ZN7rocprim17ROCPRIM_400000_NS6detail17trampoline_kernelINS0_14default_configENS1_22reduce_config_selectorIN6thrust23THRUST_200600_302600_NS5tupleIllNS6_9null_typeES8_S8_S8_S8_S8_S8_S8_EEEEZNS1_11reduce_implILb0ES3_PS9_SC_S9_NS6_11hip_rocprim9__extrema9arg_max_fIllNS6_4lessIlEEEEEE10hipError_tPvRmT1_T2_T3_mT4_P12ihipStream_tbEUlT_E0_NS1_11comp_targetILNS1_3genE9ELNS1_11target_archE1100ELNS1_3gpuE3ELNS1_3repE0EEENS1_30default_config_static_selectorELNS0_4arch9wavefront6targetE1EEEvSM_,comdat
	.protected	_ZN7rocprim17ROCPRIM_400000_NS6detail17trampoline_kernelINS0_14default_configENS1_22reduce_config_selectorIN6thrust23THRUST_200600_302600_NS5tupleIllNS6_9null_typeES8_S8_S8_S8_S8_S8_S8_EEEEZNS1_11reduce_implILb0ES3_PS9_SC_S9_NS6_11hip_rocprim9__extrema9arg_max_fIllNS6_4lessIlEEEEEE10hipError_tPvRmT1_T2_T3_mT4_P12ihipStream_tbEUlT_E0_NS1_11comp_targetILNS1_3genE9ELNS1_11target_archE1100ELNS1_3gpuE3ELNS1_3repE0EEENS1_30default_config_static_selectorELNS0_4arch9wavefront6targetE1EEEvSM_ ; -- Begin function _ZN7rocprim17ROCPRIM_400000_NS6detail17trampoline_kernelINS0_14default_configENS1_22reduce_config_selectorIN6thrust23THRUST_200600_302600_NS5tupleIllNS6_9null_typeES8_S8_S8_S8_S8_S8_S8_EEEEZNS1_11reduce_implILb0ES3_PS9_SC_S9_NS6_11hip_rocprim9__extrema9arg_max_fIllNS6_4lessIlEEEEEE10hipError_tPvRmT1_T2_T3_mT4_P12ihipStream_tbEUlT_E0_NS1_11comp_targetILNS1_3genE9ELNS1_11target_archE1100ELNS1_3gpuE3ELNS1_3repE0EEENS1_30default_config_static_selectorELNS0_4arch9wavefront6targetE1EEEvSM_
	.globl	_ZN7rocprim17ROCPRIM_400000_NS6detail17trampoline_kernelINS0_14default_configENS1_22reduce_config_selectorIN6thrust23THRUST_200600_302600_NS5tupleIllNS6_9null_typeES8_S8_S8_S8_S8_S8_S8_EEEEZNS1_11reduce_implILb0ES3_PS9_SC_S9_NS6_11hip_rocprim9__extrema9arg_max_fIllNS6_4lessIlEEEEEE10hipError_tPvRmT1_T2_T3_mT4_P12ihipStream_tbEUlT_E0_NS1_11comp_targetILNS1_3genE9ELNS1_11target_archE1100ELNS1_3gpuE3ELNS1_3repE0EEENS1_30default_config_static_selectorELNS0_4arch9wavefront6targetE1EEEvSM_
	.p2align	8
	.type	_ZN7rocprim17ROCPRIM_400000_NS6detail17trampoline_kernelINS0_14default_configENS1_22reduce_config_selectorIN6thrust23THRUST_200600_302600_NS5tupleIllNS6_9null_typeES8_S8_S8_S8_S8_S8_S8_EEEEZNS1_11reduce_implILb0ES3_PS9_SC_S9_NS6_11hip_rocprim9__extrema9arg_max_fIllNS6_4lessIlEEEEEE10hipError_tPvRmT1_T2_T3_mT4_P12ihipStream_tbEUlT_E0_NS1_11comp_targetILNS1_3genE9ELNS1_11target_archE1100ELNS1_3gpuE3ELNS1_3repE0EEENS1_30default_config_static_selectorELNS0_4arch9wavefront6targetE1EEEvSM_,@function
_ZN7rocprim17ROCPRIM_400000_NS6detail17trampoline_kernelINS0_14default_configENS1_22reduce_config_selectorIN6thrust23THRUST_200600_302600_NS5tupleIllNS6_9null_typeES8_S8_S8_S8_S8_S8_S8_EEEEZNS1_11reduce_implILb0ES3_PS9_SC_S9_NS6_11hip_rocprim9__extrema9arg_max_fIllNS6_4lessIlEEEEEE10hipError_tPvRmT1_T2_T3_mT4_P12ihipStream_tbEUlT_E0_NS1_11comp_targetILNS1_3genE9ELNS1_11target_archE1100ELNS1_3gpuE3ELNS1_3repE0EEENS1_30default_config_static_selectorELNS0_4arch9wavefront6targetE1EEEvSM_: ; @_ZN7rocprim17ROCPRIM_400000_NS6detail17trampoline_kernelINS0_14default_configENS1_22reduce_config_selectorIN6thrust23THRUST_200600_302600_NS5tupleIllNS6_9null_typeES8_S8_S8_S8_S8_S8_S8_EEEEZNS1_11reduce_implILb0ES3_PS9_SC_S9_NS6_11hip_rocprim9__extrema9arg_max_fIllNS6_4lessIlEEEEEE10hipError_tPvRmT1_T2_T3_mT4_P12ihipStream_tbEUlT_E0_NS1_11comp_targetILNS1_3genE9ELNS1_11target_archE1100ELNS1_3gpuE3ELNS1_3repE0EEENS1_30default_config_static_selectorELNS0_4arch9wavefront6targetE1EEEvSM_
; %bb.0:
	.section	.rodata,"a",@progbits
	.p2align	6, 0x0
	.amdhsa_kernel _ZN7rocprim17ROCPRIM_400000_NS6detail17trampoline_kernelINS0_14default_configENS1_22reduce_config_selectorIN6thrust23THRUST_200600_302600_NS5tupleIllNS6_9null_typeES8_S8_S8_S8_S8_S8_S8_EEEEZNS1_11reduce_implILb0ES3_PS9_SC_S9_NS6_11hip_rocprim9__extrema9arg_max_fIllNS6_4lessIlEEEEEE10hipError_tPvRmT1_T2_T3_mT4_P12ihipStream_tbEUlT_E0_NS1_11comp_targetILNS1_3genE9ELNS1_11target_archE1100ELNS1_3gpuE3ELNS1_3repE0EEENS1_30default_config_static_selectorELNS0_4arch9wavefront6targetE1EEEvSM_
		.amdhsa_group_segment_fixed_size 0
		.amdhsa_private_segment_fixed_size 0
		.amdhsa_kernarg_size 72
		.amdhsa_user_sgpr_count 6
		.amdhsa_user_sgpr_private_segment_buffer 1
		.amdhsa_user_sgpr_dispatch_ptr 0
		.amdhsa_user_sgpr_queue_ptr 0
		.amdhsa_user_sgpr_kernarg_segment_ptr 1
		.amdhsa_user_sgpr_dispatch_id 0
		.amdhsa_user_sgpr_flat_scratch_init 0
		.amdhsa_user_sgpr_kernarg_preload_length 0
		.amdhsa_user_sgpr_kernarg_preload_offset 0
		.amdhsa_user_sgpr_private_segment_size 0
		.amdhsa_uses_dynamic_stack 0
		.amdhsa_system_sgpr_private_segment_wavefront_offset 0
		.amdhsa_system_sgpr_workgroup_id_x 1
		.amdhsa_system_sgpr_workgroup_id_y 0
		.amdhsa_system_sgpr_workgroup_id_z 0
		.amdhsa_system_sgpr_workgroup_info 0
		.amdhsa_system_vgpr_workitem_id 0
		.amdhsa_next_free_vgpr 1
		.amdhsa_next_free_sgpr 0
		.amdhsa_accum_offset 4
		.amdhsa_reserve_vcc 0
		.amdhsa_reserve_flat_scratch 0
		.amdhsa_float_round_mode_32 0
		.amdhsa_float_round_mode_16_64 0
		.amdhsa_float_denorm_mode_32 3
		.amdhsa_float_denorm_mode_16_64 3
		.amdhsa_dx10_clamp 1
		.amdhsa_ieee_mode 1
		.amdhsa_fp16_overflow 0
		.amdhsa_tg_split 0
		.amdhsa_exception_fp_ieee_invalid_op 0
		.amdhsa_exception_fp_denorm_src 0
		.amdhsa_exception_fp_ieee_div_zero 0
		.amdhsa_exception_fp_ieee_overflow 0
		.amdhsa_exception_fp_ieee_underflow 0
		.amdhsa_exception_fp_ieee_inexact 0
		.amdhsa_exception_int_div_zero 0
	.end_amdhsa_kernel
	.section	.text._ZN7rocprim17ROCPRIM_400000_NS6detail17trampoline_kernelINS0_14default_configENS1_22reduce_config_selectorIN6thrust23THRUST_200600_302600_NS5tupleIllNS6_9null_typeES8_S8_S8_S8_S8_S8_S8_EEEEZNS1_11reduce_implILb0ES3_PS9_SC_S9_NS6_11hip_rocprim9__extrema9arg_max_fIllNS6_4lessIlEEEEEE10hipError_tPvRmT1_T2_T3_mT4_P12ihipStream_tbEUlT_E0_NS1_11comp_targetILNS1_3genE9ELNS1_11target_archE1100ELNS1_3gpuE3ELNS1_3repE0EEENS1_30default_config_static_selectorELNS0_4arch9wavefront6targetE1EEEvSM_,"axG",@progbits,_ZN7rocprim17ROCPRIM_400000_NS6detail17trampoline_kernelINS0_14default_configENS1_22reduce_config_selectorIN6thrust23THRUST_200600_302600_NS5tupleIllNS6_9null_typeES8_S8_S8_S8_S8_S8_S8_EEEEZNS1_11reduce_implILb0ES3_PS9_SC_S9_NS6_11hip_rocprim9__extrema9arg_max_fIllNS6_4lessIlEEEEEE10hipError_tPvRmT1_T2_T3_mT4_P12ihipStream_tbEUlT_E0_NS1_11comp_targetILNS1_3genE9ELNS1_11target_archE1100ELNS1_3gpuE3ELNS1_3repE0EEENS1_30default_config_static_selectorELNS0_4arch9wavefront6targetE1EEEvSM_,comdat
.Lfunc_end410:
	.size	_ZN7rocprim17ROCPRIM_400000_NS6detail17trampoline_kernelINS0_14default_configENS1_22reduce_config_selectorIN6thrust23THRUST_200600_302600_NS5tupleIllNS6_9null_typeES8_S8_S8_S8_S8_S8_S8_EEEEZNS1_11reduce_implILb0ES3_PS9_SC_S9_NS6_11hip_rocprim9__extrema9arg_max_fIllNS6_4lessIlEEEEEE10hipError_tPvRmT1_T2_T3_mT4_P12ihipStream_tbEUlT_E0_NS1_11comp_targetILNS1_3genE9ELNS1_11target_archE1100ELNS1_3gpuE3ELNS1_3repE0EEENS1_30default_config_static_selectorELNS0_4arch9wavefront6targetE1EEEvSM_, .Lfunc_end410-_ZN7rocprim17ROCPRIM_400000_NS6detail17trampoline_kernelINS0_14default_configENS1_22reduce_config_selectorIN6thrust23THRUST_200600_302600_NS5tupleIllNS6_9null_typeES8_S8_S8_S8_S8_S8_S8_EEEEZNS1_11reduce_implILb0ES3_PS9_SC_S9_NS6_11hip_rocprim9__extrema9arg_max_fIllNS6_4lessIlEEEEEE10hipError_tPvRmT1_T2_T3_mT4_P12ihipStream_tbEUlT_E0_NS1_11comp_targetILNS1_3genE9ELNS1_11target_archE1100ELNS1_3gpuE3ELNS1_3repE0EEENS1_30default_config_static_selectorELNS0_4arch9wavefront6targetE1EEEvSM_
                                        ; -- End function
	.section	.AMDGPU.csdata,"",@progbits
; Kernel info:
; codeLenInByte = 0
; NumSgprs: 4
; NumVgprs: 0
; NumAgprs: 0
; TotalNumVgprs: 0
; ScratchSize: 0
; MemoryBound: 0
; FloatMode: 240
; IeeeMode: 1
; LDSByteSize: 0 bytes/workgroup (compile time only)
; SGPRBlocks: 0
; VGPRBlocks: 0
; NumSGPRsForWavesPerEU: 4
; NumVGPRsForWavesPerEU: 1
; AccumOffset: 4
; Occupancy: 8
; WaveLimiterHint : 0
; COMPUTE_PGM_RSRC2:SCRATCH_EN: 0
; COMPUTE_PGM_RSRC2:USER_SGPR: 6
; COMPUTE_PGM_RSRC2:TRAP_HANDLER: 0
; COMPUTE_PGM_RSRC2:TGID_X_EN: 1
; COMPUTE_PGM_RSRC2:TGID_Y_EN: 0
; COMPUTE_PGM_RSRC2:TGID_Z_EN: 0
; COMPUTE_PGM_RSRC2:TIDIG_COMP_CNT: 0
; COMPUTE_PGM_RSRC3_GFX90A:ACCUM_OFFSET: 0
; COMPUTE_PGM_RSRC3_GFX90A:TG_SPLIT: 0
	.section	.text._ZN7rocprim17ROCPRIM_400000_NS6detail17trampoline_kernelINS0_14default_configENS1_22reduce_config_selectorIN6thrust23THRUST_200600_302600_NS5tupleIllNS6_9null_typeES8_S8_S8_S8_S8_S8_S8_EEEEZNS1_11reduce_implILb0ES3_PS9_SC_S9_NS6_11hip_rocprim9__extrema9arg_max_fIllNS6_4lessIlEEEEEE10hipError_tPvRmT1_T2_T3_mT4_P12ihipStream_tbEUlT_E0_NS1_11comp_targetILNS1_3genE8ELNS1_11target_archE1030ELNS1_3gpuE2ELNS1_3repE0EEENS1_30default_config_static_selectorELNS0_4arch9wavefront6targetE1EEEvSM_,"axG",@progbits,_ZN7rocprim17ROCPRIM_400000_NS6detail17trampoline_kernelINS0_14default_configENS1_22reduce_config_selectorIN6thrust23THRUST_200600_302600_NS5tupleIllNS6_9null_typeES8_S8_S8_S8_S8_S8_S8_EEEEZNS1_11reduce_implILb0ES3_PS9_SC_S9_NS6_11hip_rocprim9__extrema9arg_max_fIllNS6_4lessIlEEEEEE10hipError_tPvRmT1_T2_T3_mT4_P12ihipStream_tbEUlT_E0_NS1_11comp_targetILNS1_3genE8ELNS1_11target_archE1030ELNS1_3gpuE2ELNS1_3repE0EEENS1_30default_config_static_selectorELNS0_4arch9wavefront6targetE1EEEvSM_,comdat
	.protected	_ZN7rocprim17ROCPRIM_400000_NS6detail17trampoline_kernelINS0_14default_configENS1_22reduce_config_selectorIN6thrust23THRUST_200600_302600_NS5tupleIllNS6_9null_typeES8_S8_S8_S8_S8_S8_S8_EEEEZNS1_11reduce_implILb0ES3_PS9_SC_S9_NS6_11hip_rocprim9__extrema9arg_max_fIllNS6_4lessIlEEEEEE10hipError_tPvRmT1_T2_T3_mT4_P12ihipStream_tbEUlT_E0_NS1_11comp_targetILNS1_3genE8ELNS1_11target_archE1030ELNS1_3gpuE2ELNS1_3repE0EEENS1_30default_config_static_selectorELNS0_4arch9wavefront6targetE1EEEvSM_ ; -- Begin function _ZN7rocprim17ROCPRIM_400000_NS6detail17trampoline_kernelINS0_14default_configENS1_22reduce_config_selectorIN6thrust23THRUST_200600_302600_NS5tupleIllNS6_9null_typeES8_S8_S8_S8_S8_S8_S8_EEEEZNS1_11reduce_implILb0ES3_PS9_SC_S9_NS6_11hip_rocprim9__extrema9arg_max_fIllNS6_4lessIlEEEEEE10hipError_tPvRmT1_T2_T3_mT4_P12ihipStream_tbEUlT_E0_NS1_11comp_targetILNS1_3genE8ELNS1_11target_archE1030ELNS1_3gpuE2ELNS1_3repE0EEENS1_30default_config_static_selectorELNS0_4arch9wavefront6targetE1EEEvSM_
	.globl	_ZN7rocprim17ROCPRIM_400000_NS6detail17trampoline_kernelINS0_14default_configENS1_22reduce_config_selectorIN6thrust23THRUST_200600_302600_NS5tupleIllNS6_9null_typeES8_S8_S8_S8_S8_S8_S8_EEEEZNS1_11reduce_implILb0ES3_PS9_SC_S9_NS6_11hip_rocprim9__extrema9arg_max_fIllNS6_4lessIlEEEEEE10hipError_tPvRmT1_T2_T3_mT4_P12ihipStream_tbEUlT_E0_NS1_11comp_targetILNS1_3genE8ELNS1_11target_archE1030ELNS1_3gpuE2ELNS1_3repE0EEENS1_30default_config_static_selectorELNS0_4arch9wavefront6targetE1EEEvSM_
	.p2align	8
	.type	_ZN7rocprim17ROCPRIM_400000_NS6detail17trampoline_kernelINS0_14default_configENS1_22reduce_config_selectorIN6thrust23THRUST_200600_302600_NS5tupleIllNS6_9null_typeES8_S8_S8_S8_S8_S8_S8_EEEEZNS1_11reduce_implILb0ES3_PS9_SC_S9_NS6_11hip_rocprim9__extrema9arg_max_fIllNS6_4lessIlEEEEEE10hipError_tPvRmT1_T2_T3_mT4_P12ihipStream_tbEUlT_E0_NS1_11comp_targetILNS1_3genE8ELNS1_11target_archE1030ELNS1_3gpuE2ELNS1_3repE0EEENS1_30default_config_static_selectorELNS0_4arch9wavefront6targetE1EEEvSM_,@function
_ZN7rocprim17ROCPRIM_400000_NS6detail17trampoline_kernelINS0_14default_configENS1_22reduce_config_selectorIN6thrust23THRUST_200600_302600_NS5tupleIllNS6_9null_typeES8_S8_S8_S8_S8_S8_S8_EEEEZNS1_11reduce_implILb0ES3_PS9_SC_S9_NS6_11hip_rocprim9__extrema9arg_max_fIllNS6_4lessIlEEEEEE10hipError_tPvRmT1_T2_T3_mT4_P12ihipStream_tbEUlT_E0_NS1_11comp_targetILNS1_3genE8ELNS1_11target_archE1030ELNS1_3gpuE2ELNS1_3repE0EEENS1_30default_config_static_selectorELNS0_4arch9wavefront6targetE1EEEvSM_: ; @_ZN7rocprim17ROCPRIM_400000_NS6detail17trampoline_kernelINS0_14default_configENS1_22reduce_config_selectorIN6thrust23THRUST_200600_302600_NS5tupleIllNS6_9null_typeES8_S8_S8_S8_S8_S8_S8_EEEEZNS1_11reduce_implILb0ES3_PS9_SC_S9_NS6_11hip_rocprim9__extrema9arg_max_fIllNS6_4lessIlEEEEEE10hipError_tPvRmT1_T2_T3_mT4_P12ihipStream_tbEUlT_E0_NS1_11comp_targetILNS1_3genE8ELNS1_11target_archE1030ELNS1_3gpuE2ELNS1_3repE0EEENS1_30default_config_static_selectorELNS0_4arch9wavefront6targetE1EEEvSM_
; %bb.0:
	.section	.rodata,"a",@progbits
	.p2align	6, 0x0
	.amdhsa_kernel _ZN7rocprim17ROCPRIM_400000_NS6detail17trampoline_kernelINS0_14default_configENS1_22reduce_config_selectorIN6thrust23THRUST_200600_302600_NS5tupleIllNS6_9null_typeES8_S8_S8_S8_S8_S8_S8_EEEEZNS1_11reduce_implILb0ES3_PS9_SC_S9_NS6_11hip_rocprim9__extrema9arg_max_fIllNS6_4lessIlEEEEEE10hipError_tPvRmT1_T2_T3_mT4_P12ihipStream_tbEUlT_E0_NS1_11comp_targetILNS1_3genE8ELNS1_11target_archE1030ELNS1_3gpuE2ELNS1_3repE0EEENS1_30default_config_static_selectorELNS0_4arch9wavefront6targetE1EEEvSM_
		.amdhsa_group_segment_fixed_size 0
		.amdhsa_private_segment_fixed_size 0
		.amdhsa_kernarg_size 72
		.amdhsa_user_sgpr_count 6
		.amdhsa_user_sgpr_private_segment_buffer 1
		.amdhsa_user_sgpr_dispatch_ptr 0
		.amdhsa_user_sgpr_queue_ptr 0
		.amdhsa_user_sgpr_kernarg_segment_ptr 1
		.amdhsa_user_sgpr_dispatch_id 0
		.amdhsa_user_sgpr_flat_scratch_init 0
		.amdhsa_user_sgpr_kernarg_preload_length 0
		.amdhsa_user_sgpr_kernarg_preload_offset 0
		.amdhsa_user_sgpr_private_segment_size 0
		.amdhsa_uses_dynamic_stack 0
		.amdhsa_system_sgpr_private_segment_wavefront_offset 0
		.amdhsa_system_sgpr_workgroup_id_x 1
		.amdhsa_system_sgpr_workgroup_id_y 0
		.amdhsa_system_sgpr_workgroup_id_z 0
		.amdhsa_system_sgpr_workgroup_info 0
		.amdhsa_system_vgpr_workitem_id 0
		.amdhsa_next_free_vgpr 1
		.amdhsa_next_free_sgpr 0
		.amdhsa_accum_offset 4
		.amdhsa_reserve_vcc 0
		.amdhsa_reserve_flat_scratch 0
		.amdhsa_float_round_mode_32 0
		.amdhsa_float_round_mode_16_64 0
		.amdhsa_float_denorm_mode_32 3
		.amdhsa_float_denorm_mode_16_64 3
		.amdhsa_dx10_clamp 1
		.amdhsa_ieee_mode 1
		.amdhsa_fp16_overflow 0
		.amdhsa_tg_split 0
		.amdhsa_exception_fp_ieee_invalid_op 0
		.amdhsa_exception_fp_denorm_src 0
		.amdhsa_exception_fp_ieee_div_zero 0
		.amdhsa_exception_fp_ieee_overflow 0
		.amdhsa_exception_fp_ieee_underflow 0
		.amdhsa_exception_fp_ieee_inexact 0
		.amdhsa_exception_int_div_zero 0
	.end_amdhsa_kernel
	.section	.text._ZN7rocprim17ROCPRIM_400000_NS6detail17trampoline_kernelINS0_14default_configENS1_22reduce_config_selectorIN6thrust23THRUST_200600_302600_NS5tupleIllNS6_9null_typeES8_S8_S8_S8_S8_S8_S8_EEEEZNS1_11reduce_implILb0ES3_PS9_SC_S9_NS6_11hip_rocprim9__extrema9arg_max_fIllNS6_4lessIlEEEEEE10hipError_tPvRmT1_T2_T3_mT4_P12ihipStream_tbEUlT_E0_NS1_11comp_targetILNS1_3genE8ELNS1_11target_archE1030ELNS1_3gpuE2ELNS1_3repE0EEENS1_30default_config_static_selectorELNS0_4arch9wavefront6targetE1EEEvSM_,"axG",@progbits,_ZN7rocprim17ROCPRIM_400000_NS6detail17trampoline_kernelINS0_14default_configENS1_22reduce_config_selectorIN6thrust23THRUST_200600_302600_NS5tupleIllNS6_9null_typeES8_S8_S8_S8_S8_S8_S8_EEEEZNS1_11reduce_implILb0ES3_PS9_SC_S9_NS6_11hip_rocprim9__extrema9arg_max_fIllNS6_4lessIlEEEEEE10hipError_tPvRmT1_T2_T3_mT4_P12ihipStream_tbEUlT_E0_NS1_11comp_targetILNS1_3genE8ELNS1_11target_archE1030ELNS1_3gpuE2ELNS1_3repE0EEENS1_30default_config_static_selectorELNS0_4arch9wavefront6targetE1EEEvSM_,comdat
.Lfunc_end411:
	.size	_ZN7rocprim17ROCPRIM_400000_NS6detail17trampoline_kernelINS0_14default_configENS1_22reduce_config_selectorIN6thrust23THRUST_200600_302600_NS5tupleIllNS6_9null_typeES8_S8_S8_S8_S8_S8_S8_EEEEZNS1_11reduce_implILb0ES3_PS9_SC_S9_NS6_11hip_rocprim9__extrema9arg_max_fIllNS6_4lessIlEEEEEE10hipError_tPvRmT1_T2_T3_mT4_P12ihipStream_tbEUlT_E0_NS1_11comp_targetILNS1_3genE8ELNS1_11target_archE1030ELNS1_3gpuE2ELNS1_3repE0EEENS1_30default_config_static_selectorELNS0_4arch9wavefront6targetE1EEEvSM_, .Lfunc_end411-_ZN7rocprim17ROCPRIM_400000_NS6detail17trampoline_kernelINS0_14default_configENS1_22reduce_config_selectorIN6thrust23THRUST_200600_302600_NS5tupleIllNS6_9null_typeES8_S8_S8_S8_S8_S8_S8_EEEEZNS1_11reduce_implILb0ES3_PS9_SC_S9_NS6_11hip_rocprim9__extrema9arg_max_fIllNS6_4lessIlEEEEEE10hipError_tPvRmT1_T2_T3_mT4_P12ihipStream_tbEUlT_E0_NS1_11comp_targetILNS1_3genE8ELNS1_11target_archE1030ELNS1_3gpuE2ELNS1_3repE0EEENS1_30default_config_static_selectorELNS0_4arch9wavefront6targetE1EEEvSM_
                                        ; -- End function
	.section	.AMDGPU.csdata,"",@progbits
; Kernel info:
; codeLenInByte = 0
; NumSgprs: 4
; NumVgprs: 0
; NumAgprs: 0
; TotalNumVgprs: 0
; ScratchSize: 0
; MemoryBound: 0
; FloatMode: 240
; IeeeMode: 1
; LDSByteSize: 0 bytes/workgroup (compile time only)
; SGPRBlocks: 0
; VGPRBlocks: 0
; NumSGPRsForWavesPerEU: 4
; NumVGPRsForWavesPerEU: 1
; AccumOffset: 4
; Occupancy: 8
; WaveLimiterHint : 0
; COMPUTE_PGM_RSRC2:SCRATCH_EN: 0
; COMPUTE_PGM_RSRC2:USER_SGPR: 6
; COMPUTE_PGM_RSRC2:TRAP_HANDLER: 0
; COMPUTE_PGM_RSRC2:TGID_X_EN: 1
; COMPUTE_PGM_RSRC2:TGID_Y_EN: 0
; COMPUTE_PGM_RSRC2:TGID_Z_EN: 0
; COMPUTE_PGM_RSRC2:TIDIG_COMP_CNT: 0
; COMPUTE_PGM_RSRC3_GFX90A:ACCUM_OFFSET: 0
; COMPUTE_PGM_RSRC3_GFX90A:TG_SPLIT: 0
	.section	.text._ZN7rocprim17ROCPRIM_400000_NS6detail17trampoline_kernelINS0_14default_configENS1_22reduce_config_selectorIN6thrust23THRUST_200600_302600_NS5tupleIllNS6_9null_typeES8_S8_S8_S8_S8_S8_S8_EEEEZNS1_11reduce_implILb0ES3_PS9_SC_S9_NS6_11hip_rocprim9__extrema9arg_max_fIllNS6_4lessIlEEEEEE10hipError_tPvRmT1_T2_T3_mT4_P12ihipStream_tbEUlT_E1_NS1_11comp_targetILNS1_3genE0ELNS1_11target_archE4294967295ELNS1_3gpuE0ELNS1_3repE0EEENS1_30default_config_static_selectorELNS0_4arch9wavefront6targetE1EEEvSM_,"axG",@progbits,_ZN7rocprim17ROCPRIM_400000_NS6detail17trampoline_kernelINS0_14default_configENS1_22reduce_config_selectorIN6thrust23THRUST_200600_302600_NS5tupleIllNS6_9null_typeES8_S8_S8_S8_S8_S8_S8_EEEEZNS1_11reduce_implILb0ES3_PS9_SC_S9_NS6_11hip_rocprim9__extrema9arg_max_fIllNS6_4lessIlEEEEEE10hipError_tPvRmT1_T2_T3_mT4_P12ihipStream_tbEUlT_E1_NS1_11comp_targetILNS1_3genE0ELNS1_11target_archE4294967295ELNS1_3gpuE0ELNS1_3repE0EEENS1_30default_config_static_selectorELNS0_4arch9wavefront6targetE1EEEvSM_,comdat
	.protected	_ZN7rocprim17ROCPRIM_400000_NS6detail17trampoline_kernelINS0_14default_configENS1_22reduce_config_selectorIN6thrust23THRUST_200600_302600_NS5tupleIllNS6_9null_typeES8_S8_S8_S8_S8_S8_S8_EEEEZNS1_11reduce_implILb0ES3_PS9_SC_S9_NS6_11hip_rocprim9__extrema9arg_max_fIllNS6_4lessIlEEEEEE10hipError_tPvRmT1_T2_T3_mT4_P12ihipStream_tbEUlT_E1_NS1_11comp_targetILNS1_3genE0ELNS1_11target_archE4294967295ELNS1_3gpuE0ELNS1_3repE0EEENS1_30default_config_static_selectorELNS0_4arch9wavefront6targetE1EEEvSM_ ; -- Begin function _ZN7rocprim17ROCPRIM_400000_NS6detail17trampoline_kernelINS0_14default_configENS1_22reduce_config_selectorIN6thrust23THRUST_200600_302600_NS5tupleIllNS6_9null_typeES8_S8_S8_S8_S8_S8_S8_EEEEZNS1_11reduce_implILb0ES3_PS9_SC_S9_NS6_11hip_rocprim9__extrema9arg_max_fIllNS6_4lessIlEEEEEE10hipError_tPvRmT1_T2_T3_mT4_P12ihipStream_tbEUlT_E1_NS1_11comp_targetILNS1_3genE0ELNS1_11target_archE4294967295ELNS1_3gpuE0ELNS1_3repE0EEENS1_30default_config_static_selectorELNS0_4arch9wavefront6targetE1EEEvSM_
	.globl	_ZN7rocprim17ROCPRIM_400000_NS6detail17trampoline_kernelINS0_14default_configENS1_22reduce_config_selectorIN6thrust23THRUST_200600_302600_NS5tupleIllNS6_9null_typeES8_S8_S8_S8_S8_S8_S8_EEEEZNS1_11reduce_implILb0ES3_PS9_SC_S9_NS6_11hip_rocprim9__extrema9arg_max_fIllNS6_4lessIlEEEEEE10hipError_tPvRmT1_T2_T3_mT4_P12ihipStream_tbEUlT_E1_NS1_11comp_targetILNS1_3genE0ELNS1_11target_archE4294967295ELNS1_3gpuE0ELNS1_3repE0EEENS1_30default_config_static_selectorELNS0_4arch9wavefront6targetE1EEEvSM_
	.p2align	8
	.type	_ZN7rocprim17ROCPRIM_400000_NS6detail17trampoline_kernelINS0_14default_configENS1_22reduce_config_selectorIN6thrust23THRUST_200600_302600_NS5tupleIllNS6_9null_typeES8_S8_S8_S8_S8_S8_S8_EEEEZNS1_11reduce_implILb0ES3_PS9_SC_S9_NS6_11hip_rocprim9__extrema9arg_max_fIllNS6_4lessIlEEEEEE10hipError_tPvRmT1_T2_T3_mT4_P12ihipStream_tbEUlT_E1_NS1_11comp_targetILNS1_3genE0ELNS1_11target_archE4294967295ELNS1_3gpuE0ELNS1_3repE0EEENS1_30default_config_static_selectorELNS0_4arch9wavefront6targetE1EEEvSM_,@function
_ZN7rocprim17ROCPRIM_400000_NS6detail17trampoline_kernelINS0_14default_configENS1_22reduce_config_selectorIN6thrust23THRUST_200600_302600_NS5tupleIllNS6_9null_typeES8_S8_S8_S8_S8_S8_S8_EEEEZNS1_11reduce_implILb0ES3_PS9_SC_S9_NS6_11hip_rocprim9__extrema9arg_max_fIllNS6_4lessIlEEEEEE10hipError_tPvRmT1_T2_T3_mT4_P12ihipStream_tbEUlT_E1_NS1_11comp_targetILNS1_3genE0ELNS1_11target_archE4294967295ELNS1_3gpuE0ELNS1_3repE0EEENS1_30default_config_static_selectorELNS0_4arch9wavefront6targetE1EEEvSM_: ; @_ZN7rocprim17ROCPRIM_400000_NS6detail17trampoline_kernelINS0_14default_configENS1_22reduce_config_selectorIN6thrust23THRUST_200600_302600_NS5tupleIllNS6_9null_typeES8_S8_S8_S8_S8_S8_S8_EEEEZNS1_11reduce_implILb0ES3_PS9_SC_S9_NS6_11hip_rocprim9__extrema9arg_max_fIllNS6_4lessIlEEEEEE10hipError_tPvRmT1_T2_T3_mT4_P12ihipStream_tbEUlT_E1_NS1_11comp_targetILNS1_3genE0ELNS1_11target_archE4294967295ELNS1_3gpuE0ELNS1_3repE0EEENS1_30default_config_static_selectorELNS0_4arch9wavefront6targetE1EEEvSM_
; %bb.0:
	.section	.rodata,"a",@progbits
	.p2align	6, 0x0
	.amdhsa_kernel _ZN7rocprim17ROCPRIM_400000_NS6detail17trampoline_kernelINS0_14default_configENS1_22reduce_config_selectorIN6thrust23THRUST_200600_302600_NS5tupleIllNS6_9null_typeES8_S8_S8_S8_S8_S8_S8_EEEEZNS1_11reduce_implILb0ES3_PS9_SC_S9_NS6_11hip_rocprim9__extrema9arg_max_fIllNS6_4lessIlEEEEEE10hipError_tPvRmT1_T2_T3_mT4_P12ihipStream_tbEUlT_E1_NS1_11comp_targetILNS1_3genE0ELNS1_11target_archE4294967295ELNS1_3gpuE0ELNS1_3repE0EEENS1_30default_config_static_selectorELNS0_4arch9wavefront6targetE1EEEvSM_
		.amdhsa_group_segment_fixed_size 0
		.amdhsa_private_segment_fixed_size 0
		.amdhsa_kernarg_size 56
		.amdhsa_user_sgpr_count 6
		.amdhsa_user_sgpr_private_segment_buffer 1
		.amdhsa_user_sgpr_dispatch_ptr 0
		.amdhsa_user_sgpr_queue_ptr 0
		.amdhsa_user_sgpr_kernarg_segment_ptr 1
		.amdhsa_user_sgpr_dispatch_id 0
		.amdhsa_user_sgpr_flat_scratch_init 0
		.amdhsa_user_sgpr_kernarg_preload_length 0
		.amdhsa_user_sgpr_kernarg_preload_offset 0
		.amdhsa_user_sgpr_private_segment_size 0
		.amdhsa_uses_dynamic_stack 0
		.amdhsa_system_sgpr_private_segment_wavefront_offset 0
		.amdhsa_system_sgpr_workgroup_id_x 1
		.amdhsa_system_sgpr_workgroup_id_y 0
		.amdhsa_system_sgpr_workgroup_id_z 0
		.amdhsa_system_sgpr_workgroup_info 0
		.amdhsa_system_vgpr_workitem_id 0
		.amdhsa_next_free_vgpr 1
		.amdhsa_next_free_sgpr 0
		.amdhsa_accum_offset 4
		.amdhsa_reserve_vcc 0
		.amdhsa_reserve_flat_scratch 0
		.amdhsa_float_round_mode_32 0
		.amdhsa_float_round_mode_16_64 0
		.amdhsa_float_denorm_mode_32 3
		.amdhsa_float_denorm_mode_16_64 3
		.amdhsa_dx10_clamp 1
		.amdhsa_ieee_mode 1
		.amdhsa_fp16_overflow 0
		.amdhsa_tg_split 0
		.amdhsa_exception_fp_ieee_invalid_op 0
		.amdhsa_exception_fp_denorm_src 0
		.amdhsa_exception_fp_ieee_div_zero 0
		.amdhsa_exception_fp_ieee_overflow 0
		.amdhsa_exception_fp_ieee_underflow 0
		.amdhsa_exception_fp_ieee_inexact 0
		.amdhsa_exception_int_div_zero 0
	.end_amdhsa_kernel
	.section	.text._ZN7rocprim17ROCPRIM_400000_NS6detail17trampoline_kernelINS0_14default_configENS1_22reduce_config_selectorIN6thrust23THRUST_200600_302600_NS5tupleIllNS6_9null_typeES8_S8_S8_S8_S8_S8_S8_EEEEZNS1_11reduce_implILb0ES3_PS9_SC_S9_NS6_11hip_rocprim9__extrema9arg_max_fIllNS6_4lessIlEEEEEE10hipError_tPvRmT1_T2_T3_mT4_P12ihipStream_tbEUlT_E1_NS1_11comp_targetILNS1_3genE0ELNS1_11target_archE4294967295ELNS1_3gpuE0ELNS1_3repE0EEENS1_30default_config_static_selectorELNS0_4arch9wavefront6targetE1EEEvSM_,"axG",@progbits,_ZN7rocprim17ROCPRIM_400000_NS6detail17trampoline_kernelINS0_14default_configENS1_22reduce_config_selectorIN6thrust23THRUST_200600_302600_NS5tupleIllNS6_9null_typeES8_S8_S8_S8_S8_S8_S8_EEEEZNS1_11reduce_implILb0ES3_PS9_SC_S9_NS6_11hip_rocprim9__extrema9arg_max_fIllNS6_4lessIlEEEEEE10hipError_tPvRmT1_T2_T3_mT4_P12ihipStream_tbEUlT_E1_NS1_11comp_targetILNS1_3genE0ELNS1_11target_archE4294967295ELNS1_3gpuE0ELNS1_3repE0EEENS1_30default_config_static_selectorELNS0_4arch9wavefront6targetE1EEEvSM_,comdat
.Lfunc_end412:
	.size	_ZN7rocprim17ROCPRIM_400000_NS6detail17trampoline_kernelINS0_14default_configENS1_22reduce_config_selectorIN6thrust23THRUST_200600_302600_NS5tupleIllNS6_9null_typeES8_S8_S8_S8_S8_S8_S8_EEEEZNS1_11reduce_implILb0ES3_PS9_SC_S9_NS6_11hip_rocprim9__extrema9arg_max_fIllNS6_4lessIlEEEEEE10hipError_tPvRmT1_T2_T3_mT4_P12ihipStream_tbEUlT_E1_NS1_11comp_targetILNS1_3genE0ELNS1_11target_archE4294967295ELNS1_3gpuE0ELNS1_3repE0EEENS1_30default_config_static_selectorELNS0_4arch9wavefront6targetE1EEEvSM_, .Lfunc_end412-_ZN7rocprim17ROCPRIM_400000_NS6detail17trampoline_kernelINS0_14default_configENS1_22reduce_config_selectorIN6thrust23THRUST_200600_302600_NS5tupleIllNS6_9null_typeES8_S8_S8_S8_S8_S8_S8_EEEEZNS1_11reduce_implILb0ES3_PS9_SC_S9_NS6_11hip_rocprim9__extrema9arg_max_fIllNS6_4lessIlEEEEEE10hipError_tPvRmT1_T2_T3_mT4_P12ihipStream_tbEUlT_E1_NS1_11comp_targetILNS1_3genE0ELNS1_11target_archE4294967295ELNS1_3gpuE0ELNS1_3repE0EEENS1_30default_config_static_selectorELNS0_4arch9wavefront6targetE1EEEvSM_
                                        ; -- End function
	.section	.AMDGPU.csdata,"",@progbits
; Kernel info:
; codeLenInByte = 0
; NumSgprs: 4
; NumVgprs: 0
; NumAgprs: 0
; TotalNumVgprs: 0
; ScratchSize: 0
; MemoryBound: 0
; FloatMode: 240
; IeeeMode: 1
; LDSByteSize: 0 bytes/workgroup (compile time only)
; SGPRBlocks: 0
; VGPRBlocks: 0
; NumSGPRsForWavesPerEU: 4
; NumVGPRsForWavesPerEU: 1
; AccumOffset: 4
; Occupancy: 8
; WaveLimiterHint : 0
; COMPUTE_PGM_RSRC2:SCRATCH_EN: 0
; COMPUTE_PGM_RSRC2:USER_SGPR: 6
; COMPUTE_PGM_RSRC2:TRAP_HANDLER: 0
; COMPUTE_PGM_RSRC2:TGID_X_EN: 1
; COMPUTE_PGM_RSRC2:TGID_Y_EN: 0
; COMPUTE_PGM_RSRC2:TGID_Z_EN: 0
; COMPUTE_PGM_RSRC2:TIDIG_COMP_CNT: 0
; COMPUTE_PGM_RSRC3_GFX90A:ACCUM_OFFSET: 0
; COMPUTE_PGM_RSRC3_GFX90A:TG_SPLIT: 0
	.section	.text._ZN7rocprim17ROCPRIM_400000_NS6detail17trampoline_kernelINS0_14default_configENS1_22reduce_config_selectorIN6thrust23THRUST_200600_302600_NS5tupleIllNS6_9null_typeES8_S8_S8_S8_S8_S8_S8_EEEEZNS1_11reduce_implILb0ES3_PS9_SC_S9_NS6_11hip_rocprim9__extrema9arg_max_fIllNS6_4lessIlEEEEEE10hipError_tPvRmT1_T2_T3_mT4_P12ihipStream_tbEUlT_E1_NS1_11comp_targetILNS1_3genE5ELNS1_11target_archE942ELNS1_3gpuE9ELNS1_3repE0EEENS1_30default_config_static_selectorELNS0_4arch9wavefront6targetE1EEEvSM_,"axG",@progbits,_ZN7rocprim17ROCPRIM_400000_NS6detail17trampoline_kernelINS0_14default_configENS1_22reduce_config_selectorIN6thrust23THRUST_200600_302600_NS5tupleIllNS6_9null_typeES8_S8_S8_S8_S8_S8_S8_EEEEZNS1_11reduce_implILb0ES3_PS9_SC_S9_NS6_11hip_rocprim9__extrema9arg_max_fIllNS6_4lessIlEEEEEE10hipError_tPvRmT1_T2_T3_mT4_P12ihipStream_tbEUlT_E1_NS1_11comp_targetILNS1_3genE5ELNS1_11target_archE942ELNS1_3gpuE9ELNS1_3repE0EEENS1_30default_config_static_selectorELNS0_4arch9wavefront6targetE1EEEvSM_,comdat
	.protected	_ZN7rocprim17ROCPRIM_400000_NS6detail17trampoline_kernelINS0_14default_configENS1_22reduce_config_selectorIN6thrust23THRUST_200600_302600_NS5tupleIllNS6_9null_typeES8_S8_S8_S8_S8_S8_S8_EEEEZNS1_11reduce_implILb0ES3_PS9_SC_S9_NS6_11hip_rocprim9__extrema9arg_max_fIllNS6_4lessIlEEEEEE10hipError_tPvRmT1_T2_T3_mT4_P12ihipStream_tbEUlT_E1_NS1_11comp_targetILNS1_3genE5ELNS1_11target_archE942ELNS1_3gpuE9ELNS1_3repE0EEENS1_30default_config_static_selectorELNS0_4arch9wavefront6targetE1EEEvSM_ ; -- Begin function _ZN7rocprim17ROCPRIM_400000_NS6detail17trampoline_kernelINS0_14default_configENS1_22reduce_config_selectorIN6thrust23THRUST_200600_302600_NS5tupleIllNS6_9null_typeES8_S8_S8_S8_S8_S8_S8_EEEEZNS1_11reduce_implILb0ES3_PS9_SC_S9_NS6_11hip_rocprim9__extrema9arg_max_fIllNS6_4lessIlEEEEEE10hipError_tPvRmT1_T2_T3_mT4_P12ihipStream_tbEUlT_E1_NS1_11comp_targetILNS1_3genE5ELNS1_11target_archE942ELNS1_3gpuE9ELNS1_3repE0EEENS1_30default_config_static_selectorELNS0_4arch9wavefront6targetE1EEEvSM_
	.globl	_ZN7rocprim17ROCPRIM_400000_NS6detail17trampoline_kernelINS0_14default_configENS1_22reduce_config_selectorIN6thrust23THRUST_200600_302600_NS5tupleIllNS6_9null_typeES8_S8_S8_S8_S8_S8_S8_EEEEZNS1_11reduce_implILb0ES3_PS9_SC_S9_NS6_11hip_rocprim9__extrema9arg_max_fIllNS6_4lessIlEEEEEE10hipError_tPvRmT1_T2_T3_mT4_P12ihipStream_tbEUlT_E1_NS1_11comp_targetILNS1_3genE5ELNS1_11target_archE942ELNS1_3gpuE9ELNS1_3repE0EEENS1_30default_config_static_selectorELNS0_4arch9wavefront6targetE1EEEvSM_
	.p2align	8
	.type	_ZN7rocprim17ROCPRIM_400000_NS6detail17trampoline_kernelINS0_14default_configENS1_22reduce_config_selectorIN6thrust23THRUST_200600_302600_NS5tupleIllNS6_9null_typeES8_S8_S8_S8_S8_S8_S8_EEEEZNS1_11reduce_implILb0ES3_PS9_SC_S9_NS6_11hip_rocprim9__extrema9arg_max_fIllNS6_4lessIlEEEEEE10hipError_tPvRmT1_T2_T3_mT4_P12ihipStream_tbEUlT_E1_NS1_11comp_targetILNS1_3genE5ELNS1_11target_archE942ELNS1_3gpuE9ELNS1_3repE0EEENS1_30default_config_static_selectorELNS0_4arch9wavefront6targetE1EEEvSM_,@function
_ZN7rocprim17ROCPRIM_400000_NS6detail17trampoline_kernelINS0_14default_configENS1_22reduce_config_selectorIN6thrust23THRUST_200600_302600_NS5tupleIllNS6_9null_typeES8_S8_S8_S8_S8_S8_S8_EEEEZNS1_11reduce_implILb0ES3_PS9_SC_S9_NS6_11hip_rocprim9__extrema9arg_max_fIllNS6_4lessIlEEEEEE10hipError_tPvRmT1_T2_T3_mT4_P12ihipStream_tbEUlT_E1_NS1_11comp_targetILNS1_3genE5ELNS1_11target_archE942ELNS1_3gpuE9ELNS1_3repE0EEENS1_30default_config_static_selectorELNS0_4arch9wavefront6targetE1EEEvSM_: ; @_ZN7rocprim17ROCPRIM_400000_NS6detail17trampoline_kernelINS0_14default_configENS1_22reduce_config_selectorIN6thrust23THRUST_200600_302600_NS5tupleIllNS6_9null_typeES8_S8_S8_S8_S8_S8_S8_EEEEZNS1_11reduce_implILb0ES3_PS9_SC_S9_NS6_11hip_rocprim9__extrema9arg_max_fIllNS6_4lessIlEEEEEE10hipError_tPvRmT1_T2_T3_mT4_P12ihipStream_tbEUlT_E1_NS1_11comp_targetILNS1_3genE5ELNS1_11target_archE942ELNS1_3gpuE9ELNS1_3repE0EEENS1_30default_config_static_selectorELNS0_4arch9wavefront6targetE1EEEvSM_
; %bb.0:
	.section	.rodata,"a",@progbits
	.p2align	6, 0x0
	.amdhsa_kernel _ZN7rocprim17ROCPRIM_400000_NS6detail17trampoline_kernelINS0_14default_configENS1_22reduce_config_selectorIN6thrust23THRUST_200600_302600_NS5tupleIllNS6_9null_typeES8_S8_S8_S8_S8_S8_S8_EEEEZNS1_11reduce_implILb0ES3_PS9_SC_S9_NS6_11hip_rocprim9__extrema9arg_max_fIllNS6_4lessIlEEEEEE10hipError_tPvRmT1_T2_T3_mT4_P12ihipStream_tbEUlT_E1_NS1_11comp_targetILNS1_3genE5ELNS1_11target_archE942ELNS1_3gpuE9ELNS1_3repE0EEENS1_30default_config_static_selectorELNS0_4arch9wavefront6targetE1EEEvSM_
		.amdhsa_group_segment_fixed_size 0
		.amdhsa_private_segment_fixed_size 0
		.amdhsa_kernarg_size 56
		.amdhsa_user_sgpr_count 6
		.amdhsa_user_sgpr_private_segment_buffer 1
		.amdhsa_user_sgpr_dispatch_ptr 0
		.amdhsa_user_sgpr_queue_ptr 0
		.amdhsa_user_sgpr_kernarg_segment_ptr 1
		.amdhsa_user_sgpr_dispatch_id 0
		.amdhsa_user_sgpr_flat_scratch_init 0
		.amdhsa_user_sgpr_kernarg_preload_length 0
		.amdhsa_user_sgpr_kernarg_preload_offset 0
		.amdhsa_user_sgpr_private_segment_size 0
		.amdhsa_uses_dynamic_stack 0
		.amdhsa_system_sgpr_private_segment_wavefront_offset 0
		.amdhsa_system_sgpr_workgroup_id_x 1
		.amdhsa_system_sgpr_workgroup_id_y 0
		.amdhsa_system_sgpr_workgroup_id_z 0
		.amdhsa_system_sgpr_workgroup_info 0
		.amdhsa_system_vgpr_workitem_id 0
		.amdhsa_next_free_vgpr 1
		.amdhsa_next_free_sgpr 0
		.amdhsa_accum_offset 4
		.amdhsa_reserve_vcc 0
		.amdhsa_reserve_flat_scratch 0
		.amdhsa_float_round_mode_32 0
		.amdhsa_float_round_mode_16_64 0
		.amdhsa_float_denorm_mode_32 3
		.amdhsa_float_denorm_mode_16_64 3
		.amdhsa_dx10_clamp 1
		.amdhsa_ieee_mode 1
		.amdhsa_fp16_overflow 0
		.amdhsa_tg_split 0
		.amdhsa_exception_fp_ieee_invalid_op 0
		.amdhsa_exception_fp_denorm_src 0
		.amdhsa_exception_fp_ieee_div_zero 0
		.amdhsa_exception_fp_ieee_overflow 0
		.amdhsa_exception_fp_ieee_underflow 0
		.amdhsa_exception_fp_ieee_inexact 0
		.amdhsa_exception_int_div_zero 0
	.end_amdhsa_kernel
	.section	.text._ZN7rocprim17ROCPRIM_400000_NS6detail17trampoline_kernelINS0_14default_configENS1_22reduce_config_selectorIN6thrust23THRUST_200600_302600_NS5tupleIllNS6_9null_typeES8_S8_S8_S8_S8_S8_S8_EEEEZNS1_11reduce_implILb0ES3_PS9_SC_S9_NS6_11hip_rocprim9__extrema9arg_max_fIllNS6_4lessIlEEEEEE10hipError_tPvRmT1_T2_T3_mT4_P12ihipStream_tbEUlT_E1_NS1_11comp_targetILNS1_3genE5ELNS1_11target_archE942ELNS1_3gpuE9ELNS1_3repE0EEENS1_30default_config_static_selectorELNS0_4arch9wavefront6targetE1EEEvSM_,"axG",@progbits,_ZN7rocprim17ROCPRIM_400000_NS6detail17trampoline_kernelINS0_14default_configENS1_22reduce_config_selectorIN6thrust23THRUST_200600_302600_NS5tupleIllNS6_9null_typeES8_S8_S8_S8_S8_S8_S8_EEEEZNS1_11reduce_implILb0ES3_PS9_SC_S9_NS6_11hip_rocprim9__extrema9arg_max_fIllNS6_4lessIlEEEEEE10hipError_tPvRmT1_T2_T3_mT4_P12ihipStream_tbEUlT_E1_NS1_11comp_targetILNS1_3genE5ELNS1_11target_archE942ELNS1_3gpuE9ELNS1_3repE0EEENS1_30default_config_static_selectorELNS0_4arch9wavefront6targetE1EEEvSM_,comdat
.Lfunc_end413:
	.size	_ZN7rocprim17ROCPRIM_400000_NS6detail17trampoline_kernelINS0_14default_configENS1_22reduce_config_selectorIN6thrust23THRUST_200600_302600_NS5tupleIllNS6_9null_typeES8_S8_S8_S8_S8_S8_S8_EEEEZNS1_11reduce_implILb0ES3_PS9_SC_S9_NS6_11hip_rocprim9__extrema9arg_max_fIllNS6_4lessIlEEEEEE10hipError_tPvRmT1_T2_T3_mT4_P12ihipStream_tbEUlT_E1_NS1_11comp_targetILNS1_3genE5ELNS1_11target_archE942ELNS1_3gpuE9ELNS1_3repE0EEENS1_30default_config_static_selectorELNS0_4arch9wavefront6targetE1EEEvSM_, .Lfunc_end413-_ZN7rocprim17ROCPRIM_400000_NS6detail17trampoline_kernelINS0_14default_configENS1_22reduce_config_selectorIN6thrust23THRUST_200600_302600_NS5tupleIllNS6_9null_typeES8_S8_S8_S8_S8_S8_S8_EEEEZNS1_11reduce_implILb0ES3_PS9_SC_S9_NS6_11hip_rocprim9__extrema9arg_max_fIllNS6_4lessIlEEEEEE10hipError_tPvRmT1_T2_T3_mT4_P12ihipStream_tbEUlT_E1_NS1_11comp_targetILNS1_3genE5ELNS1_11target_archE942ELNS1_3gpuE9ELNS1_3repE0EEENS1_30default_config_static_selectorELNS0_4arch9wavefront6targetE1EEEvSM_
                                        ; -- End function
	.section	.AMDGPU.csdata,"",@progbits
; Kernel info:
; codeLenInByte = 0
; NumSgprs: 4
; NumVgprs: 0
; NumAgprs: 0
; TotalNumVgprs: 0
; ScratchSize: 0
; MemoryBound: 0
; FloatMode: 240
; IeeeMode: 1
; LDSByteSize: 0 bytes/workgroup (compile time only)
; SGPRBlocks: 0
; VGPRBlocks: 0
; NumSGPRsForWavesPerEU: 4
; NumVGPRsForWavesPerEU: 1
; AccumOffset: 4
; Occupancy: 8
; WaveLimiterHint : 0
; COMPUTE_PGM_RSRC2:SCRATCH_EN: 0
; COMPUTE_PGM_RSRC2:USER_SGPR: 6
; COMPUTE_PGM_RSRC2:TRAP_HANDLER: 0
; COMPUTE_PGM_RSRC2:TGID_X_EN: 1
; COMPUTE_PGM_RSRC2:TGID_Y_EN: 0
; COMPUTE_PGM_RSRC2:TGID_Z_EN: 0
; COMPUTE_PGM_RSRC2:TIDIG_COMP_CNT: 0
; COMPUTE_PGM_RSRC3_GFX90A:ACCUM_OFFSET: 0
; COMPUTE_PGM_RSRC3_GFX90A:TG_SPLIT: 0
	.section	.text._ZN7rocprim17ROCPRIM_400000_NS6detail17trampoline_kernelINS0_14default_configENS1_22reduce_config_selectorIN6thrust23THRUST_200600_302600_NS5tupleIllNS6_9null_typeES8_S8_S8_S8_S8_S8_S8_EEEEZNS1_11reduce_implILb0ES3_PS9_SC_S9_NS6_11hip_rocprim9__extrema9arg_max_fIllNS6_4lessIlEEEEEE10hipError_tPvRmT1_T2_T3_mT4_P12ihipStream_tbEUlT_E1_NS1_11comp_targetILNS1_3genE4ELNS1_11target_archE910ELNS1_3gpuE8ELNS1_3repE0EEENS1_30default_config_static_selectorELNS0_4arch9wavefront6targetE1EEEvSM_,"axG",@progbits,_ZN7rocprim17ROCPRIM_400000_NS6detail17trampoline_kernelINS0_14default_configENS1_22reduce_config_selectorIN6thrust23THRUST_200600_302600_NS5tupleIllNS6_9null_typeES8_S8_S8_S8_S8_S8_S8_EEEEZNS1_11reduce_implILb0ES3_PS9_SC_S9_NS6_11hip_rocprim9__extrema9arg_max_fIllNS6_4lessIlEEEEEE10hipError_tPvRmT1_T2_T3_mT4_P12ihipStream_tbEUlT_E1_NS1_11comp_targetILNS1_3genE4ELNS1_11target_archE910ELNS1_3gpuE8ELNS1_3repE0EEENS1_30default_config_static_selectorELNS0_4arch9wavefront6targetE1EEEvSM_,comdat
	.protected	_ZN7rocprim17ROCPRIM_400000_NS6detail17trampoline_kernelINS0_14default_configENS1_22reduce_config_selectorIN6thrust23THRUST_200600_302600_NS5tupleIllNS6_9null_typeES8_S8_S8_S8_S8_S8_S8_EEEEZNS1_11reduce_implILb0ES3_PS9_SC_S9_NS6_11hip_rocprim9__extrema9arg_max_fIllNS6_4lessIlEEEEEE10hipError_tPvRmT1_T2_T3_mT4_P12ihipStream_tbEUlT_E1_NS1_11comp_targetILNS1_3genE4ELNS1_11target_archE910ELNS1_3gpuE8ELNS1_3repE0EEENS1_30default_config_static_selectorELNS0_4arch9wavefront6targetE1EEEvSM_ ; -- Begin function _ZN7rocprim17ROCPRIM_400000_NS6detail17trampoline_kernelINS0_14default_configENS1_22reduce_config_selectorIN6thrust23THRUST_200600_302600_NS5tupleIllNS6_9null_typeES8_S8_S8_S8_S8_S8_S8_EEEEZNS1_11reduce_implILb0ES3_PS9_SC_S9_NS6_11hip_rocprim9__extrema9arg_max_fIllNS6_4lessIlEEEEEE10hipError_tPvRmT1_T2_T3_mT4_P12ihipStream_tbEUlT_E1_NS1_11comp_targetILNS1_3genE4ELNS1_11target_archE910ELNS1_3gpuE8ELNS1_3repE0EEENS1_30default_config_static_selectorELNS0_4arch9wavefront6targetE1EEEvSM_
	.globl	_ZN7rocprim17ROCPRIM_400000_NS6detail17trampoline_kernelINS0_14default_configENS1_22reduce_config_selectorIN6thrust23THRUST_200600_302600_NS5tupleIllNS6_9null_typeES8_S8_S8_S8_S8_S8_S8_EEEEZNS1_11reduce_implILb0ES3_PS9_SC_S9_NS6_11hip_rocprim9__extrema9arg_max_fIllNS6_4lessIlEEEEEE10hipError_tPvRmT1_T2_T3_mT4_P12ihipStream_tbEUlT_E1_NS1_11comp_targetILNS1_3genE4ELNS1_11target_archE910ELNS1_3gpuE8ELNS1_3repE0EEENS1_30default_config_static_selectorELNS0_4arch9wavefront6targetE1EEEvSM_
	.p2align	8
	.type	_ZN7rocprim17ROCPRIM_400000_NS6detail17trampoline_kernelINS0_14default_configENS1_22reduce_config_selectorIN6thrust23THRUST_200600_302600_NS5tupleIllNS6_9null_typeES8_S8_S8_S8_S8_S8_S8_EEEEZNS1_11reduce_implILb0ES3_PS9_SC_S9_NS6_11hip_rocprim9__extrema9arg_max_fIllNS6_4lessIlEEEEEE10hipError_tPvRmT1_T2_T3_mT4_P12ihipStream_tbEUlT_E1_NS1_11comp_targetILNS1_3genE4ELNS1_11target_archE910ELNS1_3gpuE8ELNS1_3repE0EEENS1_30default_config_static_selectorELNS0_4arch9wavefront6targetE1EEEvSM_,@function
_ZN7rocprim17ROCPRIM_400000_NS6detail17trampoline_kernelINS0_14default_configENS1_22reduce_config_selectorIN6thrust23THRUST_200600_302600_NS5tupleIllNS6_9null_typeES8_S8_S8_S8_S8_S8_S8_EEEEZNS1_11reduce_implILb0ES3_PS9_SC_S9_NS6_11hip_rocprim9__extrema9arg_max_fIllNS6_4lessIlEEEEEE10hipError_tPvRmT1_T2_T3_mT4_P12ihipStream_tbEUlT_E1_NS1_11comp_targetILNS1_3genE4ELNS1_11target_archE910ELNS1_3gpuE8ELNS1_3repE0EEENS1_30default_config_static_selectorELNS0_4arch9wavefront6targetE1EEEvSM_: ; @_ZN7rocprim17ROCPRIM_400000_NS6detail17trampoline_kernelINS0_14default_configENS1_22reduce_config_selectorIN6thrust23THRUST_200600_302600_NS5tupleIllNS6_9null_typeES8_S8_S8_S8_S8_S8_S8_EEEEZNS1_11reduce_implILb0ES3_PS9_SC_S9_NS6_11hip_rocprim9__extrema9arg_max_fIllNS6_4lessIlEEEEEE10hipError_tPvRmT1_T2_T3_mT4_P12ihipStream_tbEUlT_E1_NS1_11comp_targetILNS1_3genE4ELNS1_11target_archE910ELNS1_3gpuE8ELNS1_3repE0EEENS1_30default_config_static_selectorELNS0_4arch9wavefront6targetE1EEEvSM_
; %bb.0:
	s_load_dword s30, s[4:5], 0x4
	s_load_dwordx8 s[20:27], s[4:5], 0x8
	s_waitcnt lgkmcnt(0)
	s_cmp_lt_i32 s30, 4
	s_cbranch_scc1 .LBB414_22
; %bb.1:
	s_cmp_gt_i32 s30, 7
	s_cbranch_scc0 .LBB414_23
; %bb.2:
	s_cmp_eq_u32 s30, 8
	s_mov_b64 s[18:19], 0
	s_cbranch_scc0 .LBB414_24
; %bb.3:
	s_mov_b32 s7, 0
	s_lshl_b32 s2, s6, 11
	s_mov_b32 s3, s7
	s_lshr_b64 s[0:1], s[22:23], 11
	s_lshl_b64 s[8:9], s[2:3], 4
	s_add_u32 s16, s20, s8
	s_addc_u32 s17, s21, s9
	s_cmp_lg_u64 s[0:1], s[6:7]
	s_cbranch_scc0 .LBB414_45
; %bb.4:
	v_lshlrev_b32_e32 v1, 4, v0
	v_mov_b32_e32 v2, s17
	v_add_co_u32_e32 v30, vcc, s16, v1
	v_addc_co_u32_e32 v31, vcc, 0, v2, vcc
	v_add_co_u32_e32 v10, vcc, 0x1000, v30
	v_addc_co_u32_e32 v11, vcc, 0, v31, vcc
	global_load_dwordx4 v[2:5], v1, s[16:17]
	global_load_dwordx4 v[6:9], v[10:11], off
	v_add_co_u32_e32 v10, vcc, 0x2000, v30
	v_addc_co_u32_e32 v11, vcc, 0, v31, vcc
	global_load_dwordx4 v[10:13], v[10:11], off
	v_add_co_u32_e32 v14, vcc, 0x3000, v30
	v_addc_co_u32_e32 v15, vcc, 0, v31, vcc
	;; [unrolled: 3-line block ×6, first 2 shown]
	global_load_dwordx4 v[30:33], v[30:31], off
	s_waitcnt vmcnt(6)
	v_cmp_lt_i64_e32 vcc, v[6:7], v[2:3]
	v_cmp_lt_i64_e64 s[0:1], v[4:5], v[8:9]
	s_or_b64 vcc, vcc, s[0:1]
	v_cndmask_b32_e32 v1, v6, v2, vcc
	v_cndmask_b32_e32 v34, v7, v3, vcc
	v_cndmask_b32_e32 v4, v8, v4, vcc
	v_cndmask_b32_e32 v5, v9, v5, vcc
	v_cmp_lt_i64_e32 vcc, v[2:3], v[6:7]
	v_cndmask_b32_e32 v3, v5, v9, vcc
	v_cndmask_b32_e32 v2, v4, v8, vcc
	v_cndmask_b32_e32 v5, v34, v7, vcc
	v_cndmask_b32_e32 v4, v1, v6, vcc
	s_waitcnt vmcnt(5)
	v_cmp_lt_i64_e32 vcc, v[10:11], v[4:5]
	v_cmp_lt_i64_e64 s[0:1], v[2:3], v[12:13]
	s_or_b64 vcc, vcc, s[0:1]
	v_cndmask_b32_e32 v1, v10, v4, vcc
	v_cndmask_b32_e32 v6, v11, v5, vcc
	v_cndmask_b32_e32 v2, v12, v2, vcc
	v_cndmask_b32_e32 v3, v13, v3, vcc
	v_cmp_lt_i64_e32 vcc, v[4:5], v[10:11]
	v_cndmask_b32_e32 v3, v3, v13, vcc
	v_cndmask_b32_e32 v2, v2, v12, vcc
	v_cndmask_b32_e32 v5, v6, v11, vcc
	v_cndmask_b32_e32 v4, v1, v10, vcc
	;; [unrolled: 13-line block ×7, first 2 shown]
	v_mov_b32_dpp v8, v4 quad_perm:[1,0,3,2] row_mask:0xf bank_mask:0xf bound_ctrl:1
	v_mov_b32_dpp v7, v3 quad_perm:[1,0,3,2] row_mask:0xf bank_mask:0xf bound_ctrl:1
	;; [unrolled: 1-line block ×4, first 2 shown]
	v_cmp_ge_i64_e32 vcc, v[6:7], v[2:3]
	s_and_saveexec_b64 s[8:9], vcc
; %bb.5:
	v_mov_b32_e32 v9, v10
	v_cmp_gt_i64_e32 vcc, v[6:7], v[2:3]
	v_cmp_lt_i64_e64 s[0:1], v[8:9], v[4:5]
	s_or_b64 vcc, vcc, s[0:1]
	v_cndmask_b32_e32 v5, v5, v10, vcc
	v_cndmask_b32_e32 v4, v4, v8, vcc
	;; [unrolled: 1-line block ×4, first 2 shown]
; %bb.6:
	s_or_b64 exec, exec, s[8:9]
	s_nop 0
	v_mov_b32_dpp v6, v2 quad_perm:[2,3,0,1] row_mask:0xf bank_mask:0xf bound_ctrl:1
	v_mov_b32_dpp v7, v3 quad_perm:[2,3,0,1] row_mask:0xf bank_mask:0xf bound_ctrl:1
	;; [unrolled: 1-line block ×4, first 2 shown]
	v_cmp_ge_i64_e32 vcc, v[6:7], v[2:3]
	s_and_saveexec_b64 s[8:9], vcc
; %bb.7:
	v_mov_b32_e32 v9, v10
	v_cmp_lt_i64_e32 vcc, v[2:3], v[6:7]
	v_cmp_lt_i64_e64 s[0:1], v[8:9], v[4:5]
	s_or_b64 vcc, vcc, s[0:1]
	v_cndmask_b32_e32 v5, v5, v10, vcc
	v_cndmask_b32_e32 v4, v4, v8, vcc
	;; [unrolled: 1-line block ×4, first 2 shown]
; %bb.8:
	s_or_b64 exec, exec, s[8:9]
	s_nop 0
	v_mov_b32_dpp v6, v2 row_ror:4 row_mask:0xf bank_mask:0xf bound_ctrl:1
	v_mov_b32_dpp v7, v3 row_ror:4 row_mask:0xf bank_mask:0xf bound_ctrl:1
	;; [unrolled: 1-line block ×4, first 2 shown]
	v_cmp_ge_i64_e32 vcc, v[6:7], v[2:3]
	s_and_saveexec_b64 s[8:9], vcc
; %bb.9:
	v_mov_b32_e32 v9, v10
	v_cmp_lt_i64_e32 vcc, v[2:3], v[6:7]
	v_cmp_lt_i64_e64 s[0:1], v[8:9], v[4:5]
	s_or_b64 vcc, vcc, s[0:1]
	v_cndmask_b32_e32 v5, v5, v10, vcc
	v_cndmask_b32_e32 v4, v4, v8, vcc
	;; [unrolled: 1-line block ×4, first 2 shown]
; %bb.10:
	s_or_b64 exec, exec, s[8:9]
	s_nop 0
	v_mov_b32_dpp v6, v2 row_ror:8 row_mask:0xf bank_mask:0xf bound_ctrl:1
	v_mov_b32_dpp v7, v3 row_ror:8 row_mask:0xf bank_mask:0xf bound_ctrl:1
	;; [unrolled: 1-line block ×4, first 2 shown]
	v_cmp_ge_i64_e32 vcc, v[6:7], v[2:3]
	s_and_saveexec_b64 s[8:9], vcc
; %bb.11:
	v_mov_b32_e32 v9, v10
	v_cmp_lt_i64_e32 vcc, v[2:3], v[6:7]
	v_cmp_lt_i64_e64 s[0:1], v[8:9], v[4:5]
	s_or_b64 vcc, vcc, s[0:1]
	v_cndmask_b32_e32 v5, v5, v10, vcc
	v_cndmask_b32_e32 v4, v4, v8, vcc
	;; [unrolled: 1-line block ×4, first 2 shown]
; %bb.12:
	s_or_b64 exec, exec, s[8:9]
	s_nop 0
	v_mov_b32_dpp v6, v2 row_bcast:15 row_mask:0xf bank_mask:0xf bound_ctrl:1
	v_mov_b32_dpp v7, v3 row_bcast:15 row_mask:0xf bank_mask:0xf bound_ctrl:1
	;; [unrolled: 1-line block ×4, first 2 shown]
	v_cmp_ge_i64_e32 vcc, v[6:7], v[2:3]
	s_and_saveexec_b64 s[8:9], vcc
; %bb.13:
	v_mov_b32_e32 v9, v10
	v_cmp_lt_i64_e32 vcc, v[2:3], v[6:7]
	v_cmp_lt_i64_e64 s[0:1], v[8:9], v[4:5]
	s_or_b64 vcc, vcc, s[0:1]
	v_cndmask_b32_e32 v5, v5, v10, vcc
	v_cndmask_b32_e32 v4, v4, v8, vcc
	;; [unrolled: 1-line block ×4, first 2 shown]
; %bb.14:
	s_or_b64 exec, exec, s[8:9]
	s_nop 0
	v_mov_b32_dpp v6, v2 row_bcast:31 row_mask:0xf bank_mask:0xf bound_ctrl:1
	v_mov_b32_dpp v7, v3 row_bcast:31 row_mask:0xf bank_mask:0xf bound_ctrl:1
	;; [unrolled: 1-line block ×4, first 2 shown]
	v_cmp_ge_i64_e32 vcc, v[6:7], v[2:3]
	s_and_saveexec_b64 s[8:9], vcc
; %bb.15:
	v_mov_b32_e32 v9, v10
	v_cmp_lt_i64_e32 vcc, v[2:3], v[6:7]
	v_cmp_lt_i64_e64 s[0:1], v[8:9], v[4:5]
	s_or_b64 vcc, vcc, s[0:1]
	v_cndmask_b32_e32 v5, v5, v10, vcc
	v_cndmask_b32_e32 v4, v4, v8, vcc
	;; [unrolled: 1-line block ×4, first 2 shown]
; %bb.16:
	s_or_b64 exec, exec, s[8:9]
	v_mbcnt_lo_u32_b32 v1, -1, 0
	v_mbcnt_hi_u32_b32 v1, -1, v1
	v_bfrev_b32_e32 v6, 0.5
	v_lshl_or_b32 v6, v1, 2, v6
	ds_bpermute_b32 v2, v6, v2
	ds_bpermute_b32 v3, v6, v3
	;; [unrolled: 1-line block ×4, first 2 shown]
	v_cmp_eq_u32_e32 vcc, 0, v1
	s_and_saveexec_b64 s[0:1], vcc
	s_cbranch_execz .LBB414_18
; %bb.17:
	v_lshrrev_b32_e32 v6, 2, v0
	v_and_b32_e32 v6, 48, v6
	s_waitcnt lgkmcnt(0)
	ds_write2_b64 v6, v[2:3], v[4:5] offset0:24 offset1:25
.LBB414_18:
	s_or_b64 exec, exec, s[0:1]
	v_cmp_gt_u32_e32 vcc, 64, v0
	s_waitcnt lgkmcnt(0)
	s_barrier
	s_and_saveexec_b64 s[8:9], vcc
	s_cbranch_execz .LBB414_20
; %bb.19:
	v_and_b32_e32 v9, 3, v1
	v_lshlrev_b32_e32 v2, 4, v9
	ds_read2_b64 v[2:5], v2 offset0:24 offset1:25
	v_cmp_ne_u32_e32 vcc, 3, v9
	v_addc_co_u32_e32 v6, vcc, 0, v1, vcc
	v_lshlrev_b32_e32 v10, 2, v6
	s_waitcnt lgkmcnt(0)
	ds_bpermute_b32 v8, v10, v5
	ds_bpermute_b32 v6, v10, v2
	;; [unrolled: 1-line block ×4, first 2 shown]
	s_waitcnt lgkmcnt(3)
	v_mov_b32_e32 v11, v8
	s_waitcnt lgkmcnt(1)
	v_cmp_lt_i64_e32 vcc, v[6:7], v[2:3]
	s_waitcnt lgkmcnt(0)
	v_cmp_gt_i64_e64 s[0:1], v[10:11], v[4:5]
	s_or_b64 vcc, vcc, s[0:1]
	v_cndmask_b32_e32 v11, v6, v2, vcc
	v_cndmask_b32_e32 v12, v7, v3, vcc
	;; [unrolled: 1-line block ×4, first 2 shown]
	v_cmp_gt_i64_e32 vcc, v[6:7], v[2:3]
	v_cndmask_b32_e32 v3, v5, v8, vcc
	v_cndmask_b32_e32 v2, v4, v10, vcc
	;; [unrolled: 1-line block ×4, first 2 shown]
	v_cmp_gt_u32_e32 vcc, 2, v9
	v_cndmask_b32_e64 v6, 0, 1, vcc
	v_lshlrev_b32_e32 v6, 1, v6
	v_add_lshl_u32 v1, v6, v1, 2
	ds_bpermute_b32 v8, v1, v3
	ds_bpermute_b32 v6, v1, v4
	;; [unrolled: 1-line block ×4, first 2 shown]
	s_waitcnt lgkmcnt(3)
	v_mov_b32_e32 v11, v8
	s_waitcnt lgkmcnt(1)
	v_cmp_lt_i64_e32 vcc, v[6:7], v[4:5]
	s_waitcnt lgkmcnt(0)
	v_cmp_lt_i64_e64 s[0:1], v[2:3], v[10:11]
	s_or_b64 vcc, vcc, s[0:1]
	v_cndmask_b32_e32 v1, v6, v4, vcc
	v_cndmask_b32_e32 v9, v7, v5, vcc
	;; [unrolled: 1-line block ×4, first 2 shown]
	v_cmp_lt_i64_e32 vcc, v[4:5], v[6:7]
	v_cndmask_b32_e32 v5, v3, v8, vcc
	v_cndmask_b32_e32 v4, v2, v10, vcc
	;; [unrolled: 1-line block ×4, first 2 shown]
.LBB414_20:
	s_or_b64 exec, exec, s[8:9]
.LBB414_21:
	v_cmp_eq_u32_e64 s[0:1], 0, v0
	s_and_b64 vcc, exec, s[18:19]
	s_cbranch_vccnz .LBB414_25
	s_branch .LBB414_90
.LBB414_22:
	s_mov_b64 s[0:1], 0
                                        ; implicit-def: $vgpr4_vgpr5
	s_cbranch_execnz .LBB414_125
	s_branch .LBB414_197
.LBB414_23:
	s_mov_b64 s[18:19], -1
.LBB414_24:
	s_mov_b64 s[0:1], 0
                                        ; implicit-def: $vgpr4_vgpr5
	s_and_b64 vcc, exec, s[18:19]
	s_cbranch_vccz .LBB414_90
.LBB414_25:
	s_cmp_eq_u32 s30, 4
	s_cbranch_scc0 .LBB414_44
; %bb.26:
	s_mov_b32 s7, 0
	s_lshl_b32 s2, s6, 10
	s_mov_b32 s3, s7
	s_lshr_b64 s[0:1], s[22:23], 10
	s_lshl_b64 s[8:9], s[2:3], 4
	s_add_u32 s8, s20, s8
	s_addc_u32 s9, s21, s9
	s_cmp_lg_u64 s[0:1], s[6:7]
	s_cbranch_scc0 .LBB414_91
; %bb.27:
	v_lshlrev_b32_e32 v1, 4, v0
	v_mov_b32_e32 v2, s9
	v_add_co_u32_e32 v14, vcc, s8, v1
	v_addc_co_u32_e32 v15, vcc, 0, v2, vcc
	s_waitcnt lgkmcnt(4)
	v_add_co_u32_e32 v10, vcc, 0x1000, v14
	v_addc_co_u32_e32 v11, vcc, 0, v15, vcc
	global_load_dwordx4 v[2:5], v1, s[8:9]
	s_waitcnt lgkmcnt(0)
	global_load_dwordx4 v[6:9], v[10:11], off
	v_add_co_u32_e32 v10, vcc, 0x2000, v14
	v_addc_co_u32_e32 v11, vcc, 0, v15, vcc
	global_load_dwordx4 v[10:13], v[10:11], off
	v_add_co_u32_e32 v14, vcc, 0x3000, v14
	v_addc_co_u32_e32 v15, vcc, 0, v15, vcc
	global_load_dwordx4 v[14:17], v[14:15], off
	s_waitcnt vmcnt(2)
	v_cmp_lt_i64_e32 vcc, v[6:7], v[2:3]
	v_cmp_lt_i64_e64 s[0:1], v[4:5], v[8:9]
	s_or_b64 vcc, vcc, s[0:1]
	v_cndmask_b32_e32 v1, v6, v2, vcc
	v_cndmask_b32_e32 v18, v7, v3, vcc
	v_cndmask_b32_e32 v4, v8, v4, vcc
	v_cndmask_b32_e32 v5, v9, v5, vcc
	v_cmp_lt_i64_e32 vcc, v[2:3], v[6:7]
	v_cndmask_b32_e32 v3, v5, v9, vcc
	v_cndmask_b32_e32 v2, v4, v8, vcc
	v_cndmask_b32_e32 v5, v18, v7, vcc
	v_cndmask_b32_e32 v4, v1, v6, vcc
	s_waitcnt vmcnt(1)
	v_cmp_lt_i64_e32 vcc, v[10:11], v[4:5]
	v_cmp_lt_i64_e64 s[0:1], v[2:3], v[12:13]
	s_or_b64 vcc, vcc, s[0:1]
	v_cndmask_b32_e32 v1, v10, v4, vcc
	v_cndmask_b32_e32 v6, v11, v5, vcc
	v_cndmask_b32_e32 v2, v12, v2, vcc
	v_cndmask_b32_e32 v3, v13, v3, vcc
	v_cmp_lt_i64_e32 vcc, v[4:5], v[10:11]
	v_cndmask_b32_e32 v3, v3, v13, vcc
	v_cndmask_b32_e32 v2, v2, v12, vcc
	v_cndmask_b32_e32 v5, v6, v11, vcc
	v_cndmask_b32_e32 v4, v1, v10, vcc
	;; [unrolled: 13-line block ×3, first 2 shown]
	v_mov_b32_dpp v8, v4 quad_perm:[1,0,3,2] row_mask:0xf bank_mask:0xf bound_ctrl:1
	v_mov_b32_dpp v7, v3 quad_perm:[1,0,3,2] row_mask:0xf bank_mask:0xf bound_ctrl:1
	;; [unrolled: 1-line block ×4, first 2 shown]
	v_cmp_ge_i64_e32 vcc, v[6:7], v[2:3]
	s_and_saveexec_b64 s[10:11], vcc
; %bb.28:
	v_mov_b32_e32 v9, v10
	v_cmp_gt_i64_e32 vcc, v[6:7], v[2:3]
	v_cmp_lt_i64_e64 s[0:1], v[8:9], v[4:5]
	s_or_b64 vcc, vcc, s[0:1]
	v_cndmask_b32_e32 v5, v5, v10, vcc
	v_cndmask_b32_e32 v4, v4, v8, vcc
	;; [unrolled: 1-line block ×4, first 2 shown]
; %bb.29:
	s_or_b64 exec, exec, s[10:11]
	s_nop 0
	v_mov_b32_dpp v6, v2 quad_perm:[2,3,0,1] row_mask:0xf bank_mask:0xf bound_ctrl:1
	v_mov_b32_dpp v7, v3 quad_perm:[2,3,0,1] row_mask:0xf bank_mask:0xf bound_ctrl:1
	;; [unrolled: 1-line block ×4, first 2 shown]
	v_cmp_ge_i64_e32 vcc, v[6:7], v[2:3]
	s_and_saveexec_b64 s[10:11], vcc
; %bb.30:
	v_mov_b32_e32 v9, v10
	v_cmp_lt_i64_e32 vcc, v[2:3], v[6:7]
	v_cmp_lt_i64_e64 s[0:1], v[8:9], v[4:5]
	s_or_b64 vcc, vcc, s[0:1]
	v_cndmask_b32_e32 v5, v5, v10, vcc
	v_cndmask_b32_e32 v4, v4, v8, vcc
	;; [unrolled: 1-line block ×4, first 2 shown]
; %bb.31:
	s_or_b64 exec, exec, s[10:11]
	s_nop 0
	v_mov_b32_dpp v6, v2 row_ror:4 row_mask:0xf bank_mask:0xf bound_ctrl:1
	v_mov_b32_dpp v7, v3 row_ror:4 row_mask:0xf bank_mask:0xf bound_ctrl:1
	v_mov_b32_dpp v8, v4 row_ror:4 row_mask:0xf bank_mask:0xf bound_ctrl:1
	v_mov_b32_dpp v10, v5 row_ror:4 row_mask:0xf bank_mask:0xf bound_ctrl:1
	v_cmp_ge_i64_e32 vcc, v[6:7], v[2:3]
	s_and_saveexec_b64 s[10:11], vcc
; %bb.32:
	v_mov_b32_e32 v9, v10
	v_cmp_lt_i64_e32 vcc, v[2:3], v[6:7]
	v_cmp_lt_i64_e64 s[0:1], v[8:9], v[4:5]
	s_or_b64 vcc, vcc, s[0:1]
	v_cndmask_b32_e32 v5, v5, v10, vcc
	v_cndmask_b32_e32 v4, v4, v8, vcc
	;; [unrolled: 1-line block ×4, first 2 shown]
; %bb.33:
	s_or_b64 exec, exec, s[10:11]
	s_nop 0
	v_mov_b32_dpp v6, v2 row_ror:8 row_mask:0xf bank_mask:0xf bound_ctrl:1
	v_mov_b32_dpp v7, v3 row_ror:8 row_mask:0xf bank_mask:0xf bound_ctrl:1
	;; [unrolled: 1-line block ×4, first 2 shown]
	v_cmp_ge_i64_e32 vcc, v[6:7], v[2:3]
	s_and_saveexec_b64 s[10:11], vcc
; %bb.34:
	v_mov_b32_e32 v9, v10
	v_cmp_lt_i64_e32 vcc, v[2:3], v[6:7]
	v_cmp_lt_i64_e64 s[0:1], v[8:9], v[4:5]
	s_or_b64 vcc, vcc, s[0:1]
	v_cndmask_b32_e32 v5, v5, v10, vcc
	v_cndmask_b32_e32 v4, v4, v8, vcc
	;; [unrolled: 1-line block ×4, first 2 shown]
; %bb.35:
	s_or_b64 exec, exec, s[10:11]
	s_nop 0
	v_mov_b32_dpp v6, v2 row_bcast:15 row_mask:0xf bank_mask:0xf bound_ctrl:1
	v_mov_b32_dpp v7, v3 row_bcast:15 row_mask:0xf bank_mask:0xf bound_ctrl:1
	;; [unrolled: 1-line block ×4, first 2 shown]
	v_cmp_ge_i64_e32 vcc, v[6:7], v[2:3]
	s_and_saveexec_b64 s[10:11], vcc
; %bb.36:
	v_mov_b32_e32 v9, v10
	v_cmp_lt_i64_e32 vcc, v[2:3], v[6:7]
	v_cmp_lt_i64_e64 s[0:1], v[8:9], v[4:5]
	s_or_b64 vcc, vcc, s[0:1]
	v_cndmask_b32_e32 v5, v5, v10, vcc
	v_cndmask_b32_e32 v4, v4, v8, vcc
	;; [unrolled: 1-line block ×4, first 2 shown]
; %bb.37:
	s_or_b64 exec, exec, s[10:11]
	s_nop 0
	v_mov_b32_dpp v6, v2 row_bcast:31 row_mask:0xf bank_mask:0xf bound_ctrl:1
	v_mov_b32_dpp v7, v3 row_bcast:31 row_mask:0xf bank_mask:0xf bound_ctrl:1
	;; [unrolled: 1-line block ×4, first 2 shown]
	v_cmp_ge_i64_e32 vcc, v[6:7], v[2:3]
	s_and_saveexec_b64 s[10:11], vcc
; %bb.38:
	v_mov_b32_e32 v9, v10
	v_cmp_lt_i64_e32 vcc, v[2:3], v[6:7]
	v_cmp_lt_i64_e64 s[0:1], v[8:9], v[4:5]
	s_or_b64 vcc, vcc, s[0:1]
	v_cndmask_b32_e32 v5, v5, v10, vcc
	v_cndmask_b32_e32 v4, v4, v8, vcc
	;; [unrolled: 1-line block ×4, first 2 shown]
; %bb.39:
	s_or_b64 exec, exec, s[10:11]
	v_mbcnt_lo_u32_b32 v1, -1, 0
	v_mbcnt_hi_u32_b32 v1, -1, v1
	v_bfrev_b32_e32 v6, 0.5
	v_lshl_or_b32 v6, v1, 2, v6
	ds_bpermute_b32 v2, v6, v2
	ds_bpermute_b32 v3, v6, v3
	;; [unrolled: 1-line block ×4, first 2 shown]
	v_cmp_eq_u32_e32 vcc, 0, v1
	s_and_saveexec_b64 s[0:1], vcc
	s_cbranch_execz .LBB414_41
; %bb.40:
	v_lshrrev_b32_e32 v6, 2, v0
	v_and_b32_e32 v6, 48, v6
	s_waitcnt lgkmcnt(0)
	ds_write2_b64 v6, v[2:3], v[4:5] offset0:16 offset1:17
.LBB414_41:
	s_or_b64 exec, exec, s[0:1]
	v_cmp_gt_u32_e32 vcc, 64, v0
	s_waitcnt lgkmcnt(0)
	s_barrier
	s_and_saveexec_b64 s[10:11], vcc
	s_cbranch_execz .LBB414_43
; %bb.42:
	v_and_b32_e32 v9, 3, v1
	v_lshlrev_b32_e32 v2, 4, v9
	ds_read2_b64 v[2:5], v2 offset0:16 offset1:17
	v_cmp_ne_u32_e32 vcc, 3, v9
	v_addc_co_u32_e32 v6, vcc, 0, v1, vcc
	v_lshlrev_b32_e32 v10, 2, v6
	s_waitcnt lgkmcnt(0)
	ds_bpermute_b32 v8, v10, v5
	ds_bpermute_b32 v6, v10, v2
	;; [unrolled: 1-line block ×4, first 2 shown]
	s_waitcnt lgkmcnt(3)
	v_mov_b32_e32 v11, v8
	s_waitcnt lgkmcnt(1)
	v_cmp_lt_i64_e32 vcc, v[6:7], v[2:3]
	s_waitcnt lgkmcnt(0)
	v_cmp_gt_i64_e64 s[0:1], v[10:11], v[4:5]
	s_or_b64 vcc, vcc, s[0:1]
	v_cndmask_b32_e32 v11, v6, v2, vcc
	v_cndmask_b32_e32 v12, v7, v3, vcc
	;; [unrolled: 1-line block ×4, first 2 shown]
	v_cmp_gt_i64_e32 vcc, v[6:7], v[2:3]
	v_cndmask_b32_e32 v3, v5, v8, vcc
	v_cndmask_b32_e32 v2, v4, v10, vcc
	;; [unrolled: 1-line block ×4, first 2 shown]
	v_cmp_gt_u32_e32 vcc, 2, v9
	v_cndmask_b32_e64 v6, 0, 1, vcc
	v_lshlrev_b32_e32 v6, 1, v6
	v_add_lshl_u32 v1, v6, v1, 2
	ds_bpermute_b32 v8, v1, v3
	ds_bpermute_b32 v6, v1, v4
	;; [unrolled: 1-line block ×4, first 2 shown]
	s_waitcnt lgkmcnt(3)
	v_mov_b32_e32 v11, v8
	s_waitcnt lgkmcnt(1)
	v_cmp_lt_i64_e32 vcc, v[6:7], v[4:5]
	s_waitcnt lgkmcnt(0)
	v_cmp_lt_i64_e64 s[0:1], v[2:3], v[10:11]
	s_or_b64 vcc, vcc, s[0:1]
	v_cndmask_b32_e32 v1, v6, v4, vcc
	v_cndmask_b32_e32 v9, v7, v5, vcc
	;; [unrolled: 1-line block ×4, first 2 shown]
	v_cmp_lt_i64_e32 vcc, v[4:5], v[6:7]
	v_cndmask_b32_e32 v5, v3, v8, vcc
	v_cndmask_b32_e32 v4, v2, v10, vcc
	;; [unrolled: 1-line block ×4, first 2 shown]
.LBB414_43:
	s_or_b64 exec, exec, s[10:11]
	s_branch .LBB414_124
.LBB414_44:
                                        ; implicit-def: $vgpr4_vgpr5
	s_branch .LBB414_197
.LBB414_45:
                                        ; implicit-def: $vgpr2_vgpr3
	s_cbranch_execz .LBB414_21
; %bb.46:
	s_sub_i32 s31, s22, s2
	v_pk_mov_b32 v[20:21], 0, 0
	v_cmp_gt_u32_e32 vcc, s31, v0
	v_pk_mov_b32 v[4:5], v[20:21], v[20:21] op_sel:[0,1]
	v_pk_mov_b32 v[2:3], v[20:21], v[20:21] op_sel:[0,1]
	s_and_saveexec_b64 s[0:1], vcc
	s_cbranch_execz .LBB414_48
; %bb.47:
	v_lshlrev_b32_e32 v1, 4, v0
	global_load_dwordx4 v[2:5], v1, s[16:17]
.LBB414_48:
	s_or_b64 exec, exec, s[0:1]
	v_or_b32_e32 v1, 0x100, v0
	v_cmp_gt_u32_e64 s[14:15], s31, v1
	v_pk_mov_b32 v[18:19], v[20:21], v[20:21] op_sel:[0,1]
	s_and_saveexec_b64 s[0:1], s[14:15]
	s_cbranch_execz .LBB414_50
; %bb.49:
	v_lshlrev_b32_e32 v1, 4, v1
	global_load_dwordx4 v[18:21], v1, s[16:17]
.LBB414_50:
	s_or_b64 exec, exec, s[0:1]
	v_or_b32_e32 v1, 0x200, v0
	v_pk_mov_b32 v[16:17], 0, 0
	v_cmp_gt_u32_e64 s[12:13], s31, v1
	v_pk_mov_b32 v[32:33], v[16:17], v[16:17] op_sel:[0,1]
	v_pk_mov_b32 v[30:31], v[16:17], v[16:17] op_sel:[0,1]
	s_and_saveexec_b64 s[0:1], s[12:13]
	s_cbranch_execz .LBB414_52
; %bb.51:
	v_lshlrev_b32_e32 v1, 4, v1
	global_load_dwordx4 v[30:33], v1, s[16:17]
.LBB414_52:
	s_or_b64 exec, exec, s[0:1]
	v_or_b32_e32 v1, 0x300, v0
	v_cmp_gt_u32_e64 s[10:11], s31, v1
	v_pk_mov_b32 v[14:15], v[16:17], v[16:17] op_sel:[0,1]
	s_and_saveexec_b64 s[0:1], s[10:11]
	s_cbranch_execz .LBB414_54
; %bb.53:
	v_lshlrev_b32_e32 v1, 4, v1
	global_load_dwordx4 v[14:17], v1, s[16:17]
.LBB414_54:
	s_or_b64 exec, exec, s[0:1]
	v_or_b32_e32 v1, 0x400, v0
	v_pk_mov_b32 v[12:13], 0, 0
	v_cmp_gt_u32_e64 s[8:9], s31, v1
	v_pk_mov_b32 v[28:29], v[12:13], v[12:13] op_sel:[0,1]
	v_pk_mov_b32 v[26:27], v[12:13], v[12:13] op_sel:[0,1]
	s_and_saveexec_b64 s[0:1], s[8:9]
	;; [unrolled: 22-line block ×3, first 2 shown]
	s_cbranch_execz .LBB414_60
; %bb.59:
	v_lshlrev_b32_e32 v1, 4, v1
	global_load_dwordx4 v[22:25], v1, s[16:17]
.LBB414_60:
	s_or_b64 exec, exec, s[28:29]
	v_or_b32_e32 v1, 0x700, v0
	v_cmp_gt_u32_e32 vcc, s31, v1
	v_pk_mov_b32 v[6:7], v[8:9], v[8:9] op_sel:[0,1]
	s_and_saveexec_b64 s[28:29], vcc
	s_cbranch_execnz .LBB414_224
; %bb.61:
	s_or_b64 exec, exec, s[28:29]
	s_and_saveexec_b64 s[28:29], s[14:15]
	s_cbranch_execnz .LBB414_225
.LBB414_62:
	s_or_b64 exec, exec, s[28:29]
	s_and_saveexec_b64 s[16:17], s[12:13]
	s_cbranch_execnz .LBB414_226
.LBB414_63:
	s_or_b64 exec, exec, s[16:17]
	s_and_saveexec_b64 s[14:15], s[10:11]
	s_cbranch_execnz .LBB414_227
.LBB414_64:
	s_or_b64 exec, exec, s[14:15]
	s_and_saveexec_b64 s[12:13], s[8:9]
	s_cbranch_execnz .LBB414_228
.LBB414_65:
	s_or_b64 exec, exec, s[12:13]
	s_and_saveexec_b64 s[10:11], s[2:3]
	s_cbranch_execnz .LBB414_229
.LBB414_66:
	s_or_b64 exec, exec, s[10:11]
	s_and_saveexec_b64 s[8:9], s[0:1]
	s_cbranch_execnz .LBB414_230
.LBB414_67:
	s_or_b64 exec, exec, s[8:9]
	s_and_saveexec_b64 s[2:3], vcc
	s_cbranch_execz .LBB414_69
.LBB414_68:
	s_waitcnt vmcnt(0)
	v_cmp_lt_i64_e32 vcc, v[6:7], v[2:3]
	v_cmp_lt_i64_e64 s[0:1], v[4:5], v[8:9]
	s_or_b64 vcc, vcc, s[0:1]
	v_cndmask_b32_e32 v1, v6, v2, vcc
	v_cndmask_b32_e32 v10, v7, v3, vcc
	;; [unrolled: 1-line block ×4, first 2 shown]
	v_cmp_lt_i64_e32 vcc, v[2:3], v[6:7]
	v_cndmask_b32_e32 v5, v5, v9, vcc
	v_cndmask_b32_e32 v4, v4, v8, vcc
	;; [unrolled: 1-line block ×4, first 2 shown]
.LBB414_69:
	s_or_b64 exec, exec, s[2:3]
	v_mbcnt_lo_u32_b32 v1, -1, 0
	v_mbcnt_hi_u32_b32 v1, -1, v1
	s_waitcnt vmcnt(0)
	v_and_b32_e32 v11, 63, v1
	v_cmp_ne_u32_e32 vcc, 63, v11
	v_addc_co_u32_e32 v6, vcc, 0, v1, vcc
	v_lshlrev_b32_e32 v9, 2, v6
	ds_bpermute_b32 v6, v9, v2
	ds_bpermute_b32 v7, v9, v3
	;; [unrolled: 1-line block ×4, first 2 shown]
	s_min_u32 s8, s31, 0x100
	v_and_b32_e32 v9, 0xc0, v0
	v_sub_u32_e64 v12, s8, v9 clamp
	v_add_u32_e32 v9, 1, v11
	v_cmp_lt_u32_e32 vcc, v9, v12
	s_and_saveexec_b64 s[0:1], vcc
	s_xor_b64 s[2:3], exec, s[0:1]
	s_cbranch_execz .LBB414_71
; %bb.70:
	s_waitcnt lgkmcnt(0)
	v_mov_b32_e32 v9, v10
	v_cmp_lt_i64_e32 vcc, v[6:7], v[2:3]
	v_cmp_lt_i64_e64 s[0:1], v[4:5], v[8:9]
	s_or_b64 vcc, vcc, s[0:1]
	v_cndmask_b32_e32 v9, v6, v2, vcc
	v_cndmask_b32_e32 v13, v7, v3, vcc
	v_cndmask_b32_e32 v4, v8, v4, vcc
	v_cndmask_b32_e32 v5, v10, v5, vcc
	v_cmp_lt_i64_e32 vcc, v[2:3], v[6:7]
	v_cndmask_b32_e32 v5, v5, v10, vcc
	v_cndmask_b32_e32 v4, v4, v8, vcc
	v_cndmask_b32_e32 v3, v13, v7, vcc
	v_cndmask_b32_e32 v2, v9, v6, vcc
.LBB414_71:
	s_or_b64 exec, exec, s[2:3]
	v_cmp_gt_u32_e32 vcc, 62, v11
	s_waitcnt lgkmcnt(3)
	v_cndmask_b32_e64 v6, 0, 1, vcc
	v_lshlrev_b32_e32 v6, 1, v6
	v_add_lshl_u32 v9, v6, v1, 2
	ds_bpermute_b32 v6, v9, v2
	s_waitcnt lgkmcnt(3)
	ds_bpermute_b32 v7, v9, v3
	s_waitcnt lgkmcnt(3)
	ds_bpermute_b32 v8, v9, v4
	s_waitcnt lgkmcnt(3)
	ds_bpermute_b32 v10, v9, v5
	v_add_u32_e32 v9, 2, v11
	v_cmp_lt_u32_e32 vcc, v9, v12
	s_and_saveexec_b64 s[2:3], vcc
	s_cbranch_execz .LBB414_73
; %bb.72:
	s_waitcnt lgkmcnt(0)
	v_mov_b32_e32 v9, v10
	v_cmp_lt_i64_e32 vcc, v[6:7], v[2:3]
	v_cmp_lt_i64_e64 s[0:1], v[4:5], v[8:9]
	s_or_b64 vcc, vcc, s[0:1]
	v_cndmask_b32_e32 v9, v6, v2, vcc
	v_cndmask_b32_e32 v13, v7, v3, vcc
	v_cndmask_b32_e32 v4, v8, v4, vcc
	v_cndmask_b32_e32 v5, v10, v5, vcc
	v_cmp_lt_i64_e32 vcc, v[2:3], v[6:7]
	v_cndmask_b32_e32 v5, v5, v10, vcc
	v_cndmask_b32_e32 v4, v4, v8, vcc
	v_cndmask_b32_e32 v3, v13, v7, vcc
	v_cndmask_b32_e32 v2, v9, v6, vcc
.LBB414_73:
	s_or_b64 exec, exec, s[2:3]
	v_cmp_gt_u32_e32 vcc, 60, v11
	s_waitcnt lgkmcnt(3)
	v_cndmask_b32_e64 v6, 0, 1, vcc
	v_lshlrev_b32_e32 v6, 2, v6
	v_add_lshl_u32 v9, v6, v1, 2
	ds_bpermute_b32 v6, v9, v2
	s_waitcnt lgkmcnt(3)
	ds_bpermute_b32 v7, v9, v3
	s_waitcnt lgkmcnt(3)
	ds_bpermute_b32 v8, v9, v4
	s_waitcnt lgkmcnt(3)
	ds_bpermute_b32 v10, v9, v5
	v_add_u32_e32 v9, 4, v11
	v_cmp_lt_u32_e32 vcc, v9, v12
	s_and_saveexec_b64 s[2:3], vcc
	s_cbranch_execz .LBB414_75
; %bb.74:
	s_waitcnt lgkmcnt(0)
	v_mov_b32_e32 v9, v10
	v_cmp_lt_i64_e32 vcc, v[6:7], v[2:3]
	v_cmp_lt_i64_e64 s[0:1], v[4:5], v[8:9]
	s_or_b64 vcc, vcc, s[0:1]
	v_cndmask_b32_e32 v9, v6, v2, vcc
	v_cndmask_b32_e32 v13, v7, v3, vcc
	v_cndmask_b32_e32 v4, v8, v4, vcc
	v_cndmask_b32_e32 v5, v10, v5, vcc
	v_cmp_lt_i64_e32 vcc, v[2:3], v[6:7]
	v_cndmask_b32_e32 v5, v5, v10, vcc
	v_cndmask_b32_e32 v4, v4, v8, vcc
	v_cndmask_b32_e32 v3, v13, v7, vcc
	v_cndmask_b32_e32 v2, v9, v6, vcc
.LBB414_75:
	s_or_b64 exec, exec, s[2:3]
	v_cmp_gt_u32_e32 vcc, 56, v11
	s_waitcnt lgkmcnt(3)
	v_cndmask_b32_e64 v6, 0, 1, vcc
	v_lshlrev_b32_e32 v6, 3, v6
	v_add_lshl_u32 v9, v6, v1, 2
	ds_bpermute_b32 v6, v9, v2
	s_waitcnt lgkmcnt(3)
	ds_bpermute_b32 v7, v9, v3
	s_waitcnt lgkmcnt(3)
	ds_bpermute_b32 v8, v9, v4
	s_waitcnt lgkmcnt(3)
	ds_bpermute_b32 v10, v9, v5
	v_add_u32_e32 v9, 8, v11
	v_cmp_lt_u32_e32 vcc, v9, v12
	s_and_saveexec_b64 s[2:3], vcc
	s_cbranch_execz .LBB414_77
; %bb.76:
	s_waitcnt lgkmcnt(0)
	v_mov_b32_e32 v9, v10
	v_cmp_lt_i64_e32 vcc, v[6:7], v[2:3]
	v_cmp_lt_i64_e64 s[0:1], v[4:5], v[8:9]
	s_or_b64 vcc, vcc, s[0:1]
	v_cndmask_b32_e32 v9, v6, v2, vcc
	v_cndmask_b32_e32 v13, v7, v3, vcc
	v_cndmask_b32_e32 v4, v8, v4, vcc
	v_cndmask_b32_e32 v5, v10, v5, vcc
	v_cmp_lt_i64_e32 vcc, v[2:3], v[6:7]
	v_cndmask_b32_e32 v5, v5, v10, vcc
	v_cndmask_b32_e32 v4, v4, v8, vcc
	v_cndmask_b32_e32 v3, v13, v7, vcc
	v_cndmask_b32_e32 v2, v9, v6, vcc
.LBB414_77:
	s_or_b64 exec, exec, s[2:3]
	v_cmp_gt_u32_e32 vcc, 48, v11
	s_waitcnt lgkmcnt(3)
	v_cndmask_b32_e64 v6, 0, 1, vcc
	v_lshlrev_b32_e32 v6, 4, v6
	v_add_lshl_u32 v9, v6, v1, 2
	ds_bpermute_b32 v6, v9, v2
	s_waitcnt lgkmcnt(3)
	ds_bpermute_b32 v7, v9, v3
	s_waitcnt lgkmcnt(3)
	ds_bpermute_b32 v8, v9, v4
	s_waitcnt lgkmcnt(3)
	ds_bpermute_b32 v10, v9, v5
	v_add_u32_e32 v9, 16, v11
	v_cmp_lt_u32_e32 vcc, v9, v12
	s_and_saveexec_b64 s[2:3], vcc
	s_cbranch_execz .LBB414_79
; %bb.78:
	s_waitcnt lgkmcnt(0)
	v_mov_b32_e32 v9, v10
	v_cmp_lt_i64_e32 vcc, v[6:7], v[2:3]
	v_cmp_lt_i64_e64 s[0:1], v[4:5], v[8:9]
	s_or_b64 vcc, vcc, s[0:1]
	v_cndmask_b32_e32 v9, v6, v2, vcc
	v_cndmask_b32_e32 v13, v7, v3, vcc
	;; [unrolled: 1-line block ×4, first 2 shown]
	v_cmp_lt_i64_e32 vcc, v[2:3], v[6:7]
	v_cndmask_b32_e32 v5, v5, v10, vcc
	v_cndmask_b32_e32 v4, v4, v8, vcc
	;; [unrolled: 1-line block ×4, first 2 shown]
.LBB414_79:
	s_or_b64 exec, exec, s[2:3]
	v_cmp_gt_u32_e32 vcc, 32, v11
	s_waitcnt lgkmcnt(3)
	v_cndmask_b32_e64 v6, 0, 1, vcc
	v_lshlrev_b32_e32 v6, 5, v6
	v_add_lshl_u32 v9, v6, v1, 2
	ds_bpermute_b32 v6, v9, v2
	s_waitcnt lgkmcnt(3)
	ds_bpermute_b32 v7, v9, v3
	s_waitcnt lgkmcnt(3)
	ds_bpermute_b32 v8, v9, v4
	ds_bpermute_b32 v9, v9, v5
	s_waitcnt lgkmcnt(4)
	v_add_u32_e32 v10, 32, v11
	v_cmp_lt_u32_e32 vcc, v10, v12
	s_and_saveexec_b64 s[2:3], vcc
	s_cbranch_execz .LBB414_81
; %bb.80:
	s_waitcnt lgkmcnt(2)
	v_cmp_lt_i64_e32 vcc, v[6:7], v[2:3]
	s_waitcnt lgkmcnt(0)
	v_cmp_lt_i64_e64 s[0:1], v[4:5], v[8:9]
	s_or_b64 vcc, vcc, s[0:1]
	v_cndmask_b32_e32 v10, v6, v2, vcc
	v_cndmask_b32_e32 v11, v7, v3, vcc
	;; [unrolled: 1-line block ×4, first 2 shown]
	v_cmp_lt_i64_e32 vcc, v[2:3], v[6:7]
	v_cndmask_b32_e32 v5, v5, v9, vcc
	v_cndmask_b32_e32 v4, v4, v8, vcc
	;; [unrolled: 1-line block ×4, first 2 shown]
.LBB414_81:
	s_or_b64 exec, exec, s[2:3]
	v_cmp_eq_u32_e32 vcc, 0, v1
	s_and_saveexec_b64 s[0:1], vcc
	s_cbranch_execz .LBB414_83
; %bb.82:
	s_waitcnt lgkmcnt(3)
	v_lshrrev_b32_e32 v6, 2, v0
	v_and_b32_e32 v6, 48, v6
	ds_write2_b64 v6, v[2:3], v[4:5] offset0:32 offset1:33
.LBB414_83:
	s_or_b64 exec, exec, s[0:1]
	v_cmp_gt_u32_e32 vcc, 4, v0
	s_waitcnt lgkmcnt(0)
	s_barrier
	s_and_saveexec_b64 s[2:3], vcc
	s_cbranch_execz .LBB414_89
; %bb.84:
	v_lshlrev_b32_e32 v2, 4, v1
	ds_read2_b64 v[2:5], v2 offset0:32 offset1:33
	v_and_b32_e32 v11, 3, v1
	v_cmp_ne_u32_e32 vcc, 3, v11
	v_addc_co_u32_e32 v6, vcc, 0, v1, vcc
	v_lshlrev_b32_e32 v9, 2, v6
	s_waitcnt lgkmcnt(0)
	ds_bpermute_b32 v6, v9, v2
	ds_bpermute_b32 v7, v9, v3
	;; [unrolled: 1-line block ×4, first 2 shown]
	s_add_i32 s8, s8, 63
	s_lshr_b32 s10, s8, 6
	v_add_u32_e32 v9, 1, v11
	v_cmp_gt_u32_e32 vcc, s10, v9
	s_and_saveexec_b64 s[8:9], vcc
	s_cbranch_execz .LBB414_86
; %bb.85:
	s_waitcnt lgkmcnt(0)
	v_mov_b32_e32 v9, v10
	v_cmp_lt_i64_e32 vcc, v[6:7], v[2:3]
	v_cmp_lt_i64_e64 s[0:1], v[4:5], v[8:9]
	s_or_b64 vcc, vcc, s[0:1]
	v_cndmask_b32_e32 v9, v6, v2, vcc
	v_cndmask_b32_e32 v12, v7, v3, vcc
	;; [unrolled: 1-line block ×4, first 2 shown]
	v_cmp_lt_i64_e32 vcc, v[2:3], v[6:7]
	v_cndmask_b32_e32 v5, v5, v10, vcc
	v_cndmask_b32_e32 v4, v4, v8, vcc
	;; [unrolled: 1-line block ×4, first 2 shown]
.LBB414_86:
	s_or_b64 exec, exec, s[8:9]
	v_cmp_gt_u32_e32 vcc, 2, v11
	s_waitcnt lgkmcnt(3)
	v_cndmask_b32_e64 v6, 0, 1, vcc
	v_lshlrev_b32_e32 v6, 1, v6
	v_add_lshl_u32 v1, v6, v1, 2
	ds_bpermute_b32 v6, v1, v2
	s_waitcnt lgkmcnt(3)
	ds_bpermute_b32 v7, v1, v3
	s_waitcnt lgkmcnt(3)
	ds_bpermute_b32 v8, v1, v4
	ds_bpermute_b32 v9, v1, v5
	v_add_u32_e32 v1, 2, v11
	v_cmp_gt_u32_e32 vcc, s10, v1
	s_and_saveexec_b64 s[8:9], vcc
	s_cbranch_execz .LBB414_88
; %bb.87:
	s_waitcnt lgkmcnt(2)
	v_cmp_lt_i64_e32 vcc, v[6:7], v[2:3]
	s_waitcnt lgkmcnt(0)
	v_cmp_lt_i64_e64 s[0:1], v[4:5], v[8:9]
	s_or_b64 vcc, vcc, s[0:1]
	v_cndmask_b32_e32 v1, v6, v2, vcc
	v_cndmask_b32_e32 v10, v7, v3, vcc
	;; [unrolled: 1-line block ×4, first 2 shown]
	v_cmp_lt_i64_e32 vcc, v[2:3], v[6:7]
	v_cndmask_b32_e32 v5, v5, v9, vcc
	v_cndmask_b32_e32 v4, v4, v8, vcc
	;; [unrolled: 1-line block ×4, first 2 shown]
.LBB414_88:
	s_or_b64 exec, exec, s[8:9]
.LBB414_89:
	s_or_b64 exec, exec, s[2:3]
	v_cmp_eq_u32_e64 s[0:1], 0, v0
	s_and_b64 vcc, exec, s[18:19]
	s_cbranch_vccnz .LBB414_25
.LBB414_90:
	s_branch .LBB414_197
.LBB414_91:
                                        ; implicit-def: $vgpr2_vgpr3
	s_cbranch_execz .LBB414_124
; %bb.92:
	s_sub_i32 s12, s22, s2
	v_pk_mov_b32 v[12:13], 0, 0
	v_cmp_gt_u32_e32 vcc, s12, v0
	v_pk_mov_b32 v[4:5], v[12:13], v[12:13] op_sel:[0,1]
	v_pk_mov_b32 v[2:3], v[12:13], v[12:13] op_sel:[0,1]
	s_and_saveexec_b64 s[0:1], vcc
	s_cbranch_execz .LBB414_94
; %bb.93:
	v_lshlrev_b32_e32 v1, 4, v0
	global_load_dwordx4 v[2:5], v1, s[8:9]
.LBB414_94:
	s_or_b64 exec, exec, s[0:1]
	v_or_b32_e32 v1, 0x100, v0
	v_cmp_gt_u32_e64 s[2:3], s12, v1
	s_waitcnt lgkmcnt(4)
	v_pk_mov_b32 v[10:11], v[12:13], v[12:13] op_sel:[0,1]
	s_and_saveexec_b64 s[0:1], s[2:3]
	s_cbranch_execz .LBB414_96
; %bb.95:
	v_lshlrev_b32_e32 v1, 4, v1
	global_load_dwordx4 v[10:13], v1, s[8:9]
.LBB414_96:
	s_or_b64 exec, exec, s[0:1]
	v_or_b32_e32 v1, 0x200, v0
	s_waitcnt lgkmcnt(0)
	v_pk_mov_b32 v[8:9], 0, 0
	v_cmp_gt_u32_e64 s[0:1], s12, v1
	v_pk_mov_b32 v[16:17], v[8:9], v[8:9] op_sel:[0,1]
	v_pk_mov_b32 v[14:15], v[8:9], v[8:9] op_sel:[0,1]
	s_and_saveexec_b64 s[10:11], s[0:1]
	s_cbranch_execz .LBB414_98
; %bb.97:
	v_lshlrev_b32_e32 v1, 4, v1
	global_load_dwordx4 v[14:17], v1, s[8:9]
.LBB414_98:
	s_or_b64 exec, exec, s[10:11]
	v_or_b32_e32 v1, 0x300, v0
	v_cmp_gt_u32_e32 vcc, s12, v1
	v_pk_mov_b32 v[6:7], v[8:9], v[8:9] op_sel:[0,1]
	s_and_saveexec_b64 s[10:11], vcc
	s_cbranch_execnz .LBB414_231
; %bb.99:
	s_or_b64 exec, exec, s[10:11]
	s_and_saveexec_b64 s[10:11], s[2:3]
	s_cbranch_execnz .LBB414_232
.LBB414_100:
	s_or_b64 exec, exec, s[10:11]
	s_and_saveexec_b64 s[8:9], s[0:1]
	s_cbranch_execnz .LBB414_233
.LBB414_101:
	s_or_b64 exec, exec, s[8:9]
	s_and_saveexec_b64 s[2:3], vcc
	s_cbranch_execz .LBB414_103
.LBB414_102:
	s_waitcnt vmcnt(0)
	v_cmp_lt_i64_e32 vcc, v[6:7], v[2:3]
	v_cmp_lt_i64_e64 s[0:1], v[4:5], v[8:9]
	s_or_b64 vcc, vcc, s[0:1]
	v_cndmask_b32_e32 v1, v6, v2, vcc
	v_cndmask_b32_e32 v10, v7, v3, vcc
	;; [unrolled: 1-line block ×4, first 2 shown]
	v_cmp_lt_i64_e32 vcc, v[2:3], v[6:7]
	v_cndmask_b32_e32 v5, v5, v9, vcc
	v_cndmask_b32_e32 v4, v4, v8, vcc
	;; [unrolled: 1-line block ×4, first 2 shown]
.LBB414_103:
	s_or_b64 exec, exec, s[2:3]
	v_mbcnt_lo_u32_b32 v1, -1, 0
	v_mbcnt_hi_u32_b32 v1, -1, v1
	s_waitcnt vmcnt(0)
	v_and_b32_e32 v11, 63, v1
	v_cmp_ne_u32_e32 vcc, 63, v11
	v_addc_co_u32_e32 v6, vcc, 0, v1, vcc
	v_lshlrev_b32_e32 v9, 2, v6
	ds_bpermute_b32 v6, v9, v2
	ds_bpermute_b32 v7, v9, v3
	ds_bpermute_b32 v8, v9, v4
	ds_bpermute_b32 v10, v9, v5
	s_min_u32 s8, s12, 0x100
	v_and_b32_e32 v9, 0xc0, v0
	v_sub_u32_e64 v12, s8, v9 clamp
	v_add_u32_e32 v9, 1, v11
	v_cmp_lt_u32_e32 vcc, v9, v12
	s_and_saveexec_b64 s[0:1], vcc
	s_xor_b64 s[2:3], exec, s[0:1]
	s_cbranch_execz .LBB414_105
; %bb.104:
	s_waitcnt lgkmcnt(0)
	v_mov_b32_e32 v9, v10
	v_cmp_lt_i64_e32 vcc, v[6:7], v[2:3]
	v_cmp_lt_i64_e64 s[0:1], v[4:5], v[8:9]
	s_or_b64 vcc, vcc, s[0:1]
	v_cndmask_b32_e32 v9, v6, v2, vcc
	v_cndmask_b32_e32 v13, v7, v3, vcc
	v_cndmask_b32_e32 v4, v8, v4, vcc
	v_cndmask_b32_e32 v5, v10, v5, vcc
	v_cmp_lt_i64_e32 vcc, v[2:3], v[6:7]
	v_cndmask_b32_e32 v5, v5, v10, vcc
	v_cndmask_b32_e32 v4, v4, v8, vcc
	v_cndmask_b32_e32 v3, v13, v7, vcc
	v_cndmask_b32_e32 v2, v9, v6, vcc
.LBB414_105:
	s_or_b64 exec, exec, s[2:3]
	v_cmp_gt_u32_e32 vcc, 62, v11
	s_waitcnt lgkmcnt(3)
	v_cndmask_b32_e64 v6, 0, 1, vcc
	v_lshlrev_b32_e32 v6, 1, v6
	v_add_lshl_u32 v9, v6, v1, 2
	ds_bpermute_b32 v6, v9, v2
	s_waitcnt lgkmcnt(3)
	ds_bpermute_b32 v7, v9, v3
	s_waitcnt lgkmcnt(3)
	ds_bpermute_b32 v8, v9, v4
	s_waitcnt lgkmcnt(3)
	ds_bpermute_b32 v10, v9, v5
	v_add_u32_e32 v9, 2, v11
	v_cmp_lt_u32_e32 vcc, v9, v12
	s_and_saveexec_b64 s[2:3], vcc
	s_cbranch_execz .LBB414_107
; %bb.106:
	s_waitcnt lgkmcnt(0)
	v_mov_b32_e32 v9, v10
	v_cmp_lt_i64_e32 vcc, v[6:7], v[2:3]
	v_cmp_lt_i64_e64 s[0:1], v[4:5], v[8:9]
	s_or_b64 vcc, vcc, s[0:1]
	v_cndmask_b32_e32 v9, v6, v2, vcc
	v_cndmask_b32_e32 v13, v7, v3, vcc
	v_cndmask_b32_e32 v4, v8, v4, vcc
	v_cndmask_b32_e32 v5, v10, v5, vcc
	v_cmp_lt_i64_e32 vcc, v[2:3], v[6:7]
	v_cndmask_b32_e32 v5, v5, v10, vcc
	v_cndmask_b32_e32 v4, v4, v8, vcc
	v_cndmask_b32_e32 v3, v13, v7, vcc
	v_cndmask_b32_e32 v2, v9, v6, vcc
.LBB414_107:
	s_or_b64 exec, exec, s[2:3]
	v_cmp_gt_u32_e32 vcc, 60, v11
	s_waitcnt lgkmcnt(3)
	v_cndmask_b32_e64 v6, 0, 1, vcc
	v_lshlrev_b32_e32 v6, 2, v6
	v_add_lshl_u32 v9, v6, v1, 2
	ds_bpermute_b32 v6, v9, v2
	s_waitcnt lgkmcnt(3)
	ds_bpermute_b32 v7, v9, v3
	s_waitcnt lgkmcnt(3)
	ds_bpermute_b32 v8, v9, v4
	s_waitcnt lgkmcnt(3)
	ds_bpermute_b32 v10, v9, v5
	v_add_u32_e32 v9, 4, v11
	v_cmp_lt_u32_e32 vcc, v9, v12
	s_and_saveexec_b64 s[2:3], vcc
	;; [unrolled: 33-line block ×4, first 2 shown]
	s_cbranch_execz .LBB414_113
; %bb.112:
	s_waitcnt lgkmcnt(0)
	v_mov_b32_e32 v9, v10
	v_cmp_lt_i64_e32 vcc, v[6:7], v[2:3]
	v_cmp_lt_i64_e64 s[0:1], v[4:5], v[8:9]
	s_or_b64 vcc, vcc, s[0:1]
	v_cndmask_b32_e32 v9, v6, v2, vcc
	v_cndmask_b32_e32 v13, v7, v3, vcc
	;; [unrolled: 1-line block ×4, first 2 shown]
	v_cmp_lt_i64_e32 vcc, v[2:3], v[6:7]
	v_cndmask_b32_e32 v5, v5, v10, vcc
	v_cndmask_b32_e32 v4, v4, v8, vcc
	;; [unrolled: 1-line block ×4, first 2 shown]
.LBB414_113:
	s_or_b64 exec, exec, s[2:3]
	v_cmp_gt_u32_e32 vcc, 32, v11
	s_waitcnt lgkmcnt(3)
	v_cndmask_b32_e64 v6, 0, 1, vcc
	v_lshlrev_b32_e32 v6, 5, v6
	v_add_lshl_u32 v9, v6, v1, 2
	ds_bpermute_b32 v6, v9, v2
	s_waitcnt lgkmcnt(3)
	ds_bpermute_b32 v7, v9, v3
	s_waitcnt lgkmcnt(3)
	ds_bpermute_b32 v8, v9, v4
	ds_bpermute_b32 v9, v9, v5
	s_waitcnt lgkmcnt(4)
	v_add_u32_e32 v10, 32, v11
	v_cmp_lt_u32_e32 vcc, v10, v12
	s_and_saveexec_b64 s[2:3], vcc
	s_cbranch_execz .LBB414_115
; %bb.114:
	s_waitcnt lgkmcnt(2)
	v_cmp_lt_i64_e32 vcc, v[6:7], v[2:3]
	s_waitcnt lgkmcnt(0)
	v_cmp_lt_i64_e64 s[0:1], v[4:5], v[8:9]
	s_or_b64 vcc, vcc, s[0:1]
	v_cndmask_b32_e32 v10, v6, v2, vcc
	v_cndmask_b32_e32 v11, v7, v3, vcc
	;; [unrolled: 1-line block ×4, first 2 shown]
	v_cmp_lt_i64_e32 vcc, v[2:3], v[6:7]
	v_cndmask_b32_e32 v5, v5, v9, vcc
	v_cndmask_b32_e32 v4, v4, v8, vcc
	;; [unrolled: 1-line block ×4, first 2 shown]
.LBB414_115:
	s_or_b64 exec, exec, s[2:3]
	v_cmp_eq_u32_e32 vcc, 0, v1
	s_and_saveexec_b64 s[0:1], vcc
	s_cbranch_execz .LBB414_117
; %bb.116:
	s_waitcnt lgkmcnt(3)
	v_lshrrev_b32_e32 v6, 2, v0
	v_and_b32_e32 v6, 48, v6
	ds_write2_b64 v6, v[2:3], v[4:5] offset0:32 offset1:33
.LBB414_117:
	s_or_b64 exec, exec, s[0:1]
	v_cmp_gt_u32_e32 vcc, 4, v0
	s_waitcnt lgkmcnt(0)
	s_barrier
	s_and_saveexec_b64 s[2:3], vcc
	s_cbranch_execz .LBB414_123
; %bb.118:
	v_lshlrev_b32_e32 v2, 4, v1
	ds_read2_b64 v[2:5], v2 offset0:32 offset1:33
	v_and_b32_e32 v11, 3, v1
	v_cmp_ne_u32_e32 vcc, 3, v11
	v_addc_co_u32_e32 v6, vcc, 0, v1, vcc
	v_lshlrev_b32_e32 v9, 2, v6
	s_waitcnt lgkmcnt(0)
	ds_bpermute_b32 v6, v9, v2
	ds_bpermute_b32 v7, v9, v3
	;; [unrolled: 1-line block ×4, first 2 shown]
	s_add_i32 s8, s8, 63
	s_lshr_b32 s10, s8, 6
	v_add_u32_e32 v9, 1, v11
	v_cmp_gt_u32_e32 vcc, s10, v9
	s_and_saveexec_b64 s[8:9], vcc
	s_cbranch_execz .LBB414_120
; %bb.119:
	s_waitcnt lgkmcnt(0)
	v_mov_b32_e32 v9, v10
	v_cmp_lt_i64_e32 vcc, v[6:7], v[2:3]
	v_cmp_lt_i64_e64 s[0:1], v[4:5], v[8:9]
	s_or_b64 vcc, vcc, s[0:1]
	v_cndmask_b32_e32 v9, v6, v2, vcc
	v_cndmask_b32_e32 v12, v7, v3, vcc
	;; [unrolled: 1-line block ×4, first 2 shown]
	v_cmp_lt_i64_e32 vcc, v[2:3], v[6:7]
	v_cndmask_b32_e32 v5, v5, v10, vcc
	v_cndmask_b32_e32 v4, v4, v8, vcc
	;; [unrolled: 1-line block ×4, first 2 shown]
.LBB414_120:
	s_or_b64 exec, exec, s[8:9]
	v_cmp_gt_u32_e32 vcc, 2, v11
	s_waitcnt lgkmcnt(3)
	v_cndmask_b32_e64 v6, 0, 1, vcc
	v_lshlrev_b32_e32 v6, 1, v6
	v_add_lshl_u32 v1, v6, v1, 2
	ds_bpermute_b32 v6, v1, v2
	s_waitcnt lgkmcnt(3)
	ds_bpermute_b32 v7, v1, v3
	s_waitcnt lgkmcnt(3)
	ds_bpermute_b32 v8, v1, v4
	ds_bpermute_b32 v9, v1, v5
	v_add_u32_e32 v1, 2, v11
	v_cmp_gt_u32_e32 vcc, s10, v1
	s_and_saveexec_b64 s[8:9], vcc
	s_cbranch_execz .LBB414_122
; %bb.121:
	s_waitcnt lgkmcnt(2)
	v_cmp_lt_i64_e32 vcc, v[6:7], v[2:3]
	s_waitcnt lgkmcnt(0)
	v_cmp_lt_i64_e64 s[0:1], v[4:5], v[8:9]
	s_or_b64 vcc, vcc, s[0:1]
	v_cndmask_b32_e32 v1, v6, v2, vcc
	v_cndmask_b32_e32 v10, v7, v3, vcc
	;; [unrolled: 1-line block ×4, first 2 shown]
	v_cmp_lt_i64_e32 vcc, v[2:3], v[6:7]
	v_cndmask_b32_e32 v5, v5, v9, vcc
	v_cndmask_b32_e32 v4, v4, v8, vcc
	;; [unrolled: 1-line block ×4, first 2 shown]
.LBB414_122:
	s_or_b64 exec, exec, s[8:9]
.LBB414_123:
	s_or_b64 exec, exec, s[2:3]
.LBB414_124:
	v_cmp_eq_u32_e64 s[0:1], 0, v0
	s_branch .LBB414_197
.LBB414_125:
	s_cmp_gt_i32 s30, 1
	s_cbranch_scc0 .LBB414_145
; %bb.126:
	s_cmp_eq_u32 s30, 2
	s_cbranch_scc0 .LBB414_146
; %bb.127:
	s_mov_b32 s7, 0
	s_lshl_b32 s8, s6, 9
	s_mov_b32 s9, s7
	s_lshr_b64 s[0:1], s[22:23], 9
	s_lshl_b64 s[2:3], s[8:9], 4
	s_add_u32 s2, s20, s2
	s_addc_u32 s3, s21, s3
	s_cmp_lg_u64 s[0:1], s[6:7]
	s_cbranch_scc0 .LBB414_147
; %bb.128:
	v_lshlrev_b32_e32 v1, 4, v0
	v_mov_b32_e32 v2, s3
	v_add_co_u32_e32 v3, vcc, s2, v1
	v_addc_co_u32_e32 v2, vcc, 0, v2, vcc
	s_waitcnt lgkmcnt(4)
	v_add_co_u32_e32 v10, vcc, 0x1000, v3
	v_addc_co_u32_e32 v11, vcc, 0, v2, vcc
	global_load_dwordx4 v[2:5], v1, s[2:3]
	s_waitcnt lgkmcnt(0)
	global_load_dwordx4 v[6:9], v[10:11], off
	s_waitcnt vmcnt(0)
	v_cmp_lt_i64_e32 vcc, v[6:7], v[2:3]
	v_cmp_lt_i64_e64 s[0:1], v[4:5], v[8:9]
	s_or_b64 vcc, vcc, s[0:1]
	v_cndmask_b32_e32 v1, v6, v2, vcc
	v_cndmask_b32_e32 v10, v7, v3, vcc
	v_cndmask_b32_e32 v4, v8, v4, vcc
	v_cndmask_b32_e32 v5, v9, v5, vcc
	v_cmp_lt_i64_e32 vcc, v[2:3], v[6:7]
	v_cndmask_b32_e32 v3, v10, v7, vcc
	v_cndmask_b32_e32 v2, v1, v6, vcc
	;; [unrolled: 1-line block ×4, first 2 shown]
	v_mov_b32_dpp v6, v2 quad_perm:[1,0,3,2] row_mask:0xf bank_mask:0xf bound_ctrl:1
	v_mov_b32_dpp v7, v3 quad_perm:[1,0,3,2] row_mask:0xf bank_mask:0xf bound_ctrl:1
	;; [unrolled: 1-line block ×4, first 2 shown]
	v_cmp_ge_i64_e32 vcc, v[6:7], v[2:3]
	s_and_saveexec_b64 s[10:11], vcc
; %bb.129:
	v_mov_b32_e32 v9, v10
	v_cmp_gt_i64_e32 vcc, v[6:7], v[2:3]
	v_cmp_lt_i64_e64 s[0:1], v[8:9], v[4:5]
	s_or_b64 vcc, vcc, s[0:1]
	v_cndmask_b32_e32 v5, v5, v10, vcc
	v_cndmask_b32_e32 v4, v4, v8, vcc
	;; [unrolled: 1-line block ×4, first 2 shown]
; %bb.130:
	s_or_b64 exec, exec, s[10:11]
	s_nop 0
	v_mov_b32_dpp v6, v2 quad_perm:[2,3,0,1] row_mask:0xf bank_mask:0xf bound_ctrl:1
	v_mov_b32_dpp v7, v3 quad_perm:[2,3,0,1] row_mask:0xf bank_mask:0xf bound_ctrl:1
	;; [unrolled: 1-line block ×4, first 2 shown]
	v_cmp_ge_i64_e32 vcc, v[6:7], v[2:3]
	s_and_saveexec_b64 s[10:11], vcc
; %bb.131:
	v_mov_b32_e32 v9, v10
	v_cmp_lt_i64_e32 vcc, v[2:3], v[6:7]
	v_cmp_lt_i64_e64 s[0:1], v[8:9], v[4:5]
	s_or_b64 vcc, vcc, s[0:1]
	v_cndmask_b32_e32 v5, v5, v10, vcc
	v_cndmask_b32_e32 v4, v4, v8, vcc
	;; [unrolled: 1-line block ×4, first 2 shown]
; %bb.132:
	s_or_b64 exec, exec, s[10:11]
	s_nop 0
	v_mov_b32_dpp v6, v2 row_ror:4 row_mask:0xf bank_mask:0xf bound_ctrl:1
	v_mov_b32_dpp v7, v3 row_ror:4 row_mask:0xf bank_mask:0xf bound_ctrl:1
	;; [unrolled: 1-line block ×4, first 2 shown]
	v_cmp_ge_i64_e32 vcc, v[6:7], v[2:3]
	s_and_saveexec_b64 s[10:11], vcc
; %bb.133:
	v_mov_b32_e32 v9, v10
	v_cmp_lt_i64_e32 vcc, v[2:3], v[6:7]
	v_cmp_lt_i64_e64 s[0:1], v[8:9], v[4:5]
	s_or_b64 vcc, vcc, s[0:1]
	v_cndmask_b32_e32 v5, v5, v10, vcc
	v_cndmask_b32_e32 v4, v4, v8, vcc
	;; [unrolled: 1-line block ×4, first 2 shown]
; %bb.134:
	s_or_b64 exec, exec, s[10:11]
	s_nop 0
	v_mov_b32_dpp v6, v2 row_ror:8 row_mask:0xf bank_mask:0xf bound_ctrl:1
	v_mov_b32_dpp v7, v3 row_ror:8 row_mask:0xf bank_mask:0xf bound_ctrl:1
	;; [unrolled: 1-line block ×4, first 2 shown]
	v_cmp_ge_i64_e32 vcc, v[6:7], v[2:3]
	s_and_saveexec_b64 s[10:11], vcc
; %bb.135:
	v_mov_b32_e32 v9, v10
	v_cmp_lt_i64_e32 vcc, v[2:3], v[6:7]
	v_cmp_lt_i64_e64 s[0:1], v[8:9], v[4:5]
	s_or_b64 vcc, vcc, s[0:1]
	v_cndmask_b32_e32 v5, v5, v10, vcc
	v_cndmask_b32_e32 v4, v4, v8, vcc
	;; [unrolled: 1-line block ×4, first 2 shown]
; %bb.136:
	s_or_b64 exec, exec, s[10:11]
	s_nop 0
	v_mov_b32_dpp v6, v2 row_bcast:15 row_mask:0xf bank_mask:0xf bound_ctrl:1
	v_mov_b32_dpp v7, v3 row_bcast:15 row_mask:0xf bank_mask:0xf bound_ctrl:1
	;; [unrolled: 1-line block ×4, first 2 shown]
	v_cmp_ge_i64_e32 vcc, v[6:7], v[2:3]
	s_and_saveexec_b64 s[10:11], vcc
; %bb.137:
	v_mov_b32_e32 v9, v10
	v_cmp_lt_i64_e32 vcc, v[2:3], v[6:7]
	v_cmp_lt_i64_e64 s[0:1], v[8:9], v[4:5]
	s_or_b64 vcc, vcc, s[0:1]
	v_cndmask_b32_e32 v5, v5, v10, vcc
	v_cndmask_b32_e32 v4, v4, v8, vcc
	;; [unrolled: 1-line block ×4, first 2 shown]
; %bb.138:
	s_or_b64 exec, exec, s[10:11]
	s_nop 0
	v_mov_b32_dpp v6, v2 row_bcast:31 row_mask:0xf bank_mask:0xf bound_ctrl:1
	v_mov_b32_dpp v7, v3 row_bcast:31 row_mask:0xf bank_mask:0xf bound_ctrl:1
	;; [unrolled: 1-line block ×4, first 2 shown]
	v_cmp_ge_i64_e32 vcc, v[6:7], v[2:3]
	s_and_saveexec_b64 s[10:11], vcc
; %bb.139:
	v_mov_b32_e32 v9, v10
	v_cmp_lt_i64_e32 vcc, v[2:3], v[6:7]
	v_cmp_lt_i64_e64 s[0:1], v[8:9], v[4:5]
	s_or_b64 vcc, vcc, s[0:1]
	v_cndmask_b32_e32 v5, v5, v10, vcc
	v_cndmask_b32_e32 v4, v4, v8, vcc
	;; [unrolled: 1-line block ×4, first 2 shown]
; %bb.140:
	s_or_b64 exec, exec, s[10:11]
	v_mbcnt_lo_u32_b32 v1, -1, 0
	v_mbcnt_hi_u32_b32 v1, -1, v1
	v_bfrev_b32_e32 v6, 0.5
	v_lshl_or_b32 v6, v1, 2, v6
	ds_bpermute_b32 v2, v6, v2
	ds_bpermute_b32 v3, v6, v3
	;; [unrolled: 1-line block ×4, first 2 shown]
	v_cmp_eq_u32_e32 vcc, 0, v1
	s_and_saveexec_b64 s[0:1], vcc
	s_cbranch_execz .LBB414_142
; %bb.141:
	v_lshrrev_b32_e32 v6, 2, v0
	v_and_b32_e32 v6, 48, v6
	s_waitcnt lgkmcnt(0)
	ds_write2_b64 v6, v[2:3], v[4:5] offset0:8 offset1:9
.LBB414_142:
	s_or_b64 exec, exec, s[0:1]
	v_cmp_gt_u32_e32 vcc, 64, v0
	s_waitcnt lgkmcnt(0)
	s_barrier
	s_and_saveexec_b64 s[10:11], vcc
	s_cbranch_execz .LBB414_144
; %bb.143:
	v_and_b32_e32 v9, 3, v1
	v_lshlrev_b32_e32 v2, 4, v9
	ds_read2_b64 v[2:5], v2 offset0:8 offset1:9
	v_cmp_ne_u32_e32 vcc, 3, v9
	v_addc_co_u32_e32 v6, vcc, 0, v1, vcc
	v_lshlrev_b32_e32 v10, 2, v6
	s_waitcnt lgkmcnt(0)
	ds_bpermute_b32 v8, v10, v5
	ds_bpermute_b32 v6, v10, v2
	;; [unrolled: 1-line block ×4, first 2 shown]
	s_waitcnt lgkmcnt(3)
	v_mov_b32_e32 v11, v8
	s_waitcnt lgkmcnt(1)
	v_cmp_lt_i64_e32 vcc, v[6:7], v[2:3]
	s_waitcnt lgkmcnt(0)
	v_cmp_gt_i64_e64 s[0:1], v[10:11], v[4:5]
	s_or_b64 vcc, vcc, s[0:1]
	v_cndmask_b32_e32 v11, v6, v2, vcc
	v_cndmask_b32_e32 v12, v7, v3, vcc
	;; [unrolled: 1-line block ×4, first 2 shown]
	v_cmp_gt_i64_e32 vcc, v[6:7], v[2:3]
	v_cndmask_b32_e32 v3, v5, v8, vcc
	v_cndmask_b32_e32 v2, v4, v10, vcc
	;; [unrolled: 1-line block ×4, first 2 shown]
	v_cmp_gt_u32_e32 vcc, 2, v9
	v_cndmask_b32_e64 v6, 0, 1, vcc
	v_lshlrev_b32_e32 v6, 1, v6
	v_add_lshl_u32 v1, v6, v1, 2
	ds_bpermute_b32 v8, v1, v3
	ds_bpermute_b32 v6, v1, v4
	;; [unrolled: 1-line block ×4, first 2 shown]
	s_waitcnt lgkmcnt(3)
	v_mov_b32_e32 v11, v8
	s_waitcnt lgkmcnt(1)
	v_cmp_lt_i64_e32 vcc, v[6:7], v[4:5]
	s_waitcnt lgkmcnt(0)
	v_cmp_lt_i64_e64 s[0:1], v[2:3], v[10:11]
	s_or_b64 vcc, vcc, s[0:1]
	v_cndmask_b32_e32 v1, v6, v4, vcc
	v_cndmask_b32_e32 v9, v7, v5, vcc
	;; [unrolled: 1-line block ×4, first 2 shown]
	v_cmp_lt_i64_e32 vcc, v[4:5], v[6:7]
	v_cndmask_b32_e32 v5, v3, v8, vcc
	v_cndmask_b32_e32 v4, v2, v10, vcc
	;; [unrolled: 1-line block ×4, first 2 shown]
.LBB414_144:
	s_or_b64 exec, exec, s[10:11]
	s_branch .LBB414_175
.LBB414_145:
                                        ; implicit-def: $vgpr4_vgpr5
	s_cbranch_execnz .LBB414_176
	s_branch .LBB414_197
.LBB414_146:
                                        ; implicit-def: $vgpr4_vgpr5
	s_branch .LBB414_197
.LBB414_147:
                                        ; implicit-def: $vgpr2_vgpr3
	s_cbranch_execz .LBB414_175
; %bb.148:
	s_sub_i32 s8, s22, s8
	s_waitcnt lgkmcnt(0)
	v_pk_mov_b32 v[8:9], 0, 0
	v_cmp_gt_u32_e32 vcc, s8, v0
	v_pk_mov_b32 v[4:5], v[8:9], v[8:9] op_sel:[0,1]
	v_pk_mov_b32 v[2:3], v[8:9], v[8:9] op_sel:[0,1]
	s_and_saveexec_b64 s[0:1], vcc
	s_cbranch_execz .LBB414_150
; %bb.149:
	v_lshlrev_b32_e32 v1, 4, v0
	global_load_dwordx4 v[2:5], v1, s[2:3]
.LBB414_150:
	s_or_b64 exec, exec, s[0:1]
	v_or_b32_e32 v1, 0x100, v0
	v_cmp_gt_u32_e32 vcc, s8, v1
	v_pk_mov_b32 v[6:7], v[8:9], v[8:9] op_sel:[0,1]
	s_and_saveexec_b64 s[0:1], vcc
	s_cbranch_execz .LBB414_152
; %bb.151:
	v_lshlrev_b32_e32 v1, 4, v1
	global_load_dwordx4 v[6:9], v1, s[2:3]
.LBB414_152:
	s_or_b64 exec, exec, s[0:1]
	s_and_saveexec_b64 s[2:3], vcc
	s_cbranch_execz .LBB414_154
; %bb.153:
	s_waitcnt vmcnt(0)
	v_cmp_lt_i64_e32 vcc, v[6:7], v[2:3]
	v_cmp_lt_i64_e64 s[0:1], v[4:5], v[8:9]
	s_or_b64 vcc, vcc, s[0:1]
	v_cndmask_b32_e32 v1, v6, v2, vcc
	v_cndmask_b32_e32 v10, v7, v3, vcc
	;; [unrolled: 1-line block ×4, first 2 shown]
	v_cmp_lt_i64_e32 vcc, v[2:3], v[6:7]
	v_cndmask_b32_e32 v5, v5, v9, vcc
	v_cndmask_b32_e32 v4, v4, v8, vcc
	;; [unrolled: 1-line block ×4, first 2 shown]
.LBB414_154:
	s_or_b64 exec, exec, s[2:3]
	v_mbcnt_lo_u32_b32 v1, -1, 0
	v_mbcnt_hi_u32_b32 v1, -1, v1
	v_and_b32_e32 v11, 63, v1
	v_cmp_ne_u32_e32 vcc, 63, v11
	s_waitcnt vmcnt(0)
	v_addc_co_u32_e32 v6, vcc, 0, v1, vcc
	v_lshlrev_b32_e32 v9, 2, v6
	ds_bpermute_b32 v6, v9, v2
	ds_bpermute_b32 v7, v9, v3
	;; [unrolled: 1-line block ×4, first 2 shown]
	s_min_u32 s8, s8, 0x100
	v_and_b32_e32 v9, 0xc0, v0
	v_sub_u32_e64 v12, s8, v9 clamp
	v_add_u32_e32 v9, 1, v11
	v_cmp_lt_u32_e32 vcc, v9, v12
	s_and_saveexec_b64 s[2:3], vcc
	s_cbranch_execz .LBB414_156
; %bb.155:
	s_waitcnt lgkmcnt(0)
	v_mov_b32_e32 v9, v10
	v_cmp_lt_i64_e32 vcc, v[6:7], v[2:3]
	v_cmp_lt_i64_e64 s[0:1], v[4:5], v[8:9]
	s_or_b64 vcc, vcc, s[0:1]
	v_cndmask_b32_e32 v9, v6, v2, vcc
	v_cndmask_b32_e32 v13, v7, v3, vcc
	v_cndmask_b32_e32 v4, v8, v4, vcc
	v_cndmask_b32_e32 v5, v10, v5, vcc
	v_cmp_lt_i64_e32 vcc, v[2:3], v[6:7]
	v_cndmask_b32_e32 v5, v5, v10, vcc
	v_cndmask_b32_e32 v4, v4, v8, vcc
	v_cndmask_b32_e32 v3, v13, v7, vcc
	v_cndmask_b32_e32 v2, v9, v6, vcc
.LBB414_156:
	s_or_b64 exec, exec, s[2:3]
	v_cmp_gt_u32_e32 vcc, 62, v11
	s_waitcnt lgkmcnt(3)
	v_cndmask_b32_e64 v6, 0, 1, vcc
	v_lshlrev_b32_e32 v6, 1, v6
	v_add_lshl_u32 v9, v6, v1, 2
	ds_bpermute_b32 v6, v9, v2
	s_waitcnt lgkmcnt(3)
	ds_bpermute_b32 v7, v9, v3
	s_waitcnt lgkmcnt(3)
	ds_bpermute_b32 v8, v9, v4
	s_waitcnt lgkmcnt(3)
	ds_bpermute_b32 v10, v9, v5
	v_add_u32_e32 v9, 2, v11
	v_cmp_lt_u32_e32 vcc, v9, v12
	s_and_saveexec_b64 s[2:3], vcc
	s_cbranch_execz .LBB414_158
; %bb.157:
	s_waitcnt lgkmcnt(0)
	v_mov_b32_e32 v9, v10
	v_cmp_lt_i64_e32 vcc, v[6:7], v[2:3]
	v_cmp_lt_i64_e64 s[0:1], v[4:5], v[8:9]
	s_or_b64 vcc, vcc, s[0:1]
	v_cndmask_b32_e32 v9, v6, v2, vcc
	v_cndmask_b32_e32 v13, v7, v3, vcc
	v_cndmask_b32_e32 v4, v8, v4, vcc
	v_cndmask_b32_e32 v5, v10, v5, vcc
	v_cmp_lt_i64_e32 vcc, v[2:3], v[6:7]
	v_cndmask_b32_e32 v5, v5, v10, vcc
	v_cndmask_b32_e32 v4, v4, v8, vcc
	v_cndmask_b32_e32 v3, v13, v7, vcc
	v_cndmask_b32_e32 v2, v9, v6, vcc
.LBB414_158:
	s_or_b64 exec, exec, s[2:3]
	v_cmp_gt_u32_e32 vcc, 60, v11
	s_waitcnt lgkmcnt(3)
	v_cndmask_b32_e64 v6, 0, 1, vcc
	v_lshlrev_b32_e32 v6, 2, v6
	v_add_lshl_u32 v9, v6, v1, 2
	ds_bpermute_b32 v6, v9, v2
	s_waitcnt lgkmcnt(3)
	ds_bpermute_b32 v7, v9, v3
	s_waitcnt lgkmcnt(3)
	ds_bpermute_b32 v8, v9, v4
	s_waitcnt lgkmcnt(3)
	ds_bpermute_b32 v10, v9, v5
	;; [unrolled: 33-line block ×4, first 2 shown]
	v_add_u32_e32 v9, 16, v11
	v_cmp_lt_u32_e32 vcc, v9, v12
	s_and_saveexec_b64 s[2:3], vcc
	s_cbranch_execz .LBB414_164
; %bb.163:
	s_waitcnt lgkmcnt(0)
	v_mov_b32_e32 v9, v10
	v_cmp_lt_i64_e32 vcc, v[6:7], v[2:3]
	v_cmp_lt_i64_e64 s[0:1], v[4:5], v[8:9]
	s_or_b64 vcc, vcc, s[0:1]
	v_cndmask_b32_e32 v9, v6, v2, vcc
	v_cndmask_b32_e32 v13, v7, v3, vcc
	;; [unrolled: 1-line block ×4, first 2 shown]
	v_cmp_lt_i64_e32 vcc, v[2:3], v[6:7]
	v_cndmask_b32_e32 v5, v5, v10, vcc
	v_cndmask_b32_e32 v4, v4, v8, vcc
	;; [unrolled: 1-line block ×4, first 2 shown]
.LBB414_164:
	s_or_b64 exec, exec, s[2:3]
	v_cmp_gt_u32_e32 vcc, 32, v11
	s_waitcnt lgkmcnt(3)
	v_cndmask_b32_e64 v6, 0, 1, vcc
	v_lshlrev_b32_e32 v6, 5, v6
	v_add_lshl_u32 v9, v6, v1, 2
	ds_bpermute_b32 v6, v9, v2
	s_waitcnt lgkmcnt(3)
	ds_bpermute_b32 v7, v9, v3
	s_waitcnt lgkmcnt(3)
	ds_bpermute_b32 v8, v9, v4
	ds_bpermute_b32 v9, v9, v5
	s_waitcnt lgkmcnt(4)
	v_add_u32_e32 v10, 32, v11
	v_cmp_lt_u32_e32 vcc, v10, v12
	s_and_saveexec_b64 s[2:3], vcc
	s_cbranch_execz .LBB414_166
; %bb.165:
	s_waitcnt lgkmcnt(2)
	v_cmp_lt_i64_e32 vcc, v[6:7], v[2:3]
	s_waitcnt lgkmcnt(0)
	v_cmp_lt_i64_e64 s[0:1], v[4:5], v[8:9]
	s_or_b64 vcc, vcc, s[0:1]
	v_cndmask_b32_e32 v10, v6, v2, vcc
	v_cndmask_b32_e32 v11, v7, v3, vcc
	;; [unrolled: 1-line block ×4, first 2 shown]
	v_cmp_lt_i64_e32 vcc, v[2:3], v[6:7]
	v_cndmask_b32_e32 v5, v5, v9, vcc
	v_cndmask_b32_e32 v4, v4, v8, vcc
	;; [unrolled: 1-line block ×4, first 2 shown]
.LBB414_166:
	s_or_b64 exec, exec, s[2:3]
	v_cmp_eq_u32_e32 vcc, 0, v1
	s_and_saveexec_b64 s[0:1], vcc
	s_cbranch_execz .LBB414_168
; %bb.167:
	s_waitcnt lgkmcnt(3)
	v_lshrrev_b32_e32 v6, 2, v0
	v_and_b32_e32 v6, 48, v6
	ds_write2_b64 v6, v[2:3], v[4:5] offset0:32 offset1:33
.LBB414_168:
	s_or_b64 exec, exec, s[0:1]
	v_cmp_gt_u32_e32 vcc, 4, v0
	s_waitcnt lgkmcnt(0)
	s_barrier
	s_and_saveexec_b64 s[2:3], vcc
	s_cbranch_execz .LBB414_174
; %bb.169:
	v_lshlrev_b32_e32 v2, 4, v1
	ds_read2_b64 v[2:5], v2 offset0:32 offset1:33
	v_and_b32_e32 v11, 3, v1
	v_cmp_ne_u32_e32 vcc, 3, v11
	v_addc_co_u32_e32 v6, vcc, 0, v1, vcc
	v_lshlrev_b32_e32 v9, 2, v6
	s_waitcnt lgkmcnt(0)
	ds_bpermute_b32 v6, v9, v2
	ds_bpermute_b32 v7, v9, v3
	;; [unrolled: 1-line block ×4, first 2 shown]
	s_add_i32 s8, s8, 63
	s_lshr_b32 s10, s8, 6
	v_add_u32_e32 v9, 1, v11
	v_cmp_gt_u32_e32 vcc, s10, v9
	s_and_saveexec_b64 s[8:9], vcc
	s_cbranch_execz .LBB414_171
; %bb.170:
	s_waitcnt lgkmcnt(0)
	v_mov_b32_e32 v9, v10
	v_cmp_lt_i64_e32 vcc, v[6:7], v[2:3]
	v_cmp_lt_i64_e64 s[0:1], v[4:5], v[8:9]
	s_or_b64 vcc, vcc, s[0:1]
	v_cndmask_b32_e32 v9, v6, v2, vcc
	v_cndmask_b32_e32 v12, v7, v3, vcc
	;; [unrolled: 1-line block ×4, first 2 shown]
	v_cmp_lt_i64_e32 vcc, v[2:3], v[6:7]
	v_cndmask_b32_e32 v5, v5, v10, vcc
	v_cndmask_b32_e32 v4, v4, v8, vcc
	;; [unrolled: 1-line block ×4, first 2 shown]
.LBB414_171:
	s_or_b64 exec, exec, s[8:9]
	v_cmp_gt_u32_e32 vcc, 2, v11
	s_waitcnt lgkmcnt(3)
	v_cndmask_b32_e64 v6, 0, 1, vcc
	v_lshlrev_b32_e32 v6, 1, v6
	v_add_lshl_u32 v1, v6, v1, 2
	ds_bpermute_b32 v6, v1, v2
	s_waitcnt lgkmcnt(3)
	ds_bpermute_b32 v7, v1, v3
	s_waitcnt lgkmcnt(3)
	ds_bpermute_b32 v8, v1, v4
	ds_bpermute_b32 v9, v1, v5
	v_add_u32_e32 v1, 2, v11
	v_cmp_gt_u32_e32 vcc, s10, v1
	s_and_saveexec_b64 s[8:9], vcc
	s_cbranch_execz .LBB414_173
; %bb.172:
	s_waitcnt lgkmcnt(2)
	v_cmp_lt_i64_e32 vcc, v[6:7], v[2:3]
	s_waitcnt lgkmcnt(0)
	v_cmp_lt_i64_e64 s[0:1], v[4:5], v[8:9]
	s_or_b64 vcc, vcc, s[0:1]
	v_cndmask_b32_e32 v1, v6, v2, vcc
	v_cndmask_b32_e32 v10, v7, v3, vcc
	;; [unrolled: 1-line block ×4, first 2 shown]
	v_cmp_lt_i64_e32 vcc, v[2:3], v[6:7]
	v_cndmask_b32_e32 v5, v5, v9, vcc
	v_cndmask_b32_e32 v4, v4, v8, vcc
	;; [unrolled: 1-line block ×4, first 2 shown]
.LBB414_173:
	s_or_b64 exec, exec, s[8:9]
.LBB414_174:
	s_or_b64 exec, exec, s[2:3]
.LBB414_175:
	v_cmp_eq_u32_e64 s[0:1], 0, v0
	s_branch .LBB414_197
.LBB414_176:
	s_cmp_eq_u32 s30, 1
	s_cbranch_scc0 .LBB414_196
; %bb.177:
	s_mov_b32 s3, 0
	s_lshl_b32 s2, s6, 8
	s_mov_b32 s7, s3
	s_lshr_b64 s[0:1], s[22:23], 8
	s_cmp_lg_u64 s[0:1], s[6:7]
	s_cbranch_scc0 .LBB414_200
; %bb.178:
	s_lshl_b64 s[0:1], s[2:3], 4
	s_add_u32 s0, s20, s0
	s_addc_u32 s1, s21, s1
	v_lshlrev_b32_e32 v1, 4, v0
	global_load_dwordx4 v[2:5], v1, s[0:1]
	s_waitcnt vmcnt(0) lgkmcnt(3)
	s_nop 0
	v_mov_b32_dpp v6, v2 quad_perm:[1,0,3,2] row_mask:0xf bank_mask:0xf bound_ctrl:1
	s_waitcnt lgkmcnt(2)
	v_mov_b32_dpp v7, v3 quad_perm:[1,0,3,2] row_mask:0xf bank_mask:0xf bound_ctrl:1
	s_waitcnt lgkmcnt(1)
	v_mov_b32_dpp v8, v4 quad_perm:[1,0,3,2] row_mask:0xf bank_mask:0xf bound_ctrl:1
	v_mov_b32_dpp v10, v5 quad_perm:[1,0,3,2] row_mask:0xf bank_mask:0xf bound_ctrl:1
	v_cmp_ge_i64_e32 vcc, v[6:7], v[2:3]
	s_and_saveexec_b64 s[8:9], vcc
	s_cbranch_execz .LBB414_180
; %bb.179:
	s_waitcnt lgkmcnt(0)
	v_mov_b32_e32 v9, v10
	v_cmp_gt_i64_e32 vcc, v[6:7], v[2:3]
	v_cmp_lt_i64_e64 s[0:1], v[8:9], v[4:5]
	s_or_b64 vcc, vcc, s[0:1]
	v_cndmask_b32_e32 v5, v5, v10, vcc
	v_cndmask_b32_e32 v4, v4, v8, vcc
	;; [unrolled: 1-line block ×4, first 2 shown]
.LBB414_180:
	s_or_b64 exec, exec, s[8:9]
	s_nop 0
	v_mov_b32_dpp v6, v2 quad_perm:[2,3,0,1] row_mask:0xf bank_mask:0xf bound_ctrl:1
	v_mov_b32_dpp v7, v3 quad_perm:[2,3,0,1] row_mask:0xf bank_mask:0xf bound_ctrl:1
	;; [unrolled: 1-line block ×4, first 2 shown]
	v_cmp_ge_i64_e32 vcc, v[6:7], v[2:3]
	s_and_saveexec_b64 s[8:9], vcc
	s_cbranch_execz .LBB414_182
; %bb.181:
	s_waitcnt lgkmcnt(0)
	v_mov_b32_e32 v9, v10
	v_cmp_lt_i64_e32 vcc, v[2:3], v[6:7]
	v_cmp_lt_i64_e64 s[0:1], v[8:9], v[4:5]
	s_or_b64 vcc, vcc, s[0:1]
	v_cndmask_b32_e32 v5, v5, v10, vcc
	v_cndmask_b32_e32 v4, v4, v8, vcc
	;; [unrolled: 1-line block ×4, first 2 shown]
.LBB414_182:
	s_or_b64 exec, exec, s[8:9]
	s_nop 0
	v_mov_b32_dpp v6, v2 row_ror:4 row_mask:0xf bank_mask:0xf bound_ctrl:1
	v_mov_b32_dpp v7, v3 row_ror:4 row_mask:0xf bank_mask:0xf bound_ctrl:1
	;; [unrolled: 1-line block ×4, first 2 shown]
	v_cmp_ge_i64_e32 vcc, v[6:7], v[2:3]
	s_and_saveexec_b64 s[8:9], vcc
	s_cbranch_execz .LBB414_184
; %bb.183:
	s_waitcnt lgkmcnt(0)
	v_mov_b32_e32 v9, v10
	v_cmp_lt_i64_e32 vcc, v[2:3], v[6:7]
	v_cmp_lt_i64_e64 s[0:1], v[8:9], v[4:5]
	s_or_b64 vcc, vcc, s[0:1]
	v_cndmask_b32_e32 v5, v5, v10, vcc
	v_cndmask_b32_e32 v4, v4, v8, vcc
	;; [unrolled: 1-line block ×4, first 2 shown]
.LBB414_184:
	s_or_b64 exec, exec, s[8:9]
	s_nop 0
	v_mov_b32_dpp v6, v2 row_ror:8 row_mask:0xf bank_mask:0xf bound_ctrl:1
	v_mov_b32_dpp v7, v3 row_ror:8 row_mask:0xf bank_mask:0xf bound_ctrl:1
	;; [unrolled: 1-line block ×4, first 2 shown]
	v_cmp_ge_i64_e32 vcc, v[6:7], v[2:3]
	s_and_saveexec_b64 s[8:9], vcc
	s_cbranch_execz .LBB414_186
; %bb.185:
	s_waitcnt lgkmcnt(0)
	v_mov_b32_e32 v9, v10
	v_cmp_lt_i64_e32 vcc, v[2:3], v[6:7]
	v_cmp_lt_i64_e64 s[0:1], v[8:9], v[4:5]
	s_or_b64 vcc, vcc, s[0:1]
	v_cndmask_b32_e32 v5, v5, v10, vcc
	v_cndmask_b32_e32 v4, v4, v8, vcc
	;; [unrolled: 1-line block ×4, first 2 shown]
.LBB414_186:
	s_or_b64 exec, exec, s[8:9]
	s_nop 0
	v_mov_b32_dpp v6, v2 row_bcast:15 row_mask:0xf bank_mask:0xf bound_ctrl:1
	v_mov_b32_dpp v7, v3 row_bcast:15 row_mask:0xf bank_mask:0xf bound_ctrl:1
	;; [unrolled: 1-line block ×4, first 2 shown]
	v_cmp_ge_i64_e32 vcc, v[6:7], v[2:3]
	s_and_saveexec_b64 s[8:9], vcc
	s_cbranch_execz .LBB414_188
; %bb.187:
	s_waitcnt lgkmcnt(0)
	v_mov_b32_e32 v9, v10
	v_cmp_lt_i64_e32 vcc, v[2:3], v[6:7]
	v_cmp_lt_i64_e64 s[0:1], v[8:9], v[4:5]
	s_or_b64 vcc, vcc, s[0:1]
	v_cndmask_b32_e32 v5, v5, v10, vcc
	v_cndmask_b32_e32 v4, v4, v8, vcc
	;; [unrolled: 1-line block ×4, first 2 shown]
.LBB414_188:
	s_or_b64 exec, exec, s[8:9]
	s_nop 0
	v_mov_b32_dpp v6, v2 row_bcast:31 row_mask:0xf bank_mask:0xf bound_ctrl:1
	v_mov_b32_dpp v7, v3 row_bcast:31 row_mask:0xf bank_mask:0xf bound_ctrl:1
	v_mov_b32_dpp v8, v4 row_bcast:31 row_mask:0xf bank_mask:0xf bound_ctrl:1
	v_mov_b32_dpp v10, v5 row_bcast:31 row_mask:0xf bank_mask:0xf bound_ctrl:1
	v_cmp_ge_i64_e32 vcc, v[6:7], v[2:3]
	s_and_saveexec_b64 s[8:9], vcc
	s_cbranch_execz .LBB414_190
; %bb.189:
	s_waitcnt lgkmcnt(0)
	v_mov_b32_e32 v9, v10
	v_cmp_lt_i64_e32 vcc, v[2:3], v[6:7]
	v_cmp_lt_i64_e64 s[0:1], v[8:9], v[4:5]
	s_or_b64 vcc, vcc, s[0:1]
	v_cndmask_b32_e32 v5, v5, v10, vcc
	v_cndmask_b32_e32 v4, v4, v8, vcc
	;; [unrolled: 1-line block ×4, first 2 shown]
.LBB414_190:
	s_or_b64 exec, exec, s[8:9]
	v_mbcnt_lo_u32_b32 v1, -1, 0
	v_mbcnt_hi_u32_b32 v1, -1, v1
	v_bfrev_b32_e32 v6, 0.5
	v_lshl_or_b32 v6, v1, 2, v6
	ds_bpermute_b32 v2, v6, v2
	ds_bpermute_b32 v3, v6, v3
	;; [unrolled: 1-line block ×4, first 2 shown]
	v_cmp_eq_u32_e32 vcc, 0, v1
	s_and_saveexec_b64 s[0:1], vcc
	s_cbranch_execz .LBB414_192
; %bb.191:
	v_lshrrev_b32_e32 v6, 2, v0
	v_and_b32_e32 v6, 48, v6
	s_waitcnt lgkmcnt(0)
	ds_write2_b64 v6, v[2:3], v[4:5] offset1:1
.LBB414_192:
	s_or_b64 exec, exec, s[0:1]
	v_cmp_gt_u32_e32 vcc, 64, v0
	s_waitcnt lgkmcnt(0)
	s_barrier
	s_and_saveexec_b64 s[8:9], vcc
	s_cbranch_execz .LBB414_194
; %bb.193:
	v_and_b32_e32 v9, 3, v1
	v_lshlrev_b32_e32 v2, 4, v9
	ds_read2_b64 v[2:5], v2 offset1:1
	v_cmp_ne_u32_e32 vcc, 3, v9
	v_addc_co_u32_e32 v6, vcc, 0, v1, vcc
	v_lshlrev_b32_e32 v10, 2, v6
	s_waitcnt lgkmcnt(0)
	ds_bpermute_b32 v8, v10, v5
	ds_bpermute_b32 v6, v10, v2
	;; [unrolled: 1-line block ×4, first 2 shown]
	s_waitcnt lgkmcnt(3)
	v_mov_b32_e32 v11, v8
	s_waitcnt lgkmcnt(1)
	v_cmp_lt_i64_e32 vcc, v[6:7], v[2:3]
	s_waitcnt lgkmcnt(0)
	v_cmp_gt_i64_e64 s[0:1], v[10:11], v[4:5]
	s_or_b64 vcc, vcc, s[0:1]
	v_cndmask_b32_e32 v11, v6, v2, vcc
	v_cndmask_b32_e32 v12, v7, v3, vcc
	v_cndmask_b32_e32 v4, v10, v4, vcc
	v_cndmask_b32_e32 v5, v8, v5, vcc
	v_cmp_gt_i64_e32 vcc, v[6:7], v[2:3]
	v_cndmask_b32_e32 v3, v5, v8, vcc
	v_cndmask_b32_e32 v2, v4, v10, vcc
	;; [unrolled: 1-line block ×4, first 2 shown]
	v_cmp_gt_u32_e32 vcc, 2, v9
	v_cndmask_b32_e64 v6, 0, 1, vcc
	v_lshlrev_b32_e32 v6, 1, v6
	v_add_lshl_u32 v1, v6, v1, 2
	ds_bpermute_b32 v8, v1, v3
	ds_bpermute_b32 v6, v1, v4
	;; [unrolled: 1-line block ×4, first 2 shown]
	s_waitcnt lgkmcnt(3)
	v_mov_b32_e32 v11, v8
	s_waitcnt lgkmcnt(1)
	v_cmp_lt_i64_e32 vcc, v[6:7], v[4:5]
	s_waitcnt lgkmcnt(0)
	v_cmp_lt_i64_e64 s[0:1], v[2:3], v[10:11]
	s_or_b64 vcc, vcc, s[0:1]
	v_cndmask_b32_e32 v1, v6, v4, vcc
	v_cndmask_b32_e32 v9, v7, v5, vcc
	;; [unrolled: 1-line block ×4, first 2 shown]
	v_cmp_lt_i64_e32 vcc, v[4:5], v[6:7]
	v_cndmask_b32_e32 v5, v3, v8, vcc
	v_cndmask_b32_e32 v4, v2, v10, vcc
	;; [unrolled: 1-line block ×4, first 2 shown]
.LBB414_194:
	s_or_b64 exec, exec, s[8:9]
.LBB414_195:
	v_cmp_eq_u32_e64 s[0:1], 0, v0
	s_and_saveexec_b64 s[2:3], s[0:1]
	s_cbranch_execnz .LBB414_198
	s_branch .LBB414_199
.LBB414_196:
                                        ; implicit-def: $vgpr4_vgpr5
                                        ; implicit-def: $sgpr6_sgpr7
.LBB414_197:
	s_and_saveexec_b64 s[2:3], s[0:1]
	s_cbranch_execz .LBB414_199
.LBB414_198:
	s_lshl_b64 s[2:3], s[6:7], 4
	s_load_dwordx2 s[0:1], s[4:5], 0x28
	s_add_u32 s2, s24, s2
	s_addc_u32 s3, s25, s3
	s_cmp_eq_u64 s[22:23], 0
	v_mov_b32_e32 v0, s27
	s_cselect_b64 vcc, -1, 0
	v_cndmask_b32_e32 v1, v3, v0, vcc
	v_mov_b32_e32 v0, s26
	v_cndmask_b32_e32 v0, v2, v0, vcc
	s_waitcnt lgkmcnt(0)
	v_mov_b32_e32 v2, s1
	v_cndmask_b32_e32 v3, v5, v2, vcc
	v_mov_b32_e32 v2, s0
	v_mov_b32_e32 v6, 0
	v_cndmask_b32_e32 v2, v4, v2, vcc
	global_store_dwordx4 v6, v[0:3], s[2:3]
.LBB414_199:
	s_endpgm
.LBB414_200:
                                        ; implicit-def: $vgpr4_vgpr5
	s_cbranch_execz .LBB414_195
; %bb.201:
	s_sub_i32 s8, s22, s2
	v_pk_mov_b32 v[4:5], 0, 0
	v_cmp_gt_u32_e32 vcc, s8, v0
	v_pk_mov_b32 v[2:3], v[4:5], v[4:5] op_sel:[0,1]
	s_and_saveexec_b64 s[0:1], vcc
	s_cbranch_execz .LBB414_203
; %bb.202:
	s_lshl_b64 s[2:3], s[2:3], 4
	s_add_u32 s2, s20, s2
	s_addc_u32 s3, s21, s3
	v_lshlrev_b32_e32 v1, 4, v0
	global_load_dwordx4 v[2:5], v1, s[2:3]
.LBB414_203:
	s_or_b64 exec, exec, s[0:1]
	v_mbcnt_lo_u32_b32 v1, -1, 0
	v_mbcnt_hi_u32_b32 v1, -1, v1
	v_and_b32_e32 v11, 63, v1
	v_cmp_ne_u32_e32 vcc, 63, v11
	s_waitcnt lgkmcnt(3)
	v_addc_co_u32_e32 v6, vcc, 0, v1, vcc
	s_waitcnt lgkmcnt(0)
	v_lshlrev_b32_e32 v9, 2, v6
	s_waitcnt vmcnt(0)
	ds_bpermute_b32 v6, v9, v2
	ds_bpermute_b32 v7, v9, v3
	;; [unrolled: 1-line block ×4, first 2 shown]
	s_min_u32 s8, s8, 0x100
	v_and_b32_e32 v9, 0xc0, v0
	v_sub_u32_e64 v12, s8, v9 clamp
	v_add_u32_e32 v9, 1, v11
	v_cmp_lt_u32_e32 vcc, v9, v12
	s_and_saveexec_b64 s[2:3], vcc
	s_cbranch_execz .LBB414_205
; %bb.204:
	s_waitcnt lgkmcnt(0)
	v_mov_b32_e32 v9, v10
	v_cmp_lt_i64_e32 vcc, v[6:7], v[2:3]
	v_cmp_lt_i64_e64 s[0:1], v[4:5], v[8:9]
	s_or_b64 vcc, vcc, s[0:1]
	v_cndmask_b32_e32 v9, v6, v2, vcc
	v_cndmask_b32_e32 v13, v7, v3, vcc
	v_cndmask_b32_e32 v4, v8, v4, vcc
	v_cndmask_b32_e32 v5, v10, v5, vcc
	v_cmp_lt_i64_e32 vcc, v[2:3], v[6:7]
	v_cndmask_b32_e32 v5, v5, v10, vcc
	v_cndmask_b32_e32 v4, v4, v8, vcc
	v_cndmask_b32_e32 v3, v13, v7, vcc
	v_cndmask_b32_e32 v2, v9, v6, vcc
.LBB414_205:
	s_or_b64 exec, exec, s[2:3]
	v_cmp_gt_u32_e32 vcc, 62, v11
	s_waitcnt lgkmcnt(3)
	v_cndmask_b32_e64 v6, 0, 1, vcc
	v_lshlrev_b32_e32 v6, 1, v6
	v_add_lshl_u32 v9, v6, v1, 2
	ds_bpermute_b32 v6, v9, v2
	s_waitcnt lgkmcnt(3)
	ds_bpermute_b32 v7, v9, v3
	s_waitcnt lgkmcnt(3)
	ds_bpermute_b32 v8, v9, v4
	s_waitcnt lgkmcnt(3)
	ds_bpermute_b32 v10, v9, v5
	v_add_u32_e32 v9, 2, v11
	v_cmp_lt_u32_e32 vcc, v9, v12
	s_and_saveexec_b64 s[2:3], vcc
	s_cbranch_execz .LBB414_207
; %bb.206:
	s_waitcnt lgkmcnt(0)
	v_mov_b32_e32 v9, v10
	v_cmp_lt_i64_e32 vcc, v[6:7], v[2:3]
	v_cmp_lt_i64_e64 s[0:1], v[4:5], v[8:9]
	s_or_b64 vcc, vcc, s[0:1]
	v_cndmask_b32_e32 v9, v6, v2, vcc
	v_cndmask_b32_e32 v13, v7, v3, vcc
	v_cndmask_b32_e32 v4, v8, v4, vcc
	v_cndmask_b32_e32 v5, v10, v5, vcc
	v_cmp_lt_i64_e32 vcc, v[2:3], v[6:7]
	v_cndmask_b32_e32 v5, v5, v10, vcc
	v_cndmask_b32_e32 v4, v4, v8, vcc
	v_cndmask_b32_e32 v3, v13, v7, vcc
	v_cndmask_b32_e32 v2, v9, v6, vcc
.LBB414_207:
	s_or_b64 exec, exec, s[2:3]
	v_cmp_gt_u32_e32 vcc, 60, v11
	s_waitcnt lgkmcnt(3)
	v_cndmask_b32_e64 v6, 0, 1, vcc
	v_lshlrev_b32_e32 v6, 2, v6
	v_add_lshl_u32 v9, v6, v1, 2
	ds_bpermute_b32 v6, v9, v2
	s_waitcnt lgkmcnt(3)
	ds_bpermute_b32 v7, v9, v3
	s_waitcnt lgkmcnt(3)
	ds_bpermute_b32 v8, v9, v4
	s_waitcnt lgkmcnt(3)
	ds_bpermute_b32 v10, v9, v5
	;; [unrolled: 33-line block ×4, first 2 shown]
	v_add_u32_e32 v9, 16, v11
	v_cmp_lt_u32_e32 vcc, v9, v12
	s_and_saveexec_b64 s[2:3], vcc
	s_cbranch_execz .LBB414_213
; %bb.212:
	s_waitcnt lgkmcnt(0)
	v_mov_b32_e32 v9, v10
	v_cmp_lt_i64_e32 vcc, v[6:7], v[2:3]
	v_cmp_lt_i64_e64 s[0:1], v[4:5], v[8:9]
	s_or_b64 vcc, vcc, s[0:1]
	v_cndmask_b32_e32 v9, v6, v2, vcc
	v_cndmask_b32_e32 v13, v7, v3, vcc
	;; [unrolled: 1-line block ×4, first 2 shown]
	v_cmp_lt_i64_e32 vcc, v[2:3], v[6:7]
	v_cndmask_b32_e32 v5, v5, v10, vcc
	v_cndmask_b32_e32 v4, v4, v8, vcc
	;; [unrolled: 1-line block ×4, first 2 shown]
.LBB414_213:
	s_or_b64 exec, exec, s[2:3]
	v_cmp_gt_u32_e32 vcc, 32, v11
	s_waitcnt lgkmcnt(3)
	v_cndmask_b32_e64 v6, 0, 1, vcc
	v_lshlrev_b32_e32 v6, 5, v6
	v_add_lshl_u32 v9, v6, v1, 2
	ds_bpermute_b32 v6, v9, v2
	s_waitcnt lgkmcnt(3)
	ds_bpermute_b32 v7, v9, v3
	s_waitcnt lgkmcnt(3)
	ds_bpermute_b32 v8, v9, v4
	ds_bpermute_b32 v9, v9, v5
	s_waitcnt lgkmcnt(4)
	v_add_u32_e32 v10, 32, v11
	v_cmp_lt_u32_e32 vcc, v10, v12
	s_and_saveexec_b64 s[2:3], vcc
	s_cbranch_execz .LBB414_215
; %bb.214:
	s_waitcnt lgkmcnt(2)
	v_cmp_lt_i64_e32 vcc, v[6:7], v[2:3]
	s_waitcnt lgkmcnt(0)
	v_cmp_lt_i64_e64 s[0:1], v[4:5], v[8:9]
	s_or_b64 vcc, vcc, s[0:1]
	v_cndmask_b32_e32 v10, v6, v2, vcc
	v_cndmask_b32_e32 v11, v7, v3, vcc
	;; [unrolled: 1-line block ×4, first 2 shown]
	v_cmp_lt_i64_e32 vcc, v[2:3], v[6:7]
	v_cndmask_b32_e32 v5, v5, v9, vcc
	v_cndmask_b32_e32 v4, v4, v8, vcc
	;; [unrolled: 1-line block ×4, first 2 shown]
.LBB414_215:
	s_or_b64 exec, exec, s[2:3]
	v_cmp_eq_u32_e32 vcc, 0, v1
	s_and_saveexec_b64 s[0:1], vcc
	s_cbranch_execz .LBB414_217
; %bb.216:
	s_waitcnt lgkmcnt(3)
	v_lshrrev_b32_e32 v6, 2, v0
	v_and_b32_e32 v6, 48, v6
	ds_write2_b64 v6, v[2:3], v[4:5] offset0:32 offset1:33
.LBB414_217:
	s_or_b64 exec, exec, s[0:1]
	v_cmp_gt_u32_e32 vcc, 4, v0
	s_waitcnt lgkmcnt(0)
	s_barrier
	s_and_saveexec_b64 s[2:3], vcc
	s_cbranch_execz .LBB414_223
; %bb.218:
	v_lshlrev_b32_e32 v2, 4, v1
	ds_read2_b64 v[2:5], v2 offset0:32 offset1:33
	v_and_b32_e32 v11, 3, v1
	v_cmp_ne_u32_e32 vcc, 3, v11
	v_addc_co_u32_e32 v6, vcc, 0, v1, vcc
	v_lshlrev_b32_e32 v9, 2, v6
	s_waitcnt lgkmcnt(0)
	ds_bpermute_b32 v6, v9, v2
	ds_bpermute_b32 v7, v9, v3
	;; [unrolled: 1-line block ×4, first 2 shown]
	s_add_i32 s8, s8, 63
	s_lshr_b32 s10, s8, 6
	v_add_u32_e32 v9, 1, v11
	v_cmp_gt_u32_e32 vcc, s10, v9
	s_and_saveexec_b64 s[8:9], vcc
	s_cbranch_execz .LBB414_220
; %bb.219:
	s_waitcnt lgkmcnt(0)
	v_mov_b32_e32 v9, v10
	v_cmp_lt_i64_e32 vcc, v[6:7], v[2:3]
	v_cmp_lt_i64_e64 s[0:1], v[4:5], v[8:9]
	s_or_b64 vcc, vcc, s[0:1]
	v_cndmask_b32_e32 v9, v6, v2, vcc
	v_cndmask_b32_e32 v12, v7, v3, vcc
	;; [unrolled: 1-line block ×4, first 2 shown]
	v_cmp_lt_i64_e32 vcc, v[2:3], v[6:7]
	v_cndmask_b32_e32 v5, v5, v10, vcc
	v_cndmask_b32_e32 v4, v4, v8, vcc
	;; [unrolled: 1-line block ×4, first 2 shown]
.LBB414_220:
	s_or_b64 exec, exec, s[8:9]
	v_cmp_gt_u32_e32 vcc, 2, v11
	s_waitcnt lgkmcnt(3)
	v_cndmask_b32_e64 v6, 0, 1, vcc
	v_lshlrev_b32_e32 v6, 1, v6
	v_add_lshl_u32 v1, v6, v1, 2
	ds_bpermute_b32 v6, v1, v2
	s_waitcnt lgkmcnt(3)
	ds_bpermute_b32 v7, v1, v3
	s_waitcnt lgkmcnt(3)
	ds_bpermute_b32 v8, v1, v4
	ds_bpermute_b32 v9, v1, v5
	v_add_u32_e32 v1, 2, v11
	v_cmp_gt_u32_e32 vcc, s10, v1
	s_and_saveexec_b64 s[8:9], vcc
	s_cbranch_execz .LBB414_222
; %bb.221:
	s_waitcnt lgkmcnt(2)
	v_cmp_lt_i64_e32 vcc, v[6:7], v[2:3]
	s_waitcnt lgkmcnt(0)
	v_cmp_lt_i64_e64 s[0:1], v[4:5], v[8:9]
	s_or_b64 vcc, vcc, s[0:1]
	v_cndmask_b32_e32 v1, v6, v2, vcc
	v_cndmask_b32_e32 v10, v7, v3, vcc
	;; [unrolled: 1-line block ×4, first 2 shown]
	v_cmp_lt_i64_e32 vcc, v[2:3], v[6:7]
	v_cndmask_b32_e32 v5, v5, v9, vcc
	v_cndmask_b32_e32 v4, v4, v8, vcc
	;; [unrolled: 1-line block ×4, first 2 shown]
.LBB414_222:
	s_or_b64 exec, exec, s[8:9]
.LBB414_223:
	s_or_b64 exec, exec, s[2:3]
	v_cmp_eq_u32_e64 s[0:1], 0, v0
	s_and_saveexec_b64 s[2:3], s[0:1]
	s_cbranch_execnz .LBB414_198
	s_branch .LBB414_199
.LBB414_224:
	v_lshlrev_b32_e32 v1, 4, v1
	global_load_dwordx4 v[6:9], v1, s[16:17]
	s_or_b64 exec, exec, s[28:29]
	s_and_saveexec_b64 s[28:29], s[14:15]
	s_cbranch_execz .LBB414_62
.LBB414_225:
	s_waitcnt vmcnt(0)
	v_cmp_lt_i64_e64 s[14:15], v[18:19], v[2:3]
	v_cmp_lt_i64_e64 s[16:17], v[4:5], v[20:21]
	s_or_b64 s[14:15], s[14:15], s[16:17]
	v_cndmask_b32_e64 v1, v18, v2, s[14:15]
	v_cndmask_b32_e64 v34, v19, v3, s[14:15]
	;; [unrolled: 1-line block ×4, first 2 shown]
	v_cmp_lt_i64_e64 s[14:15], v[2:3], v[18:19]
	v_cndmask_b32_e64 v5, v5, v21, s[14:15]
	v_cndmask_b32_e64 v4, v4, v20, s[14:15]
	;; [unrolled: 1-line block ×4, first 2 shown]
	s_or_b64 exec, exec, s[28:29]
	s_and_saveexec_b64 s[16:17], s[12:13]
	s_cbranch_execz .LBB414_63
.LBB414_226:
	s_waitcnt vmcnt(0)
	v_cmp_lt_i64_e64 s[12:13], v[30:31], v[2:3]
	v_cmp_lt_i64_e64 s[14:15], v[4:5], v[32:33]
	s_or_b64 s[12:13], s[12:13], s[14:15]
	v_cndmask_b32_e64 v1, v30, v2, s[12:13]
	v_cndmask_b32_e64 v18, v31, v3, s[12:13]
	;; [unrolled: 1-line block ×4, first 2 shown]
	v_cmp_lt_i64_e64 s[12:13], v[2:3], v[30:31]
	v_cndmask_b32_e64 v5, v5, v33, s[12:13]
	v_cndmask_b32_e64 v4, v4, v32, s[12:13]
	;; [unrolled: 1-line block ×4, first 2 shown]
	s_or_b64 exec, exec, s[16:17]
	s_and_saveexec_b64 s[14:15], s[10:11]
	s_cbranch_execz .LBB414_64
.LBB414_227:
	s_waitcnt vmcnt(0)
	v_cmp_lt_i64_e64 s[10:11], v[14:15], v[2:3]
	v_cmp_lt_i64_e64 s[12:13], v[4:5], v[16:17]
	s_or_b64 s[10:11], s[10:11], s[12:13]
	v_cndmask_b32_e64 v1, v14, v2, s[10:11]
	v_cndmask_b32_e64 v18, v15, v3, s[10:11]
	;; [unrolled: 1-line block ×4, first 2 shown]
	v_cmp_lt_i64_e64 s[10:11], v[2:3], v[14:15]
	v_cndmask_b32_e64 v5, v5, v17, s[10:11]
	v_cndmask_b32_e64 v4, v4, v16, s[10:11]
	;; [unrolled: 1-line block ×4, first 2 shown]
	s_or_b64 exec, exec, s[14:15]
	s_and_saveexec_b64 s[12:13], s[8:9]
	s_cbranch_execz .LBB414_65
.LBB414_228:
	s_waitcnt vmcnt(0)
	v_cmp_lt_i64_e64 s[8:9], v[26:27], v[2:3]
	v_cmp_lt_i64_e64 s[10:11], v[4:5], v[28:29]
	s_or_b64 s[8:9], s[8:9], s[10:11]
	v_cndmask_b32_e64 v1, v26, v2, s[8:9]
	v_cndmask_b32_e64 v14, v27, v3, s[8:9]
	;; [unrolled: 1-line block ×4, first 2 shown]
	v_cmp_lt_i64_e64 s[8:9], v[2:3], v[26:27]
	v_cndmask_b32_e64 v5, v5, v29, s[8:9]
	v_cndmask_b32_e64 v4, v4, v28, s[8:9]
	;; [unrolled: 1-line block ×4, first 2 shown]
	s_or_b64 exec, exec, s[12:13]
	s_and_saveexec_b64 s[10:11], s[2:3]
	s_cbranch_execz .LBB414_66
.LBB414_229:
	s_waitcnt vmcnt(0)
	v_cmp_lt_i64_e64 s[2:3], v[10:11], v[2:3]
	v_cmp_lt_i64_e64 s[8:9], v[4:5], v[12:13]
	s_or_b64 s[2:3], s[2:3], s[8:9]
	v_cndmask_b32_e64 v1, v10, v2, s[2:3]
	v_cndmask_b32_e64 v14, v11, v3, s[2:3]
	;; [unrolled: 1-line block ×4, first 2 shown]
	v_cmp_lt_i64_e64 s[2:3], v[2:3], v[10:11]
	v_cndmask_b32_e64 v5, v5, v13, s[2:3]
	v_cndmask_b32_e64 v4, v4, v12, s[2:3]
	;; [unrolled: 1-line block ×4, first 2 shown]
	s_or_b64 exec, exec, s[10:11]
	s_and_saveexec_b64 s[8:9], s[0:1]
	s_cbranch_execz .LBB414_67
.LBB414_230:
	s_waitcnt vmcnt(0)
	v_cmp_lt_i64_e64 s[0:1], v[22:23], v[2:3]
	v_cmp_lt_i64_e64 s[2:3], v[4:5], v[24:25]
	s_or_b64 s[0:1], s[0:1], s[2:3]
	v_cndmask_b32_e64 v1, v22, v2, s[0:1]
	v_cndmask_b32_e64 v10, v23, v3, s[0:1]
	;; [unrolled: 1-line block ×4, first 2 shown]
	v_cmp_lt_i64_e64 s[0:1], v[2:3], v[22:23]
	v_cndmask_b32_e64 v5, v5, v25, s[0:1]
	v_cndmask_b32_e64 v4, v4, v24, s[0:1]
	;; [unrolled: 1-line block ×4, first 2 shown]
	s_or_b64 exec, exec, s[8:9]
	s_and_saveexec_b64 s[2:3], vcc
	s_cbranch_execnz .LBB414_68
	s_branch .LBB414_69
.LBB414_231:
	v_lshlrev_b32_e32 v1, 4, v1
	global_load_dwordx4 v[6:9], v1, s[8:9]
	s_or_b64 exec, exec, s[10:11]
	s_and_saveexec_b64 s[10:11], s[2:3]
	s_cbranch_execz .LBB414_100
.LBB414_232:
	s_waitcnt vmcnt(0)
	v_cmp_lt_i64_e64 s[2:3], v[10:11], v[2:3]
	v_cmp_lt_i64_e64 s[8:9], v[4:5], v[12:13]
	s_or_b64 s[2:3], s[2:3], s[8:9]
	v_cndmask_b32_e64 v1, v10, v2, s[2:3]
	v_cndmask_b32_e64 v18, v11, v3, s[2:3]
	;; [unrolled: 1-line block ×4, first 2 shown]
	v_cmp_lt_i64_e64 s[2:3], v[2:3], v[10:11]
	v_cndmask_b32_e64 v5, v5, v13, s[2:3]
	v_cndmask_b32_e64 v4, v4, v12, s[2:3]
	;; [unrolled: 1-line block ×4, first 2 shown]
	s_or_b64 exec, exec, s[10:11]
	s_and_saveexec_b64 s[8:9], s[0:1]
	s_cbranch_execz .LBB414_101
.LBB414_233:
	s_waitcnt vmcnt(0)
	v_cmp_lt_i64_e64 s[0:1], v[14:15], v[2:3]
	v_cmp_lt_i64_e64 s[2:3], v[4:5], v[16:17]
	s_or_b64 s[0:1], s[0:1], s[2:3]
	v_cndmask_b32_e64 v1, v14, v2, s[0:1]
	v_cndmask_b32_e64 v10, v15, v3, s[0:1]
	;; [unrolled: 1-line block ×4, first 2 shown]
	v_cmp_lt_i64_e64 s[0:1], v[2:3], v[14:15]
	v_cndmask_b32_e64 v5, v5, v17, s[0:1]
	v_cndmask_b32_e64 v4, v4, v16, s[0:1]
	;; [unrolled: 1-line block ×4, first 2 shown]
	s_or_b64 exec, exec, s[8:9]
	s_and_saveexec_b64 s[2:3], vcc
	s_cbranch_execnz .LBB414_102
	s_branch .LBB414_103
	.section	.rodata,"a",@progbits
	.p2align	6, 0x0
	.amdhsa_kernel _ZN7rocprim17ROCPRIM_400000_NS6detail17trampoline_kernelINS0_14default_configENS1_22reduce_config_selectorIN6thrust23THRUST_200600_302600_NS5tupleIllNS6_9null_typeES8_S8_S8_S8_S8_S8_S8_EEEEZNS1_11reduce_implILb0ES3_PS9_SC_S9_NS6_11hip_rocprim9__extrema9arg_max_fIllNS6_4lessIlEEEEEE10hipError_tPvRmT1_T2_T3_mT4_P12ihipStream_tbEUlT_E1_NS1_11comp_targetILNS1_3genE4ELNS1_11target_archE910ELNS1_3gpuE8ELNS1_3repE0EEENS1_30default_config_static_selectorELNS0_4arch9wavefront6targetE1EEEvSM_
		.amdhsa_group_segment_fixed_size 320
		.amdhsa_private_segment_fixed_size 0
		.amdhsa_kernarg_size 56
		.amdhsa_user_sgpr_count 6
		.amdhsa_user_sgpr_private_segment_buffer 1
		.amdhsa_user_sgpr_dispatch_ptr 0
		.amdhsa_user_sgpr_queue_ptr 0
		.amdhsa_user_sgpr_kernarg_segment_ptr 1
		.amdhsa_user_sgpr_dispatch_id 0
		.amdhsa_user_sgpr_flat_scratch_init 0
		.amdhsa_user_sgpr_kernarg_preload_length 0
		.amdhsa_user_sgpr_kernarg_preload_offset 0
		.amdhsa_user_sgpr_private_segment_size 0
		.amdhsa_uses_dynamic_stack 0
		.amdhsa_system_sgpr_private_segment_wavefront_offset 0
		.amdhsa_system_sgpr_workgroup_id_x 1
		.amdhsa_system_sgpr_workgroup_id_y 0
		.amdhsa_system_sgpr_workgroup_id_z 0
		.amdhsa_system_sgpr_workgroup_info 0
		.amdhsa_system_vgpr_workitem_id 0
		.amdhsa_next_free_vgpr 35
		.amdhsa_next_free_sgpr 32
		.amdhsa_accum_offset 36
		.amdhsa_reserve_vcc 1
		.amdhsa_reserve_flat_scratch 0
		.amdhsa_float_round_mode_32 0
		.amdhsa_float_round_mode_16_64 0
		.amdhsa_float_denorm_mode_32 3
		.amdhsa_float_denorm_mode_16_64 3
		.amdhsa_dx10_clamp 1
		.amdhsa_ieee_mode 1
		.amdhsa_fp16_overflow 0
		.amdhsa_tg_split 0
		.amdhsa_exception_fp_ieee_invalid_op 0
		.amdhsa_exception_fp_denorm_src 0
		.amdhsa_exception_fp_ieee_div_zero 0
		.amdhsa_exception_fp_ieee_overflow 0
		.amdhsa_exception_fp_ieee_underflow 0
		.amdhsa_exception_fp_ieee_inexact 0
		.amdhsa_exception_int_div_zero 0
	.end_amdhsa_kernel
	.section	.text._ZN7rocprim17ROCPRIM_400000_NS6detail17trampoline_kernelINS0_14default_configENS1_22reduce_config_selectorIN6thrust23THRUST_200600_302600_NS5tupleIllNS6_9null_typeES8_S8_S8_S8_S8_S8_S8_EEEEZNS1_11reduce_implILb0ES3_PS9_SC_S9_NS6_11hip_rocprim9__extrema9arg_max_fIllNS6_4lessIlEEEEEE10hipError_tPvRmT1_T2_T3_mT4_P12ihipStream_tbEUlT_E1_NS1_11comp_targetILNS1_3genE4ELNS1_11target_archE910ELNS1_3gpuE8ELNS1_3repE0EEENS1_30default_config_static_selectorELNS0_4arch9wavefront6targetE1EEEvSM_,"axG",@progbits,_ZN7rocprim17ROCPRIM_400000_NS6detail17trampoline_kernelINS0_14default_configENS1_22reduce_config_selectorIN6thrust23THRUST_200600_302600_NS5tupleIllNS6_9null_typeES8_S8_S8_S8_S8_S8_S8_EEEEZNS1_11reduce_implILb0ES3_PS9_SC_S9_NS6_11hip_rocprim9__extrema9arg_max_fIllNS6_4lessIlEEEEEE10hipError_tPvRmT1_T2_T3_mT4_P12ihipStream_tbEUlT_E1_NS1_11comp_targetILNS1_3genE4ELNS1_11target_archE910ELNS1_3gpuE8ELNS1_3repE0EEENS1_30default_config_static_selectorELNS0_4arch9wavefront6targetE1EEEvSM_,comdat
.Lfunc_end414:
	.size	_ZN7rocprim17ROCPRIM_400000_NS6detail17trampoline_kernelINS0_14default_configENS1_22reduce_config_selectorIN6thrust23THRUST_200600_302600_NS5tupleIllNS6_9null_typeES8_S8_S8_S8_S8_S8_S8_EEEEZNS1_11reduce_implILb0ES3_PS9_SC_S9_NS6_11hip_rocprim9__extrema9arg_max_fIllNS6_4lessIlEEEEEE10hipError_tPvRmT1_T2_T3_mT4_P12ihipStream_tbEUlT_E1_NS1_11comp_targetILNS1_3genE4ELNS1_11target_archE910ELNS1_3gpuE8ELNS1_3repE0EEENS1_30default_config_static_selectorELNS0_4arch9wavefront6targetE1EEEvSM_, .Lfunc_end414-_ZN7rocprim17ROCPRIM_400000_NS6detail17trampoline_kernelINS0_14default_configENS1_22reduce_config_selectorIN6thrust23THRUST_200600_302600_NS5tupleIllNS6_9null_typeES8_S8_S8_S8_S8_S8_S8_EEEEZNS1_11reduce_implILb0ES3_PS9_SC_S9_NS6_11hip_rocprim9__extrema9arg_max_fIllNS6_4lessIlEEEEEE10hipError_tPvRmT1_T2_T3_mT4_P12ihipStream_tbEUlT_E1_NS1_11comp_targetILNS1_3genE4ELNS1_11target_archE910ELNS1_3gpuE8ELNS1_3repE0EEENS1_30default_config_static_selectorELNS0_4arch9wavefront6targetE1EEEvSM_
                                        ; -- End function
	.section	.AMDGPU.csdata,"",@progbits
; Kernel info:
; codeLenInByte = 12188
; NumSgprs: 36
; NumVgprs: 35
; NumAgprs: 0
; TotalNumVgprs: 35
; ScratchSize: 0
; MemoryBound: 1
; FloatMode: 240
; IeeeMode: 1
; LDSByteSize: 320 bytes/workgroup (compile time only)
; SGPRBlocks: 4
; VGPRBlocks: 4
; NumSGPRsForWavesPerEU: 36
; NumVGPRsForWavesPerEU: 35
; AccumOffset: 36
; Occupancy: 8
; WaveLimiterHint : 1
; COMPUTE_PGM_RSRC2:SCRATCH_EN: 0
; COMPUTE_PGM_RSRC2:USER_SGPR: 6
; COMPUTE_PGM_RSRC2:TRAP_HANDLER: 0
; COMPUTE_PGM_RSRC2:TGID_X_EN: 1
; COMPUTE_PGM_RSRC2:TGID_Y_EN: 0
; COMPUTE_PGM_RSRC2:TGID_Z_EN: 0
; COMPUTE_PGM_RSRC2:TIDIG_COMP_CNT: 0
; COMPUTE_PGM_RSRC3_GFX90A:ACCUM_OFFSET: 8
; COMPUTE_PGM_RSRC3_GFX90A:TG_SPLIT: 0
	.section	.text._ZN7rocprim17ROCPRIM_400000_NS6detail17trampoline_kernelINS0_14default_configENS1_22reduce_config_selectorIN6thrust23THRUST_200600_302600_NS5tupleIllNS6_9null_typeES8_S8_S8_S8_S8_S8_S8_EEEEZNS1_11reduce_implILb0ES3_PS9_SC_S9_NS6_11hip_rocprim9__extrema9arg_max_fIllNS6_4lessIlEEEEEE10hipError_tPvRmT1_T2_T3_mT4_P12ihipStream_tbEUlT_E1_NS1_11comp_targetILNS1_3genE3ELNS1_11target_archE908ELNS1_3gpuE7ELNS1_3repE0EEENS1_30default_config_static_selectorELNS0_4arch9wavefront6targetE1EEEvSM_,"axG",@progbits,_ZN7rocprim17ROCPRIM_400000_NS6detail17trampoline_kernelINS0_14default_configENS1_22reduce_config_selectorIN6thrust23THRUST_200600_302600_NS5tupleIllNS6_9null_typeES8_S8_S8_S8_S8_S8_S8_EEEEZNS1_11reduce_implILb0ES3_PS9_SC_S9_NS6_11hip_rocprim9__extrema9arg_max_fIllNS6_4lessIlEEEEEE10hipError_tPvRmT1_T2_T3_mT4_P12ihipStream_tbEUlT_E1_NS1_11comp_targetILNS1_3genE3ELNS1_11target_archE908ELNS1_3gpuE7ELNS1_3repE0EEENS1_30default_config_static_selectorELNS0_4arch9wavefront6targetE1EEEvSM_,comdat
	.protected	_ZN7rocprim17ROCPRIM_400000_NS6detail17trampoline_kernelINS0_14default_configENS1_22reduce_config_selectorIN6thrust23THRUST_200600_302600_NS5tupleIllNS6_9null_typeES8_S8_S8_S8_S8_S8_S8_EEEEZNS1_11reduce_implILb0ES3_PS9_SC_S9_NS6_11hip_rocprim9__extrema9arg_max_fIllNS6_4lessIlEEEEEE10hipError_tPvRmT1_T2_T3_mT4_P12ihipStream_tbEUlT_E1_NS1_11comp_targetILNS1_3genE3ELNS1_11target_archE908ELNS1_3gpuE7ELNS1_3repE0EEENS1_30default_config_static_selectorELNS0_4arch9wavefront6targetE1EEEvSM_ ; -- Begin function _ZN7rocprim17ROCPRIM_400000_NS6detail17trampoline_kernelINS0_14default_configENS1_22reduce_config_selectorIN6thrust23THRUST_200600_302600_NS5tupleIllNS6_9null_typeES8_S8_S8_S8_S8_S8_S8_EEEEZNS1_11reduce_implILb0ES3_PS9_SC_S9_NS6_11hip_rocprim9__extrema9arg_max_fIllNS6_4lessIlEEEEEE10hipError_tPvRmT1_T2_T3_mT4_P12ihipStream_tbEUlT_E1_NS1_11comp_targetILNS1_3genE3ELNS1_11target_archE908ELNS1_3gpuE7ELNS1_3repE0EEENS1_30default_config_static_selectorELNS0_4arch9wavefront6targetE1EEEvSM_
	.globl	_ZN7rocprim17ROCPRIM_400000_NS6detail17trampoline_kernelINS0_14default_configENS1_22reduce_config_selectorIN6thrust23THRUST_200600_302600_NS5tupleIllNS6_9null_typeES8_S8_S8_S8_S8_S8_S8_EEEEZNS1_11reduce_implILb0ES3_PS9_SC_S9_NS6_11hip_rocprim9__extrema9arg_max_fIllNS6_4lessIlEEEEEE10hipError_tPvRmT1_T2_T3_mT4_P12ihipStream_tbEUlT_E1_NS1_11comp_targetILNS1_3genE3ELNS1_11target_archE908ELNS1_3gpuE7ELNS1_3repE0EEENS1_30default_config_static_selectorELNS0_4arch9wavefront6targetE1EEEvSM_
	.p2align	8
	.type	_ZN7rocprim17ROCPRIM_400000_NS6detail17trampoline_kernelINS0_14default_configENS1_22reduce_config_selectorIN6thrust23THRUST_200600_302600_NS5tupleIllNS6_9null_typeES8_S8_S8_S8_S8_S8_S8_EEEEZNS1_11reduce_implILb0ES3_PS9_SC_S9_NS6_11hip_rocprim9__extrema9arg_max_fIllNS6_4lessIlEEEEEE10hipError_tPvRmT1_T2_T3_mT4_P12ihipStream_tbEUlT_E1_NS1_11comp_targetILNS1_3genE3ELNS1_11target_archE908ELNS1_3gpuE7ELNS1_3repE0EEENS1_30default_config_static_selectorELNS0_4arch9wavefront6targetE1EEEvSM_,@function
_ZN7rocprim17ROCPRIM_400000_NS6detail17trampoline_kernelINS0_14default_configENS1_22reduce_config_selectorIN6thrust23THRUST_200600_302600_NS5tupleIllNS6_9null_typeES8_S8_S8_S8_S8_S8_S8_EEEEZNS1_11reduce_implILb0ES3_PS9_SC_S9_NS6_11hip_rocprim9__extrema9arg_max_fIllNS6_4lessIlEEEEEE10hipError_tPvRmT1_T2_T3_mT4_P12ihipStream_tbEUlT_E1_NS1_11comp_targetILNS1_3genE3ELNS1_11target_archE908ELNS1_3gpuE7ELNS1_3repE0EEENS1_30default_config_static_selectorELNS0_4arch9wavefront6targetE1EEEvSM_: ; @_ZN7rocprim17ROCPRIM_400000_NS6detail17trampoline_kernelINS0_14default_configENS1_22reduce_config_selectorIN6thrust23THRUST_200600_302600_NS5tupleIllNS6_9null_typeES8_S8_S8_S8_S8_S8_S8_EEEEZNS1_11reduce_implILb0ES3_PS9_SC_S9_NS6_11hip_rocprim9__extrema9arg_max_fIllNS6_4lessIlEEEEEE10hipError_tPvRmT1_T2_T3_mT4_P12ihipStream_tbEUlT_E1_NS1_11comp_targetILNS1_3genE3ELNS1_11target_archE908ELNS1_3gpuE7ELNS1_3repE0EEENS1_30default_config_static_selectorELNS0_4arch9wavefront6targetE1EEEvSM_
; %bb.0:
	.section	.rodata,"a",@progbits
	.p2align	6, 0x0
	.amdhsa_kernel _ZN7rocprim17ROCPRIM_400000_NS6detail17trampoline_kernelINS0_14default_configENS1_22reduce_config_selectorIN6thrust23THRUST_200600_302600_NS5tupleIllNS6_9null_typeES8_S8_S8_S8_S8_S8_S8_EEEEZNS1_11reduce_implILb0ES3_PS9_SC_S9_NS6_11hip_rocprim9__extrema9arg_max_fIllNS6_4lessIlEEEEEE10hipError_tPvRmT1_T2_T3_mT4_P12ihipStream_tbEUlT_E1_NS1_11comp_targetILNS1_3genE3ELNS1_11target_archE908ELNS1_3gpuE7ELNS1_3repE0EEENS1_30default_config_static_selectorELNS0_4arch9wavefront6targetE1EEEvSM_
		.amdhsa_group_segment_fixed_size 0
		.amdhsa_private_segment_fixed_size 0
		.amdhsa_kernarg_size 56
		.amdhsa_user_sgpr_count 6
		.amdhsa_user_sgpr_private_segment_buffer 1
		.amdhsa_user_sgpr_dispatch_ptr 0
		.amdhsa_user_sgpr_queue_ptr 0
		.amdhsa_user_sgpr_kernarg_segment_ptr 1
		.amdhsa_user_sgpr_dispatch_id 0
		.amdhsa_user_sgpr_flat_scratch_init 0
		.amdhsa_user_sgpr_kernarg_preload_length 0
		.amdhsa_user_sgpr_kernarg_preload_offset 0
		.amdhsa_user_sgpr_private_segment_size 0
		.amdhsa_uses_dynamic_stack 0
		.amdhsa_system_sgpr_private_segment_wavefront_offset 0
		.amdhsa_system_sgpr_workgroup_id_x 1
		.amdhsa_system_sgpr_workgroup_id_y 0
		.amdhsa_system_sgpr_workgroup_id_z 0
		.amdhsa_system_sgpr_workgroup_info 0
		.amdhsa_system_vgpr_workitem_id 0
		.amdhsa_next_free_vgpr 1
		.amdhsa_next_free_sgpr 0
		.amdhsa_accum_offset 4
		.amdhsa_reserve_vcc 0
		.amdhsa_reserve_flat_scratch 0
		.amdhsa_float_round_mode_32 0
		.amdhsa_float_round_mode_16_64 0
		.amdhsa_float_denorm_mode_32 3
		.amdhsa_float_denorm_mode_16_64 3
		.amdhsa_dx10_clamp 1
		.amdhsa_ieee_mode 1
		.amdhsa_fp16_overflow 0
		.amdhsa_tg_split 0
		.amdhsa_exception_fp_ieee_invalid_op 0
		.amdhsa_exception_fp_denorm_src 0
		.amdhsa_exception_fp_ieee_div_zero 0
		.amdhsa_exception_fp_ieee_overflow 0
		.amdhsa_exception_fp_ieee_underflow 0
		.amdhsa_exception_fp_ieee_inexact 0
		.amdhsa_exception_int_div_zero 0
	.end_amdhsa_kernel
	.section	.text._ZN7rocprim17ROCPRIM_400000_NS6detail17trampoline_kernelINS0_14default_configENS1_22reduce_config_selectorIN6thrust23THRUST_200600_302600_NS5tupleIllNS6_9null_typeES8_S8_S8_S8_S8_S8_S8_EEEEZNS1_11reduce_implILb0ES3_PS9_SC_S9_NS6_11hip_rocprim9__extrema9arg_max_fIllNS6_4lessIlEEEEEE10hipError_tPvRmT1_T2_T3_mT4_P12ihipStream_tbEUlT_E1_NS1_11comp_targetILNS1_3genE3ELNS1_11target_archE908ELNS1_3gpuE7ELNS1_3repE0EEENS1_30default_config_static_selectorELNS0_4arch9wavefront6targetE1EEEvSM_,"axG",@progbits,_ZN7rocprim17ROCPRIM_400000_NS6detail17trampoline_kernelINS0_14default_configENS1_22reduce_config_selectorIN6thrust23THRUST_200600_302600_NS5tupleIllNS6_9null_typeES8_S8_S8_S8_S8_S8_S8_EEEEZNS1_11reduce_implILb0ES3_PS9_SC_S9_NS6_11hip_rocprim9__extrema9arg_max_fIllNS6_4lessIlEEEEEE10hipError_tPvRmT1_T2_T3_mT4_P12ihipStream_tbEUlT_E1_NS1_11comp_targetILNS1_3genE3ELNS1_11target_archE908ELNS1_3gpuE7ELNS1_3repE0EEENS1_30default_config_static_selectorELNS0_4arch9wavefront6targetE1EEEvSM_,comdat
.Lfunc_end415:
	.size	_ZN7rocprim17ROCPRIM_400000_NS6detail17trampoline_kernelINS0_14default_configENS1_22reduce_config_selectorIN6thrust23THRUST_200600_302600_NS5tupleIllNS6_9null_typeES8_S8_S8_S8_S8_S8_S8_EEEEZNS1_11reduce_implILb0ES3_PS9_SC_S9_NS6_11hip_rocprim9__extrema9arg_max_fIllNS6_4lessIlEEEEEE10hipError_tPvRmT1_T2_T3_mT4_P12ihipStream_tbEUlT_E1_NS1_11comp_targetILNS1_3genE3ELNS1_11target_archE908ELNS1_3gpuE7ELNS1_3repE0EEENS1_30default_config_static_selectorELNS0_4arch9wavefront6targetE1EEEvSM_, .Lfunc_end415-_ZN7rocprim17ROCPRIM_400000_NS6detail17trampoline_kernelINS0_14default_configENS1_22reduce_config_selectorIN6thrust23THRUST_200600_302600_NS5tupleIllNS6_9null_typeES8_S8_S8_S8_S8_S8_S8_EEEEZNS1_11reduce_implILb0ES3_PS9_SC_S9_NS6_11hip_rocprim9__extrema9arg_max_fIllNS6_4lessIlEEEEEE10hipError_tPvRmT1_T2_T3_mT4_P12ihipStream_tbEUlT_E1_NS1_11comp_targetILNS1_3genE3ELNS1_11target_archE908ELNS1_3gpuE7ELNS1_3repE0EEENS1_30default_config_static_selectorELNS0_4arch9wavefront6targetE1EEEvSM_
                                        ; -- End function
	.section	.AMDGPU.csdata,"",@progbits
; Kernel info:
; codeLenInByte = 0
; NumSgprs: 4
; NumVgprs: 0
; NumAgprs: 0
; TotalNumVgprs: 0
; ScratchSize: 0
; MemoryBound: 0
; FloatMode: 240
; IeeeMode: 1
; LDSByteSize: 0 bytes/workgroup (compile time only)
; SGPRBlocks: 0
; VGPRBlocks: 0
; NumSGPRsForWavesPerEU: 4
; NumVGPRsForWavesPerEU: 1
; AccumOffset: 4
; Occupancy: 8
; WaveLimiterHint : 0
; COMPUTE_PGM_RSRC2:SCRATCH_EN: 0
; COMPUTE_PGM_RSRC2:USER_SGPR: 6
; COMPUTE_PGM_RSRC2:TRAP_HANDLER: 0
; COMPUTE_PGM_RSRC2:TGID_X_EN: 1
; COMPUTE_PGM_RSRC2:TGID_Y_EN: 0
; COMPUTE_PGM_RSRC2:TGID_Z_EN: 0
; COMPUTE_PGM_RSRC2:TIDIG_COMP_CNT: 0
; COMPUTE_PGM_RSRC3_GFX90A:ACCUM_OFFSET: 0
; COMPUTE_PGM_RSRC3_GFX90A:TG_SPLIT: 0
	.section	.text._ZN7rocprim17ROCPRIM_400000_NS6detail17trampoline_kernelINS0_14default_configENS1_22reduce_config_selectorIN6thrust23THRUST_200600_302600_NS5tupleIllNS6_9null_typeES8_S8_S8_S8_S8_S8_S8_EEEEZNS1_11reduce_implILb0ES3_PS9_SC_S9_NS6_11hip_rocprim9__extrema9arg_max_fIllNS6_4lessIlEEEEEE10hipError_tPvRmT1_T2_T3_mT4_P12ihipStream_tbEUlT_E1_NS1_11comp_targetILNS1_3genE2ELNS1_11target_archE906ELNS1_3gpuE6ELNS1_3repE0EEENS1_30default_config_static_selectorELNS0_4arch9wavefront6targetE1EEEvSM_,"axG",@progbits,_ZN7rocprim17ROCPRIM_400000_NS6detail17trampoline_kernelINS0_14default_configENS1_22reduce_config_selectorIN6thrust23THRUST_200600_302600_NS5tupleIllNS6_9null_typeES8_S8_S8_S8_S8_S8_S8_EEEEZNS1_11reduce_implILb0ES3_PS9_SC_S9_NS6_11hip_rocprim9__extrema9arg_max_fIllNS6_4lessIlEEEEEE10hipError_tPvRmT1_T2_T3_mT4_P12ihipStream_tbEUlT_E1_NS1_11comp_targetILNS1_3genE2ELNS1_11target_archE906ELNS1_3gpuE6ELNS1_3repE0EEENS1_30default_config_static_selectorELNS0_4arch9wavefront6targetE1EEEvSM_,comdat
	.protected	_ZN7rocprim17ROCPRIM_400000_NS6detail17trampoline_kernelINS0_14default_configENS1_22reduce_config_selectorIN6thrust23THRUST_200600_302600_NS5tupleIllNS6_9null_typeES8_S8_S8_S8_S8_S8_S8_EEEEZNS1_11reduce_implILb0ES3_PS9_SC_S9_NS6_11hip_rocprim9__extrema9arg_max_fIllNS6_4lessIlEEEEEE10hipError_tPvRmT1_T2_T3_mT4_P12ihipStream_tbEUlT_E1_NS1_11comp_targetILNS1_3genE2ELNS1_11target_archE906ELNS1_3gpuE6ELNS1_3repE0EEENS1_30default_config_static_selectorELNS0_4arch9wavefront6targetE1EEEvSM_ ; -- Begin function _ZN7rocprim17ROCPRIM_400000_NS6detail17trampoline_kernelINS0_14default_configENS1_22reduce_config_selectorIN6thrust23THRUST_200600_302600_NS5tupleIllNS6_9null_typeES8_S8_S8_S8_S8_S8_S8_EEEEZNS1_11reduce_implILb0ES3_PS9_SC_S9_NS6_11hip_rocprim9__extrema9arg_max_fIllNS6_4lessIlEEEEEE10hipError_tPvRmT1_T2_T3_mT4_P12ihipStream_tbEUlT_E1_NS1_11comp_targetILNS1_3genE2ELNS1_11target_archE906ELNS1_3gpuE6ELNS1_3repE0EEENS1_30default_config_static_selectorELNS0_4arch9wavefront6targetE1EEEvSM_
	.globl	_ZN7rocprim17ROCPRIM_400000_NS6detail17trampoline_kernelINS0_14default_configENS1_22reduce_config_selectorIN6thrust23THRUST_200600_302600_NS5tupleIllNS6_9null_typeES8_S8_S8_S8_S8_S8_S8_EEEEZNS1_11reduce_implILb0ES3_PS9_SC_S9_NS6_11hip_rocprim9__extrema9arg_max_fIllNS6_4lessIlEEEEEE10hipError_tPvRmT1_T2_T3_mT4_P12ihipStream_tbEUlT_E1_NS1_11comp_targetILNS1_3genE2ELNS1_11target_archE906ELNS1_3gpuE6ELNS1_3repE0EEENS1_30default_config_static_selectorELNS0_4arch9wavefront6targetE1EEEvSM_
	.p2align	8
	.type	_ZN7rocprim17ROCPRIM_400000_NS6detail17trampoline_kernelINS0_14default_configENS1_22reduce_config_selectorIN6thrust23THRUST_200600_302600_NS5tupleIllNS6_9null_typeES8_S8_S8_S8_S8_S8_S8_EEEEZNS1_11reduce_implILb0ES3_PS9_SC_S9_NS6_11hip_rocprim9__extrema9arg_max_fIllNS6_4lessIlEEEEEE10hipError_tPvRmT1_T2_T3_mT4_P12ihipStream_tbEUlT_E1_NS1_11comp_targetILNS1_3genE2ELNS1_11target_archE906ELNS1_3gpuE6ELNS1_3repE0EEENS1_30default_config_static_selectorELNS0_4arch9wavefront6targetE1EEEvSM_,@function
_ZN7rocprim17ROCPRIM_400000_NS6detail17trampoline_kernelINS0_14default_configENS1_22reduce_config_selectorIN6thrust23THRUST_200600_302600_NS5tupleIllNS6_9null_typeES8_S8_S8_S8_S8_S8_S8_EEEEZNS1_11reduce_implILb0ES3_PS9_SC_S9_NS6_11hip_rocprim9__extrema9arg_max_fIllNS6_4lessIlEEEEEE10hipError_tPvRmT1_T2_T3_mT4_P12ihipStream_tbEUlT_E1_NS1_11comp_targetILNS1_3genE2ELNS1_11target_archE906ELNS1_3gpuE6ELNS1_3repE0EEENS1_30default_config_static_selectorELNS0_4arch9wavefront6targetE1EEEvSM_: ; @_ZN7rocprim17ROCPRIM_400000_NS6detail17trampoline_kernelINS0_14default_configENS1_22reduce_config_selectorIN6thrust23THRUST_200600_302600_NS5tupleIllNS6_9null_typeES8_S8_S8_S8_S8_S8_S8_EEEEZNS1_11reduce_implILb0ES3_PS9_SC_S9_NS6_11hip_rocprim9__extrema9arg_max_fIllNS6_4lessIlEEEEEE10hipError_tPvRmT1_T2_T3_mT4_P12ihipStream_tbEUlT_E1_NS1_11comp_targetILNS1_3genE2ELNS1_11target_archE906ELNS1_3gpuE6ELNS1_3repE0EEENS1_30default_config_static_selectorELNS0_4arch9wavefront6targetE1EEEvSM_
; %bb.0:
	.section	.rodata,"a",@progbits
	.p2align	6, 0x0
	.amdhsa_kernel _ZN7rocprim17ROCPRIM_400000_NS6detail17trampoline_kernelINS0_14default_configENS1_22reduce_config_selectorIN6thrust23THRUST_200600_302600_NS5tupleIllNS6_9null_typeES8_S8_S8_S8_S8_S8_S8_EEEEZNS1_11reduce_implILb0ES3_PS9_SC_S9_NS6_11hip_rocprim9__extrema9arg_max_fIllNS6_4lessIlEEEEEE10hipError_tPvRmT1_T2_T3_mT4_P12ihipStream_tbEUlT_E1_NS1_11comp_targetILNS1_3genE2ELNS1_11target_archE906ELNS1_3gpuE6ELNS1_3repE0EEENS1_30default_config_static_selectorELNS0_4arch9wavefront6targetE1EEEvSM_
		.amdhsa_group_segment_fixed_size 0
		.amdhsa_private_segment_fixed_size 0
		.amdhsa_kernarg_size 56
		.amdhsa_user_sgpr_count 6
		.amdhsa_user_sgpr_private_segment_buffer 1
		.amdhsa_user_sgpr_dispatch_ptr 0
		.amdhsa_user_sgpr_queue_ptr 0
		.amdhsa_user_sgpr_kernarg_segment_ptr 1
		.amdhsa_user_sgpr_dispatch_id 0
		.amdhsa_user_sgpr_flat_scratch_init 0
		.amdhsa_user_sgpr_kernarg_preload_length 0
		.amdhsa_user_sgpr_kernarg_preload_offset 0
		.amdhsa_user_sgpr_private_segment_size 0
		.amdhsa_uses_dynamic_stack 0
		.amdhsa_system_sgpr_private_segment_wavefront_offset 0
		.amdhsa_system_sgpr_workgroup_id_x 1
		.amdhsa_system_sgpr_workgroup_id_y 0
		.amdhsa_system_sgpr_workgroup_id_z 0
		.amdhsa_system_sgpr_workgroup_info 0
		.amdhsa_system_vgpr_workitem_id 0
		.amdhsa_next_free_vgpr 1
		.amdhsa_next_free_sgpr 0
		.amdhsa_accum_offset 4
		.amdhsa_reserve_vcc 0
		.amdhsa_reserve_flat_scratch 0
		.amdhsa_float_round_mode_32 0
		.amdhsa_float_round_mode_16_64 0
		.amdhsa_float_denorm_mode_32 3
		.amdhsa_float_denorm_mode_16_64 3
		.amdhsa_dx10_clamp 1
		.amdhsa_ieee_mode 1
		.amdhsa_fp16_overflow 0
		.amdhsa_tg_split 0
		.amdhsa_exception_fp_ieee_invalid_op 0
		.amdhsa_exception_fp_denorm_src 0
		.amdhsa_exception_fp_ieee_div_zero 0
		.amdhsa_exception_fp_ieee_overflow 0
		.amdhsa_exception_fp_ieee_underflow 0
		.amdhsa_exception_fp_ieee_inexact 0
		.amdhsa_exception_int_div_zero 0
	.end_amdhsa_kernel
	.section	.text._ZN7rocprim17ROCPRIM_400000_NS6detail17trampoline_kernelINS0_14default_configENS1_22reduce_config_selectorIN6thrust23THRUST_200600_302600_NS5tupleIllNS6_9null_typeES8_S8_S8_S8_S8_S8_S8_EEEEZNS1_11reduce_implILb0ES3_PS9_SC_S9_NS6_11hip_rocprim9__extrema9arg_max_fIllNS6_4lessIlEEEEEE10hipError_tPvRmT1_T2_T3_mT4_P12ihipStream_tbEUlT_E1_NS1_11comp_targetILNS1_3genE2ELNS1_11target_archE906ELNS1_3gpuE6ELNS1_3repE0EEENS1_30default_config_static_selectorELNS0_4arch9wavefront6targetE1EEEvSM_,"axG",@progbits,_ZN7rocprim17ROCPRIM_400000_NS6detail17trampoline_kernelINS0_14default_configENS1_22reduce_config_selectorIN6thrust23THRUST_200600_302600_NS5tupleIllNS6_9null_typeES8_S8_S8_S8_S8_S8_S8_EEEEZNS1_11reduce_implILb0ES3_PS9_SC_S9_NS6_11hip_rocprim9__extrema9arg_max_fIllNS6_4lessIlEEEEEE10hipError_tPvRmT1_T2_T3_mT4_P12ihipStream_tbEUlT_E1_NS1_11comp_targetILNS1_3genE2ELNS1_11target_archE906ELNS1_3gpuE6ELNS1_3repE0EEENS1_30default_config_static_selectorELNS0_4arch9wavefront6targetE1EEEvSM_,comdat
.Lfunc_end416:
	.size	_ZN7rocprim17ROCPRIM_400000_NS6detail17trampoline_kernelINS0_14default_configENS1_22reduce_config_selectorIN6thrust23THRUST_200600_302600_NS5tupleIllNS6_9null_typeES8_S8_S8_S8_S8_S8_S8_EEEEZNS1_11reduce_implILb0ES3_PS9_SC_S9_NS6_11hip_rocprim9__extrema9arg_max_fIllNS6_4lessIlEEEEEE10hipError_tPvRmT1_T2_T3_mT4_P12ihipStream_tbEUlT_E1_NS1_11comp_targetILNS1_3genE2ELNS1_11target_archE906ELNS1_3gpuE6ELNS1_3repE0EEENS1_30default_config_static_selectorELNS0_4arch9wavefront6targetE1EEEvSM_, .Lfunc_end416-_ZN7rocprim17ROCPRIM_400000_NS6detail17trampoline_kernelINS0_14default_configENS1_22reduce_config_selectorIN6thrust23THRUST_200600_302600_NS5tupleIllNS6_9null_typeES8_S8_S8_S8_S8_S8_S8_EEEEZNS1_11reduce_implILb0ES3_PS9_SC_S9_NS6_11hip_rocprim9__extrema9arg_max_fIllNS6_4lessIlEEEEEE10hipError_tPvRmT1_T2_T3_mT4_P12ihipStream_tbEUlT_E1_NS1_11comp_targetILNS1_3genE2ELNS1_11target_archE906ELNS1_3gpuE6ELNS1_3repE0EEENS1_30default_config_static_selectorELNS0_4arch9wavefront6targetE1EEEvSM_
                                        ; -- End function
	.section	.AMDGPU.csdata,"",@progbits
; Kernel info:
; codeLenInByte = 0
; NumSgprs: 4
; NumVgprs: 0
; NumAgprs: 0
; TotalNumVgprs: 0
; ScratchSize: 0
; MemoryBound: 0
; FloatMode: 240
; IeeeMode: 1
; LDSByteSize: 0 bytes/workgroup (compile time only)
; SGPRBlocks: 0
; VGPRBlocks: 0
; NumSGPRsForWavesPerEU: 4
; NumVGPRsForWavesPerEU: 1
; AccumOffset: 4
; Occupancy: 8
; WaveLimiterHint : 0
; COMPUTE_PGM_RSRC2:SCRATCH_EN: 0
; COMPUTE_PGM_RSRC2:USER_SGPR: 6
; COMPUTE_PGM_RSRC2:TRAP_HANDLER: 0
; COMPUTE_PGM_RSRC2:TGID_X_EN: 1
; COMPUTE_PGM_RSRC2:TGID_Y_EN: 0
; COMPUTE_PGM_RSRC2:TGID_Z_EN: 0
; COMPUTE_PGM_RSRC2:TIDIG_COMP_CNT: 0
; COMPUTE_PGM_RSRC3_GFX90A:ACCUM_OFFSET: 0
; COMPUTE_PGM_RSRC3_GFX90A:TG_SPLIT: 0
	.section	.text._ZN7rocprim17ROCPRIM_400000_NS6detail17trampoline_kernelINS0_14default_configENS1_22reduce_config_selectorIN6thrust23THRUST_200600_302600_NS5tupleIllNS6_9null_typeES8_S8_S8_S8_S8_S8_S8_EEEEZNS1_11reduce_implILb0ES3_PS9_SC_S9_NS6_11hip_rocprim9__extrema9arg_max_fIllNS6_4lessIlEEEEEE10hipError_tPvRmT1_T2_T3_mT4_P12ihipStream_tbEUlT_E1_NS1_11comp_targetILNS1_3genE10ELNS1_11target_archE1201ELNS1_3gpuE5ELNS1_3repE0EEENS1_30default_config_static_selectorELNS0_4arch9wavefront6targetE1EEEvSM_,"axG",@progbits,_ZN7rocprim17ROCPRIM_400000_NS6detail17trampoline_kernelINS0_14default_configENS1_22reduce_config_selectorIN6thrust23THRUST_200600_302600_NS5tupleIllNS6_9null_typeES8_S8_S8_S8_S8_S8_S8_EEEEZNS1_11reduce_implILb0ES3_PS9_SC_S9_NS6_11hip_rocprim9__extrema9arg_max_fIllNS6_4lessIlEEEEEE10hipError_tPvRmT1_T2_T3_mT4_P12ihipStream_tbEUlT_E1_NS1_11comp_targetILNS1_3genE10ELNS1_11target_archE1201ELNS1_3gpuE5ELNS1_3repE0EEENS1_30default_config_static_selectorELNS0_4arch9wavefront6targetE1EEEvSM_,comdat
	.protected	_ZN7rocprim17ROCPRIM_400000_NS6detail17trampoline_kernelINS0_14default_configENS1_22reduce_config_selectorIN6thrust23THRUST_200600_302600_NS5tupleIllNS6_9null_typeES8_S8_S8_S8_S8_S8_S8_EEEEZNS1_11reduce_implILb0ES3_PS9_SC_S9_NS6_11hip_rocprim9__extrema9arg_max_fIllNS6_4lessIlEEEEEE10hipError_tPvRmT1_T2_T3_mT4_P12ihipStream_tbEUlT_E1_NS1_11comp_targetILNS1_3genE10ELNS1_11target_archE1201ELNS1_3gpuE5ELNS1_3repE0EEENS1_30default_config_static_selectorELNS0_4arch9wavefront6targetE1EEEvSM_ ; -- Begin function _ZN7rocprim17ROCPRIM_400000_NS6detail17trampoline_kernelINS0_14default_configENS1_22reduce_config_selectorIN6thrust23THRUST_200600_302600_NS5tupleIllNS6_9null_typeES8_S8_S8_S8_S8_S8_S8_EEEEZNS1_11reduce_implILb0ES3_PS9_SC_S9_NS6_11hip_rocprim9__extrema9arg_max_fIllNS6_4lessIlEEEEEE10hipError_tPvRmT1_T2_T3_mT4_P12ihipStream_tbEUlT_E1_NS1_11comp_targetILNS1_3genE10ELNS1_11target_archE1201ELNS1_3gpuE5ELNS1_3repE0EEENS1_30default_config_static_selectorELNS0_4arch9wavefront6targetE1EEEvSM_
	.globl	_ZN7rocprim17ROCPRIM_400000_NS6detail17trampoline_kernelINS0_14default_configENS1_22reduce_config_selectorIN6thrust23THRUST_200600_302600_NS5tupleIllNS6_9null_typeES8_S8_S8_S8_S8_S8_S8_EEEEZNS1_11reduce_implILb0ES3_PS9_SC_S9_NS6_11hip_rocprim9__extrema9arg_max_fIllNS6_4lessIlEEEEEE10hipError_tPvRmT1_T2_T3_mT4_P12ihipStream_tbEUlT_E1_NS1_11comp_targetILNS1_3genE10ELNS1_11target_archE1201ELNS1_3gpuE5ELNS1_3repE0EEENS1_30default_config_static_selectorELNS0_4arch9wavefront6targetE1EEEvSM_
	.p2align	8
	.type	_ZN7rocprim17ROCPRIM_400000_NS6detail17trampoline_kernelINS0_14default_configENS1_22reduce_config_selectorIN6thrust23THRUST_200600_302600_NS5tupleIllNS6_9null_typeES8_S8_S8_S8_S8_S8_S8_EEEEZNS1_11reduce_implILb0ES3_PS9_SC_S9_NS6_11hip_rocprim9__extrema9arg_max_fIllNS6_4lessIlEEEEEE10hipError_tPvRmT1_T2_T3_mT4_P12ihipStream_tbEUlT_E1_NS1_11comp_targetILNS1_3genE10ELNS1_11target_archE1201ELNS1_3gpuE5ELNS1_3repE0EEENS1_30default_config_static_selectorELNS0_4arch9wavefront6targetE1EEEvSM_,@function
_ZN7rocprim17ROCPRIM_400000_NS6detail17trampoline_kernelINS0_14default_configENS1_22reduce_config_selectorIN6thrust23THRUST_200600_302600_NS5tupleIllNS6_9null_typeES8_S8_S8_S8_S8_S8_S8_EEEEZNS1_11reduce_implILb0ES3_PS9_SC_S9_NS6_11hip_rocprim9__extrema9arg_max_fIllNS6_4lessIlEEEEEE10hipError_tPvRmT1_T2_T3_mT4_P12ihipStream_tbEUlT_E1_NS1_11comp_targetILNS1_3genE10ELNS1_11target_archE1201ELNS1_3gpuE5ELNS1_3repE0EEENS1_30default_config_static_selectorELNS0_4arch9wavefront6targetE1EEEvSM_: ; @_ZN7rocprim17ROCPRIM_400000_NS6detail17trampoline_kernelINS0_14default_configENS1_22reduce_config_selectorIN6thrust23THRUST_200600_302600_NS5tupleIllNS6_9null_typeES8_S8_S8_S8_S8_S8_S8_EEEEZNS1_11reduce_implILb0ES3_PS9_SC_S9_NS6_11hip_rocprim9__extrema9arg_max_fIllNS6_4lessIlEEEEEE10hipError_tPvRmT1_T2_T3_mT4_P12ihipStream_tbEUlT_E1_NS1_11comp_targetILNS1_3genE10ELNS1_11target_archE1201ELNS1_3gpuE5ELNS1_3repE0EEENS1_30default_config_static_selectorELNS0_4arch9wavefront6targetE1EEEvSM_
; %bb.0:
	.section	.rodata,"a",@progbits
	.p2align	6, 0x0
	.amdhsa_kernel _ZN7rocprim17ROCPRIM_400000_NS6detail17trampoline_kernelINS0_14default_configENS1_22reduce_config_selectorIN6thrust23THRUST_200600_302600_NS5tupleIllNS6_9null_typeES8_S8_S8_S8_S8_S8_S8_EEEEZNS1_11reduce_implILb0ES3_PS9_SC_S9_NS6_11hip_rocprim9__extrema9arg_max_fIllNS6_4lessIlEEEEEE10hipError_tPvRmT1_T2_T3_mT4_P12ihipStream_tbEUlT_E1_NS1_11comp_targetILNS1_3genE10ELNS1_11target_archE1201ELNS1_3gpuE5ELNS1_3repE0EEENS1_30default_config_static_selectorELNS0_4arch9wavefront6targetE1EEEvSM_
		.amdhsa_group_segment_fixed_size 0
		.amdhsa_private_segment_fixed_size 0
		.amdhsa_kernarg_size 56
		.amdhsa_user_sgpr_count 6
		.amdhsa_user_sgpr_private_segment_buffer 1
		.amdhsa_user_sgpr_dispatch_ptr 0
		.amdhsa_user_sgpr_queue_ptr 0
		.amdhsa_user_sgpr_kernarg_segment_ptr 1
		.amdhsa_user_sgpr_dispatch_id 0
		.amdhsa_user_sgpr_flat_scratch_init 0
		.amdhsa_user_sgpr_kernarg_preload_length 0
		.amdhsa_user_sgpr_kernarg_preload_offset 0
		.amdhsa_user_sgpr_private_segment_size 0
		.amdhsa_uses_dynamic_stack 0
		.amdhsa_system_sgpr_private_segment_wavefront_offset 0
		.amdhsa_system_sgpr_workgroup_id_x 1
		.amdhsa_system_sgpr_workgroup_id_y 0
		.amdhsa_system_sgpr_workgroup_id_z 0
		.amdhsa_system_sgpr_workgroup_info 0
		.amdhsa_system_vgpr_workitem_id 0
		.amdhsa_next_free_vgpr 1
		.amdhsa_next_free_sgpr 0
		.amdhsa_accum_offset 4
		.amdhsa_reserve_vcc 0
		.amdhsa_reserve_flat_scratch 0
		.amdhsa_float_round_mode_32 0
		.amdhsa_float_round_mode_16_64 0
		.amdhsa_float_denorm_mode_32 3
		.amdhsa_float_denorm_mode_16_64 3
		.amdhsa_dx10_clamp 1
		.amdhsa_ieee_mode 1
		.amdhsa_fp16_overflow 0
		.amdhsa_tg_split 0
		.amdhsa_exception_fp_ieee_invalid_op 0
		.amdhsa_exception_fp_denorm_src 0
		.amdhsa_exception_fp_ieee_div_zero 0
		.amdhsa_exception_fp_ieee_overflow 0
		.amdhsa_exception_fp_ieee_underflow 0
		.amdhsa_exception_fp_ieee_inexact 0
		.amdhsa_exception_int_div_zero 0
	.end_amdhsa_kernel
	.section	.text._ZN7rocprim17ROCPRIM_400000_NS6detail17trampoline_kernelINS0_14default_configENS1_22reduce_config_selectorIN6thrust23THRUST_200600_302600_NS5tupleIllNS6_9null_typeES8_S8_S8_S8_S8_S8_S8_EEEEZNS1_11reduce_implILb0ES3_PS9_SC_S9_NS6_11hip_rocprim9__extrema9arg_max_fIllNS6_4lessIlEEEEEE10hipError_tPvRmT1_T2_T3_mT4_P12ihipStream_tbEUlT_E1_NS1_11comp_targetILNS1_3genE10ELNS1_11target_archE1201ELNS1_3gpuE5ELNS1_3repE0EEENS1_30default_config_static_selectorELNS0_4arch9wavefront6targetE1EEEvSM_,"axG",@progbits,_ZN7rocprim17ROCPRIM_400000_NS6detail17trampoline_kernelINS0_14default_configENS1_22reduce_config_selectorIN6thrust23THRUST_200600_302600_NS5tupleIllNS6_9null_typeES8_S8_S8_S8_S8_S8_S8_EEEEZNS1_11reduce_implILb0ES3_PS9_SC_S9_NS6_11hip_rocprim9__extrema9arg_max_fIllNS6_4lessIlEEEEEE10hipError_tPvRmT1_T2_T3_mT4_P12ihipStream_tbEUlT_E1_NS1_11comp_targetILNS1_3genE10ELNS1_11target_archE1201ELNS1_3gpuE5ELNS1_3repE0EEENS1_30default_config_static_selectorELNS0_4arch9wavefront6targetE1EEEvSM_,comdat
.Lfunc_end417:
	.size	_ZN7rocprim17ROCPRIM_400000_NS6detail17trampoline_kernelINS0_14default_configENS1_22reduce_config_selectorIN6thrust23THRUST_200600_302600_NS5tupleIllNS6_9null_typeES8_S8_S8_S8_S8_S8_S8_EEEEZNS1_11reduce_implILb0ES3_PS9_SC_S9_NS6_11hip_rocprim9__extrema9arg_max_fIllNS6_4lessIlEEEEEE10hipError_tPvRmT1_T2_T3_mT4_P12ihipStream_tbEUlT_E1_NS1_11comp_targetILNS1_3genE10ELNS1_11target_archE1201ELNS1_3gpuE5ELNS1_3repE0EEENS1_30default_config_static_selectorELNS0_4arch9wavefront6targetE1EEEvSM_, .Lfunc_end417-_ZN7rocprim17ROCPRIM_400000_NS6detail17trampoline_kernelINS0_14default_configENS1_22reduce_config_selectorIN6thrust23THRUST_200600_302600_NS5tupleIllNS6_9null_typeES8_S8_S8_S8_S8_S8_S8_EEEEZNS1_11reduce_implILb0ES3_PS9_SC_S9_NS6_11hip_rocprim9__extrema9arg_max_fIllNS6_4lessIlEEEEEE10hipError_tPvRmT1_T2_T3_mT4_P12ihipStream_tbEUlT_E1_NS1_11comp_targetILNS1_3genE10ELNS1_11target_archE1201ELNS1_3gpuE5ELNS1_3repE0EEENS1_30default_config_static_selectorELNS0_4arch9wavefront6targetE1EEEvSM_
                                        ; -- End function
	.section	.AMDGPU.csdata,"",@progbits
; Kernel info:
; codeLenInByte = 0
; NumSgprs: 4
; NumVgprs: 0
; NumAgprs: 0
; TotalNumVgprs: 0
; ScratchSize: 0
; MemoryBound: 0
; FloatMode: 240
; IeeeMode: 1
; LDSByteSize: 0 bytes/workgroup (compile time only)
; SGPRBlocks: 0
; VGPRBlocks: 0
; NumSGPRsForWavesPerEU: 4
; NumVGPRsForWavesPerEU: 1
; AccumOffset: 4
; Occupancy: 8
; WaveLimiterHint : 0
; COMPUTE_PGM_RSRC2:SCRATCH_EN: 0
; COMPUTE_PGM_RSRC2:USER_SGPR: 6
; COMPUTE_PGM_RSRC2:TRAP_HANDLER: 0
; COMPUTE_PGM_RSRC2:TGID_X_EN: 1
; COMPUTE_PGM_RSRC2:TGID_Y_EN: 0
; COMPUTE_PGM_RSRC2:TGID_Z_EN: 0
; COMPUTE_PGM_RSRC2:TIDIG_COMP_CNT: 0
; COMPUTE_PGM_RSRC3_GFX90A:ACCUM_OFFSET: 0
; COMPUTE_PGM_RSRC3_GFX90A:TG_SPLIT: 0
	.section	.text._ZN7rocprim17ROCPRIM_400000_NS6detail17trampoline_kernelINS0_14default_configENS1_22reduce_config_selectorIN6thrust23THRUST_200600_302600_NS5tupleIllNS6_9null_typeES8_S8_S8_S8_S8_S8_S8_EEEEZNS1_11reduce_implILb0ES3_PS9_SC_S9_NS6_11hip_rocprim9__extrema9arg_max_fIllNS6_4lessIlEEEEEE10hipError_tPvRmT1_T2_T3_mT4_P12ihipStream_tbEUlT_E1_NS1_11comp_targetILNS1_3genE10ELNS1_11target_archE1200ELNS1_3gpuE4ELNS1_3repE0EEENS1_30default_config_static_selectorELNS0_4arch9wavefront6targetE1EEEvSM_,"axG",@progbits,_ZN7rocprim17ROCPRIM_400000_NS6detail17trampoline_kernelINS0_14default_configENS1_22reduce_config_selectorIN6thrust23THRUST_200600_302600_NS5tupleIllNS6_9null_typeES8_S8_S8_S8_S8_S8_S8_EEEEZNS1_11reduce_implILb0ES3_PS9_SC_S9_NS6_11hip_rocprim9__extrema9arg_max_fIllNS6_4lessIlEEEEEE10hipError_tPvRmT1_T2_T3_mT4_P12ihipStream_tbEUlT_E1_NS1_11comp_targetILNS1_3genE10ELNS1_11target_archE1200ELNS1_3gpuE4ELNS1_3repE0EEENS1_30default_config_static_selectorELNS0_4arch9wavefront6targetE1EEEvSM_,comdat
	.protected	_ZN7rocprim17ROCPRIM_400000_NS6detail17trampoline_kernelINS0_14default_configENS1_22reduce_config_selectorIN6thrust23THRUST_200600_302600_NS5tupleIllNS6_9null_typeES8_S8_S8_S8_S8_S8_S8_EEEEZNS1_11reduce_implILb0ES3_PS9_SC_S9_NS6_11hip_rocprim9__extrema9arg_max_fIllNS6_4lessIlEEEEEE10hipError_tPvRmT1_T2_T3_mT4_P12ihipStream_tbEUlT_E1_NS1_11comp_targetILNS1_3genE10ELNS1_11target_archE1200ELNS1_3gpuE4ELNS1_3repE0EEENS1_30default_config_static_selectorELNS0_4arch9wavefront6targetE1EEEvSM_ ; -- Begin function _ZN7rocprim17ROCPRIM_400000_NS6detail17trampoline_kernelINS0_14default_configENS1_22reduce_config_selectorIN6thrust23THRUST_200600_302600_NS5tupleIllNS6_9null_typeES8_S8_S8_S8_S8_S8_S8_EEEEZNS1_11reduce_implILb0ES3_PS9_SC_S9_NS6_11hip_rocprim9__extrema9arg_max_fIllNS6_4lessIlEEEEEE10hipError_tPvRmT1_T2_T3_mT4_P12ihipStream_tbEUlT_E1_NS1_11comp_targetILNS1_3genE10ELNS1_11target_archE1200ELNS1_3gpuE4ELNS1_3repE0EEENS1_30default_config_static_selectorELNS0_4arch9wavefront6targetE1EEEvSM_
	.globl	_ZN7rocprim17ROCPRIM_400000_NS6detail17trampoline_kernelINS0_14default_configENS1_22reduce_config_selectorIN6thrust23THRUST_200600_302600_NS5tupleIllNS6_9null_typeES8_S8_S8_S8_S8_S8_S8_EEEEZNS1_11reduce_implILb0ES3_PS9_SC_S9_NS6_11hip_rocprim9__extrema9arg_max_fIllNS6_4lessIlEEEEEE10hipError_tPvRmT1_T2_T3_mT4_P12ihipStream_tbEUlT_E1_NS1_11comp_targetILNS1_3genE10ELNS1_11target_archE1200ELNS1_3gpuE4ELNS1_3repE0EEENS1_30default_config_static_selectorELNS0_4arch9wavefront6targetE1EEEvSM_
	.p2align	8
	.type	_ZN7rocprim17ROCPRIM_400000_NS6detail17trampoline_kernelINS0_14default_configENS1_22reduce_config_selectorIN6thrust23THRUST_200600_302600_NS5tupleIllNS6_9null_typeES8_S8_S8_S8_S8_S8_S8_EEEEZNS1_11reduce_implILb0ES3_PS9_SC_S9_NS6_11hip_rocprim9__extrema9arg_max_fIllNS6_4lessIlEEEEEE10hipError_tPvRmT1_T2_T3_mT4_P12ihipStream_tbEUlT_E1_NS1_11comp_targetILNS1_3genE10ELNS1_11target_archE1200ELNS1_3gpuE4ELNS1_3repE0EEENS1_30default_config_static_selectorELNS0_4arch9wavefront6targetE1EEEvSM_,@function
_ZN7rocprim17ROCPRIM_400000_NS6detail17trampoline_kernelINS0_14default_configENS1_22reduce_config_selectorIN6thrust23THRUST_200600_302600_NS5tupleIllNS6_9null_typeES8_S8_S8_S8_S8_S8_S8_EEEEZNS1_11reduce_implILb0ES3_PS9_SC_S9_NS6_11hip_rocprim9__extrema9arg_max_fIllNS6_4lessIlEEEEEE10hipError_tPvRmT1_T2_T3_mT4_P12ihipStream_tbEUlT_E1_NS1_11comp_targetILNS1_3genE10ELNS1_11target_archE1200ELNS1_3gpuE4ELNS1_3repE0EEENS1_30default_config_static_selectorELNS0_4arch9wavefront6targetE1EEEvSM_: ; @_ZN7rocprim17ROCPRIM_400000_NS6detail17trampoline_kernelINS0_14default_configENS1_22reduce_config_selectorIN6thrust23THRUST_200600_302600_NS5tupleIllNS6_9null_typeES8_S8_S8_S8_S8_S8_S8_EEEEZNS1_11reduce_implILb0ES3_PS9_SC_S9_NS6_11hip_rocprim9__extrema9arg_max_fIllNS6_4lessIlEEEEEE10hipError_tPvRmT1_T2_T3_mT4_P12ihipStream_tbEUlT_E1_NS1_11comp_targetILNS1_3genE10ELNS1_11target_archE1200ELNS1_3gpuE4ELNS1_3repE0EEENS1_30default_config_static_selectorELNS0_4arch9wavefront6targetE1EEEvSM_
; %bb.0:
	.section	.rodata,"a",@progbits
	.p2align	6, 0x0
	.amdhsa_kernel _ZN7rocprim17ROCPRIM_400000_NS6detail17trampoline_kernelINS0_14default_configENS1_22reduce_config_selectorIN6thrust23THRUST_200600_302600_NS5tupleIllNS6_9null_typeES8_S8_S8_S8_S8_S8_S8_EEEEZNS1_11reduce_implILb0ES3_PS9_SC_S9_NS6_11hip_rocprim9__extrema9arg_max_fIllNS6_4lessIlEEEEEE10hipError_tPvRmT1_T2_T3_mT4_P12ihipStream_tbEUlT_E1_NS1_11comp_targetILNS1_3genE10ELNS1_11target_archE1200ELNS1_3gpuE4ELNS1_3repE0EEENS1_30default_config_static_selectorELNS0_4arch9wavefront6targetE1EEEvSM_
		.amdhsa_group_segment_fixed_size 0
		.amdhsa_private_segment_fixed_size 0
		.amdhsa_kernarg_size 56
		.amdhsa_user_sgpr_count 6
		.amdhsa_user_sgpr_private_segment_buffer 1
		.amdhsa_user_sgpr_dispatch_ptr 0
		.amdhsa_user_sgpr_queue_ptr 0
		.amdhsa_user_sgpr_kernarg_segment_ptr 1
		.amdhsa_user_sgpr_dispatch_id 0
		.amdhsa_user_sgpr_flat_scratch_init 0
		.amdhsa_user_sgpr_kernarg_preload_length 0
		.amdhsa_user_sgpr_kernarg_preload_offset 0
		.amdhsa_user_sgpr_private_segment_size 0
		.amdhsa_uses_dynamic_stack 0
		.amdhsa_system_sgpr_private_segment_wavefront_offset 0
		.amdhsa_system_sgpr_workgroup_id_x 1
		.amdhsa_system_sgpr_workgroup_id_y 0
		.amdhsa_system_sgpr_workgroup_id_z 0
		.amdhsa_system_sgpr_workgroup_info 0
		.amdhsa_system_vgpr_workitem_id 0
		.amdhsa_next_free_vgpr 1
		.amdhsa_next_free_sgpr 0
		.amdhsa_accum_offset 4
		.amdhsa_reserve_vcc 0
		.amdhsa_reserve_flat_scratch 0
		.amdhsa_float_round_mode_32 0
		.amdhsa_float_round_mode_16_64 0
		.amdhsa_float_denorm_mode_32 3
		.amdhsa_float_denorm_mode_16_64 3
		.amdhsa_dx10_clamp 1
		.amdhsa_ieee_mode 1
		.amdhsa_fp16_overflow 0
		.amdhsa_tg_split 0
		.amdhsa_exception_fp_ieee_invalid_op 0
		.amdhsa_exception_fp_denorm_src 0
		.amdhsa_exception_fp_ieee_div_zero 0
		.amdhsa_exception_fp_ieee_overflow 0
		.amdhsa_exception_fp_ieee_underflow 0
		.amdhsa_exception_fp_ieee_inexact 0
		.amdhsa_exception_int_div_zero 0
	.end_amdhsa_kernel
	.section	.text._ZN7rocprim17ROCPRIM_400000_NS6detail17trampoline_kernelINS0_14default_configENS1_22reduce_config_selectorIN6thrust23THRUST_200600_302600_NS5tupleIllNS6_9null_typeES8_S8_S8_S8_S8_S8_S8_EEEEZNS1_11reduce_implILb0ES3_PS9_SC_S9_NS6_11hip_rocprim9__extrema9arg_max_fIllNS6_4lessIlEEEEEE10hipError_tPvRmT1_T2_T3_mT4_P12ihipStream_tbEUlT_E1_NS1_11comp_targetILNS1_3genE10ELNS1_11target_archE1200ELNS1_3gpuE4ELNS1_3repE0EEENS1_30default_config_static_selectorELNS0_4arch9wavefront6targetE1EEEvSM_,"axG",@progbits,_ZN7rocprim17ROCPRIM_400000_NS6detail17trampoline_kernelINS0_14default_configENS1_22reduce_config_selectorIN6thrust23THRUST_200600_302600_NS5tupleIllNS6_9null_typeES8_S8_S8_S8_S8_S8_S8_EEEEZNS1_11reduce_implILb0ES3_PS9_SC_S9_NS6_11hip_rocprim9__extrema9arg_max_fIllNS6_4lessIlEEEEEE10hipError_tPvRmT1_T2_T3_mT4_P12ihipStream_tbEUlT_E1_NS1_11comp_targetILNS1_3genE10ELNS1_11target_archE1200ELNS1_3gpuE4ELNS1_3repE0EEENS1_30default_config_static_selectorELNS0_4arch9wavefront6targetE1EEEvSM_,comdat
.Lfunc_end418:
	.size	_ZN7rocprim17ROCPRIM_400000_NS6detail17trampoline_kernelINS0_14default_configENS1_22reduce_config_selectorIN6thrust23THRUST_200600_302600_NS5tupleIllNS6_9null_typeES8_S8_S8_S8_S8_S8_S8_EEEEZNS1_11reduce_implILb0ES3_PS9_SC_S9_NS6_11hip_rocprim9__extrema9arg_max_fIllNS6_4lessIlEEEEEE10hipError_tPvRmT1_T2_T3_mT4_P12ihipStream_tbEUlT_E1_NS1_11comp_targetILNS1_3genE10ELNS1_11target_archE1200ELNS1_3gpuE4ELNS1_3repE0EEENS1_30default_config_static_selectorELNS0_4arch9wavefront6targetE1EEEvSM_, .Lfunc_end418-_ZN7rocprim17ROCPRIM_400000_NS6detail17trampoline_kernelINS0_14default_configENS1_22reduce_config_selectorIN6thrust23THRUST_200600_302600_NS5tupleIllNS6_9null_typeES8_S8_S8_S8_S8_S8_S8_EEEEZNS1_11reduce_implILb0ES3_PS9_SC_S9_NS6_11hip_rocprim9__extrema9arg_max_fIllNS6_4lessIlEEEEEE10hipError_tPvRmT1_T2_T3_mT4_P12ihipStream_tbEUlT_E1_NS1_11comp_targetILNS1_3genE10ELNS1_11target_archE1200ELNS1_3gpuE4ELNS1_3repE0EEENS1_30default_config_static_selectorELNS0_4arch9wavefront6targetE1EEEvSM_
                                        ; -- End function
	.section	.AMDGPU.csdata,"",@progbits
; Kernel info:
; codeLenInByte = 0
; NumSgprs: 4
; NumVgprs: 0
; NumAgprs: 0
; TotalNumVgprs: 0
; ScratchSize: 0
; MemoryBound: 0
; FloatMode: 240
; IeeeMode: 1
; LDSByteSize: 0 bytes/workgroup (compile time only)
; SGPRBlocks: 0
; VGPRBlocks: 0
; NumSGPRsForWavesPerEU: 4
; NumVGPRsForWavesPerEU: 1
; AccumOffset: 4
; Occupancy: 8
; WaveLimiterHint : 0
; COMPUTE_PGM_RSRC2:SCRATCH_EN: 0
; COMPUTE_PGM_RSRC2:USER_SGPR: 6
; COMPUTE_PGM_RSRC2:TRAP_HANDLER: 0
; COMPUTE_PGM_RSRC2:TGID_X_EN: 1
; COMPUTE_PGM_RSRC2:TGID_Y_EN: 0
; COMPUTE_PGM_RSRC2:TGID_Z_EN: 0
; COMPUTE_PGM_RSRC2:TIDIG_COMP_CNT: 0
; COMPUTE_PGM_RSRC3_GFX90A:ACCUM_OFFSET: 0
; COMPUTE_PGM_RSRC3_GFX90A:TG_SPLIT: 0
	.section	.text._ZN7rocprim17ROCPRIM_400000_NS6detail17trampoline_kernelINS0_14default_configENS1_22reduce_config_selectorIN6thrust23THRUST_200600_302600_NS5tupleIllNS6_9null_typeES8_S8_S8_S8_S8_S8_S8_EEEEZNS1_11reduce_implILb0ES3_PS9_SC_S9_NS6_11hip_rocprim9__extrema9arg_max_fIllNS6_4lessIlEEEEEE10hipError_tPvRmT1_T2_T3_mT4_P12ihipStream_tbEUlT_E1_NS1_11comp_targetILNS1_3genE9ELNS1_11target_archE1100ELNS1_3gpuE3ELNS1_3repE0EEENS1_30default_config_static_selectorELNS0_4arch9wavefront6targetE1EEEvSM_,"axG",@progbits,_ZN7rocprim17ROCPRIM_400000_NS6detail17trampoline_kernelINS0_14default_configENS1_22reduce_config_selectorIN6thrust23THRUST_200600_302600_NS5tupleIllNS6_9null_typeES8_S8_S8_S8_S8_S8_S8_EEEEZNS1_11reduce_implILb0ES3_PS9_SC_S9_NS6_11hip_rocprim9__extrema9arg_max_fIllNS6_4lessIlEEEEEE10hipError_tPvRmT1_T2_T3_mT4_P12ihipStream_tbEUlT_E1_NS1_11comp_targetILNS1_3genE9ELNS1_11target_archE1100ELNS1_3gpuE3ELNS1_3repE0EEENS1_30default_config_static_selectorELNS0_4arch9wavefront6targetE1EEEvSM_,comdat
	.protected	_ZN7rocprim17ROCPRIM_400000_NS6detail17trampoline_kernelINS0_14default_configENS1_22reduce_config_selectorIN6thrust23THRUST_200600_302600_NS5tupleIllNS6_9null_typeES8_S8_S8_S8_S8_S8_S8_EEEEZNS1_11reduce_implILb0ES3_PS9_SC_S9_NS6_11hip_rocprim9__extrema9arg_max_fIllNS6_4lessIlEEEEEE10hipError_tPvRmT1_T2_T3_mT4_P12ihipStream_tbEUlT_E1_NS1_11comp_targetILNS1_3genE9ELNS1_11target_archE1100ELNS1_3gpuE3ELNS1_3repE0EEENS1_30default_config_static_selectorELNS0_4arch9wavefront6targetE1EEEvSM_ ; -- Begin function _ZN7rocprim17ROCPRIM_400000_NS6detail17trampoline_kernelINS0_14default_configENS1_22reduce_config_selectorIN6thrust23THRUST_200600_302600_NS5tupleIllNS6_9null_typeES8_S8_S8_S8_S8_S8_S8_EEEEZNS1_11reduce_implILb0ES3_PS9_SC_S9_NS6_11hip_rocprim9__extrema9arg_max_fIllNS6_4lessIlEEEEEE10hipError_tPvRmT1_T2_T3_mT4_P12ihipStream_tbEUlT_E1_NS1_11comp_targetILNS1_3genE9ELNS1_11target_archE1100ELNS1_3gpuE3ELNS1_3repE0EEENS1_30default_config_static_selectorELNS0_4arch9wavefront6targetE1EEEvSM_
	.globl	_ZN7rocprim17ROCPRIM_400000_NS6detail17trampoline_kernelINS0_14default_configENS1_22reduce_config_selectorIN6thrust23THRUST_200600_302600_NS5tupleIllNS6_9null_typeES8_S8_S8_S8_S8_S8_S8_EEEEZNS1_11reduce_implILb0ES3_PS9_SC_S9_NS6_11hip_rocprim9__extrema9arg_max_fIllNS6_4lessIlEEEEEE10hipError_tPvRmT1_T2_T3_mT4_P12ihipStream_tbEUlT_E1_NS1_11comp_targetILNS1_3genE9ELNS1_11target_archE1100ELNS1_3gpuE3ELNS1_3repE0EEENS1_30default_config_static_selectorELNS0_4arch9wavefront6targetE1EEEvSM_
	.p2align	8
	.type	_ZN7rocprim17ROCPRIM_400000_NS6detail17trampoline_kernelINS0_14default_configENS1_22reduce_config_selectorIN6thrust23THRUST_200600_302600_NS5tupleIllNS6_9null_typeES8_S8_S8_S8_S8_S8_S8_EEEEZNS1_11reduce_implILb0ES3_PS9_SC_S9_NS6_11hip_rocprim9__extrema9arg_max_fIllNS6_4lessIlEEEEEE10hipError_tPvRmT1_T2_T3_mT4_P12ihipStream_tbEUlT_E1_NS1_11comp_targetILNS1_3genE9ELNS1_11target_archE1100ELNS1_3gpuE3ELNS1_3repE0EEENS1_30default_config_static_selectorELNS0_4arch9wavefront6targetE1EEEvSM_,@function
_ZN7rocprim17ROCPRIM_400000_NS6detail17trampoline_kernelINS0_14default_configENS1_22reduce_config_selectorIN6thrust23THRUST_200600_302600_NS5tupleIllNS6_9null_typeES8_S8_S8_S8_S8_S8_S8_EEEEZNS1_11reduce_implILb0ES3_PS9_SC_S9_NS6_11hip_rocprim9__extrema9arg_max_fIllNS6_4lessIlEEEEEE10hipError_tPvRmT1_T2_T3_mT4_P12ihipStream_tbEUlT_E1_NS1_11comp_targetILNS1_3genE9ELNS1_11target_archE1100ELNS1_3gpuE3ELNS1_3repE0EEENS1_30default_config_static_selectorELNS0_4arch9wavefront6targetE1EEEvSM_: ; @_ZN7rocprim17ROCPRIM_400000_NS6detail17trampoline_kernelINS0_14default_configENS1_22reduce_config_selectorIN6thrust23THRUST_200600_302600_NS5tupleIllNS6_9null_typeES8_S8_S8_S8_S8_S8_S8_EEEEZNS1_11reduce_implILb0ES3_PS9_SC_S9_NS6_11hip_rocprim9__extrema9arg_max_fIllNS6_4lessIlEEEEEE10hipError_tPvRmT1_T2_T3_mT4_P12ihipStream_tbEUlT_E1_NS1_11comp_targetILNS1_3genE9ELNS1_11target_archE1100ELNS1_3gpuE3ELNS1_3repE0EEENS1_30default_config_static_selectorELNS0_4arch9wavefront6targetE1EEEvSM_
; %bb.0:
	.section	.rodata,"a",@progbits
	.p2align	6, 0x0
	.amdhsa_kernel _ZN7rocprim17ROCPRIM_400000_NS6detail17trampoline_kernelINS0_14default_configENS1_22reduce_config_selectorIN6thrust23THRUST_200600_302600_NS5tupleIllNS6_9null_typeES8_S8_S8_S8_S8_S8_S8_EEEEZNS1_11reduce_implILb0ES3_PS9_SC_S9_NS6_11hip_rocprim9__extrema9arg_max_fIllNS6_4lessIlEEEEEE10hipError_tPvRmT1_T2_T3_mT4_P12ihipStream_tbEUlT_E1_NS1_11comp_targetILNS1_3genE9ELNS1_11target_archE1100ELNS1_3gpuE3ELNS1_3repE0EEENS1_30default_config_static_selectorELNS0_4arch9wavefront6targetE1EEEvSM_
		.amdhsa_group_segment_fixed_size 0
		.amdhsa_private_segment_fixed_size 0
		.amdhsa_kernarg_size 56
		.amdhsa_user_sgpr_count 6
		.amdhsa_user_sgpr_private_segment_buffer 1
		.amdhsa_user_sgpr_dispatch_ptr 0
		.amdhsa_user_sgpr_queue_ptr 0
		.amdhsa_user_sgpr_kernarg_segment_ptr 1
		.amdhsa_user_sgpr_dispatch_id 0
		.amdhsa_user_sgpr_flat_scratch_init 0
		.amdhsa_user_sgpr_kernarg_preload_length 0
		.amdhsa_user_sgpr_kernarg_preload_offset 0
		.amdhsa_user_sgpr_private_segment_size 0
		.amdhsa_uses_dynamic_stack 0
		.amdhsa_system_sgpr_private_segment_wavefront_offset 0
		.amdhsa_system_sgpr_workgroup_id_x 1
		.amdhsa_system_sgpr_workgroup_id_y 0
		.amdhsa_system_sgpr_workgroup_id_z 0
		.amdhsa_system_sgpr_workgroup_info 0
		.amdhsa_system_vgpr_workitem_id 0
		.amdhsa_next_free_vgpr 1
		.amdhsa_next_free_sgpr 0
		.amdhsa_accum_offset 4
		.amdhsa_reserve_vcc 0
		.amdhsa_reserve_flat_scratch 0
		.amdhsa_float_round_mode_32 0
		.amdhsa_float_round_mode_16_64 0
		.amdhsa_float_denorm_mode_32 3
		.amdhsa_float_denorm_mode_16_64 3
		.amdhsa_dx10_clamp 1
		.amdhsa_ieee_mode 1
		.amdhsa_fp16_overflow 0
		.amdhsa_tg_split 0
		.amdhsa_exception_fp_ieee_invalid_op 0
		.amdhsa_exception_fp_denorm_src 0
		.amdhsa_exception_fp_ieee_div_zero 0
		.amdhsa_exception_fp_ieee_overflow 0
		.amdhsa_exception_fp_ieee_underflow 0
		.amdhsa_exception_fp_ieee_inexact 0
		.amdhsa_exception_int_div_zero 0
	.end_amdhsa_kernel
	.section	.text._ZN7rocprim17ROCPRIM_400000_NS6detail17trampoline_kernelINS0_14default_configENS1_22reduce_config_selectorIN6thrust23THRUST_200600_302600_NS5tupleIllNS6_9null_typeES8_S8_S8_S8_S8_S8_S8_EEEEZNS1_11reduce_implILb0ES3_PS9_SC_S9_NS6_11hip_rocprim9__extrema9arg_max_fIllNS6_4lessIlEEEEEE10hipError_tPvRmT1_T2_T3_mT4_P12ihipStream_tbEUlT_E1_NS1_11comp_targetILNS1_3genE9ELNS1_11target_archE1100ELNS1_3gpuE3ELNS1_3repE0EEENS1_30default_config_static_selectorELNS0_4arch9wavefront6targetE1EEEvSM_,"axG",@progbits,_ZN7rocprim17ROCPRIM_400000_NS6detail17trampoline_kernelINS0_14default_configENS1_22reduce_config_selectorIN6thrust23THRUST_200600_302600_NS5tupleIllNS6_9null_typeES8_S8_S8_S8_S8_S8_S8_EEEEZNS1_11reduce_implILb0ES3_PS9_SC_S9_NS6_11hip_rocprim9__extrema9arg_max_fIllNS6_4lessIlEEEEEE10hipError_tPvRmT1_T2_T3_mT4_P12ihipStream_tbEUlT_E1_NS1_11comp_targetILNS1_3genE9ELNS1_11target_archE1100ELNS1_3gpuE3ELNS1_3repE0EEENS1_30default_config_static_selectorELNS0_4arch9wavefront6targetE1EEEvSM_,comdat
.Lfunc_end419:
	.size	_ZN7rocprim17ROCPRIM_400000_NS6detail17trampoline_kernelINS0_14default_configENS1_22reduce_config_selectorIN6thrust23THRUST_200600_302600_NS5tupleIllNS6_9null_typeES8_S8_S8_S8_S8_S8_S8_EEEEZNS1_11reduce_implILb0ES3_PS9_SC_S9_NS6_11hip_rocprim9__extrema9arg_max_fIllNS6_4lessIlEEEEEE10hipError_tPvRmT1_T2_T3_mT4_P12ihipStream_tbEUlT_E1_NS1_11comp_targetILNS1_3genE9ELNS1_11target_archE1100ELNS1_3gpuE3ELNS1_3repE0EEENS1_30default_config_static_selectorELNS0_4arch9wavefront6targetE1EEEvSM_, .Lfunc_end419-_ZN7rocprim17ROCPRIM_400000_NS6detail17trampoline_kernelINS0_14default_configENS1_22reduce_config_selectorIN6thrust23THRUST_200600_302600_NS5tupleIllNS6_9null_typeES8_S8_S8_S8_S8_S8_S8_EEEEZNS1_11reduce_implILb0ES3_PS9_SC_S9_NS6_11hip_rocprim9__extrema9arg_max_fIllNS6_4lessIlEEEEEE10hipError_tPvRmT1_T2_T3_mT4_P12ihipStream_tbEUlT_E1_NS1_11comp_targetILNS1_3genE9ELNS1_11target_archE1100ELNS1_3gpuE3ELNS1_3repE0EEENS1_30default_config_static_selectorELNS0_4arch9wavefront6targetE1EEEvSM_
                                        ; -- End function
	.section	.AMDGPU.csdata,"",@progbits
; Kernel info:
; codeLenInByte = 0
; NumSgprs: 4
; NumVgprs: 0
; NumAgprs: 0
; TotalNumVgprs: 0
; ScratchSize: 0
; MemoryBound: 0
; FloatMode: 240
; IeeeMode: 1
; LDSByteSize: 0 bytes/workgroup (compile time only)
; SGPRBlocks: 0
; VGPRBlocks: 0
; NumSGPRsForWavesPerEU: 4
; NumVGPRsForWavesPerEU: 1
; AccumOffset: 4
; Occupancy: 8
; WaveLimiterHint : 0
; COMPUTE_PGM_RSRC2:SCRATCH_EN: 0
; COMPUTE_PGM_RSRC2:USER_SGPR: 6
; COMPUTE_PGM_RSRC2:TRAP_HANDLER: 0
; COMPUTE_PGM_RSRC2:TGID_X_EN: 1
; COMPUTE_PGM_RSRC2:TGID_Y_EN: 0
; COMPUTE_PGM_RSRC2:TGID_Z_EN: 0
; COMPUTE_PGM_RSRC2:TIDIG_COMP_CNT: 0
; COMPUTE_PGM_RSRC3_GFX90A:ACCUM_OFFSET: 0
; COMPUTE_PGM_RSRC3_GFX90A:TG_SPLIT: 0
	.section	.text._ZN7rocprim17ROCPRIM_400000_NS6detail17trampoline_kernelINS0_14default_configENS1_22reduce_config_selectorIN6thrust23THRUST_200600_302600_NS5tupleIllNS6_9null_typeES8_S8_S8_S8_S8_S8_S8_EEEEZNS1_11reduce_implILb0ES3_PS9_SC_S9_NS6_11hip_rocprim9__extrema9arg_max_fIllNS6_4lessIlEEEEEE10hipError_tPvRmT1_T2_T3_mT4_P12ihipStream_tbEUlT_E1_NS1_11comp_targetILNS1_3genE8ELNS1_11target_archE1030ELNS1_3gpuE2ELNS1_3repE0EEENS1_30default_config_static_selectorELNS0_4arch9wavefront6targetE1EEEvSM_,"axG",@progbits,_ZN7rocprim17ROCPRIM_400000_NS6detail17trampoline_kernelINS0_14default_configENS1_22reduce_config_selectorIN6thrust23THRUST_200600_302600_NS5tupleIllNS6_9null_typeES8_S8_S8_S8_S8_S8_S8_EEEEZNS1_11reduce_implILb0ES3_PS9_SC_S9_NS6_11hip_rocprim9__extrema9arg_max_fIllNS6_4lessIlEEEEEE10hipError_tPvRmT1_T2_T3_mT4_P12ihipStream_tbEUlT_E1_NS1_11comp_targetILNS1_3genE8ELNS1_11target_archE1030ELNS1_3gpuE2ELNS1_3repE0EEENS1_30default_config_static_selectorELNS0_4arch9wavefront6targetE1EEEvSM_,comdat
	.protected	_ZN7rocprim17ROCPRIM_400000_NS6detail17trampoline_kernelINS0_14default_configENS1_22reduce_config_selectorIN6thrust23THRUST_200600_302600_NS5tupleIllNS6_9null_typeES8_S8_S8_S8_S8_S8_S8_EEEEZNS1_11reduce_implILb0ES3_PS9_SC_S9_NS6_11hip_rocprim9__extrema9arg_max_fIllNS6_4lessIlEEEEEE10hipError_tPvRmT1_T2_T3_mT4_P12ihipStream_tbEUlT_E1_NS1_11comp_targetILNS1_3genE8ELNS1_11target_archE1030ELNS1_3gpuE2ELNS1_3repE0EEENS1_30default_config_static_selectorELNS0_4arch9wavefront6targetE1EEEvSM_ ; -- Begin function _ZN7rocprim17ROCPRIM_400000_NS6detail17trampoline_kernelINS0_14default_configENS1_22reduce_config_selectorIN6thrust23THRUST_200600_302600_NS5tupleIllNS6_9null_typeES8_S8_S8_S8_S8_S8_S8_EEEEZNS1_11reduce_implILb0ES3_PS9_SC_S9_NS6_11hip_rocprim9__extrema9arg_max_fIllNS6_4lessIlEEEEEE10hipError_tPvRmT1_T2_T3_mT4_P12ihipStream_tbEUlT_E1_NS1_11comp_targetILNS1_3genE8ELNS1_11target_archE1030ELNS1_3gpuE2ELNS1_3repE0EEENS1_30default_config_static_selectorELNS0_4arch9wavefront6targetE1EEEvSM_
	.globl	_ZN7rocprim17ROCPRIM_400000_NS6detail17trampoline_kernelINS0_14default_configENS1_22reduce_config_selectorIN6thrust23THRUST_200600_302600_NS5tupleIllNS6_9null_typeES8_S8_S8_S8_S8_S8_S8_EEEEZNS1_11reduce_implILb0ES3_PS9_SC_S9_NS6_11hip_rocprim9__extrema9arg_max_fIllNS6_4lessIlEEEEEE10hipError_tPvRmT1_T2_T3_mT4_P12ihipStream_tbEUlT_E1_NS1_11comp_targetILNS1_3genE8ELNS1_11target_archE1030ELNS1_3gpuE2ELNS1_3repE0EEENS1_30default_config_static_selectorELNS0_4arch9wavefront6targetE1EEEvSM_
	.p2align	8
	.type	_ZN7rocprim17ROCPRIM_400000_NS6detail17trampoline_kernelINS0_14default_configENS1_22reduce_config_selectorIN6thrust23THRUST_200600_302600_NS5tupleIllNS6_9null_typeES8_S8_S8_S8_S8_S8_S8_EEEEZNS1_11reduce_implILb0ES3_PS9_SC_S9_NS6_11hip_rocprim9__extrema9arg_max_fIllNS6_4lessIlEEEEEE10hipError_tPvRmT1_T2_T3_mT4_P12ihipStream_tbEUlT_E1_NS1_11comp_targetILNS1_3genE8ELNS1_11target_archE1030ELNS1_3gpuE2ELNS1_3repE0EEENS1_30default_config_static_selectorELNS0_4arch9wavefront6targetE1EEEvSM_,@function
_ZN7rocprim17ROCPRIM_400000_NS6detail17trampoline_kernelINS0_14default_configENS1_22reduce_config_selectorIN6thrust23THRUST_200600_302600_NS5tupleIllNS6_9null_typeES8_S8_S8_S8_S8_S8_S8_EEEEZNS1_11reduce_implILb0ES3_PS9_SC_S9_NS6_11hip_rocprim9__extrema9arg_max_fIllNS6_4lessIlEEEEEE10hipError_tPvRmT1_T2_T3_mT4_P12ihipStream_tbEUlT_E1_NS1_11comp_targetILNS1_3genE8ELNS1_11target_archE1030ELNS1_3gpuE2ELNS1_3repE0EEENS1_30default_config_static_selectorELNS0_4arch9wavefront6targetE1EEEvSM_: ; @_ZN7rocprim17ROCPRIM_400000_NS6detail17trampoline_kernelINS0_14default_configENS1_22reduce_config_selectorIN6thrust23THRUST_200600_302600_NS5tupleIllNS6_9null_typeES8_S8_S8_S8_S8_S8_S8_EEEEZNS1_11reduce_implILb0ES3_PS9_SC_S9_NS6_11hip_rocprim9__extrema9arg_max_fIllNS6_4lessIlEEEEEE10hipError_tPvRmT1_T2_T3_mT4_P12ihipStream_tbEUlT_E1_NS1_11comp_targetILNS1_3genE8ELNS1_11target_archE1030ELNS1_3gpuE2ELNS1_3repE0EEENS1_30default_config_static_selectorELNS0_4arch9wavefront6targetE1EEEvSM_
; %bb.0:
	.section	.rodata,"a",@progbits
	.p2align	6, 0x0
	.amdhsa_kernel _ZN7rocprim17ROCPRIM_400000_NS6detail17trampoline_kernelINS0_14default_configENS1_22reduce_config_selectorIN6thrust23THRUST_200600_302600_NS5tupleIllNS6_9null_typeES8_S8_S8_S8_S8_S8_S8_EEEEZNS1_11reduce_implILb0ES3_PS9_SC_S9_NS6_11hip_rocprim9__extrema9arg_max_fIllNS6_4lessIlEEEEEE10hipError_tPvRmT1_T2_T3_mT4_P12ihipStream_tbEUlT_E1_NS1_11comp_targetILNS1_3genE8ELNS1_11target_archE1030ELNS1_3gpuE2ELNS1_3repE0EEENS1_30default_config_static_selectorELNS0_4arch9wavefront6targetE1EEEvSM_
		.amdhsa_group_segment_fixed_size 0
		.amdhsa_private_segment_fixed_size 0
		.amdhsa_kernarg_size 56
		.amdhsa_user_sgpr_count 6
		.amdhsa_user_sgpr_private_segment_buffer 1
		.amdhsa_user_sgpr_dispatch_ptr 0
		.amdhsa_user_sgpr_queue_ptr 0
		.amdhsa_user_sgpr_kernarg_segment_ptr 1
		.amdhsa_user_sgpr_dispatch_id 0
		.amdhsa_user_sgpr_flat_scratch_init 0
		.amdhsa_user_sgpr_kernarg_preload_length 0
		.amdhsa_user_sgpr_kernarg_preload_offset 0
		.amdhsa_user_sgpr_private_segment_size 0
		.amdhsa_uses_dynamic_stack 0
		.amdhsa_system_sgpr_private_segment_wavefront_offset 0
		.amdhsa_system_sgpr_workgroup_id_x 1
		.amdhsa_system_sgpr_workgroup_id_y 0
		.amdhsa_system_sgpr_workgroup_id_z 0
		.amdhsa_system_sgpr_workgroup_info 0
		.amdhsa_system_vgpr_workitem_id 0
		.amdhsa_next_free_vgpr 1
		.amdhsa_next_free_sgpr 0
		.amdhsa_accum_offset 4
		.amdhsa_reserve_vcc 0
		.amdhsa_reserve_flat_scratch 0
		.amdhsa_float_round_mode_32 0
		.amdhsa_float_round_mode_16_64 0
		.amdhsa_float_denorm_mode_32 3
		.amdhsa_float_denorm_mode_16_64 3
		.amdhsa_dx10_clamp 1
		.amdhsa_ieee_mode 1
		.amdhsa_fp16_overflow 0
		.amdhsa_tg_split 0
		.amdhsa_exception_fp_ieee_invalid_op 0
		.amdhsa_exception_fp_denorm_src 0
		.amdhsa_exception_fp_ieee_div_zero 0
		.amdhsa_exception_fp_ieee_overflow 0
		.amdhsa_exception_fp_ieee_underflow 0
		.amdhsa_exception_fp_ieee_inexact 0
		.amdhsa_exception_int_div_zero 0
	.end_amdhsa_kernel
	.section	.text._ZN7rocprim17ROCPRIM_400000_NS6detail17trampoline_kernelINS0_14default_configENS1_22reduce_config_selectorIN6thrust23THRUST_200600_302600_NS5tupleIllNS6_9null_typeES8_S8_S8_S8_S8_S8_S8_EEEEZNS1_11reduce_implILb0ES3_PS9_SC_S9_NS6_11hip_rocprim9__extrema9arg_max_fIllNS6_4lessIlEEEEEE10hipError_tPvRmT1_T2_T3_mT4_P12ihipStream_tbEUlT_E1_NS1_11comp_targetILNS1_3genE8ELNS1_11target_archE1030ELNS1_3gpuE2ELNS1_3repE0EEENS1_30default_config_static_selectorELNS0_4arch9wavefront6targetE1EEEvSM_,"axG",@progbits,_ZN7rocprim17ROCPRIM_400000_NS6detail17trampoline_kernelINS0_14default_configENS1_22reduce_config_selectorIN6thrust23THRUST_200600_302600_NS5tupleIllNS6_9null_typeES8_S8_S8_S8_S8_S8_S8_EEEEZNS1_11reduce_implILb0ES3_PS9_SC_S9_NS6_11hip_rocprim9__extrema9arg_max_fIllNS6_4lessIlEEEEEE10hipError_tPvRmT1_T2_T3_mT4_P12ihipStream_tbEUlT_E1_NS1_11comp_targetILNS1_3genE8ELNS1_11target_archE1030ELNS1_3gpuE2ELNS1_3repE0EEENS1_30default_config_static_selectorELNS0_4arch9wavefront6targetE1EEEvSM_,comdat
.Lfunc_end420:
	.size	_ZN7rocprim17ROCPRIM_400000_NS6detail17trampoline_kernelINS0_14default_configENS1_22reduce_config_selectorIN6thrust23THRUST_200600_302600_NS5tupleIllNS6_9null_typeES8_S8_S8_S8_S8_S8_S8_EEEEZNS1_11reduce_implILb0ES3_PS9_SC_S9_NS6_11hip_rocprim9__extrema9arg_max_fIllNS6_4lessIlEEEEEE10hipError_tPvRmT1_T2_T3_mT4_P12ihipStream_tbEUlT_E1_NS1_11comp_targetILNS1_3genE8ELNS1_11target_archE1030ELNS1_3gpuE2ELNS1_3repE0EEENS1_30default_config_static_selectorELNS0_4arch9wavefront6targetE1EEEvSM_, .Lfunc_end420-_ZN7rocprim17ROCPRIM_400000_NS6detail17trampoline_kernelINS0_14default_configENS1_22reduce_config_selectorIN6thrust23THRUST_200600_302600_NS5tupleIllNS6_9null_typeES8_S8_S8_S8_S8_S8_S8_EEEEZNS1_11reduce_implILb0ES3_PS9_SC_S9_NS6_11hip_rocprim9__extrema9arg_max_fIllNS6_4lessIlEEEEEE10hipError_tPvRmT1_T2_T3_mT4_P12ihipStream_tbEUlT_E1_NS1_11comp_targetILNS1_3genE8ELNS1_11target_archE1030ELNS1_3gpuE2ELNS1_3repE0EEENS1_30default_config_static_selectorELNS0_4arch9wavefront6targetE1EEEvSM_
                                        ; -- End function
	.section	.AMDGPU.csdata,"",@progbits
; Kernel info:
; codeLenInByte = 0
; NumSgprs: 4
; NumVgprs: 0
; NumAgprs: 0
; TotalNumVgprs: 0
; ScratchSize: 0
; MemoryBound: 0
; FloatMode: 240
; IeeeMode: 1
; LDSByteSize: 0 bytes/workgroup (compile time only)
; SGPRBlocks: 0
; VGPRBlocks: 0
; NumSGPRsForWavesPerEU: 4
; NumVGPRsForWavesPerEU: 1
; AccumOffset: 4
; Occupancy: 8
; WaveLimiterHint : 0
; COMPUTE_PGM_RSRC2:SCRATCH_EN: 0
; COMPUTE_PGM_RSRC2:USER_SGPR: 6
; COMPUTE_PGM_RSRC2:TRAP_HANDLER: 0
; COMPUTE_PGM_RSRC2:TGID_X_EN: 1
; COMPUTE_PGM_RSRC2:TGID_Y_EN: 0
; COMPUTE_PGM_RSRC2:TGID_Z_EN: 0
; COMPUTE_PGM_RSRC2:TIDIG_COMP_CNT: 0
; COMPUTE_PGM_RSRC3_GFX90A:ACCUM_OFFSET: 0
; COMPUTE_PGM_RSRC3_GFX90A:TG_SPLIT: 0
	.section	.text._ZN7rocprim17ROCPRIM_400000_NS6detail17trampoline_kernelINS0_14default_configENS1_22reduce_config_selectorIN6thrust23THRUST_200600_302600_NS5tupleIllNS6_9null_typeES8_S8_S8_S8_S8_S8_S8_EEEEZNS1_11reduce_implILb0ES3_NS6_12zip_iteratorINS7_INS6_10device_ptrIlEENS6_11hip_rocprim19counting_iterator_tIlEES8_S8_S8_S8_S8_S8_S8_S8_EEEEPS9_S9_NSF_9__extrema9arg_max_fIllNS6_4lessIlEEEEEE10hipError_tPvRmT1_T2_T3_mT4_P12ihipStream_tbEUlT_E0_NS1_11comp_targetILNS1_3genE0ELNS1_11target_archE4294967295ELNS1_3gpuE0ELNS1_3repE0EEENS1_30default_config_static_selectorELNS0_4arch9wavefront6targetE1EEEvST_,"axG",@progbits,_ZN7rocprim17ROCPRIM_400000_NS6detail17trampoline_kernelINS0_14default_configENS1_22reduce_config_selectorIN6thrust23THRUST_200600_302600_NS5tupleIllNS6_9null_typeES8_S8_S8_S8_S8_S8_S8_EEEEZNS1_11reduce_implILb0ES3_NS6_12zip_iteratorINS7_INS6_10device_ptrIlEENS6_11hip_rocprim19counting_iterator_tIlEES8_S8_S8_S8_S8_S8_S8_S8_EEEEPS9_S9_NSF_9__extrema9arg_max_fIllNS6_4lessIlEEEEEE10hipError_tPvRmT1_T2_T3_mT4_P12ihipStream_tbEUlT_E0_NS1_11comp_targetILNS1_3genE0ELNS1_11target_archE4294967295ELNS1_3gpuE0ELNS1_3repE0EEENS1_30default_config_static_selectorELNS0_4arch9wavefront6targetE1EEEvST_,comdat
	.protected	_ZN7rocprim17ROCPRIM_400000_NS6detail17trampoline_kernelINS0_14default_configENS1_22reduce_config_selectorIN6thrust23THRUST_200600_302600_NS5tupleIllNS6_9null_typeES8_S8_S8_S8_S8_S8_S8_EEEEZNS1_11reduce_implILb0ES3_NS6_12zip_iteratorINS7_INS6_10device_ptrIlEENS6_11hip_rocprim19counting_iterator_tIlEES8_S8_S8_S8_S8_S8_S8_S8_EEEEPS9_S9_NSF_9__extrema9arg_max_fIllNS6_4lessIlEEEEEE10hipError_tPvRmT1_T2_T3_mT4_P12ihipStream_tbEUlT_E0_NS1_11comp_targetILNS1_3genE0ELNS1_11target_archE4294967295ELNS1_3gpuE0ELNS1_3repE0EEENS1_30default_config_static_selectorELNS0_4arch9wavefront6targetE1EEEvST_ ; -- Begin function _ZN7rocprim17ROCPRIM_400000_NS6detail17trampoline_kernelINS0_14default_configENS1_22reduce_config_selectorIN6thrust23THRUST_200600_302600_NS5tupleIllNS6_9null_typeES8_S8_S8_S8_S8_S8_S8_EEEEZNS1_11reduce_implILb0ES3_NS6_12zip_iteratorINS7_INS6_10device_ptrIlEENS6_11hip_rocprim19counting_iterator_tIlEES8_S8_S8_S8_S8_S8_S8_S8_EEEEPS9_S9_NSF_9__extrema9arg_max_fIllNS6_4lessIlEEEEEE10hipError_tPvRmT1_T2_T3_mT4_P12ihipStream_tbEUlT_E0_NS1_11comp_targetILNS1_3genE0ELNS1_11target_archE4294967295ELNS1_3gpuE0ELNS1_3repE0EEENS1_30default_config_static_selectorELNS0_4arch9wavefront6targetE1EEEvST_
	.globl	_ZN7rocprim17ROCPRIM_400000_NS6detail17trampoline_kernelINS0_14default_configENS1_22reduce_config_selectorIN6thrust23THRUST_200600_302600_NS5tupleIllNS6_9null_typeES8_S8_S8_S8_S8_S8_S8_EEEEZNS1_11reduce_implILb0ES3_NS6_12zip_iteratorINS7_INS6_10device_ptrIlEENS6_11hip_rocprim19counting_iterator_tIlEES8_S8_S8_S8_S8_S8_S8_S8_EEEEPS9_S9_NSF_9__extrema9arg_max_fIllNS6_4lessIlEEEEEE10hipError_tPvRmT1_T2_T3_mT4_P12ihipStream_tbEUlT_E0_NS1_11comp_targetILNS1_3genE0ELNS1_11target_archE4294967295ELNS1_3gpuE0ELNS1_3repE0EEENS1_30default_config_static_selectorELNS0_4arch9wavefront6targetE1EEEvST_
	.p2align	8
	.type	_ZN7rocprim17ROCPRIM_400000_NS6detail17trampoline_kernelINS0_14default_configENS1_22reduce_config_selectorIN6thrust23THRUST_200600_302600_NS5tupleIllNS6_9null_typeES8_S8_S8_S8_S8_S8_S8_EEEEZNS1_11reduce_implILb0ES3_NS6_12zip_iteratorINS7_INS6_10device_ptrIlEENS6_11hip_rocprim19counting_iterator_tIlEES8_S8_S8_S8_S8_S8_S8_S8_EEEEPS9_S9_NSF_9__extrema9arg_max_fIllNS6_4lessIlEEEEEE10hipError_tPvRmT1_T2_T3_mT4_P12ihipStream_tbEUlT_E0_NS1_11comp_targetILNS1_3genE0ELNS1_11target_archE4294967295ELNS1_3gpuE0ELNS1_3repE0EEENS1_30default_config_static_selectorELNS0_4arch9wavefront6targetE1EEEvST_,@function
_ZN7rocprim17ROCPRIM_400000_NS6detail17trampoline_kernelINS0_14default_configENS1_22reduce_config_selectorIN6thrust23THRUST_200600_302600_NS5tupleIllNS6_9null_typeES8_S8_S8_S8_S8_S8_S8_EEEEZNS1_11reduce_implILb0ES3_NS6_12zip_iteratorINS7_INS6_10device_ptrIlEENS6_11hip_rocprim19counting_iterator_tIlEES8_S8_S8_S8_S8_S8_S8_S8_EEEEPS9_S9_NSF_9__extrema9arg_max_fIllNS6_4lessIlEEEEEE10hipError_tPvRmT1_T2_T3_mT4_P12ihipStream_tbEUlT_E0_NS1_11comp_targetILNS1_3genE0ELNS1_11target_archE4294967295ELNS1_3gpuE0ELNS1_3repE0EEENS1_30default_config_static_selectorELNS0_4arch9wavefront6targetE1EEEvST_: ; @_ZN7rocprim17ROCPRIM_400000_NS6detail17trampoline_kernelINS0_14default_configENS1_22reduce_config_selectorIN6thrust23THRUST_200600_302600_NS5tupleIllNS6_9null_typeES8_S8_S8_S8_S8_S8_S8_EEEEZNS1_11reduce_implILb0ES3_NS6_12zip_iteratorINS7_INS6_10device_ptrIlEENS6_11hip_rocprim19counting_iterator_tIlEES8_S8_S8_S8_S8_S8_S8_S8_EEEEPS9_S9_NSF_9__extrema9arg_max_fIllNS6_4lessIlEEEEEE10hipError_tPvRmT1_T2_T3_mT4_P12ihipStream_tbEUlT_E0_NS1_11comp_targetILNS1_3genE0ELNS1_11target_archE4294967295ELNS1_3gpuE0ELNS1_3repE0EEENS1_30default_config_static_selectorELNS0_4arch9wavefront6targetE1EEEvST_
; %bb.0:
	.section	.rodata,"a",@progbits
	.p2align	6, 0x0
	.amdhsa_kernel _ZN7rocprim17ROCPRIM_400000_NS6detail17trampoline_kernelINS0_14default_configENS1_22reduce_config_selectorIN6thrust23THRUST_200600_302600_NS5tupleIllNS6_9null_typeES8_S8_S8_S8_S8_S8_S8_EEEEZNS1_11reduce_implILb0ES3_NS6_12zip_iteratorINS7_INS6_10device_ptrIlEENS6_11hip_rocprim19counting_iterator_tIlEES8_S8_S8_S8_S8_S8_S8_S8_EEEEPS9_S9_NSF_9__extrema9arg_max_fIllNS6_4lessIlEEEEEE10hipError_tPvRmT1_T2_T3_mT4_P12ihipStream_tbEUlT_E0_NS1_11comp_targetILNS1_3genE0ELNS1_11target_archE4294967295ELNS1_3gpuE0ELNS1_3repE0EEENS1_30default_config_static_selectorELNS0_4arch9wavefront6targetE1EEEvST_
		.amdhsa_group_segment_fixed_size 0
		.amdhsa_private_segment_fixed_size 0
		.amdhsa_kernarg_size 80
		.amdhsa_user_sgpr_count 6
		.amdhsa_user_sgpr_private_segment_buffer 1
		.amdhsa_user_sgpr_dispatch_ptr 0
		.amdhsa_user_sgpr_queue_ptr 0
		.amdhsa_user_sgpr_kernarg_segment_ptr 1
		.amdhsa_user_sgpr_dispatch_id 0
		.amdhsa_user_sgpr_flat_scratch_init 0
		.amdhsa_user_sgpr_kernarg_preload_length 0
		.amdhsa_user_sgpr_kernarg_preload_offset 0
		.amdhsa_user_sgpr_private_segment_size 0
		.amdhsa_uses_dynamic_stack 0
		.amdhsa_system_sgpr_private_segment_wavefront_offset 0
		.amdhsa_system_sgpr_workgroup_id_x 1
		.amdhsa_system_sgpr_workgroup_id_y 0
		.amdhsa_system_sgpr_workgroup_id_z 0
		.amdhsa_system_sgpr_workgroup_info 0
		.amdhsa_system_vgpr_workitem_id 0
		.amdhsa_next_free_vgpr 1
		.amdhsa_next_free_sgpr 0
		.amdhsa_accum_offset 4
		.amdhsa_reserve_vcc 0
		.amdhsa_reserve_flat_scratch 0
		.amdhsa_float_round_mode_32 0
		.amdhsa_float_round_mode_16_64 0
		.amdhsa_float_denorm_mode_32 3
		.amdhsa_float_denorm_mode_16_64 3
		.amdhsa_dx10_clamp 1
		.amdhsa_ieee_mode 1
		.amdhsa_fp16_overflow 0
		.amdhsa_tg_split 0
		.amdhsa_exception_fp_ieee_invalid_op 0
		.amdhsa_exception_fp_denorm_src 0
		.amdhsa_exception_fp_ieee_div_zero 0
		.amdhsa_exception_fp_ieee_overflow 0
		.amdhsa_exception_fp_ieee_underflow 0
		.amdhsa_exception_fp_ieee_inexact 0
		.amdhsa_exception_int_div_zero 0
	.end_amdhsa_kernel
	.section	.text._ZN7rocprim17ROCPRIM_400000_NS6detail17trampoline_kernelINS0_14default_configENS1_22reduce_config_selectorIN6thrust23THRUST_200600_302600_NS5tupleIllNS6_9null_typeES8_S8_S8_S8_S8_S8_S8_EEEEZNS1_11reduce_implILb0ES3_NS6_12zip_iteratorINS7_INS6_10device_ptrIlEENS6_11hip_rocprim19counting_iterator_tIlEES8_S8_S8_S8_S8_S8_S8_S8_EEEEPS9_S9_NSF_9__extrema9arg_max_fIllNS6_4lessIlEEEEEE10hipError_tPvRmT1_T2_T3_mT4_P12ihipStream_tbEUlT_E0_NS1_11comp_targetILNS1_3genE0ELNS1_11target_archE4294967295ELNS1_3gpuE0ELNS1_3repE0EEENS1_30default_config_static_selectorELNS0_4arch9wavefront6targetE1EEEvST_,"axG",@progbits,_ZN7rocprim17ROCPRIM_400000_NS6detail17trampoline_kernelINS0_14default_configENS1_22reduce_config_selectorIN6thrust23THRUST_200600_302600_NS5tupleIllNS6_9null_typeES8_S8_S8_S8_S8_S8_S8_EEEEZNS1_11reduce_implILb0ES3_NS6_12zip_iteratorINS7_INS6_10device_ptrIlEENS6_11hip_rocprim19counting_iterator_tIlEES8_S8_S8_S8_S8_S8_S8_S8_EEEEPS9_S9_NSF_9__extrema9arg_max_fIllNS6_4lessIlEEEEEE10hipError_tPvRmT1_T2_T3_mT4_P12ihipStream_tbEUlT_E0_NS1_11comp_targetILNS1_3genE0ELNS1_11target_archE4294967295ELNS1_3gpuE0ELNS1_3repE0EEENS1_30default_config_static_selectorELNS0_4arch9wavefront6targetE1EEEvST_,comdat
.Lfunc_end421:
	.size	_ZN7rocprim17ROCPRIM_400000_NS6detail17trampoline_kernelINS0_14default_configENS1_22reduce_config_selectorIN6thrust23THRUST_200600_302600_NS5tupleIllNS6_9null_typeES8_S8_S8_S8_S8_S8_S8_EEEEZNS1_11reduce_implILb0ES3_NS6_12zip_iteratorINS7_INS6_10device_ptrIlEENS6_11hip_rocprim19counting_iterator_tIlEES8_S8_S8_S8_S8_S8_S8_S8_EEEEPS9_S9_NSF_9__extrema9arg_max_fIllNS6_4lessIlEEEEEE10hipError_tPvRmT1_T2_T3_mT4_P12ihipStream_tbEUlT_E0_NS1_11comp_targetILNS1_3genE0ELNS1_11target_archE4294967295ELNS1_3gpuE0ELNS1_3repE0EEENS1_30default_config_static_selectorELNS0_4arch9wavefront6targetE1EEEvST_, .Lfunc_end421-_ZN7rocprim17ROCPRIM_400000_NS6detail17trampoline_kernelINS0_14default_configENS1_22reduce_config_selectorIN6thrust23THRUST_200600_302600_NS5tupleIllNS6_9null_typeES8_S8_S8_S8_S8_S8_S8_EEEEZNS1_11reduce_implILb0ES3_NS6_12zip_iteratorINS7_INS6_10device_ptrIlEENS6_11hip_rocprim19counting_iterator_tIlEES8_S8_S8_S8_S8_S8_S8_S8_EEEEPS9_S9_NSF_9__extrema9arg_max_fIllNS6_4lessIlEEEEEE10hipError_tPvRmT1_T2_T3_mT4_P12ihipStream_tbEUlT_E0_NS1_11comp_targetILNS1_3genE0ELNS1_11target_archE4294967295ELNS1_3gpuE0ELNS1_3repE0EEENS1_30default_config_static_selectorELNS0_4arch9wavefront6targetE1EEEvST_
                                        ; -- End function
	.section	.AMDGPU.csdata,"",@progbits
; Kernel info:
; codeLenInByte = 0
; NumSgprs: 4
; NumVgprs: 0
; NumAgprs: 0
; TotalNumVgprs: 0
; ScratchSize: 0
; MemoryBound: 0
; FloatMode: 240
; IeeeMode: 1
; LDSByteSize: 0 bytes/workgroup (compile time only)
; SGPRBlocks: 0
; VGPRBlocks: 0
; NumSGPRsForWavesPerEU: 4
; NumVGPRsForWavesPerEU: 1
; AccumOffset: 4
; Occupancy: 8
; WaveLimiterHint : 0
; COMPUTE_PGM_RSRC2:SCRATCH_EN: 0
; COMPUTE_PGM_RSRC2:USER_SGPR: 6
; COMPUTE_PGM_RSRC2:TRAP_HANDLER: 0
; COMPUTE_PGM_RSRC2:TGID_X_EN: 1
; COMPUTE_PGM_RSRC2:TGID_Y_EN: 0
; COMPUTE_PGM_RSRC2:TGID_Z_EN: 0
; COMPUTE_PGM_RSRC2:TIDIG_COMP_CNT: 0
; COMPUTE_PGM_RSRC3_GFX90A:ACCUM_OFFSET: 0
; COMPUTE_PGM_RSRC3_GFX90A:TG_SPLIT: 0
	.section	.text._ZN7rocprim17ROCPRIM_400000_NS6detail17trampoline_kernelINS0_14default_configENS1_22reduce_config_selectorIN6thrust23THRUST_200600_302600_NS5tupleIllNS6_9null_typeES8_S8_S8_S8_S8_S8_S8_EEEEZNS1_11reduce_implILb0ES3_NS6_12zip_iteratorINS7_INS6_10device_ptrIlEENS6_11hip_rocprim19counting_iterator_tIlEES8_S8_S8_S8_S8_S8_S8_S8_EEEEPS9_S9_NSF_9__extrema9arg_max_fIllNS6_4lessIlEEEEEE10hipError_tPvRmT1_T2_T3_mT4_P12ihipStream_tbEUlT_E0_NS1_11comp_targetILNS1_3genE5ELNS1_11target_archE942ELNS1_3gpuE9ELNS1_3repE0EEENS1_30default_config_static_selectorELNS0_4arch9wavefront6targetE1EEEvST_,"axG",@progbits,_ZN7rocprim17ROCPRIM_400000_NS6detail17trampoline_kernelINS0_14default_configENS1_22reduce_config_selectorIN6thrust23THRUST_200600_302600_NS5tupleIllNS6_9null_typeES8_S8_S8_S8_S8_S8_S8_EEEEZNS1_11reduce_implILb0ES3_NS6_12zip_iteratorINS7_INS6_10device_ptrIlEENS6_11hip_rocprim19counting_iterator_tIlEES8_S8_S8_S8_S8_S8_S8_S8_EEEEPS9_S9_NSF_9__extrema9arg_max_fIllNS6_4lessIlEEEEEE10hipError_tPvRmT1_T2_T3_mT4_P12ihipStream_tbEUlT_E0_NS1_11comp_targetILNS1_3genE5ELNS1_11target_archE942ELNS1_3gpuE9ELNS1_3repE0EEENS1_30default_config_static_selectorELNS0_4arch9wavefront6targetE1EEEvST_,comdat
	.protected	_ZN7rocprim17ROCPRIM_400000_NS6detail17trampoline_kernelINS0_14default_configENS1_22reduce_config_selectorIN6thrust23THRUST_200600_302600_NS5tupleIllNS6_9null_typeES8_S8_S8_S8_S8_S8_S8_EEEEZNS1_11reduce_implILb0ES3_NS6_12zip_iteratorINS7_INS6_10device_ptrIlEENS6_11hip_rocprim19counting_iterator_tIlEES8_S8_S8_S8_S8_S8_S8_S8_EEEEPS9_S9_NSF_9__extrema9arg_max_fIllNS6_4lessIlEEEEEE10hipError_tPvRmT1_T2_T3_mT4_P12ihipStream_tbEUlT_E0_NS1_11comp_targetILNS1_3genE5ELNS1_11target_archE942ELNS1_3gpuE9ELNS1_3repE0EEENS1_30default_config_static_selectorELNS0_4arch9wavefront6targetE1EEEvST_ ; -- Begin function _ZN7rocprim17ROCPRIM_400000_NS6detail17trampoline_kernelINS0_14default_configENS1_22reduce_config_selectorIN6thrust23THRUST_200600_302600_NS5tupleIllNS6_9null_typeES8_S8_S8_S8_S8_S8_S8_EEEEZNS1_11reduce_implILb0ES3_NS6_12zip_iteratorINS7_INS6_10device_ptrIlEENS6_11hip_rocprim19counting_iterator_tIlEES8_S8_S8_S8_S8_S8_S8_S8_EEEEPS9_S9_NSF_9__extrema9arg_max_fIllNS6_4lessIlEEEEEE10hipError_tPvRmT1_T2_T3_mT4_P12ihipStream_tbEUlT_E0_NS1_11comp_targetILNS1_3genE5ELNS1_11target_archE942ELNS1_3gpuE9ELNS1_3repE0EEENS1_30default_config_static_selectorELNS0_4arch9wavefront6targetE1EEEvST_
	.globl	_ZN7rocprim17ROCPRIM_400000_NS6detail17trampoline_kernelINS0_14default_configENS1_22reduce_config_selectorIN6thrust23THRUST_200600_302600_NS5tupleIllNS6_9null_typeES8_S8_S8_S8_S8_S8_S8_EEEEZNS1_11reduce_implILb0ES3_NS6_12zip_iteratorINS7_INS6_10device_ptrIlEENS6_11hip_rocprim19counting_iterator_tIlEES8_S8_S8_S8_S8_S8_S8_S8_EEEEPS9_S9_NSF_9__extrema9arg_max_fIllNS6_4lessIlEEEEEE10hipError_tPvRmT1_T2_T3_mT4_P12ihipStream_tbEUlT_E0_NS1_11comp_targetILNS1_3genE5ELNS1_11target_archE942ELNS1_3gpuE9ELNS1_3repE0EEENS1_30default_config_static_selectorELNS0_4arch9wavefront6targetE1EEEvST_
	.p2align	8
	.type	_ZN7rocprim17ROCPRIM_400000_NS6detail17trampoline_kernelINS0_14default_configENS1_22reduce_config_selectorIN6thrust23THRUST_200600_302600_NS5tupleIllNS6_9null_typeES8_S8_S8_S8_S8_S8_S8_EEEEZNS1_11reduce_implILb0ES3_NS6_12zip_iteratorINS7_INS6_10device_ptrIlEENS6_11hip_rocprim19counting_iterator_tIlEES8_S8_S8_S8_S8_S8_S8_S8_EEEEPS9_S9_NSF_9__extrema9arg_max_fIllNS6_4lessIlEEEEEE10hipError_tPvRmT1_T2_T3_mT4_P12ihipStream_tbEUlT_E0_NS1_11comp_targetILNS1_3genE5ELNS1_11target_archE942ELNS1_3gpuE9ELNS1_3repE0EEENS1_30default_config_static_selectorELNS0_4arch9wavefront6targetE1EEEvST_,@function
_ZN7rocprim17ROCPRIM_400000_NS6detail17trampoline_kernelINS0_14default_configENS1_22reduce_config_selectorIN6thrust23THRUST_200600_302600_NS5tupleIllNS6_9null_typeES8_S8_S8_S8_S8_S8_S8_EEEEZNS1_11reduce_implILb0ES3_NS6_12zip_iteratorINS7_INS6_10device_ptrIlEENS6_11hip_rocprim19counting_iterator_tIlEES8_S8_S8_S8_S8_S8_S8_S8_EEEEPS9_S9_NSF_9__extrema9arg_max_fIllNS6_4lessIlEEEEEE10hipError_tPvRmT1_T2_T3_mT4_P12ihipStream_tbEUlT_E0_NS1_11comp_targetILNS1_3genE5ELNS1_11target_archE942ELNS1_3gpuE9ELNS1_3repE0EEENS1_30default_config_static_selectorELNS0_4arch9wavefront6targetE1EEEvST_: ; @_ZN7rocprim17ROCPRIM_400000_NS6detail17trampoline_kernelINS0_14default_configENS1_22reduce_config_selectorIN6thrust23THRUST_200600_302600_NS5tupleIllNS6_9null_typeES8_S8_S8_S8_S8_S8_S8_EEEEZNS1_11reduce_implILb0ES3_NS6_12zip_iteratorINS7_INS6_10device_ptrIlEENS6_11hip_rocprim19counting_iterator_tIlEES8_S8_S8_S8_S8_S8_S8_S8_EEEEPS9_S9_NSF_9__extrema9arg_max_fIllNS6_4lessIlEEEEEE10hipError_tPvRmT1_T2_T3_mT4_P12ihipStream_tbEUlT_E0_NS1_11comp_targetILNS1_3genE5ELNS1_11target_archE942ELNS1_3gpuE9ELNS1_3repE0EEENS1_30default_config_static_selectorELNS0_4arch9wavefront6targetE1EEEvST_
; %bb.0:
	.section	.rodata,"a",@progbits
	.p2align	6, 0x0
	.amdhsa_kernel _ZN7rocprim17ROCPRIM_400000_NS6detail17trampoline_kernelINS0_14default_configENS1_22reduce_config_selectorIN6thrust23THRUST_200600_302600_NS5tupleIllNS6_9null_typeES8_S8_S8_S8_S8_S8_S8_EEEEZNS1_11reduce_implILb0ES3_NS6_12zip_iteratorINS7_INS6_10device_ptrIlEENS6_11hip_rocprim19counting_iterator_tIlEES8_S8_S8_S8_S8_S8_S8_S8_EEEEPS9_S9_NSF_9__extrema9arg_max_fIllNS6_4lessIlEEEEEE10hipError_tPvRmT1_T2_T3_mT4_P12ihipStream_tbEUlT_E0_NS1_11comp_targetILNS1_3genE5ELNS1_11target_archE942ELNS1_3gpuE9ELNS1_3repE0EEENS1_30default_config_static_selectorELNS0_4arch9wavefront6targetE1EEEvST_
		.amdhsa_group_segment_fixed_size 0
		.amdhsa_private_segment_fixed_size 0
		.amdhsa_kernarg_size 80
		.amdhsa_user_sgpr_count 6
		.amdhsa_user_sgpr_private_segment_buffer 1
		.amdhsa_user_sgpr_dispatch_ptr 0
		.amdhsa_user_sgpr_queue_ptr 0
		.amdhsa_user_sgpr_kernarg_segment_ptr 1
		.amdhsa_user_sgpr_dispatch_id 0
		.amdhsa_user_sgpr_flat_scratch_init 0
		.amdhsa_user_sgpr_kernarg_preload_length 0
		.amdhsa_user_sgpr_kernarg_preload_offset 0
		.amdhsa_user_sgpr_private_segment_size 0
		.amdhsa_uses_dynamic_stack 0
		.amdhsa_system_sgpr_private_segment_wavefront_offset 0
		.amdhsa_system_sgpr_workgroup_id_x 1
		.amdhsa_system_sgpr_workgroup_id_y 0
		.amdhsa_system_sgpr_workgroup_id_z 0
		.amdhsa_system_sgpr_workgroup_info 0
		.amdhsa_system_vgpr_workitem_id 0
		.amdhsa_next_free_vgpr 1
		.amdhsa_next_free_sgpr 0
		.amdhsa_accum_offset 4
		.amdhsa_reserve_vcc 0
		.amdhsa_reserve_flat_scratch 0
		.amdhsa_float_round_mode_32 0
		.amdhsa_float_round_mode_16_64 0
		.amdhsa_float_denorm_mode_32 3
		.amdhsa_float_denorm_mode_16_64 3
		.amdhsa_dx10_clamp 1
		.amdhsa_ieee_mode 1
		.amdhsa_fp16_overflow 0
		.amdhsa_tg_split 0
		.amdhsa_exception_fp_ieee_invalid_op 0
		.amdhsa_exception_fp_denorm_src 0
		.amdhsa_exception_fp_ieee_div_zero 0
		.amdhsa_exception_fp_ieee_overflow 0
		.amdhsa_exception_fp_ieee_underflow 0
		.amdhsa_exception_fp_ieee_inexact 0
		.amdhsa_exception_int_div_zero 0
	.end_amdhsa_kernel
	.section	.text._ZN7rocprim17ROCPRIM_400000_NS6detail17trampoline_kernelINS0_14default_configENS1_22reduce_config_selectorIN6thrust23THRUST_200600_302600_NS5tupleIllNS6_9null_typeES8_S8_S8_S8_S8_S8_S8_EEEEZNS1_11reduce_implILb0ES3_NS6_12zip_iteratorINS7_INS6_10device_ptrIlEENS6_11hip_rocprim19counting_iterator_tIlEES8_S8_S8_S8_S8_S8_S8_S8_EEEEPS9_S9_NSF_9__extrema9arg_max_fIllNS6_4lessIlEEEEEE10hipError_tPvRmT1_T2_T3_mT4_P12ihipStream_tbEUlT_E0_NS1_11comp_targetILNS1_3genE5ELNS1_11target_archE942ELNS1_3gpuE9ELNS1_3repE0EEENS1_30default_config_static_selectorELNS0_4arch9wavefront6targetE1EEEvST_,"axG",@progbits,_ZN7rocprim17ROCPRIM_400000_NS6detail17trampoline_kernelINS0_14default_configENS1_22reduce_config_selectorIN6thrust23THRUST_200600_302600_NS5tupleIllNS6_9null_typeES8_S8_S8_S8_S8_S8_S8_EEEEZNS1_11reduce_implILb0ES3_NS6_12zip_iteratorINS7_INS6_10device_ptrIlEENS6_11hip_rocprim19counting_iterator_tIlEES8_S8_S8_S8_S8_S8_S8_S8_EEEEPS9_S9_NSF_9__extrema9arg_max_fIllNS6_4lessIlEEEEEE10hipError_tPvRmT1_T2_T3_mT4_P12ihipStream_tbEUlT_E0_NS1_11comp_targetILNS1_3genE5ELNS1_11target_archE942ELNS1_3gpuE9ELNS1_3repE0EEENS1_30default_config_static_selectorELNS0_4arch9wavefront6targetE1EEEvST_,comdat
.Lfunc_end422:
	.size	_ZN7rocprim17ROCPRIM_400000_NS6detail17trampoline_kernelINS0_14default_configENS1_22reduce_config_selectorIN6thrust23THRUST_200600_302600_NS5tupleIllNS6_9null_typeES8_S8_S8_S8_S8_S8_S8_EEEEZNS1_11reduce_implILb0ES3_NS6_12zip_iteratorINS7_INS6_10device_ptrIlEENS6_11hip_rocprim19counting_iterator_tIlEES8_S8_S8_S8_S8_S8_S8_S8_EEEEPS9_S9_NSF_9__extrema9arg_max_fIllNS6_4lessIlEEEEEE10hipError_tPvRmT1_T2_T3_mT4_P12ihipStream_tbEUlT_E0_NS1_11comp_targetILNS1_3genE5ELNS1_11target_archE942ELNS1_3gpuE9ELNS1_3repE0EEENS1_30default_config_static_selectorELNS0_4arch9wavefront6targetE1EEEvST_, .Lfunc_end422-_ZN7rocprim17ROCPRIM_400000_NS6detail17trampoline_kernelINS0_14default_configENS1_22reduce_config_selectorIN6thrust23THRUST_200600_302600_NS5tupleIllNS6_9null_typeES8_S8_S8_S8_S8_S8_S8_EEEEZNS1_11reduce_implILb0ES3_NS6_12zip_iteratorINS7_INS6_10device_ptrIlEENS6_11hip_rocprim19counting_iterator_tIlEES8_S8_S8_S8_S8_S8_S8_S8_EEEEPS9_S9_NSF_9__extrema9arg_max_fIllNS6_4lessIlEEEEEE10hipError_tPvRmT1_T2_T3_mT4_P12ihipStream_tbEUlT_E0_NS1_11comp_targetILNS1_3genE5ELNS1_11target_archE942ELNS1_3gpuE9ELNS1_3repE0EEENS1_30default_config_static_selectorELNS0_4arch9wavefront6targetE1EEEvST_
                                        ; -- End function
	.section	.AMDGPU.csdata,"",@progbits
; Kernel info:
; codeLenInByte = 0
; NumSgprs: 4
; NumVgprs: 0
; NumAgprs: 0
; TotalNumVgprs: 0
; ScratchSize: 0
; MemoryBound: 0
; FloatMode: 240
; IeeeMode: 1
; LDSByteSize: 0 bytes/workgroup (compile time only)
; SGPRBlocks: 0
; VGPRBlocks: 0
; NumSGPRsForWavesPerEU: 4
; NumVGPRsForWavesPerEU: 1
; AccumOffset: 4
; Occupancy: 8
; WaveLimiterHint : 0
; COMPUTE_PGM_RSRC2:SCRATCH_EN: 0
; COMPUTE_PGM_RSRC2:USER_SGPR: 6
; COMPUTE_PGM_RSRC2:TRAP_HANDLER: 0
; COMPUTE_PGM_RSRC2:TGID_X_EN: 1
; COMPUTE_PGM_RSRC2:TGID_Y_EN: 0
; COMPUTE_PGM_RSRC2:TGID_Z_EN: 0
; COMPUTE_PGM_RSRC2:TIDIG_COMP_CNT: 0
; COMPUTE_PGM_RSRC3_GFX90A:ACCUM_OFFSET: 0
; COMPUTE_PGM_RSRC3_GFX90A:TG_SPLIT: 0
	.section	.text._ZN7rocprim17ROCPRIM_400000_NS6detail17trampoline_kernelINS0_14default_configENS1_22reduce_config_selectorIN6thrust23THRUST_200600_302600_NS5tupleIllNS6_9null_typeES8_S8_S8_S8_S8_S8_S8_EEEEZNS1_11reduce_implILb0ES3_NS6_12zip_iteratorINS7_INS6_10device_ptrIlEENS6_11hip_rocprim19counting_iterator_tIlEES8_S8_S8_S8_S8_S8_S8_S8_EEEEPS9_S9_NSF_9__extrema9arg_max_fIllNS6_4lessIlEEEEEE10hipError_tPvRmT1_T2_T3_mT4_P12ihipStream_tbEUlT_E0_NS1_11comp_targetILNS1_3genE4ELNS1_11target_archE910ELNS1_3gpuE8ELNS1_3repE0EEENS1_30default_config_static_selectorELNS0_4arch9wavefront6targetE1EEEvST_,"axG",@progbits,_ZN7rocprim17ROCPRIM_400000_NS6detail17trampoline_kernelINS0_14default_configENS1_22reduce_config_selectorIN6thrust23THRUST_200600_302600_NS5tupleIllNS6_9null_typeES8_S8_S8_S8_S8_S8_S8_EEEEZNS1_11reduce_implILb0ES3_NS6_12zip_iteratorINS7_INS6_10device_ptrIlEENS6_11hip_rocprim19counting_iterator_tIlEES8_S8_S8_S8_S8_S8_S8_S8_EEEEPS9_S9_NSF_9__extrema9arg_max_fIllNS6_4lessIlEEEEEE10hipError_tPvRmT1_T2_T3_mT4_P12ihipStream_tbEUlT_E0_NS1_11comp_targetILNS1_3genE4ELNS1_11target_archE910ELNS1_3gpuE8ELNS1_3repE0EEENS1_30default_config_static_selectorELNS0_4arch9wavefront6targetE1EEEvST_,comdat
	.protected	_ZN7rocprim17ROCPRIM_400000_NS6detail17trampoline_kernelINS0_14default_configENS1_22reduce_config_selectorIN6thrust23THRUST_200600_302600_NS5tupleIllNS6_9null_typeES8_S8_S8_S8_S8_S8_S8_EEEEZNS1_11reduce_implILb0ES3_NS6_12zip_iteratorINS7_INS6_10device_ptrIlEENS6_11hip_rocprim19counting_iterator_tIlEES8_S8_S8_S8_S8_S8_S8_S8_EEEEPS9_S9_NSF_9__extrema9arg_max_fIllNS6_4lessIlEEEEEE10hipError_tPvRmT1_T2_T3_mT4_P12ihipStream_tbEUlT_E0_NS1_11comp_targetILNS1_3genE4ELNS1_11target_archE910ELNS1_3gpuE8ELNS1_3repE0EEENS1_30default_config_static_selectorELNS0_4arch9wavefront6targetE1EEEvST_ ; -- Begin function _ZN7rocprim17ROCPRIM_400000_NS6detail17trampoline_kernelINS0_14default_configENS1_22reduce_config_selectorIN6thrust23THRUST_200600_302600_NS5tupleIllNS6_9null_typeES8_S8_S8_S8_S8_S8_S8_EEEEZNS1_11reduce_implILb0ES3_NS6_12zip_iteratorINS7_INS6_10device_ptrIlEENS6_11hip_rocprim19counting_iterator_tIlEES8_S8_S8_S8_S8_S8_S8_S8_EEEEPS9_S9_NSF_9__extrema9arg_max_fIllNS6_4lessIlEEEEEE10hipError_tPvRmT1_T2_T3_mT4_P12ihipStream_tbEUlT_E0_NS1_11comp_targetILNS1_3genE4ELNS1_11target_archE910ELNS1_3gpuE8ELNS1_3repE0EEENS1_30default_config_static_selectorELNS0_4arch9wavefront6targetE1EEEvST_
	.globl	_ZN7rocprim17ROCPRIM_400000_NS6detail17trampoline_kernelINS0_14default_configENS1_22reduce_config_selectorIN6thrust23THRUST_200600_302600_NS5tupleIllNS6_9null_typeES8_S8_S8_S8_S8_S8_S8_EEEEZNS1_11reduce_implILb0ES3_NS6_12zip_iteratorINS7_INS6_10device_ptrIlEENS6_11hip_rocprim19counting_iterator_tIlEES8_S8_S8_S8_S8_S8_S8_S8_EEEEPS9_S9_NSF_9__extrema9arg_max_fIllNS6_4lessIlEEEEEE10hipError_tPvRmT1_T2_T3_mT4_P12ihipStream_tbEUlT_E0_NS1_11comp_targetILNS1_3genE4ELNS1_11target_archE910ELNS1_3gpuE8ELNS1_3repE0EEENS1_30default_config_static_selectorELNS0_4arch9wavefront6targetE1EEEvST_
	.p2align	8
	.type	_ZN7rocprim17ROCPRIM_400000_NS6detail17trampoline_kernelINS0_14default_configENS1_22reduce_config_selectorIN6thrust23THRUST_200600_302600_NS5tupleIllNS6_9null_typeES8_S8_S8_S8_S8_S8_S8_EEEEZNS1_11reduce_implILb0ES3_NS6_12zip_iteratorINS7_INS6_10device_ptrIlEENS6_11hip_rocprim19counting_iterator_tIlEES8_S8_S8_S8_S8_S8_S8_S8_EEEEPS9_S9_NSF_9__extrema9arg_max_fIllNS6_4lessIlEEEEEE10hipError_tPvRmT1_T2_T3_mT4_P12ihipStream_tbEUlT_E0_NS1_11comp_targetILNS1_3genE4ELNS1_11target_archE910ELNS1_3gpuE8ELNS1_3repE0EEENS1_30default_config_static_selectorELNS0_4arch9wavefront6targetE1EEEvST_,@function
_ZN7rocprim17ROCPRIM_400000_NS6detail17trampoline_kernelINS0_14default_configENS1_22reduce_config_selectorIN6thrust23THRUST_200600_302600_NS5tupleIllNS6_9null_typeES8_S8_S8_S8_S8_S8_S8_EEEEZNS1_11reduce_implILb0ES3_NS6_12zip_iteratorINS7_INS6_10device_ptrIlEENS6_11hip_rocprim19counting_iterator_tIlEES8_S8_S8_S8_S8_S8_S8_S8_EEEEPS9_S9_NSF_9__extrema9arg_max_fIllNS6_4lessIlEEEEEE10hipError_tPvRmT1_T2_T3_mT4_P12ihipStream_tbEUlT_E0_NS1_11comp_targetILNS1_3genE4ELNS1_11target_archE910ELNS1_3gpuE8ELNS1_3repE0EEENS1_30default_config_static_selectorELNS0_4arch9wavefront6targetE1EEEvST_: ; @_ZN7rocprim17ROCPRIM_400000_NS6detail17trampoline_kernelINS0_14default_configENS1_22reduce_config_selectorIN6thrust23THRUST_200600_302600_NS5tupleIllNS6_9null_typeES8_S8_S8_S8_S8_S8_S8_EEEEZNS1_11reduce_implILb0ES3_NS6_12zip_iteratorINS7_INS6_10device_ptrIlEENS6_11hip_rocprim19counting_iterator_tIlEES8_S8_S8_S8_S8_S8_S8_S8_EEEEPS9_S9_NSF_9__extrema9arg_max_fIllNS6_4lessIlEEEEEE10hipError_tPvRmT1_T2_T3_mT4_P12ihipStream_tbEUlT_E0_NS1_11comp_targetILNS1_3genE4ELNS1_11target_archE910ELNS1_3gpuE8ELNS1_3repE0EEENS1_30default_config_static_selectorELNS0_4arch9wavefront6targetE1EEEvST_
; %bb.0:
	s_load_dwordx16 s[8:23], s[4:5], 0x0
	s_mov_b32 s25, 0
	s_mov_b32 s7, s25
	v_lshlrev_b32_e32 v1, 3, v0
	s_waitcnt lgkmcnt(0)
	s_lshl_b64 s[0:1], s[12:13], 3
	s_add_u32 s8, s8, s0
	s_addc_u32 s9, s9, s1
	s_lshl_b32 s24, s6, 9
	s_lshr_b64 s[0:1], s[14:15], 9
	s_lshl_b64 s[2:3], s[24:25], 3
	s_add_u32 s8, s8, s2
	s_addc_u32 s9, s9, s3
	s_add_u32 s2, s10, s24
	s_addc_u32 s3, s11, 0
	;; [unrolled: 2-line block ×3, first 2 shown]
	s_cmp_lg_u64 s[0:1], s[6:7]
	s_cbranch_scc0 .LBB423_18
; %bb.1:
	global_load_dwordx2 v[4:5], v1, s[8:9]
	global_load_dwordx2 v[6:7], v1, s[8:9] offset:2048
	v_mov_b32_e32 v2, s11
	v_add_co_u32_e32 v8, vcc, s10, v0
	v_addc_co_u32_e32 v2, vcc, 0, v2, vcc
	v_add_co_u32_e32 v9, vcc, 0x100, v8
	v_addc_co_u32_e32 v10, vcc, 0, v2, vcc
	s_waitcnt vmcnt(0)
	v_cmp_gt_i64_e32 vcc, v[4:5], v[6:7]
	v_cmp_lt_i64_e64 s[0:1], v[4:5], v[6:7]
	v_cndmask_b32_e32 v3, v7, v5, vcc
	v_cndmask_b32_e64 v5, v2, v10, s[0:1]
	v_cndmask_b32_e32 v2, v6, v4, vcc
	v_cndmask_b32_e64 v4, v8, v9, s[0:1]
	v_mov_b32_dpp v7, v3 quad_perm:[1,0,3,2] row_mask:0xf bank_mask:0xf bound_ctrl:1
	v_mov_b32_dpp v6, v2 quad_perm:[1,0,3,2] row_mask:0xf bank_mask:0xf bound_ctrl:1
	;; [unrolled: 1-line block ×4, first 2 shown]
	v_cmp_ge_i64_e32 vcc, v[6:7], v[2:3]
	s_and_saveexec_b64 s[2:3], vcc
; %bb.2:
	v_mov_b32_e32 v9, v10
	v_cmp_gt_i64_e32 vcc, v[6:7], v[2:3]
	v_cmp_lt_i64_e64 s[0:1], v[8:9], v[4:5]
	s_or_b64 vcc, vcc, s[0:1]
	v_cndmask_b32_e32 v5, v5, v10, vcc
	v_cndmask_b32_e32 v4, v4, v8, vcc
	;; [unrolled: 1-line block ×4, first 2 shown]
; %bb.3:
	s_or_b64 exec, exec, s[2:3]
	s_nop 0
	v_mov_b32_dpp v6, v2 quad_perm:[2,3,0,1] row_mask:0xf bank_mask:0xf bound_ctrl:1
	v_mov_b32_dpp v7, v3 quad_perm:[2,3,0,1] row_mask:0xf bank_mask:0xf bound_ctrl:1
	;; [unrolled: 1-line block ×4, first 2 shown]
	v_cmp_ge_i64_e32 vcc, v[6:7], v[2:3]
	s_and_saveexec_b64 s[2:3], vcc
; %bb.4:
	v_mov_b32_e32 v9, v10
	v_cmp_lt_i64_e32 vcc, v[2:3], v[6:7]
	v_cmp_lt_i64_e64 s[0:1], v[8:9], v[4:5]
	s_or_b64 vcc, vcc, s[0:1]
	v_cndmask_b32_e32 v5, v5, v10, vcc
	v_cndmask_b32_e32 v4, v4, v8, vcc
	;; [unrolled: 1-line block ×4, first 2 shown]
; %bb.5:
	s_or_b64 exec, exec, s[2:3]
	s_nop 0
	v_mov_b32_dpp v6, v2 row_ror:4 row_mask:0xf bank_mask:0xf bound_ctrl:1
	v_mov_b32_dpp v7, v3 row_ror:4 row_mask:0xf bank_mask:0xf bound_ctrl:1
	;; [unrolled: 1-line block ×4, first 2 shown]
	v_cmp_ge_i64_e32 vcc, v[6:7], v[2:3]
	s_and_saveexec_b64 s[2:3], vcc
; %bb.6:
	v_mov_b32_e32 v9, v10
	v_cmp_lt_i64_e32 vcc, v[2:3], v[6:7]
	v_cmp_lt_i64_e64 s[0:1], v[8:9], v[4:5]
	s_or_b64 vcc, vcc, s[0:1]
	v_cndmask_b32_e32 v5, v5, v10, vcc
	v_cndmask_b32_e32 v4, v4, v8, vcc
	;; [unrolled: 1-line block ×4, first 2 shown]
; %bb.7:
	s_or_b64 exec, exec, s[2:3]
	s_nop 0
	v_mov_b32_dpp v6, v2 row_ror:8 row_mask:0xf bank_mask:0xf bound_ctrl:1
	v_mov_b32_dpp v7, v3 row_ror:8 row_mask:0xf bank_mask:0xf bound_ctrl:1
	;; [unrolled: 1-line block ×4, first 2 shown]
	v_cmp_ge_i64_e32 vcc, v[6:7], v[2:3]
	s_and_saveexec_b64 s[2:3], vcc
; %bb.8:
	v_mov_b32_e32 v9, v10
	v_cmp_lt_i64_e32 vcc, v[2:3], v[6:7]
	v_cmp_lt_i64_e64 s[0:1], v[8:9], v[4:5]
	s_or_b64 vcc, vcc, s[0:1]
	v_cndmask_b32_e32 v5, v5, v10, vcc
	v_cndmask_b32_e32 v4, v4, v8, vcc
	;; [unrolled: 1-line block ×4, first 2 shown]
; %bb.9:
	s_or_b64 exec, exec, s[2:3]
	s_nop 0
	v_mov_b32_dpp v6, v2 row_bcast:15 row_mask:0xf bank_mask:0xf bound_ctrl:1
	v_mov_b32_dpp v7, v3 row_bcast:15 row_mask:0xf bank_mask:0xf bound_ctrl:1
	;; [unrolled: 1-line block ×4, first 2 shown]
	v_cmp_ge_i64_e32 vcc, v[6:7], v[2:3]
	s_and_saveexec_b64 s[2:3], vcc
; %bb.10:
	v_mov_b32_e32 v9, v10
	v_cmp_lt_i64_e32 vcc, v[2:3], v[6:7]
	v_cmp_lt_i64_e64 s[0:1], v[8:9], v[4:5]
	s_or_b64 vcc, vcc, s[0:1]
	v_cndmask_b32_e32 v5, v5, v10, vcc
	v_cndmask_b32_e32 v4, v4, v8, vcc
	;; [unrolled: 1-line block ×4, first 2 shown]
; %bb.11:
	s_or_b64 exec, exec, s[2:3]
	s_nop 0
	v_mov_b32_dpp v6, v2 row_bcast:31 row_mask:0xf bank_mask:0xf bound_ctrl:1
	v_mov_b32_dpp v7, v3 row_bcast:31 row_mask:0xf bank_mask:0xf bound_ctrl:1
	;; [unrolled: 1-line block ×4, first 2 shown]
	v_cmp_ge_i64_e32 vcc, v[6:7], v[2:3]
	s_and_saveexec_b64 s[2:3], vcc
; %bb.12:
	v_mov_b32_e32 v9, v10
	v_cmp_lt_i64_e32 vcc, v[2:3], v[6:7]
	v_cmp_lt_i64_e64 s[0:1], v[8:9], v[4:5]
	s_or_b64 vcc, vcc, s[0:1]
	v_cndmask_b32_e32 v5, v5, v10, vcc
	v_cndmask_b32_e32 v4, v4, v8, vcc
	;; [unrolled: 1-line block ×4, first 2 shown]
; %bb.13:
	s_or_b64 exec, exec, s[2:3]
	v_mbcnt_lo_u32_b32 v6, -1, 0
	v_mbcnt_hi_u32_b32 v6, -1, v6
	v_bfrev_b32_e32 v7, 0.5
	v_lshl_or_b32 v7, v6, 2, v7
	ds_bpermute_b32 v2, v7, v2
	ds_bpermute_b32 v3, v7, v3
	ds_bpermute_b32 v4, v7, v4
	ds_bpermute_b32 v5, v7, v5
	v_cmp_eq_u32_e32 vcc, 0, v6
	s_and_saveexec_b64 s[0:1], vcc
	s_cbranch_execz .LBB423_15
; %bb.14:
	v_lshrrev_b32_e32 v7, 2, v0
	v_and_b32_e32 v7, 48, v7
	s_waitcnt lgkmcnt(0)
	ds_write2_b64 v7, v[2:3], v[4:5] offset1:1
.LBB423_15:
	s_or_b64 exec, exec, s[0:1]
	v_cmp_gt_u32_e32 vcc, 64, v0
	s_waitcnt lgkmcnt(0)
	s_barrier
	s_and_saveexec_b64 s[2:3], vcc
	s_cbranch_execz .LBB423_17
; %bb.16:
	v_and_b32_e32 v7, 3, v6
	v_lshlrev_b32_e32 v2, 4, v7
	ds_read2_b64 v[2:5], v2 offset1:1
	v_cmp_ne_u32_e32 vcc, 3, v7
	v_addc_co_u32_e32 v8, vcc, 0, v6, vcc
	v_lshlrev_b32_e32 v11, 2, v8
	s_waitcnt lgkmcnt(0)
	ds_bpermute_b32 v10, v11, v5
	ds_bpermute_b32 v8, v11, v2
	ds_bpermute_b32 v9, v11, v3
	ds_bpermute_b32 v12, v11, v4
	s_waitcnt lgkmcnt(3)
	v_mov_b32_e32 v13, v10
	s_waitcnt lgkmcnt(1)
	v_cmp_lt_i64_e32 vcc, v[8:9], v[2:3]
	s_waitcnt lgkmcnt(0)
	v_cmp_gt_i64_e64 s[0:1], v[12:13], v[4:5]
	s_or_b64 vcc, vcc, s[0:1]
	v_cndmask_b32_e32 v11, v8, v2, vcc
	v_cndmask_b32_e32 v13, v9, v3, vcc
	;; [unrolled: 1-line block ×4, first 2 shown]
	v_cmp_gt_i64_e32 vcc, v[8:9], v[2:3]
	v_cndmask_b32_e32 v3, v5, v10, vcc
	v_cndmask_b32_e32 v2, v4, v12, vcc
	;; [unrolled: 1-line block ×4, first 2 shown]
	v_cmp_gt_u32_e32 vcc, 2, v7
	v_cndmask_b32_e64 v7, 0, 1, vcc
	v_lshlrev_b32_e32 v7, 1, v7
	v_add_lshl_u32 v9, v7, v6, 2
	ds_bpermute_b32 v8, v9, v3
	ds_bpermute_b32 v6, v9, v4
	;; [unrolled: 1-line block ×4, first 2 shown]
	s_waitcnt lgkmcnt(3)
	v_mov_b32_e32 v11, v8
	s_waitcnt lgkmcnt(1)
	v_cmp_lt_i64_e32 vcc, v[6:7], v[4:5]
	s_waitcnt lgkmcnt(0)
	v_cmp_lt_i64_e64 s[0:1], v[2:3], v[10:11]
	s_or_b64 vcc, vcc, s[0:1]
	v_cndmask_b32_e32 v9, v6, v4, vcc
	v_cndmask_b32_e32 v11, v7, v5, vcc
	;; [unrolled: 1-line block ×4, first 2 shown]
	v_cmp_lt_i64_e32 vcc, v[4:5], v[6:7]
	v_cndmask_b32_e32 v5, v3, v8, vcc
	v_cndmask_b32_e32 v4, v2, v10, vcc
	;; [unrolled: 1-line block ×4, first 2 shown]
.LBB423_17:
	s_or_b64 exec, exec, s[2:3]
	s_load_dwordx2 s[2:3], s[4:5], 0x40
	s_branch .LBB423_46
.LBB423_18:
                                        ; implicit-def: $vgpr2_vgpr3
	s_load_dwordx2 s[2:3], s[4:5], 0x40
	s_cbranch_execz .LBB423_46
; %bb.19:
	s_sub_i32 s12, s14, s24
	v_pk_mov_b32 v[6:7], 0, 0
	v_cmp_gt_u32_e32 vcc, s12, v0
	v_pk_mov_b32 v[4:5], v[6:7], v[6:7] op_sel:[0,1]
	v_pk_mov_b32 v[2:3], v[6:7], v[6:7] op_sel:[0,1]
	s_and_saveexec_b64 s[0:1], vcc
	s_cbranch_execz .LBB423_21
; %bb.20:
	global_load_dwordx2 v[2:3], v1, s[8:9]
	v_mov_b32_e32 v5, s11
	v_add_co_u32_e32 v4, vcc, s10, v0
	v_addc_co_u32_e32 v5, vcc, 0, v5, vcc
.LBB423_21:
	s_or_b64 exec, exec, s[0:1]
	v_or_b32_e32 v10, 0x100, v0
	v_cmp_gt_u32_e32 vcc, s12, v10
	v_pk_mov_b32 v[8:9], v[6:7], v[6:7] op_sel:[0,1]
	s_and_saveexec_b64 s[4:5], vcc
	s_cbranch_execz .LBB423_23
; %bb.22:
	global_load_dwordx2 v[8:9], v1, s[8:9] offset:2048
	v_mov_b32_e32 v1, s11
	v_add_co_u32_e64 v6, s[0:1], s10, v10
	v_addc_co_u32_e64 v7, s[0:1], 0, v1, s[0:1]
.LBB423_23:
	s_or_b64 exec, exec, s[4:5]
	s_and_saveexec_b64 s[4:5], vcc
	s_cbranch_execz .LBB423_25
; %bb.24:
	s_waitcnt vmcnt(0)
	v_cmp_lt_i64_e32 vcc, v[8:9], v[2:3]
	v_cmp_lt_i64_e64 s[0:1], v[4:5], v[6:7]
	s_or_b64 vcc, vcc, s[0:1]
	v_cndmask_b32_e32 v1, v8, v2, vcc
	v_cndmask_b32_e32 v10, v9, v3, vcc
	;; [unrolled: 1-line block ×4, first 2 shown]
	v_cmp_lt_i64_e32 vcc, v[2:3], v[8:9]
	v_cndmask_b32_e32 v5, v5, v7, vcc
	v_cndmask_b32_e32 v4, v4, v6, vcc
	;; [unrolled: 1-line block ×4, first 2 shown]
.LBB423_25:
	s_or_b64 exec, exec, s[4:5]
	v_mbcnt_lo_u32_b32 v1, -1, 0
	v_mbcnt_hi_u32_b32 v1, -1, v1
	v_and_b32_e32 v11, 63, v1
	v_cmp_ne_u32_e32 vcc, 63, v11
	v_addc_co_u32_e32 v6, vcc, 0, v1, vcc
	s_waitcnt vmcnt(0)
	v_lshlrev_b32_e32 v9, 2, v6
	ds_bpermute_b32 v6, v9, v2
	ds_bpermute_b32 v7, v9, v3
	;; [unrolled: 1-line block ×4, first 2 shown]
	s_min_u32 s8, s12, 0x100
	v_and_b32_e32 v9, 0xc0, v0
	v_sub_u32_e64 v12, s8, v9 clamp
	v_add_u32_e32 v9, 1, v11
	v_cmp_lt_u32_e32 vcc, v9, v12
	s_and_saveexec_b64 s[4:5], vcc
	s_cbranch_execz .LBB423_27
; %bb.26:
	s_waitcnt lgkmcnt(0)
	v_mov_b32_e32 v9, v10
	v_cmp_lt_i64_e32 vcc, v[6:7], v[2:3]
	v_cmp_lt_i64_e64 s[0:1], v[4:5], v[8:9]
	s_or_b64 vcc, vcc, s[0:1]
	v_cndmask_b32_e32 v9, v6, v2, vcc
	v_cndmask_b32_e32 v13, v7, v3, vcc
	;; [unrolled: 1-line block ×4, first 2 shown]
	v_cmp_lt_i64_e32 vcc, v[2:3], v[6:7]
	v_cndmask_b32_e32 v5, v5, v10, vcc
	v_cndmask_b32_e32 v4, v4, v8, vcc
	;; [unrolled: 1-line block ×4, first 2 shown]
.LBB423_27:
	s_or_b64 exec, exec, s[4:5]
	v_cmp_gt_u32_e32 vcc, 62, v11
	s_waitcnt lgkmcnt(0)
	v_cndmask_b32_e64 v6, 0, 1, vcc
	v_lshlrev_b32_e32 v6, 1, v6
	v_add_lshl_u32 v9, v6, v1, 2
	ds_bpermute_b32 v6, v9, v2
	ds_bpermute_b32 v7, v9, v3
	;; [unrolled: 1-line block ×4, first 2 shown]
	v_add_u32_e32 v9, 2, v11
	v_cmp_lt_u32_e32 vcc, v9, v12
	s_and_saveexec_b64 s[4:5], vcc
	s_cbranch_execz .LBB423_29
; %bb.28:
	s_waitcnt lgkmcnt(0)
	v_mov_b32_e32 v9, v10
	v_cmp_lt_i64_e32 vcc, v[6:7], v[2:3]
	v_cmp_lt_i64_e64 s[0:1], v[4:5], v[8:9]
	s_or_b64 vcc, vcc, s[0:1]
	v_cndmask_b32_e32 v9, v6, v2, vcc
	v_cndmask_b32_e32 v13, v7, v3, vcc
	v_cndmask_b32_e32 v4, v8, v4, vcc
	v_cndmask_b32_e32 v5, v10, v5, vcc
	v_cmp_lt_i64_e32 vcc, v[2:3], v[6:7]
	v_cndmask_b32_e32 v5, v5, v10, vcc
	v_cndmask_b32_e32 v4, v4, v8, vcc
	v_cndmask_b32_e32 v3, v13, v7, vcc
	v_cndmask_b32_e32 v2, v9, v6, vcc
.LBB423_29:
	s_or_b64 exec, exec, s[4:5]
	v_cmp_gt_u32_e32 vcc, 60, v11
	s_waitcnt lgkmcnt(3)
	v_cndmask_b32_e64 v6, 0, 1, vcc
	v_lshlrev_b32_e32 v6, 2, v6
	v_add_lshl_u32 v9, v6, v1, 2
	ds_bpermute_b32 v6, v9, v2
	s_waitcnt lgkmcnt(3)
	ds_bpermute_b32 v7, v9, v3
	s_waitcnt lgkmcnt(3)
	ds_bpermute_b32 v8, v9, v4
	s_waitcnt lgkmcnt(3)
	ds_bpermute_b32 v10, v9, v5
	v_add_u32_e32 v9, 4, v11
	v_cmp_lt_u32_e32 vcc, v9, v12
	s_and_saveexec_b64 s[4:5], vcc
	s_cbranch_execz .LBB423_31
; %bb.30:
	s_waitcnt lgkmcnt(0)
	v_mov_b32_e32 v9, v10
	v_cmp_lt_i64_e32 vcc, v[6:7], v[2:3]
	v_cmp_lt_i64_e64 s[0:1], v[4:5], v[8:9]
	s_or_b64 vcc, vcc, s[0:1]
	v_cndmask_b32_e32 v9, v6, v2, vcc
	v_cndmask_b32_e32 v13, v7, v3, vcc
	v_cndmask_b32_e32 v4, v8, v4, vcc
	v_cndmask_b32_e32 v5, v10, v5, vcc
	v_cmp_lt_i64_e32 vcc, v[2:3], v[6:7]
	v_cndmask_b32_e32 v5, v5, v10, vcc
	v_cndmask_b32_e32 v4, v4, v8, vcc
	v_cndmask_b32_e32 v3, v13, v7, vcc
	v_cndmask_b32_e32 v2, v9, v6, vcc
.LBB423_31:
	s_or_b64 exec, exec, s[4:5]
	v_cmp_gt_u32_e32 vcc, 56, v11
	s_waitcnt lgkmcnt(3)
	v_cndmask_b32_e64 v6, 0, 1, vcc
	v_lshlrev_b32_e32 v6, 3, v6
	v_add_lshl_u32 v9, v6, v1, 2
	ds_bpermute_b32 v6, v9, v2
	s_waitcnt lgkmcnt(3)
	ds_bpermute_b32 v7, v9, v3
	s_waitcnt lgkmcnt(3)
	ds_bpermute_b32 v8, v9, v4
	s_waitcnt lgkmcnt(3)
	ds_bpermute_b32 v10, v9, v5
	;; [unrolled: 33-line block ×3, first 2 shown]
	v_add_u32_e32 v9, 16, v11
	v_cmp_lt_u32_e32 vcc, v9, v12
	s_and_saveexec_b64 s[4:5], vcc
	s_cbranch_execz .LBB423_35
; %bb.34:
	s_waitcnt lgkmcnt(0)
	v_mov_b32_e32 v9, v10
	v_cmp_lt_i64_e32 vcc, v[6:7], v[2:3]
	v_cmp_lt_i64_e64 s[0:1], v[4:5], v[8:9]
	s_or_b64 vcc, vcc, s[0:1]
	v_cndmask_b32_e32 v9, v6, v2, vcc
	v_cndmask_b32_e32 v13, v7, v3, vcc
	;; [unrolled: 1-line block ×4, first 2 shown]
	v_cmp_lt_i64_e32 vcc, v[2:3], v[6:7]
	v_cndmask_b32_e32 v5, v5, v10, vcc
	v_cndmask_b32_e32 v4, v4, v8, vcc
	;; [unrolled: 1-line block ×4, first 2 shown]
.LBB423_35:
	s_or_b64 exec, exec, s[4:5]
	v_cmp_gt_u32_e32 vcc, 32, v11
	s_waitcnt lgkmcnt(3)
	v_cndmask_b32_e64 v6, 0, 1, vcc
	v_lshlrev_b32_e32 v6, 5, v6
	v_add_lshl_u32 v9, v6, v1, 2
	ds_bpermute_b32 v6, v9, v2
	s_waitcnt lgkmcnt(3)
	ds_bpermute_b32 v7, v9, v3
	s_waitcnt lgkmcnt(3)
	ds_bpermute_b32 v8, v9, v4
	ds_bpermute_b32 v9, v9, v5
	s_waitcnt lgkmcnt(4)
	v_add_u32_e32 v10, 32, v11
	v_cmp_lt_u32_e32 vcc, v10, v12
	s_and_saveexec_b64 s[4:5], vcc
	s_cbranch_execz .LBB423_37
; %bb.36:
	s_waitcnt lgkmcnt(2)
	v_cmp_lt_i64_e32 vcc, v[6:7], v[2:3]
	s_waitcnt lgkmcnt(0)
	v_cmp_lt_i64_e64 s[0:1], v[4:5], v[8:9]
	s_or_b64 vcc, vcc, s[0:1]
	v_cndmask_b32_e32 v10, v6, v2, vcc
	v_cndmask_b32_e32 v11, v7, v3, vcc
	;; [unrolled: 1-line block ×4, first 2 shown]
	v_cmp_lt_i64_e32 vcc, v[2:3], v[6:7]
	v_cndmask_b32_e32 v5, v5, v9, vcc
	v_cndmask_b32_e32 v4, v4, v8, vcc
	;; [unrolled: 1-line block ×4, first 2 shown]
.LBB423_37:
	s_or_b64 exec, exec, s[4:5]
	v_cmp_eq_u32_e32 vcc, 0, v1
	s_and_saveexec_b64 s[0:1], vcc
	s_cbranch_execz .LBB423_39
; %bb.38:
	s_waitcnt lgkmcnt(3)
	v_lshrrev_b32_e32 v6, 2, v0
	v_and_b32_e32 v6, 48, v6
	ds_write2_b64 v6, v[2:3], v[4:5] offset0:8 offset1:9
.LBB423_39:
	s_or_b64 exec, exec, s[0:1]
	v_cmp_gt_u32_e32 vcc, 4, v0
	s_waitcnt lgkmcnt(0)
	s_barrier
	s_and_saveexec_b64 s[4:5], vcc
	s_cbranch_execz .LBB423_45
; %bb.40:
	v_lshlrev_b32_e32 v2, 4, v1
	ds_read2_b64 v[2:5], v2 offset0:8 offset1:9
	v_and_b32_e32 v11, 3, v1
	v_cmp_ne_u32_e32 vcc, 3, v11
	v_addc_co_u32_e32 v6, vcc, 0, v1, vcc
	v_lshlrev_b32_e32 v9, 2, v6
	s_waitcnt lgkmcnt(0)
	ds_bpermute_b32 v6, v9, v2
	ds_bpermute_b32 v7, v9, v3
	;; [unrolled: 1-line block ×4, first 2 shown]
	s_add_i32 s8, s8, 63
	s_lshr_b32 s10, s8, 6
	v_add_u32_e32 v9, 1, v11
	v_cmp_gt_u32_e32 vcc, s10, v9
	s_and_saveexec_b64 s[8:9], vcc
	s_cbranch_execz .LBB423_42
; %bb.41:
	s_waitcnt lgkmcnt(0)
	v_mov_b32_e32 v9, v10
	v_cmp_lt_i64_e32 vcc, v[6:7], v[2:3]
	v_cmp_lt_i64_e64 s[0:1], v[4:5], v[8:9]
	s_or_b64 vcc, vcc, s[0:1]
	v_cndmask_b32_e32 v9, v6, v2, vcc
	v_cndmask_b32_e32 v12, v7, v3, vcc
	;; [unrolled: 1-line block ×4, first 2 shown]
	v_cmp_lt_i64_e32 vcc, v[2:3], v[6:7]
	v_cndmask_b32_e32 v5, v5, v10, vcc
	v_cndmask_b32_e32 v4, v4, v8, vcc
	;; [unrolled: 1-line block ×4, first 2 shown]
.LBB423_42:
	s_or_b64 exec, exec, s[8:9]
	v_cmp_gt_u32_e32 vcc, 2, v11
	s_waitcnt lgkmcnt(3)
	v_cndmask_b32_e64 v6, 0, 1, vcc
	v_lshlrev_b32_e32 v6, 1, v6
	v_add_lshl_u32 v1, v6, v1, 2
	ds_bpermute_b32 v6, v1, v2
	s_waitcnt lgkmcnt(3)
	ds_bpermute_b32 v7, v1, v3
	s_waitcnt lgkmcnt(3)
	ds_bpermute_b32 v8, v1, v4
	ds_bpermute_b32 v9, v1, v5
	v_add_u32_e32 v1, 2, v11
	v_cmp_gt_u32_e32 vcc, s10, v1
	s_and_saveexec_b64 s[8:9], vcc
	s_cbranch_execz .LBB423_44
; %bb.43:
	s_waitcnt lgkmcnt(2)
	v_cmp_lt_i64_e32 vcc, v[6:7], v[2:3]
	s_waitcnt lgkmcnt(0)
	v_cmp_lt_i64_e64 s[0:1], v[4:5], v[8:9]
	s_or_b64 vcc, vcc, s[0:1]
	v_cndmask_b32_e32 v1, v6, v2, vcc
	v_cndmask_b32_e32 v10, v7, v3, vcc
	;; [unrolled: 1-line block ×4, first 2 shown]
	v_cmp_lt_i64_e32 vcc, v[2:3], v[6:7]
	v_cndmask_b32_e32 v5, v5, v9, vcc
	v_cndmask_b32_e32 v4, v4, v8, vcc
	;; [unrolled: 1-line block ×4, first 2 shown]
.LBB423_44:
	s_or_b64 exec, exec, s[8:9]
.LBB423_45:
	s_or_b64 exec, exec, s[4:5]
.LBB423_46:
	v_cmp_eq_u32_e32 vcc, 0, v0
	s_and_saveexec_b64 s[0:1], vcc
	s_cbranch_execnz .LBB423_48
; %bb.47:
	s_endpgm
.LBB423_48:
	s_mul_i32 s0, s20, s19
	s_mul_hi_u32 s1, s20, s18
	s_add_i32 s0, s1, s0
	s_mul_i32 s1, s21, s18
	s_add_i32 s1, s0, s1
	s_mul_i32 s0, s20, s18
	s_lshl_b64 s[0:1], s[0:1], 4
	s_add_u32 s4, s16, s0
	s_addc_u32 s5, s17, s1
	s_cmp_eq_u64 s[14:15], 0
	s_waitcnt lgkmcnt(0)
	v_mov_b32_e32 v0, s3
	s_cselect_b64 vcc, -1, 0
	v_cndmask_b32_e32 v5, v5, v0, vcc
	v_mov_b32_e32 v0, s2
	v_cndmask_b32_e32 v4, v4, v0, vcc
	v_mov_b32_e32 v0, s23
	s_lshl_b64 s[0:1], s[6:7], 4
	v_cndmask_b32_e32 v3, v3, v0, vcc
	v_mov_b32_e32 v0, s22
	s_add_u32 s0, s4, s0
	v_cndmask_b32_e32 v2, v2, v0, vcc
	s_addc_u32 s1, s5, s1
	v_mov_b32_e32 v0, 0
	global_store_dwordx4 v0, v[2:5], s[0:1]
	s_endpgm
	.section	.rodata,"a",@progbits
	.p2align	6, 0x0
	.amdhsa_kernel _ZN7rocprim17ROCPRIM_400000_NS6detail17trampoline_kernelINS0_14default_configENS1_22reduce_config_selectorIN6thrust23THRUST_200600_302600_NS5tupleIllNS6_9null_typeES8_S8_S8_S8_S8_S8_S8_EEEEZNS1_11reduce_implILb0ES3_NS6_12zip_iteratorINS7_INS6_10device_ptrIlEENS6_11hip_rocprim19counting_iterator_tIlEES8_S8_S8_S8_S8_S8_S8_S8_EEEEPS9_S9_NSF_9__extrema9arg_max_fIllNS6_4lessIlEEEEEE10hipError_tPvRmT1_T2_T3_mT4_P12ihipStream_tbEUlT_E0_NS1_11comp_targetILNS1_3genE4ELNS1_11target_archE910ELNS1_3gpuE8ELNS1_3repE0EEENS1_30default_config_static_selectorELNS0_4arch9wavefront6targetE1EEEvST_
		.amdhsa_group_segment_fixed_size 128
		.amdhsa_private_segment_fixed_size 0
		.amdhsa_kernarg_size 80
		.amdhsa_user_sgpr_count 6
		.amdhsa_user_sgpr_private_segment_buffer 1
		.amdhsa_user_sgpr_dispatch_ptr 0
		.amdhsa_user_sgpr_queue_ptr 0
		.amdhsa_user_sgpr_kernarg_segment_ptr 1
		.amdhsa_user_sgpr_dispatch_id 0
		.amdhsa_user_sgpr_flat_scratch_init 0
		.amdhsa_user_sgpr_kernarg_preload_length 0
		.amdhsa_user_sgpr_kernarg_preload_offset 0
		.amdhsa_user_sgpr_private_segment_size 0
		.amdhsa_uses_dynamic_stack 0
		.amdhsa_system_sgpr_private_segment_wavefront_offset 0
		.amdhsa_system_sgpr_workgroup_id_x 1
		.amdhsa_system_sgpr_workgroup_id_y 0
		.amdhsa_system_sgpr_workgroup_id_z 0
		.amdhsa_system_sgpr_workgroup_info 0
		.amdhsa_system_vgpr_workitem_id 0
		.amdhsa_next_free_vgpr 14
		.amdhsa_next_free_sgpr 26
		.amdhsa_accum_offset 16
		.amdhsa_reserve_vcc 1
		.amdhsa_reserve_flat_scratch 0
		.amdhsa_float_round_mode_32 0
		.amdhsa_float_round_mode_16_64 0
		.amdhsa_float_denorm_mode_32 3
		.amdhsa_float_denorm_mode_16_64 3
		.amdhsa_dx10_clamp 1
		.amdhsa_ieee_mode 1
		.amdhsa_fp16_overflow 0
		.amdhsa_tg_split 0
		.amdhsa_exception_fp_ieee_invalid_op 0
		.amdhsa_exception_fp_denorm_src 0
		.amdhsa_exception_fp_ieee_div_zero 0
		.amdhsa_exception_fp_ieee_overflow 0
		.amdhsa_exception_fp_ieee_underflow 0
		.amdhsa_exception_fp_ieee_inexact 0
		.amdhsa_exception_int_div_zero 0
	.end_amdhsa_kernel
	.section	.text._ZN7rocprim17ROCPRIM_400000_NS6detail17trampoline_kernelINS0_14default_configENS1_22reduce_config_selectorIN6thrust23THRUST_200600_302600_NS5tupleIllNS6_9null_typeES8_S8_S8_S8_S8_S8_S8_EEEEZNS1_11reduce_implILb0ES3_NS6_12zip_iteratorINS7_INS6_10device_ptrIlEENS6_11hip_rocprim19counting_iterator_tIlEES8_S8_S8_S8_S8_S8_S8_S8_EEEEPS9_S9_NSF_9__extrema9arg_max_fIllNS6_4lessIlEEEEEE10hipError_tPvRmT1_T2_T3_mT4_P12ihipStream_tbEUlT_E0_NS1_11comp_targetILNS1_3genE4ELNS1_11target_archE910ELNS1_3gpuE8ELNS1_3repE0EEENS1_30default_config_static_selectorELNS0_4arch9wavefront6targetE1EEEvST_,"axG",@progbits,_ZN7rocprim17ROCPRIM_400000_NS6detail17trampoline_kernelINS0_14default_configENS1_22reduce_config_selectorIN6thrust23THRUST_200600_302600_NS5tupleIllNS6_9null_typeES8_S8_S8_S8_S8_S8_S8_EEEEZNS1_11reduce_implILb0ES3_NS6_12zip_iteratorINS7_INS6_10device_ptrIlEENS6_11hip_rocprim19counting_iterator_tIlEES8_S8_S8_S8_S8_S8_S8_S8_EEEEPS9_S9_NSF_9__extrema9arg_max_fIllNS6_4lessIlEEEEEE10hipError_tPvRmT1_T2_T3_mT4_P12ihipStream_tbEUlT_E0_NS1_11comp_targetILNS1_3genE4ELNS1_11target_archE910ELNS1_3gpuE8ELNS1_3repE0EEENS1_30default_config_static_selectorELNS0_4arch9wavefront6targetE1EEEvST_,comdat
.Lfunc_end423:
	.size	_ZN7rocprim17ROCPRIM_400000_NS6detail17trampoline_kernelINS0_14default_configENS1_22reduce_config_selectorIN6thrust23THRUST_200600_302600_NS5tupleIllNS6_9null_typeES8_S8_S8_S8_S8_S8_S8_EEEEZNS1_11reduce_implILb0ES3_NS6_12zip_iteratorINS7_INS6_10device_ptrIlEENS6_11hip_rocprim19counting_iterator_tIlEES8_S8_S8_S8_S8_S8_S8_S8_EEEEPS9_S9_NSF_9__extrema9arg_max_fIllNS6_4lessIlEEEEEE10hipError_tPvRmT1_T2_T3_mT4_P12ihipStream_tbEUlT_E0_NS1_11comp_targetILNS1_3genE4ELNS1_11target_archE910ELNS1_3gpuE8ELNS1_3repE0EEENS1_30default_config_static_selectorELNS0_4arch9wavefront6targetE1EEEvST_, .Lfunc_end423-_ZN7rocprim17ROCPRIM_400000_NS6detail17trampoline_kernelINS0_14default_configENS1_22reduce_config_selectorIN6thrust23THRUST_200600_302600_NS5tupleIllNS6_9null_typeES8_S8_S8_S8_S8_S8_S8_EEEEZNS1_11reduce_implILb0ES3_NS6_12zip_iteratorINS7_INS6_10device_ptrIlEENS6_11hip_rocprim19counting_iterator_tIlEES8_S8_S8_S8_S8_S8_S8_S8_EEEEPS9_S9_NSF_9__extrema9arg_max_fIllNS6_4lessIlEEEEEE10hipError_tPvRmT1_T2_T3_mT4_P12ihipStream_tbEUlT_E0_NS1_11comp_targetILNS1_3genE4ELNS1_11target_archE910ELNS1_3gpuE8ELNS1_3repE0EEENS1_30default_config_static_selectorELNS0_4arch9wavefront6targetE1EEEvST_
                                        ; -- End function
	.section	.AMDGPU.csdata,"",@progbits
; Kernel info:
; codeLenInByte = 2656
; NumSgprs: 30
; NumVgprs: 14
; NumAgprs: 0
; TotalNumVgprs: 14
; ScratchSize: 0
; MemoryBound: 0
; FloatMode: 240
; IeeeMode: 1
; LDSByteSize: 128 bytes/workgroup (compile time only)
; SGPRBlocks: 3
; VGPRBlocks: 1
; NumSGPRsForWavesPerEU: 30
; NumVGPRsForWavesPerEU: 14
; AccumOffset: 16
; Occupancy: 8
; WaveLimiterHint : 1
; COMPUTE_PGM_RSRC2:SCRATCH_EN: 0
; COMPUTE_PGM_RSRC2:USER_SGPR: 6
; COMPUTE_PGM_RSRC2:TRAP_HANDLER: 0
; COMPUTE_PGM_RSRC2:TGID_X_EN: 1
; COMPUTE_PGM_RSRC2:TGID_Y_EN: 0
; COMPUTE_PGM_RSRC2:TGID_Z_EN: 0
; COMPUTE_PGM_RSRC2:TIDIG_COMP_CNT: 0
; COMPUTE_PGM_RSRC3_GFX90A:ACCUM_OFFSET: 3
; COMPUTE_PGM_RSRC3_GFX90A:TG_SPLIT: 0
	.section	.text._ZN7rocprim17ROCPRIM_400000_NS6detail17trampoline_kernelINS0_14default_configENS1_22reduce_config_selectorIN6thrust23THRUST_200600_302600_NS5tupleIllNS6_9null_typeES8_S8_S8_S8_S8_S8_S8_EEEEZNS1_11reduce_implILb0ES3_NS6_12zip_iteratorINS7_INS6_10device_ptrIlEENS6_11hip_rocprim19counting_iterator_tIlEES8_S8_S8_S8_S8_S8_S8_S8_EEEEPS9_S9_NSF_9__extrema9arg_max_fIllNS6_4lessIlEEEEEE10hipError_tPvRmT1_T2_T3_mT4_P12ihipStream_tbEUlT_E0_NS1_11comp_targetILNS1_3genE3ELNS1_11target_archE908ELNS1_3gpuE7ELNS1_3repE0EEENS1_30default_config_static_selectorELNS0_4arch9wavefront6targetE1EEEvST_,"axG",@progbits,_ZN7rocprim17ROCPRIM_400000_NS6detail17trampoline_kernelINS0_14default_configENS1_22reduce_config_selectorIN6thrust23THRUST_200600_302600_NS5tupleIllNS6_9null_typeES8_S8_S8_S8_S8_S8_S8_EEEEZNS1_11reduce_implILb0ES3_NS6_12zip_iteratorINS7_INS6_10device_ptrIlEENS6_11hip_rocprim19counting_iterator_tIlEES8_S8_S8_S8_S8_S8_S8_S8_EEEEPS9_S9_NSF_9__extrema9arg_max_fIllNS6_4lessIlEEEEEE10hipError_tPvRmT1_T2_T3_mT4_P12ihipStream_tbEUlT_E0_NS1_11comp_targetILNS1_3genE3ELNS1_11target_archE908ELNS1_3gpuE7ELNS1_3repE0EEENS1_30default_config_static_selectorELNS0_4arch9wavefront6targetE1EEEvST_,comdat
	.protected	_ZN7rocprim17ROCPRIM_400000_NS6detail17trampoline_kernelINS0_14default_configENS1_22reduce_config_selectorIN6thrust23THRUST_200600_302600_NS5tupleIllNS6_9null_typeES8_S8_S8_S8_S8_S8_S8_EEEEZNS1_11reduce_implILb0ES3_NS6_12zip_iteratorINS7_INS6_10device_ptrIlEENS6_11hip_rocprim19counting_iterator_tIlEES8_S8_S8_S8_S8_S8_S8_S8_EEEEPS9_S9_NSF_9__extrema9arg_max_fIllNS6_4lessIlEEEEEE10hipError_tPvRmT1_T2_T3_mT4_P12ihipStream_tbEUlT_E0_NS1_11comp_targetILNS1_3genE3ELNS1_11target_archE908ELNS1_3gpuE7ELNS1_3repE0EEENS1_30default_config_static_selectorELNS0_4arch9wavefront6targetE1EEEvST_ ; -- Begin function _ZN7rocprim17ROCPRIM_400000_NS6detail17trampoline_kernelINS0_14default_configENS1_22reduce_config_selectorIN6thrust23THRUST_200600_302600_NS5tupleIllNS6_9null_typeES8_S8_S8_S8_S8_S8_S8_EEEEZNS1_11reduce_implILb0ES3_NS6_12zip_iteratorINS7_INS6_10device_ptrIlEENS6_11hip_rocprim19counting_iterator_tIlEES8_S8_S8_S8_S8_S8_S8_S8_EEEEPS9_S9_NSF_9__extrema9arg_max_fIllNS6_4lessIlEEEEEE10hipError_tPvRmT1_T2_T3_mT4_P12ihipStream_tbEUlT_E0_NS1_11comp_targetILNS1_3genE3ELNS1_11target_archE908ELNS1_3gpuE7ELNS1_3repE0EEENS1_30default_config_static_selectorELNS0_4arch9wavefront6targetE1EEEvST_
	.globl	_ZN7rocprim17ROCPRIM_400000_NS6detail17trampoline_kernelINS0_14default_configENS1_22reduce_config_selectorIN6thrust23THRUST_200600_302600_NS5tupleIllNS6_9null_typeES8_S8_S8_S8_S8_S8_S8_EEEEZNS1_11reduce_implILb0ES3_NS6_12zip_iteratorINS7_INS6_10device_ptrIlEENS6_11hip_rocprim19counting_iterator_tIlEES8_S8_S8_S8_S8_S8_S8_S8_EEEEPS9_S9_NSF_9__extrema9arg_max_fIllNS6_4lessIlEEEEEE10hipError_tPvRmT1_T2_T3_mT4_P12ihipStream_tbEUlT_E0_NS1_11comp_targetILNS1_3genE3ELNS1_11target_archE908ELNS1_3gpuE7ELNS1_3repE0EEENS1_30default_config_static_selectorELNS0_4arch9wavefront6targetE1EEEvST_
	.p2align	8
	.type	_ZN7rocprim17ROCPRIM_400000_NS6detail17trampoline_kernelINS0_14default_configENS1_22reduce_config_selectorIN6thrust23THRUST_200600_302600_NS5tupleIllNS6_9null_typeES8_S8_S8_S8_S8_S8_S8_EEEEZNS1_11reduce_implILb0ES3_NS6_12zip_iteratorINS7_INS6_10device_ptrIlEENS6_11hip_rocprim19counting_iterator_tIlEES8_S8_S8_S8_S8_S8_S8_S8_EEEEPS9_S9_NSF_9__extrema9arg_max_fIllNS6_4lessIlEEEEEE10hipError_tPvRmT1_T2_T3_mT4_P12ihipStream_tbEUlT_E0_NS1_11comp_targetILNS1_3genE3ELNS1_11target_archE908ELNS1_3gpuE7ELNS1_3repE0EEENS1_30default_config_static_selectorELNS0_4arch9wavefront6targetE1EEEvST_,@function
_ZN7rocprim17ROCPRIM_400000_NS6detail17trampoline_kernelINS0_14default_configENS1_22reduce_config_selectorIN6thrust23THRUST_200600_302600_NS5tupleIllNS6_9null_typeES8_S8_S8_S8_S8_S8_S8_EEEEZNS1_11reduce_implILb0ES3_NS6_12zip_iteratorINS7_INS6_10device_ptrIlEENS6_11hip_rocprim19counting_iterator_tIlEES8_S8_S8_S8_S8_S8_S8_S8_EEEEPS9_S9_NSF_9__extrema9arg_max_fIllNS6_4lessIlEEEEEE10hipError_tPvRmT1_T2_T3_mT4_P12ihipStream_tbEUlT_E0_NS1_11comp_targetILNS1_3genE3ELNS1_11target_archE908ELNS1_3gpuE7ELNS1_3repE0EEENS1_30default_config_static_selectorELNS0_4arch9wavefront6targetE1EEEvST_: ; @_ZN7rocprim17ROCPRIM_400000_NS6detail17trampoline_kernelINS0_14default_configENS1_22reduce_config_selectorIN6thrust23THRUST_200600_302600_NS5tupleIllNS6_9null_typeES8_S8_S8_S8_S8_S8_S8_EEEEZNS1_11reduce_implILb0ES3_NS6_12zip_iteratorINS7_INS6_10device_ptrIlEENS6_11hip_rocprim19counting_iterator_tIlEES8_S8_S8_S8_S8_S8_S8_S8_EEEEPS9_S9_NSF_9__extrema9arg_max_fIllNS6_4lessIlEEEEEE10hipError_tPvRmT1_T2_T3_mT4_P12ihipStream_tbEUlT_E0_NS1_11comp_targetILNS1_3genE3ELNS1_11target_archE908ELNS1_3gpuE7ELNS1_3repE0EEENS1_30default_config_static_selectorELNS0_4arch9wavefront6targetE1EEEvST_
; %bb.0:
	.section	.rodata,"a",@progbits
	.p2align	6, 0x0
	.amdhsa_kernel _ZN7rocprim17ROCPRIM_400000_NS6detail17trampoline_kernelINS0_14default_configENS1_22reduce_config_selectorIN6thrust23THRUST_200600_302600_NS5tupleIllNS6_9null_typeES8_S8_S8_S8_S8_S8_S8_EEEEZNS1_11reduce_implILb0ES3_NS6_12zip_iteratorINS7_INS6_10device_ptrIlEENS6_11hip_rocprim19counting_iterator_tIlEES8_S8_S8_S8_S8_S8_S8_S8_EEEEPS9_S9_NSF_9__extrema9arg_max_fIllNS6_4lessIlEEEEEE10hipError_tPvRmT1_T2_T3_mT4_P12ihipStream_tbEUlT_E0_NS1_11comp_targetILNS1_3genE3ELNS1_11target_archE908ELNS1_3gpuE7ELNS1_3repE0EEENS1_30default_config_static_selectorELNS0_4arch9wavefront6targetE1EEEvST_
		.amdhsa_group_segment_fixed_size 0
		.amdhsa_private_segment_fixed_size 0
		.amdhsa_kernarg_size 80
		.amdhsa_user_sgpr_count 6
		.amdhsa_user_sgpr_private_segment_buffer 1
		.amdhsa_user_sgpr_dispatch_ptr 0
		.amdhsa_user_sgpr_queue_ptr 0
		.amdhsa_user_sgpr_kernarg_segment_ptr 1
		.amdhsa_user_sgpr_dispatch_id 0
		.amdhsa_user_sgpr_flat_scratch_init 0
		.amdhsa_user_sgpr_kernarg_preload_length 0
		.amdhsa_user_sgpr_kernarg_preload_offset 0
		.amdhsa_user_sgpr_private_segment_size 0
		.amdhsa_uses_dynamic_stack 0
		.amdhsa_system_sgpr_private_segment_wavefront_offset 0
		.amdhsa_system_sgpr_workgroup_id_x 1
		.amdhsa_system_sgpr_workgroup_id_y 0
		.amdhsa_system_sgpr_workgroup_id_z 0
		.amdhsa_system_sgpr_workgroup_info 0
		.amdhsa_system_vgpr_workitem_id 0
		.amdhsa_next_free_vgpr 1
		.amdhsa_next_free_sgpr 0
		.amdhsa_accum_offset 4
		.amdhsa_reserve_vcc 0
		.amdhsa_reserve_flat_scratch 0
		.amdhsa_float_round_mode_32 0
		.amdhsa_float_round_mode_16_64 0
		.amdhsa_float_denorm_mode_32 3
		.amdhsa_float_denorm_mode_16_64 3
		.amdhsa_dx10_clamp 1
		.amdhsa_ieee_mode 1
		.amdhsa_fp16_overflow 0
		.amdhsa_tg_split 0
		.amdhsa_exception_fp_ieee_invalid_op 0
		.amdhsa_exception_fp_denorm_src 0
		.amdhsa_exception_fp_ieee_div_zero 0
		.amdhsa_exception_fp_ieee_overflow 0
		.amdhsa_exception_fp_ieee_underflow 0
		.amdhsa_exception_fp_ieee_inexact 0
		.amdhsa_exception_int_div_zero 0
	.end_amdhsa_kernel
	.section	.text._ZN7rocprim17ROCPRIM_400000_NS6detail17trampoline_kernelINS0_14default_configENS1_22reduce_config_selectorIN6thrust23THRUST_200600_302600_NS5tupleIllNS6_9null_typeES8_S8_S8_S8_S8_S8_S8_EEEEZNS1_11reduce_implILb0ES3_NS6_12zip_iteratorINS7_INS6_10device_ptrIlEENS6_11hip_rocprim19counting_iterator_tIlEES8_S8_S8_S8_S8_S8_S8_S8_EEEEPS9_S9_NSF_9__extrema9arg_max_fIllNS6_4lessIlEEEEEE10hipError_tPvRmT1_T2_T3_mT4_P12ihipStream_tbEUlT_E0_NS1_11comp_targetILNS1_3genE3ELNS1_11target_archE908ELNS1_3gpuE7ELNS1_3repE0EEENS1_30default_config_static_selectorELNS0_4arch9wavefront6targetE1EEEvST_,"axG",@progbits,_ZN7rocprim17ROCPRIM_400000_NS6detail17trampoline_kernelINS0_14default_configENS1_22reduce_config_selectorIN6thrust23THRUST_200600_302600_NS5tupleIllNS6_9null_typeES8_S8_S8_S8_S8_S8_S8_EEEEZNS1_11reduce_implILb0ES3_NS6_12zip_iteratorINS7_INS6_10device_ptrIlEENS6_11hip_rocprim19counting_iterator_tIlEES8_S8_S8_S8_S8_S8_S8_S8_EEEEPS9_S9_NSF_9__extrema9arg_max_fIllNS6_4lessIlEEEEEE10hipError_tPvRmT1_T2_T3_mT4_P12ihipStream_tbEUlT_E0_NS1_11comp_targetILNS1_3genE3ELNS1_11target_archE908ELNS1_3gpuE7ELNS1_3repE0EEENS1_30default_config_static_selectorELNS0_4arch9wavefront6targetE1EEEvST_,comdat
.Lfunc_end424:
	.size	_ZN7rocprim17ROCPRIM_400000_NS6detail17trampoline_kernelINS0_14default_configENS1_22reduce_config_selectorIN6thrust23THRUST_200600_302600_NS5tupleIllNS6_9null_typeES8_S8_S8_S8_S8_S8_S8_EEEEZNS1_11reduce_implILb0ES3_NS6_12zip_iteratorINS7_INS6_10device_ptrIlEENS6_11hip_rocprim19counting_iterator_tIlEES8_S8_S8_S8_S8_S8_S8_S8_EEEEPS9_S9_NSF_9__extrema9arg_max_fIllNS6_4lessIlEEEEEE10hipError_tPvRmT1_T2_T3_mT4_P12ihipStream_tbEUlT_E0_NS1_11comp_targetILNS1_3genE3ELNS1_11target_archE908ELNS1_3gpuE7ELNS1_3repE0EEENS1_30default_config_static_selectorELNS0_4arch9wavefront6targetE1EEEvST_, .Lfunc_end424-_ZN7rocprim17ROCPRIM_400000_NS6detail17trampoline_kernelINS0_14default_configENS1_22reduce_config_selectorIN6thrust23THRUST_200600_302600_NS5tupleIllNS6_9null_typeES8_S8_S8_S8_S8_S8_S8_EEEEZNS1_11reduce_implILb0ES3_NS6_12zip_iteratorINS7_INS6_10device_ptrIlEENS6_11hip_rocprim19counting_iterator_tIlEES8_S8_S8_S8_S8_S8_S8_S8_EEEEPS9_S9_NSF_9__extrema9arg_max_fIllNS6_4lessIlEEEEEE10hipError_tPvRmT1_T2_T3_mT4_P12ihipStream_tbEUlT_E0_NS1_11comp_targetILNS1_3genE3ELNS1_11target_archE908ELNS1_3gpuE7ELNS1_3repE0EEENS1_30default_config_static_selectorELNS0_4arch9wavefront6targetE1EEEvST_
                                        ; -- End function
	.section	.AMDGPU.csdata,"",@progbits
; Kernel info:
; codeLenInByte = 0
; NumSgprs: 4
; NumVgprs: 0
; NumAgprs: 0
; TotalNumVgprs: 0
; ScratchSize: 0
; MemoryBound: 0
; FloatMode: 240
; IeeeMode: 1
; LDSByteSize: 0 bytes/workgroup (compile time only)
; SGPRBlocks: 0
; VGPRBlocks: 0
; NumSGPRsForWavesPerEU: 4
; NumVGPRsForWavesPerEU: 1
; AccumOffset: 4
; Occupancy: 8
; WaveLimiterHint : 0
; COMPUTE_PGM_RSRC2:SCRATCH_EN: 0
; COMPUTE_PGM_RSRC2:USER_SGPR: 6
; COMPUTE_PGM_RSRC2:TRAP_HANDLER: 0
; COMPUTE_PGM_RSRC2:TGID_X_EN: 1
; COMPUTE_PGM_RSRC2:TGID_Y_EN: 0
; COMPUTE_PGM_RSRC2:TGID_Z_EN: 0
; COMPUTE_PGM_RSRC2:TIDIG_COMP_CNT: 0
; COMPUTE_PGM_RSRC3_GFX90A:ACCUM_OFFSET: 0
; COMPUTE_PGM_RSRC3_GFX90A:TG_SPLIT: 0
	.section	.text._ZN7rocprim17ROCPRIM_400000_NS6detail17trampoline_kernelINS0_14default_configENS1_22reduce_config_selectorIN6thrust23THRUST_200600_302600_NS5tupleIllNS6_9null_typeES8_S8_S8_S8_S8_S8_S8_EEEEZNS1_11reduce_implILb0ES3_NS6_12zip_iteratorINS7_INS6_10device_ptrIlEENS6_11hip_rocprim19counting_iterator_tIlEES8_S8_S8_S8_S8_S8_S8_S8_EEEEPS9_S9_NSF_9__extrema9arg_max_fIllNS6_4lessIlEEEEEE10hipError_tPvRmT1_T2_T3_mT4_P12ihipStream_tbEUlT_E0_NS1_11comp_targetILNS1_3genE2ELNS1_11target_archE906ELNS1_3gpuE6ELNS1_3repE0EEENS1_30default_config_static_selectorELNS0_4arch9wavefront6targetE1EEEvST_,"axG",@progbits,_ZN7rocprim17ROCPRIM_400000_NS6detail17trampoline_kernelINS0_14default_configENS1_22reduce_config_selectorIN6thrust23THRUST_200600_302600_NS5tupleIllNS6_9null_typeES8_S8_S8_S8_S8_S8_S8_EEEEZNS1_11reduce_implILb0ES3_NS6_12zip_iteratorINS7_INS6_10device_ptrIlEENS6_11hip_rocprim19counting_iterator_tIlEES8_S8_S8_S8_S8_S8_S8_S8_EEEEPS9_S9_NSF_9__extrema9arg_max_fIllNS6_4lessIlEEEEEE10hipError_tPvRmT1_T2_T3_mT4_P12ihipStream_tbEUlT_E0_NS1_11comp_targetILNS1_3genE2ELNS1_11target_archE906ELNS1_3gpuE6ELNS1_3repE0EEENS1_30default_config_static_selectorELNS0_4arch9wavefront6targetE1EEEvST_,comdat
	.protected	_ZN7rocprim17ROCPRIM_400000_NS6detail17trampoline_kernelINS0_14default_configENS1_22reduce_config_selectorIN6thrust23THRUST_200600_302600_NS5tupleIllNS6_9null_typeES8_S8_S8_S8_S8_S8_S8_EEEEZNS1_11reduce_implILb0ES3_NS6_12zip_iteratorINS7_INS6_10device_ptrIlEENS6_11hip_rocprim19counting_iterator_tIlEES8_S8_S8_S8_S8_S8_S8_S8_EEEEPS9_S9_NSF_9__extrema9arg_max_fIllNS6_4lessIlEEEEEE10hipError_tPvRmT1_T2_T3_mT4_P12ihipStream_tbEUlT_E0_NS1_11comp_targetILNS1_3genE2ELNS1_11target_archE906ELNS1_3gpuE6ELNS1_3repE0EEENS1_30default_config_static_selectorELNS0_4arch9wavefront6targetE1EEEvST_ ; -- Begin function _ZN7rocprim17ROCPRIM_400000_NS6detail17trampoline_kernelINS0_14default_configENS1_22reduce_config_selectorIN6thrust23THRUST_200600_302600_NS5tupleIllNS6_9null_typeES8_S8_S8_S8_S8_S8_S8_EEEEZNS1_11reduce_implILb0ES3_NS6_12zip_iteratorINS7_INS6_10device_ptrIlEENS6_11hip_rocprim19counting_iterator_tIlEES8_S8_S8_S8_S8_S8_S8_S8_EEEEPS9_S9_NSF_9__extrema9arg_max_fIllNS6_4lessIlEEEEEE10hipError_tPvRmT1_T2_T3_mT4_P12ihipStream_tbEUlT_E0_NS1_11comp_targetILNS1_3genE2ELNS1_11target_archE906ELNS1_3gpuE6ELNS1_3repE0EEENS1_30default_config_static_selectorELNS0_4arch9wavefront6targetE1EEEvST_
	.globl	_ZN7rocprim17ROCPRIM_400000_NS6detail17trampoline_kernelINS0_14default_configENS1_22reduce_config_selectorIN6thrust23THRUST_200600_302600_NS5tupleIllNS6_9null_typeES8_S8_S8_S8_S8_S8_S8_EEEEZNS1_11reduce_implILb0ES3_NS6_12zip_iteratorINS7_INS6_10device_ptrIlEENS6_11hip_rocprim19counting_iterator_tIlEES8_S8_S8_S8_S8_S8_S8_S8_EEEEPS9_S9_NSF_9__extrema9arg_max_fIllNS6_4lessIlEEEEEE10hipError_tPvRmT1_T2_T3_mT4_P12ihipStream_tbEUlT_E0_NS1_11comp_targetILNS1_3genE2ELNS1_11target_archE906ELNS1_3gpuE6ELNS1_3repE0EEENS1_30default_config_static_selectorELNS0_4arch9wavefront6targetE1EEEvST_
	.p2align	8
	.type	_ZN7rocprim17ROCPRIM_400000_NS6detail17trampoline_kernelINS0_14default_configENS1_22reduce_config_selectorIN6thrust23THRUST_200600_302600_NS5tupleIllNS6_9null_typeES8_S8_S8_S8_S8_S8_S8_EEEEZNS1_11reduce_implILb0ES3_NS6_12zip_iteratorINS7_INS6_10device_ptrIlEENS6_11hip_rocprim19counting_iterator_tIlEES8_S8_S8_S8_S8_S8_S8_S8_EEEEPS9_S9_NSF_9__extrema9arg_max_fIllNS6_4lessIlEEEEEE10hipError_tPvRmT1_T2_T3_mT4_P12ihipStream_tbEUlT_E0_NS1_11comp_targetILNS1_3genE2ELNS1_11target_archE906ELNS1_3gpuE6ELNS1_3repE0EEENS1_30default_config_static_selectorELNS0_4arch9wavefront6targetE1EEEvST_,@function
_ZN7rocprim17ROCPRIM_400000_NS6detail17trampoline_kernelINS0_14default_configENS1_22reduce_config_selectorIN6thrust23THRUST_200600_302600_NS5tupleIllNS6_9null_typeES8_S8_S8_S8_S8_S8_S8_EEEEZNS1_11reduce_implILb0ES3_NS6_12zip_iteratorINS7_INS6_10device_ptrIlEENS6_11hip_rocprim19counting_iterator_tIlEES8_S8_S8_S8_S8_S8_S8_S8_EEEEPS9_S9_NSF_9__extrema9arg_max_fIllNS6_4lessIlEEEEEE10hipError_tPvRmT1_T2_T3_mT4_P12ihipStream_tbEUlT_E0_NS1_11comp_targetILNS1_3genE2ELNS1_11target_archE906ELNS1_3gpuE6ELNS1_3repE0EEENS1_30default_config_static_selectorELNS0_4arch9wavefront6targetE1EEEvST_: ; @_ZN7rocprim17ROCPRIM_400000_NS6detail17trampoline_kernelINS0_14default_configENS1_22reduce_config_selectorIN6thrust23THRUST_200600_302600_NS5tupleIllNS6_9null_typeES8_S8_S8_S8_S8_S8_S8_EEEEZNS1_11reduce_implILb0ES3_NS6_12zip_iteratorINS7_INS6_10device_ptrIlEENS6_11hip_rocprim19counting_iterator_tIlEES8_S8_S8_S8_S8_S8_S8_S8_EEEEPS9_S9_NSF_9__extrema9arg_max_fIllNS6_4lessIlEEEEEE10hipError_tPvRmT1_T2_T3_mT4_P12ihipStream_tbEUlT_E0_NS1_11comp_targetILNS1_3genE2ELNS1_11target_archE906ELNS1_3gpuE6ELNS1_3repE0EEENS1_30default_config_static_selectorELNS0_4arch9wavefront6targetE1EEEvST_
; %bb.0:
	.section	.rodata,"a",@progbits
	.p2align	6, 0x0
	.amdhsa_kernel _ZN7rocprim17ROCPRIM_400000_NS6detail17trampoline_kernelINS0_14default_configENS1_22reduce_config_selectorIN6thrust23THRUST_200600_302600_NS5tupleIllNS6_9null_typeES8_S8_S8_S8_S8_S8_S8_EEEEZNS1_11reduce_implILb0ES3_NS6_12zip_iteratorINS7_INS6_10device_ptrIlEENS6_11hip_rocprim19counting_iterator_tIlEES8_S8_S8_S8_S8_S8_S8_S8_EEEEPS9_S9_NSF_9__extrema9arg_max_fIllNS6_4lessIlEEEEEE10hipError_tPvRmT1_T2_T3_mT4_P12ihipStream_tbEUlT_E0_NS1_11comp_targetILNS1_3genE2ELNS1_11target_archE906ELNS1_3gpuE6ELNS1_3repE0EEENS1_30default_config_static_selectorELNS0_4arch9wavefront6targetE1EEEvST_
		.amdhsa_group_segment_fixed_size 0
		.amdhsa_private_segment_fixed_size 0
		.amdhsa_kernarg_size 80
		.amdhsa_user_sgpr_count 6
		.amdhsa_user_sgpr_private_segment_buffer 1
		.amdhsa_user_sgpr_dispatch_ptr 0
		.amdhsa_user_sgpr_queue_ptr 0
		.amdhsa_user_sgpr_kernarg_segment_ptr 1
		.amdhsa_user_sgpr_dispatch_id 0
		.amdhsa_user_sgpr_flat_scratch_init 0
		.amdhsa_user_sgpr_kernarg_preload_length 0
		.amdhsa_user_sgpr_kernarg_preload_offset 0
		.amdhsa_user_sgpr_private_segment_size 0
		.amdhsa_uses_dynamic_stack 0
		.amdhsa_system_sgpr_private_segment_wavefront_offset 0
		.amdhsa_system_sgpr_workgroup_id_x 1
		.amdhsa_system_sgpr_workgroup_id_y 0
		.amdhsa_system_sgpr_workgroup_id_z 0
		.amdhsa_system_sgpr_workgroup_info 0
		.amdhsa_system_vgpr_workitem_id 0
		.amdhsa_next_free_vgpr 1
		.amdhsa_next_free_sgpr 0
		.amdhsa_accum_offset 4
		.amdhsa_reserve_vcc 0
		.amdhsa_reserve_flat_scratch 0
		.amdhsa_float_round_mode_32 0
		.amdhsa_float_round_mode_16_64 0
		.amdhsa_float_denorm_mode_32 3
		.amdhsa_float_denorm_mode_16_64 3
		.amdhsa_dx10_clamp 1
		.amdhsa_ieee_mode 1
		.amdhsa_fp16_overflow 0
		.amdhsa_tg_split 0
		.amdhsa_exception_fp_ieee_invalid_op 0
		.amdhsa_exception_fp_denorm_src 0
		.amdhsa_exception_fp_ieee_div_zero 0
		.amdhsa_exception_fp_ieee_overflow 0
		.amdhsa_exception_fp_ieee_underflow 0
		.amdhsa_exception_fp_ieee_inexact 0
		.amdhsa_exception_int_div_zero 0
	.end_amdhsa_kernel
	.section	.text._ZN7rocprim17ROCPRIM_400000_NS6detail17trampoline_kernelINS0_14default_configENS1_22reduce_config_selectorIN6thrust23THRUST_200600_302600_NS5tupleIllNS6_9null_typeES8_S8_S8_S8_S8_S8_S8_EEEEZNS1_11reduce_implILb0ES3_NS6_12zip_iteratorINS7_INS6_10device_ptrIlEENS6_11hip_rocprim19counting_iterator_tIlEES8_S8_S8_S8_S8_S8_S8_S8_EEEEPS9_S9_NSF_9__extrema9arg_max_fIllNS6_4lessIlEEEEEE10hipError_tPvRmT1_T2_T3_mT4_P12ihipStream_tbEUlT_E0_NS1_11comp_targetILNS1_3genE2ELNS1_11target_archE906ELNS1_3gpuE6ELNS1_3repE0EEENS1_30default_config_static_selectorELNS0_4arch9wavefront6targetE1EEEvST_,"axG",@progbits,_ZN7rocprim17ROCPRIM_400000_NS6detail17trampoline_kernelINS0_14default_configENS1_22reduce_config_selectorIN6thrust23THRUST_200600_302600_NS5tupleIllNS6_9null_typeES8_S8_S8_S8_S8_S8_S8_EEEEZNS1_11reduce_implILb0ES3_NS6_12zip_iteratorINS7_INS6_10device_ptrIlEENS6_11hip_rocprim19counting_iterator_tIlEES8_S8_S8_S8_S8_S8_S8_S8_EEEEPS9_S9_NSF_9__extrema9arg_max_fIllNS6_4lessIlEEEEEE10hipError_tPvRmT1_T2_T3_mT4_P12ihipStream_tbEUlT_E0_NS1_11comp_targetILNS1_3genE2ELNS1_11target_archE906ELNS1_3gpuE6ELNS1_3repE0EEENS1_30default_config_static_selectorELNS0_4arch9wavefront6targetE1EEEvST_,comdat
.Lfunc_end425:
	.size	_ZN7rocprim17ROCPRIM_400000_NS6detail17trampoline_kernelINS0_14default_configENS1_22reduce_config_selectorIN6thrust23THRUST_200600_302600_NS5tupleIllNS6_9null_typeES8_S8_S8_S8_S8_S8_S8_EEEEZNS1_11reduce_implILb0ES3_NS6_12zip_iteratorINS7_INS6_10device_ptrIlEENS6_11hip_rocprim19counting_iterator_tIlEES8_S8_S8_S8_S8_S8_S8_S8_EEEEPS9_S9_NSF_9__extrema9arg_max_fIllNS6_4lessIlEEEEEE10hipError_tPvRmT1_T2_T3_mT4_P12ihipStream_tbEUlT_E0_NS1_11comp_targetILNS1_3genE2ELNS1_11target_archE906ELNS1_3gpuE6ELNS1_3repE0EEENS1_30default_config_static_selectorELNS0_4arch9wavefront6targetE1EEEvST_, .Lfunc_end425-_ZN7rocprim17ROCPRIM_400000_NS6detail17trampoline_kernelINS0_14default_configENS1_22reduce_config_selectorIN6thrust23THRUST_200600_302600_NS5tupleIllNS6_9null_typeES8_S8_S8_S8_S8_S8_S8_EEEEZNS1_11reduce_implILb0ES3_NS6_12zip_iteratorINS7_INS6_10device_ptrIlEENS6_11hip_rocprim19counting_iterator_tIlEES8_S8_S8_S8_S8_S8_S8_S8_EEEEPS9_S9_NSF_9__extrema9arg_max_fIllNS6_4lessIlEEEEEE10hipError_tPvRmT1_T2_T3_mT4_P12ihipStream_tbEUlT_E0_NS1_11comp_targetILNS1_3genE2ELNS1_11target_archE906ELNS1_3gpuE6ELNS1_3repE0EEENS1_30default_config_static_selectorELNS0_4arch9wavefront6targetE1EEEvST_
                                        ; -- End function
	.section	.AMDGPU.csdata,"",@progbits
; Kernel info:
; codeLenInByte = 0
; NumSgprs: 4
; NumVgprs: 0
; NumAgprs: 0
; TotalNumVgprs: 0
; ScratchSize: 0
; MemoryBound: 0
; FloatMode: 240
; IeeeMode: 1
; LDSByteSize: 0 bytes/workgroup (compile time only)
; SGPRBlocks: 0
; VGPRBlocks: 0
; NumSGPRsForWavesPerEU: 4
; NumVGPRsForWavesPerEU: 1
; AccumOffset: 4
; Occupancy: 8
; WaveLimiterHint : 0
; COMPUTE_PGM_RSRC2:SCRATCH_EN: 0
; COMPUTE_PGM_RSRC2:USER_SGPR: 6
; COMPUTE_PGM_RSRC2:TRAP_HANDLER: 0
; COMPUTE_PGM_RSRC2:TGID_X_EN: 1
; COMPUTE_PGM_RSRC2:TGID_Y_EN: 0
; COMPUTE_PGM_RSRC2:TGID_Z_EN: 0
; COMPUTE_PGM_RSRC2:TIDIG_COMP_CNT: 0
; COMPUTE_PGM_RSRC3_GFX90A:ACCUM_OFFSET: 0
; COMPUTE_PGM_RSRC3_GFX90A:TG_SPLIT: 0
	.section	.text._ZN7rocprim17ROCPRIM_400000_NS6detail17trampoline_kernelINS0_14default_configENS1_22reduce_config_selectorIN6thrust23THRUST_200600_302600_NS5tupleIllNS6_9null_typeES8_S8_S8_S8_S8_S8_S8_EEEEZNS1_11reduce_implILb0ES3_NS6_12zip_iteratorINS7_INS6_10device_ptrIlEENS6_11hip_rocprim19counting_iterator_tIlEES8_S8_S8_S8_S8_S8_S8_S8_EEEEPS9_S9_NSF_9__extrema9arg_max_fIllNS6_4lessIlEEEEEE10hipError_tPvRmT1_T2_T3_mT4_P12ihipStream_tbEUlT_E0_NS1_11comp_targetILNS1_3genE10ELNS1_11target_archE1201ELNS1_3gpuE5ELNS1_3repE0EEENS1_30default_config_static_selectorELNS0_4arch9wavefront6targetE1EEEvST_,"axG",@progbits,_ZN7rocprim17ROCPRIM_400000_NS6detail17trampoline_kernelINS0_14default_configENS1_22reduce_config_selectorIN6thrust23THRUST_200600_302600_NS5tupleIllNS6_9null_typeES8_S8_S8_S8_S8_S8_S8_EEEEZNS1_11reduce_implILb0ES3_NS6_12zip_iteratorINS7_INS6_10device_ptrIlEENS6_11hip_rocprim19counting_iterator_tIlEES8_S8_S8_S8_S8_S8_S8_S8_EEEEPS9_S9_NSF_9__extrema9arg_max_fIllNS6_4lessIlEEEEEE10hipError_tPvRmT1_T2_T3_mT4_P12ihipStream_tbEUlT_E0_NS1_11comp_targetILNS1_3genE10ELNS1_11target_archE1201ELNS1_3gpuE5ELNS1_3repE0EEENS1_30default_config_static_selectorELNS0_4arch9wavefront6targetE1EEEvST_,comdat
	.protected	_ZN7rocprim17ROCPRIM_400000_NS6detail17trampoline_kernelINS0_14default_configENS1_22reduce_config_selectorIN6thrust23THRUST_200600_302600_NS5tupleIllNS6_9null_typeES8_S8_S8_S8_S8_S8_S8_EEEEZNS1_11reduce_implILb0ES3_NS6_12zip_iteratorINS7_INS6_10device_ptrIlEENS6_11hip_rocprim19counting_iterator_tIlEES8_S8_S8_S8_S8_S8_S8_S8_EEEEPS9_S9_NSF_9__extrema9arg_max_fIllNS6_4lessIlEEEEEE10hipError_tPvRmT1_T2_T3_mT4_P12ihipStream_tbEUlT_E0_NS1_11comp_targetILNS1_3genE10ELNS1_11target_archE1201ELNS1_3gpuE5ELNS1_3repE0EEENS1_30default_config_static_selectorELNS0_4arch9wavefront6targetE1EEEvST_ ; -- Begin function _ZN7rocprim17ROCPRIM_400000_NS6detail17trampoline_kernelINS0_14default_configENS1_22reduce_config_selectorIN6thrust23THRUST_200600_302600_NS5tupleIllNS6_9null_typeES8_S8_S8_S8_S8_S8_S8_EEEEZNS1_11reduce_implILb0ES3_NS6_12zip_iteratorINS7_INS6_10device_ptrIlEENS6_11hip_rocprim19counting_iterator_tIlEES8_S8_S8_S8_S8_S8_S8_S8_EEEEPS9_S9_NSF_9__extrema9arg_max_fIllNS6_4lessIlEEEEEE10hipError_tPvRmT1_T2_T3_mT4_P12ihipStream_tbEUlT_E0_NS1_11comp_targetILNS1_3genE10ELNS1_11target_archE1201ELNS1_3gpuE5ELNS1_3repE0EEENS1_30default_config_static_selectorELNS0_4arch9wavefront6targetE1EEEvST_
	.globl	_ZN7rocprim17ROCPRIM_400000_NS6detail17trampoline_kernelINS0_14default_configENS1_22reduce_config_selectorIN6thrust23THRUST_200600_302600_NS5tupleIllNS6_9null_typeES8_S8_S8_S8_S8_S8_S8_EEEEZNS1_11reduce_implILb0ES3_NS6_12zip_iteratorINS7_INS6_10device_ptrIlEENS6_11hip_rocprim19counting_iterator_tIlEES8_S8_S8_S8_S8_S8_S8_S8_EEEEPS9_S9_NSF_9__extrema9arg_max_fIllNS6_4lessIlEEEEEE10hipError_tPvRmT1_T2_T3_mT4_P12ihipStream_tbEUlT_E0_NS1_11comp_targetILNS1_3genE10ELNS1_11target_archE1201ELNS1_3gpuE5ELNS1_3repE0EEENS1_30default_config_static_selectorELNS0_4arch9wavefront6targetE1EEEvST_
	.p2align	8
	.type	_ZN7rocprim17ROCPRIM_400000_NS6detail17trampoline_kernelINS0_14default_configENS1_22reduce_config_selectorIN6thrust23THRUST_200600_302600_NS5tupleIllNS6_9null_typeES8_S8_S8_S8_S8_S8_S8_EEEEZNS1_11reduce_implILb0ES3_NS6_12zip_iteratorINS7_INS6_10device_ptrIlEENS6_11hip_rocprim19counting_iterator_tIlEES8_S8_S8_S8_S8_S8_S8_S8_EEEEPS9_S9_NSF_9__extrema9arg_max_fIllNS6_4lessIlEEEEEE10hipError_tPvRmT1_T2_T3_mT4_P12ihipStream_tbEUlT_E0_NS1_11comp_targetILNS1_3genE10ELNS1_11target_archE1201ELNS1_3gpuE5ELNS1_3repE0EEENS1_30default_config_static_selectorELNS0_4arch9wavefront6targetE1EEEvST_,@function
_ZN7rocprim17ROCPRIM_400000_NS6detail17trampoline_kernelINS0_14default_configENS1_22reduce_config_selectorIN6thrust23THRUST_200600_302600_NS5tupleIllNS6_9null_typeES8_S8_S8_S8_S8_S8_S8_EEEEZNS1_11reduce_implILb0ES3_NS6_12zip_iteratorINS7_INS6_10device_ptrIlEENS6_11hip_rocprim19counting_iterator_tIlEES8_S8_S8_S8_S8_S8_S8_S8_EEEEPS9_S9_NSF_9__extrema9arg_max_fIllNS6_4lessIlEEEEEE10hipError_tPvRmT1_T2_T3_mT4_P12ihipStream_tbEUlT_E0_NS1_11comp_targetILNS1_3genE10ELNS1_11target_archE1201ELNS1_3gpuE5ELNS1_3repE0EEENS1_30default_config_static_selectorELNS0_4arch9wavefront6targetE1EEEvST_: ; @_ZN7rocprim17ROCPRIM_400000_NS6detail17trampoline_kernelINS0_14default_configENS1_22reduce_config_selectorIN6thrust23THRUST_200600_302600_NS5tupleIllNS6_9null_typeES8_S8_S8_S8_S8_S8_S8_EEEEZNS1_11reduce_implILb0ES3_NS6_12zip_iteratorINS7_INS6_10device_ptrIlEENS6_11hip_rocprim19counting_iterator_tIlEES8_S8_S8_S8_S8_S8_S8_S8_EEEEPS9_S9_NSF_9__extrema9arg_max_fIllNS6_4lessIlEEEEEE10hipError_tPvRmT1_T2_T3_mT4_P12ihipStream_tbEUlT_E0_NS1_11comp_targetILNS1_3genE10ELNS1_11target_archE1201ELNS1_3gpuE5ELNS1_3repE0EEENS1_30default_config_static_selectorELNS0_4arch9wavefront6targetE1EEEvST_
; %bb.0:
	.section	.rodata,"a",@progbits
	.p2align	6, 0x0
	.amdhsa_kernel _ZN7rocprim17ROCPRIM_400000_NS6detail17trampoline_kernelINS0_14default_configENS1_22reduce_config_selectorIN6thrust23THRUST_200600_302600_NS5tupleIllNS6_9null_typeES8_S8_S8_S8_S8_S8_S8_EEEEZNS1_11reduce_implILb0ES3_NS6_12zip_iteratorINS7_INS6_10device_ptrIlEENS6_11hip_rocprim19counting_iterator_tIlEES8_S8_S8_S8_S8_S8_S8_S8_EEEEPS9_S9_NSF_9__extrema9arg_max_fIllNS6_4lessIlEEEEEE10hipError_tPvRmT1_T2_T3_mT4_P12ihipStream_tbEUlT_E0_NS1_11comp_targetILNS1_3genE10ELNS1_11target_archE1201ELNS1_3gpuE5ELNS1_3repE0EEENS1_30default_config_static_selectorELNS0_4arch9wavefront6targetE1EEEvST_
		.amdhsa_group_segment_fixed_size 0
		.amdhsa_private_segment_fixed_size 0
		.amdhsa_kernarg_size 80
		.amdhsa_user_sgpr_count 6
		.amdhsa_user_sgpr_private_segment_buffer 1
		.amdhsa_user_sgpr_dispatch_ptr 0
		.amdhsa_user_sgpr_queue_ptr 0
		.amdhsa_user_sgpr_kernarg_segment_ptr 1
		.amdhsa_user_sgpr_dispatch_id 0
		.amdhsa_user_sgpr_flat_scratch_init 0
		.amdhsa_user_sgpr_kernarg_preload_length 0
		.amdhsa_user_sgpr_kernarg_preload_offset 0
		.amdhsa_user_sgpr_private_segment_size 0
		.amdhsa_uses_dynamic_stack 0
		.amdhsa_system_sgpr_private_segment_wavefront_offset 0
		.amdhsa_system_sgpr_workgroup_id_x 1
		.amdhsa_system_sgpr_workgroup_id_y 0
		.amdhsa_system_sgpr_workgroup_id_z 0
		.amdhsa_system_sgpr_workgroup_info 0
		.amdhsa_system_vgpr_workitem_id 0
		.amdhsa_next_free_vgpr 1
		.amdhsa_next_free_sgpr 0
		.amdhsa_accum_offset 4
		.amdhsa_reserve_vcc 0
		.amdhsa_reserve_flat_scratch 0
		.amdhsa_float_round_mode_32 0
		.amdhsa_float_round_mode_16_64 0
		.amdhsa_float_denorm_mode_32 3
		.amdhsa_float_denorm_mode_16_64 3
		.amdhsa_dx10_clamp 1
		.amdhsa_ieee_mode 1
		.amdhsa_fp16_overflow 0
		.amdhsa_tg_split 0
		.amdhsa_exception_fp_ieee_invalid_op 0
		.amdhsa_exception_fp_denorm_src 0
		.amdhsa_exception_fp_ieee_div_zero 0
		.amdhsa_exception_fp_ieee_overflow 0
		.amdhsa_exception_fp_ieee_underflow 0
		.amdhsa_exception_fp_ieee_inexact 0
		.amdhsa_exception_int_div_zero 0
	.end_amdhsa_kernel
	.section	.text._ZN7rocprim17ROCPRIM_400000_NS6detail17trampoline_kernelINS0_14default_configENS1_22reduce_config_selectorIN6thrust23THRUST_200600_302600_NS5tupleIllNS6_9null_typeES8_S8_S8_S8_S8_S8_S8_EEEEZNS1_11reduce_implILb0ES3_NS6_12zip_iteratorINS7_INS6_10device_ptrIlEENS6_11hip_rocprim19counting_iterator_tIlEES8_S8_S8_S8_S8_S8_S8_S8_EEEEPS9_S9_NSF_9__extrema9arg_max_fIllNS6_4lessIlEEEEEE10hipError_tPvRmT1_T2_T3_mT4_P12ihipStream_tbEUlT_E0_NS1_11comp_targetILNS1_3genE10ELNS1_11target_archE1201ELNS1_3gpuE5ELNS1_3repE0EEENS1_30default_config_static_selectorELNS0_4arch9wavefront6targetE1EEEvST_,"axG",@progbits,_ZN7rocprim17ROCPRIM_400000_NS6detail17trampoline_kernelINS0_14default_configENS1_22reduce_config_selectorIN6thrust23THRUST_200600_302600_NS5tupleIllNS6_9null_typeES8_S8_S8_S8_S8_S8_S8_EEEEZNS1_11reduce_implILb0ES3_NS6_12zip_iteratorINS7_INS6_10device_ptrIlEENS6_11hip_rocprim19counting_iterator_tIlEES8_S8_S8_S8_S8_S8_S8_S8_EEEEPS9_S9_NSF_9__extrema9arg_max_fIllNS6_4lessIlEEEEEE10hipError_tPvRmT1_T2_T3_mT4_P12ihipStream_tbEUlT_E0_NS1_11comp_targetILNS1_3genE10ELNS1_11target_archE1201ELNS1_3gpuE5ELNS1_3repE0EEENS1_30default_config_static_selectorELNS0_4arch9wavefront6targetE1EEEvST_,comdat
.Lfunc_end426:
	.size	_ZN7rocprim17ROCPRIM_400000_NS6detail17trampoline_kernelINS0_14default_configENS1_22reduce_config_selectorIN6thrust23THRUST_200600_302600_NS5tupleIllNS6_9null_typeES8_S8_S8_S8_S8_S8_S8_EEEEZNS1_11reduce_implILb0ES3_NS6_12zip_iteratorINS7_INS6_10device_ptrIlEENS6_11hip_rocprim19counting_iterator_tIlEES8_S8_S8_S8_S8_S8_S8_S8_EEEEPS9_S9_NSF_9__extrema9arg_max_fIllNS6_4lessIlEEEEEE10hipError_tPvRmT1_T2_T3_mT4_P12ihipStream_tbEUlT_E0_NS1_11comp_targetILNS1_3genE10ELNS1_11target_archE1201ELNS1_3gpuE5ELNS1_3repE0EEENS1_30default_config_static_selectorELNS0_4arch9wavefront6targetE1EEEvST_, .Lfunc_end426-_ZN7rocprim17ROCPRIM_400000_NS6detail17trampoline_kernelINS0_14default_configENS1_22reduce_config_selectorIN6thrust23THRUST_200600_302600_NS5tupleIllNS6_9null_typeES8_S8_S8_S8_S8_S8_S8_EEEEZNS1_11reduce_implILb0ES3_NS6_12zip_iteratorINS7_INS6_10device_ptrIlEENS6_11hip_rocprim19counting_iterator_tIlEES8_S8_S8_S8_S8_S8_S8_S8_EEEEPS9_S9_NSF_9__extrema9arg_max_fIllNS6_4lessIlEEEEEE10hipError_tPvRmT1_T2_T3_mT4_P12ihipStream_tbEUlT_E0_NS1_11comp_targetILNS1_3genE10ELNS1_11target_archE1201ELNS1_3gpuE5ELNS1_3repE0EEENS1_30default_config_static_selectorELNS0_4arch9wavefront6targetE1EEEvST_
                                        ; -- End function
	.section	.AMDGPU.csdata,"",@progbits
; Kernel info:
; codeLenInByte = 0
; NumSgprs: 4
; NumVgprs: 0
; NumAgprs: 0
; TotalNumVgprs: 0
; ScratchSize: 0
; MemoryBound: 0
; FloatMode: 240
; IeeeMode: 1
; LDSByteSize: 0 bytes/workgroup (compile time only)
; SGPRBlocks: 0
; VGPRBlocks: 0
; NumSGPRsForWavesPerEU: 4
; NumVGPRsForWavesPerEU: 1
; AccumOffset: 4
; Occupancy: 8
; WaveLimiterHint : 0
; COMPUTE_PGM_RSRC2:SCRATCH_EN: 0
; COMPUTE_PGM_RSRC2:USER_SGPR: 6
; COMPUTE_PGM_RSRC2:TRAP_HANDLER: 0
; COMPUTE_PGM_RSRC2:TGID_X_EN: 1
; COMPUTE_PGM_RSRC2:TGID_Y_EN: 0
; COMPUTE_PGM_RSRC2:TGID_Z_EN: 0
; COMPUTE_PGM_RSRC2:TIDIG_COMP_CNT: 0
; COMPUTE_PGM_RSRC3_GFX90A:ACCUM_OFFSET: 0
; COMPUTE_PGM_RSRC3_GFX90A:TG_SPLIT: 0
	.section	.text._ZN7rocprim17ROCPRIM_400000_NS6detail17trampoline_kernelINS0_14default_configENS1_22reduce_config_selectorIN6thrust23THRUST_200600_302600_NS5tupleIllNS6_9null_typeES8_S8_S8_S8_S8_S8_S8_EEEEZNS1_11reduce_implILb0ES3_NS6_12zip_iteratorINS7_INS6_10device_ptrIlEENS6_11hip_rocprim19counting_iterator_tIlEES8_S8_S8_S8_S8_S8_S8_S8_EEEEPS9_S9_NSF_9__extrema9arg_max_fIllNS6_4lessIlEEEEEE10hipError_tPvRmT1_T2_T3_mT4_P12ihipStream_tbEUlT_E0_NS1_11comp_targetILNS1_3genE10ELNS1_11target_archE1200ELNS1_3gpuE4ELNS1_3repE0EEENS1_30default_config_static_selectorELNS0_4arch9wavefront6targetE1EEEvST_,"axG",@progbits,_ZN7rocprim17ROCPRIM_400000_NS6detail17trampoline_kernelINS0_14default_configENS1_22reduce_config_selectorIN6thrust23THRUST_200600_302600_NS5tupleIllNS6_9null_typeES8_S8_S8_S8_S8_S8_S8_EEEEZNS1_11reduce_implILb0ES3_NS6_12zip_iteratorINS7_INS6_10device_ptrIlEENS6_11hip_rocprim19counting_iterator_tIlEES8_S8_S8_S8_S8_S8_S8_S8_EEEEPS9_S9_NSF_9__extrema9arg_max_fIllNS6_4lessIlEEEEEE10hipError_tPvRmT1_T2_T3_mT4_P12ihipStream_tbEUlT_E0_NS1_11comp_targetILNS1_3genE10ELNS1_11target_archE1200ELNS1_3gpuE4ELNS1_3repE0EEENS1_30default_config_static_selectorELNS0_4arch9wavefront6targetE1EEEvST_,comdat
	.protected	_ZN7rocprim17ROCPRIM_400000_NS6detail17trampoline_kernelINS0_14default_configENS1_22reduce_config_selectorIN6thrust23THRUST_200600_302600_NS5tupleIllNS6_9null_typeES8_S8_S8_S8_S8_S8_S8_EEEEZNS1_11reduce_implILb0ES3_NS6_12zip_iteratorINS7_INS6_10device_ptrIlEENS6_11hip_rocprim19counting_iterator_tIlEES8_S8_S8_S8_S8_S8_S8_S8_EEEEPS9_S9_NSF_9__extrema9arg_max_fIllNS6_4lessIlEEEEEE10hipError_tPvRmT1_T2_T3_mT4_P12ihipStream_tbEUlT_E0_NS1_11comp_targetILNS1_3genE10ELNS1_11target_archE1200ELNS1_3gpuE4ELNS1_3repE0EEENS1_30default_config_static_selectorELNS0_4arch9wavefront6targetE1EEEvST_ ; -- Begin function _ZN7rocprim17ROCPRIM_400000_NS6detail17trampoline_kernelINS0_14default_configENS1_22reduce_config_selectorIN6thrust23THRUST_200600_302600_NS5tupleIllNS6_9null_typeES8_S8_S8_S8_S8_S8_S8_EEEEZNS1_11reduce_implILb0ES3_NS6_12zip_iteratorINS7_INS6_10device_ptrIlEENS6_11hip_rocprim19counting_iterator_tIlEES8_S8_S8_S8_S8_S8_S8_S8_EEEEPS9_S9_NSF_9__extrema9arg_max_fIllNS6_4lessIlEEEEEE10hipError_tPvRmT1_T2_T3_mT4_P12ihipStream_tbEUlT_E0_NS1_11comp_targetILNS1_3genE10ELNS1_11target_archE1200ELNS1_3gpuE4ELNS1_3repE0EEENS1_30default_config_static_selectorELNS0_4arch9wavefront6targetE1EEEvST_
	.globl	_ZN7rocprim17ROCPRIM_400000_NS6detail17trampoline_kernelINS0_14default_configENS1_22reduce_config_selectorIN6thrust23THRUST_200600_302600_NS5tupleIllNS6_9null_typeES8_S8_S8_S8_S8_S8_S8_EEEEZNS1_11reduce_implILb0ES3_NS6_12zip_iteratorINS7_INS6_10device_ptrIlEENS6_11hip_rocprim19counting_iterator_tIlEES8_S8_S8_S8_S8_S8_S8_S8_EEEEPS9_S9_NSF_9__extrema9arg_max_fIllNS6_4lessIlEEEEEE10hipError_tPvRmT1_T2_T3_mT4_P12ihipStream_tbEUlT_E0_NS1_11comp_targetILNS1_3genE10ELNS1_11target_archE1200ELNS1_3gpuE4ELNS1_3repE0EEENS1_30default_config_static_selectorELNS0_4arch9wavefront6targetE1EEEvST_
	.p2align	8
	.type	_ZN7rocprim17ROCPRIM_400000_NS6detail17trampoline_kernelINS0_14default_configENS1_22reduce_config_selectorIN6thrust23THRUST_200600_302600_NS5tupleIllNS6_9null_typeES8_S8_S8_S8_S8_S8_S8_EEEEZNS1_11reduce_implILb0ES3_NS6_12zip_iteratorINS7_INS6_10device_ptrIlEENS6_11hip_rocprim19counting_iterator_tIlEES8_S8_S8_S8_S8_S8_S8_S8_EEEEPS9_S9_NSF_9__extrema9arg_max_fIllNS6_4lessIlEEEEEE10hipError_tPvRmT1_T2_T3_mT4_P12ihipStream_tbEUlT_E0_NS1_11comp_targetILNS1_3genE10ELNS1_11target_archE1200ELNS1_3gpuE4ELNS1_3repE0EEENS1_30default_config_static_selectorELNS0_4arch9wavefront6targetE1EEEvST_,@function
_ZN7rocprim17ROCPRIM_400000_NS6detail17trampoline_kernelINS0_14default_configENS1_22reduce_config_selectorIN6thrust23THRUST_200600_302600_NS5tupleIllNS6_9null_typeES8_S8_S8_S8_S8_S8_S8_EEEEZNS1_11reduce_implILb0ES3_NS6_12zip_iteratorINS7_INS6_10device_ptrIlEENS6_11hip_rocprim19counting_iterator_tIlEES8_S8_S8_S8_S8_S8_S8_S8_EEEEPS9_S9_NSF_9__extrema9arg_max_fIllNS6_4lessIlEEEEEE10hipError_tPvRmT1_T2_T3_mT4_P12ihipStream_tbEUlT_E0_NS1_11comp_targetILNS1_3genE10ELNS1_11target_archE1200ELNS1_3gpuE4ELNS1_3repE0EEENS1_30default_config_static_selectorELNS0_4arch9wavefront6targetE1EEEvST_: ; @_ZN7rocprim17ROCPRIM_400000_NS6detail17trampoline_kernelINS0_14default_configENS1_22reduce_config_selectorIN6thrust23THRUST_200600_302600_NS5tupleIllNS6_9null_typeES8_S8_S8_S8_S8_S8_S8_EEEEZNS1_11reduce_implILb0ES3_NS6_12zip_iteratorINS7_INS6_10device_ptrIlEENS6_11hip_rocprim19counting_iterator_tIlEES8_S8_S8_S8_S8_S8_S8_S8_EEEEPS9_S9_NSF_9__extrema9arg_max_fIllNS6_4lessIlEEEEEE10hipError_tPvRmT1_T2_T3_mT4_P12ihipStream_tbEUlT_E0_NS1_11comp_targetILNS1_3genE10ELNS1_11target_archE1200ELNS1_3gpuE4ELNS1_3repE0EEENS1_30default_config_static_selectorELNS0_4arch9wavefront6targetE1EEEvST_
; %bb.0:
	.section	.rodata,"a",@progbits
	.p2align	6, 0x0
	.amdhsa_kernel _ZN7rocprim17ROCPRIM_400000_NS6detail17trampoline_kernelINS0_14default_configENS1_22reduce_config_selectorIN6thrust23THRUST_200600_302600_NS5tupleIllNS6_9null_typeES8_S8_S8_S8_S8_S8_S8_EEEEZNS1_11reduce_implILb0ES3_NS6_12zip_iteratorINS7_INS6_10device_ptrIlEENS6_11hip_rocprim19counting_iterator_tIlEES8_S8_S8_S8_S8_S8_S8_S8_EEEEPS9_S9_NSF_9__extrema9arg_max_fIllNS6_4lessIlEEEEEE10hipError_tPvRmT1_T2_T3_mT4_P12ihipStream_tbEUlT_E0_NS1_11comp_targetILNS1_3genE10ELNS1_11target_archE1200ELNS1_3gpuE4ELNS1_3repE0EEENS1_30default_config_static_selectorELNS0_4arch9wavefront6targetE1EEEvST_
		.amdhsa_group_segment_fixed_size 0
		.amdhsa_private_segment_fixed_size 0
		.amdhsa_kernarg_size 80
		.amdhsa_user_sgpr_count 6
		.amdhsa_user_sgpr_private_segment_buffer 1
		.amdhsa_user_sgpr_dispatch_ptr 0
		.amdhsa_user_sgpr_queue_ptr 0
		.amdhsa_user_sgpr_kernarg_segment_ptr 1
		.amdhsa_user_sgpr_dispatch_id 0
		.amdhsa_user_sgpr_flat_scratch_init 0
		.amdhsa_user_sgpr_kernarg_preload_length 0
		.amdhsa_user_sgpr_kernarg_preload_offset 0
		.amdhsa_user_sgpr_private_segment_size 0
		.amdhsa_uses_dynamic_stack 0
		.amdhsa_system_sgpr_private_segment_wavefront_offset 0
		.amdhsa_system_sgpr_workgroup_id_x 1
		.amdhsa_system_sgpr_workgroup_id_y 0
		.amdhsa_system_sgpr_workgroup_id_z 0
		.amdhsa_system_sgpr_workgroup_info 0
		.amdhsa_system_vgpr_workitem_id 0
		.amdhsa_next_free_vgpr 1
		.amdhsa_next_free_sgpr 0
		.amdhsa_accum_offset 4
		.amdhsa_reserve_vcc 0
		.amdhsa_reserve_flat_scratch 0
		.amdhsa_float_round_mode_32 0
		.amdhsa_float_round_mode_16_64 0
		.amdhsa_float_denorm_mode_32 3
		.amdhsa_float_denorm_mode_16_64 3
		.amdhsa_dx10_clamp 1
		.amdhsa_ieee_mode 1
		.amdhsa_fp16_overflow 0
		.amdhsa_tg_split 0
		.amdhsa_exception_fp_ieee_invalid_op 0
		.amdhsa_exception_fp_denorm_src 0
		.amdhsa_exception_fp_ieee_div_zero 0
		.amdhsa_exception_fp_ieee_overflow 0
		.amdhsa_exception_fp_ieee_underflow 0
		.amdhsa_exception_fp_ieee_inexact 0
		.amdhsa_exception_int_div_zero 0
	.end_amdhsa_kernel
	.section	.text._ZN7rocprim17ROCPRIM_400000_NS6detail17trampoline_kernelINS0_14default_configENS1_22reduce_config_selectorIN6thrust23THRUST_200600_302600_NS5tupleIllNS6_9null_typeES8_S8_S8_S8_S8_S8_S8_EEEEZNS1_11reduce_implILb0ES3_NS6_12zip_iteratorINS7_INS6_10device_ptrIlEENS6_11hip_rocprim19counting_iterator_tIlEES8_S8_S8_S8_S8_S8_S8_S8_EEEEPS9_S9_NSF_9__extrema9arg_max_fIllNS6_4lessIlEEEEEE10hipError_tPvRmT1_T2_T3_mT4_P12ihipStream_tbEUlT_E0_NS1_11comp_targetILNS1_3genE10ELNS1_11target_archE1200ELNS1_3gpuE4ELNS1_3repE0EEENS1_30default_config_static_selectorELNS0_4arch9wavefront6targetE1EEEvST_,"axG",@progbits,_ZN7rocprim17ROCPRIM_400000_NS6detail17trampoline_kernelINS0_14default_configENS1_22reduce_config_selectorIN6thrust23THRUST_200600_302600_NS5tupleIllNS6_9null_typeES8_S8_S8_S8_S8_S8_S8_EEEEZNS1_11reduce_implILb0ES3_NS6_12zip_iteratorINS7_INS6_10device_ptrIlEENS6_11hip_rocprim19counting_iterator_tIlEES8_S8_S8_S8_S8_S8_S8_S8_EEEEPS9_S9_NSF_9__extrema9arg_max_fIllNS6_4lessIlEEEEEE10hipError_tPvRmT1_T2_T3_mT4_P12ihipStream_tbEUlT_E0_NS1_11comp_targetILNS1_3genE10ELNS1_11target_archE1200ELNS1_3gpuE4ELNS1_3repE0EEENS1_30default_config_static_selectorELNS0_4arch9wavefront6targetE1EEEvST_,comdat
.Lfunc_end427:
	.size	_ZN7rocprim17ROCPRIM_400000_NS6detail17trampoline_kernelINS0_14default_configENS1_22reduce_config_selectorIN6thrust23THRUST_200600_302600_NS5tupleIllNS6_9null_typeES8_S8_S8_S8_S8_S8_S8_EEEEZNS1_11reduce_implILb0ES3_NS6_12zip_iteratorINS7_INS6_10device_ptrIlEENS6_11hip_rocprim19counting_iterator_tIlEES8_S8_S8_S8_S8_S8_S8_S8_EEEEPS9_S9_NSF_9__extrema9arg_max_fIllNS6_4lessIlEEEEEE10hipError_tPvRmT1_T2_T3_mT4_P12ihipStream_tbEUlT_E0_NS1_11comp_targetILNS1_3genE10ELNS1_11target_archE1200ELNS1_3gpuE4ELNS1_3repE0EEENS1_30default_config_static_selectorELNS0_4arch9wavefront6targetE1EEEvST_, .Lfunc_end427-_ZN7rocprim17ROCPRIM_400000_NS6detail17trampoline_kernelINS0_14default_configENS1_22reduce_config_selectorIN6thrust23THRUST_200600_302600_NS5tupleIllNS6_9null_typeES8_S8_S8_S8_S8_S8_S8_EEEEZNS1_11reduce_implILb0ES3_NS6_12zip_iteratorINS7_INS6_10device_ptrIlEENS6_11hip_rocprim19counting_iterator_tIlEES8_S8_S8_S8_S8_S8_S8_S8_EEEEPS9_S9_NSF_9__extrema9arg_max_fIllNS6_4lessIlEEEEEE10hipError_tPvRmT1_T2_T3_mT4_P12ihipStream_tbEUlT_E0_NS1_11comp_targetILNS1_3genE10ELNS1_11target_archE1200ELNS1_3gpuE4ELNS1_3repE0EEENS1_30default_config_static_selectorELNS0_4arch9wavefront6targetE1EEEvST_
                                        ; -- End function
	.section	.AMDGPU.csdata,"",@progbits
; Kernel info:
; codeLenInByte = 0
; NumSgprs: 4
; NumVgprs: 0
; NumAgprs: 0
; TotalNumVgprs: 0
; ScratchSize: 0
; MemoryBound: 0
; FloatMode: 240
; IeeeMode: 1
; LDSByteSize: 0 bytes/workgroup (compile time only)
; SGPRBlocks: 0
; VGPRBlocks: 0
; NumSGPRsForWavesPerEU: 4
; NumVGPRsForWavesPerEU: 1
; AccumOffset: 4
; Occupancy: 8
; WaveLimiterHint : 0
; COMPUTE_PGM_RSRC2:SCRATCH_EN: 0
; COMPUTE_PGM_RSRC2:USER_SGPR: 6
; COMPUTE_PGM_RSRC2:TRAP_HANDLER: 0
; COMPUTE_PGM_RSRC2:TGID_X_EN: 1
; COMPUTE_PGM_RSRC2:TGID_Y_EN: 0
; COMPUTE_PGM_RSRC2:TGID_Z_EN: 0
; COMPUTE_PGM_RSRC2:TIDIG_COMP_CNT: 0
; COMPUTE_PGM_RSRC3_GFX90A:ACCUM_OFFSET: 0
; COMPUTE_PGM_RSRC3_GFX90A:TG_SPLIT: 0
	.section	.text._ZN7rocprim17ROCPRIM_400000_NS6detail17trampoline_kernelINS0_14default_configENS1_22reduce_config_selectorIN6thrust23THRUST_200600_302600_NS5tupleIllNS6_9null_typeES8_S8_S8_S8_S8_S8_S8_EEEEZNS1_11reduce_implILb0ES3_NS6_12zip_iteratorINS7_INS6_10device_ptrIlEENS6_11hip_rocprim19counting_iterator_tIlEES8_S8_S8_S8_S8_S8_S8_S8_EEEEPS9_S9_NSF_9__extrema9arg_max_fIllNS6_4lessIlEEEEEE10hipError_tPvRmT1_T2_T3_mT4_P12ihipStream_tbEUlT_E0_NS1_11comp_targetILNS1_3genE9ELNS1_11target_archE1100ELNS1_3gpuE3ELNS1_3repE0EEENS1_30default_config_static_selectorELNS0_4arch9wavefront6targetE1EEEvST_,"axG",@progbits,_ZN7rocprim17ROCPRIM_400000_NS6detail17trampoline_kernelINS0_14default_configENS1_22reduce_config_selectorIN6thrust23THRUST_200600_302600_NS5tupleIllNS6_9null_typeES8_S8_S8_S8_S8_S8_S8_EEEEZNS1_11reduce_implILb0ES3_NS6_12zip_iteratorINS7_INS6_10device_ptrIlEENS6_11hip_rocprim19counting_iterator_tIlEES8_S8_S8_S8_S8_S8_S8_S8_EEEEPS9_S9_NSF_9__extrema9arg_max_fIllNS6_4lessIlEEEEEE10hipError_tPvRmT1_T2_T3_mT4_P12ihipStream_tbEUlT_E0_NS1_11comp_targetILNS1_3genE9ELNS1_11target_archE1100ELNS1_3gpuE3ELNS1_3repE0EEENS1_30default_config_static_selectorELNS0_4arch9wavefront6targetE1EEEvST_,comdat
	.protected	_ZN7rocprim17ROCPRIM_400000_NS6detail17trampoline_kernelINS0_14default_configENS1_22reduce_config_selectorIN6thrust23THRUST_200600_302600_NS5tupleIllNS6_9null_typeES8_S8_S8_S8_S8_S8_S8_EEEEZNS1_11reduce_implILb0ES3_NS6_12zip_iteratorINS7_INS6_10device_ptrIlEENS6_11hip_rocprim19counting_iterator_tIlEES8_S8_S8_S8_S8_S8_S8_S8_EEEEPS9_S9_NSF_9__extrema9arg_max_fIllNS6_4lessIlEEEEEE10hipError_tPvRmT1_T2_T3_mT4_P12ihipStream_tbEUlT_E0_NS1_11comp_targetILNS1_3genE9ELNS1_11target_archE1100ELNS1_3gpuE3ELNS1_3repE0EEENS1_30default_config_static_selectorELNS0_4arch9wavefront6targetE1EEEvST_ ; -- Begin function _ZN7rocprim17ROCPRIM_400000_NS6detail17trampoline_kernelINS0_14default_configENS1_22reduce_config_selectorIN6thrust23THRUST_200600_302600_NS5tupleIllNS6_9null_typeES8_S8_S8_S8_S8_S8_S8_EEEEZNS1_11reduce_implILb0ES3_NS6_12zip_iteratorINS7_INS6_10device_ptrIlEENS6_11hip_rocprim19counting_iterator_tIlEES8_S8_S8_S8_S8_S8_S8_S8_EEEEPS9_S9_NSF_9__extrema9arg_max_fIllNS6_4lessIlEEEEEE10hipError_tPvRmT1_T2_T3_mT4_P12ihipStream_tbEUlT_E0_NS1_11comp_targetILNS1_3genE9ELNS1_11target_archE1100ELNS1_3gpuE3ELNS1_3repE0EEENS1_30default_config_static_selectorELNS0_4arch9wavefront6targetE1EEEvST_
	.globl	_ZN7rocprim17ROCPRIM_400000_NS6detail17trampoline_kernelINS0_14default_configENS1_22reduce_config_selectorIN6thrust23THRUST_200600_302600_NS5tupleIllNS6_9null_typeES8_S8_S8_S8_S8_S8_S8_EEEEZNS1_11reduce_implILb0ES3_NS6_12zip_iteratorINS7_INS6_10device_ptrIlEENS6_11hip_rocprim19counting_iterator_tIlEES8_S8_S8_S8_S8_S8_S8_S8_EEEEPS9_S9_NSF_9__extrema9arg_max_fIllNS6_4lessIlEEEEEE10hipError_tPvRmT1_T2_T3_mT4_P12ihipStream_tbEUlT_E0_NS1_11comp_targetILNS1_3genE9ELNS1_11target_archE1100ELNS1_3gpuE3ELNS1_3repE0EEENS1_30default_config_static_selectorELNS0_4arch9wavefront6targetE1EEEvST_
	.p2align	8
	.type	_ZN7rocprim17ROCPRIM_400000_NS6detail17trampoline_kernelINS0_14default_configENS1_22reduce_config_selectorIN6thrust23THRUST_200600_302600_NS5tupleIllNS6_9null_typeES8_S8_S8_S8_S8_S8_S8_EEEEZNS1_11reduce_implILb0ES3_NS6_12zip_iteratorINS7_INS6_10device_ptrIlEENS6_11hip_rocprim19counting_iterator_tIlEES8_S8_S8_S8_S8_S8_S8_S8_EEEEPS9_S9_NSF_9__extrema9arg_max_fIllNS6_4lessIlEEEEEE10hipError_tPvRmT1_T2_T3_mT4_P12ihipStream_tbEUlT_E0_NS1_11comp_targetILNS1_3genE9ELNS1_11target_archE1100ELNS1_3gpuE3ELNS1_3repE0EEENS1_30default_config_static_selectorELNS0_4arch9wavefront6targetE1EEEvST_,@function
_ZN7rocprim17ROCPRIM_400000_NS6detail17trampoline_kernelINS0_14default_configENS1_22reduce_config_selectorIN6thrust23THRUST_200600_302600_NS5tupleIllNS6_9null_typeES8_S8_S8_S8_S8_S8_S8_EEEEZNS1_11reduce_implILb0ES3_NS6_12zip_iteratorINS7_INS6_10device_ptrIlEENS6_11hip_rocprim19counting_iterator_tIlEES8_S8_S8_S8_S8_S8_S8_S8_EEEEPS9_S9_NSF_9__extrema9arg_max_fIllNS6_4lessIlEEEEEE10hipError_tPvRmT1_T2_T3_mT4_P12ihipStream_tbEUlT_E0_NS1_11comp_targetILNS1_3genE9ELNS1_11target_archE1100ELNS1_3gpuE3ELNS1_3repE0EEENS1_30default_config_static_selectorELNS0_4arch9wavefront6targetE1EEEvST_: ; @_ZN7rocprim17ROCPRIM_400000_NS6detail17trampoline_kernelINS0_14default_configENS1_22reduce_config_selectorIN6thrust23THRUST_200600_302600_NS5tupleIllNS6_9null_typeES8_S8_S8_S8_S8_S8_S8_EEEEZNS1_11reduce_implILb0ES3_NS6_12zip_iteratorINS7_INS6_10device_ptrIlEENS6_11hip_rocprim19counting_iterator_tIlEES8_S8_S8_S8_S8_S8_S8_S8_EEEEPS9_S9_NSF_9__extrema9arg_max_fIllNS6_4lessIlEEEEEE10hipError_tPvRmT1_T2_T3_mT4_P12ihipStream_tbEUlT_E0_NS1_11comp_targetILNS1_3genE9ELNS1_11target_archE1100ELNS1_3gpuE3ELNS1_3repE0EEENS1_30default_config_static_selectorELNS0_4arch9wavefront6targetE1EEEvST_
; %bb.0:
	.section	.rodata,"a",@progbits
	.p2align	6, 0x0
	.amdhsa_kernel _ZN7rocprim17ROCPRIM_400000_NS6detail17trampoline_kernelINS0_14default_configENS1_22reduce_config_selectorIN6thrust23THRUST_200600_302600_NS5tupleIllNS6_9null_typeES8_S8_S8_S8_S8_S8_S8_EEEEZNS1_11reduce_implILb0ES3_NS6_12zip_iteratorINS7_INS6_10device_ptrIlEENS6_11hip_rocprim19counting_iterator_tIlEES8_S8_S8_S8_S8_S8_S8_S8_EEEEPS9_S9_NSF_9__extrema9arg_max_fIllNS6_4lessIlEEEEEE10hipError_tPvRmT1_T2_T3_mT4_P12ihipStream_tbEUlT_E0_NS1_11comp_targetILNS1_3genE9ELNS1_11target_archE1100ELNS1_3gpuE3ELNS1_3repE0EEENS1_30default_config_static_selectorELNS0_4arch9wavefront6targetE1EEEvST_
		.amdhsa_group_segment_fixed_size 0
		.amdhsa_private_segment_fixed_size 0
		.amdhsa_kernarg_size 80
		.amdhsa_user_sgpr_count 6
		.amdhsa_user_sgpr_private_segment_buffer 1
		.amdhsa_user_sgpr_dispatch_ptr 0
		.amdhsa_user_sgpr_queue_ptr 0
		.amdhsa_user_sgpr_kernarg_segment_ptr 1
		.amdhsa_user_sgpr_dispatch_id 0
		.amdhsa_user_sgpr_flat_scratch_init 0
		.amdhsa_user_sgpr_kernarg_preload_length 0
		.amdhsa_user_sgpr_kernarg_preload_offset 0
		.amdhsa_user_sgpr_private_segment_size 0
		.amdhsa_uses_dynamic_stack 0
		.amdhsa_system_sgpr_private_segment_wavefront_offset 0
		.amdhsa_system_sgpr_workgroup_id_x 1
		.amdhsa_system_sgpr_workgroup_id_y 0
		.amdhsa_system_sgpr_workgroup_id_z 0
		.amdhsa_system_sgpr_workgroup_info 0
		.amdhsa_system_vgpr_workitem_id 0
		.amdhsa_next_free_vgpr 1
		.amdhsa_next_free_sgpr 0
		.amdhsa_accum_offset 4
		.amdhsa_reserve_vcc 0
		.amdhsa_reserve_flat_scratch 0
		.amdhsa_float_round_mode_32 0
		.amdhsa_float_round_mode_16_64 0
		.amdhsa_float_denorm_mode_32 3
		.amdhsa_float_denorm_mode_16_64 3
		.amdhsa_dx10_clamp 1
		.amdhsa_ieee_mode 1
		.amdhsa_fp16_overflow 0
		.amdhsa_tg_split 0
		.amdhsa_exception_fp_ieee_invalid_op 0
		.amdhsa_exception_fp_denorm_src 0
		.amdhsa_exception_fp_ieee_div_zero 0
		.amdhsa_exception_fp_ieee_overflow 0
		.amdhsa_exception_fp_ieee_underflow 0
		.amdhsa_exception_fp_ieee_inexact 0
		.amdhsa_exception_int_div_zero 0
	.end_amdhsa_kernel
	.section	.text._ZN7rocprim17ROCPRIM_400000_NS6detail17trampoline_kernelINS0_14default_configENS1_22reduce_config_selectorIN6thrust23THRUST_200600_302600_NS5tupleIllNS6_9null_typeES8_S8_S8_S8_S8_S8_S8_EEEEZNS1_11reduce_implILb0ES3_NS6_12zip_iteratorINS7_INS6_10device_ptrIlEENS6_11hip_rocprim19counting_iterator_tIlEES8_S8_S8_S8_S8_S8_S8_S8_EEEEPS9_S9_NSF_9__extrema9arg_max_fIllNS6_4lessIlEEEEEE10hipError_tPvRmT1_T2_T3_mT4_P12ihipStream_tbEUlT_E0_NS1_11comp_targetILNS1_3genE9ELNS1_11target_archE1100ELNS1_3gpuE3ELNS1_3repE0EEENS1_30default_config_static_selectorELNS0_4arch9wavefront6targetE1EEEvST_,"axG",@progbits,_ZN7rocprim17ROCPRIM_400000_NS6detail17trampoline_kernelINS0_14default_configENS1_22reduce_config_selectorIN6thrust23THRUST_200600_302600_NS5tupleIllNS6_9null_typeES8_S8_S8_S8_S8_S8_S8_EEEEZNS1_11reduce_implILb0ES3_NS6_12zip_iteratorINS7_INS6_10device_ptrIlEENS6_11hip_rocprim19counting_iterator_tIlEES8_S8_S8_S8_S8_S8_S8_S8_EEEEPS9_S9_NSF_9__extrema9arg_max_fIllNS6_4lessIlEEEEEE10hipError_tPvRmT1_T2_T3_mT4_P12ihipStream_tbEUlT_E0_NS1_11comp_targetILNS1_3genE9ELNS1_11target_archE1100ELNS1_3gpuE3ELNS1_3repE0EEENS1_30default_config_static_selectorELNS0_4arch9wavefront6targetE1EEEvST_,comdat
.Lfunc_end428:
	.size	_ZN7rocprim17ROCPRIM_400000_NS6detail17trampoline_kernelINS0_14default_configENS1_22reduce_config_selectorIN6thrust23THRUST_200600_302600_NS5tupleIllNS6_9null_typeES8_S8_S8_S8_S8_S8_S8_EEEEZNS1_11reduce_implILb0ES3_NS6_12zip_iteratorINS7_INS6_10device_ptrIlEENS6_11hip_rocprim19counting_iterator_tIlEES8_S8_S8_S8_S8_S8_S8_S8_EEEEPS9_S9_NSF_9__extrema9arg_max_fIllNS6_4lessIlEEEEEE10hipError_tPvRmT1_T2_T3_mT4_P12ihipStream_tbEUlT_E0_NS1_11comp_targetILNS1_3genE9ELNS1_11target_archE1100ELNS1_3gpuE3ELNS1_3repE0EEENS1_30default_config_static_selectorELNS0_4arch9wavefront6targetE1EEEvST_, .Lfunc_end428-_ZN7rocprim17ROCPRIM_400000_NS6detail17trampoline_kernelINS0_14default_configENS1_22reduce_config_selectorIN6thrust23THRUST_200600_302600_NS5tupleIllNS6_9null_typeES8_S8_S8_S8_S8_S8_S8_EEEEZNS1_11reduce_implILb0ES3_NS6_12zip_iteratorINS7_INS6_10device_ptrIlEENS6_11hip_rocprim19counting_iterator_tIlEES8_S8_S8_S8_S8_S8_S8_S8_EEEEPS9_S9_NSF_9__extrema9arg_max_fIllNS6_4lessIlEEEEEE10hipError_tPvRmT1_T2_T3_mT4_P12ihipStream_tbEUlT_E0_NS1_11comp_targetILNS1_3genE9ELNS1_11target_archE1100ELNS1_3gpuE3ELNS1_3repE0EEENS1_30default_config_static_selectorELNS0_4arch9wavefront6targetE1EEEvST_
                                        ; -- End function
	.section	.AMDGPU.csdata,"",@progbits
; Kernel info:
; codeLenInByte = 0
; NumSgprs: 4
; NumVgprs: 0
; NumAgprs: 0
; TotalNumVgprs: 0
; ScratchSize: 0
; MemoryBound: 0
; FloatMode: 240
; IeeeMode: 1
; LDSByteSize: 0 bytes/workgroup (compile time only)
; SGPRBlocks: 0
; VGPRBlocks: 0
; NumSGPRsForWavesPerEU: 4
; NumVGPRsForWavesPerEU: 1
; AccumOffset: 4
; Occupancy: 8
; WaveLimiterHint : 0
; COMPUTE_PGM_RSRC2:SCRATCH_EN: 0
; COMPUTE_PGM_RSRC2:USER_SGPR: 6
; COMPUTE_PGM_RSRC2:TRAP_HANDLER: 0
; COMPUTE_PGM_RSRC2:TGID_X_EN: 1
; COMPUTE_PGM_RSRC2:TGID_Y_EN: 0
; COMPUTE_PGM_RSRC2:TGID_Z_EN: 0
; COMPUTE_PGM_RSRC2:TIDIG_COMP_CNT: 0
; COMPUTE_PGM_RSRC3_GFX90A:ACCUM_OFFSET: 0
; COMPUTE_PGM_RSRC3_GFX90A:TG_SPLIT: 0
	.section	.text._ZN7rocprim17ROCPRIM_400000_NS6detail17trampoline_kernelINS0_14default_configENS1_22reduce_config_selectorIN6thrust23THRUST_200600_302600_NS5tupleIllNS6_9null_typeES8_S8_S8_S8_S8_S8_S8_EEEEZNS1_11reduce_implILb0ES3_NS6_12zip_iteratorINS7_INS6_10device_ptrIlEENS6_11hip_rocprim19counting_iterator_tIlEES8_S8_S8_S8_S8_S8_S8_S8_EEEEPS9_S9_NSF_9__extrema9arg_max_fIllNS6_4lessIlEEEEEE10hipError_tPvRmT1_T2_T3_mT4_P12ihipStream_tbEUlT_E0_NS1_11comp_targetILNS1_3genE8ELNS1_11target_archE1030ELNS1_3gpuE2ELNS1_3repE0EEENS1_30default_config_static_selectorELNS0_4arch9wavefront6targetE1EEEvST_,"axG",@progbits,_ZN7rocprim17ROCPRIM_400000_NS6detail17trampoline_kernelINS0_14default_configENS1_22reduce_config_selectorIN6thrust23THRUST_200600_302600_NS5tupleIllNS6_9null_typeES8_S8_S8_S8_S8_S8_S8_EEEEZNS1_11reduce_implILb0ES3_NS6_12zip_iteratorINS7_INS6_10device_ptrIlEENS6_11hip_rocprim19counting_iterator_tIlEES8_S8_S8_S8_S8_S8_S8_S8_EEEEPS9_S9_NSF_9__extrema9arg_max_fIllNS6_4lessIlEEEEEE10hipError_tPvRmT1_T2_T3_mT4_P12ihipStream_tbEUlT_E0_NS1_11comp_targetILNS1_3genE8ELNS1_11target_archE1030ELNS1_3gpuE2ELNS1_3repE0EEENS1_30default_config_static_selectorELNS0_4arch9wavefront6targetE1EEEvST_,comdat
	.protected	_ZN7rocprim17ROCPRIM_400000_NS6detail17trampoline_kernelINS0_14default_configENS1_22reduce_config_selectorIN6thrust23THRUST_200600_302600_NS5tupleIllNS6_9null_typeES8_S8_S8_S8_S8_S8_S8_EEEEZNS1_11reduce_implILb0ES3_NS6_12zip_iteratorINS7_INS6_10device_ptrIlEENS6_11hip_rocprim19counting_iterator_tIlEES8_S8_S8_S8_S8_S8_S8_S8_EEEEPS9_S9_NSF_9__extrema9arg_max_fIllNS6_4lessIlEEEEEE10hipError_tPvRmT1_T2_T3_mT4_P12ihipStream_tbEUlT_E0_NS1_11comp_targetILNS1_3genE8ELNS1_11target_archE1030ELNS1_3gpuE2ELNS1_3repE0EEENS1_30default_config_static_selectorELNS0_4arch9wavefront6targetE1EEEvST_ ; -- Begin function _ZN7rocprim17ROCPRIM_400000_NS6detail17trampoline_kernelINS0_14default_configENS1_22reduce_config_selectorIN6thrust23THRUST_200600_302600_NS5tupleIllNS6_9null_typeES8_S8_S8_S8_S8_S8_S8_EEEEZNS1_11reduce_implILb0ES3_NS6_12zip_iteratorINS7_INS6_10device_ptrIlEENS6_11hip_rocprim19counting_iterator_tIlEES8_S8_S8_S8_S8_S8_S8_S8_EEEEPS9_S9_NSF_9__extrema9arg_max_fIllNS6_4lessIlEEEEEE10hipError_tPvRmT1_T2_T3_mT4_P12ihipStream_tbEUlT_E0_NS1_11comp_targetILNS1_3genE8ELNS1_11target_archE1030ELNS1_3gpuE2ELNS1_3repE0EEENS1_30default_config_static_selectorELNS0_4arch9wavefront6targetE1EEEvST_
	.globl	_ZN7rocprim17ROCPRIM_400000_NS6detail17trampoline_kernelINS0_14default_configENS1_22reduce_config_selectorIN6thrust23THRUST_200600_302600_NS5tupleIllNS6_9null_typeES8_S8_S8_S8_S8_S8_S8_EEEEZNS1_11reduce_implILb0ES3_NS6_12zip_iteratorINS7_INS6_10device_ptrIlEENS6_11hip_rocprim19counting_iterator_tIlEES8_S8_S8_S8_S8_S8_S8_S8_EEEEPS9_S9_NSF_9__extrema9arg_max_fIllNS6_4lessIlEEEEEE10hipError_tPvRmT1_T2_T3_mT4_P12ihipStream_tbEUlT_E0_NS1_11comp_targetILNS1_3genE8ELNS1_11target_archE1030ELNS1_3gpuE2ELNS1_3repE0EEENS1_30default_config_static_selectorELNS0_4arch9wavefront6targetE1EEEvST_
	.p2align	8
	.type	_ZN7rocprim17ROCPRIM_400000_NS6detail17trampoline_kernelINS0_14default_configENS1_22reduce_config_selectorIN6thrust23THRUST_200600_302600_NS5tupleIllNS6_9null_typeES8_S8_S8_S8_S8_S8_S8_EEEEZNS1_11reduce_implILb0ES3_NS6_12zip_iteratorINS7_INS6_10device_ptrIlEENS6_11hip_rocprim19counting_iterator_tIlEES8_S8_S8_S8_S8_S8_S8_S8_EEEEPS9_S9_NSF_9__extrema9arg_max_fIllNS6_4lessIlEEEEEE10hipError_tPvRmT1_T2_T3_mT4_P12ihipStream_tbEUlT_E0_NS1_11comp_targetILNS1_3genE8ELNS1_11target_archE1030ELNS1_3gpuE2ELNS1_3repE0EEENS1_30default_config_static_selectorELNS0_4arch9wavefront6targetE1EEEvST_,@function
_ZN7rocprim17ROCPRIM_400000_NS6detail17trampoline_kernelINS0_14default_configENS1_22reduce_config_selectorIN6thrust23THRUST_200600_302600_NS5tupleIllNS6_9null_typeES8_S8_S8_S8_S8_S8_S8_EEEEZNS1_11reduce_implILb0ES3_NS6_12zip_iteratorINS7_INS6_10device_ptrIlEENS6_11hip_rocprim19counting_iterator_tIlEES8_S8_S8_S8_S8_S8_S8_S8_EEEEPS9_S9_NSF_9__extrema9arg_max_fIllNS6_4lessIlEEEEEE10hipError_tPvRmT1_T2_T3_mT4_P12ihipStream_tbEUlT_E0_NS1_11comp_targetILNS1_3genE8ELNS1_11target_archE1030ELNS1_3gpuE2ELNS1_3repE0EEENS1_30default_config_static_selectorELNS0_4arch9wavefront6targetE1EEEvST_: ; @_ZN7rocprim17ROCPRIM_400000_NS6detail17trampoline_kernelINS0_14default_configENS1_22reduce_config_selectorIN6thrust23THRUST_200600_302600_NS5tupleIllNS6_9null_typeES8_S8_S8_S8_S8_S8_S8_EEEEZNS1_11reduce_implILb0ES3_NS6_12zip_iteratorINS7_INS6_10device_ptrIlEENS6_11hip_rocprim19counting_iterator_tIlEES8_S8_S8_S8_S8_S8_S8_S8_EEEEPS9_S9_NSF_9__extrema9arg_max_fIllNS6_4lessIlEEEEEE10hipError_tPvRmT1_T2_T3_mT4_P12ihipStream_tbEUlT_E0_NS1_11comp_targetILNS1_3genE8ELNS1_11target_archE1030ELNS1_3gpuE2ELNS1_3repE0EEENS1_30default_config_static_selectorELNS0_4arch9wavefront6targetE1EEEvST_
; %bb.0:
	.section	.rodata,"a",@progbits
	.p2align	6, 0x0
	.amdhsa_kernel _ZN7rocprim17ROCPRIM_400000_NS6detail17trampoline_kernelINS0_14default_configENS1_22reduce_config_selectorIN6thrust23THRUST_200600_302600_NS5tupleIllNS6_9null_typeES8_S8_S8_S8_S8_S8_S8_EEEEZNS1_11reduce_implILb0ES3_NS6_12zip_iteratorINS7_INS6_10device_ptrIlEENS6_11hip_rocprim19counting_iterator_tIlEES8_S8_S8_S8_S8_S8_S8_S8_EEEEPS9_S9_NSF_9__extrema9arg_max_fIllNS6_4lessIlEEEEEE10hipError_tPvRmT1_T2_T3_mT4_P12ihipStream_tbEUlT_E0_NS1_11comp_targetILNS1_3genE8ELNS1_11target_archE1030ELNS1_3gpuE2ELNS1_3repE0EEENS1_30default_config_static_selectorELNS0_4arch9wavefront6targetE1EEEvST_
		.amdhsa_group_segment_fixed_size 0
		.amdhsa_private_segment_fixed_size 0
		.amdhsa_kernarg_size 80
		.amdhsa_user_sgpr_count 6
		.amdhsa_user_sgpr_private_segment_buffer 1
		.amdhsa_user_sgpr_dispatch_ptr 0
		.amdhsa_user_sgpr_queue_ptr 0
		.amdhsa_user_sgpr_kernarg_segment_ptr 1
		.amdhsa_user_sgpr_dispatch_id 0
		.amdhsa_user_sgpr_flat_scratch_init 0
		.amdhsa_user_sgpr_kernarg_preload_length 0
		.amdhsa_user_sgpr_kernarg_preload_offset 0
		.amdhsa_user_sgpr_private_segment_size 0
		.amdhsa_uses_dynamic_stack 0
		.amdhsa_system_sgpr_private_segment_wavefront_offset 0
		.amdhsa_system_sgpr_workgroup_id_x 1
		.amdhsa_system_sgpr_workgroup_id_y 0
		.amdhsa_system_sgpr_workgroup_id_z 0
		.amdhsa_system_sgpr_workgroup_info 0
		.amdhsa_system_vgpr_workitem_id 0
		.amdhsa_next_free_vgpr 1
		.amdhsa_next_free_sgpr 0
		.amdhsa_accum_offset 4
		.amdhsa_reserve_vcc 0
		.amdhsa_reserve_flat_scratch 0
		.amdhsa_float_round_mode_32 0
		.amdhsa_float_round_mode_16_64 0
		.amdhsa_float_denorm_mode_32 3
		.amdhsa_float_denorm_mode_16_64 3
		.amdhsa_dx10_clamp 1
		.amdhsa_ieee_mode 1
		.amdhsa_fp16_overflow 0
		.amdhsa_tg_split 0
		.amdhsa_exception_fp_ieee_invalid_op 0
		.amdhsa_exception_fp_denorm_src 0
		.amdhsa_exception_fp_ieee_div_zero 0
		.amdhsa_exception_fp_ieee_overflow 0
		.amdhsa_exception_fp_ieee_underflow 0
		.amdhsa_exception_fp_ieee_inexact 0
		.amdhsa_exception_int_div_zero 0
	.end_amdhsa_kernel
	.section	.text._ZN7rocprim17ROCPRIM_400000_NS6detail17trampoline_kernelINS0_14default_configENS1_22reduce_config_selectorIN6thrust23THRUST_200600_302600_NS5tupleIllNS6_9null_typeES8_S8_S8_S8_S8_S8_S8_EEEEZNS1_11reduce_implILb0ES3_NS6_12zip_iteratorINS7_INS6_10device_ptrIlEENS6_11hip_rocprim19counting_iterator_tIlEES8_S8_S8_S8_S8_S8_S8_S8_EEEEPS9_S9_NSF_9__extrema9arg_max_fIllNS6_4lessIlEEEEEE10hipError_tPvRmT1_T2_T3_mT4_P12ihipStream_tbEUlT_E0_NS1_11comp_targetILNS1_3genE8ELNS1_11target_archE1030ELNS1_3gpuE2ELNS1_3repE0EEENS1_30default_config_static_selectorELNS0_4arch9wavefront6targetE1EEEvST_,"axG",@progbits,_ZN7rocprim17ROCPRIM_400000_NS6detail17trampoline_kernelINS0_14default_configENS1_22reduce_config_selectorIN6thrust23THRUST_200600_302600_NS5tupleIllNS6_9null_typeES8_S8_S8_S8_S8_S8_S8_EEEEZNS1_11reduce_implILb0ES3_NS6_12zip_iteratorINS7_INS6_10device_ptrIlEENS6_11hip_rocprim19counting_iterator_tIlEES8_S8_S8_S8_S8_S8_S8_S8_EEEEPS9_S9_NSF_9__extrema9arg_max_fIllNS6_4lessIlEEEEEE10hipError_tPvRmT1_T2_T3_mT4_P12ihipStream_tbEUlT_E0_NS1_11comp_targetILNS1_3genE8ELNS1_11target_archE1030ELNS1_3gpuE2ELNS1_3repE0EEENS1_30default_config_static_selectorELNS0_4arch9wavefront6targetE1EEEvST_,comdat
.Lfunc_end429:
	.size	_ZN7rocprim17ROCPRIM_400000_NS6detail17trampoline_kernelINS0_14default_configENS1_22reduce_config_selectorIN6thrust23THRUST_200600_302600_NS5tupleIllNS6_9null_typeES8_S8_S8_S8_S8_S8_S8_EEEEZNS1_11reduce_implILb0ES3_NS6_12zip_iteratorINS7_INS6_10device_ptrIlEENS6_11hip_rocprim19counting_iterator_tIlEES8_S8_S8_S8_S8_S8_S8_S8_EEEEPS9_S9_NSF_9__extrema9arg_max_fIllNS6_4lessIlEEEEEE10hipError_tPvRmT1_T2_T3_mT4_P12ihipStream_tbEUlT_E0_NS1_11comp_targetILNS1_3genE8ELNS1_11target_archE1030ELNS1_3gpuE2ELNS1_3repE0EEENS1_30default_config_static_selectorELNS0_4arch9wavefront6targetE1EEEvST_, .Lfunc_end429-_ZN7rocprim17ROCPRIM_400000_NS6detail17trampoline_kernelINS0_14default_configENS1_22reduce_config_selectorIN6thrust23THRUST_200600_302600_NS5tupleIllNS6_9null_typeES8_S8_S8_S8_S8_S8_S8_EEEEZNS1_11reduce_implILb0ES3_NS6_12zip_iteratorINS7_INS6_10device_ptrIlEENS6_11hip_rocprim19counting_iterator_tIlEES8_S8_S8_S8_S8_S8_S8_S8_EEEEPS9_S9_NSF_9__extrema9arg_max_fIllNS6_4lessIlEEEEEE10hipError_tPvRmT1_T2_T3_mT4_P12ihipStream_tbEUlT_E0_NS1_11comp_targetILNS1_3genE8ELNS1_11target_archE1030ELNS1_3gpuE2ELNS1_3repE0EEENS1_30default_config_static_selectorELNS0_4arch9wavefront6targetE1EEEvST_
                                        ; -- End function
	.section	.AMDGPU.csdata,"",@progbits
; Kernel info:
; codeLenInByte = 0
; NumSgprs: 4
; NumVgprs: 0
; NumAgprs: 0
; TotalNumVgprs: 0
; ScratchSize: 0
; MemoryBound: 0
; FloatMode: 240
; IeeeMode: 1
; LDSByteSize: 0 bytes/workgroup (compile time only)
; SGPRBlocks: 0
; VGPRBlocks: 0
; NumSGPRsForWavesPerEU: 4
; NumVGPRsForWavesPerEU: 1
; AccumOffset: 4
; Occupancy: 8
; WaveLimiterHint : 0
; COMPUTE_PGM_RSRC2:SCRATCH_EN: 0
; COMPUTE_PGM_RSRC2:USER_SGPR: 6
; COMPUTE_PGM_RSRC2:TRAP_HANDLER: 0
; COMPUTE_PGM_RSRC2:TGID_X_EN: 1
; COMPUTE_PGM_RSRC2:TGID_Y_EN: 0
; COMPUTE_PGM_RSRC2:TGID_Z_EN: 0
; COMPUTE_PGM_RSRC2:TIDIG_COMP_CNT: 0
; COMPUTE_PGM_RSRC3_GFX90A:ACCUM_OFFSET: 0
; COMPUTE_PGM_RSRC3_GFX90A:TG_SPLIT: 0
	.section	.text._ZN7rocprim17ROCPRIM_400000_NS6detail17trampoline_kernelINS0_14default_configENS1_22reduce_config_selectorIN6thrust23THRUST_200600_302600_NS5tupleIllNS6_9null_typeES8_S8_S8_S8_S8_S8_S8_EEEEZNS1_11reduce_implILb0ES3_NS6_12zip_iteratorINS7_INS6_10device_ptrIlEENS6_11hip_rocprim19counting_iterator_tIlEES8_S8_S8_S8_S8_S8_S8_S8_EEEEPS9_S9_NSF_9__extrema9arg_max_fIllNS6_4lessIlEEEEEE10hipError_tPvRmT1_T2_T3_mT4_P12ihipStream_tbEUlT_E1_NS1_11comp_targetILNS1_3genE0ELNS1_11target_archE4294967295ELNS1_3gpuE0ELNS1_3repE0EEENS1_30default_config_static_selectorELNS0_4arch9wavefront6targetE1EEEvST_,"axG",@progbits,_ZN7rocprim17ROCPRIM_400000_NS6detail17trampoline_kernelINS0_14default_configENS1_22reduce_config_selectorIN6thrust23THRUST_200600_302600_NS5tupleIllNS6_9null_typeES8_S8_S8_S8_S8_S8_S8_EEEEZNS1_11reduce_implILb0ES3_NS6_12zip_iteratorINS7_INS6_10device_ptrIlEENS6_11hip_rocprim19counting_iterator_tIlEES8_S8_S8_S8_S8_S8_S8_S8_EEEEPS9_S9_NSF_9__extrema9arg_max_fIllNS6_4lessIlEEEEEE10hipError_tPvRmT1_T2_T3_mT4_P12ihipStream_tbEUlT_E1_NS1_11comp_targetILNS1_3genE0ELNS1_11target_archE4294967295ELNS1_3gpuE0ELNS1_3repE0EEENS1_30default_config_static_selectorELNS0_4arch9wavefront6targetE1EEEvST_,comdat
	.protected	_ZN7rocprim17ROCPRIM_400000_NS6detail17trampoline_kernelINS0_14default_configENS1_22reduce_config_selectorIN6thrust23THRUST_200600_302600_NS5tupleIllNS6_9null_typeES8_S8_S8_S8_S8_S8_S8_EEEEZNS1_11reduce_implILb0ES3_NS6_12zip_iteratorINS7_INS6_10device_ptrIlEENS6_11hip_rocprim19counting_iterator_tIlEES8_S8_S8_S8_S8_S8_S8_S8_EEEEPS9_S9_NSF_9__extrema9arg_max_fIllNS6_4lessIlEEEEEE10hipError_tPvRmT1_T2_T3_mT4_P12ihipStream_tbEUlT_E1_NS1_11comp_targetILNS1_3genE0ELNS1_11target_archE4294967295ELNS1_3gpuE0ELNS1_3repE0EEENS1_30default_config_static_selectorELNS0_4arch9wavefront6targetE1EEEvST_ ; -- Begin function _ZN7rocprim17ROCPRIM_400000_NS6detail17trampoline_kernelINS0_14default_configENS1_22reduce_config_selectorIN6thrust23THRUST_200600_302600_NS5tupleIllNS6_9null_typeES8_S8_S8_S8_S8_S8_S8_EEEEZNS1_11reduce_implILb0ES3_NS6_12zip_iteratorINS7_INS6_10device_ptrIlEENS6_11hip_rocprim19counting_iterator_tIlEES8_S8_S8_S8_S8_S8_S8_S8_EEEEPS9_S9_NSF_9__extrema9arg_max_fIllNS6_4lessIlEEEEEE10hipError_tPvRmT1_T2_T3_mT4_P12ihipStream_tbEUlT_E1_NS1_11comp_targetILNS1_3genE0ELNS1_11target_archE4294967295ELNS1_3gpuE0ELNS1_3repE0EEENS1_30default_config_static_selectorELNS0_4arch9wavefront6targetE1EEEvST_
	.globl	_ZN7rocprim17ROCPRIM_400000_NS6detail17trampoline_kernelINS0_14default_configENS1_22reduce_config_selectorIN6thrust23THRUST_200600_302600_NS5tupleIllNS6_9null_typeES8_S8_S8_S8_S8_S8_S8_EEEEZNS1_11reduce_implILb0ES3_NS6_12zip_iteratorINS7_INS6_10device_ptrIlEENS6_11hip_rocprim19counting_iterator_tIlEES8_S8_S8_S8_S8_S8_S8_S8_EEEEPS9_S9_NSF_9__extrema9arg_max_fIllNS6_4lessIlEEEEEE10hipError_tPvRmT1_T2_T3_mT4_P12ihipStream_tbEUlT_E1_NS1_11comp_targetILNS1_3genE0ELNS1_11target_archE4294967295ELNS1_3gpuE0ELNS1_3repE0EEENS1_30default_config_static_selectorELNS0_4arch9wavefront6targetE1EEEvST_
	.p2align	8
	.type	_ZN7rocprim17ROCPRIM_400000_NS6detail17trampoline_kernelINS0_14default_configENS1_22reduce_config_selectorIN6thrust23THRUST_200600_302600_NS5tupleIllNS6_9null_typeES8_S8_S8_S8_S8_S8_S8_EEEEZNS1_11reduce_implILb0ES3_NS6_12zip_iteratorINS7_INS6_10device_ptrIlEENS6_11hip_rocprim19counting_iterator_tIlEES8_S8_S8_S8_S8_S8_S8_S8_EEEEPS9_S9_NSF_9__extrema9arg_max_fIllNS6_4lessIlEEEEEE10hipError_tPvRmT1_T2_T3_mT4_P12ihipStream_tbEUlT_E1_NS1_11comp_targetILNS1_3genE0ELNS1_11target_archE4294967295ELNS1_3gpuE0ELNS1_3repE0EEENS1_30default_config_static_selectorELNS0_4arch9wavefront6targetE1EEEvST_,@function
_ZN7rocprim17ROCPRIM_400000_NS6detail17trampoline_kernelINS0_14default_configENS1_22reduce_config_selectorIN6thrust23THRUST_200600_302600_NS5tupleIllNS6_9null_typeES8_S8_S8_S8_S8_S8_S8_EEEEZNS1_11reduce_implILb0ES3_NS6_12zip_iteratorINS7_INS6_10device_ptrIlEENS6_11hip_rocprim19counting_iterator_tIlEES8_S8_S8_S8_S8_S8_S8_S8_EEEEPS9_S9_NSF_9__extrema9arg_max_fIllNS6_4lessIlEEEEEE10hipError_tPvRmT1_T2_T3_mT4_P12ihipStream_tbEUlT_E1_NS1_11comp_targetILNS1_3genE0ELNS1_11target_archE4294967295ELNS1_3gpuE0ELNS1_3repE0EEENS1_30default_config_static_selectorELNS0_4arch9wavefront6targetE1EEEvST_: ; @_ZN7rocprim17ROCPRIM_400000_NS6detail17trampoline_kernelINS0_14default_configENS1_22reduce_config_selectorIN6thrust23THRUST_200600_302600_NS5tupleIllNS6_9null_typeES8_S8_S8_S8_S8_S8_S8_EEEEZNS1_11reduce_implILb0ES3_NS6_12zip_iteratorINS7_INS6_10device_ptrIlEENS6_11hip_rocprim19counting_iterator_tIlEES8_S8_S8_S8_S8_S8_S8_S8_EEEEPS9_S9_NSF_9__extrema9arg_max_fIllNS6_4lessIlEEEEEE10hipError_tPvRmT1_T2_T3_mT4_P12ihipStream_tbEUlT_E1_NS1_11comp_targetILNS1_3genE0ELNS1_11target_archE4294967295ELNS1_3gpuE0ELNS1_3repE0EEENS1_30default_config_static_selectorELNS0_4arch9wavefront6targetE1EEEvST_
; %bb.0:
	.section	.rodata,"a",@progbits
	.p2align	6, 0x0
	.amdhsa_kernel _ZN7rocprim17ROCPRIM_400000_NS6detail17trampoline_kernelINS0_14default_configENS1_22reduce_config_selectorIN6thrust23THRUST_200600_302600_NS5tupleIllNS6_9null_typeES8_S8_S8_S8_S8_S8_S8_EEEEZNS1_11reduce_implILb0ES3_NS6_12zip_iteratorINS7_INS6_10device_ptrIlEENS6_11hip_rocprim19counting_iterator_tIlEES8_S8_S8_S8_S8_S8_S8_S8_EEEEPS9_S9_NSF_9__extrema9arg_max_fIllNS6_4lessIlEEEEEE10hipError_tPvRmT1_T2_T3_mT4_P12ihipStream_tbEUlT_E1_NS1_11comp_targetILNS1_3genE0ELNS1_11target_archE4294967295ELNS1_3gpuE0ELNS1_3repE0EEENS1_30default_config_static_selectorELNS0_4arch9wavefront6targetE1EEEvST_
		.amdhsa_group_segment_fixed_size 0
		.amdhsa_private_segment_fixed_size 0
		.amdhsa_kernarg_size 64
		.amdhsa_user_sgpr_count 6
		.amdhsa_user_sgpr_private_segment_buffer 1
		.amdhsa_user_sgpr_dispatch_ptr 0
		.amdhsa_user_sgpr_queue_ptr 0
		.amdhsa_user_sgpr_kernarg_segment_ptr 1
		.amdhsa_user_sgpr_dispatch_id 0
		.amdhsa_user_sgpr_flat_scratch_init 0
		.amdhsa_user_sgpr_kernarg_preload_length 0
		.amdhsa_user_sgpr_kernarg_preload_offset 0
		.amdhsa_user_sgpr_private_segment_size 0
		.amdhsa_uses_dynamic_stack 0
		.amdhsa_system_sgpr_private_segment_wavefront_offset 0
		.amdhsa_system_sgpr_workgroup_id_x 1
		.amdhsa_system_sgpr_workgroup_id_y 0
		.amdhsa_system_sgpr_workgroup_id_z 0
		.amdhsa_system_sgpr_workgroup_info 0
		.amdhsa_system_vgpr_workitem_id 0
		.amdhsa_next_free_vgpr 1
		.amdhsa_next_free_sgpr 0
		.amdhsa_accum_offset 4
		.amdhsa_reserve_vcc 0
		.amdhsa_reserve_flat_scratch 0
		.amdhsa_float_round_mode_32 0
		.amdhsa_float_round_mode_16_64 0
		.amdhsa_float_denorm_mode_32 3
		.amdhsa_float_denorm_mode_16_64 3
		.amdhsa_dx10_clamp 1
		.amdhsa_ieee_mode 1
		.amdhsa_fp16_overflow 0
		.amdhsa_tg_split 0
		.amdhsa_exception_fp_ieee_invalid_op 0
		.amdhsa_exception_fp_denorm_src 0
		.amdhsa_exception_fp_ieee_div_zero 0
		.amdhsa_exception_fp_ieee_overflow 0
		.amdhsa_exception_fp_ieee_underflow 0
		.amdhsa_exception_fp_ieee_inexact 0
		.amdhsa_exception_int_div_zero 0
	.end_amdhsa_kernel
	.section	.text._ZN7rocprim17ROCPRIM_400000_NS6detail17trampoline_kernelINS0_14default_configENS1_22reduce_config_selectorIN6thrust23THRUST_200600_302600_NS5tupleIllNS6_9null_typeES8_S8_S8_S8_S8_S8_S8_EEEEZNS1_11reduce_implILb0ES3_NS6_12zip_iteratorINS7_INS6_10device_ptrIlEENS6_11hip_rocprim19counting_iterator_tIlEES8_S8_S8_S8_S8_S8_S8_S8_EEEEPS9_S9_NSF_9__extrema9arg_max_fIllNS6_4lessIlEEEEEE10hipError_tPvRmT1_T2_T3_mT4_P12ihipStream_tbEUlT_E1_NS1_11comp_targetILNS1_3genE0ELNS1_11target_archE4294967295ELNS1_3gpuE0ELNS1_3repE0EEENS1_30default_config_static_selectorELNS0_4arch9wavefront6targetE1EEEvST_,"axG",@progbits,_ZN7rocprim17ROCPRIM_400000_NS6detail17trampoline_kernelINS0_14default_configENS1_22reduce_config_selectorIN6thrust23THRUST_200600_302600_NS5tupleIllNS6_9null_typeES8_S8_S8_S8_S8_S8_S8_EEEEZNS1_11reduce_implILb0ES3_NS6_12zip_iteratorINS7_INS6_10device_ptrIlEENS6_11hip_rocprim19counting_iterator_tIlEES8_S8_S8_S8_S8_S8_S8_S8_EEEEPS9_S9_NSF_9__extrema9arg_max_fIllNS6_4lessIlEEEEEE10hipError_tPvRmT1_T2_T3_mT4_P12ihipStream_tbEUlT_E1_NS1_11comp_targetILNS1_3genE0ELNS1_11target_archE4294967295ELNS1_3gpuE0ELNS1_3repE0EEENS1_30default_config_static_selectorELNS0_4arch9wavefront6targetE1EEEvST_,comdat
.Lfunc_end430:
	.size	_ZN7rocprim17ROCPRIM_400000_NS6detail17trampoline_kernelINS0_14default_configENS1_22reduce_config_selectorIN6thrust23THRUST_200600_302600_NS5tupleIllNS6_9null_typeES8_S8_S8_S8_S8_S8_S8_EEEEZNS1_11reduce_implILb0ES3_NS6_12zip_iteratorINS7_INS6_10device_ptrIlEENS6_11hip_rocprim19counting_iterator_tIlEES8_S8_S8_S8_S8_S8_S8_S8_EEEEPS9_S9_NSF_9__extrema9arg_max_fIllNS6_4lessIlEEEEEE10hipError_tPvRmT1_T2_T3_mT4_P12ihipStream_tbEUlT_E1_NS1_11comp_targetILNS1_3genE0ELNS1_11target_archE4294967295ELNS1_3gpuE0ELNS1_3repE0EEENS1_30default_config_static_selectorELNS0_4arch9wavefront6targetE1EEEvST_, .Lfunc_end430-_ZN7rocprim17ROCPRIM_400000_NS6detail17trampoline_kernelINS0_14default_configENS1_22reduce_config_selectorIN6thrust23THRUST_200600_302600_NS5tupleIllNS6_9null_typeES8_S8_S8_S8_S8_S8_S8_EEEEZNS1_11reduce_implILb0ES3_NS6_12zip_iteratorINS7_INS6_10device_ptrIlEENS6_11hip_rocprim19counting_iterator_tIlEES8_S8_S8_S8_S8_S8_S8_S8_EEEEPS9_S9_NSF_9__extrema9arg_max_fIllNS6_4lessIlEEEEEE10hipError_tPvRmT1_T2_T3_mT4_P12ihipStream_tbEUlT_E1_NS1_11comp_targetILNS1_3genE0ELNS1_11target_archE4294967295ELNS1_3gpuE0ELNS1_3repE0EEENS1_30default_config_static_selectorELNS0_4arch9wavefront6targetE1EEEvST_
                                        ; -- End function
	.section	.AMDGPU.csdata,"",@progbits
; Kernel info:
; codeLenInByte = 0
; NumSgprs: 4
; NumVgprs: 0
; NumAgprs: 0
; TotalNumVgprs: 0
; ScratchSize: 0
; MemoryBound: 0
; FloatMode: 240
; IeeeMode: 1
; LDSByteSize: 0 bytes/workgroup (compile time only)
; SGPRBlocks: 0
; VGPRBlocks: 0
; NumSGPRsForWavesPerEU: 4
; NumVGPRsForWavesPerEU: 1
; AccumOffset: 4
; Occupancy: 8
; WaveLimiterHint : 0
; COMPUTE_PGM_RSRC2:SCRATCH_EN: 0
; COMPUTE_PGM_RSRC2:USER_SGPR: 6
; COMPUTE_PGM_RSRC2:TRAP_HANDLER: 0
; COMPUTE_PGM_RSRC2:TGID_X_EN: 1
; COMPUTE_PGM_RSRC2:TGID_Y_EN: 0
; COMPUTE_PGM_RSRC2:TGID_Z_EN: 0
; COMPUTE_PGM_RSRC2:TIDIG_COMP_CNT: 0
; COMPUTE_PGM_RSRC3_GFX90A:ACCUM_OFFSET: 0
; COMPUTE_PGM_RSRC3_GFX90A:TG_SPLIT: 0
	.section	.text._ZN7rocprim17ROCPRIM_400000_NS6detail17trampoline_kernelINS0_14default_configENS1_22reduce_config_selectorIN6thrust23THRUST_200600_302600_NS5tupleIllNS6_9null_typeES8_S8_S8_S8_S8_S8_S8_EEEEZNS1_11reduce_implILb0ES3_NS6_12zip_iteratorINS7_INS6_10device_ptrIlEENS6_11hip_rocprim19counting_iterator_tIlEES8_S8_S8_S8_S8_S8_S8_S8_EEEEPS9_S9_NSF_9__extrema9arg_max_fIllNS6_4lessIlEEEEEE10hipError_tPvRmT1_T2_T3_mT4_P12ihipStream_tbEUlT_E1_NS1_11comp_targetILNS1_3genE5ELNS1_11target_archE942ELNS1_3gpuE9ELNS1_3repE0EEENS1_30default_config_static_selectorELNS0_4arch9wavefront6targetE1EEEvST_,"axG",@progbits,_ZN7rocprim17ROCPRIM_400000_NS6detail17trampoline_kernelINS0_14default_configENS1_22reduce_config_selectorIN6thrust23THRUST_200600_302600_NS5tupleIllNS6_9null_typeES8_S8_S8_S8_S8_S8_S8_EEEEZNS1_11reduce_implILb0ES3_NS6_12zip_iteratorINS7_INS6_10device_ptrIlEENS6_11hip_rocprim19counting_iterator_tIlEES8_S8_S8_S8_S8_S8_S8_S8_EEEEPS9_S9_NSF_9__extrema9arg_max_fIllNS6_4lessIlEEEEEE10hipError_tPvRmT1_T2_T3_mT4_P12ihipStream_tbEUlT_E1_NS1_11comp_targetILNS1_3genE5ELNS1_11target_archE942ELNS1_3gpuE9ELNS1_3repE0EEENS1_30default_config_static_selectorELNS0_4arch9wavefront6targetE1EEEvST_,comdat
	.protected	_ZN7rocprim17ROCPRIM_400000_NS6detail17trampoline_kernelINS0_14default_configENS1_22reduce_config_selectorIN6thrust23THRUST_200600_302600_NS5tupleIllNS6_9null_typeES8_S8_S8_S8_S8_S8_S8_EEEEZNS1_11reduce_implILb0ES3_NS6_12zip_iteratorINS7_INS6_10device_ptrIlEENS6_11hip_rocprim19counting_iterator_tIlEES8_S8_S8_S8_S8_S8_S8_S8_EEEEPS9_S9_NSF_9__extrema9arg_max_fIllNS6_4lessIlEEEEEE10hipError_tPvRmT1_T2_T3_mT4_P12ihipStream_tbEUlT_E1_NS1_11comp_targetILNS1_3genE5ELNS1_11target_archE942ELNS1_3gpuE9ELNS1_3repE0EEENS1_30default_config_static_selectorELNS0_4arch9wavefront6targetE1EEEvST_ ; -- Begin function _ZN7rocprim17ROCPRIM_400000_NS6detail17trampoline_kernelINS0_14default_configENS1_22reduce_config_selectorIN6thrust23THRUST_200600_302600_NS5tupleIllNS6_9null_typeES8_S8_S8_S8_S8_S8_S8_EEEEZNS1_11reduce_implILb0ES3_NS6_12zip_iteratorINS7_INS6_10device_ptrIlEENS6_11hip_rocprim19counting_iterator_tIlEES8_S8_S8_S8_S8_S8_S8_S8_EEEEPS9_S9_NSF_9__extrema9arg_max_fIllNS6_4lessIlEEEEEE10hipError_tPvRmT1_T2_T3_mT4_P12ihipStream_tbEUlT_E1_NS1_11comp_targetILNS1_3genE5ELNS1_11target_archE942ELNS1_3gpuE9ELNS1_3repE0EEENS1_30default_config_static_selectorELNS0_4arch9wavefront6targetE1EEEvST_
	.globl	_ZN7rocprim17ROCPRIM_400000_NS6detail17trampoline_kernelINS0_14default_configENS1_22reduce_config_selectorIN6thrust23THRUST_200600_302600_NS5tupleIllNS6_9null_typeES8_S8_S8_S8_S8_S8_S8_EEEEZNS1_11reduce_implILb0ES3_NS6_12zip_iteratorINS7_INS6_10device_ptrIlEENS6_11hip_rocprim19counting_iterator_tIlEES8_S8_S8_S8_S8_S8_S8_S8_EEEEPS9_S9_NSF_9__extrema9arg_max_fIllNS6_4lessIlEEEEEE10hipError_tPvRmT1_T2_T3_mT4_P12ihipStream_tbEUlT_E1_NS1_11comp_targetILNS1_3genE5ELNS1_11target_archE942ELNS1_3gpuE9ELNS1_3repE0EEENS1_30default_config_static_selectorELNS0_4arch9wavefront6targetE1EEEvST_
	.p2align	8
	.type	_ZN7rocprim17ROCPRIM_400000_NS6detail17trampoline_kernelINS0_14default_configENS1_22reduce_config_selectorIN6thrust23THRUST_200600_302600_NS5tupleIllNS6_9null_typeES8_S8_S8_S8_S8_S8_S8_EEEEZNS1_11reduce_implILb0ES3_NS6_12zip_iteratorINS7_INS6_10device_ptrIlEENS6_11hip_rocprim19counting_iterator_tIlEES8_S8_S8_S8_S8_S8_S8_S8_EEEEPS9_S9_NSF_9__extrema9arg_max_fIllNS6_4lessIlEEEEEE10hipError_tPvRmT1_T2_T3_mT4_P12ihipStream_tbEUlT_E1_NS1_11comp_targetILNS1_3genE5ELNS1_11target_archE942ELNS1_3gpuE9ELNS1_3repE0EEENS1_30default_config_static_selectorELNS0_4arch9wavefront6targetE1EEEvST_,@function
_ZN7rocprim17ROCPRIM_400000_NS6detail17trampoline_kernelINS0_14default_configENS1_22reduce_config_selectorIN6thrust23THRUST_200600_302600_NS5tupleIllNS6_9null_typeES8_S8_S8_S8_S8_S8_S8_EEEEZNS1_11reduce_implILb0ES3_NS6_12zip_iteratorINS7_INS6_10device_ptrIlEENS6_11hip_rocprim19counting_iterator_tIlEES8_S8_S8_S8_S8_S8_S8_S8_EEEEPS9_S9_NSF_9__extrema9arg_max_fIllNS6_4lessIlEEEEEE10hipError_tPvRmT1_T2_T3_mT4_P12ihipStream_tbEUlT_E1_NS1_11comp_targetILNS1_3genE5ELNS1_11target_archE942ELNS1_3gpuE9ELNS1_3repE0EEENS1_30default_config_static_selectorELNS0_4arch9wavefront6targetE1EEEvST_: ; @_ZN7rocprim17ROCPRIM_400000_NS6detail17trampoline_kernelINS0_14default_configENS1_22reduce_config_selectorIN6thrust23THRUST_200600_302600_NS5tupleIllNS6_9null_typeES8_S8_S8_S8_S8_S8_S8_EEEEZNS1_11reduce_implILb0ES3_NS6_12zip_iteratorINS7_INS6_10device_ptrIlEENS6_11hip_rocprim19counting_iterator_tIlEES8_S8_S8_S8_S8_S8_S8_S8_EEEEPS9_S9_NSF_9__extrema9arg_max_fIllNS6_4lessIlEEEEEE10hipError_tPvRmT1_T2_T3_mT4_P12ihipStream_tbEUlT_E1_NS1_11comp_targetILNS1_3genE5ELNS1_11target_archE942ELNS1_3gpuE9ELNS1_3repE0EEENS1_30default_config_static_selectorELNS0_4arch9wavefront6targetE1EEEvST_
; %bb.0:
	.section	.rodata,"a",@progbits
	.p2align	6, 0x0
	.amdhsa_kernel _ZN7rocprim17ROCPRIM_400000_NS6detail17trampoline_kernelINS0_14default_configENS1_22reduce_config_selectorIN6thrust23THRUST_200600_302600_NS5tupleIllNS6_9null_typeES8_S8_S8_S8_S8_S8_S8_EEEEZNS1_11reduce_implILb0ES3_NS6_12zip_iteratorINS7_INS6_10device_ptrIlEENS6_11hip_rocprim19counting_iterator_tIlEES8_S8_S8_S8_S8_S8_S8_S8_EEEEPS9_S9_NSF_9__extrema9arg_max_fIllNS6_4lessIlEEEEEE10hipError_tPvRmT1_T2_T3_mT4_P12ihipStream_tbEUlT_E1_NS1_11comp_targetILNS1_3genE5ELNS1_11target_archE942ELNS1_3gpuE9ELNS1_3repE0EEENS1_30default_config_static_selectorELNS0_4arch9wavefront6targetE1EEEvST_
		.amdhsa_group_segment_fixed_size 0
		.amdhsa_private_segment_fixed_size 0
		.amdhsa_kernarg_size 64
		.amdhsa_user_sgpr_count 6
		.amdhsa_user_sgpr_private_segment_buffer 1
		.amdhsa_user_sgpr_dispatch_ptr 0
		.amdhsa_user_sgpr_queue_ptr 0
		.amdhsa_user_sgpr_kernarg_segment_ptr 1
		.amdhsa_user_sgpr_dispatch_id 0
		.amdhsa_user_sgpr_flat_scratch_init 0
		.amdhsa_user_sgpr_kernarg_preload_length 0
		.amdhsa_user_sgpr_kernarg_preload_offset 0
		.amdhsa_user_sgpr_private_segment_size 0
		.amdhsa_uses_dynamic_stack 0
		.amdhsa_system_sgpr_private_segment_wavefront_offset 0
		.amdhsa_system_sgpr_workgroup_id_x 1
		.amdhsa_system_sgpr_workgroup_id_y 0
		.amdhsa_system_sgpr_workgroup_id_z 0
		.amdhsa_system_sgpr_workgroup_info 0
		.amdhsa_system_vgpr_workitem_id 0
		.amdhsa_next_free_vgpr 1
		.amdhsa_next_free_sgpr 0
		.amdhsa_accum_offset 4
		.amdhsa_reserve_vcc 0
		.amdhsa_reserve_flat_scratch 0
		.amdhsa_float_round_mode_32 0
		.amdhsa_float_round_mode_16_64 0
		.amdhsa_float_denorm_mode_32 3
		.amdhsa_float_denorm_mode_16_64 3
		.amdhsa_dx10_clamp 1
		.amdhsa_ieee_mode 1
		.amdhsa_fp16_overflow 0
		.amdhsa_tg_split 0
		.amdhsa_exception_fp_ieee_invalid_op 0
		.amdhsa_exception_fp_denorm_src 0
		.amdhsa_exception_fp_ieee_div_zero 0
		.amdhsa_exception_fp_ieee_overflow 0
		.amdhsa_exception_fp_ieee_underflow 0
		.amdhsa_exception_fp_ieee_inexact 0
		.amdhsa_exception_int_div_zero 0
	.end_amdhsa_kernel
	.section	.text._ZN7rocprim17ROCPRIM_400000_NS6detail17trampoline_kernelINS0_14default_configENS1_22reduce_config_selectorIN6thrust23THRUST_200600_302600_NS5tupleIllNS6_9null_typeES8_S8_S8_S8_S8_S8_S8_EEEEZNS1_11reduce_implILb0ES3_NS6_12zip_iteratorINS7_INS6_10device_ptrIlEENS6_11hip_rocprim19counting_iterator_tIlEES8_S8_S8_S8_S8_S8_S8_S8_EEEEPS9_S9_NSF_9__extrema9arg_max_fIllNS6_4lessIlEEEEEE10hipError_tPvRmT1_T2_T3_mT4_P12ihipStream_tbEUlT_E1_NS1_11comp_targetILNS1_3genE5ELNS1_11target_archE942ELNS1_3gpuE9ELNS1_3repE0EEENS1_30default_config_static_selectorELNS0_4arch9wavefront6targetE1EEEvST_,"axG",@progbits,_ZN7rocprim17ROCPRIM_400000_NS6detail17trampoline_kernelINS0_14default_configENS1_22reduce_config_selectorIN6thrust23THRUST_200600_302600_NS5tupleIllNS6_9null_typeES8_S8_S8_S8_S8_S8_S8_EEEEZNS1_11reduce_implILb0ES3_NS6_12zip_iteratorINS7_INS6_10device_ptrIlEENS6_11hip_rocprim19counting_iterator_tIlEES8_S8_S8_S8_S8_S8_S8_S8_EEEEPS9_S9_NSF_9__extrema9arg_max_fIllNS6_4lessIlEEEEEE10hipError_tPvRmT1_T2_T3_mT4_P12ihipStream_tbEUlT_E1_NS1_11comp_targetILNS1_3genE5ELNS1_11target_archE942ELNS1_3gpuE9ELNS1_3repE0EEENS1_30default_config_static_selectorELNS0_4arch9wavefront6targetE1EEEvST_,comdat
.Lfunc_end431:
	.size	_ZN7rocprim17ROCPRIM_400000_NS6detail17trampoline_kernelINS0_14default_configENS1_22reduce_config_selectorIN6thrust23THRUST_200600_302600_NS5tupleIllNS6_9null_typeES8_S8_S8_S8_S8_S8_S8_EEEEZNS1_11reduce_implILb0ES3_NS6_12zip_iteratorINS7_INS6_10device_ptrIlEENS6_11hip_rocprim19counting_iterator_tIlEES8_S8_S8_S8_S8_S8_S8_S8_EEEEPS9_S9_NSF_9__extrema9arg_max_fIllNS6_4lessIlEEEEEE10hipError_tPvRmT1_T2_T3_mT4_P12ihipStream_tbEUlT_E1_NS1_11comp_targetILNS1_3genE5ELNS1_11target_archE942ELNS1_3gpuE9ELNS1_3repE0EEENS1_30default_config_static_selectorELNS0_4arch9wavefront6targetE1EEEvST_, .Lfunc_end431-_ZN7rocprim17ROCPRIM_400000_NS6detail17trampoline_kernelINS0_14default_configENS1_22reduce_config_selectorIN6thrust23THRUST_200600_302600_NS5tupleIllNS6_9null_typeES8_S8_S8_S8_S8_S8_S8_EEEEZNS1_11reduce_implILb0ES3_NS6_12zip_iteratorINS7_INS6_10device_ptrIlEENS6_11hip_rocprim19counting_iterator_tIlEES8_S8_S8_S8_S8_S8_S8_S8_EEEEPS9_S9_NSF_9__extrema9arg_max_fIllNS6_4lessIlEEEEEE10hipError_tPvRmT1_T2_T3_mT4_P12ihipStream_tbEUlT_E1_NS1_11comp_targetILNS1_3genE5ELNS1_11target_archE942ELNS1_3gpuE9ELNS1_3repE0EEENS1_30default_config_static_selectorELNS0_4arch9wavefront6targetE1EEEvST_
                                        ; -- End function
	.section	.AMDGPU.csdata,"",@progbits
; Kernel info:
; codeLenInByte = 0
; NumSgprs: 4
; NumVgprs: 0
; NumAgprs: 0
; TotalNumVgprs: 0
; ScratchSize: 0
; MemoryBound: 0
; FloatMode: 240
; IeeeMode: 1
; LDSByteSize: 0 bytes/workgroup (compile time only)
; SGPRBlocks: 0
; VGPRBlocks: 0
; NumSGPRsForWavesPerEU: 4
; NumVGPRsForWavesPerEU: 1
; AccumOffset: 4
; Occupancy: 8
; WaveLimiterHint : 0
; COMPUTE_PGM_RSRC2:SCRATCH_EN: 0
; COMPUTE_PGM_RSRC2:USER_SGPR: 6
; COMPUTE_PGM_RSRC2:TRAP_HANDLER: 0
; COMPUTE_PGM_RSRC2:TGID_X_EN: 1
; COMPUTE_PGM_RSRC2:TGID_Y_EN: 0
; COMPUTE_PGM_RSRC2:TGID_Z_EN: 0
; COMPUTE_PGM_RSRC2:TIDIG_COMP_CNT: 0
; COMPUTE_PGM_RSRC3_GFX90A:ACCUM_OFFSET: 0
; COMPUTE_PGM_RSRC3_GFX90A:TG_SPLIT: 0
	.section	.text._ZN7rocprim17ROCPRIM_400000_NS6detail17trampoline_kernelINS0_14default_configENS1_22reduce_config_selectorIN6thrust23THRUST_200600_302600_NS5tupleIllNS6_9null_typeES8_S8_S8_S8_S8_S8_S8_EEEEZNS1_11reduce_implILb0ES3_NS6_12zip_iteratorINS7_INS6_10device_ptrIlEENS6_11hip_rocprim19counting_iterator_tIlEES8_S8_S8_S8_S8_S8_S8_S8_EEEEPS9_S9_NSF_9__extrema9arg_max_fIllNS6_4lessIlEEEEEE10hipError_tPvRmT1_T2_T3_mT4_P12ihipStream_tbEUlT_E1_NS1_11comp_targetILNS1_3genE4ELNS1_11target_archE910ELNS1_3gpuE8ELNS1_3repE0EEENS1_30default_config_static_selectorELNS0_4arch9wavefront6targetE1EEEvST_,"axG",@progbits,_ZN7rocprim17ROCPRIM_400000_NS6detail17trampoline_kernelINS0_14default_configENS1_22reduce_config_selectorIN6thrust23THRUST_200600_302600_NS5tupleIllNS6_9null_typeES8_S8_S8_S8_S8_S8_S8_EEEEZNS1_11reduce_implILb0ES3_NS6_12zip_iteratorINS7_INS6_10device_ptrIlEENS6_11hip_rocprim19counting_iterator_tIlEES8_S8_S8_S8_S8_S8_S8_S8_EEEEPS9_S9_NSF_9__extrema9arg_max_fIllNS6_4lessIlEEEEEE10hipError_tPvRmT1_T2_T3_mT4_P12ihipStream_tbEUlT_E1_NS1_11comp_targetILNS1_3genE4ELNS1_11target_archE910ELNS1_3gpuE8ELNS1_3repE0EEENS1_30default_config_static_selectorELNS0_4arch9wavefront6targetE1EEEvST_,comdat
	.protected	_ZN7rocprim17ROCPRIM_400000_NS6detail17trampoline_kernelINS0_14default_configENS1_22reduce_config_selectorIN6thrust23THRUST_200600_302600_NS5tupleIllNS6_9null_typeES8_S8_S8_S8_S8_S8_S8_EEEEZNS1_11reduce_implILb0ES3_NS6_12zip_iteratorINS7_INS6_10device_ptrIlEENS6_11hip_rocprim19counting_iterator_tIlEES8_S8_S8_S8_S8_S8_S8_S8_EEEEPS9_S9_NSF_9__extrema9arg_max_fIllNS6_4lessIlEEEEEE10hipError_tPvRmT1_T2_T3_mT4_P12ihipStream_tbEUlT_E1_NS1_11comp_targetILNS1_3genE4ELNS1_11target_archE910ELNS1_3gpuE8ELNS1_3repE0EEENS1_30default_config_static_selectorELNS0_4arch9wavefront6targetE1EEEvST_ ; -- Begin function _ZN7rocprim17ROCPRIM_400000_NS6detail17trampoline_kernelINS0_14default_configENS1_22reduce_config_selectorIN6thrust23THRUST_200600_302600_NS5tupleIllNS6_9null_typeES8_S8_S8_S8_S8_S8_S8_EEEEZNS1_11reduce_implILb0ES3_NS6_12zip_iteratorINS7_INS6_10device_ptrIlEENS6_11hip_rocprim19counting_iterator_tIlEES8_S8_S8_S8_S8_S8_S8_S8_EEEEPS9_S9_NSF_9__extrema9arg_max_fIllNS6_4lessIlEEEEEE10hipError_tPvRmT1_T2_T3_mT4_P12ihipStream_tbEUlT_E1_NS1_11comp_targetILNS1_3genE4ELNS1_11target_archE910ELNS1_3gpuE8ELNS1_3repE0EEENS1_30default_config_static_selectorELNS0_4arch9wavefront6targetE1EEEvST_
	.globl	_ZN7rocprim17ROCPRIM_400000_NS6detail17trampoline_kernelINS0_14default_configENS1_22reduce_config_selectorIN6thrust23THRUST_200600_302600_NS5tupleIllNS6_9null_typeES8_S8_S8_S8_S8_S8_S8_EEEEZNS1_11reduce_implILb0ES3_NS6_12zip_iteratorINS7_INS6_10device_ptrIlEENS6_11hip_rocprim19counting_iterator_tIlEES8_S8_S8_S8_S8_S8_S8_S8_EEEEPS9_S9_NSF_9__extrema9arg_max_fIllNS6_4lessIlEEEEEE10hipError_tPvRmT1_T2_T3_mT4_P12ihipStream_tbEUlT_E1_NS1_11comp_targetILNS1_3genE4ELNS1_11target_archE910ELNS1_3gpuE8ELNS1_3repE0EEENS1_30default_config_static_selectorELNS0_4arch9wavefront6targetE1EEEvST_
	.p2align	8
	.type	_ZN7rocprim17ROCPRIM_400000_NS6detail17trampoline_kernelINS0_14default_configENS1_22reduce_config_selectorIN6thrust23THRUST_200600_302600_NS5tupleIllNS6_9null_typeES8_S8_S8_S8_S8_S8_S8_EEEEZNS1_11reduce_implILb0ES3_NS6_12zip_iteratorINS7_INS6_10device_ptrIlEENS6_11hip_rocprim19counting_iterator_tIlEES8_S8_S8_S8_S8_S8_S8_S8_EEEEPS9_S9_NSF_9__extrema9arg_max_fIllNS6_4lessIlEEEEEE10hipError_tPvRmT1_T2_T3_mT4_P12ihipStream_tbEUlT_E1_NS1_11comp_targetILNS1_3genE4ELNS1_11target_archE910ELNS1_3gpuE8ELNS1_3repE0EEENS1_30default_config_static_selectorELNS0_4arch9wavefront6targetE1EEEvST_,@function
_ZN7rocprim17ROCPRIM_400000_NS6detail17trampoline_kernelINS0_14default_configENS1_22reduce_config_selectorIN6thrust23THRUST_200600_302600_NS5tupleIllNS6_9null_typeES8_S8_S8_S8_S8_S8_S8_EEEEZNS1_11reduce_implILb0ES3_NS6_12zip_iteratorINS7_INS6_10device_ptrIlEENS6_11hip_rocprim19counting_iterator_tIlEES8_S8_S8_S8_S8_S8_S8_S8_EEEEPS9_S9_NSF_9__extrema9arg_max_fIllNS6_4lessIlEEEEEE10hipError_tPvRmT1_T2_T3_mT4_P12ihipStream_tbEUlT_E1_NS1_11comp_targetILNS1_3genE4ELNS1_11target_archE910ELNS1_3gpuE8ELNS1_3repE0EEENS1_30default_config_static_selectorELNS0_4arch9wavefront6targetE1EEEvST_: ; @_ZN7rocprim17ROCPRIM_400000_NS6detail17trampoline_kernelINS0_14default_configENS1_22reduce_config_selectorIN6thrust23THRUST_200600_302600_NS5tupleIllNS6_9null_typeES8_S8_S8_S8_S8_S8_S8_EEEEZNS1_11reduce_implILb0ES3_NS6_12zip_iteratorINS7_INS6_10device_ptrIlEENS6_11hip_rocprim19counting_iterator_tIlEES8_S8_S8_S8_S8_S8_S8_S8_EEEEPS9_S9_NSF_9__extrema9arg_max_fIllNS6_4lessIlEEEEEE10hipError_tPvRmT1_T2_T3_mT4_P12ihipStream_tbEUlT_E1_NS1_11comp_targetILNS1_3genE4ELNS1_11target_archE910ELNS1_3gpuE8ELNS1_3repE0EEENS1_30default_config_static_selectorELNS0_4arch9wavefront6targetE1EEEvST_
; %bb.0:
	s_load_dword s30, s[4:5], 0x4
	s_load_dwordx8 s[20:27], s[4:5], 0x8
	s_waitcnt lgkmcnt(0)
	s_cmp_lt_i32 s30, 4
	s_cbranch_scc1 .LBB432_22
; %bb.1:
	s_cmp_gt_i32 s30, 7
	s_cbranch_scc0 .LBB432_23
; %bb.2:
	s_cmp_eq_u32 s30, 8
	s_mov_b64 s[18:19], 0
	s_cbranch_scc0 .LBB432_24
; %bb.3:
	s_mov_b32 s7, 0
	s_lshl_b32 s28, s6, 11
	s_mov_b32 s29, s7
	s_lshr_b64 s[0:1], s[24:25], 11
	s_lshl_b64 s[2:3], s[28:29], 3
	s_add_u32 s16, s20, s2
	s_addc_u32 s17, s21, s3
	s_add_u32 s31, s22, s28
	s_addc_u32 s33, s23, 0
	s_cmp_lg_u64 s[0:1], s[6:7]
	s_cbranch_scc0 .LBB432_45
; %bb.4:
	v_mov_b32_e32 v1, 0
	v_lshlrev_b64 v[2:3], 3, v[0:1]
	v_mov_b32_e32 v1, s17
	v_add_co_u32_e32 v2, vcc, s16, v2
	v_addc_co_u32_e32 v3, vcc, v1, v3, vcc
	v_mov_b32_e32 v1, s33
	v_add_co_u32_e32 v24, vcc, s31, v0
	v_addc_co_u32_e32 v1, vcc, 0, v1, vcc
	v_add_co_u32_e32 v26, vcc, 0x100, v24
	s_mov_b64 s[0:1], vcc
	v_add_co_u32_e32 v27, vcc, 0x200, v24
	global_load_dwordx2 v[4:5], v[2:3], off
	global_load_dwordx2 v[6:7], v[2:3], off offset:2048
	s_mov_b64 s[2:3], vcc
	v_add_co_u32_e32 v8, vcc, 0x1000, v2
	v_addc_co_u32_e32 v9, vcc, 0, v3, vcc
	global_load_dwordx2 v[10:11], v[8:9], off
	v_add_co_u32_e32 v28, vcc, 0x300, v24
	global_load_dwordx2 v[8:9], v[8:9], off offset:2048
	s_mov_b64 s[8:9], vcc
	v_add_co_u32_e32 v29, vcc, 0x400, v24
	s_mov_b64 s[10:11], vcc
	v_add_co_u32_e32 v12, vcc, 0x2000, v2
	v_addc_co_u32_e32 v13, vcc, 0, v3, vcc
	global_load_dwordx2 v[14:15], v[12:13], off
	global_load_dwordx2 v[16:17], v[12:13], off offset:2048
	v_add_co_u32_e32 v12, vcc, 0x500, v24
	s_mov_b64 s[12:13], vcc
	v_add_co_u32_e32 v18, vcc, 0x600, v24
	s_mov_b64 s[14:15], vcc
	v_add_co_u32_e32 v2, vcc, 0x3000, v2
	v_addc_co_u32_e32 v3, vcc, 0, v3, vcc
	global_load_dwordx2 v[20:21], v[2:3], off
	global_load_dwordx2 v[22:23], v[2:3], off offset:2048
	v_addc_co_u32_e64 v30, vcc, 0, v1, s[0:1]
	v_addc_co_u32_e64 v31, vcc, 0, v1, s[2:3]
	;; [unrolled: 1-line block ×6, first 2 shown]
	v_add_co_u32_e32 v2, vcc, 0x700, v24
	v_addc_co_u32_e32 v3, vcc, 0, v1, vcc
	s_waitcnt vmcnt(6)
	v_cmp_gt_i64_e32 vcc, v[4:5], v[6:7]
	v_cmp_lt_i64_e64 s[0:1], v[4:5], v[6:7]
	v_cndmask_b32_e32 v25, v7, v5, vcc
	v_cndmask_b32_e64 v7, v24, v26, s[0:1]
	v_cndmask_b32_e32 v24, v6, v4, vcc
	v_cndmask_b32_e64 v1, v1, v30, s[0:1]
	s_waitcnt vmcnt(5)
	v_cmp_gt_i64_e64 s[0:1], v[24:25], v[10:11]
	v_cndmask_b32_e64 v5, v11, v25, s[0:1]
	v_cndmask_b32_e64 v4, v10, v24, s[0:1]
	v_cmp_lt_i64_e32 vcc, v[24:25], v[10:11]
	s_waitcnt vmcnt(4)
	v_cmp_gt_i64_e64 s[0:1], v[4:5], v[8:9]
	v_cndmask_b32_e32 v1, v1, v31, vcc
	v_cndmask_b32_e32 v6, v7, v27, vcc
	v_cmp_lt_i64_e32 vcc, v[4:5], v[8:9]
	v_cndmask_b32_e64 v5, v9, v5, s[0:1]
	v_cndmask_b32_e64 v4, v8, v4, s[0:1]
	v_cndmask_b32_e32 v6, v6, v28, vcc
	v_cndmask_b32_e32 v1, v1, v32, vcc
	s_waitcnt vmcnt(3)
	v_cmp_lt_i64_e32 vcc, v[4:5], v[14:15]
	v_cndmask_b32_e32 v7, v1, v33, vcc
	v_cndmask_b32_e32 v6, v6, v29, vcc
	v_cmp_gt_i64_e32 vcc, v[4:5], v[14:15]
	v_cndmask_b32_e32 v5, v15, v5, vcc
	v_cndmask_b32_e32 v4, v14, v4, vcc
	s_waitcnt vmcnt(2)
	v_cmp_lt_i64_e32 vcc, v[16:17], v[4:5]
	v_cmp_lt_i64_e64 s[0:1], v[6:7], v[12:13]
	s_or_b64 vcc, vcc, s[0:1]
	v_cndmask_b32_e32 v1, v16, v4, vcc
	v_cndmask_b32_e32 v8, v17, v5, vcc
	v_cndmask_b32_e32 v6, v12, v6, vcc
	v_cndmask_b32_e32 v7, v13, v7, vcc
	v_cmp_lt_i64_e32 vcc, v[4:5], v[16:17]
	v_cndmask_b32_e32 v5, v7, v13, vcc
	v_cndmask_b32_e32 v4, v6, v12, vcc
	v_cndmask_b32_e32 v7, v8, v17, vcc
	v_cndmask_b32_e32 v6, v1, v16, vcc
	s_waitcnt vmcnt(1)
	v_cmp_lt_i64_e32 vcc, v[20:21], v[6:7]
	v_cmp_lt_i64_e64 s[0:1], v[4:5], v[18:19]
	s_or_b64 vcc, vcc, s[0:1]
	v_cndmask_b32_e32 v1, v20, v6, vcc
	v_cndmask_b32_e32 v8, v21, v7, vcc
	v_cndmask_b32_e32 v4, v18, v4, vcc
	v_cndmask_b32_e32 v5, v19, v5, vcc
	v_cmp_lt_i64_e32 vcc, v[6:7], v[20:21]
	v_cndmask_b32_e32 v5, v5, v19, vcc
	v_cndmask_b32_e32 v4, v4, v18, vcc
	v_cndmask_b32_e32 v7, v8, v21, vcc
	v_cndmask_b32_e32 v6, v1, v20, vcc
	s_waitcnt vmcnt(0)
	v_cmp_lt_i64_e32 vcc, v[22:23], v[6:7]
	v_cmp_lt_i64_e64 s[0:1], v[4:5], v[2:3]
	s_or_b64 vcc, vcc, s[0:1]
	v_cndmask_b32_e32 v1, v22, v6, vcc
	v_cndmask_b32_e32 v8, v23, v7, vcc
	v_cndmask_b32_e32 v4, v2, v4, vcc
	v_cndmask_b32_e32 v5, v3, v5, vcc
	v_cmp_lt_i64_e32 vcc, v[6:7], v[22:23]
	v_cndmask_b32_e32 v5, v5, v3, vcc
	v_cndmask_b32_e32 v4, v4, v2, vcc
	v_cndmask_b32_e32 v3, v8, v23, vcc
	v_cndmask_b32_e32 v2, v1, v22, vcc
	v_mov_b32_dpp v8, v4 quad_perm:[1,0,3,2] row_mask:0xf bank_mask:0xf bound_ctrl:1
	v_mov_b32_dpp v7, v3 quad_perm:[1,0,3,2] row_mask:0xf bank_mask:0xf bound_ctrl:1
	;; [unrolled: 1-line block ×4, first 2 shown]
	v_cmp_ge_i64_e32 vcc, v[6:7], v[2:3]
	s_and_saveexec_b64 s[2:3], vcc
; %bb.5:
	v_mov_b32_e32 v9, v10
	v_cmp_gt_i64_e32 vcc, v[6:7], v[2:3]
	v_cmp_lt_i64_e64 s[0:1], v[8:9], v[4:5]
	s_or_b64 vcc, vcc, s[0:1]
	v_cndmask_b32_e32 v5, v5, v10, vcc
	v_cndmask_b32_e32 v4, v4, v8, vcc
	;; [unrolled: 1-line block ×4, first 2 shown]
; %bb.6:
	s_or_b64 exec, exec, s[2:3]
	s_nop 0
	v_mov_b32_dpp v6, v2 quad_perm:[2,3,0,1] row_mask:0xf bank_mask:0xf bound_ctrl:1
	v_mov_b32_dpp v7, v3 quad_perm:[2,3,0,1] row_mask:0xf bank_mask:0xf bound_ctrl:1
	;; [unrolled: 1-line block ×4, first 2 shown]
	v_cmp_ge_i64_e32 vcc, v[6:7], v[2:3]
	s_and_saveexec_b64 s[2:3], vcc
; %bb.7:
	v_mov_b32_e32 v9, v10
	v_cmp_lt_i64_e32 vcc, v[2:3], v[6:7]
	v_cmp_lt_i64_e64 s[0:1], v[8:9], v[4:5]
	s_or_b64 vcc, vcc, s[0:1]
	v_cndmask_b32_e32 v5, v5, v10, vcc
	v_cndmask_b32_e32 v4, v4, v8, vcc
	v_cndmask_b32_e32 v3, v3, v7, vcc
	v_cndmask_b32_e32 v2, v2, v6, vcc
; %bb.8:
	s_or_b64 exec, exec, s[2:3]
	s_nop 0
	v_mov_b32_dpp v6, v2 row_ror:4 row_mask:0xf bank_mask:0xf bound_ctrl:1
	v_mov_b32_dpp v7, v3 row_ror:4 row_mask:0xf bank_mask:0xf bound_ctrl:1
	;; [unrolled: 1-line block ×4, first 2 shown]
	v_cmp_ge_i64_e32 vcc, v[6:7], v[2:3]
	s_and_saveexec_b64 s[2:3], vcc
; %bb.9:
	v_mov_b32_e32 v9, v10
	v_cmp_lt_i64_e32 vcc, v[2:3], v[6:7]
	v_cmp_lt_i64_e64 s[0:1], v[8:9], v[4:5]
	s_or_b64 vcc, vcc, s[0:1]
	v_cndmask_b32_e32 v5, v5, v10, vcc
	v_cndmask_b32_e32 v4, v4, v8, vcc
	v_cndmask_b32_e32 v3, v3, v7, vcc
	v_cndmask_b32_e32 v2, v2, v6, vcc
; %bb.10:
	s_or_b64 exec, exec, s[2:3]
	s_nop 0
	v_mov_b32_dpp v6, v2 row_ror:8 row_mask:0xf bank_mask:0xf bound_ctrl:1
	v_mov_b32_dpp v7, v3 row_ror:8 row_mask:0xf bank_mask:0xf bound_ctrl:1
	;; [unrolled: 1-line block ×4, first 2 shown]
	v_cmp_ge_i64_e32 vcc, v[6:7], v[2:3]
	s_and_saveexec_b64 s[2:3], vcc
; %bb.11:
	v_mov_b32_e32 v9, v10
	v_cmp_lt_i64_e32 vcc, v[2:3], v[6:7]
	v_cmp_lt_i64_e64 s[0:1], v[8:9], v[4:5]
	s_or_b64 vcc, vcc, s[0:1]
	v_cndmask_b32_e32 v5, v5, v10, vcc
	v_cndmask_b32_e32 v4, v4, v8, vcc
	;; [unrolled: 1-line block ×4, first 2 shown]
; %bb.12:
	s_or_b64 exec, exec, s[2:3]
	s_nop 0
	v_mov_b32_dpp v6, v2 row_bcast:15 row_mask:0xf bank_mask:0xf bound_ctrl:1
	v_mov_b32_dpp v7, v3 row_bcast:15 row_mask:0xf bank_mask:0xf bound_ctrl:1
	;; [unrolled: 1-line block ×4, first 2 shown]
	v_cmp_ge_i64_e32 vcc, v[6:7], v[2:3]
	s_and_saveexec_b64 s[2:3], vcc
; %bb.13:
	v_mov_b32_e32 v9, v10
	v_cmp_lt_i64_e32 vcc, v[2:3], v[6:7]
	v_cmp_lt_i64_e64 s[0:1], v[8:9], v[4:5]
	s_or_b64 vcc, vcc, s[0:1]
	v_cndmask_b32_e32 v5, v5, v10, vcc
	v_cndmask_b32_e32 v4, v4, v8, vcc
	;; [unrolled: 1-line block ×4, first 2 shown]
; %bb.14:
	s_or_b64 exec, exec, s[2:3]
	s_nop 0
	v_mov_b32_dpp v6, v2 row_bcast:31 row_mask:0xf bank_mask:0xf bound_ctrl:1
	v_mov_b32_dpp v7, v3 row_bcast:31 row_mask:0xf bank_mask:0xf bound_ctrl:1
	;; [unrolled: 1-line block ×4, first 2 shown]
	v_cmp_ge_i64_e32 vcc, v[6:7], v[2:3]
	s_and_saveexec_b64 s[2:3], vcc
; %bb.15:
	v_mov_b32_e32 v9, v10
	v_cmp_lt_i64_e32 vcc, v[2:3], v[6:7]
	v_cmp_lt_i64_e64 s[0:1], v[8:9], v[4:5]
	s_or_b64 vcc, vcc, s[0:1]
	v_cndmask_b32_e32 v5, v5, v10, vcc
	v_cndmask_b32_e32 v4, v4, v8, vcc
	v_cndmask_b32_e32 v3, v3, v7, vcc
	v_cndmask_b32_e32 v2, v2, v6, vcc
; %bb.16:
	s_or_b64 exec, exec, s[2:3]
	v_mbcnt_lo_u32_b32 v1, -1, 0
	v_mbcnt_hi_u32_b32 v1, -1, v1
	v_bfrev_b32_e32 v6, 0.5
	v_lshl_or_b32 v6, v1, 2, v6
	ds_bpermute_b32 v2, v6, v2
	ds_bpermute_b32 v3, v6, v3
	;; [unrolled: 1-line block ×4, first 2 shown]
	v_cmp_eq_u32_e32 vcc, 0, v1
	s_and_saveexec_b64 s[0:1], vcc
	s_cbranch_execz .LBB432_18
; %bb.17:
	v_lshrrev_b32_e32 v6, 2, v0
	v_and_b32_e32 v6, 48, v6
	s_waitcnt lgkmcnt(0)
	ds_write2_b64 v6, v[2:3], v[4:5] offset0:24 offset1:25
.LBB432_18:
	s_or_b64 exec, exec, s[0:1]
	v_cmp_gt_u32_e32 vcc, 64, v0
	s_waitcnt lgkmcnt(0)
	s_barrier
	s_and_saveexec_b64 s[2:3], vcc
	s_cbranch_execz .LBB432_20
; %bb.19:
	v_and_b32_e32 v9, 3, v1
	v_lshlrev_b32_e32 v2, 4, v9
	ds_read2_b64 v[2:5], v2 offset0:24 offset1:25
	v_cmp_ne_u32_e32 vcc, 3, v9
	v_addc_co_u32_e32 v6, vcc, 0, v1, vcc
	v_lshlrev_b32_e32 v10, 2, v6
	s_waitcnt lgkmcnt(0)
	ds_bpermute_b32 v8, v10, v5
	ds_bpermute_b32 v6, v10, v2
	ds_bpermute_b32 v7, v10, v3
	ds_bpermute_b32 v10, v10, v4
	s_waitcnt lgkmcnt(3)
	v_mov_b32_e32 v11, v8
	s_waitcnt lgkmcnt(1)
	v_cmp_lt_i64_e32 vcc, v[6:7], v[2:3]
	s_waitcnt lgkmcnt(0)
	v_cmp_gt_i64_e64 s[0:1], v[10:11], v[4:5]
	s_or_b64 vcc, vcc, s[0:1]
	v_cndmask_b32_e32 v11, v6, v2, vcc
	v_cndmask_b32_e32 v12, v7, v3, vcc
	;; [unrolled: 1-line block ×4, first 2 shown]
	v_cmp_gt_i64_e32 vcc, v[6:7], v[2:3]
	v_cndmask_b32_e32 v3, v5, v8, vcc
	v_cndmask_b32_e32 v2, v4, v10, vcc
	;; [unrolled: 1-line block ×4, first 2 shown]
	v_cmp_gt_u32_e32 vcc, 2, v9
	v_cndmask_b32_e64 v6, 0, 1, vcc
	v_lshlrev_b32_e32 v6, 1, v6
	v_add_lshl_u32 v1, v6, v1, 2
	ds_bpermute_b32 v8, v1, v3
	ds_bpermute_b32 v6, v1, v4
	;; [unrolled: 1-line block ×4, first 2 shown]
	s_waitcnt lgkmcnt(3)
	v_mov_b32_e32 v11, v8
	s_waitcnt lgkmcnt(1)
	v_cmp_lt_i64_e32 vcc, v[6:7], v[4:5]
	s_waitcnt lgkmcnt(0)
	v_cmp_lt_i64_e64 s[0:1], v[2:3], v[10:11]
	s_or_b64 vcc, vcc, s[0:1]
	v_cndmask_b32_e32 v1, v6, v4, vcc
	v_cndmask_b32_e32 v9, v7, v5, vcc
	;; [unrolled: 1-line block ×4, first 2 shown]
	v_cmp_lt_i64_e32 vcc, v[4:5], v[6:7]
	v_cndmask_b32_e32 v5, v3, v8, vcc
	v_cndmask_b32_e32 v4, v2, v10, vcc
	v_cndmask_b32_e32 v3, v9, v7, vcc
	v_cndmask_b32_e32 v2, v1, v6, vcc
.LBB432_20:
	s_or_b64 exec, exec, s[2:3]
.LBB432_21:
	v_cmp_eq_u32_e64 s[0:1], 0, v0
	s_and_b64 vcc, exec, s[18:19]
	s_cbranch_vccnz .LBB432_25
	s_branch .LBB432_90
.LBB432_22:
	s_mov_b64 s[0:1], 0
                                        ; implicit-def: $vgpr4_vgpr5
	s_cbranch_execnz .LBB432_125
	s_branch .LBB432_197
.LBB432_23:
	s_mov_b64 s[18:19], -1
.LBB432_24:
	s_mov_b64 s[0:1], 0
                                        ; implicit-def: $vgpr4_vgpr5
	s_and_b64 vcc, exec, s[18:19]
	s_cbranch_vccz .LBB432_90
.LBB432_25:
	s_cmp_eq_u32 s30, 4
	s_cbranch_scc0 .LBB432_44
; %bb.26:
	s_mov_b32 s7, 0
	s_lshl_b32 s10, s6, 10
	s_mov_b32 s11, s7
	s_lshr_b64 s[0:1], s[24:25], 10
	s_lshl_b64 s[2:3], s[10:11], 3
	s_add_u32 s8, s20, s2
	s_addc_u32 s9, s21, s3
	s_add_u32 s12, s22, s10
	s_addc_u32 s13, s23, 0
	s_cmp_lg_u64 s[0:1], s[6:7]
	s_cbranch_scc0 .LBB432_91
; %bb.27:
	v_lshlrev_b32_e32 v1, 3, v0
	v_mov_b32_e32 v2, s9
	s_waitcnt lgkmcnt(3)
	v_add_co_u32_e32 v6, vcc, s8, v1
	s_waitcnt lgkmcnt(2)
	v_addc_co_u32_e32 v7, vcc, 0, v2, vcc
	v_mov_b32_e32 v2, s13
	v_add_co_u32_e32 v12, vcc, s12, v0
	v_addc_co_u32_e32 v13, vcc, 0, v2, vcc
	v_add_co_u32_e32 v14, vcc, 0x100, v12
	global_load_dwordx2 v[2:3], v1, s[8:9]
	global_load_dwordx2 v[4:5], v1, s[8:9] offset:2048
	s_mov_b64 s[0:1], vcc
	v_add_co_u32_e32 v1, vcc, 0x200, v12
	s_mov_b64 s[2:3], vcc
	v_add_co_u32_e32 v6, vcc, 0x1000, v6
	v_addc_co_u32_e32 v7, vcc, 0, v7, vcc
	s_waitcnt lgkmcnt(0)
	global_load_dwordx2 v[8:9], v[6:7], off
	global_load_dwordx2 v[10:11], v[6:7], off offset:2048
	v_addc_co_u32_e64 v6, vcc, 0, v13, s[0:1]
	v_addc_co_u32_e64 v15, vcc, 0, v13, s[2:3]
	v_add_co_u32_e32 v16, vcc, 0x300, v12
	v_addc_co_u32_e32 v17, vcc, 0, v13, vcc
	s_waitcnt vmcnt(2)
	v_cmp_gt_i64_e32 vcc, v[2:3], v[4:5]
	v_cmp_lt_i64_e64 s[0:1], v[2:3], v[4:5]
	v_cndmask_b32_e32 v7, v5, v3, vcc
	v_cndmask_b32_e64 v5, v13, v6, s[0:1]
	v_cndmask_b32_e32 v6, v4, v2, vcc
	v_cndmask_b32_e64 v2, v12, v14, s[0:1]
	s_waitcnt vmcnt(1)
	v_cmp_lt_i64_e32 vcc, v[6:7], v[8:9]
	v_cmp_gt_i64_e64 s[0:1], v[6:7], v[8:9]
	v_cndmask_b32_e32 v1, v2, v1, vcc
	v_cndmask_b32_e64 v3, v9, v7, s[0:1]
	v_cndmask_b32_e64 v2, v8, v6, s[0:1]
	s_waitcnt vmcnt(0)
	v_cmp_gt_i64_e64 s[0:1], v[2:3], v[10:11]
	v_cndmask_b32_e32 v4, v5, v15, vcc
	v_cmp_lt_i64_e32 vcc, v[2:3], v[10:11]
	v_cndmask_b32_e64 v3, v11, v3, s[0:1]
	v_cndmask_b32_e64 v2, v10, v2, s[0:1]
	v_cndmask_b32_e32 v5, v4, v17, vcc
	v_cndmask_b32_e32 v4, v1, v16, vcc
	v_mov_b32_dpp v7, v3 quad_perm:[1,0,3,2] row_mask:0xf bank_mask:0xf bound_ctrl:1
	v_mov_b32_dpp v6, v2 quad_perm:[1,0,3,2] row_mask:0xf bank_mask:0xf bound_ctrl:1
	;; [unrolled: 1-line block ×4, first 2 shown]
	v_cmp_ge_i64_e32 vcc, v[6:7], v[2:3]
	s_and_saveexec_b64 s[2:3], vcc
; %bb.28:
	v_mov_b32_e32 v9, v10
	v_cmp_gt_i64_e32 vcc, v[6:7], v[2:3]
	v_cmp_lt_i64_e64 s[0:1], v[8:9], v[4:5]
	s_or_b64 vcc, vcc, s[0:1]
	v_cndmask_b32_e32 v5, v5, v10, vcc
	v_cndmask_b32_e32 v4, v4, v8, vcc
	;; [unrolled: 1-line block ×4, first 2 shown]
; %bb.29:
	s_or_b64 exec, exec, s[2:3]
	s_nop 0
	v_mov_b32_dpp v6, v2 quad_perm:[2,3,0,1] row_mask:0xf bank_mask:0xf bound_ctrl:1
	v_mov_b32_dpp v7, v3 quad_perm:[2,3,0,1] row_mask:0xf bank_mask:0xf bound_ctrl:1
	v_mov_b32_dpp v8, v4 quad_perm:[2,3,0,1] row_mask:0xf bank_mask:0xf bound_ctrl:1
	v_mov_b32_dpp v10, v5 quad_perm:[2,3,0,1] row_mask:0xf bank_mask:0xf bound_ctrl:1
	v_cmp_ge_i64_e32 vcc, v[6:7], v[2:3]
	s_and_saveexec_b64 s[2:3], vcc
; %bb.30:
	v_mov_b32_e32 v9, v10
	v_cmp_lt_i64_e32 vcc, v[2:3], v[6:7]
	v_cmp_lt_i64_e64 s[0:1], v[8:9], v[4:5]
	s_or_b64 vcc, vcc, s[0:1]
	v_cndmask_b32_e32 v5, v5, v10, vcc
	v_cndmask_b32_e32 v4, v4, v8, vcc
	;; [unrolled: 1-line block ×4, first 2 shown]
; %bb.31:
	s_or_b64 exec, exec, s[2:3]
	s_nop 0
	v_mov_b32_dpp v6, v2 row_ror:4 row_mask:0xf bank_mask:0xf bound_ctrl:1
	v_mov_b32_dpp v7, v3 row_ror:4 row_mask:0xf bank_mask:0xf bound_ctrl:1
	;; [unrolled: 1-line block ×4, first 2 shown]
	v_cmp_ge_i64_e32 vcc, v[6:7], v[2:3]
	s_and_saveexec_b64 s[2:3], vcc
; %bb.32:
	v_mov_b32_e32 v9, v10
	v_cmp_lt_i64_e32 vcc, v[2:3], v[6:7]
	v_cmp_lt_i64_e64 s[0:1], v[8:9], v[4:5]
	s_or_b64 vcc, vcc, s[0:1]
	v_cndmask_b32_e32 v5, v5, v10, vcc
	v_cndmask_b32_e32 v4, v4, v8, vcc
	;; [unrolled: 1-line block ×4, first 2 shown]
; %bb.33:
	s_or_b64 exec, exec, s[2:3]
	s_nop 0
	v_mov_b32_dpp v6, v2 row_ror:8 row_mask:0xf bank_mask:0xf bound_ctrl:1
	v_mov_b32_dpp v7, v3 row_ror:8 row_mask:0xf bank_mask:0xf bound_ctrl:1
	;; [unrolled: 1-line block ×4, first 2 shown]
	v_cmp_ge_i64_e32 vcc, v[6:7], v[2:3]
	s_and_saveexec_b64 s[2:3], vcc
; %bb.34:
	v_mov_b32_e32 v9, v10
	v_cmp_lt_i64_e32 vcc, v[2:3], v[6:7]
	v_cmp_lt_i64_e64 s[0:1], v[8:9], v[4:5]
	s_or_b64 vcc, vcc, s[0:1]
	v_cndmask_b32_e32 v5, v5, v10, vcc
	v_cndmask_b32_e32 v4, v4, v8, vcc
	;; [unrolled: 1-line block ×4, first 2 shown]
; %bb.35:
	s_or_b64 exec, exec, s[2:3]
	s_nop 0
	v_mov_b32_dpp v6, v2 row_bcast:15 row_mask:0xf bank_mask:0xf bound_ctrl:1
	v_mov_b32_dpp v7, v3 row_bcast:15 row_mask:0xf bank_mask:0xf bound_ctrl:1
	;; [unrolled: 1-line block ×4, first 2 shown]
	v_cmp_ge_i64_e32 vcc, v[6:7], v[2:3]
	s_and_saveexec_b64 s[2:3], vcc
; %bb.36:
	v_mov_b32_e32 v9, v10
	v_cmp_lt_i64_e32 vcc, v[2:3], v[6:7]
	v_cmp_lt_i64_e64 s[0:1], v[8:9], v[4:5]
	s_or_b64 vcc, vcc, s[0:1]
	v_cndmask_b32_e32 v5, v5, v10, vcc
	v_cndmask_b32_e32 v4, v4, v8, vcc
	;; [unrolled: 1-line block ×4, first 2 shown]
; %bb.37:
	s_or_b64 exec, exec, s[2:3]
	s_nop 0
	v_mov_b32_dpp v6, v2 row_bcast:31 row_mask:0xf bank_mask:0xf bound_ctrl:1
	v_mov_b32_dpp v7, v3 row_bcast:31 row_mask:0xf bank_mask:0xf bound_ctrl:1
	;; [unrolled: 1-line block ×4, first 2 shown]
	v_cmp_ge_i64_e32 vcc, v[6:7], v[2:3]
	s_and_saveexec_b64 s[2:3], vcc
; %bb.38:
	v_mov_b32_e32 v9, v10
	v_cmp_lt_i64_e32 vcc, v[2:3], v[6:7]
	v_cmp_lt_i64_e64 s[0:1], v[8:9], v[4:5]
	s_or_b64 vcc, vcc, s[0:1]
	v_cndmask_b32_e32 v5, v5, v10, vcc
	v_cndmask_b32_e32 v4, v4, v8, vcc
	;; [unrolled: 1-line block ×4, first 2 shown]
; %bb.39:
	s_or_b64 exec, exec, s[2:3]
	v_mbcnt_lo_u32_b32 v1, -1, 0
	v_mbcnt_hi_u32_b32 v1, -1, v1
	v_bfrev_b32_e32 v6, 0.5
	v_lshl_or_b32 v6, v1, 2, v6
	ds_bpermute_b32 v2, v6, v2
	ds_bpermute_b32 v3, v6, v3
	;; [unrolled: 1-line block ×4, first 2 shown]
	v_cmp_eq_u32_e32 vcc, 0, v1
	s_and_saveexec_b64 s[0:1], vcc
	s_cbranch_execz .LBB432_41
; %bb.40:
	v_lshrrev_b32_e32 v6, 2, v0
	v_and_b32_e32 v6, 48, v6
	s_waitcnt lgkmcnt(0)
	ds_write2_b64 v6, v[2:3], v[4:5] offset0:16 offset1:17
.LBB432_41:
	s_or_b64 exec, exec, s[0:1]
	v_cmp_gt_u32_e32 vcc, 64, v0
	s_waitcnt lgkmcnt(0)
	s_barrier
	s_and_saveexec_b64 s[2:3], vcc
	s_cbranch_execz .LBB432_43
; %bb.42:
	v_and_b32_e32 v9, 3, v1
	v_lshlrev_b32_e32 v2, 4, v9
	ds_read2_b64 v[2:5], v2 offset0:16 offset1:17
	v_cmp_ne_u32_e32 vcc, 3, v9
	v_addc_co_u32_e32 v6, vcc, 0, v1, vcc
	v_lshlrev_b32_e32 v10, 2, v6
	s_waitcnt lgkmcnt(0)
	ds_bpermute_b32 v8, v10, v5
	ds_bpermute_b32 v6, v10, v2
	;; [unrolled: 1-line block ×4, first 2 shown]
	s_waitcnt lgkmcnt(3)
	v_mov_b32_e32 v11, v8
	s_waitcnt lgkmcnt(1)
	v_cmp_lt_i64_e32 vcc, v[6:7], v[2:3]
	s_waitcnt lgkmcnt(0)
	v_cmp_gt_i64_e64 s[0:1], v[10:11], v[4:5]
	s_or_b64 vcc, vcc, s[0:1]
	v_cndmask_b32_e32 v11, v6, v2, vcc
	v_cndmask_b32_e32 v12, v7, v3, vcc
	;; [unrolled: 1-line block ×4, first 2 shown]
	v_cmp_gt_i64_e32 vcc, v[6:7], v[2:3]
	v_cndmask_b32_e32 v3, v5, v8, vcc
	v_cndmask_b32_e32 v2, v4, v10, vcc
	;; [unrolled: 1-line block ×4, first 2 shown]
	v_cmp_gt_u32_e32 vcc, 2, v9
	v_cndmask_b32_e64 v6, 0, 1, vcc
	v_lshlrev_b32_e32 v6, 1, v6
	v_add_lshl_u32 v1, v6, v1, 2
	ds_bpermute_b32 v8, v1, v3
	ds_bpermute_b32 v6, v1, v4
	;; [unrolled: 1-line block ×4, first 2 shown]
	s_waitcnt lgkmcnt(3)
	v_mov_b32_e32 v11, v8
	s_waitcnt lgkmcnt(1)
	v_cmp_lt_i64_e32 vcc, v[6:7], v[4:5]
	s_waitcnt lgkmcnt(0)
	v_cmp_lt_i64_e64 s[0:1], v[2:3], v[10:11]
	s_or_b64 vcc, vcc, s[0:1]
	v_cndmask_b32_e32 v1, v6, v4, vcc
	v_cndmask_b32_e32 v9, v7, v5, vcc
	;; [unrolled: 1-line block ×4, first 2 shown]
	v_cmp_lt_i64_e32 vcc, v[4:5], v[6:7]
	v_cndmask_b32_e32 v5, v3, v8, vcc
	v_cndmask_b32_e32 v4, v2, v10, vcc
	v_cndmask_b32_e32 v3, v9, v7, vcc
	v_cndmask_b32_e32 v2, v1, v6, vcc
.LBB432_43:
	s_or_b64 exec, exec, s[2:3]
	s_branch .LBB432_124
.LBB432_44:
                                        ; implicit-def: $vgpr4_vgpr5
	s_branch .LBB432_197
.LBB432_45:
                                        ; implicit-def: $vgpr2_vgpr3
	s_cbranch_execz .LBB432_21
; %bb.46:
	s_sub_i32 s34, s24, s28
	v_pk_mov_b32 v[20:21], 0, 0
	v_cmp_gt_u32_e32 vcc, s34, v0
	v_pk_mov_b32 v[4:5], v[20:21], v[20:21] op_sel:[0,1]
	v_pk_mov_b32 v[2:3], v[20:21], v[20:21] op_sel:[0,1]
	s_and_saveexec_b64 s[0:1], vcc
	s_cbranch_execz .LBB432_48
; %bb.47:
	v_lshlrev_b32_e32 v1, 3, v0
	global_load_dwordx2 v[2:3], v1, s[16:17]
	v_mov_b32_e32 v1, s33
	v_add_co_u32_e32 v4, vcc, s31, v0
	v_addc_co_u32_e32 v5, vcc, 0, v1, vcc
.LBB432_48:
	s_or_b64 exec, exec, s[0:1]
	v_or_b32_e32 v1, 0x100, v0
	v_cmp_gt_u32_e64 s[14:15], s34, v1
	v_pk_mov_b32 v[30:31], v[20:21], v[20:21] op_sel:[0,1]
	s_and_saveexec_b64 s[0:1], s[14:15]
	s_cbranch_execz .LBB432_50
; %bb.49:
	v_lshlrev_b32_e32 v6, 3, v0
	global_load_dwordx2 v[30:31], v6, s[16:17] offset:2048
	v_mov_b32_e32 v6, s33
	v_add_co_u32_e32 v20, vcc, s31, v1
	v_addc_co_u32_e32 v21, vcc, 0, v6, vcc
.LBB432_50:
	s_or_b64 exec, exec, s[0:1]
	v_or_b32_e32 v1, 0x200, v0
	v_pk_mov_b32 v[12:13], 0, 0
	v_cmp_gt_u32_e64 s[12:13], s34, v1
	v_pk_mov_b32 v[32:33], v[12:13], v[12:13] op_sel:[0,1]
	v_pk_mov_b32 v[28:29], v[12:13], v[12:13] op_sel:[0,1]
	s_and_saveexec_b64 s[0:1], s[12:13]
	s_cbranch_execz .LBB432_52
; %bb.51:
	v_lshlrev_b32_e32 v6, 3, v1
	global_load_dwordx2 v[28:29], v6, s[16:17]
	v_mov_b32_e32 v6, s33
	v_add_co_u32_e32 v32, vcc, s31, v1
	v_addc_co_u32_e32 v33, vcc, 0, v6, vcc
.LBB432_52:
	s_or_b64 exec, exec, s[0:1]
	v_or_b32_e32 v1, 0x300, v0
	v_cmp_gt_u32_e64 s[10:11], s34, v1
	v_pk_mov_b32 v[24:25], v[12:13], v[12:13] op_sel:[0,1]
	s_and_saveexec_b64 s[0:1], s[10:11]
	s_cbranch_execz .LBB432_54
; %bb.53:
	v_lshlrev_b32_e32 v6, 3, v1
	global_load_dwordx2 v[24:25], v6, s[16:17]
	v_mov_b32_e32 v6, s33
	v_add_co_u32_e32 v12, vcc, s31, v1
	v_addc_co_u32_e32 v13, vcc, 0, v6, vcc
.LBB432_54:
	s_or_b64 exec, exec, s[0:1]
	v_or_b32_e32 v1, 0x400, v0
	v_pk_mov_b32 v[8:9], 0, 0
	v_cmp_gt_u32_e64 s[8:9], s34, v1
	v_pk_mov_b32 v[26:27], v[8:9], v[8:9] op_sel:[0,1]
	v_pk_mov_b32 v[22:23], v[8:9], v[8:9] op_sel:[0,1]
	s_and_saveexec_b64 s[0:1], s[8:9]
	s_cbranch_execz .LBB432_56
; %bb.55:
	v_lshlrev_b32_e32 v6, 3, v1
	global_load_dwordx2 v[22:23], v6, s[16:17]
	v_mov_b32_e32 v6, s33
	v_add_co_u32_e32 v26, vcc, s31, v1
	v_addc_co_u32_e32 v27, vcc, 0, v6, vcc
.LBB432_56:
	s_or_b64 exec, exec, s[0:1]
	v_or_b32_e32 v1, 0x500, v0
	v_cmp_gt_u32_e64 s[2:3], s34, v1
	v_pk_mov_b32 v[16:17], v[8:9], v[8:9] op_sel:[0,1]
	s_and_saveexec_b64 s[0:1], s[2:3]
	s_cbranch_execz .LBB432_58
; %bb.57:
	v_lshlrev_b32_e32 v6, 3, v1
	global_load_dwordx2 v[16:17], v6, s[16:17]
	v_mov_b32_e32 v6, s33
	v_add_co_u32_e32 v8, vcc, s31, v1
	v_addc_co_u32_e32 v9, vcc, 0, v6, vcc
.LBB432_58:
	s_or_b64 exec, exec, s[0:1]
	v_or_b32_e32 v1, 0x600, v0
	v_pk_mov_b32 v[6:7], 0, 0
	v_cmp_gt_u32_e64 s[0:1], s34, v1
	v_pk_mov_b32 v[18:19], v[6:7], v[6:7] op_sel:[0,1]
	v_pk_mov_b32 v[14:15], v[6:7], v[6:7] op_sel:[0,1]
	s_and_saveexec_b64 s[28:29], s[0:1]
	s_cbranch_execz .LBB432_60
; %bb.59:
	v_lshlrev_b32_e32 v10, 3, v1
	global_load_dwordx2 v[14:15], v10, s[16:17]
	v_mov_b32_e32 v10, s33
	v_add_co_u32_e32 v18, vcc, s31, v1
	v_addc_co_u32_e32 v19, vcc, 0, v10, vcc
.LBB432_60:
	s_or_b64 exec, exec, s[28:29]
	v_or_b32_e32 v1, 0x700, v0
	v_cmp_gt_u32_e32 vcc, s34, v1
	v_pk_mov_b32 v[10:11], v[6:7], v[6:7] op_sel:[0,1]
	s_and_saveexec_b64 s[28:29], vcc
	s_cbranch_execnz .LBB432_224
; %bb.61:
	s_or_b64 exec, exec, s[28:29]
	s_and_saveexec_b64 s[28:29], s[14:15]
	s_cbranch_execnz .LBB432_225
.LBB432_62:
	s_or_b64 exec, exec, s[28:29]
	s_and_saveexec_b64 s[16:17], s[12:13]
	s_cbranch_execnz .LBB432_226
.LBB432_63:
	s_or_b64 exec, exec, s[16:17]
	s_and_saveexec_b64 s[14:15], s[10:11]
	s_cbranch_execnz .LBB432_227
.LBB432_64:
	s_or_b64 exec, exec, s[14:15]
	s_and_saveexec_b64 s[12:13], s[8:9]
	s_cbranch_execnz .LBB432_228
.LBB432_65:
	s_or_b64 exec, exec, s[12:13]
	s_and_saveexec_b64 s[10:11], s[2:3]
	s_cbranch_execnz .LBB432_229
.LBB432_66:
	s_or_b64 exec, exec, s[10:11]
	s_and_saveexec_b64 s[8:9], s[0:1]
	s_cbranch_execnz .LBB432_230
.LBB432_67:
	s_or_b64 exec, exec, s[8:9]
	s_and_saveexec_b64 s[2:3], vcc
	s_cbranch_execz .LBB432_69
.LBB432_68:
	s_waitcnt vmcnt(0)
	v_cmp_lt_i64_e32 vcc, v[10:11], v[2:3]
	v_cmp_lt_i64_e64 s[0:1], v[4:5], v[6:7]
	s_or_b64 vcc, vcc, s[0:1]
	v_cndmask_b32_e32 v1, v10, v2, vcc
	v_cndmask_b32_e32 v8, v11, v3, vcc
	;; [unrolled: 1-line block ×4, first 2 shown]
	v_cmp_lt_i64_e32 vcc, v[2:3], v[10:11]
	v_cndmask_b32_e32 v5, v5, v7, vcc
	v_cndmask_b32_e32 v4, v4, v6, vcc
	;; [unrolled: 1-line block ×4, first 2 shown]
.LBB432_69:
	s_or_b64 exec, exec, s[2:3]
	v_mbcnt_lo_u32_b32 v1, -1, 0
	v_mbcnt_hi_u32_b32 v1, -1, v1
	s_waitcnt vmcnt(0)
	v_and_b32_e32 v11, 63, v1
	v_cmp_ne_u32_e32 vcc, 63, v11
	v_addc_co_u32_e32 v6, vcc, 0, v1, vcc
	v_lshlrev_b32_e32 v9, 2, v6
	ds_bpermute_b32 v6, v9, v2
	ds_bpermute_b32 v7, v9, v3
	;; [unrolled: 1-line block ×4, first 2 shown]
	s_min_u32 s8, s34, 0x100
	v_and_b32_e32 v9, 0xc0, v0
	v_sub_u32_e64 v12, s8, v9 clamp
	v_add_u32_e32 v9, 1, v11
	v_cmp_lt_u32_e32 vcc, v9, v12
	s_and_saveexec_b64 s[0:1], vcc
	s_xor_b64 s[2:3], exec, s[0:1]
	s_cbranch_execz .LBB432_71
; %bb.70:
	s_waitcnt lgkmcnt(0)
	v_mov_b32_e32 v9, v10
	v_cmp_lt_i64_e32 vcc, v[6:7], v[2:3]
	v_cmp_lt_i64_e64 s[0:1], v[4:5], v[8:9]
	s_or_b64 vcc, vcc, s[0:1]
	v_cndmask_b32_e32 v9, v6, v2, vcc
	v_cndmask_b32_e32 v13, v7, v3, vcc
	v_cndmask_b32_e32 v4, v8, v4, vcc
	v_cndmask_b32_e32 v5, v10, v5, vcc
	v_cmp_lt_i64_e32 vcc, v[2:3], v[6:7]
	v_cndmask_b32_e32 v5, v5, v10, vcc
	v_cndmask_b32_e32 v4, v4, v8, vcc
	v_cndmask_b32_e32 v3, v13, v7, vcc
	v_cndmask_b32_e32 v2, v9, v6, vcc
.LBB432_71:
	s_or_b64 exec, exec, s[2:3]
	v_cmp_gt_u32_e32 vcc, 62, v11
	s_waitcnt lgkmcnt(3)
	v_cndmask_b32_e64 v6, 0, 1, vcc
	v_lshlrev_b32_e32 v6, 1, v6
	v_add_lshl_u32 v9, v6, v1, 2
	ds_bpermute_b32 v6, v9, v2
	s_waitcnt lgkmcnt(3)
	ds_bpermute_b32 v7, v9, v3
	s_waitcnt lgkmcnt(3)
	ds_bpermute_b32 v8, v9, v4
	s_waitcnt lgkmcnt(3)
	ds_bpermute_b32 v10, v9, v5
	v_add_u32_e32 v9, 2, v11
	v_cmp_lt_u32_e32 vcc, v9, v12
	s_and_saveexec_b64 s[2:3], vcc
	s_cbranch_execz .LBB432_73
; %bb.72:
	s_waitcnt lgkmcnt(0)
	v_mov_b32_e32 v9, v10
	v_cmp_lt_i64_e32 vcc, v[6:7], v[2:3]
	v_cmp_lt_i64_e64 s[0:1], v[4:5], v[8:9]
	s_or_b64 vcc, vcc, s[0:1]
	v_cndmask_b32_e32 v9, v6, v2, vcc
	v_cndmask_b32_e32 v13, v7, v3, vcc
	v_cndmask_b32_e32 v4, v8, v4, vcc
	v_cndmask_b32_e32 v5, v10, v5, vcc
	v_cmp_lt_i64_e32 vcc, v[2:3], v[6:7]
	v_cndmask_b32_e32 v5, v5, v10, vcc
	v_cndmask_b32_e32 v4, v4, v8, vcc
	v_cndmask_b32_e32 v3, v13, v7, vcc
	v_cndmask_b32_e32 v2, v9, v6, vcc
.LBB432_73:
	s_or_b64 exec, exec, s[2:3]
	v_cmp_gt_u32_e32 vcc, 60, v11
	s_waitcnt lgkmcnt(3)
	v_cndmask_b32_e64 v6, 0, 1, vcc
	v_lshlrev_b32_e32 v6, 2, v6
	v_add_lshl_u32 v9, v6, v1, 2
	ds_bpermute_b32 v6, v9, v2
	s_waitcnt lgkmcnt(3)
	ds_bpermute_b32 v7, v9, v3
	s_waitcnt lgkmcnt(3)
	ds_bpermute_b32 v8, v9, v4
	s_waitcnt lgkmcnt(3)
	ds_bpermute_b32 v10, v9, v5
	v_add_u32_e32 v9, 4, v11
	v_cmp_lt_u32_e32 vcc, v9, v12
	s_and_saveexec_b64 s[2:3], vcc
	;; [unrolled: 33-line block ×4, first 2 shown]
	s_cbranch_execz .LBB432_79
; %bb.78:
	s_waitcnt lgkmcnt(0)
	v_mov_b32_e32 v9, v10
	v_cmp_lt_i64_e32 vcc, v[6:7], v[2:3]
	v_cmp_lt_i64_e64 s[0:1], v[4:5], v[8:9]
	s_or_b64 vcc, vcc, s[0:1]
	v_cndmask_b32_e32 v9, v6, v2, vcc
	v_cndmask_b32_e32 v13, v7, v3, vcc
	;; [unrolled: 1-line block ×4, first 2 shown]
	v_cmp_lt_i64_e32 vcc, v[2:3], v[6:7]
	v_cndmask_b32_e32 v5, v5, v10, vcc
	v_cndmask_b32_e32 v4, v4, v8, vcc
	;; [unrolled: 1-line block ×4, first 2 shown]
.LBB432_79:
	s_or_b64 exec, exec, s[2:3]
	v_cmp_gt_u32_e32 vcc, 32, v11
	s_waitcnt lgkmcnt(3)
	v_cndmask_b32_e64 v6, 0, 1, vcc
	v_lshlrev_b32_e32 v6, 5, v6
	v_add_lshl_u32 v9, v6, v1, 2
	ds_bpermute_b32 v6, v9, v2
	s_waitcnt lgkmcnt(3)
	ds_bpermute_b32 v7, v9, v3
	s_waitcnt lgkmcnt(3)
	ds_bpermute_b32 v8, v9, v4
	ds_bpermute_b32 v9, v9, v5
	s_waitcnt lgkmcnt(4)
	v_add_u32_e32 v10, 32, v11
	v_cmp_lt_u32_e32 vcc, v10, v12
	s_and_saveexec_b64 s[2:3], vcc
	s_cbranch_execz .LBB432_81
; %bb.80:
	s_waitcnt lgkmcnt(2)
	v_cmp_lt_i64_e32 vcc, v[6:7], v[2:3]
	s_waitcnt lgkmcnt(0)
	v_cmp_lt_i64_e64 s[0:1], v[4:5], v[8:9]
	s_or_b64 vcc, vcc, s[0:1]
	v_cndmask_b32_e32 v10, v6, v2, vcc
	v_cndmask_b32_e32 v11, v7, v3, vcc
	;; [unrolled: 1-line block ×4, first 2 shown]
	v_cmp_lt_i64_e32 vcc, v[2:3], v[6:7]
	v_cndmask_b32_e32 v5, v5, v9, vcc
	v_cndmask_b32_e32 v4, v4, v8, vcc
	;; [unrolled: 1-line block ×4, first 2 shown]
.LBB432_81:
	s_or_b64 exec, exec, s[2:3]
	v_cmp_eq_u32_e32 vcc, 0, v1
	s_and_saveexec_b64 s[0:1], vcc
	s_cbranch_execz .LBB432_83
; %bb.82:
	s_waitcnt lgkmcnt(3)
	v_lshrrev_b32_e32 v6, 2, v0
	v_and_b32_e32 v6, 48, v6
	ds_write2_b64 v6, v[2:3], v[4:5] offset0:32 offset1:33
.LBB432_83:
	s_or_b64 exec, exec, s[0:1]
	v_cmp_gt_u32_e32 vcc, 4, v0
	s_waitcnt lgkmcnt(0)
	s_barrier
	s_and_saveexec_b64 s[2:3], vcc
	s_cbranch_execz .LBB432_89
; %bb.84:
	v_lshlrev_b32_e32 v2, 4, v1
	ds_read2_b64 v[2:5], v2 offset0:32 offset1:33
	v_and_b32_e32 v11, 3, v1
	v_cmp_ne_u32_e32 vcc, 3, v11
	v_addc_co_u32_e32 v6, vcc, 0, v1, vcc
	v_lshlrev_b32_e32 v9, 2, v6
	s_waitcnt lgkmcnt(0)
	ds_bpermute_b32 v6, v9, v2
	ds_bpermute_b32 v7, v9, v3
	;; [unrolled: 1-line block ×4, first 2 shown]
	s_add_i32 s8, s8, 63
	s_lshr_b32 s10, s8, 6
	v_add_u32_e32 v9, 1, v11
	v_cmp_gt_u32_e32 vcc, s10, v9
	s_and_saveexec_b64 s[8:9], vcc
	s_cbranch_execz .LBB432_86
; %bb.85:
	s_waitcnt lgkmcnt(0)
	v_mov_b32_e32 v9, v10
	v_cmp_lt_i64_e32 vcc, v[6:7], v[2:3]
	v_cmp_lt_i64_e64 s[0:1], v[4:5], v[8:9]
	s_or_b64 vcc, vcc, s[0:1]
	v_cndmask_b32_e32 v9, v6, v2, vcc
	v_cndmask_b32_e32 v12, v7, v3, vcc
	;; [unrolled: 1-line block ×4, first 2 shown]
	v_cmp_lt_i64_e32 vcc, v[2:3], v[6:7]
	v_cndmask_b32_e32 v5, v5, v10, vcc
	v_cndmask_b32_e32 v4, v4, v8, vcc
	;; [unrolled: 1-line block ×4, first 2 shown]
.LBB432_86:
	s_or_b64 exec, exec, s[8:9]
	v_cmp_gt_u32_e32 vcc, 2, v11
	s_waitcnt lgkmcnt(3)
	v_cndmask_b32_e64 v6, 0, 1, vcc
	v_lshlrev_b32_e32 v6, 1, v6
	v_add_lshl_u32 v1, v6, v1, 2
	ds_bpermute_b32 v6, v1, v2
	s_waitcnt lgkmcnt(3)
	ds_bpermute_b32 v7, v1, v3
	s_waitcnt lgkmcnt(3)
	ds_bpermute_b32 v8, v1, v4
	ds_bpermute_b32 v9, v1, v5
	v_add_u32_e32 v1, 2, v11
	v_cmp_gt_u32_e32 vcc, s10, v1
	s_and_saveexec_b64 s[8:9], vcc
	s_cbranch_execz .LBB432_88
; %bb.87:
	s_waitcnt lgkmcnt(2)
	v_cmp_lt_i64_e32 vcc, v[6:7], v[2:3]
	s_waitcnt lgkmcnt(0)
	v_cmp_lt_i64_e64 s[0:1], v[4:5], v[8:9]
	s_or_b64 vcc, vcc, s[0:1]
	v_cndmask_b32_e32 v1, v6, v2, vcc
	v_cndmask_b32_e32 v10, v7, v3, vcc
	v_cndmask_b32_e32 v4, v8, v4, vcc
	v_cndmask_b32_e32 v5, v9, v5, vcc
	v_cmp_lt_i64_e32 vcc, v[2:3], v[6:7]
	v_cndmask_b32_e32 v5, v5, v9, vcc
	v_cndmask_b32_e32 v4, v4, v8, vcc
	;; [unrolled: 1-line block ×4, first 2 shown]
.LBB432_88:
	s_or_b64 exec, exec, s[8:9]
.LBB432_89:
	s_or_b64 exec, exec, s[2:3]
	v_cmp_eq_u32_e64 s[0:1], 0, v0
	s_and_b64 vcc, exec, s[18:19]
	s_cbranch_vccnz .LBB432_25
.LBB432_90:
	s_branch .LBB432_197
.LBB432_91:
                                        ; implicit-def: $vgpr2_vgpr3
	s_cbranch_execz .LBB432_124
; %bb.92:
	s_sub_i32 s14, s24, s10
	s_waitcnt lgkmcnt(0)
	v_pk_mov_b32 v[8:9], 0, 0
	v_cmp_gt_u32_e32 vcc, s14, v0
	v_pk_mov_b32 v[4:5], v[8:9], v[8:9] op_sel:[0,1]
	v_pk_mov_b32 v[2:3], v[8:9], v[8:9] op_sel:[0,1]
	s_and_saveexec_b64 s[0:1], vcc
	s_cbranch_execz .LBB432_94
; %bb.93:
	v_lshlrev_b32_e32 v1, 3, v0
	global_load_dwordx2 v[2:3], v1, s[8:9]
	v_mov_b32_e32 v1, s13
	v_add_co_u32_e32 v4, vcc, s12, v0
	v_addc_co_u32_e32 v5, vcc, 0, v1, vcc
.LBB432_94:
	s_or_b64 exec, exec, s[0:1]
	v_or_b32_e32 v1, 0x100, v0
	v_cmp_gt_u32_e64 s[2:3], s14, v1
	v_pk_mov_b32 v[14:15], v[8:9], v[8:9] op_sel:[0,1]
	s_and_saveexec_b64 s[0:1], s[2:3]
	s_cbranch_execz .LBB432_96
; %bb.95:
	v_lshlrev_b32_e32 v6, 3, v0
	global_load_dwordx2 v[14:15], v6, s[8:9] offset:2048
	v_mov_b32_e32 v6, s13
	v_add_co_u32_e32 v8, vcc, s12, v1
	v_addc_co_u32_e32 v9, vcc, 0, v6, vcc
.LBB432_96:
	s_or_b64 exec, exec, s[0:1]
	v_or_b32_e32 v1, 0x200, v0
	v_pk_mov_b32 v[6:7], 0, 0
	v_cmp_gt_u32_e64 s[0:1], s14, v1
	v_pk_mov_b32 v[16:17], v[6:7], v[6:7] op_sel:[0,1]
	v_pk_mov_b32 v[12:13], v[6:7], v[6:7] op_sel:[0,1]
	s_and_saveexec_b64 s[10:11], s[0:1]
	s_cbranch_execz .LBB432_98
; %bb.97:
	v_lshlrev_b32_e32 v10, 3, v1
	global_load_dwordx2 v[12:13], v10, s[8:9]
	v_mov_b32_e32 v10, s13
	v_add_co_u32_e32 v16, vcc, s12, v1
	v_addc_co_u32_e32 v17, vcc, 0, v10, vcc
.LBB432_98:
	s_or_b64 exec, exec, s[10:11]
	v_or_b32_e32 v1, 0x300, v0
	v_cmp_gt_u32_e32 vcc, s14, v1
	v_pk_mov_b32 v[10:11], v[6:7], v[6:7] op_sel:[0,1]
	s_and_saveexec_b64 s[10:11], vcc
	s_cbranch_execnz .LBB432_231
; %bb.99:
	s_or_b64 exec, exec, s[10:11]
	s_and_saveexec_b64 s[10:11], s[2:3]
	s_cbranch_execnz .LBB432_232
.LBB432_100:
	s_or_b64 exec, exec, s[10:11]
	s_and_saveexec_b64 s[8:9], s[0:1]
	s_cbranch_execnz .LBB432_233
.LBB432_101:
	s_or_b64 exec, exec, s[8:9]
	s_and_saveexec_b64 s[2:3], vcc
	s_cbranch_execz .LBB432_103
.LBB432_102:
	s_waitcnt vmcnt(0)
	v_cmp_lt_i64_e32 vcc, v[10:11], v[2:3]
	v_cmp_lt_i64_e64 s[0:1], v[4:5], v[6:7]
	s_or_b64 vcc, vcc, s[0:1]
	v_cndmask_b32_e32 v1, v10, v2, vcc
	v_cndmask_b32_e32 v8, v11, v3, vcc
	;; [unrolled: 1-line block ×4, first 2 shown]
	v_cmp_lt_i64_e32 vcc, v[2:3], v[10:11]
	v_cndmask_b32_e32 v5, v5, v7, vcc
	v_cndmask_b32_e32 v4, v4, v6, vcc
	;; [unrolled: 1-line block ×4, first 2 shown]
.LBB432_103:
	s_or_b64 exec, exec, s[2:3]
	v_mbcnt_lo_u32_b32 v1, -1, 0
	v_mbcnt_hi_u32_b32 v1, -1, v1
	s_waitcnt vmcnt(0)
	v_and_b32_e32 v11, 63, v1
	v_cmp_ne_u32_e32 vcc, 63, v11
	v_addc_co_u32_e32 v6, vcc, 0, v1, vcc
	v_lshlrev_b32_e32 v9, 2, v6
	ds_bpermute_b32 v6, v9, v2
	ds_bpermute_b32 v7, v9, v3
	;; [unrolled: 1-line block ×4, first 2 shown]
	s_min_u32 s8, s14, 0x100
	v_and_b32_e32 v9, 0xc0, v0
	v_sub_u32_e64 v12, s8, v9 clamp
	v_add_u32_e32 v9, 1, v11
	v_cmp_lt_u32_e32 vcc, v9, v12
	s_and_saveexec_b64 s[0:1], vcc
	s_xor_b64 s[2:3], exec, s[0:1]
	s_cbranch_execz .LBB432_105
; %bb.104:
	s_waitcnt lgkmcnt(0)
	v_mov_b32_e32 v9, v10
	v_cmp_lt_i64_e32 vcc, v[6:7], v[2:3]
	v_cmp_lt_i64_e64 s[0:1], v[4:5], v[8:9]
	s_or_b64 vcc, vcc, s[0:1]
	v_cndmask_b32_e32 v9, v6, v2, vcc
	v_cndmask_b32_e32 v13, v7, v3, vcc
	v_cndmask_b32_e32 v4, v8, v4, vcc
	v_cndmask_b32_e32 v5, v10, v5, vcc
	v_cmp_lt_i64_e32 vcc, v[2:3], v[6:7]
	v_cndmask_b32_e32 v5, v5, v10, vcc
	v_cndmask_b32_e32 v4, v4, v8, vcc
	v_cndmask_b32_e32 v3, v13, v7, vcc
	v_cndmask_b32_e32 v2, v9, v6, vcc
.LBB432_105:
	s_or_b64 exec, exec, s[2:3]
	v_cmp_gt_u32_e32 vcc, 62, v11
	s_waitcnt lgkmcnt(3)
	v_cndmask_b32_e64 v6, 0, 1, vcc
	v_lshlrev_b32_e32 v6, 1, v6
	v_add_lshl_u32 v9, v6, v1, 2
	ds_bpermute_b32 v6, v9, v2
	s_waitcnt lgkmcnt(3)
	ds_bpermute_b32 v7, v9, v3
	s_waitcnt lgkmcnt(3)
	ds_bpermute_b32 v8, v9, v4
	s_waitcnt lgkmcnt(3)
	ds_bpermute_b32 v10, v9, v5
	v_add_u32_e32 v9, 2, v11
	v_cmp_lt_u32_e32 vcc, v9, v12
	s_and_saveexec_b64 s[2:3], vcc
	s_cbranch_execz .LBB432_107
; %bb.106:
	s_waitcnt lgkmcnt(0)
	v_mov_b32_e32 v9, v10
	v_cmp_lt_i64_e32 vcc, v[6:7], v[2:3]
	v_cmp_lt_i64_e64 s[0:1], v[4:5], v[8:9]
	s_or_b64 vcc, vcc, s[0:1]
	v_cndmask_b32_e32 v9, v6, v2, vcc
	v_cndmask_b32_e32 v13, v7, v3, vcc
	v_cndmask_b32_e32 v4, v8, v4, vcc
	v_cndmask_b32_e32 v5, v10, v5, vcc
	v_cmp_lt_i64_e32 vcc, v[2:3], v[6:7]
	v_cndmask_b32_e32 v5, v5, v10, vcc
	v_cndmask_b32_e32 v4, v4, v8, vcc
	v_cndmask_b32_e32 v3, v13, v7, vcc
	v_cndmask_b32_e32 v2, v9, v6, vcc
.LBB432_107:
	s_or_b64 exec, exec, s[2:3]
	v_cmp_gt_u32_e32 vcc, 60, v11
	s_waitcnt lgkmcnt(3)
	v_cndmask_b32_e64 v6, 0, 1, vcc
	v_lshlrev_b32_e32 v6, 2, v6
	v_add_lshl_u32 v9, v6, v1, 2
	ds_bpermute_b32 v6, v9, v2
	s_waitcnt lgkmcnt(3)
	ds_bpermute_b32 v7, v9, v3
	s_waitcnt lgkmcnt(3)
	ds_bpermute_b32 v8, v9, v4
	s_waitcnt lgkmcnt(3)
	ds_bpermute_b32 v10, v9, v5
	v_add_u32_e32 v9, 4, v11
	v_cmp_lt_u32_e32 vcc, v9, v12
	s_and_saveexec_b64 s[2:3], vcc
	;; [unrolled: 33-line block ×4, first 2 shown]
	s_cbranch_execz .LBB432_113
; %bb.112:
	s_waitcnt lgkmcnt(0)
	v_mov_b32_e32 v9, v10
	v_cmp_lt_i64_e32 vcc, v[6:7], v[2:3]
	v_cmp_lt_i64_e64 s[0:1], v[4:5], v[8:9]
	s_or_b64 vcc, vcc, s[0:1]
	v_cndmask_b32_e32 v9, v6, v2, vcc
	v_cndmask_b32_e32 v13, v7, v3, vcc
	;; [unrolled: 1-line block ×4, first 2 shown]
	v_cmp_lt_i64_e32 vcc, v[2:3], v[6:7]
	v_cndmask_b32_e32 v5, v5, v10, vcc
	v_cndmask_b32_e32 v4, v4, v8, vcc
	;; [unrolled: 1-line block ×4, first 2 shown]
.LBB432_113:
	s_or_b64 exec, exec, s[2:3]
	v_cmp_gt_u32_e32 vcc, 32, v11
	s_waitcnt lgkmcnt(3)
	v_cndmask_b32_e64 v6, 0, 1, vcc
	v_lshlrev_b32_e32 v6, 5, v6
	v_add_lshl_u32 v9, v6, v1, 2
	ds_bpermute_b32 v6, v9, v2
	s_waitcnt lgkmcnt(3)
	ds_bpermute_b32 v7, v9, v3
	s_waitcnt lgkmcnt(3)
	ds_bpermute_b32 v8, v9, v4
	ds_bpermute_b32 v9, v9, v5
	s_waitcnt lgkmcnt(4)
	v_add_u32_e32 v10, 32, v11
	v_cmp_lt_u32_e32 vcc, v10, v12
	s_and_saveexec_b64 s[2:3], vcc
	s_cbranch_execz .LBB432_115
; %bb.114:
	s_waitcnt lgkmcnt(2)
	v_cmp_lt_i64_e32 vcc, v[6:7], v[2:3]
	s_waitcnt lgkmcnt(0)
	v_cmp_lt_i64_e64 s[0:1], v[4:5], v[8:9]
	s_or_b64 vcc, vcc, s[0:1]
	v_cndmask_b32_e32 v10, v6, v2, vcc
	v_cndmask_b32_e32 v11, v7, v3, vcc
	;; [unrolled: 1-line block ×4, first 2 shown]
	v_cmp_lt_i64_e32 vcc, v[2:3], v[6:7]
	v_cndmask_b32_e32 v5, v5, v9, vcc
	v_cndmask_b32_e32 v4, v4, v8, vcc
	;; [unrolled: 1-line block ×4, first 2 shown]
.LBB432_115:
	s_or_b64 exec, exec, s[2:3]
	v_cmp_eq_u32_e32 vcc, 0, v1
	s_and_saveexec_b64 s[0:1], vcc
	s_cbranch_execz .LBB432_117
; %bb.116:
	s_waitcnt lgkmcnt(3)
	v_lshrrev_b32_e32 v6, 2, v0
	v_and_b32_e32 v6, 48, v6
	ds_write2_b64 v6, v[2:3], v[4:5] offset0:32 offset1:33
.LBB432_117:
	s_or_b64 exec, exec, s[0:1]
	v_cmp_gt_u32_e32 vcc, 4, v0
	s_waitcnt lgkmcnt(0)
	s_barrier
	s_and_saveexec_b64 s[2:3], vcc
	s_cbranch_execz .LBB432_123
; %bb.118:
	v_lshlrev_b32_e32 v2, 4, v1
	ds_read2_b64 v[2:5], v2 offset0:32 offset1:33
	v_and_b32_e32 v11, 3, v1
	v_cmp_ne_u32_e32 vcc, 3, v11
	v_addc_co_u32_e32 v6, vcc, 0, v1, vcc
	v_lshlrev_b32_e32 v9, 2, v6
	s_waitcnt lgkmcnt(0)
	ds_bpermute_b32 v6, v9, v2
	ds_bpermute_b32 v7, v9, v3
	;; [unrolled: 1-line block ×4, first 2 shown]
	s_add_i32 s8, s8, 63
	s_lshr_b32 s10, s8, 6
	v_add_u32_e32 v9, 1, v11
	v_cmp_gt_u32_e32 vcc, s10, v9
	s_and_saveexec_b64 s[8:9], vcc
	s_cbranch_execz .LBB432_120
; %bb.119:
	s_waitcnt lgkmcnt(0)
	v_mov_b32_e32 v9, v10
	v_cmp_lt_i64_e32 vcc, v[6:7], v[2:3]
	v_cmp_lt_i64_e64 s[0:1], v[4:5], v[8:9]
	s_or_b64 vcc, vcc, s[0:1]
	v_cndmask_b32_e32 v9, v6, v2, vcc
	v_cndmask_b32_e32 v12, v7, v3, vcc
	;; [unrolled: 1-line block ×4, first 2 shown]
	v_cmp_lt_i64_e32 vcc, v[2:3], v[6:7]
	v_cndmask_b32_e32 v5, v5, v10, vcc
	v_cndmask_b32_e32 v4, v4, v8, vcc
	;; [unrolled: 1-line block ×4, first 2 shown]
.LBB432_120:
	s_or_b64 exec, exec, s[8:9]
	v_cmp_gt_u32_e32 vcc, 2, v11
	s_waitcnt lgkmcnt(3)
	v_cndmask_b32_e64 v6, 0, 1, vcc
	v_lshlrev_b32_e32 v6, 1, v6
	v_add_lshl_u32 v1, v6, v1, 2
	ds_bpermute_b32 v6, v1, v2
	s_waitcnt lgkmcnt(3)
	ds_bpermute_b32 v7, v1, v3
	s_waitcnt lgkmcnt(3)
	ds_bpermute_b32 v8, v1, v4
	ds_bpermute_b32 v9, v1, v5
	v_add_u32_e32 v1, 2, v11
	v_cmp_gt_u32_e32 vcc, s10, v1
	s_and_saveexec_b64 s[8:9], vcc
	s_cbranch_execz .LBB432_122
; %bb.121:
	s_waitcnt lgkmcnt(2)
	v_cmp_lt_i64_e32 vcc, v[6:7], v[2:3]
	s_waitcnt lgkmcnt(0)
	v_cmp_lt_i64_e64 s[0:1], v[4:5], v[8:9]
	s_or_b64 vcc, vcc, s[0:1]
	v_cndmask_b32_e32 v1, v6, v2, vcc
	v_cndmask_b32_e32 v10, v7, v3, vcc
	;; [unrolled: 1-line block ×4, first 2 shown]
	v_cmp_lt_i64_e32 vcc, v[2:3], v[6:7]
	v_cndmask_b32_e32 v5, v5, v9, vcc
	v_cndmask_b32_e32 v4, v4, v8, vcc
	;; [unrolled: 1-line block ×4, first 2 shown]
.LBB432_122:
	s_or_b64 exec, exec, s[8:9]
.LBB432_123:
	s_or_b64 exec, exec, s[2:3]
.LBB432_124:
	v_cmp_eq_u32_e64 s[0:1], 0, v0
	s_branch .LBB432_197
.LBB432_125:
	s_cmp_gt_i32 s30, 1
	s_cbranch_scc0 .LBB432_145
; %bb.126:
	s_cmp_eq_u32 s30, 2
	s_cbranch_scc0 .LBB432_146
; %bb.127:
	s_mov_b32 s7, 0
	s_lshl_b32 s8, s6, 9
	s_mov_b32 s9, s7
	s_lshr_b64 s[0:1], s[24:25], 9
	s_lshl_b64 s[2:3], s[8:9], 3
	s_add_u32 s2, s20, s2
	s_addc_u32 s3, s21, s3
	s_add_u32 s12, s22, s8
	s_addc_u32 s13, s23, 0
	s_cmp_lg_u64 s[0:1], s[6:7]
	s_cbranch_scc0 .LBB432_147
; %bb.128:
	v_lshlrev_b32_e32 v1, 3, v0
	global_load_dwordx2 v[4:5], v1, s[2:3]
	s_waitcnt lgkmcnt(2)
	global_load_dwordx2 v[6:7], v1, s[2:3] offset:2048
	v_mov_b32_e32 v1, s13
	s_waitcnt lgkmcnt(1)
	v_add_co_u32_e32 v8, vcc, s12, v0
	v_addc_co_u32_e32 v1, vcc, 0, v1, vcc
	s_waitcnt lgkmcnt(0)
	v_add_co_u32_e32 v9, vcc, 0x100, v8
	v_addc_co_u32_e32 v2, vcc, 0, v1, vcc
	s_waitcnt vmcnt(0)
	v_cmp_gt_i64_e32 vcc, v[4:5], v[6:7]
	v_cmp_lt_i64_e64 s[0:1], v[4:5], v[6:7]
	v_cndmask_b32_e32 v3, v7, v5, vcc
	v_cndmask_b32_e64 v5, v1, v2, s[0:1]
	v_cndmask_b32_e32 v2, v6, v4, vcc
	v_cndmask_b32_e64 v4, v8, v9, s[0:1]
	v_mov_b32_dpp v7, v3 quad_perm:[1,0,3,2] row_mask:0xf bank_mask:0xf bound_ctrl:1
	v_mov_b32_dpp v6, v2 quad_perm:[1,0,3,2] row_mask:0xf bank_mask:0xf bound_ctrl:1
	v_mov_b32_dpp v8, v4 quad_perm:[1,0,3,2] row_mask:0xf bank_mask:0xf bound_ctrl:1
	v_mov_b32_dpp v10, v5 quad_perm:[1,0,3,2] row_mask:0xf bank_mask:0xf bound_ctrl:1
	v_cmp_ge_i64_e32 vcc, v[6:7], v[2:3]
	s_and_saveexec_b64 s[10:11], vcc
; %bb.129:
	v_mov_b32_e32 v9, v10
	v_cmp_gt_i64_e32 vcc, v[6:7], v[2:3]
	v_cmp_lt_i64_e64 s[0:1], v[8:9], v[4:5]
	s_or_b64 vcc, vcc, s[0:1]
	v_cndmask_b32_e32 v5, v5, v10, vcc
	v_cndmask_b32_e32 v4, v4, v8, vcc
	v_cndmask_b32_e32 v3, v3, v7, vcc
	v_cndmask_b32_e32 v2, v2, v6, vcc
; %bb.130:
	s_or_b64 exec, exec, s[10:11]
	s_nop 0
	v_mov_b32_dpp v6, v2 quad_perm:[2,3,0,1] row_mask:0xf bank_mask:0xf bound_ctrl:1
	v_mov_b32_dpp v7, v3 quad_perm:[2,3,0,1] row_mask:0xf bank_mask:0xf bound_ctrl:1
	;; [unrolled: 1-line block ×4, first 2 shown]
	v_cmp_ge_i64_e32 vcc, v[6:7], v[2:3]
	s_and_saveexec_b64 s[10:11], vcc
; %bb.131:
	v_mov_b32_e32 v9, v10
	v_cmp_lt_i64_e32 vcc, v[2:3], v[6:7]
	v_cmp_lt_i64_e64 s[0:1], v[8:9], v[4:5]
	s_or_b64 vcc, vcc, s[0:1]
	v_cndmask_b32_e32 v5, v5, v10, vcc
	v_cndmask_b32_e32 v4, v4, v8, vcc
	;; [unrolled: 1-line block ×4, first 2 shown]
; %bb.132:
	s_or_b64 exec, exec, s[10:11]
	s_nop 0
	v_mov_b32_dpp v6, v2 row_ror:4 row_mask:0xf bank_mask:0xf bound_ctrl:1
	v_mov_b32_dpp v7, v3 row_ror:4 row_mask:0xf bank_mask:0xf bound_ctrl:1
	;; [unrolled: 1-line block ×4, first 2 shown]
	v_cmp_ge_i64_e32 vcc, v[6:7], v[2:3]
	s_and_saveexec_b64 s[10:11], vcc
; %bb.133:
	v_mov_b32_e32 v9, v10
	v_cmp_lt_i64_e32 vcc, v[2:3], v[6:7]
	v_cmp_lt_i64_e64 s[0:1], v[8:9], v[4:5]
	s_or_b64 vcc, vcc, s[0:1]
	v_cndmask_b32_e32 v5, v5, v10, vcc
	v_cndmask_b32_e32 v4, v4, v8, vcc
	;; [unrolled: 1-line block ×4, first 2 shown]
; %bb.134:
	s_or_b64 exec, exec, s[10:11]
	s_nop 0
	v_mov_b32_dpp v6, v2 row_ror:8 row_mask:0xf bank_mask:0xf bound_ctrl:1
	v_mov_b32_dpp v7, v3 row_ror:8 row_mask:0xf bank_mask:0xf bound_ctrl:1
	;; [unrolled: 1-line block ×4, first 2 shown]
	v_cmp_ge_i64_e32 vcc, v[6:7], v[2:3]
	s_and_saveexec_b64 s[10:11], vcc
; %bb.135:
	v_mov_b32_e32 v9, v10
	v_cmp_lt_i64_e32 vcc, v[2:3], v[6:7]
	v_cmp_lt_i64_e64 s[0:1], v[8:9], v[4:5]
	s_or_b64 vcc, vcc, s[0:1]
	v_cndmask_b32_e32 v5, v5, v10, vcc
	v_cndmask_b32_e32 v4, v4, v8, vcc
	;; [unrolled: 1-line block ×4, first 2 shown]
; %bb.136:
	s_or_b64 exec, exec, s[10:11]
	s_nop 0
	v_mov_b32_dpp v6, v2 row_bcast:15 row_mask:0xf bank_mask:0xf bound_ctrl:1
	v_mov_b32_dpp v7, v3 row_bcast:15 row_mask:0xf bank_mask:0xf bound_ctrl:1
	;; [unrolled: 1-line block ×4, first 2 shown]
	v_cmp_ge_i64_e32 vcc, v[6:7], v[2:3]
	s_and_saveexec_b64 s[10:11], vcc
; %bb.137:
	v_mov_b32_e32 v9, v10
	v_cmp_lt_i64_e32 vcc, v[2:3], v[6:7]
	v_cmp_lt_i64_e64 s[0:1], v[8:9], v[4:5]
	s_or_b64 vcc, vcc, s[0:1]
	v_cndmask_b32_e32 v5, v5, v10, vcc
	v_cndmask_b32_e32 v4, v4, v8, vcc
	;; [unrolled: 1-line block ×4, first 2 shown]
; %bb.138:
	s_or_b64 exec, exec, s[10:11]
	s_nop 0
	v_mov_b32_dpp v6, v2 row_bcast:31 row_mask:0xf bank_mask:0xf bound_ctrl:1
	v_mov_b32_dpp v7, v3 row_bcast:31 row_mask:0xf bank_mask:0xf bound_ctrl:1
	;; [unrolled: 1-line block ×4, first 2 shown]
	v_cmp_ge_i64_e32 vcc, v[6:7], v[2:3]
	s_and_saveexec_b64 s[10:11], vcc
; %bb.139:
	v_mov_b32_e32 v9, v10
	v_cmp_lt_i64_e32 vcc, v[2:3], v[6:7]
	v_cmp_lt_i64_e64 s[0:1], v[8:9], v[4:5]
	s_or_b64 vcc, vcc, s[0:1]
	v_cndmask_b32_e32 v5, v5, v10, vcc
	v_cndmask_b32_e32 v4, v4, v8, vcc
	;; [unrolled: 1-line block ×4, first 2 shown]
; %bb.140:
	s_or_b64 exec, exec, s[10:11]
	v_mbcnt_lo_u32_b32 v1, -1, 0
	v_mbcnt_hi_u32_b32 v1, -1, v1
	v_bfrev_b32_e32 v6, 0.5
	v_lshl_or_b32 v6, v1, 2, v6
	ds_bpermute_b32 v2, v6, v2
	ds_bpermute_b32 v3, v6, v3
	;; [unrolled: 1-line block ×4, first 2 shown]
	v_cmp_eq_u32_e32 vcc, 0, v1
	s_and_saveexec_b64 s[0:1], vcc
	s_cbranch_execz .LBB432_142
; %bb.141:
	v_lshrrev_b32_e32 v6, 2, v0
	v_and_b32_e32 v6, 48, v6
	s_waitcnt lgkmcnt(0)
	ds_write2_b64 v6, v[2:3], v[4:5] offset0:8 offset1:9
.LBB432_142:
	s_or_b64 exec, exec, s[0:1]
	v_cmp_gt_u32_e32 vcc, 64, v0
	s_waitcnt lgkmcnt(0)
	s_barrier
	s_and_saveexec_b64 s[10:11], vcc
	s_cbranch_execz .LBB432_144
; %bb.143:
	v_and_b32_e32 v9, 3, v1
	v_lshlrev_b32_e32 v2, 4, v9
	ds_read2_b64 v[2:5], v2 offset0:8 offset1:9
	v_cmp_ne_u32_e32 vcc, 3, v9
	v_addc_co_u32_e32 v6, vcc, 0, v1, vcc
	v_lshlrev_b32_e32 v10, 2, v6
	s_waitcnt lgkmcnt(0)
	ds_bpermute_b32 v8, v10, v5
	ds_bpermute_b32 v6, v10, v2
	;; [unrolled: 1-line block ×4, first 2 shown]
	s_waitcnt lgkmcnt(3)
	v_mov_b32_e32 v11, v8
	s_waitcnt lgkmcnt(1)
	v_cmp_lt_i64_e32 vcc, v[6:7], v[2:3]
	s_waitcnt lgkmcnt(0)
	v_cmp_gt_i64_e64 s[0:1], v[10:11], v[4:5]
	s_or_b64 vcc, vcc, s[0:1]
	v_cndmask_b32_e32 v11, v6, v2, vcc
	v_cndmask_b32_e32 v12, v7, v3, vcc
	v_cndmask_b32_e32 v4, v10, v4, vcc
	v_cndmask_b32_e32 v5, v8, v5, vcc
	v_cmp_gt_i64_e32 vcc, v[6:7], v[2:3]
	v_cndmask_b32_e32 v3, v5, v8, vcc
	v_cndmask_b32_e32 v2, v4, v10, vcc
	;; [unrolled: 1-line block ×4, first 2 shown]
	v_cmp_gt_u32_e32 vcc, 2, v9
	v_cndmask_b32_e64 v6, 0, 1, vcc
	v_lshlrev_b32_e32 v6, 1, v6
	v_add_lshl_u32 v1, v6, v1, 2
	ds_bpermute_b32 v8, v1, v3
	ds_bpermute_b32 v6, v1, v4
	ds_bpermute_b32 v7, v1, v5
	ds_bpermute_b32 v10, v1, v2
	s_waitcnt lgkmcnt(3)
	v_mov_b32_e32 v11, v8
	s_waitcnt lgkmcnt(1)
	v_cmp_lt_i64_e32 vcc, v[6:7], v[4:5]
	s_waitcnt lgkmcnt(0)
	v_cmp_lt_i64_e64 s[0:1], v[2:3], v[10:11]
	s_or_b64 vcc, vcc, s[0:1]
	v_cndmask_b32_e32 v1, v6, v4, vcc
	v_cndmask_b32_e32 v9, v7, v5, vcc
	;; [unrolled: 1-line block ×4, first 2 shown]
	v_cmp_lt_i64_e32 vcc, v[4:5], v[6:7]
	v_cndmask_b32_e32 v5, v3, v8, vcc
	v_cndmask_b32_e32 v4, v2, v10, vcc
	v_cndmask_b32_e32 v3, v9, v7, vcc
	v_cndmask_b32_e32 v2, v1, v6, vcc
.LBB432_144:
	s_or_b64 exec, exec, s[10:11]
	s_branch .LBB432_175
.LBB432_145:
                                        ; implicit-def: $vgpr4_vgpr5
	s_cbranch_execnz .LBB432_176
	s_branch .LBB432_197
.LBB432_146:
                                        ; implicit-def: $vgpr4_vgpr5
	s_branch .LBB432_197
.LBB432_147:
                                        ; implicit-def: $vgpr2_vgpr3
	s_cbranch_execz .LBB432_175
; %bb.148:
	s_sub_i32 s10, s24, s8
	s_waitcnt lgkmcnt(2)
	v_pk_mov_b32 v[6:7], 0, 0
	v_cmp_gt_u32_e32 vcc, s10, v0
	v_pk_mov_b32 v[4:5], v[6:7], v[6:7] op_sel:[0,1]
	v_pk_mov_b32 v[2:3], v[6:7], v[6:7] op_sel:[0,1]
	s_and_saveexec_b64 s[0:1], vcc
	s_cbranch_execz .LBB432_150
; %bb.149:
	v_lshlrev_b32_e32 v1, 3, v0
	global_load_dwordx2 v[2:3], v1, s[2:3]
	v_mov_b32_e32 v1, s13
	v_add_co_u32_e32 v4, vcc, s12, v0
	v_addc_co_u32_e32 v5, vcc, 0, v1, vcc
.LBB432_150:
	s_or_b64 exec, exec, s[0:1]
	v_or_b32_e32 v1, 0x100, v0
	v_cmp_gt_u32_e32 vcc, s10, v1
	s_waitcnt lgkmcnt(0)
	v_pk_mov_b32 v[8:9], v[6:7], v[6:7] op_sel:[0,1]
	s_and_saveexec_b64 s[8:9], vcc
	s_cbranch_execz .LBB432_152
; %bb.151:
	v_lshlrev_b32_e32 v6, 3, v0
	global_load_dwordx2 v[8:9], v6, s[2:3] offset:2048
	v_mov_b32_e32 v7, s13
	v_add_co_u32_e64 v6, s[0:1], s12, v1
	v_addc_co_u32_e64 v7, s[0:1], 0, v7, s[0:1]
.LBB432_152:
	s_or_b64 exec, exec, s[8:9]
	s_and_saveexec_b64 s[2:3], vcc
	s_cbranch_execz .LBB432_154
; %bb.153:
	s_waitcnt vmcnt(0)
	v_cmp_lt_i64_e32 vcc, v[8:9], v[2:3]
	v_cmp_lt_i64_e64 s[0:1], v[4:5], v[6:7]
	s_or_b64 vcc, vcc, s[0:1]
	v_cndmask_b32_e32 v1, v8, v2, vcc
	v_cndmask_b32_e32 v10, v9, v3, vcc
	;; [unrolled: 1-line block ×4, first 2 shown]
	v_cmp_lt_i64_e32 vcc, v[2:3], v[8:9]
	v_cndmask_b32_e32 v5, v5, v7, vcc
	v_cndmask_b32_e32 v4, v4, v6, vcc
	;; [unrolled: 1-line block ×4, first 2 shown]
.LBB432_154:
	s_or_b64 exec, exec, s[2:3]
	v_mbcnt_lo_u32_b32 v1, -1, 0
	v_mbcnt_hi_u32_b32 v1, -1, v1
	v_and_b32_e32 v11, 63, v1
	v_cmp_ne_u32_e32 vcc, 63, v11
	v_addc_co_u32_e32 v6, vcc, 0, v1, vcc
	s_waitcnt vmcnt(0)
	v_lshlrev_b32_e32 v9, 2, v6
	ds_bpermute_b32 v6, v9, v2
	ds_bpermute_b32 v7, v9, v3
	;; [unrolled: 1-line block ×4, first 2 shown]
	s_min_u32 s8, s10, 0x100
	v_and_b32_e32 v9, 0xc0, v0
	v_sub_u32_e64 v12, s8, v9 clamp
	v_add_u32_e32 v9, 1, v11
	v_cmp_lt_u32_e32 vcc, v9, v12
	s_and_saveexec_b64 s[2:3], vcc
	s_cbranch_execz .LBB432_156
; %bb.155:
	s_waitcnt lgkmcnt(0)
	v_mov_b32_e32 v9, v10
	v_cmp_lt_i64_e32 vcc, v[6:7], v[2:3]
	v_cmp_lt_i64_e64 s[0:1], v[4:5], v[8:9]
	s_or_b64 vcc, vcc, s[0:1]
	v_cndmask_b32_e32 v9, v6, v2, vcc
	v_cndmask_b32_e32 v13, v7, v3, vcc
	v_cndmask_b32_e32 v4, v8, v4, vcc
	v_cndmask_b32_e32 v5, v10, v5, vcc
	v_cmp_lt_i64_e32 vcc, v[2:3], v[6:7]
	v_cndmask_b32_e32 v5, v5, v10, vcc
	v_cndmask_b32_e32 v4, v4, v8, vcc
	v_cndmask_b32_e32 v3, v13, v7, vcc
	v_cndmask_b32_e32 v2, v9, v6, vcc
.LBB432_156:
	s_or_b64 exec, exec, s[2:3]
	v_cmp_gt_u32_e32 vcc, 62, v11
	s_waitcnt lgkmcnt(3)
	v_cndmask_b32_e64 v6, 0, 1, vcc
	v_lshlrev_b32_e32 v6, 1, v6
	v_add_lshl_u32 v9, v6, v1, 2
	ds_bpermute_b32 v6, v9, v2
	s_waitcnt lgkmcnt(3)
	ds_bpermute_b32 v7, v9, v3
	s_waitcnt lgkmcnt(3)
	ds_bpermute_b32 v8, v9, v4
	s_waitcnt lgkmcnt(3)
	ds_bpermute_b32 v10, v9, v5
	v_add_u32_e32 v9, 2, v11
	v_cmp_lt_u32_e32 vcc, v9, v12
	s_and_saveexec_b64 s[2:3], vcc
	s_cbranch_execz .LBB432_158
; %bb.157:
	s_waitcnt lgkmcnt(0)
	v_mov_b32_e32 v9, v10
	v_cmp_lt_i64_e32 vcc, v[6:7], v[2:3]
	v_cmp_lt_i64_e64 s[0:1], v[4:5], v[8:9]
	s_or_b64 vcc, vcc, s[0:1]
	v_cndmask_b32_e32 v9, v6, v2, vcc
	v_cndmask_b32_e32 v13, v7, v3, vcc
	v_cndmask_b32_e32 v4, v8, v4, vcc
	v_cndmask_b32_e32 v5, v10, v5, vcc
	v_cmp_lt_i64_e32 vcc, v[2:3], v[6:7]
	v_cndmask_b32_e32 v5, v5, v10, vcc
	v_cndmask_b32_e32 v4, v4, v8, vcc
	v_cndmask_b32_e32 v3, v13, v7, vcc
	v_cndmask_b32_e32 v2, v9, v6, vcc
.LBB432_158:
	s_or_b64 exec, exec, s[2:3]
	v_cmp_gt_u32_e32 vcc, 60, v11
	s_waitcnt lgkmcnt(3)
	v_cndmask_b32_e64 v6, 0, 1, vcc
	v_lshlrev_b32_e32 v6, 2, v6
	v_add_lshl_u32 v9, v6, v1, 2
	ds_bpermute_b32 v6, v9, v2
	s_waitcnt lgkmcnt(3)
	ds_bpermute_b32 v7, v9, v3
	s_waitcnt lgkmcnt(3)
	ds_bpermute_b32 v8, v9, v4
	s_waitcnt lgkmcnt(3)
	ds_bpermute_b32 v10, v9, v5
	;; [unrolled: 33-line block ×4, first 2 shown]
	v_add_u32_e32 v9, 16, v11
	v_cmp_lt_u32_e32 vcc, v9, v12
	s_and_saveexec_b64 s[2:3], vcc
	s_cbranch_execz .LBB432_164
; %bb.163:
	s_waitcnt lgkmcnt(0)
	v_mov_b32_e32 v9, v10
	v_cmp_lt_i64_e32 vcc, v[6:7], v[2:3]
	v_cmp_lt_i64_e64 s[0:1], v[4:5], v[8:9]
	s_or_b64 vcc, vcc, s[0:1]
	v_cndmask_b32_e32 v9, v6, v2, vcc
	v_cndmask_b32_e32 v13, v7, v3, vcc
	;; [unrolled: 1-line block ×4, first 2 shown]
	v_cmp_lt_i64_e32 vcc, v[2:3], v[6:7]
	v_cndmask_b32_e32 v5, v5, v10, vcc
	v_cndmask_b32_e32 v4, v4, v8, vcc
	v_cndmask_b32_e32 v3, v13, v7, vcc
	v_cndmask_b32_e32 v2, v9, v6, vcc
.LBB432_164:
	s_or_b64 exec, exec, s[2:3]
	v_cmp_gt_u32_e32 vcc, 32, v11
	s_waitcnt lgkmcnt(3)
	v_cndmask_b32_e64 v6, 0, 1, vcc
	v_lshlrev_b32_e32 v6, 5, v6
	v_add_lshl_u32 v9, v6, v1, 2
	ds_bpermute_b32 v6, v9, v2
	s_waitcnt lgkmcnt(3)
	ds_bpermute_b32 v7, v9, v3
	s_waitcnt lgkmcnt(3)
	ds_bpermute_b32 v8, v9, v4
	ds_bpermute_b32 v9, v9, v5
	s_waitcnt lgkmcnt(4)
	v_add_u32_e32 v10, 32, v11
	v_cmp_lt_u32_e32 vcc, v10, v12
	s_and_saveexec_b64 s[2:3], vcc
	s_cbranch_execz .LBB432_166
; %bb.165:
	s_waitcnt lgkmcnt(2)
	v_cmp_lt_i64_e32 vcc, v[6:7], v[2:3]
	s_waitcnt lgkmcnt(0)
	v_cmp_lt_i64_e64 s[0:1], v[4:5], v[8:9]
	s_or_b64 vcc, vcc, s[0:1]
	v_cndmask_b32_e32 v10, v6, v2, vcc
	v_cndmask_b32_e32 v11, v7, v3, vcc
	;; [unrolled: 1-line block ×4, first 2 shown]
	v_cmp_lt_i64_e32 vcc, v[2:3], v[6:7]
	v_cndmask_b32_e32 v5, v5, v9, vcc
	v_cndmask_b32_e32 v4, v4, v8, vcc
	;; [unrolled: 1-line block ×4, first 2 shown]
.LBB432_166:
	s_or_b64 exec, exec, s[2:3]
	v_cmp_eq_u32_e32 vcc, 0, v1
	s_and_saveexec_b64 s[0:1], vcc
	s_cbranch_execz .LBB432_168
; %bb.167:
	s_waitcnt lgkmcnt(3)
	v_lshrrev_b32_e32 v6, 2, v0
	v_and_b32_e32 v6, 48, v6
	ds_write2_b64 v6, v[2:3], v[4:5] offset0:32 offset1:33
.LBB432_168:
	s_or_b64 exec, exec, s[0:1]
	v_cmp_gt_u32_e32 vcc, 4, v0
	s_waitcnt lgkmcnt(0)
	s_barrier
	s_and_saveexec_b64 s[2:3], vcc
	s_cbranch_execz .LBB432_174
; %bb.169:
	v_lshlrev_b32_e32 v2, 4, v1
	ds_read2_b64 v[2:5], v2 offset0:32 offset1:33
	v_and_b32_e32 v11, 3, v1
	v_cmp_ne_u32_e32 vcc, 3, v11
	v_addc_co_u32_e32 v6, vcc, 0, v1, vcc
	v_lshlrev_b32_e32 v9, 2, v6
	s_waitcnt lgkmcnt(0)
	ds_bpermute_b32 v6, v9, v2
	ds_bpermute_b32 v7, v9, v3
	;; [unrolled: 1-line block ×4, first 2 shown]
	s_add_i32 s8, s8, 63
	s_lshr_b32 s10, s8, 6
	v_add_u32_e32 v9, 1, v11
	v_cmp_gt_u32_e32 vcc, s10, v9
	s_and_saveexec_b64 s[8:9], vcc
	s_cbranch_execz .LBB432_171
; %bb.170:
	s_waitcnt lgkmcnt(0)
	v_mov_b32_e32 v9, v10
	v_cmp_lt_i64_e32 vcc, v[6:7], v[2:3]
	v_cmp_lt_i64_e64 s[0:1], v[4:5], v[8:9]
	s_or_b64 vcc, vcc, s[0:1]
	v_cndmask_b32_e32 v9, v6, v2, vcc
	v_cndmask_b32_e32 v12, v7, v3, vcc
	v_cndmask_b32_e32 v4, v8, v4, vcc
	v_cndmask_b32_e32 v5, v10, v5, vcc
	v_cmp_lt_i64_e32 vcc, v[2:3], v[6:7]
	v_cndmask_b32_e32 v5, v5, v10, vcc
	v_cndmask_b32_e32 v4, v4, v8, vcc
	;; [unrolled: 1-line block ×4, first 2 shown]
.LBB432_171:
	s_or_b64 exec, exec, s[8:9]
	v_cmp_gt_u32_e32 vcc, 2, v11
	s_waitcnt lgkmcnt(3)
	v_cndmask_b32_e64 v6, 0, 1, vcc
	v_lshlrev_b32_e32 v6, 1, v6
	v_add_lshl_u32 v1, v6, v1, 2
	ds_bpermute_b32 v6, v1, v2
	s_waitcnt lgkmcnt(3)
	ds_bpermute_b32 v7, v1, v3
	s_waitcnt lgkmcnt(3)
	ds_bpermute_b32 v8, v1, v4
	ds_bpermute_b32 v9, v1, v5
	v_add_u32_e32 v1, 2, v11
	v_cmp_gt_u32_e32 vcc, s10, v1
	s_and_saveexec_b64 s[8:9], vcc
	s_cbranch_execz .LBB432_173
; %bb.172:
	s_waitcnt lgkmcnt(2)
	v_cmp_lt_i64_e32 vcc, v[6:7], v[2:3]
	s_waitcnt lgkmcnt(0)
	v_cmp_lt_i64_e64 s[0:1], v[4:5], v[8:9]
	s_or_b64 vcc, vcc, s[0:1]
	v_cndmask_b32_e32 v1, v6, v2, vcc
	v_cndmask_b32_e32 v10, v7, v3, vcc
	;; [unrolled: 1-line block ×4, first 2 shown]
	v_cmp_lt_i64_e32 vcc, v[2:3], v[6:7]
	v_cndmask_b32_e32 v5, v5, v9, vcc
	v_cndmask_b32_e32 v4, v4, v8, vcc
	;; [unrolled: 1-line block ×4, first 2 shown]
.LBB432_173:
	s_or_b64 exec, exec, s[8:9]
.LBB432_174:
	s_or_b64 exec, exec, s[2:3]
.LBB432_175:
	v_cmp_eq_u32_e64 s[0:1], 0, v0
	s_branch .LBB432_197
.LBB432_176:
	s_cmp_eq_u32 s30, 1
	s_cbranch_scc0 .LBB432_196
; %bb.177:
	s_mov_b32 s3, 0
	s_lshl_b32 s2, s6, 8
	s_mov_b32 s7, s3
	s_lshr_b64 s[0:1], s[24:25], 8
	s_cmp_lg_u64 s[0:1], s[6:7]
	s_cbranch_scc0 .LBB432_200
; %bb.178:
	s_lshl_b64 s[0:1], s[2:3], 3
	s_add_u32 s0, s20, s0
	s_addc_u32 s1, s21, s1
	v_lshlrev_b32_e32 v1, 3, v0
	global_load_dwordx2 v[2:3], v1, s[0:1]
	s_add_u32 s0, s22, s2
	s_addc_u32 s1, s23, 0
	v_mov_b32_e32 v1, s1
	v_add_co_u32_e32 v4, vcc, s0, v0
	v_addc_co_u32_e32 v5, vcc, 0, v1, vcc
	s_waitcnt lgkmcnt(1)
	v_mov_b32_dpp v8, v4 quad_perm:[1,0,3,2] row_mask:0xf bank_mask:0xf bound_ctrl:1
	v_mov_b32_dpp v10, v5 quad_perm:[1,0,3,2] row_mask:0xf bank_mask:0xf bound_ctrl:1
	s_waitcnt vmcnt(0)
	v_mov_b32_dpp v6, v2 quad_perm:[1,0,3,2] row_mask:0xf bank_mask:0xf bound_ctrl:1
	v_mov_b32_dpp v7, v3 quad_perm:[1,0,3,2] row_mask:0xf bank_mask:0xf bound_ctrl:1
	v_cmp_ge_i64_e32 vcc, v[6:7], v[2:3]
	s_and_saveexec_b64 s[8:9], vcc
	s_cbranch_execz .LBB432_180
; %bb.179:
	s_waitcnt lgkmcnt(0)
	v_mov_b32_e32 v9, v10
	v_cmp_gt_i64_e32 vcc, v[6:7], v[2:3]
	v_cmp_lt_i64_e64 s[0:1], v[8:9], v[4:5]
	s_or_b64 vcc, vcc, s[0:1]
	v_cndmask_b32_e32 v5, v5, v10, vcc
	v_cndmask_b32_e32 v4, v4, v8, vcc
	;; [unrolled: 1-line block ×4, first 2 shown]
.LBB432_180:
	s_or_b64 exec, exec, s[8:9]
	s_nop 0
	v_mov_b32_dpp v6, v2 quad_perm:[2,3,0,1] row_mask:0xf bank_mask:0xf bound_ctrl:1
	v_mov_b32_dpp v7, v3 quad_perm:[2,3,0,1] row_mask:0xf bank_mask:0xf bound_ctrl:1
	;; [unrolled: 1-line block ×4, first 2 shown]
	v_cmp_ge_i64_e32 vcc, v[6:7], v[2:3]
	s_and_saveexec_b64 s[8:9], vcc
	s_cbranch_execz .LBB432_182
; %bb.181:
	s_waitcnt lgkmcnt(0)
	v_mov_b32_e32 v9, v10
	v_cmp_lt_i64_e32 vcc, v[2:3], v[6:7]
	v_cmp_lt_i64_e64 s[0:1], v[8:9], v[4:5]
	s_or_b64 vcc, vcc, s[0:1]
	v_cndmask_b32_e32 v5, v5, v10, vcc
	v_cndmask_b32_e32 v4, v4, v8, vcc
	;; [unrolled: 1-line block ×4, first 2 shown]
.LBB432_182:
	s_or_b64 exec, exec, s[8:9]
	s_nop 0
	v_mov_b32_dpp v6, v2 row_ror:4 row_mask:0xf bank_mask:0xf bound_ctrl:1
	v_mov_b32_dpp v7, v3 row_ror:4 row_mask:0xf bank_mask:0xf bound_ctrl:1
	;; [unrolled: 1-line block ×4, first 2 shown]
	v_cmp_ge_i64_e32 vcc, v[6:7], v[2:3]
	s_and_saveexec_b64 s[8:9], vcc
	s_cbranch_execz .LBB432_184
; %bb.183:
	s_waitcnt lgkmcnt(0)
	v_mov_b32_e32 v9, v10
	v_cmp_lt_i64_e32 vcc, v[2:3], v[6:7]
	v_cmp_lt_i64_e64 s[0:1], v[8:9], v[4:5]
	s_or_b64 vcc, vcc, s[0:1]
	v_cndmask_b32_e32 v5, v5, v10, vcc
	v_cndmask_b32_e32 v4, v4, v8, vcc
	;; [unrolled: 1-line block ×4, first 2 shown]
.LBB432_184:
	s_or_b64 exec, exec, s[8:9]
	s_nop 0
	v_mov_b32_dpp v6, v2 row_ror:8 row_mask:0xf bank_mask:0xf bound_ctrl:1
	v_mov_b32_dpp v7, v3 row_ror:8 row_mask:0xf bank_mask:0xf bound_ctrl:1
	;; [unrolled: 1-line block ×4, first 2 shown]
	v_cmp_ge_i64_e32 vcc, v[6:7], v[2:3]
	s_and_saveexec_b64 s[8:9], vcc
	s_cbranch_execz .LBB432_186
; %bb.185:
	s_waitcnt lgkmcnt(0)
	v_mov_b32_e32 v9, v10
	v_cmp_lt_i64_e32 vcc, v[2:3], v[6:7]
	v_cmp_lt_i64_e64 s[0:1], v[8:9], v[4:5]
	s_or_b64 vcc, vcc, s[0:1]
	v_cndmask_b32_e32 v5, v5, v10, vcc
	v_cndmask_b32_e32 v4, v4, v8, vcc
	;; [unrolled: 1-line block ×4, first 2 shown]
.LBB432_186:
	s_or_b64 exec, exec, s[8:9]
	s_nop 0
	v_mov_b32_dpp v6, v2 row_bcast:15 row_mask:0xf bank_mask:0xf bound_ctrl:1
	v_mov_b32_dpp v7, v3 row_bcast:15 row_mask:0xf bank_mask:0xf bound_ctrl:1
	;; [unrolled: 1-line block ×4, first 2 shown]
	v_cmp_ge_i64_e32 vcc, v[6:7], v[2:3]
	s_and_saveexec_b64 s[8:9], vcc
	s_cbranch_execz .LBB432_188
; %bb.187:
	s_waitcnt lgkmcnt(0)
	v_mov_b32_e32 v9, v10
	v_cmp_lt_i64_e32 vcc, v[2:3], v[6:7]
	v_cmp_lt_i64_e64 s[0:1], v[8:9], v[4:5]
	s_or_b64 vcc, vcc, s[0:1]
	v_cndmask_b32_e32 v5, v5, v10, vcc
	v_cndmask_b32_e32 v4, v4, v8, vcc
	;; [unrolled: 1-line block ×4, first 2 shown]
.LBB432_188:
	s_or_b64 exec, exec, s[8:9]
	s_nop 0
	v_mov_b32_dpp v6, v2 row_bcast:31 row_mask:0xf bank_mask:0xf bound_ctrl:1
	v_mov_b32_dpp v7, v3 row_bcast:31 row_mask:0xf bank_mask:0xf bound_ctrl:1
	;; [unrolled: 1-line block ×4, first 2 shown]
	v_cmp_ge_i64_e32 vcc, v[6:7], v[2:3]
	s_and_saveexec_b64 s[8:9], vcc
	s_cbranch_execz .LBB432_190
; %bb.189:
	s_waitcnt lgkmcnt(0)
	v_mov_b32_e32 v9, v10
	v_cmp_lt_i64_e32 vcc, v[2:3], v[6:7]
	v_cmp_lt_i64_e64 s[0:1], v[8:9], v[4:5]
	s_or_b64 vcc, vcc, s[0:1]
	v_cndmask_b32_e32 v5, v5, v10, vcc
	v_cndmask_b32_e32 v4, v4, v8, vcc
	;; [unrolled: 1-line block ×4, first 2 shown]
.LBB432_190:
	s_or_b64 exec, exec, s[8:9]
	v_mbcnt_lo_u32_b32 v1, -1, 0
	v_mbcnt_hi_u32_b32 v1, -1, v1
	v_bfrev_b32_e32 v6, 0.5
	v_lshl_or_b32 v6, v1, 2, v6
	ds_bpermute_b32 v2, v6, v2
	ds_bpermute_b32 v3, v6, v3
	;; [unrolled: 1-line block ×4, first 2 shown]
	v_cmp_eq_u32_e32 vcc, 0, v1
	s_and_saveexec_b64 s[0:1], vcc
	s_cbranch_execz .LBB432_192
; %bb.191:
	v_lshrrev_b32_e32 v6, 2, v0
	v_and_b32_e32 v6, 48, v6
	s_waitcnt lgkmcnt(0)
	ds_write2_b64 v6, v[2:3], v[4:5] offset1:1
.LBB432_192:
	s_or_b64 exec, exec, s[0:1]
	v_cmp_gt_u32_e32 vcc, 64, v0
	s_waitcnt lgkmcnt(0)
	s_barrier
	s_and_saveexec_b64 s[8:9], vcc
	s_cbranch_execz .LBB432_194
; %bb.193:
	v_and_b32_e32 v9, 3, v1
	v_lshlrev_b32_e32 v2, 4, v9
	ds_read2_b64 v[2:5], v2 offset1:1
	v_cmp_ne_u32_e32 vcc, 3, v9
	v_addc_co_u32_e32 v6, vcc, 0, v1, vcc
	v_lshlrev_b32_e32 v10, 2, v6
	s_waitcnt lgkmcnt(0)
	ds_bpermute_b32 v8, v10, v5
	ds_bpermute_b32 v6, v10, v2
	;; [unrolled: 1-line block ×4, first 2 shown]
	s_waitcnt lgkmcnt(3)
	v_mov_b32_e32 v11, v8
	s_waitcnt lgkmcnt(1)
	v_cmp_lt_i64_e32 vcc, v[6:7], v[2:3]
	s_waitcnt lgkmcnt(0)
	v_cmp_gt_i64_e64 s[0:1], v[10:11], v[4:5]
	s_or_b64 vcc, vcc, s[0:1]
	v_cndmask_b32_e32 v11, v6, v2, vcc
	v_cndmask_b32_e32 v12, v7, v3, vcc
	;; [unrolled: 1-line block ×4, first 2 shown]
	v_cmp_gt_i64_e32 vcc, v[6:7], v[2:3]
	v_cndmask_b32_e32 v3, v5, v8, vcc
	v_cndmask_b32_e32 v2, v4, v10, vcc
	;; [unrolled: 1-line block ×4, first 2 shown]
	v_cmp_gt_u32_e32 vcc, 2, v9
	v_cndmask_b32_e64 v6, 0, 1, vcc
	v_lshlrev_b32_e32 v6, 1, v6
	v_add_lshl_u32 v1, v6, v1, 2
	ds_bpermute_b32 v8, v1, v3
	ds_bpermute_b32 v6, v1, v4
	;; [unrolled: 1-line block ×4, first 2 shown]
	s_waitcnt lgkmcnt(3)
	v_mov_b32_e32 v11, v8
	s_waitcnt lgkmcnt(1)
	v_cmp_lt_i64_e32 vcc, v[6:7], v[4:5]
	s_waitcnt lgkmcnt(0)
	v_cmp_lt_i64_e64 s[0:1], v[2:3], v[10:11]
	s_or_b64 vcc, vcc, s[0:1]
	v_cndmask_b32_e32 v1, v6, v4, vcc
	v_cndmask_b32_e32 v9, v7, v5, vcc
	;; [unrolled: 1-line block ×4, first 2 shown]
	v_cmp_lt_i64_e32 vcc, v[4:5], v[6:7]
	v_cndmask_b32_e32 v5, v3, v8, vcc
	v_cndmask_b32_e32 v4, v2, v10, vcc
	;; [unrolled: 1-line block ×4, first 2 shown]
.LBB432_194:
	s_or_b64 exec, exec, s[8:9]
.LBB432_195:
	v_cmp_eq_u32_e64 s[0:1], 0, v0
	s_and_saveexec_b64 s[2:3], s[0:1]
	s_cbranch_execnz .LBB432_198
	s_branch .LBB432_199
.LBB432_196:
                                        ; implicit-def: $vgpr4_vgpr5
                                        ; implicit-def: $sgpr6_sgpr7
.LBB432_197:
	s_and_saveexec_b64 s[2:3], s[0:1]
	s_cbranch_execz .LBB432_199
.LBB432_198:
	s_load_dwordx4 s[0:3], s[4:5], 0x28
	s_lshl_b64 s[4:5], s[6:7], 4
	s_add_u32 s4, s26, s4
	s_addc_u32 s5, s27, s5
	s_cmp_eq_u64 s[24:25], 0
	s_waitcnt lgkmcnt(0)
	v_mov_b32_e32 v0, s1
	s_cselect_b64 vcc, -1, 0
	v_cndmask_b32_e32 v1, v3, v0, vcc
	v_mov_b32_e32 v0, s0
	v_cndmask_b32_e32 v0, v2, v0, vcc
	v_mov_b32_e32 v2, s3
	;; [unrolled: 2-line block ×3, first 2 shown]
	v_mov_b32_e32 v6, 0
	v_cndmask_b32_e32 v2, v4, v2, vcc
	global_store_dwordx4 v6, v[0:3], s[4:5]
.LBB432_199:
	s_endpgm
.LBB432_200:
                                        ; implicit-def: $vgpr4_vgpr5
	s_cbranch_execz .LBB432_195
; %bb.201:
	s_sub_i32 s8, s24, s2
	v_pk_mov_b32 v[4:5], 0, 0
	v_cmp_gt_u32_e32 vcc, s8, v0
	v_pk_mov_b32 v[2:3], v[4:5], v[4:5] op_sel:[0,1]
	s_and_saveexec_b64 s[0:1], vcc
	s_cbranch_execz .LBB432_203
; %bb.202:
	s_add_u32 s9, s22, s2
	s_addc_u32 s10, s23, 0
	s_lshl_b64 s[2:3], s[2:3], 3
	s_add_u32 s2, s20, s2
	s_addc_u32 s3, s21, s3
	v_lshlrev_b32_e32 v1, 3, v0
	global_load_dwordx2 v[2:3], v1, s[2:3]
	v_mov_b32_e32 v1, s10
	v_add_co_u32_e32 v4, vcc, s9, v0
	v_addc_co_u32_e32 v5, vcc, 0, v1, vcc
.LBB432_203:
	s_or_b64 exec, exec, s[0:1]
	v_mbcnt_lo_u32_b32 v1, -1, 0
	v_mbcnt_hi_u32_b32 v1, -1, v1
	v_and_b32_e32 v11, 63, v1
	v_cmp_ne_u32_e32 vcc, 63, v11
	s_waitcnt lgkmcnt(3)
	v_addc_co_u32_e32 v6, vcc, 0, v1, vcc
	s_waitcnt lgkmcnt(0)
	v_lshlrev_b32_e32 v9, 2, v6
	s_waitcnt vmcnt(0)
	ds_bpermute_b32 v6, v9, v2
	ds_bpermute_b32 v7, v9, v3
	;; [unrolled: 1-line block ×4, first 2 shown]
	s_min_u32 s8, s8, 0x100
	v_and_b32_e32 v9, 0xc0, v0
	v_sub_u32_e64 v12, s8, v9 clamp
	v_add_u32_e32 v9, 1, v11
	v_cmp_lt_u32_e32 vcc, v9, v12
	s_and_saveexec_b64 s[2:3], vcc
	s_cbranch_execz .LBB432_205
; %bb.204:
	s_waitcnt lgkmcnt(0)
	v_mov_b32_e32 v9, v10
	v_cmp_lt_i64_e32 vcc, v[6:7], v[2:3]
	v_cmp_lt_i64_e64 s[0:1], v[4:5], v[8:9]
	s_or_b64 vcc, vcc, s[0:1]
	v_cndmask_b32_e32 v9, v6, v2, vcc
	v_cndmask_b32_e32 v13, v7, v3, vcc
	v_cndmask_b32_e32 v4, v8, v4, vcc
	v_cndmask_b32_e32 v5, v10, v5, vcc
	v_cmp_lt_i64_e32 vcc, v[2:3], v[6:7]
	v_cndmask_b32_e32 v5, v5, v10, vcc
	v_cndmask_b32_e32 v4, v4, v8, vcc
	v_cndmask_b32_e32 v3, v13, v7, vcc
	v_cndmask_b32_e32 v2, v9, v6, vcc
.LBB432_205:
	s_or_b64 exec, exec, s[2:3]
	v_cmp_gt_u32_e32 vcc, 62, v11
	s_waitcnt lgkmcnt(3)
	v_cndmask_b32_e64 v6, 0, 1, vcc
	v_lshlrev_b32_e32 v6, 1, v6
	v_add_lshl_u32 v9, v6, v1, 2
	ds_bpermute_b32 v6, v9, v2
	s_waitcnt lgkmcnt(3)
	ds_bpermute_b32 v7, v9, v3
	s_waitcnt lgkmcnt(3)
	ds_bpermute_b32 v8, v9, v4
	s_waitcnt lgkmcnt(3)
	ds_bpermute_b32 v10, v9, v5
	v_add_u32_e32 v9, 2, v11
	v_cmp_lt_u32_e32 vcc, v9, v12
	s_and_saveexec_b64 s[2:3], vcc
	s_cbranch_execz .LBB432_207
; %bb.206:
	s_waitcnt lgkmcnt(0)
	v_mov_b32_e32 v9, v10
	v_cmp_lt_i64_e32 vcc, v[6:7], v[2:3]
	v_cmp_lt_i64_e64 s[0:1], v[4:5], v[8:9]
	s_or_b64 vcc, vcc, s[0:1]
	v_cndmask_b32_e32 v9, v6, v2, vcc
	v_cndmask_b32_e32 v13, v7, v3, vcc
	v_cndmask_b32_e32 v4, v8, v4, vcc
	v_cndmask_b32_e32 v5, v10, v5, vcc
	v_cmp_lt_i64_e32 vcc, v[2:3], v[6:7]
	v_cndmask_b32_e32 v5, v5, v10, vcc
	v_cndmask_b32_e32 v4, v4, v8, vcc
	v_cndmask_b32_e32 v3, v13, v7, vcc
	v_cndmask_b32_e32 v2, v9, v6, vcc
.LBB432_207:
	s_or_b64 exec, exec, s[2:3]
	v_cmp_gt_u32_e32 vcc, 60, v11
	s_waitcnt lgkmcnt(3)
	v_cndmask_b32_e64 v6, 0, 1, vcc
	v_lshlrev_b32_e32 v6, 2, v6
	v_add_lshl_u32 v9, v6, v1, 2
	ds_bpermute_b32 v6, v9, v2
	s_waitcnt lgkmcnt(3)
	ds_bpermute_b32 v7, v9, v3
	s_waitcnt lgkmcnt(3)
	ds_bpermute_b32 v8, v9, v4
	s_waitcnt lgkmcnt(3)
	ds_bpermute_b32 v10, v9, v5
	;; [unrolled: 33-line block ×4, first 2 shown]
	v_add_u32_e32 v9, 16, v11
	v_cmp_lt_u32_e32 vcc, v9, v12
	s_and_saveexec_b64 s[2:3], vcc
	s_cbranch_execz .LBB432_213
; %bb.212:
	s_waitcnt lgkmcnt(0)
	v_mov_b32_e32 v9, v10
	v_cmp_lt_i64_e32 vcc, v[6:7], v[2:3]
	v_cmp_lt_i64_e64 s[0:1], v[4:5], v[8:9]
	s_or_b64 vcc, vcc, s[0:1]
	v_cndmask_b32_e32 v9, v6, v2, vcc
	v_cndmask_b32_e32 v13, v7, v3, vcc
	;; [unrolled: 1-line block ×4, first 2 shown]
	v_cmp_lt_i64_e32 vcc, v[2:3], v[6:7]
	v_cndmask_b32_e32 v5, v5, v10, vcc
	v_cndmask_b32_e32 v4, v4, v8, vcc
	;; [unrolled: 1-line block ×4, first 2 shown]
.LBB432_213:
	s_or_b64 exec, exec, s[2:3]
	v_cmp_gt_u32_e32 vcc, 32, v11
	s_waitcnt lgkmcnt(3)
	v_cndmask_b32_e64 v6, 0, 1, vcc
	v_lshlrev_b32_e32 v6, 5, v6
	v_add_lshl_u32 v9, v6, v1, 2
	ds_bpermute_b32 v6, v9, v2
	s_waitcnt lgkmcnt(3)
	ds_bpermute_b32 v7, v9, v3
	s_waitcnt lgkmcnt(3)
	ds_bpermute_b32 v8, v9, v4
	ds_bpermute_b32 v9, v9, v5
	s_waitcnt lgkmcnt(4)
	v_add_u32_e32 v10, 32, v11
	v_cmp_lt_u32_e32 vcc, v10, v12
	s_and_saveexec_b64 s[2:3], vcc
	s_cbranch_execz .LBB432_215
; %bb.214:
	s_waitcnt lgkmcnt(2)
	v_cmp_lt_i64_e32 vcc, v[6:7], v[2:3]
	s_waitcnt lgkmcnt(0)
	v_cmp_lt_i64_e64 s[0:1], v[4:5], v[8:9]
	s_or_b64 vcc, vcc, s[0:1]
	v_cndmask_b32_e32 v10, v6, v2, vcc
	v_cndmask_b32_e32 v11, v7, v3, vcc
	;; [unrolled: 1-line block ×4, first 2 shown]
	v_cmp_lt_i64_e32 vcc, v[2:3], v[6:7]
	v_cndmask_b32_e32 v5, v5, v9, vcc
	v_cndmask_b32_e32 v4, v4, v8, vcc
	;; [unrolled: 1-line block ×4, first 2 shown]
.LBB432_215:
	s_or_b64 exec, exec, s[2:3]
	v_cmp_eq_u32_e32 vcc, 0, v1
	s_and_saveexec_b64 s[0:1], vcc
	s_cbranch_execz .LBB432_217
; %bb.216:
	s_waitcnt lgkmcnt(3)
	v_lshrrev_b32_e32 v6, 2, v0
	v_and_b32_e32 v6, 48, v6
	ds_write2_b64 v6, v[2:3], v[4:5] offset0:32 offset1:33
.LBB432_217:
	s_or_b64 exec, exec, s[0:1]
	v_cmp_gt_u32_e32 vcc, 4, v0
	s_waitcnt lgkmcnt(0)
	s_barrier
	s_and_saveexec_b64 s[2:3], vcc
	s_cbranch_execz .LBB432_223
; %bb.218:
	v_lshlrev_b32_e32 v2, 4, v1
	ds_read2_b64 v[2:5], v2 offset0:32 offset1:33
	v_and_b32_e32 v11, 3, v1
	v_cmp_ne_u32_e32 vcc, 3, v11
	v_addc_co_u32_e32 v6, vcc, 0, v1, vcc
	v_lshlrev_b32_e32 v9, 2, v6
	s_waitcnt lgkmcnt(0)
	ds_bpermute_b32 v6, v9, v2
	ds_bpermute_b32 v7, v9, v3
	;; [unrolled: 1-line block ×4, first 2 shown]
	s_add_i32 s8, s8, 63
	s_lshr_b32 s10, s8, 6
	v_add_u32_e32 v9, 1, v11
	v_cmp_gt_u32_e32 vcc, s10, v9
	s_and_saveexec_b64 s[8:9], vcc
	s_cbranch_execz .LBB432_220
; %bb.219:
	s_waitcnt lgkmcnt(0)
	v_mov_b32_e32 v9, v10
	v_cmp_lt_i64_e32 vcc, v[6:7], v[2:3]
	v_cmp_lt_i64_e64 s[0:1], v[4:5], v[8:9]
	s_or_b64 vcc, vcc, s[0:1]
	v_cndmask_b32_e32 v9, v6, v2, vcc
	v_cndmask_b32_e32 v12, v7, v3, vcc
	;; [unrolled: 1-line block ×4, first 2 shown]
	v_cmp_lt_i64_e32 vcc, v[2:3], v[6:7]
	v_cndmask_b32_e32 v5, v5, v10, vcc
	v_cndmask_b32_e32 v4, v4, v8, vcc
	;; [unrolled: 1-line block ×4, first 2 shown]
.LBB432_220:
	s_or_b64 exec, exec, s[8:9]
	v_cmp_gt_u32_e32 vcc, 2, v11
	s_waitcnt lgkmcnt(3)
	v_cndmask_b32_e64 v6, 0, 1, vcc
	v_lshlrev_b32_e32 v6, 1, v6
	v_add_lshl_u32 v1, v6, v1, 2
	ds_bpermute_b32 v6, v1, v2
	s_waitcnt lgkmcnt(3)
	ds_bpermute_b32 v7, v1, v3
	s_waitcnt lgkmcnt(3)
	ds_bpermute_b32 v8, v1, v4
	ds_bpermute_b32 v9, v1, v5
	v_add_u32_e32 v1, 2, v11
	v_cmp_gt_u32_e32 vcc, s10, v1
	s_and_saveexec_b64 s[8:9], vcc
	s_cbranch_execz .LBB432_222
; %bb.221:
	s_waitcnt lgkmcnt(2)
	v_cmp_lt_i64_e32 vcc, v[6:7], v[2:3]
	s_waitcnt lgkmcnt(0)
	v_cmp_lt_i64_e64 s[0:1], v[4:5], v[8:9]
	s_or_b64 vcc, vcc, s[0:1]
	v_cndmask_b32_e32 v1, v6, v2, vcc
	v_cndmask_b32_e32 v10, v7, v3, vcc
	;; [unrolled: 1-line block ×4, first 2 shown]
	v_cmp_lt_i64_e32 vcc, v[2:3], v[6:7]
	v_cndmask_b32_e32 v5, v5, v9, vcc
	v_cndmask_b32_e32 v4, v4, v8, vcc
	;; [unrolled: 1-line block ×4, first 2 shown]
.LBB432_222:
	s_or_b64 exec, exec, s[8:9]
.LBB432_223:
	s_or_b64 exec, exec, s[2:3]
	v_cmp_eq_u32_e64 s[0:1], 0, v0
	s_and_saveexec_b64 s[2:3], s[0:1]
	s_cbranch_execnz .LBB432_198
	s_branch .LBB432_199
.LBB432_224:
	v_lshlrev_b32_e32 v6, 3, v1
	global_load_dwordx2 v[10:11], v6, s[16:17]
	v_mov_b32_e32 v7, s33
	v_add_co_u32_e64 v6, s[16:17], s31, v1
	v_addc_co_u32_e64 v7, s[16:17], 0, v7, s[16:17]
	s_or_b64 exec, exec, s[28:29]
	s_and_saveexec_b64 s[28:29], s[14:15]
	s_cbranch_execz .LBB432_62
.LBB432_225:
	s_waitcnt vmcnt(0)
	v_cmp_lt_i64_e64 s[14:15], v[30:31], v[2:3]
	v_cmp_lt_i64_e64 s[16:17], v[4:5], v[20:21]
	s_or_b64 s[14:15], s[14:15], s[16:17]
	v_cndmask_b32_e64 v1, v30, v2, s[14:15]
	v_cndmask_b32_e64 v34, v31, v3, s[14:15]
	;; [unrolled: 1-line block ×4, first 2 shown]
	v_cmp_lt_i64_e64 s[14:15], v[2:3], v[30:31]
	v_cndmask_b32_e64 v5, v5, v21, s[14:15]
	v_cndmask_b32_e64 v4, v4, v20, s[14:15]
	;; [unrolled: 1-line block ×4, first 2 shown]
	s_or_b64 exec, exec, s[28:29]
	s_and_saveexec_b64 s[16:17], s[12:13]
	s_cbranch_execz .LBB432_63
.LBB432_226:
	s_waitcnt vmcnt(0)
	v_cmp_lt_i64_e64 s[12:13], v[28:29], v[2:3]
	v_cmp_lt_i64_e64 s[14:15], v[4:5], v[32:33]
	s_or_b64 s[12:13], s[12:13], s[14:15]
	v_cndmask_b32_e64 v1, v28, v2, s[12:13]
	v_cndmask_b32_e64 v20, v29, v3, s[12:13]
	;; [unrolled: 1-line block ×4, first 2 shown]
	v_cmp_lt_i64_e64 s[12:13], v[2:3], v[28:29]
	v_cndmask_b32_e64 v5, v5, v33, s[12:13]
	v_cndmask_b32_e64 v4, v4, v32, s[12:13]
	;; [unrolled: 1-line block ×4, first 2 shown]
	s_or_b64 exec, exec, s[16:17]
	s_and_saveexec_b64 s[14:15], s[10:11]
	s_cbranch_execz .LBB432_64
.LBB432_227:
	s_waitcnt vmcnt(0)
	v_cmp_lt_i64_e64 s[10:11], v[24:25], v[2:3]
	v_cmp_lt_i64_e64 s[12:13], v[4:5], v[12:13]
	s_or_b64 s[10:11], s[10:11], s[12:13]
	v_cndmask_b32_e64 v1, v24, v2, s[10:11]
	v_cndmask_b32_e64 v20, v25, v3, s[10:11]
	v_cndmask_b32_e64 v4, v12, v4, s[10:11]
	v_cndmask_b32_e64 v5, v13, v5, s[10:11]
	v_cmp_lt_i64_e64 s[10:11], v[2:3], v[24:25]
	v_cndmask_b32_e64 v5, v5, v13, s[10:11]
	v_cndmask_b32_e64 v4, v4, v12, s[10:11]
	;; [unrolled: 1-line block ×4, first 2 shown]
	s_or_b64 exec, exec, s[14:15]
	s_and_saveexec_b64 s[12:13], s[8:9]
	s_cbranch_execz .LBB432_65
.LBB432_228:
	s_waitcnt vmcnt(0)
	v_cmp_lt_i64_e64 s[8:9], v[22:23], v[2:3]
	v_cmp_lt_i64_e64 s[10:11], v[4:5], v[26:27]
	s_or_b64 s[8:9], s[8:9], s[10:11]
	v_cndmask_b32_e64 v1, v22, v2, s[8:9]
	v_cndmask_b32_e64 v12, v23, v3, s[8:9]
	;; [unrolled: 1-line block ×4, first 2 shown]
	v_cmp_lt_i64_e64 s[8:9], v[2:3], v[22:23]
	v_cndmask_b32_e64 v5, v5, v27, s[8:9]
	v_cndmask_b32_e64 v4, v4, v26, s[8:9]
	;; [unrolled: 1-line block ×4, first 2 shown]
	s_or_b64 exec, exec, s[12:13]
	s_and_saveexec_b64 s[10:11], s[2:3]
	s_cbranch_execz .LBB432_66
.LBB432_229:
	s_waitcnt vmcnt(0)
	v_cmp_lt_i64_e64 s[2:3], v[16:17], v[2:3]
	v_cmp_lt_i64_e64 s[8:9], v[4:5], v[8:9]
	s_or_b64 s[2:3], s[2:3], s[8:9]
	v_cndmask_b32_e64 v1, v16, v2, s[2:3]
	v_cndmask_b32_e64 v12, v17, v3, s[2:3]
	;; [unrolled: 1-line block ×4, first 2 shown]
	v_cmp_lt_i64_e64 s[2:3], v[2:3], v[16:17]
	v_cndmask_b32_e64 v5, v5, v9, s[2:3]
	v_cndmask_b32_e64 v4, v4, v8, s[2:3]
	;; [unrolled: 1-line block ×4, first 2 shown]
	s_or_b64 exec, exec, s[10:11]
	s_and_saveexec_b64 s[8:9], s[0:1]
	s_cbranch_execz .LBB432_67
.LBB432_230:
	s_waitcnt vmcnt(0)
	v_cmp_lt_i64_e64 s[0:1], v[14:15], v[2:3]
	v_cmp_lt_i64_e64 s[2:3], v[4:5], v[18:19]
	s_or_b64 s[0:1], s[0:1], s[2:3]
	v_cndmask_b32_e64 v1, v14, v2, s[0:1]
	v_cndmask_b32_e64 v8, v15, v3, s[0:1]
	;; [unrolled: 1-line block ×4, first 2 shown]
	v_cmp_lt_i64_e64 s[0:1], v[2:3], v[14:15]
	v_cndmask_b32_e64 v5, v5, v19, s[0:1]
	v_cndmask_b32_e64 v4, v4, v18, s[0:1]
	;; [unrolled: 1-line block ×4, first 2 shown]
	s_or_b64 exec, exec, s[8:9]
	s_and_saveexec_b64 s[2:3], vcc
	s_cbranch_execnz .LBB432_68
	s_branch .LBB432_69
.LBB432_231:
	v_lshlrev_b32_e32 v6, 3, v1
	global_load_dwordx2 v[10:11], v6, s[8:9]
	v_mov_b32_e32 v7, s13
	v_add_co_u32_e64 v6, s[8:9], s12, v1
	v_addc_co_u32_e64 v7, s[8:9], 0, v7, s[8:9]
	s_or_b64 exec, exec, s[10:11]
	s_and_saveexec_b64 s[10:11], s[2:3]
	s_cbranch_execz .LBB432_100
.LBB432_232:
	s_waitcnt vmcnt(0)
	v_cmp_lt_i64_e64 s[2:3], v[14:15], v[2:3]
	v_cmp_lt_i64_e64 s[8:9], v[4:5], v[8:9]
	s_or_b64 s[2:3], s[2:3], s[8:9]
	v_cndmask_b32_e64 v1, v14, v2, s[2:3]
	v_cndmask_b32_e64 v18, v15, v3, s[2:3]
	;; [unrolled: 1-line block ×4, first 2 shown]
	v_cmp_lt_i64_e64 s[2:3], v[2:3], v[14:15]
	v_cndmask_b32_e64 v5, v5, v9, s[2:3]
	v_cndmask_b32_e64 v4, v4, v8, s[2:3]
	;; [unrolled: 1-line block ×4, first 2 shown]
	s_or_b64 exec, exec, s[10:11]
	s_and_saveexec_b64 s[8:9], s[0:1]
	s_cbranch_execz .LBB432_101
.LBB432_233:
	s_waitcnt vmcnt(0)
	v_cmp_lt_i64_e64 s[0:1], v[12:13], v[2:3]
	v_cmp_lt_i64_e64 s[2:3], v[4:5], v[16:17]
	s_or_b64 s[0:1], s[0:1], s[2:3]
	v_cndmask_b32_e64 v1, v12, v2, s[0:1]
	v_cndmask_b32_e64 v8, v13, v3, s[0:1]
	;; [unrolled: 1-line block ×4, first 2 shown]
	v_cmp_lt_i64_e64 s[0:1], v[2:3], v[12:13]
	v_cndmask_b32_e64 v5, v5, v17, s[0:1]
	v_cndmask_b32_e64 v4, v4, v16, s[0:1]
	;; [unrolled: 1-line block ×4, first 2 shown]
	s_or_b64 exec, exec, s[8:9]
	s_and_saveexec_b64 s[2:3], vcc
	s_cbranch_execnz .LBB432_102
	s_branch .LBB432_103
	.section	.rodata,"a",@progbits
	.p2align	6, 0x0
	.amdhsa_kernel _ZN7rocprim17ROCPRIM_400000_NS6detail17trampoline_kernelINS0_14default_configENS1_22reduce_config_selectorIN6thrust23THRUST_200600_302600_NS5tupleIllNS6_9null_typeES8_S8_S8_S8_S8_S8_S8_EEEEZNS1_11reduce_implILb0ES3_NS6_12zip_iteratorINS7_INS6_10device_ptrIlEENS6_11hip_rocprim19counting_iterator_tIlEES8_S8_S8_S8_S8_S8_S8_S8_EEEEPS9_S9_NSF_9__extrema9arg_max_fIllNS6_4lessIlEEEEEE10hipError_tPvRmT1_T2_T3_mT4_P12ihipStream_tbEUlT_E1_NS1_11comp_targetILNS1_3genE4ELNS1_11target_archE910ELNS1_3gpuE8ELNS1_3repE0EEENS1_30default_config_static_selectorELNS0_4arch9wavefront6targetE1EEEvST_
		.amdhsa_group_segment_fixed_size 320
		.amdhsa_private_segment_fixed_size 0
		.amdhsa_kernarg_size 64
		.amdhsa_user_sgpr_count 6
		.amdhsa_user_sgpr_private_segment_buffer 1
		.amdhsa_user_sgpr_dispatch_ptr 0
		.amdhsa_user_sgpr_queue_ptr 0
		.amdhsa_user_sgpr_kernarg_segment_ptr 1
		.amdhsa_user_sgpr_dispatch_id 0
		.amdhsa_user_sgpr_flat_scratch_init 0
		.amdhsa_user_sgpr_kernarg_preload_length 0
		.amdhsa_user_sgpr_kernarg_preload_offset 0
		.amdhsa_user_sgpr_private_segment_size 0
		.amdhsa_uses_dynamic_stack 0
		.amdhsa_system_sgpr_private_segment_wavefront_offset 0
		.amdhsa_system_sgpr_workgroup_id_x 1
		.amdhsa_system_sgpr_workgroup_id_y 0
		.amdhsa_system_sgpr_workgroup_id_z 0
		.amdhsa_system_sgpr_workgroup_info 0
		.amdhsa_system_vgpr_workitem_id 0
		.amdhsa_next_free_vgpr 35
		.amdhsa_next_free_sgpr 35
		.amdhsa_accum_offset 36
		.amdhsa_reserve_vcc 1
		.amdhsa_reserve_flat_scratch 0
		.amdhsa_float_round_mode_32 0
		.amdhsa_float_round_mode_16_64 0
		.amdhsa_float_denorm_mode_32 3
		.amdhsa_float_denorm_mode_16_64 3
		.amdhsa_dx10_clamp 1
		.amdhsa_ieee_mode 1
		.amdhsa_fp16_overflow 0
		.amdhsa_tg_split 0
		.amdhsa_exception_fp_ieee_invalid_op 0
		.amdhsa_exception_fp_denorm_src 0
		.amdhsa_exception_fp_ieee_div_zero 0
		.amdhsa_exception_fp_ieee_overflow 0
		.amdhsa_exception_fp_ieee_underflow 0
		.amdhsa_exception_fp_ieee_inexact 0
		.amdhsa_exception_int_div_zero 0
	.end_amdhsa_kernel
	.section	.text._ZN7rocprim17ROCPRIM_400000_NS6detail17trampoline_kernelINS0_14default_configENS1_22reduce_config_selectorIN6thrust23THRUST_200600_302600_NS5tupleIllNS6_9null_typeES8_S8_S8_S8_S8_S8_S8_EEEEZNS1_11reduce_implILb0ES3_NS6_12zip_iteratorINS7_INS6_10device_ptrIlEENS6_11hip_rocprim19counting_iterator_tIlEES8_S8_S8_S8_S8_S8_S8_S8_EEEEPS9_S9_NSF_9__extrema9arg_max_fIllNS6_4lessIlEEEEEE10hipError_tPvRmT1_T2_T3_mT4_P12ihipStream_tbEUlT_E1_NS1_11comp_targetILNS1_3genE4ELNS1_11target_archE910ELNS1_3gpuE8ELNS1_3repE0EEENS1_30default_config_static_selectorELNS0_4arch9wavefront6targetE1EEEvST_,"axG",@progbits,_ZN7rocprim17ROCPRIM_400000_NS6detail17trampoline_kernelINS0_14default_configENS1_22reduce_config_selectorIN6thrust23THRUST_200600_302600_NS5tupleIllNS6_9null_typeES8_S8_S8_S8_S8_S8_S8_EEEEZNS1_11reduce_implILb0ES3_NS6_12zip_iteratorINS7_INS6_10device_ptrIlEENS6_11hip_rocprim19counting_iterator_tIlEES8_S8_S8_S8_S8_S8_S8_S8_EEEEPS9_S9_NSF_9__extrema9arg_max_fIllNS6_4lessIlEEEEEE10hipError_tPvRmT1_T2_T3_mT4_P12ihipStream_tbEUlT_E1_NS1_11comp_targetILNS1_3genE4ELNS1_11target_archE910ELNS1_3gpuE8ELNS1_3repE0EEENS1_30default_config_static_selectorELNS0_4arch9wavefront6targetE1EEEvST_,comdat
.Lfunc_end432:
	.size	_ZN7rocprim17ROCPRIM_400000_NS6detail17trampoline_kernelINS0_14default_configENS1_22reduce_config_selectorIN6thrust23THRUST_200600_302600_NS5tupleIllNS6_9null_typeES8_S8_S8_S8_S8_S8_S8_EEEEZNS1_11reduce_implILb0ES3_NS6_12zip_iteratorINS7_INS6_10device_ptrIlEENS6_11hip_rocprim19counting_iterator_tIlEES8_S8_S8_S8_S8_S8_S8_S8_EEEEPS9_S9_NSF_9__extrema9arg_max_fIllNS6_4lessIlEEEEEE10hipError_tPvRmT1_T2_T3_mT4_P12ihipStream_tbEUlT_E1_NS1_11comp_targetILNS1_3genE4ELNS1_11target_archE910ELNS1_3gpuE8ELNS1_3repE0EEENS1_30default_config_static_selectorELNS0_4arch9wavefront6targetE1EEEvST_, .Lfunc_end432-_ZN7rocprim17ROCPRIM_400000_NS6detail17trampoline_kernelINS0_14default_configENS1_22reduce_config_selectorIN6thrust23THRUST_200600_302600_NS5tupleIllNS6_9null_typeES8_S8_S8_S8_S8_S8_S8_EEEEZNS1_11reduce_implILb0ES3_NS6_12zip_iteratorINS7_INS6_10device_ptrIlEENS6_11hip_rocprim19counting_iterator_tIlEES8_S8_S8_S8_S8_S8_S8_S8_EEEEPS9_S9_NSF_9__extrema9arg_max_fIllNS6_4lessIlEEEEEE10hipError_tPvRmT1_T2_T3_mT4_P12ihipStream_tbEUlT_E1_NS1_11comp_targetILNS1_3genE4ELNS1_11target_archE910ELNS1_3gpuE8ELNS1_3repE0EEENS1_30default_config_static_selectorELNS0_4arch9wavefront6targetE1EEEvST_
                                        ; -- End function
	.section	.AMDGPU.csdata,"",@progbits
; Kernel info:
; codeLenInByte = 12448
; NumSgprs: 39
; NumVgprs: 35
; NumAgprs: 0
; TotalNumVgprs: 35
; ScratchSize: 0
; MemoryBound: 0
; FloatMode: 240
; IeeeMode: 1
; LDSByteSize: 320 bytes/workgroup (compile time only)
; SGPRBlocks: 4
; VGPRBlocks: 4
; NumSGPRsForWavesPerEU: 39
; NumVGPRsForWavesPerEU: 35
; AccumOffset: 36
; Occupancy: 8
; WaveLimiterHint : 1
; COMPUTE_PGM_RSRC2:SCRATCH_EN: 0
; COMPUTE_PGM_RSRC2:USER_SGPR: 6
; COMPUTE_PGM_RSRC2:TRAP_HANDLER: 0
; COMPUTE_PGM_RSRC2:TGID_X_EN: 1
; COMPUTE_PGM_RSRC2:TGID_Y_EN: 0
; COMPUTE_PGM_RSRC2:TGID_Z_EN: 0
; COMPUTE_PGM_RSRC2:TIDIG_COMP_CNT: 0
; COMPUTE_PGM_RSRC3_GFX90A:ACCUM_OFFSET: 8
; COMPUTE_PGM_RSRC3_GFX90A:TG_SPLIT: 0
	.section	.text._ZN7rocprim17ROCPRIM_400000_NS6detail17trampoline_kernelINS0_14default_configENS1_22reduce_config_selectorIN6thrust23THRUST_200600_302600_NS5tupleIllNS6_9null_typeES8_S8_S8_S8_S8_S8_S8_EEEEZNS1_11reduce_implILb0ES3_NS6_12zip_iteratorINS7_INS6_10device_ptrIlEENS6_11hip_rocprim19counting_iterator_tIlEES8_S8_S8_S8_S8_S8_S8_S8_EEEEPS9_S9_NSF_9__extrema9arg_max_fIllNS6_4lessIlEEEEEE10hipError_tPvRmT1_T2_T3_mT4_P12ihipStream_tbEUlT_E1_NS1_11comp_targetILNS1_3genE3ELNS1_11target_archE908ELNS1_3gpuE7ELNS1_3repE0EEENS1_30default_config_static_selectorELNS0_4arch9wavefront6targetE1EEEvST_,"axG",@progbits,_ZN7rocprim17ROCPRIM_400000_NS6detail17trampoline_kernelINS0_14default_configENS1_22reduce_config_selectorIN6thrust23THRUST_200600_302600_NS5tupleIllNS6_9null_typeES8_S8_S8_S8_S8_S8_S8_EEEEZNS1_11reduce_implILb0ES3_NS6_12zip_iteratorINS7_INS6_10device_ptrIlEENS6_11hip_rocprim19counting_iterator_tIlEES8_S8_S8_S8_S8_S8_S8_S8_EEEEPS9_S9_NSF_9__extrema9arg_max_fIllNS6_4lessIlEEEEEE10hipError_tPvRmT1_T2_T3_mT4_P12ihipStream_tbEUlT_E1_NS1_11comp_targetILNS1_3genE3ELNS1_11target_archE908ELNS1_3gpuE7ELNS1_3repE0EEENS1_30default_config_static_selectorELNS0_4arch9wavefront6targetE1EEEvST_,comdat
	.protected	_ZN7rocprim17ROCPRIM_400000_NS6detail17trampoline_kernelINS0_14default_configENS1_22reduce_config_selectorIN6thrust23THRUST_200600_302600_NS5tupleIllNS6_9null_typeES8_S8_S8_S8_S8_S8_S8_EEEEZNS1_11reduce_implILb0ES3_NS6_12zip_iteratorINS7_INS6_10device_ptrIlEENS6_11hip_rocprim19counting_iterator_tIlEES8_S8_S8_S8_S8_S8_S8_S8_EEEEPS9_S9_NSF_9__extrema9arg_max_fIllNS6_4lessIlEEEEEE10hipError_tPvRmT1_T2_T3_mT4_P12ihipStream_tbEUlT_E1_NS1_11comp_targetILNS1_3genE3ELNS1_11target_archE908ELNS1_3gpuE7ELNS1_3repE0EEENS1_30default_config_static_selectorELNS0_4arch9wavefront6targetE1EEEvST_ ; -- Begin function _ZN7rocprim17ROCPRIM_400000_NS6detail17trampoline_kernelINS0_14default_configENS1_22reduce_config_selectorIN6thrust23THRUST_200600_302600_NS5tupleIllNS6_9null_typeES8_S8_S8_S8_S8_S8_S8_EEEEZNS1_11reduce_implILb0ES3_NS6_12zip_iteratorINS7_INS6_10device_ptrIlEENS6_11hip_rocprim19counting_iterator_tIlEES8_S8_S8_S8_S8_S8_S8_S8_EEEEPS9_S9_NSF_9__extrema9arg_max_fIllNS6_4lessIlEEEEEE10hipError_tPvRmT1_T2_T3_mT4_P12ihipStream_tbEUlT_E1_NS1_11comp_targetILNS1_3genE3ELNS1_11target_archE908ELNS1_3gpuE7ELNS1_3repE0EEENS1_30default_config_static_selectorELNS0_4arch9wavefront6targetE1EEEvST_
	.globl	_ZN7rocprim17ROCPRIM_400000_NS6detail17trampoline_kernelINS0_14default_configENS1_22reduce_config_selectorIN6thrust23THRUST_200600_302600_NS5tupleIllNS6_9null_typeES8_S8_S8_S8_S8_S8_S8_EEEEZNS1_11reduce_implILb0ES3_NS6_12zip_iteratorINS7_INS6_10device_ptrIlEENS6_11hip_rocprim19counting_iterator_tIlEES8_S8_S8_S8_S8_S8_S8_S8_EEEEPS9_S9_NSF_9__extrema9arg_max_fIllNS6_4lessIlEEEEEE10hipError_tPvRmT1_T2_T3_mT4_P12ihipStream_tbEUlT_E1_NS1_11comp_targetILNS1_3genE3ELNS1_11target_archE908ELNS1_3gpuE7ELNS1_3repE0EEENS1_30default_config_static_selectorELNS0_4arch9wavefront6targetE1EEEvST_
	.p2align	8
	.type	_ZN7rocprim17ROCPRIM_400000_NS6detail17trampoline_kernelINS0_14default_configENS1_22reduce_config_selectorIN6thrust23THRUST_200600_302600_NS5tupleIllNS6_9null_typeES8_S8_S8_S8_S8_S8_S8_EEEEZNS1_11reduce_implILb0ES3_NS6_12zip_iteratorINS7_INS6_10device_ptrIlEENS6_11hip_rocprim19counting_iterator_tIlEES8_S8_S8_S8_S8_S8_S8_S8_EEEEPS9_S9_NSF_9__extrema9arg_max_fIllNS6_4lessIlEEEEEE10hipError_tPvRmT1_T2_T3_mT4_P12ihipStream_tbEUlT_E1_NS1_11comp_targetILNS1_3genE3ELNS1_11target_archE908ELNS1_3gpuE7ELNS1_3repE0EEENS1_30default_config_static_selectorELNS0_4arch9wavefront6targetE1EEEvST_,@function
_ZN7rocprim17ROCPRIM_400000_NS6detail17trampoline_kernelINS0_14default_configENS1_22reduce_config_selectorIN6thrust23THRUST_200600_302600_NS5tupleIllNS6_9null_typeES8_S8_S8_S8_S8_S8_S8_EEEEZNS1_11reduce_implILb0ES3_NS6_12zip_iteratorINS7_INS6_10device_ptrIlEENS6_11hip_rocprim19counting_iterator_tIlEES8_S8_S8_S8_S8_S8_S8_S8_EEEEPS9_S9_NSF_9__extrema9arg_max_fIllNS6_4lessIlEEEEEE10hipError_tPvRmT1_T2_T3_mT4_P12ihipStream_tbEUlT_E1_NS1_11comp_targetILNS1_3genE3ELNS1_11target_archE908ELNS1_3gpuE7ELNS1_3repE0EEENS1_30default_config_static_selectorELNS0_4arch9wavefront6targetE1EEEvST_: ; @_ZN7rocprim17ROCPRIM_400000_NS6detail17trampoline_kernelINS0_14default_configENS1_22reduce_config_selectorIN6thrust23THRUST_200600_302600_NS5tupleIllNS6_9null_typeES8_S8_S8_S8_S8_S8_S8_EEEEZNS1_11reduce_implILb0ES3_NS6_12zip_iteratorINS7_INS6_10device_ptrIlEENS6_11hip_rocprim19counting_iterator_tIlEES8_S8_S8_S8_S8_S8_S8_S8_EEEEPS9_S9_NSF_9__extrema9arg_max_fIllNS6_4lessIlEEEEEE10hipError_tPvRmT1_T2_T3_mT4_P12ihipStream_tbEUlT_E1_NS1_11comp_targetILNS1_3genE3ELNS1_11target_archE908ELNS1_3gpuE7ELNS1_3repE0EEENS1_30default_config_static_selectorELNS0_4arch9wavefront6targetE1EEEvST_
; %bb.0:
	.section	.rodata,"a",@progbits
	.p2align	6, 0x0
	.amdhsa_kernel _ZN7rocprim17ROCPRIM_400000_NS6detail17trampoline_kernelINS0_14default_configENS1_22reduce_config_selectorIN6thrust23THRUST_200600_302600_NS5tupleIllNS6_9null_typeES8_S8_S8_S8_S8_S8_S8_EEEEZNS1_11reduce_implILb0ES3_NS6_12zip_iteratorINS7_INS6_10device_ptrIlEENS6_11hip_rocprim19counting_iterator_tIlEES8_S8_S8_S8_S8_S8_S8_S8_EEEEPS9_S9_NSF_9__extrema9arg_max_fIllNS6_4lessIlEEEEEE10hipError_tPvRmT1_T2_T3_mT4_P12ihipStream_tbEUlT_E1_NS1_11comp_targetILNS1_3genE3ELNS1_11target_archE908ELNS1_3gpuE7ELNS1_3repE0EEENS1_30default_config_static_selectorELNS0_4arch9wavefront6targetE1EEEvST_
		.amdhsa_group_segment_fixed_size 0
		.amdhsa_private_segment_fixed_size 0
		.amdhsa_kernarg_size 64
		.amdhsa_user_sgpr_count 6
		.amdhsa_user_sgpr_private_segment_buffer 1
		.amdhsa_user_sgpr_dispatch_ptr 0
		.amdhsa_user_sgpr_queue_ptr 0
		.amdhsa_user_sgpr_kernarg_segment_ptr 1
		.amdhsa_user_sgpr_dispatch_id 0
		.amdhsa_user_sgpr_flat_scratch_init 0
		.amdhsa_user_sgpr_kernarg_preload_length 0
		.amdhsa_user_sgpr_kernarg_preload_offset 0
		.amdhsa_user_sgpr_private_segment_size 0
		.amdhsa_uses_dynamic_stack 0
		.amdhsa_system_sgpr_private_segment_wavefront_offset 0
		.amdhsa_system_sgpr_workgroup_id_x 1
		.amdhsa_system_sgpr_workgroup_id_y 0
		.amdhsa_system_sgpr_workgroup_id_z 0
		.amdhsa_system_sgpr_workgroup_info 0
		.amdhsa_system_vgpr_workitem_id 0
		.amdhsa_next_free_vgpr 1
		.amdhsa_next_free_sgpr 0
		.amdhsa_accum_offset 4
		.amdhsa_reserve_vcc 0
		.amdhsa_reserve_flat_scratch 0
		.amdhsa_float_round_mode_32 0
		.amdhsa_float_round_mode_16_64 0
		.amdhsa_float_denorm_mode_32 3
		.amdhsa_float_denorm_mode_16_64 3
		.amdhsa_dx10_clamp 1
		.amdhsa_ieee_mode 1
		.amdhsa_fp16_overflow 0
		.amdhsa_tg_split 0
		.amdhsa_exception_fp_ieee_invalid_op 0
		.amdhsa_exception_fp_denorm_src 0
		.amdhsa_exception_fp_ieee_div_zero 0
		.amdhsa_exception_fp_ieee_overflow 0
		.amdhsa_exception_fp_ieee_underflow 0
		.amdhsa_exception_fp_ieee_inexact 0
		.amdhsa_exception_int_div_zero 0
	.end_amdhsa_kernel
	.section	.text._ZN7rocprim17ROCPRIM_400000_NS6detail17trampoline_kernelINS0_14default_configENS1_22reduce_config_selectorIN6thrust23THRUST_200600_302600_NS5tupleIllNS6_9null_typeES8_S8_S8_S8_S8_S8_S8_EEEEZNS1_11reduce_implILb0ES3_NS6_12zip_iteratorINS7_INS6_10device_ptrIlEENS6_11hip_rocprim19counting_iterator_tIlEES8_S8_S8_S8_S8_S8_S8_S8_EEEEPS9_S9_NSF_9__extrema9arg_max_fIllNS6_4lessIlEEEEEE10hipError_tPvRmT1_T2_T3_mT4_P12ihipStream_tbEUlT_E1_NS1_11comp_targetILNS1_3genE3ELNS1_11target_archE908ELNS1_3gpuE7ELNS1_3repE0EEENS1_30default_config_static_selectorELNS0_4arch9wavefront6targetE1EEEvST_,"axG",@progbits,_ZN7rocprim17ROCPRIM_400000_NS6detail17trampoline_kernelINS0_14default_configENS1_22reduce_config_selectorIN6thrust23THRUST_200600_302600_NS5tupleIllNS6_9null_typeES8_S8_S8_S8_S8_S8_S8_EEEEZNS1_11reduce_implILb0ES3_NS6_12zip_iteratorINS7_INS6_10device_ptrIlEENS6_11hip_rocprim19counting_iterator_tIlEES8_S8_S8_S8_S8_S8_S8_S8_EEEEPS9_S9_NSF_9__extrema9arg_max_fIllNS6_4lessIlEEEEEE10hipError_tPvRmT1_T2_T3_mT4_P12ihipStream_tbEUlT_E1_NS1_11comp_targetILNS1_3genE3ELNS1_11target_archE908ELNS1_3gpuE7ELNS1_3repE0EEENS1_30default_config_static_selectorELNS0_4arch9wavefront6targetE1EEEvST_,comdat
.Lfunc_end433:
	.size	_ZN7rocprim17ROCPRIM_400000_NS6detail17trampoline_kernelINS0_14default_configENS1_22reduce_config_selectorIN6thrust23THRUST_200600_302600_NS5tupleIllNS6_9null_typeES8_S8_S8_S8_S8_S8_S8_EEEEZNS1_11reduce_implILb0ES3_NS6_12zip_iteratorINS7_INS6_10device_ptrIlEENS6_11hip_rocprim19counting_iterator_tIlEES8_S8_S8_S8_S8_S8_S8_S8_EEEEPS9_S9_NSF_9__extrema9arg_max_fIllNS6_4lessIlEEEEEE10hipError_tPvRmT1_T2_T3_mT4_P12ihipStream_tbEUlT_E1_NS1_11comp_targetILNS1_3genE3ELNS1_11target_archE908ELNS1_3gpuE7ELNS1_3repE0EEENS1_30default_config_static_selectorELNS0_4arch9wavefront6targetE1EEEvST_, .Lfunc_end433-_ZN7rocprim17ROCPRIM_400000_NS6detail17trampoline_kernelINS0_14default_configENS1_22reduce_config_selectorIN6thrust23THRUST_200600_302600_NS5tupleIllNS6_9null_typeES8_S8_S8_S8_S8_S8_S8_EEEEZNS1_11reduce_implILb0ES3_NS6_12zip_iteratorINS7_INS6_10device_ptrIlEENS6_11hip_rocprim19counting_iterator_tIlEES8_S8_S8_S8_S8_S8_S8_S8_EEEEPS9_S9_NSF_9__extrema9arg_max_fIllNS6_4lessIlEEEEEE10hipError_tPvRmT1_T2_T3_mT4_P12ihipStream_tbEUlT_E1_NS1_11comp_targetILNS1_3genE3ELNS1_11target_archE908ELNS1_3gpuE7ELNS1_3repE0EEENS1_30default_config_static_selectorELNS0_4arch9wavefront6targetE1EEEvST_
                                        ; -- End function
	.section	.AMDGPU.csdata,"",@progbits
; Kernel info:
; codeLenInByte = 0
; NumSgprs: 4
; NumVgprs: 0
; NumAgprs: 0
; TotalNumVgprs: 0
; ScratchSize: 0
; MemoryBound: 0
; FloatMode: 240
; IeeeMode: 1
; LDSByteSize: 0 bytes/workgroup (compile time only)
; SGPRBlocks: 0
; VGPRBlocks: 0
; NumSGPRsForWavesPerEU: 4
; NumVGPRsForWavesPerEU: 1
; AccumOffset: 4
; Occupancy: 8
; WaveLimiterHint : 0
; COMPUTE_PGM_RSRC2:SCRATCH_EN: 0
; COMPUTE_PGM_RSRC2:USER_SGPR: 6
; COMPUTE_PGM_RSRC2:TRAP_HANDLER: 0
; COMPUTE_PGM_RSRC2:TGID_X_EN: 1
; COMPUTE_PGM_RSRC2:TGID_Y_EN: 0
; COMPUTE_PGM_RSRC2:TGID_Z_EN: 0
; COMPUTE_PGM_RSRC2:TIDIG_COMP_CNT: 0
; COMPUTE_PGM_RSRC3_GFX90A:ACCUM_OFFSET: 0
; COMPUTE_PGM_RSRC3_GFX90A:TG_SPLIT: 0
	.section	.text._ZN7rocprim17ROCPRIM_400000_NS6detail17trampoline_kernelINS0_14default_configENS1_22reduce_config_selectorIN6thrust23THRUST_200600_302600_NS5tupleIllNS6_9null_typeES8_S8_S8_S8_S8_S8_S8_EEEEZNS1_11reduce_implILb0ES3_NS6_12zip_iteratorINS7_INS6_10device_ptrIlEENS6_11hip_rocprim19counting_iterator_tIlEES8_S8_S8_S8_S8_S8_S8_S8_EEEEPS9_S9_NSF_9__extrema9arg_max_fIllNS6_4lessIlEEEEEE10hipError_tPvRmT1_T2_T3_mT4_P12ihipStream_tbEUlT_E1_NS1_11comp_targetILNS1_3genE2ELNS1_11target_archE906ELNS1_3gpuE6ELNS1_3repE0EEENS1_30default_config_static_selectorELNS0_4arch9wavefront6targetE1EEEvST_,"axG",@progbits,_ZN7rocprim17ROCPRIM_400000_NS6detail17trampoline_kernelINS0_14default_configENS1_22reduce_config_selectorIN6thrust23THRUST_200600_302600_NS5tupleIllNS6_9null_typeES8_S8_S8_S8_S8_S8_S8_EEEEZNS1_11reduce_implILb0ES3_NS6_12zip_iteratorINS7_INS6_10device_ptrIlEENS6_11hip_rocprim19counting_iterator_tIlEES8_S8_S8_S8_S8_S8_S8_S8_EEEEPS9_S9_NSF_9__extrema9arg_max_fIllNS6_4lessIlEEEEEE10hipError_tPvRmT1_T2_T3_mT4_P12ihipStream_tbEUlT_E1_NS1_11comp_targetILNS1_3genE2ELNS1_11target_archE906ELNS1_3gpuE6ELNS1_3repE0EEENS1_30default_config_static_selectorELNS0_4arch9wavefront6targetE1EEEvST_,comdat
	.protected	_ZN7rocprim17ROCPRIM_400000_NS6detail17trampoline_kernelINS0_14default_configENS1_22reduce_config_selectorIN6thrust23THRUST_200600_302600_NS5tupleIllNS6_9null_typeES8_S8_S8_S8_S8_S8_S8_EEEEZNS1_11reduce_implILb0ES3_NS6_12zip_iteratorINS7_INS6_10device_ptrIlEENS6_11hip_rocprim19counting_iterator_tIlEES8_S8_S8_S8_S8_S8_S8_S8_EEEEPS9_S9_NSF_9__extrema9arg_max_fIllNS6_4lessIlEEEEEE10hipError_tPvRmT1_T2_T3_mT4_P12ihipStream_tbEUlT_E1_NS1_11comp_targetILNS1_3genE2ELNS1_11target_archE906ELNS1_3gpuE6ELNS1_3repE0EEENS1_30default_config_static_selectorELNS0_4arch9wavefront6targetE1EEEvST_ ; -- Begin function _ZN7rocprim17ROCPRIM_400000_NS6detail17trampoline_kernelINS0_14default_configENS1_22reduce_config_selectorIN6thrust23THRUST_200600_302600_NS5tupleIllNS6_9null_typeES8_S8_S8_S8_S8_S8_S8_EEEEZNS1_11reduce_implILb0ES3_NS6_12zip_iteratorINS7_INS6_10device_ptrIlEENS6_11hip_rocprim19counting_iterator_tIlEES8_S8_S8_S8_S8_S8_S8_S8_EEEEPS9_S9_NSF_9__extrema9arg_max_fIllNS6_4lessIlEEEEEE10hipError_tPvRmT1_T2_T3_mT4_P12ihipStream_tbEUlT_E1_NS1_11comp_targetILNS1_3genE2ELNS1_11target_archE906ELNS1_3gpuE6ELNS1_3repE0EEENS1_30default_config_static_selectorELNS0_4arch9wavefront6targetE1EEEvST_
	.globl	_ZN7rocprim17ROCPRIM_400000_NS6detail17trampoline_kernelINS0_14default_configENS1_22reduce_config_selectorIN6thrust23THRUST_200600_302600_NS5tupleIllNS6_9null_typeES8_S8_S8_S8_S8_S8_S8_EEEEZNS1_11reduce_implILb0ES3_NS6_12zip_iteratorINS7_INS6_10device_ptrIlEENS6_11hip_rocprim19counting_iterator_tIlEES8_S8_S8_S8_S8_S8_S8_S8_EEEEPS9_S9_NSF_9__extrema9arg_max_fIllNS6_4lessIlEEEEEE10hipError_tPvRmT1_T2_T3_mT4_P12ihipStream_tbEUlT_E1_NS1_11comp_targetILNS1_3genE2ELNS1_11target_archE906ELNS1_3gpuE6ELNS1_3repE0EEENS1_30default_config_static_selectorELNS0_4arch9wavefront6targetE1EEEvST_
	.p2align	8
	.type	_ZN7rocprim17ROCPRIM_400000_NS6detail17trampoline_kernelINS0_14default_configENS1_22reduce_config_selectorIN6thrust23THRUST_200600_302600_NS5tupleIllNS6_9null_typeES8_S8_S8_S8_S8_S8_S8_EEEEZNS1_11reduce_implILb0ES3_NS6_12zip_iteratorINS7_INS6_10device_ptrIlEENS6_11hip_rocprim19counting_iterator_tIlEES8_S8_S8_S8_S8_S8_S8_S8_EEEEPS9_S9_NSF_9__extrema9arg_max_fIllNS6_4lessIlEEEEEE10hipError_tPvRmT1_T2_T3_mT4_P12ihipStream_tbEUlT_E1_NS1_11comp_targetILNS1_3genE2ELNS1_11target_archE906ELNS1_3gpuE6ELNS1_3repE0EEENS1_30default_config_static_selectorELNS0_4arch9wavefront6targetE1EEEvST_,@function
_ZN7rocprim17ROCPRIM_400000_NS6detail17trampoline_kernelINS0_14default_configENS1_22reduce_config_selectorIN6thrust23THRUST_200600_302600_NS5tupleIllNS6_9null_typeES8_S8_S8_S8_S8_S8_S8_EEEEZNS1_11reduce_implILb0ES3_NS6_12zip_iteratorINS7_INS6_10device_ptrIlEENS6_11hip_rocprim19counting_iterator_tIlEES8_S8_S8_S8_S8_S8_S8_S8_EEEEPS9_S9_NSF_9__extrema9arg_max_fIllNS6_4lessIlEEEEEE10hipError_tPvRmT1_T2_T3_mT4_P12ihipStream_tbEUlT_E1_NS1_11comp_targetILNS1_3genE2ELNS1_11target_archE906ELNS1_3gpuE6ELNS1_3repE0EEENS1_30default_config_static_selectorELNS0_4arch9wavefront6targetE1EEEvST_: ; @_ZN7rocprim17ROCPRIM_400000_NS6detail17trampoline_kernelINS0_14default_configENS1_22reduce_config_selectorIN6thrust23THRUST_200600_302600_NS5tupleIllNS6_9null_typeES8_S8_S8_S8_S8_S8_S8_EEEEZNS1_11reduce_implILb0ES3_NS6_12zip_iteratorINS7_INS6_10device_ptrIlEENS6_11hip_rocprim19counting_iterator_tIlEES8_S8_S8_S8_S8_S8_S8_S8_EEEEPS9_S9_NSF_9__extrema9arg_max_fIllNS6_4lessIlEEEEEE10hipError_tPvRmT1_T2_T3_mT4_P12ihipStream_tbEUlT_E1_NS1_11comp_targetILNS1_3genE2ELNS1_11target_archE906ELNS1_3gpuE6ELNS1_3repE0EEENS1_30default_config_static_selectorELNS0_4arch9wavefront6targetE1EEEvST_
; %bb.0:
	.section	.rodata,"a",@progbits
	.p2align	6, 0x0
	.amdhsa_kernel _ZN7rocprim17ROCPRIM_400000_NS6detail17trampoline_kernelINS0_14default_configENS1_22reduce_config_selectorIN6thrust23THRUST_200600_302600_NS5tupleIllNS6_9null_typeES8_S8_S8_S8_S8_S8_S8_EEEEZNS1_11reduce_implILb0ES3_NS6_12zip_iteratorINS7_INS6_10device_ptrIlEENS6_11hip_rocprim19counting_iterator_tIlEES8_S8_S8_S8_S8_S8_S8_S8_EEEEPS9_S9_NSF_9__extrema9arg_max_fIllNS6_4lessIlEEEEEE10hipError_tPvRmT1_T2_T3_mT4_P12ihipStream_tbEUlT_E1_NS1_11comp_targetILNS1_3genE2ELNS1_11target_archE906ELNS1_3gpuE6ELNS1_3repE0EEENS1_30default_config_static_selectorELNS0_4arch9wavefront6targetE1EEEvST_
		.amdhsa_group_segment_fixed_size 0
		.amdhsa_private_segment_fixed_size 0
		.amdhsa_kernarg_size 64
		.amdhsa_user_sgpr_count 6
		.amdhsa_user_sgpr_private_segment_buffer 1
		.amdhsa_user_sgpr_dispatch_ptr 0
		.amdhsa_user_sgpr_queue_ptr 0
		.amdhsa_user_sgpr_kernarg_segment_ptr 1
		.amdhsa_user_sgpr_dispatch_id 0
		.amdhsa_user_sgpr_flat_scratch_init 0
		.amdhsa_user_sgpr_kernarg_preload_length 0
		.amdhsa_user_sgpr_kernarg_preload_offset 0
		.amdhsa_user_sgpr_private_segment_size 0
		.amdhsa_uses_dynamic_stack 0
		.amdhsa_system_sgpr_private_segment_wavefront_offset 0
		.amdhsa_system_sgpr_workgroup_id_x 1
		.amdhsa_system_sgpr_workgroup_id_y 0
		.amdhsa_system_sgpr_workgroup_id_z 0
		.amdhsa_system_sgpr_workgroup_info 0
		.amdhsa_system_vgpr_workitem_id 0
		.amdhsa_next_free_vgpr 1
		.amdhsa_next_free_sgpr 0
		.amdhsa_accum_offset 4
		.amdhsa_reserve_vcc 0
		.amdhsa_reserve_flat_scratch 0
		.amdhsa_float_round_mode_32 0
		.amdhsa_float_round_mode_16_64 0
		.amdhsa_float_denorm_mode_32 3
		.amdhsa_float_denorm_mode_16_64 3
		.amdhsa_dx10_clamp 1
		.amdhsa_ieee_mode 1
		.amdhsa_fp16_overflow 0
		.amdhsa_tg_split 0
		.amdhsa_exception_fp_ieee_invalid_op 0
		.amdhsa_exception_fp_denorm_src 0
		.amdhsa_exception_fp_ieee_div_zero 0
		.amdhsa_exception_fp_ieee_overflow 0
		.amdhsa_exception_fp_ieee_underflow 0
		.amdhsa_exception_fp_ieee_inexact 0
		.amdhsa_exception_int_div_zero 0
	.end_amdhsa_kernel
	.section	.text._ZN7rocprim17ROCPRIM_400000_NS6detail17trampoline_kernelINS0_14default_configENS1_22reduce_config_selectorIN6thrust23THRUST_200600_302600_NS5tupleIllNS6_9null_typeES8_S8_S8_S8_S8_S8_S8_EEEEZNS1_11reduce_implILb0ES3_NS6_12zip_iteratorINS7_INS6_10device_ptrIlEENS6_11hip_rocprim19counting_iterator_tIlEES8_S8_S8_S8_S8_S8_S8_S8_EEEEPS9_S9_NSF_9__extrema9arg_max_fIllNS6_4lessIlEEEEEE10hipError_tPvRmT1_T2_T3_mT4_P12ihipStream_tbEUlT_E1_NS1_11comp_targetILNS1_3genE2ELNS1_11target_archE906ELNS1_3gpuE6ELNS1_3repE0EEENS1_30default_config_static_selectorELNS0_4arch9wavefront6targetE1EEEvST_,"axG",@progbits,_ZN7rocprim17ROCPRIM_400000_NS6detail17trampoline_kernelINS0_14default_configENS1_22reduce_config_selectorIN6thrust23THRUST_200600_302600_NS5tupleIllNS6_9null_typeES8_S8_S8_S8_S8_S8_S8_EEEEZNS1_11reduce_implILb0ES3_NS6_12zip_iteratorINS7_INS6_10device_ptrIlEENS6_11hip_rocprim19counting_iterator_tIlEES8_S8_S8_S8_S8_S8_S8_S8_EEEEPS9_S9_NSF_9__extrema9arg_max_fIllNS6_4lessIlEEEEEE10hipError_tPvRmT1_T2_T3_mT4_P12ihipStream_tbEUlT_E1_NS1_11comp_targetILNS1_3genE2ELNS1_11target_archE906ELNS1_3gpuE6ELNS1_3repE0EEENS1_30default_config_static_selectorELNS0_4arch9wavefront6targetE1EEEvST_,comdat
.Lfunc_end434:
	.size	_ZN7rocprim17ROCPRIM_400000_NS6detail17trampoline_kernelINS0_14default_configENS1_22reduce_config_selectorIN6thrust23THRUST_200600_302600_NS5tupleIllNS6_9null_typeES8_S8_S8_S8_S8_S8_S8_EEEEZNS1_11reduce_implILb0ES3_NS6_12zip_iteratorINS7_INS6_10device_ptrIlEENS6_11hip_rocprim19counting_iterator_tIlEES8_S8_S8_S8_S8_S8_S8_S8_EEEEPS9_S9_NSF_9__extrema9arg_max_fIllNS6_4lessIlEEEEEE10hipError_tPvRmT1_T2_T3_mT4_P12ihipStream_tbEUlT_E1_NS1_11comp_targetILNS1_3genE2ELNS1_11target_archE906ELNS1_3gpuE6ELNS1_3repE0EEENS1_30default_config_static_selectorELNS0_4arch9wavefront6targetE1EEEvST_, .Lfunc_end434-_ZN7rocprim17ROCPRIM_400000_NS6detail17trampoline_kernelINS0_14default_configENS1_22reduce_config_selectorIN6thrust23THRUST_200600_302600_NS5tupleIllNS6_9null_typeES8_S8_S8_S8_S8_S8_S8_EEEEZNS1_11reduce_implILb0ES3_NS6_12zip_iteratorINS7_INS6_10device_ptrIlEENS6_11hip_rocprim19counting_iterator_tIlEES8_S8_S8_S8_S8_S8_S8_S8_EEEEPS9_S9_NSF_9__extrema9arg_max_fIllNS6_4lessIlEEEEEE10hipError_tPvRmT1_T2_T3_mT4_P12ihipStream_tbEUlT_E1_NS1_11comp_targetILNS1_3genE2ELNS1_11target_archE906ELNS1_3gpuE6ELNS1_3repE0EEENS1_30default_config_static_selectorELNS0_4arch9wavefront6targetE1EEEvST_
                                        ; -- End function
	.section	.AMDGPU.csdata,"",@progbits
; Kernel info:
; codeLenInByte = 0
; NumSgprs: 4
; NumVgprs: 0
; NumAgprs: 0
; TotalNumVgprs: 0
; ScratchSize: 0
; MemoryBound: 0
; FloatMode: 240
; IeeeMode: 1
; LDSByteSize: 0 bytes/workgroup (compile time only)
; SGPRBlocks: 0
; VGPRBlocks: 0
; NumSGPRsForWavesPerEU: 4
; NumVGPRsForWavesPerEU: 1
; AccumOffset: 4
; Occupancy: 8
; WaveLimiterHint : 0
; COMPUTE_PGM_RSRC2:SCRATCH_EN: 0
; COMPUTE_PGM_RSRC2:USER_SGPR: 6
; COMPUTE_PGM_RSRC2:TRAP_HANDLER: 0
; COMPUTE_PGM_RSRC2:TGID_X_EN: 1
; COMPUTE_PGM_RSRC2:TGID_Y_EN: 0
; COMPUTE_PGM_RSRC2:TGID_Z_EN: 0
; COMPUTE_PGM_RSRC2:TIDIG_COMP_CNT: 0
; COMPUTE_PGM_RSRC3_GFX90A:ACCUM_OFFSET: 0
; COMPUTE_PGM_RSRC3_GFX90A:TG_SPLIT: 0
	.section	.text._ZN7rocprim17ROCPRIM_400000_NS6detail17trampoline_kernelINS0_14default_configENS1_22reduce_config_selectorIN6thrust23THRUST_200600_302600_NS5tupleIllNS6_9null_typeES8_S8_S8_S8_S8_S8_S8_EEEEZNS1_11reduce_implILb0ES3_NS6_12zip_iteratorINS7_INS6_10device_ptrIlEENS6_11hip_rocprim19counting_iterator_tIlEES8_S8_S8_S8_S8_S8_S8_S8_EEEEPS9_S9_NSF_9__extrema9arg_max_fIllNS6_4lessIlEEEEEE10hipError_tPvRmT1_T2_T3_mT4_P12ihipStream_tbEUlT_E1_NS1_11comp_targetILNS1_3genE10ELNS1_11target_archE1201ELNS1_3gpuE5ELNS1_3repE0EEENS1_30default_config_static_selectorELNS0_4arch9wavefront6targetE1EEEvST_,"axG",@progbits,_ZN7rocprim17ROCPRIM_400000_NS6detail17trampoline_kernelINS0_14default_configENS1_22reduce_config_selectorIN6thrust23THRUST_200600_302600_NS5tupleIllNS6_9null_typeES8_S8_S8_S8_S8_S8_S8_EEEEZNS1_11reduce_implILb0ES3_NS6_12zip_iteratorINS7_INS6_10device_ptrIlEENS6_11hip_rocprim19counting_iterator_tIlEES8_S8_S8_S8_S8_S8_S8_S8_EEEEPS9_S9_NSF_9__extrema9arg_max_fIllNS6_4lessIlEEEEEE10hipError_tPvRmT1_T2_T3_mT4_P12ihipStream_tbEUlT_E1_NS1_11comp_targetILNS1_3genE10ELNS1_11target_archE1201ELNS1_3gpuE5ELNS1_3repE0EEENS1_30default_config_static_selectorELNS0_4arch9wavefront6targetE1EEEvST_,comdat
	.protected	_ZN7rocprim17ROCPRIM_400000_NS6detail17trampoline_kernelINS0_14default_configENS1_22reduce_config_selectorIN6thrust23THRUST_200600_302600_NS5tupleIllNS6_9null_typeES8_S8_S8_S8_S8_S8_S8_EEEEZNS1_11reduce_implILb0ES3_NS6_12zip_iteratorINS7_INS6_10device_ptrIlEENS6_11hip_rocprim19counting_iterator_tIlEES8_S8_S8_S8_S8_S8_S8_S8_EEEEPS9_S9_NSF_9__extrema9arg_max_fIllNS6_4lessIlEEEEEE10hipError_tPvRmT1_T2_T3_mT4_P12ihipStream_tbEUlT_E1_NS1_11comp_targetILNS1_3genE10ELNS1_11target_archE1201ELNS1_3gpuE5ELNS1_3repE0EEENS1_30default_config_static_selectorELNS0_4arch9wavefront6targetE1EEEvST_ ; -- Begin function _ZN7rocprim17ROCPRIM_400000_NS6detail17trampoline_kernelINS0_14default_configENS1_22reduce_config_selectorIN6thrust23THRUST_200600_302600_NS5tupleIllNS6_9null_typeES8_S8_S8_S8_S8_S8_S8_EEEEZNS1_11reduce_implILb0ES3_NS6_12zip_iteratorINS7_INS6_10device_ptrIlEENS6_11hip_rocprim19counting_iterator_tIlEES8_S8_S8_S8_S8_S8_S8_S8_EEEEPS9_S9_NSF_9__extrema9arg_max_fIllNS6_4lessIlEEEEEE10hipError_tPvRmT1_T2_T3_mT4_P12ihipStream_tbEUlT_E1_NS1_11comp_targetILNS1_3genE10ELNS1_11target_archE1201ELNS1_3gpuE5ELNS1_3repE0EEENS1_30default_config_static_selectorELNS0_4arch9wavefront6targetE1EEEvST_
	.globl	_ZN7rocprim17ROCPRIM_400000_NS6detail17trampoline_kernelINS0_14default_configENS1_22reduce_config_selectorIN6thrust23THRUST_200600_302600_NS5tupleIllNS6_9null_typeES8_S8_S8_S8_S8_S8_S8_EEEEZNS1_11reduce_implILb0ES3_NS6_12zip_iteratorINS7_INS6_10device_ptrIlEENS6_11hip_rocprim19counting_iterator_tIlEES8_S8_S8_S8_S8_S8_S8_S8_EEEEPS9_S9_NSF_9__extrema9arg_max_fIllNS6_4lessIlEEEEEE10hipError_tPvRmT1_T2_T3_mT4_P12ihipStream_tbEUlT_E1_NS1_11comp_targetILNS1_3genE10ELNS1_11target_archE1201ELNS1_3gpuE5ELNS1_3repE0EEENS1_30default_config_static_selectorELNS0_4arch9wavefront6targetE1EEEvST_
	.p2align	8
	.type	_ZN7rocprim17ROCPRIM_400000_NS6detail17trampoline_kernelINS0_14default_configENS1_22reduce_config_selectorIN6thrust23THRUST_200600_302600_NS5tupleIllNS6_9null_typeES8_S8_S8_S8_S8_S8_S8_EEEEZNS1_11reduce_implILb0ES3_NS6_12zip_iteratorINS7_INS6_10device_ptrIlEENS6_11hip_rocprim19counting_iterator_tIlEES8_S8_S8_S8_S8_S8_S8_S8_EEEEPS9_S9_NSF_9__extrema9arg_max_fIllNS6_4lessIlEEEEEE10hipError_tPvRmT1_T2_T3_mT4_P12ihipStream_tbEUlT_E1_NS1_11comp_targetILNS1_3genE10ELNS1_11target_archE1201ELNS1_3gpuE5ELNS1_3repE0EEENS1_30default_config_static_selectorELNS0_4arch9wavefront6targetE1EEEvST_,@function
_ZN7rocprim17ROCPRIM_400000_NS6detail17trampoline_kernelINS0_14default_configENS1_22reduce_config_selectorIN6thrust23THRUST_200600_302600_NS5tupleIllNS6_9null_typeES8_S8_S8_S8_S8_S8_S8_EEEEZNS1_11reduce_implILb0ES3_NS6_12zip_iteratorINS7_INS6_10device_ptrIlEENS6_11hip_rocprim19counting_iterator_tIlEES8_S8_S8_S8_S8_S8_S8_S8_EEEEPS9_S9_NSF_9__extrema9arg_max_fIllNS6_4lessIlEEEEEE10hipError_tPvRmT1_T2_T3_mT4_P12ihipStream_tbEUlT_E1_NS1_11comp_targetILNS1_3genE10ELNS1_11target_archE1201ELNS1_3gpuE5ELNS1_3repE0EEENS1_30default_config_static_selectorELNS0_4arch9wavefront6targetE1EEEvST_: ; @_ZN7rocprim17ROCPRIM_400000_NS6detail17trampoline_kernelINS0_14default_configENS1_22reduce_config_selectorIN6thrust23THRUST_200600_302600_NS5tupleIllNS6_9null_typeES8_S8_S8_S8_S8_S8_S8_EEEEZNS1_11reduce_implILb0ES3_NS6_12zip_iteratorINS7_INS6_10device_ptrIlEENS6_11hip_rocprim19counting_iterator_tIlEES8_S8_S8_S8_S8_S8_S8_S8_EEEEPS9_S9_NSF_9__extrema9arg_max_fIllNS6_4lessIlEEEEEE10hipError_tPvRmT1_T2_T3_mT4_P12ihipStream_tbEUlT_E1_NS1_11comp_targetILNS1_3genE10ELNS1_11target_archE1201ELNS1_3gpuE5ELNS1_3repE0EEENS1_30default_config_static_selectorELNS0_4arch9wavefront6targetE1EEEvST_
; %bb.0:
	.section	.rodata,"a",@progbits
	.p2align	6, 0x0
	.amdhsa_kernel _ZN7rocprim17ROCPRIM_400000_NS6detail17trampoline_kernelINS0_14default_configENS1_22reduce_config_selectorIN6thrust23THRUST_200600_302600_NS5tupleIllNS6_9null_typeES8_S8_S8_S8_S8_S8_S8_EEEEZNS1_11reduce_implILb0ES3_NS6_12zip_iteratorINS7_INS6_10device_ptrIlEENS6_11hip_rocprim19counting_iterator_tIlEES8_S8_S8_S8_S8_S8_S8_S8_EEEEPS9_S9_NSF_9__extrema9arg_max_fIllNS6_4lessIlEEEEEE10hipError_tPvRmT1_T2_T3_mT4_P12ihipStream_tbEUlT_E1_NS1_11comp_targetILNS1_3genE10ELNS1_11target_archE1201ELNS1_3gpuE5ELNS1_3repE0EEENS1_30default_config_static_selectorELNS0_4arch9wavefront6targetE1EEEvST_
		.amdhsa_group_segment_fixed_size 0
		.amdhsa_private_segment_fixed_size 0
		.amdhsa_kernarg_size 64
		.amdhsa_user_sgpr_count 6
		.amdhsa_user_sgpr_private_segment_buffer 1
		.amdhsa_user_sgpr_dispatch_ptr 0
		.amdhsa_user_sgpr_queue_ptr 0
		.amdhsa_user_sgpr_kernarg_segment_ptr 1
		.amdhsa_user_sgpr_dispatch_id 0
		.amdhsa_user_sgpr_flat_scratch_init 0
		.amdhsa_user_sgpr_kernarg_preload_length 0
		.amdhsa_user_sgpr_kernarg_preload_offset 0
		.amdhsa_user_sgpr_private_segment_size 0
		.amdhsa_uses_dynamic_stack 0
		.amdhsa_system_sgpr_private_segment_wavefront_offset 0
		.amdhsa_system_sgpr_workgroup_id_x 1
		.amdhsa_system_sgpr_workgroup_id_y 0
		.amdhsa_system_sgpr_workgroup_id_z 0
		.amdhsa_system_sgpr_workgroup_info 0
		.amdhsa_system_vgpr_workitem_id 0
		.amdhsa_next_free_vgpr 1
		.amdhsa_next_free_sgpr 0
		.amdhsa_accum_offset 4
		.amdhsa_reserve_vcc 0
		.amdhsa_reserve_flat_scratch 0
		.amdhsa_float_round_mode_32 0
		.amdhsa_float_round_mode_16_64 0
		.amdhsa_float_denorm_mode_32 3
		.amdhsa_float_denorm_mode_16_64 3
		.amdhsa_dx10_clamp 1
		.amdhsa_ieee_mode 1
		.amdhsa_fp16_overflow 0
		.amdhsa_tg_split 0
		.amdhsa_exception_fp_ieee_invalid_op 0
		.amdhsa_exception_fp_denorm_src 0
		.amdhsa_exception_fp_ieee_div_zero 0
		.amdhsa_exception_fp_ieee_overflow 0
		.amdhsa_exception_fp_ieee_underflow 0
		.amdhsa_exception_fp_ieee_inexact 0
		.amdhsa_exception_int_div_zero 0
	.end_amdhsa_kernel
	.section	.text._ZN7rocprim17ROCPRIM_400000_NS6detail17trampoline_kernelINS0_14default_configENS1_22reduce_config_selectorIN6thrust23THRUST_200600_302600_NS5tupleIllNS6_9null_typeES8_S8_S8_S8_S8_S8_S8_EEEEZNS1_11reduce_implILb0ES3_NS6_12zip_iteratorINS7_INS6_10device_ptrIlEENS6_11hip_rocprim19counting_iterator_tIlEES8_S8_S8_S8_S8_S8_S8_S8_EEEEPS9_S9_NSF_9__extrema9arg_max_fIllNS6_4lessIlEEEEEE10hipError_tPvRmT1_T2_T3_mT4_P12ihipStream_tbEUlT_E1_NS1_11comp_targetILNS1_3genE10ELNS1_11target_archE1201ELNS1_3gpuE5ELNS1_3repE0EEENS1_30default_config_static_selectorELNS0_4arch9wavefront6targetE1EEEvST_,"axG",@progbits,_ZN7rocprim17ROCPRIM_400000_NS6detail17trampoline_kernelINS0_14default_configENS1_22reduce_config_selectorIN6thrust23THRUST_200600_302600_NS5tupleIllNS6_9null_typeES8_S8_S8_S8_S8_S8_S8_EEEEZNS1_11reduce_implILb0ES3_NS6_12zip_iteratorINS7_INS6_10device_ptrIlEENS6_11hip_rocprim19counting_iterator_tIlEES8_S8_S8_S8_S8_S8_S8_S8_EEEEPS9_S9_NSF_9__extrema9arg_max_fIllNS6_4lessIlEEEEEE10hipError_tPvRmT1_T2_T3_mT4_P12ihipStream_tbEUlT_E1_NS1_11comp_targetILNS1_3genE10ELNS1_11target_archE1201ELNS1_3gpuE5ELNS1_3repE0EEENS1_30default_config_static_selectorELNS0_4arch9wavefront6targetE1EEEvST_,comdat
.Lfunc_end435:
	.size	_ZN7rocprim17ROCPRIM_400000_NS6detail17trampoline_kernelINS0_14default_configENS1_22reduce_config_selectorIN6thrust23THRUST_200600_302600_NS5tupleIllNS6_9null_typeES8_S8_S8_S8_S8_S8_S8_EEEEZNS1_11reduce_implILb0ES3_NS6_12zip_iteratorINS7_INS6_10device_ptrIlEENS6_11hip_rocprim19counting_iterator_tIlEES8_S8_S8_S8_S8_S8_S8_S8_EEEEPS9_S9_NSF_9__extrema9arg_max_fIllNS6_4lessIlEEEEEE10hipError_tPvRmT1_T2_T3_mT4_P12ihipStream_tbEUlT_E1_NS1_11comp_targetILNS1_3genE10ELNS1_11target_archE1201ELNS1_3gpuE5ELNS1_3repE0EEENS1_30default_config_static_selectorELNS0_4arch9wavefront6targetE1EEEvST_, .Lfunc_end435-_ZN7rocprim17ROCPRIM_400000_NS6detail17trampoline_kernelINS0_14default_configENS1_22reduce_config_selectorIN6thrust23THRUST_200600_302600_NS5tupleIllNS6_9null_typeES8_S8_S8_S8_S8_S8_S8_EEEEZNS1_11reduce_implILb0ES3_NS6_12zip_iteratorINS7_INS6_10device_ptrIlEENS6_11hip_rocprim19counting_iterator_tIlEES8_S8_S8_S8_S8_S8_S8_S8_EEEEPS9_S9_NSF_9__extrema9arg_max_fIllNS6_4lessIlEEEEEE10hipError_tPvRmT1_T2_T3_mT4_P12ihipStream_tbEUlT_E1_NS1_11comp_targetILNS1_3genE10ELNS1_11target_archE1201ELNS1_3gpuE5ELNS1_3repE0EEENS1_30default_config_static_selectorELNS0_4arch9wavefront6targetE1EEEvST_
                                        ; -- End function
	.section	.AMDGPU.csdata,"",@progbits
; Kernel info:
; codeLenInByte = 0
; NumSgprs: 4
; NumVgprs: 0
; NumAgprs: 0
; TotalNumVgprs: 0
; ScratchSize: 0
; MemoryBound: 0
; FloatMode: 240
; IeeeMode: 1
; LDSByteSize: 0 bytes/workgroup (compile time only)
; SGPRBlocks: 0
; VGPRBlocks: 0
; NumSGPRsForWavesPerEU: 4
; NumVGPRsForWavesPerEU: 1
; AccumOffset: 4
; Occupancy: 8
; WaveLimiterHint : 0
; COMPUTE_PGM_RSRC2:SCRATCH_EN: 0
; COMPUTE_PGM_RSRC2:USER_SGPR: 6
; COMPUTE_PGM_RSRC2:TRAP_HANDLER: 0
; COMPUTE_PGM_RSRC2:TGID_X_EN: 1
; COMPUTE_PGM_RSRC2:TGID_Y_EN: 0
; COMPUTE_PGM_RSRC2:TGID_Z_EN: 0
; COMPUTE_PGM_RSRC2:TIDIG_COMP_CNT: 0
; COMPUTE_PGM_RSRC3_GFX90A:ACCUM_OFFSET: 0
; COMPUTE_PGM_RSRC3_GFX90A:TG_SPLIT: 0
	.section	.text._ZN7rocprim17ROCPRIM_400000_NS6detail17trampoline_kernelINS0_14default_configENS1_22reduce_config_selectorIN6thrust23THRUST_200600_302600_NS5tupleIllNS6_9null_typeES8_S8_S8_S8_S8_S8_S8_EEEEZNS1_11reduce_implILb0ES3_NS6_12zip_iteratorINS7_INS6_10device_ptrIlEENS6_11hip_rocprim19counting_iterator_tIlEES8_S8_S8_S8_S8_S8_S8_S8_EEEEPS9_S9_NSF_9__extrema9arg_max_fIllNS6_4lessIlEEEEEE10hipError_tPvRmT1_T2_T3_mT4_P12ihipStream_tbEUlT_E1_NS1_11comp_targetILNS1_3genE10ELNS1_11target_archE1200ELNS1_3gpuE4ELNS1_3repE0EEENS1_30default_config_static_selectorELNS0_4arch9wavefront6targetE1EEEvST_,"axG",@progbits,_ZN7rocprim17ROCPRIM_400000_NS6detail17trampoline_kernelINS0_14default_configENS1_22reduce_config_selectorIN6thrust23THRUST_200600_302600_NS5tupleIllNS6_9null_typeES8_S8_S8_S8_S8_S8_S8_EEEEZNS1_11reduce_implILb0ES3_NS6_12zip_iteratorINS7_INS6_10device_ptrIlEENS6_11hip_rocprim19counting_iterator_tIlEES8_S8_S8_S8_S8_S8_S8_S8_EEEEPS9_S9_NSF_9__extrema9arg_max_fIllNS6_4lessIlEEEEEE10hipError_tPvRmT1_T2_T3_mT4_P12ihipStream_tbEUlT_E1_NS1_11comp_targetILNS1_3genE10ELNS1_11target_archE1200ELNS1_3gpuE4ELNS1_3repE0EEENS1_30default_config_static_selectorELNS0_4arch9wavefront6targetE1EEEvST_,comdat
	.protected	_ZN7rocprim17ROCPRIM_400000_NS6detail17trampoline_kernelINS0_14default_configENS1_22reduce_config_selectorIN6thrust23THRUST_200600_302600_NS5tupleIllNS6_9null_typeES8_S8_S8_S8_S8_S8_S8_EEEEZNS1_11reduce_implILb0ES3_NS6_12zip_iteratorINS7_INS6_10device_ptrIlEENS6_11hip_rocprim19counting_iterator_tIlEES8_S8_S8_S8_S8_S8_S8_S8_EEEEPS9_S9_NSF_9__extrema9arg_max_fIllNS6_4lessIlEEEEEE10hipError_tPvRmT1_T2_T3_mT4_P12ihipStream_tbEUlT_E1_NS1_11comp_targetILNS1_3genE10ELNS1_11target_archE1200ELNS1_3gpuE4ELNS1_3repE0EEENS1_30default_config_static_selectorELNS0_4arch9wavefront6targetE1EEEvST_ ; -- Begin function _ZN7rocprim17ROCPRIM_400000_NS6detail17trampoline_kernelINS0_14default_configENS1_22reduce_config_selectorIN6thrust23THRUST_200600_302600_NS5tupleIllNS6_9null_typeES8_S8_S8_S8_S8_S8_S8_EEEEZNS1_11reduce_implILb0ES3_NS6_12zip_iteratorINS7_INS6_10device_ptrIlEENS6_11hip_rocprim19counting_iterator_tIlEES8_S8_S8_S8_S8_S8_S8_S8_EEEEPS9_S9_NSF_9__extrema9arg_max_fIllNS6_4lessIlEEEEEE10hipError_tPvRmT1_T2_T3_mT4_P12ihipStream_tbEUlT_E1_NS1_11comp_targetILNS1_3genE10ELNS1_11target_archE1200ELNS1_3gpuE4ELNS1_3repE0EEENS1_30default_config_static_selectorELNS0_4arch9wavefront6targetE1EEEvST_
	.globl	_ZN7rocprim17ROCPRIM_400000_NS6detail17trampoline_kernelINS0_14default_configENS1_22reduce_config_selectorIN6thrust23THRUST_200600_302600_NS5tupleIllNS6_9null_typeES8_S8_S8_S8_S8_S8_S8_EEEEZNS1_11reduce_implILb0ES3_NS6_12zip_iteratorINS7_INS6_10device_ptrIlEENS6_11hip_rocprim19counting_iterator_tIlEES8_S8_S8_S8_S8_S8_S8_S8_EEEEPS9_S9_NSF_9__extrema9arg_max_fIllNS6_4lessIlEEEEEE10hipError_tPvRmT1_T2_T3_mT4_P12ihipStream_tbEUlT_E1_NS1_11comp_targetILNS1_3genE10ELNS1_11target_archE1200ELNS1_3gpuE4ELNS1_3repE0EEENS1_30default_config_static_selectorELNS0_4arch9wavefront6targetE1EEEvST_
	.p2align	8
	.type	_ZN7rocprim17ROCPRIM_400000_NS6detail17trampoline_kernelINS0_14default_configENS1_22reduce_config_selectorIN6thrust23THRUST_200600_302600_NS5tupleIllNS6_9null_typeES8_S8_S8_S8_S8_S8_S8_EEEEZNS1_11reduce_implILb0ES3_NS6_12zip_iteratorINS7_INS6_10device_ptrIlEENS6_11hip_rocprim19counting_iterator_tIlEES8_S8_S8_S8_S8_S8_S8_S8_EEEEPS9_S9_NSF_9__extrema9arg_max_fIllNS6_4lessIlEEEEEE10hipError_tPvRmT1_T2_T3_mT4_P12ihipStream_tbEUlT_E1_NS1_11comp_targetILNS1_3genE10ELNS1_11target_archE1200ELNS1_3gpuE4ELNS1_3repE0EEENS1_30default_config_static_selectorELNS0_4arch9wavefront6targetE1EEEvST_,@function
_ZN7rocprim17ROCPRIM_400000_NS6detail17trampoline_kernelINS0_14default_configENS1_22reduce_config_selectorIN6thrust23THRUST_200600_302600_NS5tupleIllNS6_9null_typeES8_S8_S8_S8_S8_S8_S8_EEEEZNS1_11reduce_implILb0ES3_NS6_12zip_iteratorINS7_INS6_10device_ptrIlEENS6_11hip_rocprim19counting_iterator_tIlEES8_S8_S8_S8_S8_S8_S8_S8_EEEEPS9_S9_NSF_9__extrema9arg_max_fIllNS6_4lessIlEEEEEE10hipError_tPvRmT1_T2_T3_mT4_P12ihipStream_tbEUlT_E1_NS1_11comp_targetILNS1_3genE10ELNS1_11target_archE1200ELNS1_3gpuE4ELNS1_3repE0EEENS1_30default_config_static_selectorELNS0_4arch9wavefront6targetE1EEEvST_: ; @_ZN7rocprim17ROCPRIM_400000_NS6detail17trampoline_kernelINS0_14default_configENS1_22reduce_config_selectorIN6thrust23THRUST_200600_302600_NS5tupleIllNS6_9null_typeES8_S8_S8_S8_S8_S8_S8_EEEEZNS1_11reduce_implILb0ES3_NS6_12zip_iteratorINS7_INS6_10device_ptrIlEENS6_11hip_rocprim19counting_iterator_tIlEES8_S8_S8_S8_S8_S8_S8_S8_EEEEPS9_S9_NSF_9__extrema9arg_max_fIllNS6_4lessIlEEEEEE10hipError_tPvRmT1_T2_T3_mT4_P12ihipStream_tbEUlT_E1_NS1_11comp_targetILNS1_3genE10ELNS1_11target_archE1200ELNS1_3gpuE4ELNS1_3repE0EEENS1_30default_config_static_selectorELNS0_4arch9wavefront6targetE1EEEvST_
; %bb.0:
	.section	.rodata,"a",@progbits
	.p2align	6, 0x0
	.amdhsa_kernel _ZN7rocprim17ROCPRIM_400000_NS6detail17trampoline_kernelINS0_14default_configENS1_22reduce_config_selectorIN6thrust23THRUST_200600_302600_NS5tupleIllNS6_9null_typeES8_S8_S8_S8_S8_S8_S8_EEEEZNS1_11reduce_implILb0ES3_NS6_12zip_iteratorINS7_INS6_10device_ptrIlEENS6_11hip_rocprim19counting_iterator_tIlEES8_S8_S8_S8_S8_S8_S8_S8_EEEEPS9_S9_NSF_9__extrema9arg_max_fIllNS6_4lessIlEEEEEE10hipError_tPvRmT1_T2_T3_mT4_P12ihipStream_tbEUlT_E1_NS1_11comp_targetILNS1_3genE10ELNS1_11target_archE1200ELNS1_3gpuE4ELNS1_3repE0EEENS1_30default_config_static_selectorELNS0_4arch9wavefront6targetE1EEEvST_
		.amdhsa_group_segment_fixed_size 0
		.amdhsa_private_segment_fixed_size 0
		.amdhsa_kernarg_size 64
		.amdhsa_user_sgpr_count 6
		.amdhsa_user_sgpr_private_segment_buffer 1
		.amdhsa_user_sgpr_dispatch_ptr 0
		.amdhsa_user_sgpr_queue_ptr 0
		.amdhsa_user_sgpr_kernarg_segment_ptr 1
		.amdhsa_user_sgpr_dispatch_id 0
		.amdhsa_user_sgpr_flat_scratch_init 0
		.amdhsa_user_sgpr_kernarg_preload_length 0
		.amdhsa_user_sgpr_kernarg_preload_offset 0
		.amdhsa_user_sgpr_private_segment_size 0
		.amdhsa_uses_dynamic_stack 0
		.amdhsa_system_sgpr_private_segment_wavefront_offset 0
		.amdhsa_system_sgpr_workgroup_id_x 1
		.amdhsa_system_sgpr_workgroup_id_y 0
		.amdhsa_system_sgpr_workgroup_id_z 0
		.amdhsa_system_sgpr_workgroup_info 0
		.amdhsa_system_vgpr_workitem_id 0
		.amdhsa_next_free_vgpr 1
		.amdhsa_next_free_sgpr 0
		.amdhsa_accum_offset 4
		.amdhsa_reserve_vcc 0
		.amdhsa_reserve_flat_scratch 0
		.amdhsa_float_round_mode_32 0
		.amdhsa_float_round_mode_16_64 0
		.amdhsa_float_denorm_mode_32 3
		.amdhsa_float_denorm_mode_16_64 3
		.amdhsa_dx10_clamp 1
		.amdhsa_ieee_mode 1
		.amdhsa_fp16_overflow 0
		.amdhsa_tg_split 0
		.amdhsa_exception_fp_ieee_invalid_op 0
		.amdhsa_exception_fp_denorm_src 0
		.amdhsa_exception_fp_ieee_div_zero 0
		.amdhsa_exception_fp_ieee_overflow 0
		.amdhsa_exception_fp_ieee_underflow 0
		.amdhsa_exception_fp_ieee_inexact 0
		.amdhsa_exception_int_div_zero 0
	.end_amdhsa_kernel
	.section	.text._ZN7rocprim17ROCPRIM_400000_NS6detail17trampoline_kernelINS0_14default_configENS1_22reduce_config_selectorIN6thrust23THRUST_200600_302600_NS5tupleIllNS6_9null_typeES8_S8_S8_S8_S8_S8_S8_EEEEZNS1_11reduce_implILb0ES3_NS6_12zip_iteratorINS7_INS6_10device_ptrIlEENS6_11hip_rocprim19counting_iterator_tIlEES8_S8_S8_S8_S8_S8_S8_S8_EEEEPS9_S9_NSF_9__extrema9arg_max_fIllNS6_4lessIlEEEEEE10hipError_tPvRmT1_T2_T3_mT4_P12ihipStream_tbEUlT_E1_NS1_11comp_targetILNS1_3genE10ELNS1_11target_archE1200ELNS1_3gpuE4ELNS1_3repE0EEENS1_30default_config_static_selectorELNS0_4arch9wavefront6targetE1EEEvST_,"axG",@progbits,_ZN7rocprim17ROCPRIM_400000_NS6detail17trampoline_kernelINS0_14default_configENS1_22reduce_config_selectorIN6thrust23THRUST_200600_302600_NS5tupleIllNS6_9null_typeES8_S8_S8_S8_S8_S8_S8_EEEEZNS1_11reduce_implILb0ES3_NS6_12zip_iteratorINS7_INS6_10device_ptrIlEENS6_11hip_rocprim19counting_iterator_tIlEES8_S8_S8_S8_S8_S8_S8_S8_EEEEPS9_S9_NSF_9__extrema9arg_max_fIllNS6_4lessIlEEEEEE10hipError_tPvRmT1_T2_T3_mT4_P12ihipStream_tbEUlT_E1_NS1_11comp_targetILNS1_3genE10ELNS1_11target_archE1200ELNS1_3gpuE4ELNS1_3repE0EEENS1_30default_config_static_selectorELNS0_4arch9wavefront6targetE1EEEvST_,comdat
.Lfunc_end436:
	.size	_ZN7rocprim17ROCPRIM_400000_NS6detail17trampoline_kernelINS0_14default_configENS1_22reduce_config_selectorIN6thrust23THRUST_200600_302600_NS5tupleIllNS6_9null_typeES8_S8_S8_S8_S8_S8_S8_EEEEZNS1_11reduce_implILb0ES3_NS6_12zip_iteratorINS7_INS6_10device_ptrIlEENS6_11hip_rocprim19counting_iterator_tIlEES8_S8_S8_S8_S8_S8_S8_S8_EEEEPS9_S9_NSF_9__extrema9arg_max_fIllNS6_4lessIlEEEEEE10hipError_tPvRmT1_T2_T3_mT4_P12ihipStream_tbEUlT_E1_NS1_11comp_targetILNS1_3genE10ELNS1_11target_archE1200ELNS1_3gpuE4ELNS1_3repE0EEENS1_30default_config_static_selectorELNS0_4arch9wavefront6targetE1EEEvST_, .Lfunc_end436-_ZN7rocprim17ROCPRIM_400000_NS6detail17trampoline_kernelINS0_14default_configENS1_22reduce_config_selectorIN6thrust23THRUST_200600_302600_NS5tupleIllNS6_9null_typeES8_S8_S8_S8_S8_S8_S8_EEEEZNS1_11reduce_implILb0ES3_NS6_12zip_iteratorINS7_INS6_10device_ptrIlEENS6_11hip_rocprim19counting_iterator_tIlEES8_S8_S8_S8_S8_S8_S8_S8_EEEEPS9_S9_NSF_9__extrema9arg_max_fIllNS6_4lessIlEEEEEE10hipError_tPvRmT1_T2_T3_mT4_P12ihipStream_tbEUlT_E1_NS1_11comp_targetILNS1_3genE10ELNS1_11target_archE1200ELNS1_3gpuE4ELNS1_3repE0EEENS1_30default_config_static_selectorELNS0_4arch9wavefront6targetE1EEEvST_
                                        ; -- End function
	.section	.AMDGPU.csdata,"",@progbits
; Kernel info:
; codeLenInByte = 0
; NumSgprs: 4
; NumVgprs: 0
; NumAgprs: 0
; TotalNumVgprs: 0
; ScratchSize: 0
; MemoryBound: 0
; FloatMode: 240
; IeeeMode: 1
; LDSByteSize: 0 bytes/workgroup (compile time only)
; SGPRBlocks: 0
; VGPRBlocks: 0
; NumSGPRsForWavesPerEU: 4
; NumVGPRsForWavesPerEU: 1
; AccumOffset: 4
; Occupancy: 8
; WaveLimiterHint : 0
; COMPUTE_PGM_RSRC2:SCRATCH_EN: 0
; COMPUTE_PGM_RSRC2:USER_SGPR: 6
; COMPUTE_PGM_RSRC2:TRAP_HANDLER: 0
; COMPUTE_PGM_RSRC2:TGID_X_EN: 1
; COMPUTE_PGM_RSRC2:TGID_Y_EN: 0
; COMPUTE_PGM_RSRC2:TGID_Z_EN: 0
; COMPUTE_PGM_RSRC2:TIDIG_COMP_CNT: 0
; COMPUTE_PGM_RSRC3_GFX90A:ACCUM_OFFSET: 0
; COMPUTE_PGM_RSRC3_GFX90A:TG_SPLIT: 0
	.section	.text._ZN7rocprim17ROCPRIM_400000_NS6detail17trampoline_kernelINS0_14default_configENS1_22reduce_config_selectorIN6thrust23THRUST_200600_302600_NS5tupleIllNS6_9null_typeES8_S8_S8_S8_S8_S8_S8_EEEEZNS1_11reduce_implILb0ES3_NS6_12zip_iteratorINS7_INS6_10device_ptrIlEENS6_11hip_rocprim19counting_iterator_tIlEES8_S8_S8_S8_S8_S8_S8_S8_EEEEPS9_S9_NSF_9__extrema9arg_max_fIllNS6_4lessIlEEEEEE10hipError_tPvRmT1_T2_T3_mT4_P12ihipStream_tbEUlT_E1_NS1_11comp_targetILNS1_3genE9ELNS1_11target_archE1100ELNS1_3gpuE3ELNS1_3repE0EEENS1_30default_config_static_selectorELNS0_4arch9wavefront6targetE1EEEvST_,"axG",@progbits,_ZN7rocprim17ROCPRIM_400000_NS6detail17trampoline_kernelINS0_14default_configENS1_22reduce_config_selectorIN6thrust23THRUST_200600_302600_NS5tupleIllNS6_9null_typeES8_S8_S8_S8_S8_S8_S8_EEEEZNS1_11reduce_implILb0ES3_NS6_12zip_iteratorINS7_INS6_10device_ptrIlEENS6_11hip_rocprim19counting_iterator_tIlEES8_S8_S8_S8_S8_S8_S8_S8_EEEEPS9_S9_NSF_9__extrema9arg_max_fIllNS6_4lessIlEEEEEE10hipError_tPvRmT1_T2_T3_mT4_P12ihipStream_tbEUlT_E1_NS1_11comp_targetILNS1_3genE9ELNS1_11target_archE1100ELNS1_3gpuE3ELNS1_3repE0EEENS1_30default_config_static_selectorELNS0_4arch9wavefront6targetE1EEEvST_,comdat
	.protected	_ZN7rocprim17ROCPRIM_400000_NS6detail17trampoline_kernelINS0_14default_configENS1_22reduce_config_selectorIN6thrust23THRUST_200600_302600_NS5tupleIllNS6_9null_typeES8_S8_S8_S8_S8_S8_S8_EEEEZNS1_11reduce_implILb0ES3_NS6_12zip_iteratorINS7_INS6_10device_ptrIlEENS6_11hip_rocprim19counting_iterator_tIlEES8_S8_S8_S8_S8_S8_S8_S8_EEEEPS9_S9_NSF_9__extrema9arg_max_fIllNS6_4lessIlEEEEEE10hipError_tPvRmT1_T2_T3_mT4_P12ihipStream_tbEUlT_E1_NS1_11comp_targetILNS1_3genE9ELNS1_11target_archE1100ELNS1_3gpuE3ELNS1_3repE0EEENS1_30default_config_static_selectorELNS0_4arch9wavefront6targetE1EEEvST_ ; -- Begin function _ZN7rocprim17ROCPRIM_400000_NS6detail17trampoline_kernelINS0_14default_configENS1_22reduce_config_selectorIN6thrust23THRUST_200600_302600_NS5tupleIllNS6_9null_typeES8_S8_S8_S8_S8_S8_S8_EEEEZNS1_11reduce_implILb0ES3_NS6_12zip_iteratorINS7_INS6_10device_ptrIlEENS6_11hip_rocprim19counting_iterator_tIlEES8_S8_S8_S8_S8_S8_S8_S8_EEEEPS9_S9_NSF_9__extrema9arg_max_fIllNS6_4lessIlEEEEEE10hipError_tPvRmT1_T2_T3_mT4_P12ihipStream_tbEUlT_E1_NS1_11comp_targetILNS1_3genE9ELNS1_11target_archE1100ELNS1_3gpuE3ELNS1_3repE0EEENS1_30default_config_static_selectorELNS0_4arch9wavefront6targetE1EEEvST_
	.globl	_ZN7rocprim17ROCPRIM_400000_NS6detail17trampoline_kernelINS0_14default_configENS1_22reduce_config_selectorIN6thrust23THRUST_200600_302600_NS5tupleIllNS6_9null_typeES8_S8_S8_S8_S8_S8_S8_EEEEZNS1_11reduce_implILb0ES3_NS6_12zip_iteratorINS7_INS6_10device_ptrIlEENS6_11hip_rocprim19counting_iterator_tIlEES8_S8_S8_S8_S8_S8_S8_S8_EEEEPS9_S9_NSF_9__extrema9arg_max_fIllNS6_4lessIlEEEEEE10hipError_tPvRmT1_T2_T3_mT4_P12ihipStream_tbEUlT_E1_NS1_11comp_targetILNS1_3genE9ELNS1_11target_archE1100ELNS1_3gpuE3ELNS1_3repE0EEENS1_30default_config_static_selectorELNS0_4arch9wavefront6targetE1EEEvST_
	.p2align	8
	.type	_ZN7rocprim17ROCPRIM_400000_NS6detail17trampoline_kernelINS0_14default_configENS1_22reduce_config_selectorIN6thrust23THRUST_200600_302600_NS5tupleIllNS6_9null_typeES8_S8_S8_S8_S8_S8_S8_EEEEZNS1_11reduce_implILb0ES3_NS6_12zip_iteratorINS7_INS6_10device_ptrIlEENS6_11hip_rocprim19counting_iterator_tIlEES8_S8_S8_S8_S8_S8_S8_S8_EEEEPS9_S9_NSF_9__extrema9arg_max_fIllNS6_4lessIlEEEEEE10hipError_tPvRmT1_T2_T3_mT4_P12ihipStream_tbEUlT_E1_NS1_11comp_targetILNS1_3genE9ELNS1_11target_archE1100ELNS1_3gpuE3ELNS1_3repE0EEENS1_30default_config_static_selectorELNS0_4arch9wavefront6targetE1EEEvST_,@function
_ZN7rocprim17ROCPRIM_400000_NS6detail17trampoline_kernelINS0_14default_configENS1_22reduce_config_selectorIN6thrust23THRUST_200600_302600_NS5tupleIllNS6_9null_typeES8_S8_S8_S8_S8_S8_S8_EEEEZNS1_11reduce_implILb0ES3_NS6_12zip_iteratorINS7_INS6_10device_ptrIlEENS6_11hip_rocprim19counting_iterator_tIlEES8_S8_S8_S8_S8_S8_S8_S8_EEEEPS9_S9_NSF_9__extrema9arg_max_fIllNS6_4lessIlEEEEEE10hipError_tPvRmT1_T2_T3_mT4_P12ihipStream_tbEUlT_E1_NS1_11comp_targetILNS1_3genE9ELNS1_11target_archE1100ELNS1_3gpuE3ELNS1_3repE0EEENS1_30default_config_static_selectorELNS0_4arch9wavefront6targetE1EEEvST_: ; @_ZN7rocprim17ROCPRIM_400000_NS6detail17trampoline_kernelINS0_14default_configENS1_22reduce_config_selectorIN6thrust23THRUST_200600_302600_NS5tupleIllNS6_9null_typeES8_S8_S8_S8_S8_S8_S8_EEEEZNS1_11reduce_implILb0ES3_NS6_12zip_iteratorINS7_INS6_10device_ptrIlEENS6_11hip_rocprim19counting_iterator_tIlEES8_S8_S8_S8_S8_S8_S8_S8_EEEEPS9_S9_NSF_9__extrema9arg_max_fIllNS6_4lessIlEEEEEE10hipError_tPvRmT1_T2_T3_mT4_P12ihipStream_tbEUlT_E1_NS1_11comp_targetILNS1_3genE9ELNS1_11target_archE1100ELNS1_3gpuE3ELNS1_3repE0EEENS1_30default_config_static_selectorELNS0_4arch9wavefront6targetE1EEEvST_
; %bb.0:
	.section	.rodata,"a",@progbits
	.p2align	6, 0x0
	.amdhsa_kernel _ZN7rocprim17ROCPRIM_400000_NS6detail17trampoline_kernelINS0_14default_configENS1_22reduce_config_selectorIN6thrust23THRUST_200600_302600_NS5tupleIllNS6_9null_typeES8_S8_S8_S8_S8_S8_S8_EEEEZNS1_11reduce_implILb0ES3_NS6_12zip_iteratorINS7_INS6_10device_ptrIlEENS6_11hip_rocprim19counting_iterator_tIlEES8_S8_S8_S8_S8_S8_S8_S8_EEEEPS9_S9_NSF_9__extrema9arg_max_fIllNS6_4lessIlEEEEEE10hipError_tPvRmT1_T2_T3_mT4_P12ihipStream_tbEUlT_E1_NS1_11comp_targetILNS1_3genE9ELNS1_11target_archE1100ELNS1_3gpuE3ELNS1_3repE0EEENS1_30default_config_static_selectorELNS0_4arch9wavefront6targetE1EEEvST_
		.amdhsa_group_segment_fixed_size 0
		.amdhsa_private_segment_fixed_size 0
		.amdhsa_kernarg_size 64
		.amdhsa_user_sgpr_count 6
		.amdhsa_user_sgpr_private_segment_buffer 1
		.amdhsa_user_sgpr_dispatch_ptr 0
		.amdhsa_user_sgpr_queue_ptr 0
		.amdhsa_user_sgpr_kernarg_segment_ptr 1
		.amdhsa_user_sgpr_dispatch_id 0
		.amdhsa_user_sgpr_flat_scratch_init 0
		.amdhsa_user_sgpr_kernarg_preload_length 0
		.amdhsa_user_sgpr_kernarg_preload_offset 0
		.amdhsa_user_sgpr_private_segment_size 0
		.amdhsa_uses_dynamic_stack 0
		.amdhsa_system_sgpr_private_segment_wavefront_offset 0
		.amdhsa_system_sgpr_workgroup_id_x 1
		.amdhsa_system_sgpr_workgroup_id_y 0
		.amdhsa_system_sgpr_workgroup_id_z 0
		.amdhsa_system_sgpr_workgroup_info 0
		.amdhsa_system_vgpr_workitem_id 0
		.amdhsa_next_free_vgpr 1
		.amdhsa_next_free_sgpr 0
		.amdhsa_accum_offset 4
		.amdhsa_reserve_vcc 0
		.amdhsa_reserve_flat_scratch 0
		.amdhsa_float_round_mode_32 0
		.amdhsa_float_round_mode_16_64 0
		.amdhsa_float_denorm_mode_32 3
		.amdhsa_float_denorm_mode_16_64 3
		.amdhsa_dx10_clamp 1
		.amdhsa_ieee_mode 1
		.amdhsa_fp16_overflow 0
		.amdhsa_tg_split 0
		.amdhsa_exception_fp_ieee_invalid_op 0
		.amdhsa_exception_fp_denorm_src 0
		.amdhsa_exception_fp_ieee_div_zero 0
		.amdhsa_exception_fp_ieee_overflow 0
		.amdhsa_exception_fp_ieee_underflow 0
		.amdhsa_exception_fp_ieee_inexact 0
		.amdhsa_exception_int_div_zero 0
	.end_amdhsa_kernel
	.section	.text._ZN7rocprim17ROCPRIM_400000_NS6detail17trampoline_kernelINS0_14default_configENS1_22reduce_config_selectorIN6thrust23THRUST_200600_302600_NS5tupleIllNS6_9null_typeES8_S8_S8_S8_S8_S8_S8_EEEEZNS1_11reduce_implILb0ES3_NS6_12zip_iteratorINS7_INS6_10device_ptrIlEENS6_11hip_rocprim19counting_iterator_tIlEES8_S8_S8_S8_S8_S8_S8_S8_EEEEPS9_S9_NSF_9__extrema9arg_max_fIllNS6_4lessIlEEEEEE10hipError_tPvRmT1_T2_T3_mT4_P12ihipStream_tbEUlT_E1_NS1_11comp_targetILNS1_3genE9ELNS1_11target_archE1100ELNS1_3gpuE3ELNS1_3repE0EEENS1_30default_config_static_selectorELNS0_4arch9wavefront6targetE1EEEvST_,"axG",@progbits,_ZN7rocprim17ROCPRIM_400000_NS6detail17trampoline_kernelINS0_14default_configENS1_22reduce_config_selectorIN6thrust23THRUST_200600_302600_NS5tupleIllNS6_9null_typeES8_S8_S8_S8_S8_S8_S8_EEEEZNS1_11reduce_implILb0ES3_NS6_12zip_iteratorINS7_INS6_10device_ptrIlEENS6_11hip_rocprim19counting_iterator_tIlEES8_S8_S8_S8_S8_S8_S8_S8_EEEEPS9_S9_NSF_9__extrema9arg_max_fIllNS6_4lessIlEEEEEE10hipError_tPvRmT1_T2_T3_mT4_P12ihipStream_tbEUlT_E1_NS1_11comp_targetILNS1_3genE9ELNS1_11target_archE1100ELNS1_3gpuE3ELNS1_3repE0EEENS1_30default_config_static_selectorELNS0_4arch9wavefront6targetE1EEEvST_,comdat
.Lfunc_end437:
	.size	_ZN7rocprim17ROCPRIM_400000_NS6detail17trampoline_kernelINS0_14default_configENS1_22reduce_config_selectorIN6thrust23THRUST_200600_302600_NS5tupleIllNS6_9null_typeES8_S8_S8_S8_S8_S8_S8_EEEEZNS1_11reduce_implILb0ES3_NS6_12zip_iteratorINS7_INS6_10device_ptrIlEENS6_11hip_rocprim19counting_iterator_tIlEES8_S8_S8_S8_S8_S8_S8_S8_EEEEPS9_S9_NSF_9__extrema9arg_max_fIllNS6_4lessIlEEEEEE10hipError_tPvRmT1_T2_T3_mT4_P12ihipStream_tbEUlT_E1_NS1_11comp_targetILNS1_3genE9ELNS1_11target_archE1100ELNS1_3gpuE3ELNS1_3repE0EEENS1_30default_config_static_selectorELNS0_4arch9wavefront6targetE1EEEvST_, .Lfunc_end437-_ZN7rocprim17ROCPRIM_400000_NS6detail17trampoline_kernelINS0_14default_configENS1_22reduce_config_selectorIN6thrust23THRUST_200600_302600_NS5tupleIllNS6_9null_typeES8_S8_S8_S8_S8_S8_S8_EEEEZNS1_11reduce_implILb0ES3_NS6_12zip_iteratorINS7_INS6_10device_ptrIlEENS6_11hip_rocprim19counting_iterator_tIlEES8_S8_S8_S8_S8_S8_S8_S8_EEEEPS9_S9_NSF_9__extrema9arg_max_fIllNS6_4lessIlEEEEEE10hipError_tPvRmT1_T2_T3_mT4_P12ihipStream_tbEUlT_E1_NS1_11comp_targetILNS1_3genE9ELNS1_11target_archE1100ELNS1_3gpuE3ELNS1_3repE0EEENS1_30default_config_static_selectorELNS0_4arch9wavefront6targetE1EEEvST_
                                        ; -- End function
	.section	.AMDGPU.csdata,"",@progbits
; Kernel info:
; codeLenInByte = 0
; NumSgprs: 4
; NumVgprs: 0
; NumAgprs: 0
; TotalNumVgprs: 0
; ScratchSize: 0
; MemoryBound: 0
; FloatMode: 240
; IeeeMode: 1
; LDSByteSize: 0 bytes/workgroup (compile time only)
; SGPRBlocks: 0
; VGPRBlocks: 0
; NumSGPRsForWavesPerEU: 4
; NumVGPRsForWavesPerEU: 1
; AccumOffset: 4
; Occupancy: 8
; WaveLimiterHint : 0
; COMPUTE_PGM_RSRC2:SCRATCH_EN: 0
; COMPUTE_PGM_RSRC2:USER_SGPR: 6
; COMPUTE_PGM_RSRC2:TRAP_HANDLER: 0
; COMPUTE_PGM_RSRC2:TGID_X_EN: 1
; COMPUTE_PGM_RSRC2:TGID_Y_EN: 0
; COMPUTE_PGM_RSRC2:TGID_Z_EN: 0
; COMPUTE_PGM_RSRC2:TIDIG_COMP_CNT: 0
; COMPUTE_PGM_RSRC3_GFX90A:ACCUM_OFFSET: 0
; COMPUTE_PGM_RSRC3_GFX90A:TG_SPLIT: 0
	.section	.text._ZN7rocprim17ROCPRIM_400000_NS6detail17trampoline_kernelINS0_14default_configENS1_22reduce_config_selectorIN6thrust23THRUST_200600_302600_NS5tupleIllNS6_9null_typeES8_S8_S8_S8_S8_S8_S8_EEEEZNS1_11reduce_implILb0ES3_NS6_12zip_iteratorINS7_INS6_10device_ptrIlEENS6_11hip_rocprim19counting_iterator_tIlEES8_S8_S8_S8_S8_S8_S8_S8_EEEEPS9_S9_NSF_9__extrema9arg_max_fIllNS6_4lessIlEEEEEE10hipError_tPvRmT1_T2_T3_mT4_P12ihipStream_tbEUlT_E1_NS1_11comp_targetILNS1_3genE8ELNS1_11target_archE1030ELNS1_3gpuE2ELNS1_3repE0EEENS1_30default_config_static_selectorELNS0_4arch9wavefront6targetE1EEEvST_,"axG",@progbits,_ZN7rocprim17ROCPRIM_400000_NS6detail17trampoline_kernelINS0_14default_configENS1_22reduce_config_selectorIN6thrust23THRUST_200600_302600_NS5tupleIllNS6_9null_typeES8_S8_S8_S8_S8_S8_S8_EEEEZNS1_11reduce_implILb0ES3_NS6_12zip_iteratorINS7_INS6_10device_ptrIlEENS6_11hip_rocprim19counting_iterator_tIlEES8_S8_S8_S8_S8_S8_S8_S8_EEEEPS9_S9_NSF_9__extrema9arg_max_fIllNS6_4lessIlEEEEEE10hipError_tPvRmT1_T2_T3_mT4_P12ihipStream_tbEUlT_E1_NS1_11comp_targetILNS1_3genE8ELNS1_11target_archE1030ELNS1_3gpuE2ELNS1_3repE0EEENS1_30default_config_static_selectorELNS0_4arch9wavefront6targetE1EEEvST_,comdat
	.protected	_ZN7rocprim17ROCPRIM_400000_NS6detail17trampoline_kernelINS0_14default_configENS1_22reduce_config_selectorIN6thrust23THRUST_200600_302600_NS5tupleIllNS6_9null_typeES8_S8_S8_S8_S8_S8_S8_EEEEZNS1_11reduce_implILb0ES3_NS6_12zip_iteratorINS7_INS6_10device_ptrIlEENS6_11hip_rocprim19counting_iterator_tIlEES8_S8_S8_S8_S8_S8_S8_S8_EEEEPS9_S9_NSF_9__extrema9arg_max_fIllNS6_4lessIlEEEEEE10hipError_tPvRmT1_T2_T3_mT4_P12ihipStream_tbEUlT_E1_NS1_11comp_targetILNS1_3genE8ELNS1_11target_archE1030ELNS1_3gpuE2ELNS1_3repE0EEENS1_30default_config_static_selectorELNS0_4arch9wavefront6targetE1EEEvST_ ; -- Begin function _ZN7rocprim17ROCPRIM_400000_NS6detail17trampoline_kernelINS0_14default_configENS1_22reduce_config_selectorIN6thrust23THRUST_200600_302600_NS5tupleIllNS6_9null_typeES8_S8_S8_S8_S8_S8_S8_EEEEZNS1_11reduce_implILb0ES3_NS6_12zip_iteratorINS7_INS6_10device_ptrIlEENS6_11hip_rocprim19counting_iterator_tIlEES8_S8_S8_S8_S8_S8_S8_S8_EEEEPS9_S9_NSF_9__extrema9arg_max_fIllNS6_4lessIlEEEEEE10hipError_tPvRmT1_T2_T3_mT4_P12ihipStream_tbEUlT_E1_NS1_11comp_targetILNS1_3genE8ELNS1_11target_archE1030ELNS1_3gpuE2ELNS1_3repE0EEENS1_30default_config_static_selectorELNS0_4arch9wavefront6targetE1EEEvST_
	.globl	_ZN7rocprim17ROCPRIM_400000_NS6detail17trampoline_kernelINS0_14default_configENS1_22reduce_config_selectorIN6thrust23THRUST_200600_302600_NS5tupleIllNS6_9null_typeES8_S8_S8_S8_S8_S8_S8_EEEEZNS1_11reduce_implILb0ES3_NS6_12zip_iteratorINS7_INS6_10device_ptrIlEENS6_11hip_rocprim19counting_iterator_tIlEES8_S8_S8_S8_S8_S8_S8_S8_EEEEPS9_S9_NSF_9__extrema9arg_max_fIllNS6_4lessIlEEEEEE10hipError_tPvRmT1_T2_T3_mT4_P12ihipStream_tbEUlT_E1_NS1_11comp_targetILNS1_3genE8ELNS1_11target_archE1030ELNS1_3gpuE2ELNS1_3repE0EEENS1_30default_config_static_selectorELNS0_4arch9wavefront6targetE1EEEvST_
	.p2align	8
	.type	_ZN7rocprim17ROCPRIM_400000_NS6detail17trampoline_kernelINS0_14default_configENS1_22reduce_config_selectorIN6thrust23THRUST_200600_302600_NS5tupleIllNS6_9null_typeES8_S8_S8_S8_S8_S8_S8_EEEEZNS1_11reduce_implILb0ES3_NS6_12zip_iteratorINS7_INS6_10device_ptrIlEENS6_11hip_rocprim19counting_iterator_tIlEES8_S8_S8_S8_S8_S8_S8_S8_EEEEPS9_S9_NSF_9__extrema9arg_max_fIllNS6_4lessIlEEEEEE10hipError_tPvRmT1_T2_T3_mT4_P12ihipStream_tbEUlT_E1_NS1_11comp_targetILNS1_3genE8ELNS1_11target_archE1030ELNS1_3gpuE2ELNS1_3repE0EEENS1_30default_config_static_selectorELNS0_4arch9wavefront6targetE1EEEvST_,@function
_ZN7rocprim17ROCPRIM_400000_NS6detail17trampoline_kernelINS0_14default_configENS1_22reduce_config_selectorIN6thrust23THRUST_200600_302600_NS5tupleIllNS6_9null_typeES8_S8_S8_S8_S8_S8_S8_EEEEZNS1_11reduce_implILb0ES3_NS6_12zip_iteratorINS7_INS6_10device_ptrIlEENS6_11hip_rocprim19counting_iterator_tIlEES8_S8_S8_S8_S8_S8_S8_S8_EEEEPS9_S9_NSF_9__extrema9arg_max_fIllNS6_4lessIlEEEEEE10hipError_tPvRmT1_T2_T3_mT4_P12ihipStream_tbEUlT_E1_NS1_11comp_targetILNS1_3genE8ELNS1_11target_archE1030ELNS1_3gpuE2ELNS1_3repE0EEENS1_30default_config_static_selectorELNS0_4arch9wavefront6targetE1EEEvST_: ; @_ZN7rocprim17ROCPRIM_400000_NS6detail17trampoline_kernelINS0_14default_configENS1_22reduce_config_selectorIN6thrust23THRUST_200600_302600_NS5tupleIllNS6_9null_typeES8_S8_S8_S8_S8_S8_S8_EEEEZNS1_11reduce_implILb0ES3_NS6_12zip_iteratorINS7_INS6_10device_ptrIlEENS6_11hip_rocprim19counting_iterator_tIlEES8_S8_S8_S8_S8_S8_S8_S8_EEEEPS9_S9_NSF_9__extrema9arg_max_fIllNS6_4lessIlEEEEEE10hipError_tPvRmT1_T2_T3_mT4_P12ihipStream_tbEUlT_E1_NS1_11comp_targetILNS1_3genE8ELNS1_11target_archE1030ELNS1_3gpuE2ELNS1_3repE0EEENS1_30default_config_static_selectorELNS0_4arch9wavefront6targetE1EEEvST_
; %bb.0:
	.section	.rodata,"a",@progbits
	.p2align	6, 0x0
	.amdhsa_kernel _ZN7rocprim17ROCPRIM_400000_NS6detail17trampoline_kernelINS0_14default_configENS1_22reduce_config_selectorIN6thrust23THRUST_200600_302600_NS5tupleIllNS6_9null_typeES8_S8_S8_S8_S8_S8_S8_EEEEZNS1_11reduce_implILb0ES3_NS6_12zip_iteratorINS7_INS6_10device_ptrIlEENS6_11hip_rocprim19counting_iterator_tIlEES8_S8_S8_S8_S8_S8_S8_S8_EEEEPS9_S9_NSF_9__extrema9arg_max_fIllNS6_4lessIlEEEEEE10hipError_tPvRmT1_T2_T3_mT4_P12ihipStream_tbEUlT_E1_NS1_11comp_targetILNS1_3genE8ELNS1_11target_archE1030ELNS1_3gpuE2ELNS1_3repE0EEENS1_30default_config_static_selectorELNS0_4arch9wavefront6targetE1EEEvST_
		.amdhsa_group_segment_fixed_size 0
		.amdhsa_private_segment_fixed_size 0
		.amdhsa_kernarg_size 64
		.amdhsa_user_sgpr_count 6
		.amdhsa_user_sgpr_private_segment_buffer 1
		.amdhsa_user_sgpr_dispatch_ptr 0
		.amdhsa_user_sgpr_queue_ptr 0
		.amdhsa_user_sgpr_kernarg_segment_ptr 1
		.amdhsa_user_sgpr_dispatch_id 0
		.amdhsa_user_sgpr_flat_scratch_init 0
		.amdhsa_user_sgpr_kernarg_preload_length 0
		.amdhsa_user_sgpr_kernarg_preload_offset 0
		.amdhsa_user_sgpr_private_segment_size 0
		.amdhsa_uses_dynamic_stack 0
		.amdhsa_system_sgpr_private_segment_wavefront_offset 0
		.amdhsa_system_sgpr_workgroup_id_x 1
		.amdhsa_system_sgpr_workgroup_id_y 0
		.amdhsa_system_sgpr_workgroup_id_z 0
		.amdhsa_system_sgpr_workgroup_info 0
		.amdhsa_system_vgpr_workitem_id 0
		.amdhsa_next_free_vgpr 1
		.amdhsa_next_free_sgpr 0
		.amdhsa_accum_offset 4
		.amdhsa_reserve_vcc 0
		.amdhsa_reserve_flat_scratch 0
		.amdhsa_float_round_mode_32 0
		.amdhsa_float_round_mode_16_64 0
		.amdhsa_float_denorm_mode_32 3
		.amdhsa_float_denorm_mode_16_64 3
		.amdhsa_dx10_clamp 1
		.amdhsa_ieee_mode 1
		.amdhsa_fp16_overflow 0
		.amdhsa_tg_split 0
		.amdhsa_exception_fp_ieee_invalid_op 0
		.amdhsa_exception_fp_denorm_src 0
		.amdhsa_exception_fp_ieee_div_zero 0
		.amdhsa_exception_fp_ieee_overflow 0
		.amdhsa_exception_fp_ieee_underflow 0
		.amdhsa_exception_fp_ieee_inexact 0
		.amdhsa_exception_int_div_zero 0
	.end_amdhsa_kernel
	.section	.text._ZN7rocprim17ROCPRIM_400000_NS6detail17trampoline_kernelINS0_14default_configENS1_22reduce_config_selectorIN6thrust23THRUST_200600_302600_NS5tupleIllNS6_9null_typeES8_S8_S8_S8_S8_S8_S8_EEEEZNS1_11reduce_implILb0ES3_NS6_12zip_iteratorINS7_INS6_10device_ptrIlEENS6_11hip_rocprim19counting_iterator_tIlEES8_S8_S8_S8_S8_S8_S8_S8_EEEEPS9_S9_NSF_9__extrema9arg_max_fIllNS6_4lessIlEEEEEE10hipError_tPvRmT1_T2_T3_mT4_P12ihipStream_tbEUlT_E1_NS1_11comp_targetILNS1_3genE8ELNS1_11target_archE1030ELNS1_3gpuE2ELNS1_3repE0EEENS1_30default_config_static_selectorELNS0_4arch9wavefront6targetE1EEEvST_,"axG",@progbits,_ZN7rocprim17ROCPRIM_400000_NS6detail17trampoline_kernelINS0_14default_configENS1_22reduce_config_selectorIN6thrust23THRUST_200600_302600_NS5tupleIllNS6_9null_typeES8_S8_S8_S8_S8_S8_S8_EEEEZNS1_11reduce_implILb0ES3_NS6_12zip_iteratorINS7_INS6_10device_ptrIlEENS6_11hip_rocprim19counting_iterator_tIlEES8_S8_S8_S8_S8_S8_S8_S8_EEEEPS9_S9_NSF_9__extrema9arg_max_fIllNS6_4lessIlEEEEEE10hipError_tPvRmT1_T2_T3_mT4_P12ihipStream_tbEUlT_E1_NS1_11comp_targetILNS1_3genE8ELNS1_11target_archE1030ELNS1_3gpuE2ELNS1_3repE0EEENS1_30default_config_static_selectorELNS0_4arch9wavefront6targetE1EEEvST_,comdat
.Lfunc_end438:
	.size	_ZN7rocprim17ROCPRIM_400000_NS6detail17trampoline_kernelINS0_14default_configENS1_22reduce_config_selectorIN6thrust23THRUST_200600_302600_NS5tupleIllNS6_9null_typeES8_S8_S8_S8_S8_S8_S8_EEEEZNS1_11reduce_implILb0ES3_NS6_12zip_iteratorINS7_INS6_10device_ptrIlEENS6_11hip_rocprim19counting_iterator_tIlEES8_S8_S8_S8_S8_S8_S8_S8_EEEEPS9_S9_NSF_9__extrema9arg_max_fIllNS6_4lessIlEEEEEE10hipError_tPvRmT1_T2_T3_mT4_P12ihipStream_tbEUlT_E1_NS1_11comp_targetILNS1_3genE8ELNS1_11target_archE1030ELNS1_3gpuE2ELNS1_3repE0EEENS1_30default_config_static_selectorELNS0_4arch9wavefront6targetE1EEEvST_, .Lfunc_end438-_ZN7rocprim17ROCPRIM_400000_NS6detail17trampoline_kernelINS0_14default_configENS1_22reduce_config_selectorIN6thrust23THRUST_200600_302600_NS5tupleIllNS6_9null_typeES8_S8_S8_S8_S8_S8_S8_EEEEZNS1_11reduce_implILb0ES3_NS6_12zip_iteratorINS7_INS6_10device_ptrIlEENS6_11hip_rocprim19counting_iterator_tIlEES8_S8_S8_S8_S8_S8_S8_S8_EEEEPS9_S9_NSF_9__extrema9arg_max_fIllNS6_4lessIlEEEEEE10hipError_tPvRmT1_T2_T3_mT4_P12ihipStream_tbEUlT_E1_NS1_11comp_targetILNS1_3genE8ELNS1_11target_archE1030ELNS1_3gpuE2ELNS1_3repE0EEENS1_30default_config_static_selectorELNS0_4arch9wavefront6targetE1EEEvST_
                                        ; -- End function
	.section	.AMDGPU.csdata,"",@progbits
; Kernel info:
; codeLenInByte = 0
; NumSgprs: 4
; NumVgprs: 0
; NumAgprs: 0
; TotalNumVgprs: 0
; ScratchSize: 0
; MemoryBound: 0
; FloatMode: 240
; IeeeMode: 1
; LDSByteSize: 0 bytes/workgroup (compile time only)
; SGPRBlocks: 0
; VGPRBlocks: 0
; NumSGPRsForWavesPerEU: 4
; NumVGPRsForWavesPerEU: 1
; AccumOffset: 4
; Occupancy: 8
; WaveLimiterHint : 0
; COMPUTE_PGM_RSRC2:SCRATCH_EN: 0
; COMPUTE_PGM_RSRC2:USER_SGPR: 6
; COMPUTE_PGM_RSRC2:TRAP_HANDLER: 0
; COMPUTE_PGM_RSRC2:TGID_X_EN: 1
; COMPUTE_PGM_RSRC2:TGID_Y_EN: 0
; COMPUTE_PGM_RSRC2:TGID_Z_EN: 0
; COMPUTE_PGM_RSRC2:TIDIG_COMP_CNT: 0
; COMPUTE_PGM_RSRC3_GFX90A:ACCUM_OFFSET: 0
; COMPUTE_PGM_RSRC3_GFX90A:TG_SPLIT: 0
	.section	.text._ZN6thrust23THRUST_200600_302600_NS11hip_rocprim14__parallel_for6kernelILj256ENS1_10for_each_fINS0_7pointerINS0_5tupleIllNS0_9null_typeES7_S7_S7_S7_S7_S7_S7_EENS0_6detail22execute_with_allocatorIRN2at4cuda15ThrustAllocatorENS1_22execute_on_stream_baseEEENS0_11use_defaultESH_EENS9_16wrapped_functionINS9_23allocator_traits_detail24construct1_via_allocatorINS9_18no_throw_allocatorINS9_19temporary_allocatorIS8_SG_EEEEEEvEEEEmLj1EEEvT0_T1_SU_,"axG",@progbits,_ZN6thrust23THRUST_200600_302600_NS11hip_rocprim14__parallel_for6kernelILj256ENS1_10for_each_fINS0_7pointerINS0_5tupleIllNS0_9null_typeES7_S7_S7_S7_S7_S7_S7_EENS0_6detail22execute_with_allocatorIRN2at4cuda15ThrustAllocatorENS1_22execute_on_stream_baseEEENS0_11use_defaultESH_EENS9_16wrapped_functionINS9_23allocator_traits_detail24construct1_via_allocatorINS9_18no_throw_allocatorINS9_19temporary_allocatorIS8_SG_EEEEEEvEEEEmLj1EEEvT0_T1_SU_,comdat
	.protected	_ZN6thrust23THRUST_200600_302600_NS11hip_rocprim14__parallel_for6kernelILj256ENS1_10for_each_fINS0_7pointerINS0_5tupleIllNS0_9null_typeES7_S7_S7_S7_S7_S7_S7_EENS0_6detail22execute_with_allocatorIRN2at4cuda15ThrustAllocatorENS1_22execute_on_stream_baseEEENS0_11use_defaultESH_EENS9_16wrapped_functionINS9_23allocator_traits_detail24construct1_via_allocatorINS9_18no_throw_allocatorINS9_19temporary_allocatorIS8_SG_EEEEEEvEEEEmLj1EEEvT0_T1_SU_ ; -- Begin function _ZN6thrust23THRUST_200600_302600_NS11hip_rocprim14__parallel_for6kernelILj256ENS1_10for_each_fINS0_7pointerINS0_5tupleIllNS0_9null_typeES7_S7_S7_S7_S7_S7_S7_EENS0_6detail22execute_with_allocatorIRN2at4cuda15ThrustAllocatorENS1_22execute_on_stream_baseEEENS0_11use_defaultESH_EENS9_16wrapped_functionINS9_23allocator_traits_detail24construct1_via_allocatorINS9_18no_throw_allocatorINS9_19temporary_allocatorIS8_SG_EEEEEEvEEEEmLj1EEEvT0_T1_SU_
	.globl	_ZN6thrust23THRUST_200600_302600_NS11hip_rocprim14__parallel_for6kernelILj256ENS1_10for_each_fINS0_7pointerINS0_5tupleIllNS0_9null_typeES7_S7_S7_S7_S7_S7_S7_EENS0_6detail22execute_with_allocatorIRN2at4cuda15ThrustAllocatorENS1_22execute_on_stream_baseEEENS0_11use_defaultESH_EENS9_16wrapped_functionINS9_23allocator_traits_detail24construct1_via_allocatorINS9_18no_throw_allocatorINS9_19temporary_allocatorIS8_SG_EEEEEEvEEEEmLj1EEEvT0_T1_SU_
	.p2align	8
	.type	_ZN6thrust23THRUST_200600_302600_NS11hip_rocprim14__parallel_for6kernelILj256ENS1_10for_each_fINS0_7pointerINS0_5tupleIllNS0_9null_typeES7_S7_S7_S7_S7_S7_S7_EENS0_6detail22execute_with_allocatorIRN2at4cuda15ThrustAllocatorENS1_22execute_on_stream_baseEEENS0_11use_defaultESH_EENS9_16wrapped_functionINS9_23allocator_traits_detail24construct1_via_allocatorINS9_18no_throw_allocatorINS9_19temporary_allocatorIS8_SG_EEEEEEvEEEEmLj1EEEvT0_T1_SU_,@function
_ZN6thrust23THRUST_200600_302600_NS11hip_rocprim14__parallel_for6kernelILj256ENS1_10for_each_fINS0_7pointerINS0_5tupleIllNS0_9null_typeES7_S7_S7_S7_S7_S7_S7_EENS0_6detail22execute_with_allocatorIRN2at4cuda15ThrustAllocatorENS1_22execute_on_stream_baseEEENS0_11use_defaultESH_EENS9_16wrapped_functionINS9_23allocator_traits_detail24construct1_via_allocatorINS9_18no_throw_allocatorINS9_19temporary_allocatorIS8_SG_EEEEEEvEEEEmLj1EEEvT0_T1_SU_: ; @_ZN6thrust23THRUST_200600_302600_NS11hip_rocprim14__parallel_for6kernelILj256ENS1_10for_each_fINS0_7pointerINS0_5tupleIllNS0_9null_typeES7_S7_S7_S7_S7_S7_S7_EENS0_6detail22execute_with_allocatorIRN2at4cuda15ThrustAllocatorENS1_22execute_on_stream_baseEEENS0_11use_defaultESH_EENS9_16wrapped_functionINS9_23allocator_traits_detail24construct1_via_allocatorINS9_18no_throw_allocatorINS9_19temporary_allocatorIS8_SG_EEEEEEvEEEEmLj1EEEvT0_T1_SU_
; %bb.0:
	s_load_dwordx4 s[8:11], s[4:5], 0x10
	s_load_dwordx2 s[0:1], s[4:5], 0x0
	s_lshl_b32 s2, s6, 8
	v_mov_b32_e32 v2, 0x100
	v_mov_b32_e32 v3, 0
	s_waitcnt lgkmcnt(0)
	s_add_u32 s4, s2, s10
	s_addc_u32 s5, 0, s11
	s_sub_u32 s2, s8, s4
	s_subb_u32 s3, s9, s5
	v_cmp_lt_u64_e32 vcc, s[2:3], v[2:3]
	s_cbranch_vccz .LBB439_4
; %bb.1:
	v_cmp_gt_u32_e32 vcc, s2, v0
	s_mov_b64 s[6:7], 0
	s_mov_b64 s[2:3], 0
                                        ; implicit-def: $vgpr2_vgpr3
	s_and_saveexec_b64 s[8:9], vcc
	s_xor_b64 s[8:9], exec, s[8:9]
; %bb.2:
	s_lshl_b64 s[10:11], s[4:5], 4
	s_add_u32 s10, s0, s10
	s_addc_u32 s11, s1, s11
	v_lshlrev_b32_e32 v1, 4, v0
	v_mov_b32_e32 v3, s11
	v_add_co_u32_e32 v2, vcc, s10, v1
	s_mov_b64 s[2:3], exec
	v_addc_co_u32_e32 v3, vcc, 0, v3, vcc
; %bb.3:
	s_or_b64 exec, exec, s[8:9]
	s_and_b64 vcc, exec, s[6:7]
	s_cbranch_vccnz .LBB439_5
	s_branch .LBB439_6
.LBB439_4:
	s_mov_b64 s[2:3], 0
                                        ; implicit-def: $vgpr2_vgpr3
	s_cbranch_execz .LBB439_6
.LBB439_5:
	s_lshl_b64 s[4:5], s[4:5], 4
	s_add_u32 s0, s0, s4
	s_addc_u32 s1, s1, s5
	v_lshlrev_b32_e32 v0, 4, v0
	v_mov_b32_e32 v1, s1
	v_add_co_u32_e32 v2, vcc, s0, v0
	v_addc_co_u32_e32 v3, vcc, 0, v1, vcc
	s_or_b64 s[2:3], s[2:3], exec
.LBB439_6:
	s_and_saveexec_b64 s[0:1], s[2:3]
	s_cbranch_execnz .LBB439_8
; %bb.7:
	s_endpgm
.LBB439_8:
	v_mov_b32_e32 v4, 0
	v_mov_b32_e32 v5, v4
	;; [unrolled: 1-line block ×4, first 2 shown]
	flat_store_dwordx4 v[2:3], v[4:7]
	s_endpgm
	.section	.rodata,"a",@progbits
	.p2align	6, 0x0
	.amdhsa_kernel _ZN6thrust23THRUST_200600_302600_NS11hip_rocprim14__parallel_for6kernelILj256ENS1_10for_each_fINS0_7pointerINS0_5tupleIllNS0_9null_typeES7_S7_S7_S7_S7_S7_S7_EENS0_6detail22execute_with_allocatorIRN2at4cuda15ThrustAllocatorENS1_22execute_on_stream_baseEEENS0_11use_defaultESH_EENS9_16wrapped_functionINS9_23allocator_traits_detail24construct1_via_allocatorINS9_18no_throw_allocatorINS9_19temporary_allocatorIS8_SG_EEEEEEvEEEEmLj1EEEvT0_T1_SU_
		.amdhsa_group_segment_fixed_size 0
		.amdhsa_private_segment_fixed_size 0
		.amdhsa_kernarg_size 32
		.amdhsa_user_sgpr_count 6
		.amdhsa_user_sgpr_private_segment_buffer 1
		.amdhsa_user_sgpr_dispatch_ptr 0
		.amdhsa_user_sgpr_queue_ptr 0
		.amdhsa_user_sgpr_kernarg_segment_ptr 1
		.amdhsa_user_sgpr_dispatch_id 0
		.amdhsa_user_sgpr_flat_scratch_init 0
		.amdhsa_user_sgpr_kernarg_preload_length 0
		.amdhsa_user_sgpr_kernarg_preload_offset 0
		.amdhsa_user_sgpr_private_segment_size 0
		.amdhsa_uses_dynamic_stack 0
		.amdhsa_system_sgpr_private_segment_wavefront_offset 0
		.amdhsa_system_sgpr_workgroup_id_x 1
		.amdhsa_system_sgpr_workgroup_id_y 0
		.amdhsa_system_sgpr_workgroup_id_z 0
		.amdhsa_system_sgpr_workgroup_info 0
		.amdhsa_system_vgpr_workitem_id 0
		.amdhsa_next_free_vgpr 8
		.amdhsa_next_free_sgpr 12
		.amdhsa_accum_offset 8
		.amdhsa_reserve_vcc 1
		.amdhsa_reserve_flat_scratch 0
		.amdhsa_float_round_mode_32 0
		.amdhsa_float_round_mode_16_64 0
		.amdhsa_float_denorm_mode_32 3
		.amdhsa_float_denorm_mode_16_64 3
		.amdhsa_dx10_clamp 1
		.amdhsa_ieee_mode 1
		.amdhsa_fp16_overflow 0
		.amdhsa_tg_split 0
		.amdhsa_exception_fp_ieee_invalid_op 0
		.amdhsa_exception_fp_denorm_src 0
		.amdhsa_exception_fp_ieee_div_zero 0
		.amdhsa_exception_fp_ieee_overflow 0
		.amdhsa_exception_fp_ieee_underflow 0
		.amdhsa_exception_fp_ieee_inexact 0
		.amdhsa_exception_int_div_zero 0
	.end_amdhsa_kernel
	.section	.text._ZN6thrust23THRUST_200600_302600_NS11hip_rocprim14__parallel_for6kernelILj256ENS1_10for_each_fINS0_7pointerINS0_5tupleIllNS0_9null_typeES7_S7_S7_S7_S7_S7_S7_EENS0_6detail22execute_with_allocatorIRN2at4cuda15ThrustAllocatorENS1_22execute_on_stream_baseEEENS0_11use_defaultESH_EENS9_16wrapped_functionINS9_23allocator_traits_detail24construct1_via_allocatorINS9_18no_throw_allocatorINS9_19temporary_allocatorIS8_SG_EEEEEEvEEEEmLj1EEEvT0_T1_SU_,"axG",@progbits,_ZN6thrust23THRUST_200600_302600_NS11hip_rocprim14__parallel_for6kernelILj256ENS1_10for_each_fINS0_7pointerINS0_5tupleIllNS0_9null_typeES7_S7_S7_S7_S7_S7_S7_EENS0_6detail22execute_with_allocatorIRN2at4cuda15ThrustAllocatorENS1_22execute_on_stream_baseEEENS0_11use_defaultESH_EENS9_16wrapped_functionINS9_23allocator_traits_detail24construct1_via_allocatorINS9_18no_throw_allocatorINS9_19temporary_allocatorIS8_SG_EEEEEEvEEEEmLj1EEEvT0_T1_SU_,comdat
.Lfunc_end439:
	.size	_ZN6thrust23THRUST_200600_302600_NS11hip_rocprim14__parallel_for6kernelILj256ENS1_10for_each_fINS0_7pointerINS0_5tupleIllNS0_9null_typeES7_S7_S7_S7_S7_S7_S7_EENS0_6detail22execute_with_allocatorIRN2at4cuda15ThrustAllocatorENS1_22execute_on_stream_baseEEENS0_11use_defaultESH_EENS9_16wrapped_functionINS9_23allocator_traits_detail24construct1_via_allocatorINS9_18no_throw_allocatorINS9_19temporary_allocatorIS8_SG_EEEEEEvEEEEmLj1EEEvT0_T1_SU_, .Lfunc_end439-_ZN6thrust23THRUST_200600_302600_NS11hip_rocprim14__parallel_for6kernelILj256ENS1_10for_each_fINS0_7pointerINS0_5tupleIllNS0_9null_typeES7_S7_S7_S7_S7_S7_S7_EENS0_6detail22execute_with_allocatorIRN2at4cuda15ThrustAllocatorENS1_22execute_on_stream_baseEEENS0_11use_defaultESH_EENS9_16wrapped_functionINS9_23allocator_traits_detail24construct1_via_allocatorINS9_18no_throw_allocatorINS9_19temporary_allocatorIS8_SG_EEEEEEvEEEEmLj1EEEvT0_T1_SU_
                                        ; -- End function
	.section	.AMDGPU.csdata,"",@progbits
; Kernel info:
; codeLenInByte = 208
; NumSgprs: 16
; NumVgprs: 8
; NumAgprs: 0
; TotalNumVgprs: 8
; ScratchSize: 0
; MemoryBound: 0
; FloatMode: 240
; IeeeMode: 1
; LDSByteSize: 0 bytes/workgroup (compile time only)
; SGPRBlocks: 1
; VGPRBlocks: 0
; NumSGPRsForWavesPerEU: 16
; NumVGPRsForWavesPerEU: 8
; AccumOffset: 8
; Occupancy: 8
; WaveLimiterHint : 0
; COMPUTE_PGM_RSRC2:SCRATCH_EN: 0
; COMPUTE_PGM_RSRC2:USER_SGPR: 6
; COMPUTE_PGM_RSRC2:TRAP_HANDLER: 0
; COMPUTE_PGM_RSRC2:TGID_X_EN: 1
; COMPUTE_PGM_RSRC2:TGID_Y_EN: 0
; COMPUTE_PGM_RSRC2:TGID_Z_EN: 0
; COMPUTE_PGM_RSRC2:TIDIG_COMP_CNT: 0
; COMPUTE_PGM_RSRC3_GFX90A:ACCUM_OFFSET: 1
; COMPUTE_PGM_RSRC3_GFX90A:TG_SPLIT: 0
	.section	.text._ZN6thrust23THRUST_200600_302600_NS11hip_rocprim14__parallel_for6kernelILj256ENS1_10for_each_fINS0_7pointerINS0_5tupleIllNS0_9null_typeES7_S7_S7_S7_S7_S7_S7_EENS0_6detail22execute_with_allocatorIRN2at4cuda15ThrustAllocatorENS1_22execute_on_stream_baseEEENS0_11use_defaultESH_EENS9_16wrapped_functionINS9_23allocator_traits_detail5gozerEvEEEElLj1EEEvT0_T1_SP_,"axG",@progbits,_ZN6thrust23THRUST_200600_302600_NS11hip_rocprim14__parallel_for6kernelILj256ENS1_10for_each_fINS0_7pointerINS0_5tupleIllNS0_9null_typeES7_S7_S7_S7_S7_S7_S7_EENS0_6detail22execute_with_allocatorIRN2at4cuda15ThrustAllocatorENS1_22execute_on_stream_baseEEENS0_11use_defaultESH_EENS9_16wrapped_functionINS9_23allocator_traits_detail5gozerEvEEEElLj1EEEvT0_T1_SP_,comdat
	.protected	_ZN6thrust23THRUST_200600_302600_NS11hip_rocprim14__parallel_for6kernelILj256ENS1_10for_each_fINS0_7pointerINS0_5tupleIllNS0_9null_typeES7_S7_S7_S7_S7_S7_S7_EENS0_6detail22execute_with_allocatorIRN2at4cuda15ThrustAllocatorENS1_22execute_on_stream_baseEEENS0_11use_defaultESH_EENS9_16wrapped_functionINS9_23allocator_traits_detail5gozerEvEEEElLj1EEEvT0_T1_SP_ ; -- Begin function _ZN6thrust23THRUST_200600_302600_NS11hip_rocprim14__parallel_for6kernelILj256ENS1_10for_each_fINS0_7pointerINS0_5tupleIllNS0_9null_typeES7_S7_S7_S7_S7_S7_S7_EENS0_6detail22execute_with_allocatorIRN2at4cuda15ThrustAllocatorENS1_22execute_on_stream_baseEEENS0_11use_defaultESH_EENS9_16wrapped_functionINS9_23allocator_traits_detail5gozerEvEEEElLj1EEEvT0_T1_SP_
	.globl	_ZN6thrust23THRUST_200600_302600_NS11hip_rocprim14__parallel_for6kernelILj256ENS1_10for_each_fINS0_7pointerINS0_5tupleIllNS0_9null_typeES7_S7_S7_S7_S7_S7_S7_EENS0_6detail22execute_with_allocatorIRN2at4cuda15ThrustAllocatorENS1_22execute_on_stream_baseEEENS0_11use_defaultESH_EENS9_16wrapped_functionINS9_23allocator_traits_detail5gozerEvEEEElLj1EEEvT0_T1_SP_
	.p2align	8
	.type	_ZN6thrust23THRUST_200600_302600_NS11hip_rocprim14__parallel_for6kernelILj256ENS1_10for_each_fINS0_7pointerINS0_5tupleIllNS0_9null_typeES7_S7_S7_S7_S7_S7_S7_EENS0_6detail22execute_with_allocatorIRN2at4cuda15ThrustAllocatorENS1_22execute_on_stream_baseEEENS0_11use_defaultESH_EENS9_16wrapped_functionINS9_23allocator_traits_detail5gozerEvEEEElLj1EEEvT0_T1_SP_,@function
_ZN6thrust23THRUST_200600_302600_NS11hip_rocprim14__parallel_for6kernelILj256ENS1_10for_each_fINS0_7pointerINS0_5tupleIllNS0_9null_typeES7_S7_S7_S7_S7_S7_S7_EENS0_6detail22execute_with_allocatorIRN2at4cuda15ThrustAllocatorENS1_22execute_on_stream_baseEEENS0_11use_defaultESH_EENS9_16wrapped_functionINS9_23allocator_traits_detail5gozerEvEEEElLj1EEEvT0_T1_SP_: ; @_ZN6thrust23THRUST_200600_302600_NS11hip_rocprim14__parallel_for6kernelILj256ENS1_10for_each_fINS0_7pointerINS0_5tupleIllNS0_9null_typeES7_S7_S7_S7_S7_S7_S7_EENS0_6detail22execute_with_allocatorIRN2at4cuda15ThrustAllocatorENS1_22execute_on_stream_baseEEENS0_11use_defaultESH_EENS9_16wrapped_functionINS9_23allocator_traits_detail5gozerEvEEEElLj1EEEvT0_T1_SP_
; %bb.0:
	s_endpgm
	.section	.rodata,"a",@progbits
	.p2align	6, 0x0
	.amdhsa_kernel _ZN6thrust23THRUST_200600_302600_NS11hip_rocprim14__parallel_for6kernelILj256ENS1_10for_each_fINS0_7pointerINS0_5tupleIllNS0_9null_typeES7_S7_S7_S7_S7_S7_S7_EENS0_6detail22execute_with_allocatorIRN2at4cuda15ThrustAllocatorENS1_22execute_on_stream_baseEEENS0_11use_defaultESH_EENS9_16wrapped_functionINS9_23allocator_traits_detail5gozerEvEEEElLj1EEEvT0_T1_SP_
		.amdhsa_group_segment_fixed_size 0
		.amdhsa_private_segment_fixed_size 0
		.amdhsa_kernarg_size 32
		.amdhsa_user_sgpr_count 6
		.amdhsa_user_sgpr_private_segment_buffer 1
		.amdhsa_user_sgpr_dispatch_ptr 0
		.amdhsa_user_sgpr_queue_ptr 0
		.amdhsa_user_sgpr_kernarg_segment_ptr 1
		.amdhsa_user_sgpr_dispatch_id 0
		.amdhsa_user_sgpr_flat_scratch_init 0
		.amdhsa_user_sgpr_kernarg_preload_length 0
		.amdhsa_user_sgpr_kernarg_preload_offset 0
		.amdhsa_user_sgpr_private_segment_size 0
		.amdhsa_uses_dynamic_stack 0
		.amdhsa_system_sgpr_private_segment_wavefront_offset 0
		.amdhsa_system_sgpr_workgroup_id_x 1
		.amdhsa_system_sgpr_workgroup_id_y 0
		.amdhsa_system_sgpr_workgroup_id_z 0
		.amdhsa_system_sgpr_workgroup_info 0
		.amdhsa_system_vgpr_workitem_id 0
		.amdhsa_next_free_vgpr 1
		.amdhsa_next_free_sgpr 0
		.amdhsa_accum_offset 4
		.amdhsa_reserve_vcc 0
		.amdhsa_reserve_flat_scratch 0
		.amdhsa_float_round_mode_32 0
		.amdhsa_float_round_mode_16_64 0
		.amdhsa_float_denorm_mode_32 3
		.amdhsa_float_denorm_mode_16_64 3
		.amdhsa_dx10_clamp 1
		.amdhsa_ieee_mode 1
		.amdhsa_fp16_overflow 0
		.amdhsa_tg_split 0
		.amdhsa_exception_fp_ieee_invalid_op 0
		.amdhsa_exception_fp_denorm_src 0
		.amdhsa_exception_fp_ieee_div_zero 0
		.amdhsa_exception_fp_ieee_overflow 0
		.amdhsa_exception_fp_ieee_underflow 0
		.amdhsa_exception_fp_ieee_inexact 0
		.amdhsa_exception_int_div_zero 0
	.end_amdhsa_kernel
	.section	.text._ZN6thrust23THRUST_200600_302600_NS11hip_rocprim14__parallel_for6kernelILj256ENS1_10for_each_fINS0_7pointerINS0_5tupleIllNS0_9null_typeES7_S7_S7_S7_S7_S7_S7_EENS0_6detail22execute_with_allocatorIRN2at4cuda15ThrustAllocatorENS1_22execute_on_stream_baseEEENS0_11use_defaultESH_EENS9_16wrapped_functionINS9_23allocator_traits_detail5gozerEvEEEElLj1EEEvT0_T1_SP_,"axG",@progbits,_ZN6thrust23THRUST_200600_302600_NS11hip_rocprim14__parallel_for6kernelILj256ENS1_10for_each_fINS0_7pointerINS0_5tupleIllNS0_9null_typeES7_S7_S7_S7_S7_S7_S7_EENS0_6detail22execute_with_allocatorIRN2at4cuda15ThrustAllocatorENS1_22execute_on_stream_baseEEENS0_11use_defaultESH_EENS9_16wrapped_functionINS9_23allocator_traits_detail5gozerEvEEEElLj1EEEvT0_T1_SP_,comdat
.Lfunc_end440:
	.size	_ZN6thrust23THRUST_200600_302600_NS11hip_rocprim14__parallel_for6kernelILj256ENS1_10for_each_fINS0_7pointerINS0_5tupleIllNS0_9null_typeES7_S7_S7_S7_S7_S7_S7_EENS0_6detail22execute_with_allocatorIRN2at4cuda15ThrustAllocatorENS1_22execute_on_stream_baseEEENS0_11use_defaultESH_EENS9_16wrapped_functionINS9_23allocator_traits_detail5gozerEvEEEElLj1EEEvT0_T1_SP_, .Lfunc_end440-_ZN6thrust23THRUST_200600_302600_NS11hip_rocprim14__parallel_for6kernelILj256ENS1_10for_each_fINS0_7pointerINS0_5tupleIllNS0_9null_typeES7_S7_S7_S7_S7_S7_S7_EENS0_6detail22execute_with_allocatorIRN2at4cuda15ThrustAllocatorENS1_22execute_on_stream_baseEEENS0_11use_defaultESH_EENS9_16wrapped_functionINS9_23allocator_traits_detail5gozerEvEEEElLj1EEEvT0_T1_SP_
                                        ; -- End function
	.section	.AMDGPU.csdata,"",@progbits
; Kernel info:
; codeLenInByte = 4
; NumSgprs: 4
; NumVgprs: 0
; NumAgprs: 0
; TotalNumVgprs: 0
; ScratchSize: 0
; MemoryBound: 0
; FloatMode: 240
; IeeeMode: 1
; LDSByteSize: 0 bytes/workgroup (compile time only)
; SGPRBlocks: 0
; VGPRBlocks: 0
; NumSGPRsForWavesPerEU: 4
; NumVGPRsForWavesPerEU: 1
; AccumOffset: 4
; Occupancy: 8
; WaveLimiterHint : 0
; COMPUTE_PGM_RSRC2:SCRATCH_EN: 0
; COMPUTE_PGM_RSRC2:USER_SGPR: 6
; COMPUTE_PGM_RSRC2:TRAP_HANDLER: 0
; COMPUTE_PGM_RSRC2:TGID_X_EN: 1
; COMPUTE_PGM_RSRC2:TGID_Y_EN: 0
; COMPUTE_PGM_RSRC2:TGID_Z_EN: 0
; COMPUTE_PGM_RSRC2:TIDIG_COMP_CNT: 0
; COMPUTE_PGM_RSRC3_GFX90A:ACCUM_OFFSET: 0
; COMPUTE_PGM_RSRC3_GFX90A:TG_SPLIT: 0
	.section	.text._ZN6thrust23THRUST_200600_302600_NS11hip_rocprim14__parallel_for6kernelILj256ENS1_20__uninitialized_copy7functorIPNS0_5tupleIllNS0_9null_typeES7_S7_S7_S7_S7_S7_S7_EENS0_7pointerIS8_NS0_6detail22execute_with_allocatorIRN2at4cuda15ThrustAllocatorENS1_22execute_on_stream_baseEEENS0_11use_defaultESJ_EEEEmLj1EEEvT0_T1_SN_,"axG",@progbits,_ZN6thrust23THRUST_200600_302600_NS11hip_rocprim14__parallel_for6kernelILj256ENS1_20__uninitialized_copy7functorIPNS0_5tupleIllNS0_9null_typeES7_S7_S7_S7_S7_S7_S7_EENS0_7pointerIS8_NS0_6detail22execute_with_allocatorIRN2at4cuda15ThrustAllocatorENS1_22execute_on_stream_baseEEENS0_11use_defaultESJ_EEEEmLj1EEEvT0_T1_SN_,comdat
	.protected	_ZN6thrust23THRUST_200600_302600_NS11hip_rocprim14__parallel_for6kernelILj256ENS1_20__uninitialized_copy7functorIPNS0_5tupleIllNS0_9null_typeES7_S7_S7_S7_S7_S7_S7_EENS0_7pointerIS8_NS0_6detail22execute_with_allocatorIRN2at4cuda15ThrustAllocatorENS1_22execute_on_stream_baseEEENS0_11use_defaultESJ_EEEEmLj1EEEvT0_T1_SN_ ; -- Begin function _ZN6thrust23THRUST_200600_302600_NS11hip_rocprim14__parallel_for6kernelILj256ENS1_20__uninitialized_copy7functorIPNS0_5tupleIllNS0_9null_typeES7_S7_S7_S7_S7_S7_S7_EENS0_7pointerIS8_NS0_6detail22execute_with_allocatorIRN2at4cuda15ThrustAllocatorENS1_22execute_on_stream_baseEEENS0_11use_defaultESJ_EEEEmLj1EEEvT0_T1_SN_
	.globl	_ZN6thrust23THRUST_200600_302600_NS11hip_rocprim14__parallel_for6kernelILj256ENS1_20__uninitialized_copy7functorIPNS0_5tupleIllNS0_9null_typeES7_S7_S7_S7_S7_S7_S7_EENS0_7pointerIS8_NS0_6detail22execute_with_allocatorIRN2at4cuda15ThrustAllocatorENS1_22execute_on_stream_baseEEENS0_11use_defaultESJ_EEEEmLj1EEEvT0_T1_SN_
	.p2align	8
	.type	_ZN6thrust23THRUST_200600_302600_NS11hip_rocprim14__parallel_for6kernelILj256ENS1_20__uninitialized_copy7functorIPNS0_5tupleIllNS0_9null_typeES7_S7_S7_S7_S7_S7_S7_EENS0_7pointerIS8_NS0_6detail22execute_with_allocatorIRN2at4cuda15ThrustAllocatorENS1_22execute_on_stream_baseEEENS0_11use_defaultESJ_EEEEmLj1EEEvT0_T1_SN_,@function
_ZN6thrust23THRUST_200600_302600_NS11hip_rocprim14__parallel_for6kernelILj256ENS1_20__uninitialized_copy7functorIPNS0_5tupleIllNS0_9null_typeES7_S7_S7_S7_S7_S7_S7_EENS0_7pointerIS8_NS0_6detail22execute_with_allocatorIRN2at4cuda15ThrustAllocatorENS1_22execute_on_stream_baseEEENS0_11use_defaultESJ_EEEEmLj1EEEvT0_T1_SN_: ; @_ZN6thrust23THRUST_200600_302600_NS11hip_rocprim14__parallel_for6kernelILj256ENS1_20__uninitialized_copy7functorIPNS0_5tupleIllNS0_9null_typeES7_S7_S7_S7_S7_S7_S7_EENS0_7pointerIS8_NS0_6detail22execute_with_allocatorIRN2at4cuda15ThrustAllocatorENS1_22execute_on_stream_baseEEENS0_11use_defaultESJ_EEEEmLj1EEEvT0_T1_SN_
; %bb.0:
	s_load_dwordx8 s[8:15], s[4:5], 0x0
	s_lshl_b32 s0, s6, 8
	v_mov_b32_e32 v2, 0x100
	v_mov_b32_e32 v3, 0
	s_waitcnt lgkmcnt(0)
	s_add_u32 s4, s0, s14
	s_addc_u32 s5, 0, s15
	s_sub_u32 s2, s12, s4
	s_subb_u32 s3, s13, s5
	v_cmp_lt_u64_e32 vcc, s[2:3], v[2:3]
	s_mov_b64 s[0:1], -1
	s_cbranch_vccnz .LBB441_3
; %bb.1:
	s_andn2_b64 vcc, exec, s[0:1]
	s_cbranch_vccz .LBB441_6
.LBB441_2:
	s_endpgm
.LBB441_3:
	v_cmp_gt_u32_e32 vcc, s2, v0
	s_and_saveexec_b64 s[0:1], vcc
	s_cbranch_execz .LBB441_5
; %bb.4:
	v_mov_b32_e32 v1, s5
	v_add_co_u32_e32 v2, vcc, s4, v0
	v_addc_co_u32_e32 v3, vcc, 0, v1, vcc
	v_lshlrev_b64 v[6:7], 4, v[2:3]
	v_mov_b32_e32 v1, s9
	v_add_co_u32_e32 v2, vcc, s8, v6
	v_addc_co_u32_e32 v3, vcc, v1, v7, vcc
	global_load_dwordx4 v[2:5], v[2:3], off
	v_mov_b32_e32 v1, s11
	v_add_co_u32_e32 v6, vcc, s10, v6
	v_addc_co_u32_e32 v7, vcc, v1, v7, vcc
	s_waitcnt vmcnt(0)
	flat_store_dwordx4 v[6:7], v[2:5]
.LBB441_5:
	s_or_b64 exec, exec, s[0:1]
	s_cbranch_execnz .LBB441_2
.LBB441_6:
	v_mov_b32_e32 v1, s5
	v_add_co_u32_e32 v0, vcc, s4, v0
	v_addc_co_u32_e32 v1, vcc, 0, v1, vcc
	v_lshlrev_b64 v[4:5], 4, v[0:1]
	v_mov_b32_e32 v1, s9
	v_add_co_u32_e32 v0, vcc, s8, v4
	v_addc_co_u32_e32 v1, vcc, v1, v5, vcc
	global_load_dwordx4 v[0:3], v[0:1], off
	v_mov_b32_e32 v6, s11
	v_add_co_u32_e32 v4, vcc, s10, v4
	v_addc_co_u32_e32 v5, vcc, v6, v5, vcc
	s_waitcnt vmcnt(0)
	flat_store_dwordx4 v[4:5], v[0:3]
	s_endpgm
	.section	.rodata,"a",@progbits
	.p2align	6, 0x0
	.amdhsa_kernel _ZN6thrust23THRUST_200600_302600_NS11hip_rocprim14__parallel_for6kernelILj256ENS1_20__uninitialized_copy7functorIPNS0_5tupleIllNS0_9null_typeES7_S7_S7_S7_S7_S7_S7_EENS0_7pointerIS8_NS0_6detail22execute_with_allocatorIRN2at4cuda15ThrustAllocatorENS1_22execute_on_stream_baseEEENS0_11use_defaultESJ_EEEEmLj1EEEvT0_T1_SN_
		.amdhsa_group_segment_fixed_size 0
		.amdhsa_private_segment_fixed_size 0
		.amdhsa_kernarg_size 32
		.amdhsa_user_sgpr_count 6
		.amdhsa_user_sgpr_private_segment_buffer 1
		.amdhsa_user_sgpr_dispatch_ptr 0
		.amdhsa_user_sgpr_queue_ptr 0
		.amdhsa_user_sgpr_kernarg_segment_ptr 1
		.amdhsa_user_sgpr_dispatch_id 0
		.amdhsa_user_sgpr_flat_scratch_init 0
		.amdhsa_user_sgpr_kernarg_preload_length 0
		.amdhsa_user_sgpr_kernarg_preload_offset 0
		.amdhsa_user_sgpr_private_segment_size 0
		.amdhsa_uses_dynamic_stack 0
		.amdhsa_system_sgpr_private_segment_wavefront_offset 0
		.amdhsa_system_sgpr_workgroup_id_x 1
		.amdhsa_system_sgpr_workgroup_id_y 0
		.amdhsa_system_sgpr_workgroup_id_z 0
		.amdhsa_system_sgpr_workgroup_info 0
		.amdhsa_system_vgpr_workitem_id 0
		.amdhsa_next_free_vgpr 8
		.amdhsa_next_free_sgpr 16
		.amdhsa_accum_offset 8
		.amdhsa_reserve_vcc 1
		.amdhsa_reserve_flat_scratch 0
		.amdhsa_float_round_mode_32 0
		.amdhsa_float_round_mode_16_64 0
		.amdhsa_float_denorm_mode_32 3
		.amdhsa_float_denorm_mode_16_64 3
		.amdhsa_dx10_clamp 1
		.amdhsa_ieee_mode 1
		.amdhsa_fp16_overflow 0
		.amdhsa_tg_split 0
		.amdhsa_exception_fp_ieee_invalid_op 0
		.amdhsa_exception_fp_denorm_src 0
		.amdhsa_exception_fp_ieee_div_zero 0
		.amdhsa_exception_fp_ieee_overflow 0
		.amdhsa_exception_fp_ieee_underflow 0
		.amdhsa_exception_fp_ieee_inexact 0
		.amdhsa_exception_int_div_zero 0
	.end_amdhsa_kernel
	.section	.text._ZN6thrust23THRUST_200600_302600_NS11hip_rocprim14__parallel_for6kernelILj256ENS1_20__uninitialized_copy7functorIPNS0_5tupleIllNS0_9null_typeES7_S7_S7_S7_S7_S7_S7_EENS0_7pointerIS8_NS0_6detail22execute_with_allocatorIRN2at4cuda15ThrustAllocatorENS1_22execute_on_stream_baseEEENS0_11use_defaultESJ_EEEEmLj1EEEvT0_T1_SN_,"axG",@progbits,_ZN6thrust23THRUST_200600_302600_NS11hip_rocprim14__parallel_for6kernelILj256ENS1_20__uninitialized_copy7functorIPNS0_5tupleIllNS0_9null_typeES7_S7_S7_S7_S7_S7_S7_EENS0_7pointerIS8_NS0_6detail22execute_with_allocatorIRN2at4cuda15ThrustAllocatorENS1_22execute_on_stream_baseEEENS0_11use_defaultESJ_EEEEmLj1EEEvT0_T1_SN_,comdat
.Lfunc_end441:
	.size	_ZN6thrust23THRUST_200600_302600_NS11hip_rocprim14__parallel_for6kernelILj256ENS1_20__uninitialized_copy7functorIPNS0_5tupleIllNS0_9null_typeES7_S7_S7_S7_S7_S7_S7_EENS0_7pointerIS8_NS0_6detail22execute_with_allocatorIRN2at4cuda15ThrustAllocatorENS1_22execute_on_stream_baseEEENS0_11use_defaultESJ_EEEEmLj1EEEvT0_T1_SN_, .Lfunc_end441-_ZN6thrust23THRUST_200600_302600_NS11hip_rocprim14__parallel_for6kernelILj256ENS1_20__uninitialized_copy7functorIPNS0_5tupleIllNS0_9null_typeES7_S7_S7_S7_S7_S7_S7_EENS0_7pointerIS8_NS0_6detail22execute_with_allocatorIRN2at4cuda15ThrustAllocatorENS1_22execute_on_stream_baseEEENS0_11use_defaultESJ_EEEEmLj1EEEvT0_T1_SN_
                                        ; -- End function
	.section	.AMDGPU.csdata,"",@progbits
; Kernel info:
; codeLenInByte = 220
; NumSgprs: 20
; NumVgprs: 8
; NumAgprs: 0
; TotalNumVgprs: 8
; ScratchSize: 0
; MemoryBound: 0
; FloatMode: 240
; IeeeMode: 1
; LDSByteSize: 0 bytes/workgroup (compile time only)
; SGPRBlocks: 2
; VGPRBlocks: 0
; NumSGPRsForWavesPerEU: 20
; NumVGPRsForWavesPerEU: 8
; AccumOffset: 8
; Occupancy: 8
; WaveLimiterHint : 0
; COMPUTE_PGM_RSRC2:SCRATCH_EN: 0
; COMPUTE_PGM_RSRC2:USER_SGPR: 6
; COMPUTE_PGM_RSRC2:TRAP_HANDLER: 0
; COMPUTE_PGM_RSRC2:TGID_X_EN: 1
; COMPUTE_PGM_RSRC2:TGID_Y_EN: 0
; COMPUTE_PGM_RSRC2:TGID_Z_EN: 0
; COMPUTE_PGM_RSRC2:TIDIG_COMP_CNT: 0
; COMPUTE_PGM_RSRC3_GFX90A:ACCUM_OFFSET: 1
; COMPUTE_PGM_RSRC3_GFX90A:TG_SPLIT: 0
	.section	.text._ZN7rocprim17ROCPRIM_400000_NS6detail17trampoline_kernelINS0_14default_configENS1_22reduce_config_selectorIN6thrust23THRUST_200600_302600_NS5tupleIblNS6_9null_typeES8_S8_S8_S8_S8_S8_S8_EEEEZNS1_11reduce_implILb1ES3_NS6_12zip_iteratorINS7_INS6_11hip_rocprim26transform_input_iterator_tIbPhNS6_6detail10functional5actorINSH_9compositeIJNSH_27transparent_binary_operatorINS6_8equal_toIvEEEENSI_INSH_8argumentILj0EEEEENSH_5valueIhEEEEEEEEENSD_19counting_iterator_tIlEES8_S8_S8_S8_S8_S8_S8_S8_EEEEPS9_S9_NSD_9__find_if7functorIS9_EEEE10hipError_tPvRmT1_T2_T3_mT4_P12ihipStream_tbEUlT_E0_NS1_11comp_targetILNS1_3genE0ELNS1_11target_archE4294967295ELNS1_3gpuE0ELNS1_3repE0EEENS1_30default_config_static_selectorELNS0_4arch9wavefront6targetE1EEEvS17_,"axG",@progbits,_ZN7rocprim17ROCPRIM_400000_NS6detail17trampoline_kernelINS0_14default_configENS1_22reduce_config_selectorIN6thrust23THRUST_200600_302600_NS5tupleIblNS6_9null_typeES8_S8_S8_S8_S8_S8_S8_EEEEZNS1_11reduce_implILb1ES3_NS6_12zip_iteratorINS7_INS6_11hip_rocprim26transform_input_iterator_tIbPhNS6_6detail10functional5actorINSH_9compositeIJNSH_27transparent_binary_operatorINS6_8equal_toIvEEEENSI_INSH_8argumentILj0EEEEENSH_5valueIhEEEEEEEEENSD_19counting_iterator_tIlEES8_S8_S8_S8_S8_S8_S8_S8_EEEEPS9_S9_NSD_9__find_if7functorIS9_EEEE10hipError_tPvRmT1_T2_T3_mT4_P12ihipStream_tbEUlT_E0_NS1_11comp_targetILNS1_3genE0ELNS1_11target_archE4294967295ELNS1_3gpuE0ELNS1_3repE0EEENS1_30default_config_static_selectorELNS0_4arch9wavefront6targetE1EEEvS17_,comdat
	.protected	_ZN7rocprim17ROCPRIM_400000_NS6detail17trampoline_kernelINS0_14default_configENS1_22reduce_config_selectorIN6thrust23THRUST_200600_302600_NS5tupleIblNS6_9null_typeES8_S8_S8_S8_S8_S8_S8_EEEEZNS1_11reduce_implILb1ES3_NS6_12zip_iteratorINS7_INS6_11hip_rocprim26transform_input_iterator_tIbPhNS6_6detail10functional5actorINSH_9compositeIJNSH_27transparent_binary_operatorINS6_8equal_toIvEEEENSI_INSH_8argumentILj0EEEEENSH_5valueIhEEEEEEEEENSD_19counting_iterator_tIlEES8_S8_S8_S8_S8_S8_S8_S8_EEEEPS9_S9_NSD_9__find_if7functorIS9_EEEE10hipError_tPvRmT1_T2_T3_mT4_P12ihipStream_tbEUlT_E0_NS1_11comp_targetILNS1_3genE0ELNS1_11target_archE4294967295ELNS1_3gpuE0ELNS1_3repE0EEENS1_30default_config_static_selectorELNS0_4arch9wavefront6targetE1EEEvS17_ ; -- Begin function _ZN7rocprim17ROCPRIM_400000_NS6detail17trampoline_kernelINS0_14default_configENS1_22reduce_config_selectorIN6thrust23THRUST_200600_302600_NS5tupleIblNS6_9null_typeES8_S8_S8_S8_S8_S8_S8_EEEEZNS1_11reduce_implILb1ES3_NS6_12zip_iteratorINS7_INS6_11hip_rocprim26transform_input_iterator_tIbPhNS6_6detail10functional5actorINSH_9compositeIJNSH_27transparent_binary_operatorINS6_8equal_toIvEEEENSI_INSH_8argumentILj0EEEEENSH_5valueIhEEEEEEEEENSD_19counting_iterator_tIlEES8_S8_S8_S8_S8_S8_S8_S8_EEEEPS9_S9_NSD_9__find_if7functorIS9_EEEE10hipError_tPvRmT1_T2_T3_mT4_P12ihipStream_tbEUlT_E0_NS1_11comp_targetILNS1_3genE0ELNS1_11target_archE4294967295ELNS1_3gpuE0ELNS1_3repE0EEENS1_30default_config_static_selectorELNS0_4arch9wavefront6targetE1EEEvS17_
	.globl	_ZN7rocprim17ROCPRIM_400000_NS6detail17trampoline_kernelINS0_14default_configENS1_22reduce_config_selectorIN6thrust23THRUST_200600_302600_NS5tupleIblNS6_9null_typeES8_S8_S8_S8_S8_S8_S8_EEEEZNS1_11reduce_implILb1ES3_NS6_12zip_iteratorINS7_INS6_11hip_rocprim26transform_input_iterator_tIbPhNS6_6detail10functional5actorINSH_9compositeIJNSH_27transparent_binary_operatorINS6_8equal_toIvEEEENSI_INSH_8argumentILj0EEEEENSH_5valueIhEEEEEEEEENSD_19counting_iterator_tIlEES8_S8_S8_S8_S8_S8_S8_S8_EEEEPS9_S9_NSD_9__find_if7functorIS9_EEEE10hipError_tPvRmT1_T2_T3_mT4_P12ihipStream_tbEUlT_E0_NS1_11comp_targetILNS1_3genE0ELNS1_11target_archE4294967295ELNS1_3gpuE0ELNS1_3repE0EEENS1_30default_config_static_selectorELNS0_4arch9wavefront6targetE1EEEvS17_
	.p2align	8
	.type	_ZN7rocprim17ROCPRIM_400000_NS6detail17trampoline_kernelINS0_14default_configENS1_22reduce_config_selectorIN6thrust23THRUST_200600_302600_NS5tupleIblNS6_9null_typeES8_S8_S8_S8_S8_S8_S8_EEEEZNS1_11reduce_implILb1ES3_NS6_12zip_iteratorINS7_INS6_11hip_rocprim26transform_input_iterator_tIbPhNS6_6detail10functional5actorINSH_9compositeIJNSH_27transparent_binary_operatorINS6_8equal_toIvEEEENSI_INSH_8argumentILj0EEEEENSH_5valueIhEEEEEEEEENSD_19counting_iterator_tIlEES8_S8_S8_S8_S8_S8_S8_S8_EEEEPS9_S9_NSD_9__find_if7functorIS9_EEEE10hipError_tPvRmT1_T2_T3_mT4_P12ihipStream_tbEUlT_E0_NS1_11comp_targetILNS1_3genE0ELNS1_11target_archE4294967295ELNS1_3gpuE0ELNS1_3repE0EEENS1_30default_config_static_selectorELNS0_4arch9wavefront6targetE1EEEvS17_,@function
_ZN7rocprim17ROCPRIM_400000_NS6detail17trampoline_kernelINS0_14default_configENS1_22reduce_config_selectorIN6thrust23THRUST_200600_302600_NS5tupleIblNS6_9null_typeES8_S8_S8_S8_S8_S8_S8_EEEEZNS1_11reduce_implILb1ES3_NS6_12zip_iteratorINS7_INS6_11hip_rocprim26transform_input_iterator_tIbPhNS6_6detail10functional5actorINSH_9compositeIJNSH_27transparent_binary_operatorINS6_8equal_toIvEEEENSI_INSH_8argumentILj0EEEEENSH_5valueIhEEEEEEEEENSD_19counting_iterator_tIlEES8_S8_S8_S8_S8_S8_S8_S8_EEEEPS9_S9_NSD_9__find_if7functorIS9_EEEE10hipError_tPvRmT1_T2_T3_mT4_P12ihipStream_tbEUlT_E0_NS1_11comp_targetILNS1_3genE0ELNS1_11target_archE4294967295ELNS1_3gpuE0ELNS1_3repE0EEENS1_30default_config_static_selectorELNS0_4arch9wavefront6targetE1EEEvS17_: ; @_ZN7rocprim17ROCPRIM_400000_NS6detail17trampoline_kernelINS0_14default_configENS1_22reduce_config_selectorIN6thrust23THRUST_200600_302600_NS5tupleIblNS6_9null_typeES8_S8_S8_S8_S8_S8_S8_EEEEZNS1_11reduce_implILb1ES3_NS6_12zip_iteratorINS7_INS6_11hip_rocprim26transform_input_iterator_tIbPhNS6_6detail10functional5actorINSH_9compositeIJNSH_27transparent_binary_operatorINS6_8equal_toIvEEEENSI_INSH_8argumentILj0EEEEENSH_5valueIhEEEEEEEEENSD_19counting_iterator_tIlEES8_S8_S8_S8_S8_S8_S8_S8_EEEEPS9_S9_NSD_9__find_if7functorIS9_EEEE10hipError_tPvRmT1_T2_T3_mT4_P12ihipStream_tbEUlT_E0_NS1_11comp_targetILNS1_3genE0ELNS1_11target_archE4294967295ELNS1_3gpuE0ELNS1_3repE0EEENS1_30default_config_static_selectorELNS0_4arch9wavefront6targetE1EEEvS17_
; %bb.0:
	.section	.rodata,"a",@progbits
	.p2align	6, 0x0
	.amdhsa_kernel _ZN7rocprim17ROCPRIM_400000_NS6detail17trampoline_kernelINS0_14default_configENS1_22reduce_config_selectorIN6thrust23THRUST_200600_302600_NS5tupleIblNS6_9null_typeES8_S8_S8_S8_S8_S8_S8_EEEEZNS1_11reduce_implILb1ES3_NS6_12zip_iteratorINS7_INS6_11hip_rocprim26transform_input_iterator_tIbPhNS6_6detail10functional5actorINSH_9compositeIJNSH_27transparent_binary_operatorINS6_8equal_toIvEEEENSI_INSH_8argumentILj0EEEEENSH_5valueIhEEEEEEEEENSD_19counting_iterator_tIlEES8_S8_S8_S8_S8_S8_S8_S8_EEEEPS9_S9_NSD_9__find_if7functorIS9_EEEE10hipError_tPvRmT1_T2_T3_mT4_P12ihipStream_tbEUlT_E0_NS1_11comp_targetILNS1_3genE0ELNS1_11target_archE4294967295ELNS1_3gpuE0ELNS1_3repE0EEENS1_30default_config_static_selectorELNS0_4arch9wavefront6targetE1EEEvS17_
		.amdhsa_group_segment_fixed_size 0
		.amdhsa_private_segment_fixed_size 0
		.amdhsa_kernarg_size 88
		.amdhsa_user_sgpr_count 6
		.amdhsa_user_sgpr_private_segment_buffer 1
		.amdhsa_user_sgpr_dispatch_ptr 0
		.amdhsa_user_sgpr_queue_ptr 0
		.amdhsa_user_sgpr_kernarg_segment_ptr 1
		.amdhsa_user_sgpr_dispatch_id 0
		.amdhsa_user_sgpr_flat_scratch_init 0
		.amdhsa_user_sgpr_kernarg_preload_length 0
		.amdhsa_user_sgpr_kernarg_preload_offset 0
		.amdhsa_user_sgpr_private_segment_size 0
		.amdhsa_uses_dynamic_stack 0
		.amdhsa_system_sgpr_private_segment_wavefront_offset 0
		.amdhsa_system_sgpr_workgroup_id_x 1
		.amdhsa_system_sgpr_workgroup_id_y 0
		.amdhsa_system_sgpr_workgroup_id_z 0
		.amdhsa_system_sgpr_workgroup_info 0
		.amdhsa_system_vgpr_workitem_id 0
		.amdhsa_next_free_vgpr 1
		.amdhsa_next_free_sgpr 0
		.amdhsa_accum_offset 4
		.amdhsa_reserve_vcc 0
		.amdhsa_reserve_flat_scratch 0
		.amdhsa_float_round_mode_32 0
		.amdhsa_float_round_mode_16_64 0
		.amdhsa_float_denorm_mode_32 3
		.amdhsa_float_denorm_mode_16_64 3
		.amdhsa_dx10_clamp 1
		.amdhsa_ieee_mode 1
		.amdhsa_fp16_overflow 0
		.amdhsa_tg_split 0
		.amdhsa_exception_fp_ieee_invalid_op 0
		.amdhsa_exception_fp_denorm_src 0
		.amdhsa_exception_fp_ieee_div_zero 0
		.amdhsa_exception_fp_ieee_overflow 0
		.amdhsa_exception_fp_ieee_underflow 0
		.amdhsa_exception_fp_ieee_inexact 0
		.amdhsa_exception_int_div_zero 0
	.end_amdhsa_kernel
	.section	.text._ZN7rocprim17ROCPRIM_400000_NS6detail17trampoline_kernelINS0_14default_configENS1_22reduce_config_selectorIN6thrust23THRUST_200600_302600_NS5tupleIblNS6_9null_typeES8_S8_S8_S8_S8_S8_S8_EEEEZNS1_11reduce_implILb1ES3_NS6_12zip_iteratorINS7_INS6_11hip_rocprim26transform_input_iterator_tIbPhNS6_6detail10functional5actorINSH_9compositeIJNSH_27transparent_binary_operatorINS6_8equal_toIvEEEENSI_INSH_8argumentILj0EEEEENSH_5valueIhEEEEEEEEENSD_19counting_iterator_tIlEES8_S8_S8_S8_S8_S8_S8_S8_EEEEPS9_S9_NSD_9__find_if7functorIS9_EEEE10hipError_tPvRmT1_T2_T3_mT4_P12ihipStream_tbEUlT_E0_NS1_11comp_targetILNS1_3genE0ELNS1_11target_archE4294967295ELNS1_3gpuE0ELNS1_3repE0EEENS1_30default_config_static_selectorELNS0_4arch9wavefront6targetE1EEEvS17_,"axG",@progbits,_ZN7rocprim17ROCPRIM_400000_NS6detail17trampoline_kernelINS0_14default_configENS1_22reduce_config_selectorIN6thrust23THRUST_200600_302600_NS5tupleIblNS6_9null_typeES8_S8_S8_S8_S8_S8_S8_EEEEZNS1_11reduce_implILb1ES3_NS6_12zip_iteratorINS7_INS6_11hip_rocprim26transform_input_iterator_tIbPhNS6_6detail10functional5actorINSH_9compositeIJNSH_27transparent_binary_operatorINS6_8equal_toIvEEEENSI_INSH_8argumentILj0EEEEENSH_5valueIhEEEEEEEEENSD_19counting_iterator_tIlEES8_S8_S8_S8_S8_S8_S8_S8_EEEEPS9_S9_NSD_9__find_if7functorIS9_EEEE10hipError_tPvRmT1_T2_T3_mT4_P12ihipStream_tbEUlT_E0_NS1_11comp_targetILNS1_3genE0ELNS1_11target_archE4294967295ELNS1_3gpuE0ELNS1_3repE0EEENS1_30default_config_static_selectorELNS0_4arch9wavefront6targetE1EEEvS17_,comdat
.Lfunc_end442:
	.size	_ZN7rocprim17ROCPRIM_400000_NS6detail17trampoline_kernelINS0_14default_configENS1_22reduce_config_selectorIN6thrust23THRUST_200600_302600_NS5tupleIblNS6_9null_typeES8_S8_S8_S8_S8_S8_S8_EEEEZNS1_11reduce_implILb1ES3_NS6_12zip_iteratorINS7_INS6_11hip_rocprim26transform_input_iterator_tIbPhNS6_6detail10functional5actorINSH_9compositeIJNSH_27transparent_binary_operatorINS6_8equal_toIvEEEENSI_INSH_8argumentILj0EEEEENSH_5valueIhEEEEEEEEENSD_19counting_iterator_tIlEES8_S8_S8_S8_S8_S8_S8_S8_EEEEPS9_S9_NSD_9__find_if7functorIS9_EEEE10hipError_tPvRmT1_T2_T3_mT4_P12ihipStream_tbEUlT_E0_NS1_11comp_targetILNS1_3genE0ELNS1_11target_archE4294967295ELNS1_3gpuE0ELNS1_3repE0EEENS1_30default_config_static_selectorELNS0_4arch9wavefront6targetE1EEEvS17_, .Lfunc_end442-_ZN7rocprim17ROCPRIM_400000_NS6detail17trampoline_kernelINS0_14default_configENS1_22reduce_config_selectorIN6thrust23THRUST_200600_302600_NS5tupleIblNS6_9null_typeES8_S8_S8_S8_S8_S8_S8_EEEEZNS1_11reduce_implILb1ES3_NS6_12zip_iteratorINS7_INS6_11hip_rocprim26transform_input_iterator_tIbPhNS6_6detail10functional5actorINSH_9compositeIJNSH_27transparent_binary_operatorINS6_8equal_toIvEEEENSI_INSH_8argumentILj0EEEEENSH_5valueIhEEEEEEEEENSD_19counting_iterator_tIlEES8_S8_S8_S8_S8_S8_S8_S8_EEEEPS9_S9_NSD_9__find_if7functorIS9_EEEE10hipError_tPvRmT1_T2_T3_mT4_P12ihipStream_tbEUlT_E0_NS1_11comp_targetILNS1_3genE0ELNS1_11target_archE4294967295ELNS1_3gpuE0ELNS1_3repE0EEENS1_30default_config_static_selectorELNS0_4arch9wavefront6targetE1EEEvS17_
                                        ; -- End function
	.section	.AMDGPU.csdata,"",@progbits
; Kernel info:
; codeLenInByte = 0
; NumSgprs: 4
; NumVgprs: 0
; NumAgprs: 0
; TotalNumVgprs: 0
; ScratchSize: 0
; MemoryBound: 0
; FloatMode: 240
; IeeeMode: 1
; LDSByteSize: 0 bytes/workgroup (compile time only)
; SGPRBlocks: 0
; VGPRBlocks: 0
; NumSGPRsForWavesPerEU: 4
; NumVGPRsForWavesPerEU: 1
; AccumOffset: 4
; Occupancy: 8
; WaveLimiterHint : 0
; COMPUTE_PGM_RSRC2:SCRATCH_EN: 0
; COMPUTE_PGM_RSRC2:USER_SGPR: 6
; COMPUTE_PGM_RSRC2:TRAP_HANDLER: 0
; COMPUTE_PGM_RSRC2:TGID_X_EN: 1
; COMPUTE_PGM_RSRC2:TGID_Y_EN: 0
; COMPUTE_PGM_RSRC2:TGID_Z_EN: 0
; COMPUTE_PGM_RSRC2:TIDIG_COMP_CNT: 0
; COMPUTE_PGM_RSRC3_GFX90A:ACCUM_OFFSET: 0
; COMPUTE_PGM_RSRC3_GFX90A:TG_SPLIT: 0
	.section	.text._ZN7rocprim17ROCPRIM_400000_NS6detail17trampoline_kernelINS0_14default_configENS1_22reduce_config_selectorIN6thrust23THRUST_200600_302600_NS5tupleIblNS6_9null_typeES8_S8_S8_S8_S8_S8_S8_EEEEZNS1_11reduce_implILb1ES3_NS6_12zip_iteratorINS7_INS6_11hip_rocprim26transform_input_iterator_tIbPhNS6_6detail10functional5actorINSH_9compositeIJNSH_27transparent_binary_operatorINS6_8equal_toIvEEEENSI_INSH_8argumentILj0EEEEENSH_5valueIhEEEEEEEEENSD_19counting_iterator_tIlEES8_S8_S8_S8_S8_S8_S8_S8_EEEEPS9_S9_NSD_9__find_if7functorIS9_EEEE10hipError_tPvRmT1_T2_T3_mT4_P12ihipStream_tbEUlT_E0_NS1_11comp_targetILNS1_3genE5ELNS1_11target_archE942ELNS1_3gpuE9ELNS1_3repE0EEENS1_30default_config_static_selectorELNS0_4arch9wavefront6targetE1EEEvS17_,"axG",@progbits,_ZN7rocprim17ROCPRIM_400000_NS6detail17trampoline_kernelINS0_14default_configENS1_22reduce_config_selectorIN6thrust23THRUST_200600_302600_NS5tupleIblNS6_9null_typeES8_S8_S8_S8_S8_S8_S8_EEEEZNS1_11reduce_implILb1ES3_NS6_12zip_iteratorINS7_INS6_11hip_rocprim26transform_input_iterator_tIbPhNS6_6detail10functional5actorINSH_9compositeIJNSH_27transparent_binary_operatorINS6_8equal_toIvEEEENSI_INSH_8argumentILj0EEEEENSH_5valueIhEEEEEEEEENSD_19counting_iterator_tIlEES8_S8_S8_S8_S8_S8_S8_S8_EEEEPS9_S9_NSD_9__find_if7functorIS9_EEEE10hipError_tPvRmT1_T2_T3_mT4_P12ihipStream_tbEUlT_E0_NS1_11comp_targetILNS1_3genE5ELNS1_11target_archE942ELNS1_3gpuE9ELNS1_3repE0EEENS1_30default_config_static_selectorELNS0_4arch9wavefront6targetE1EEEvS17_,comdat
	.protected	_ZN7rocprim17ROCPRIM_400000_NS6detail17trampoline_kernelINS0_14default_configENS1_22reduce_config_selectorIN6thrust23THRUST_200600_302600_NS5tupleIblNS6_9null_typeES8_S8_S8_S8_S8_S8_S8_EEEEZNS1_11reduce_implILb1ES3_NS6_12zip_iteratorINS7_INS6_11hip_rocprim26transform_input_iterator_tIbPhNS6_6detail10functional5actorINSH_9compositeIJNSH_27transparent_binary_operatorINS6_8equal_toIvEEEENSI_INSH_8argumentILj0EEEEENSH_5valueIhEEEEEEEEENSD_19counting_iterator_tIlEES8_S8_S8_S8_S8_S8_S8_S8_EEEEPS9_S9_NSD_9__find_if7functorIS9_EEEE10hipError_tPvRmT1_T2_T3_mT4_P12ihipStream_tbEUlT_E0_NS1_11comp_targetILNS1_3genE5ELNS1_11target_archE942ELNS1_3gpuE9ELNS1_3repE0EEENS1_30default_config_static_selectorELNS0_4arch9wavefront6targetE1EEEvS17_ ; -- Begin function _ZN7rocprim17ROCPRIM_400000_NS6detail17trampoline_kernelINS0_14default_configENS1_22reduce_config_selectorIN6thrust23THRUST_200600_302600_NS5tupleIblNS6_9null_typeES8_S8_S8_S8_S8_S8_S8_EEEEZNS1_11reduce_implILb1ES3_NS6_12zip_iteratorINS7_INS6_11hip_rocprim26transform_input_iterator_tIbPhNS6_6detail10functional5actorINSH_9compositeIJNSH_27transparent_binary_operatorINS6_8equal_toIvEEEENSI_INSH_8argumentILj0EEEEENSH_5valueIhEEEEEEEEENSD_19counting_iterator_tIlEES8_S8_S8_S8_S8_S8_S8_S8_EEEEPS9_S9_NSD_9__find_if7functorIS9_EEEE10hipError_tPvRmT1_T2_T3_mT4_P12ihipStream_tbEUlT_E0_NS1_11comp_targetILNS1_3genE5ELNS1_11target_archE942ELNS1_3gpuE9ELNS1_3repE0EEENS1_30default_config_static_selectorELNS0_4arch9wavefront6targetE1EEEvS17_
	.globl	_ZN7rocprim17ROCPRIM_400000_NS6detail17trampoline_kernelINS0_14default_configENS1_22reduce_config_selectorIN6thrust23THRUST_200600_302600_NS5tupleIblNS6_9null_typeES8_S8_S8_S8_S8_S8_S8_EEEEZNS1_11reduce_implILb1ES3_NS6_12zip_iteratorINS7_INS6_11hip_rocprim26transform_input_iterator_tIbPhNS6_6detail10functional5actorINSH_9compositeIJNSH_27transparent_binary_operatorINS6_8equal_toIvEEEENSI_INSH_8argumentILj0EEEEENSH_5valueIhEEEEEEEEENSD_19counting_iterator_tIlEES8_S8_S8_S8_S8_S8_S8_S8_EEEEPS9_S9_NSD_9__find_if7functorIS9_EEEE10hipError_tPvRmT1_T2_T3_mT4_P12ihipStream_tbEUlT_E0_NS1_11comp_targetILNS1_3genE5ELNS1_11target_archE942ELNS1_3gpuE9ELNS1_3repE0EEENS1_30default_config_static_selectorELNS0_4arch9wavefront6targetE1EEEvS17_
	.p2align	8
	.type	_ZN7rocprim17ROCPRIM_400000_NS6detail17trampoline_kernelINS0_14default_configENS1_22reduce_config_selectorIN6thrust23THRUST_200600_302600_NS5tupleIblNS6_9null_typeES8_S8_S8_S8_S8_S8_S8_EEEEZNS1_11reduce_implILb1ES3_NS6_12zip_iteratorINS7_INS6_11hip_rocprim26transform_input_iterator_tIbPhNS6_6detail10functional5actorINSH_9compositeIJNSH_27transparent_binary_operatorINS6_8equal_toIvEEEENSI_INSH_8argumentILj0EEEEENSH_5valueIhEEEEEEEEENSD_19counting_iterator_tIlEES8_S8_S8_S8_S8_S8_S8_S8_EEEEPS9_S9_NSD_9__find_if7functorIS9_EEEE10hipError_tPvRmT1_T2_T3_mT4_P12ihipStream_tbEUlT_E0_NS1_11comp_targetILNS1_3genE5ELNS1_11target_archE942ELNS1_3gpuE9ELNS1_3repE0EEENS1_30default_config_static_selectorELNS0_4arch9wavefront6targetE1EEEvS17_,@function
_ZN7rocprim17ROCPRIM_400000_NS6detail17trampoline_kernelINS0_14default_configENS1_22reduce_config_selectorIN6thrust23THRUST_200600_302600_NS5tupleIblNS6_9null_typeES8_S8_S8_S8_S8_S8_S8_EEEEZNS1_11reduce_implILb1ES3_NS6_12zip_iteratorINS7_INS6_11hip_rocprim26transform_input_iterator_tIbPhNS6_6detail10functional5actorINSH_9compositeIJNSH_27transparent_binary_operatorINS6_8equal_toIvEEEENSI_INSH_8argumentILj0EEEEENSH_5valueIhEEEEEEEEENSD_19counting_iterator_tIlEES8_S8_S8_S8_S8_S8_S8_S8_EEEEPS9_S9_NSD_9__find_if7functorIS9_EEEE10hipError_tPvRmT1_T2_T3_mT4_P12ihipStream_tbEUlT_E0_NS1_11comp_targetILNS1_3genE5ELNS1_11target_archE942ELNS1_3gpuE9ELNS1_3repE0EEENS1_30default_config_static_selectorELNS0_4arch9wavefront6targetE1EEEvS17_: ; @_ZN7rocprim17ROCPRIM_400000_NS6detail17trampoline_kernelINS0_14default_configENS1_22reduce_config_selectorIN6thrust23THRUST_200600_302600_NS5tupleIblNS6_9null_typeES8_S8_S8_S8_S8_S8_S8_EEEEZNS1_11reduce_implILb1ES3_NS6_12zip_iteratorINS7_INS6_11hip_rocprim26transform_input_iterator_tIbPhNS6_6detail10functional5actorINSH_9compositeIJNSH_27transparent_binary_operatorINS6_8equal_toIvEEEENSI_INSH_8argumentILj0EEEEENSH_5valueIhEEEEEEEEENSD_19counting_iterator_tIlEES8_S8_S8_S8_S8_S8_S8_S8_EEEEPS9_S9_NSD_9__find_if7functorIS9_EEEE10hipError_tPvRmT1_T2_T3_mT4_P12ihipStream_tbEUlT_E0_NS1_11comp_targetILNS1_3genE5ELNS1_11target_archE942ELNS1_3gpuE9ELNS1_3repE0EEENS1_30default_config_static_selectorELNS0_4arch9wavefront6targetE1EEEvS17_
; %bb.0:
	.section	.rodata,"a",@progbits
	.p2align	6, 0x0
	.amdhsa_kernel _ZN7rocprim17ROCPRIM_400000_NS6detail17trampoline_kernelINS0_14default_configENS1_22reduce_config_selectorIN6thrust23THRUST_200600_302600_NS5tupleIblNS6_9null_typeES8_S8_S8_S8_S8_S8_S8_EEEEZNS1_11reduce_implILb1ES3_NS6_12zip_iteratorINS7_INS6_11hip_rocprim26transform_input_iterator_tIbPhNS6_6detail10functional5actorINSH_9compositeIJNSH_27transparent_binary_operatorINS6_8equal_toIvEEEENSI_INSH_8argumentILj0EEEEENSH_5valueIhEEEEEEEEENSD_19counting_iterator_tIlEES8_S8_S8_S8_S8_S8_S8_S8_EEEEPS9_S9_NSD_9__find_if7functorIS9_EEEE10hipError_tPvRmT1_T2_T3_mT4_P12ihipStream_tbEUlT_E0_NS1_11comp_targetILNS1_3genE5ELNS1_11target_archE942ELNS1_3gpuE9ELNS1_3repE0EEENS1_30default_config_static_selectorELNS0_4arch9wavefront6targetE1EEEvS17_
		.amdhsa_group_segment_fixed_size 0
		.amdhsa_private_segment_fixed_size 0
		.amdhsa_kernarg_size 88
		.amdhsa_user_sgpr_count 6
		.amdhsa_user_sgpr_private_segment_buffer 1
		.amdhsa_user_sgpr_dispatch_ptr 0
		.amdhsa_user_sgpr_queue_ptr 0
		.amdhsa_user_sgpr_kernarg_segment_ptr 1
		.amdhsa_user_sgpr_dispatch_id 0
		.amdhsa_user_sgpr_flat_scratch_init 0
		.amdhsa_user_sgpr_kernarg_preload_length 0
		.amdhsa_user_sgpr_kernarg_preload_offset 0
		.amdhsa_user_sgpr_private_segment_size 0
		.amdhsa_uses_dynamic_stack 0
		.amdhsa_system_sgpr_private_segment_wavefront_offset 0
		.amdhsa_system_sgpr_workgroup_id_x 1
		.amdhsa_system_sgpr_workgroup_id_y 0
		.amdhsa_system_sgpr_workgroup_id_z 0
		.amdhsa_system_sgpr_workgroup_info 0
		.amdhsa_system_vgpr_workitem_id 0
		.amdhsa_next_free_vgpr 1
		.amdhsa_next_free_sgpr 0
		.amdhsa_accum_offset 4
		.amdhsa_reserve_vcc 0
		.amdhsa_reserve_flat_scratch 0
		.amdhsa_float_round_mode_32 0
		.amdhsa_float_round_mode_16_64 0
		.amdhsa_float_denorm_mode_32 3
		.amdhsa_float_denorm_mode_16_64 3
		.amdhsa_dx10_clamp 1
		.amdhsa_ieee_mode 1
		.amdhsa_fp16_overflow 0
		.amdhsa_tg_split 0
		.amdhsa_exception_fp_ieee_invalid_op 0
		.amdhsa_exception_fp_denorm_src 0
		.amdhsa_exception_fp_ieee_div_zero 0
		.amdhsa_exception_fp_ieee_overflow 0
		.amdhsa_exception_fp_ieee_underflow 0
		.amdhsa_exception_fp_ieee_inexact 0
		.amdhsa_exception_int_div_zero 0
	.end_amdhsa_kernel
	.section	.text._ZN7rocprim17ROCPRIM_400000_NS6detail17trampoline_kernelINS0_14default_configENS1_22reduce_config_selectorIN6thrust23THRUST_200600_302600_NS5tupleIblNS6_9null_typeES8_S8_S8_S8_S8_S8_S8_EEEEZNS1_11reduce_implILb1ES3_NS6_12zip_iteratorINS7_INS6_11hip_rocprim26transform_input_iterator_tIbPhNS6_6detail10functional5actorINSH_9compositeIJNSH_27transparent_binary_operatorINS6_8equal_toIvEEEENSI_INSH_8argumentILj0EEEEENSH_5valueIhEEEEEEEEENSD_19counting_iterator_tIlEES8_S8_S8_S8_S8_S8_S8_S8_EEEEPS9_S9_NSD_9__find_if7functorIS9_EEEE10hipError_tPvRmT1_T2_T3_mT4_P12ihipStream_tbEUlT_E0_NS1_11comp_targetILNS1_3genE5ELNS1_11target_archE942ELNS1_3gpuE9ELNS1_3repE0EEENS1_30default_config_static_selectorELNS0_4arch9wavefront6targetE1EEEvS17_,"axG",@progbits,_ZN7rocprim17ROCPRIM_400000_NS6detail17trampoline_kernelINS0_14default_configENS1_22reduce_config_selectorIN6thrust23THRUST_200600_302600_NS5tupleIblNS6_9null_typeES8_S8_S8_S8_S8_S8_S8_EEEEZNS1_11reduce_implILb1ES3_NS6_12zip_iteratorINS7_INS6_11hip_rocprim26transform_input_iterator_tIbPhNS6_6detail10functional5actorINSH_9compositeIJNSH_27transparent_binary_operatorINS6_8equal_toIvEEEENSI_INSH_8argumentILj0EEEEENSH_5valueIhEEEEEEEEENSD_19counting_iterator_tIlEES8_S8_S8_S8_S8_S8_S8_S8_EEEEPS9_S9_NSD_9__find_if7functorIS9_EEEE10hipError_tPvRmT1_T2_T3_mT4_P12ihipStream_tbEUlT_E0_NS1_11comp_targetILNS1_3genE5ELNS1_11target_archE942ELNS1_3gpuE9ELNS1_3repE0EEENS1_30default_config_static_selectorELNS0_4arch9wavefront6targetE1EEEvS17_,comdat
.Lfunc_end443:
	.size	_ZN7rocprim17ROCPRIM_400000_NS6detail17trampoline_kernelINS0_14default_configENS1_22reduce_config_selectorIN6thrust23THRUST_200600_302600_NS5tupleIblNS6_9null_typeES8_S8_S8_S8_S8_S8_S8_EEEEZNS1_11reduce_implILb1ES3_NS6_12zip_iteratorINS7_INS6_11hip_rocprim26transform_input_iterator_tIbPhNS6_6detail10functional5actorINSH_9compositeIJNSH_27transparent_binary_operatorINS6_8equal_toIvEEEENSI_INSH_8argumentILj0EEEEENSH_5valueIhEEEEEEEEENSD_19counting_iterator_tIlEES8_S8_S8_S8_S8_S8_S8_S8_EEEEPS9_S9_NSD_9__find_if7functorIS9_EEEE10hipError_tPvRmT1_T2_T3_mT4_P12ihipStream_tbEUlT_E0_NS1_11comp_targetILNS1_3genE5ELNS1_11target_archE942ELNS1_3gpuE9ELNS1_3repE0EEENS1_30default_config_static_selectorELNS0_4arch9wavefront6targetE1EEEvS17_, .Lfunc_end443-_ZN7rocprim17ROCPRIM_400000_NS6detail17trampoline_kernelINS0_14default_configENS1_22reduce_config_selectorIN6thrust23THRUST_200600_302600_NS5tupleIblNS6_9null_typeES8_S8_S8_S8_S8_S8_S8_EEEEZNS1_11reduce_implILb1ES3_NS6_12zip_iteratorINS7_INS6_11hip_rocprim26transform_input_iterator_tIbPhNS6_6detail10functional5actorINSH_9compositeIJNSH_27transparent_binary_operatorINS6_8equal_toIvEEEENSI_INSH_8argumentILj0EEEEENSH_5valueIhEEEEEEEEENSD_19counting_iterator_tIlEES8_S8_S8_S8_S8_S8_S8_S8_EEEEPS9_S9_NSD_9__find_if7functorIS9_EEEE10hipError_tPvRmT1_T2_T3_mT4_P12ihipStream_tbEUlT_E0_NS1_11comp_targetILNS1_3genE5ELNS1_11target_archE942ELNS1_3gpuE9ELNS1_3repE0EEENS1_30default_config_static_selectorELNS0_4arch9wavefront6targetE1EEEvS17_
                                        ; -- End function
	.section	.AMDGPU.csdata,"",@progbits
; Kernel info:
; codeLenInByte = 0
; NumSgprs: 4
; NumVgprs: 0
; NumAgprs: 0
; TotalNumVgprs: 0
; ScratchSize: 0
; MemoryBound: 0
; FloatMode: 240
; IeeeMode: 1
; LDSByteSize: 0 bytes/workgroup (compile time only)
; SGPRBlocks: 0
; VGPRBlocks: 0
; NumSGPRsForWavesPerEU: 4
; NumVGPRsForWavesPerEU: 1
; AccumOffset: 4
; Occupancy: 8
; WaveLimiterHint : 0
; COMPUTE_PGM_RSRC2:SCRATCH_EN: 0
; COMPUTE_PGM_RSRC2:USER_SGPR: 6
; COMPUTE_PGM_RSRC2:TRAP_HANDLER: 0
; COMPUTE_PGM_RSRC2:TGID_X_EN: 1
; COMPUTE_PGM_RSRC2:TGID_Y_EN: 0
; COMPUTE_PGM_RSRC2:TGID_Z_EN: 0
; COMPUTE_PGM_RSRC2:TIDIG_COMP_CNT: 0
; COMPUTE_PGM_RSRC3_GFX90A:ACCUM_OFFSET: 0
; COMPUTE_PGM_RSRC3_GFX90A:TG_SPLIT: 0
	.section	.text._ZN7rocprim17ROCPRIM_400000_NS6detail17trampoline_kernelINS0_14default_configENS1_22reduce_config_selectorIN6thrust23THRUST_200600_302600_NS5tupleIblNS6_9null_typeES8_S8_S8_S8_S8_S8_S8_EEEEZNS1_11reduce_implILb1ES3_NS6_12zip_iteratorINS7_INS6_11hip_rocprim26transform_input_iterator_tIbPhNS6_6detail10functional5actorINSH_9compositeIJNSH_27transparent_binary_operatorINS6_8equal_toIvEEEENSI_INSH_8argumentILj0EEEEENSH_5valueIhEEEEEEEEENSD_19counting_iterator_tIlEES8_S8_S8_S8_S8_S8_S8_S8_EEEEPS9_S9_NSD_9__find_if7functorIS9_EEEE10hipError_tPvRmT1_T2_T3_mT4_P12ihipStream_tbEUlT_E0_NS1_11comp_targetILNS1_3genE4ELNS1_11target_archE910ELNS1_3gpuE8ELNS1_3repE0EEENS1_30default_config_static_selectorELNS0_4arch9wavefront6targetE1EEEvS17_,"axG",@progbits,_ZN7rocprim17ROCPRIM_400000_NS6detail17trampoline_kernelINS0_14default_configENS1_22reduce_config_selectorIN6thrust23THRUST_200600_302600_NS5tupleIblNS6_9null_typeES8_S8_S8_S8_S8_S8_S8_EEEEZNS1_11reduce_implILb1ES3_NS6_12zip_iteratorINS7_INS6_11hip_rocprim26transform_input_iterator_tIbPhNS6_6detail10functional5actorINSH_9compositeIJNSH_27transparent_binary_operatorINS6_8equal_toIvEEEENSI_INSH_8argumentILj0EEEEENSH_5valueIhEEEEEEEEENSD_19counting_iterator_tIlEES8_S8_S8_S8_S8_S8_S8_S8_EEEEPS9_S9_NSD_9__find_if7functorIS9_EEEE10hipError_tPvRmT1_T2_T3_mT4_P12ihipStream_tbEUlT_E0_NS1_11comp_targetILNS1_3genE4ELNS1_11target_archE910ELNS1_3gpuE8ELNS1_3repE0EEENS1_30default_config_static_selectorELNS0_4arch9wavefront6targetE1EEEvS17_,comdat
	.protected	_ZN7rocprim17ROCPRIM_400000_NS6detail17trampoline_kernelINS0_14default_configENS1_22reduce_config_selectorIN6thrust23THRUST_200600_302600_NS5tupleIblNS6_9null_typeES8_S8_S8_S8_S8_S8_S8_EEEEZNS1_11reduce_implILb1ES3_NS6_12zip_iteratorINS7_INS6_11hip_rocprim26transform_input_iterator_tIbPhNS6_6detail10functional5actorINSH_9compositeIJNSH_27transparent_binary_operatorINS6_8equal_toIvEEEENSI_INSH_8argumentILj0EEEEENSH_5valueIhEEEEEEEEENSD_19counting_iterator_tIlEES8_S8_S8_S8_S8_S8_S8_S8_EEEEPS9_S9_NSD_9__find_if7functorIS9_EEEE10hipError_tPvRmT1_T2_T3_mT4_P12ihipStream_tbEUlT_E0_NS1_11comp_targetILNS1_3genE4ELNS1_11target_archE910ELNS1_3gpuE8ELNS1_3repE0EEENS1_30default_config_static_selectorELNS0_4arch9wavefront6targetE1EEEvS17_ ; -- Begin function _ZN7rocprim17ROCPRIM_400000_NS6detail17trampoline_kernelINS0_14default_configENS1_22reduce_config_selectorIN6thrust23THRUST_200600_302600_NS5tupleIblNS6_9null_typeES8_S8_S8_S8_S8_S8_S8_EEEEZNS1_11reduce_implILb1ES3_NS6_12zip_iteratorINS7_INS6_11hip_rocprim26transform_input_iterator_tIbPhNS6_6detail10functional5actorINSH_9compositeIJNSH_27transparent_binary_operatorINS6_8equal_toIvEEEENSI_INSH_8argumentILj0EEEEENSH_5valueIhEEEEEEEEENSD_19counting_iterator_tIlEES8_S8_S8_S8_S8_S8_S8_S8_EEEEPS9_S9_NSD_9__find_if7functorIS9_EEEE10hipError_tPvRmT1_T2_T3_mT4_P12ihipStream_tbEUlT_E0_NS1_11comp_targetILNS1_3genE4ELNS1_11target_archE910ELNS1_3gpuE8ELNS1_3repE0EEENS1_30default_config_static_selectorELNS0_4arch9wavefront6targetE1EEEvS17_
	.globl	_ZN7rocprim17ROCPRIM_400000_NS6detail17trampoline_kernelINS0_14default_configENS1_22reduce_config_selectorIN6thrust23THRUST_200600_302600_NS5tupleIblNS6_9null_typeES8_S8_S8_S8_S8_S8_S8_EEEEZNS1_11reduce_implILb1ES3_NS6_12zip_iteratorINS7_INS6_11hip_rocprim26transform_input_iterator_tIbPhNS6_6detail10functional5actorINSH_9compositeIJNSH_27transparent_binary_operatorINS6_8equal_toIvEEEENSI_INSH_8argumentILj0EEEEENSH_5valueIhEEEEEEEEENSD_19counting_iterator_tIlEES8_S8_S8_S8_S8_S8_S8_S8_EEEEPS9_S9_NSD_9__find_if7functorIS9_EEEE10hipError_tPvRmT1_T2_T3_mT4_P12ihipStream_tbEUlT_E0_NS1_11comp_targetILNS1_3genE4ELNS1_11target_archE910ELNS1_3gpuE8ELNS1_3repE0EEENS1_30default_config_static_selectorELNS0_4arch9wavefront6targetE1EEEvS17_
	.p2align	8
	.type	_ZN7rocprim17ROCPRIM_400000_NS6detail17trampoline_kernelINS0_14default_configENS1_22reduce_config_selectorIN6thrust23THRUST_200600_302600_NS5tupleIblNS6_9null_typeES8_S8_S8_S8_S8_S8_S8_EEEEZNS1_11reduce_implILb1ES3_NS6_12zip_iteratorINS7_INS6_11hip_rocprim26transform_input_iterator_tIbPhNS6_6detail10functional5actorINSH_9compositeIJNSH_27transparent_binary_operatorINS6_8equal_toIvEEEENSI_INSH_8argumentILj0EEEEENSH_5valueIhEEEEEEEEENSD_19counting_iterator_tIlEES8_S8_S8_S8_S8_S8_S8_S8_EEEEPS9_S9_NSD_9__find_if7functorIS9_EEEE10hipError_tPvRmT1_T2_T3_mT4_P12ihipStream_tbEUlT_E0_NS1_11comp_targetILNS1_3genE4ELNS1_11target_archE910ELNS1_3gpuE8ELNS1_3repE0EEENS1_30default_config_static_selectorELNS0_4arch9wavefront6targetE1EEEvS17_,@function
_ZN7rocprim17ROCPRIM_400000_NS6detail17trampoline_kernelINS0_14default_configENS1_22reduce_config_selectorIN6thrust23THRUST_200600_302600_NS5tupleIblNS6_9null_typeES8_S8_S8_S8_S8_S8_S8_EEEEZNS1_11reduce_implILb1ES3_NS6_12zip_iteratorINS7_INS6_11hip_rocprim26transform_input_iterator_tIbPhNS6_6detail10functional5actorINSH_9compositeIJNSH_27transparent_binary_operatorINS6_8equal_toIvEEEENSI_INSH_8argumentILj0EEEEENSH_5valueIhEEEEEEEEENSD_19counting_iterator_tIlEES8_S8_S8_S8_S8_S8_S8_S8_EEEEPS9_S9_NSD_9__find_if7functorIS9_EEEE10hipError_tPvRmT1_T2_T3_mT4_P12ihipStream_tbEUlT_E0_NS1_11comp_targetILNS1_3genE4ELNS1_11target_archE910ELNS1_3gpuE8ELNS1_3repE0EEENS1_30default_config_static_selectorELNS0_4arch9wavefront6targetE1EEEvS17_: ; @_ZN7rocprim17ROCPRIM_400000_NS6detail17trampoline_kernelINS0_14default_configENS1_22reduce_config_selectorIN6thrust23THRUST_200600_302600_NS5tupleIblNS6_9null_typeES8_S8_S8_S8_S8_S8_S8_EEEEZNS1_11reduce_implILb1ES3_NS6_12zip_iteratorINS7_INS6_11hip_rocprim26transform_input_iterator_tIbPhNS6_6detail10functional5actorINSH_9compositeIJNSH_27transparent_binary_operatorINS6_8equal_toIvEEEENSI_INSH_8argumentILj0EEEEENSH_5valueIhEEEEEEEEENSD_19counting_iterator_tIlEES8_S8_S8_S8_S8_S8_S8_S8_EEEEPS9_S9_NSD_9__find_if7functorIS9_EEEE10hipError_tPvRmT1_T2_T3_mT4_P12ihipStream_tbEUlT_E0_NS1_11comp_targetILNS1_3genE4ELNS1_11target_archE910ELNS1_3gpuE8ELNS1_3repE0EEENS1_30default_config_static_selectorELNS0_4arch9wavefront6targetE1EEEvS17_
; %bb.0:
	s_load_dwordx2 s[0:1], s[4:5], 0x0
	s_load_dword s2, s[4:5], 0x8
	s_load_dwordx8 s[8:15], s[4:5], 0x10
	s_load_dwordx4 s[16:19], s[4:5], 0x30
	s_mov_b32 s7, 0
	s_waitcnt lgkmcnt(0)
	s_lshr_b32 s22, s2, 16
	s_add_u32 s2, s0, s10
	s_addc_u32 s3, s1, s11
	s_lshl_b32 s23, s6, 9
	s_lshr_b64 s[0:1], s[12:13], 9
	s_add_u32 s20, s2, s23
	s_addc_u32 s21, s3, 0
	s_add_u32 s2, s8, s23
	s_addc_u32 s3, s9, 0
	;; [unrolled: 2-line block ×3, first 2 shown]
	s_cmp_lg_u64 s[0:1], s[6:7]
	s_cbranch_scc0 .LBB444_18
; %bb.1:
	global_load_ubyte v1, v0, s[20:21] offset:256
	global_load_ubyte v2, v0, s[20:21]
	v_mov_b32_e32 v3, s9
	v_add_co_u32_e32 v4, vcc, s8, v0
	v_addc_co_u32_e32 v3, vcc, 0, v3, vcc
	v_add_co_u32_e32 v5, vcc, 0x100, v4
	v_addc_co_u32_e32 v6, vcc, 0, v3, vcc
	s_waitcnt vmcnt(1)
	v_cmp_eq_u16_sdwa s[0:1], v1, s22 src0_sel:BYTE_0 src1_sel:BYTE_0
	s_waitcnt vmcnt(0)
	v_cmp_eq_u16_sdwa vcc, v2, s22 src0_sel:DWORD src1_sel:BYTE_0
	s_or_b64 s[0:1], vcc, s[0:1]
	v_cndmask_b32_e64 v1, 0, 1, s[0:1]
	v_cndmask_b32_e32 v3, v6, v3, vcc
	v_cndmask_b32_e32 v2, v5, v4, vcc
	v_mov_b32_dpp v6, v1 quad_perm:[1,0,3,2] row_mask:0xf bank_mask:0xf bound_ctrl:1
	v_and_b32_e32 v7, 1, v6
	v_mov_b32_dpp v4, v2 quad_perm:[1,0,3,2] row_mask:0xf bank_mask:0xf bound_ctrl:1
	v_mov_b32_dpp v5, v3 quad_perm:[1,0,3,2] row_mask:0xf bank_mask:0xf bound_ctrl:1
	v_cmp_eq_u32_e32 vcc, 1, v7
	s_and_saveexec_b64 s[2:3], vcc
; %bb.2:
	v_cmp_lt_i64_e32 vcc, v[2:3], v[4:5]
	v_cndmask_b32_e64 v6, v6, 1, s[0:1]
	s_and_b64 vcc, s[0:1], vcc
	v_cndmask_b32_e32 v2, v4, v2, vcc
	v_and_b32_e32 v4, 1, v6
	v_cndmask_b32_e32 v3, v5, v3, vcc
	v_cmp_eq_u32_e32 vcc, 1, v4
	s_andn2_b64 s[0:1], s[0:1], exec
	s_and_b64 s[10:11], vcc, exec
	v_and_b32_e32 v1, 0xff, v6
	s_or_b64 s[0:1], s[0:1], s[10:11]
; %bb.3:
	s_or_b64 exec, exec, s[2:3]
	v_mov_b32_dpp v6, v1 quad_perm:[2,3,0,1] row_mask:0xf bank_mask:0xf bound_ctrl:1
	v_and_b32_e32 v7, 1, v6
	v_mov_b32_dpp v4, v2 quad_perm:[2,3,0,1] row_mask:0xf bank_mask:0xf bound_ctrl:1
	v_mov_b32_dpp v5, v3 quad_perm:[2,3,0,1] row_mask:0xf bank_mask:0xf bound_ctrl:1
	v_cmp_eq_u32_e32 vcc, 1, v7
	s_and_saveexec_b64 s[2:3], vcc
; %bb.4:
	v_cmp_lt_i64_e32 vcc, v[2:3], v[4:5]
	v_cndmask_b32_e64 v6, v6, 1, s[0:1]
	s_and_b64 vcc, s[0:1], vcc
	v_cndmask_b32_e32 v2, v4, v2, vcc
	v_and_b32_e32 v4, 1, v6
	v_cndmask_b32_e32 v3, v5, v3, vcc
	v_cmp_eq_u32_e32 vcc, 1, v4
	s_andn2_b64 s[0:1], s[0:1], exec
	s_and_b64 s[10:11], vcc, exec
	v_and_b32_e32 v1, 0xff, v6
	s_or_b64 s[0:1], s[0:1], s[10:11]
; %bb.5:
	s_or_b64 exec, exec, s[2:3]
	v_mov_b32_dpp v6, v1 row_ror:4 row_mask:0xf bank_mask:0xf bound_ctrl:1
	v_and_b32_e32 v7, 1, v6
	v_mov_b32_dpp v4, v2 row_ror:4 row_mask:0xf bank_mask:0xf bound_ctrl:1
	v_mov_b32_dpp v5, v3 row_ror:4 row_mask:0xf bank_mask:0xf bound_ctrl:1
	v_cmp_eq_u32_e32 vcc, 1, v7
	s_and_saveexec_b64 s[2:3], vcc
; %bb.6:
	v_cmp_lt_i64_e32 vcc, v[2:3], v[4:5]
	v_cndmask_b32_e64 v6, v6, 1, s[0:1]
	s_and_b64 vcc, s[0:1], vcc
	v_cndmask_b32_e32 v2, v4, v2, vcc
	v_and_b32_e32 v4, 1, v6
	v_cndmask_b32_e32 v3, v5, v3, vcc
	v_cmp_eq_u32_e32 vcc, 1, v4
	s_andn2_b64 s[0:1], s[0:1], exec
	s_and_b64 s[10:11], vcc, exec
	v_and_b32_e32 v1, 0xff, v6
	s_or_b64 s[0:1], s[0:1], s[10:11]
; %bb.7:
	s_or_b64 exec, exec, s[2:3]
	v_mov_b32_dpp v6, v1 row_ror:8 row_mask:0xf bank_mask:0xf bound_ctrl:1
	v_and_b32_e32 v7, 1, v6
	v_mov_b32_dpp v4, v2 row_ror:8 row_mask:0xf bank_mask:0xf bound_ctrl:1
	v_mov_b32_dpp v5, v3 row_ror:8 row_mask:0xf bank_mask:0xf bound_ctrl:1
	v_cmp_eq_u32_e32 vcc, 1, v7
	s_and_saveexec_b64 s[2:3], vcc
; %bb.8:
	v_cmp_lt_i64_e32 vcc, v[2:3], v[4:5]
	v_cndmask_b32_e64 v6, v6, 1, s[0:1]
	s_and_b64 vcc, s[0:1], vcc
	v_cndmask_b32_e32 v2, v4, v2, vcc
	v_and_b32_e32 v4, 1, v6
	v_cndmask_b32_e32 v3, v5, v3, vcc
	v_cmp_eq_u32_e32 vcc, 1, v4
	s_andn2_b64 s[0:1], s[0:1], exec
	s_and_b64 s[10:11], vcc, exec
	v_and_b32_e32 v1, 0xff, v6
	s_or_b64 s[0:1], s[0:1], s[10:11]
; %bb.9:
	s_or_b64 exec, exec, s[2:3]
	v_mov_b32_dpp v6, v1 row_bcast:15 row_mask:0xf bank_mask:0xf bound_ctrl:1
	v_and_b32_e32 v7, 1, v6
	v_mov_b32_dpp v4, v2 row_bcast:15 row_mask:0xf bank_mask:0xf bound_ctrl:1
	v_mov_b32_dpp v5, v3 row_bcast:15 row_mask:0xf bank_mask:0xf bound_ctrl:1
	v_cmp_eq_u32_e32 vcc, 1, v7
	s_and_saveexec_b64 s[2:3], vcc
; %bb.10:
	v_cmp_lt_i64_e32 vcc, v[2:3], v[4:5]
	v_cndmask_b32_e64 v6, v6, 1, s[0:1]
	s_and_b64 vcc, s[0:1], vcc
	v_cndmask_b32_e32 v2, v4, v2, vcc
	v_and_b32_e32 v4, 1, v6
	v_cndmask_b32_e32 v3, v5, v3, vcc
	v_cmp_eq_u32_e32 vcc, 1, v4
	s_andn2_b64 s[0:1], s[0:1], exec
	s_and_b64 s[10:11], vcc, exec
	v_and_b32_e32 v1, 0xff, v6
	s_or_b64 s[0:1], s[0:1], s[10:11]
; %bb.11:
	s_or_b64 exec, exec, s[2:3]
	v_mov_b32_dpp v6, v1 row_bcast:31 row_mask:0xf bank_mask:0xf bound_ctrl:1
	v_and_b32_e32 v7, 1, v6
	v_mov_b32_dpp v4, v2 row_bcast:31 row_mask:0xf bank_mask:0xf bound_ctrl:1
	v_mov_b32_dpp v5, v3 row_bcast:31 row_mask:0xf bank_mask:0xf bound_ctrl:1
	v_cmp_eq_u32_e32 vcc, 1, v7
	s_and_saveexec_b64 s[2:3], vcc
; %bb.12:
	v_cmp_lt_i64_e32 vcc, v[2:3], v[4:5]
	v_and_b32_e32 v1, 0xff, v6
	s_and_b64 vcc, s[0:1], vcc
	v_cndmask_b32_e32 v2, v4, v2, vcc
	v_cndmask_b32_e32 v3, v5, v3, vcc
	v_cndmask_b32_e64 v1, v1, 1, s[0:1]
; %bb.13:
	s_or_b64 exec, exec, s[2:3]
	v_mbcnt_lo_u32_b32 v4, -1, 0
	v_mbcnt_hi_u32_b32 v4, -1, v4
	v_bfrev_b32_e32 v5, 0.5
	v_lshl_or_b32 v5, v4, 2, v5
	ds_bpermute_b32 v6, v5, v1
	ds_bpermute_b32 v2, v5, v2
	;; [unrolled: 1-line block ×3, first 2 shown]
	v_cmp_eq_u32_e32 vcc, 0, v4
	s_and_saveexec_b64 s[0:1], vcc
	s_cbranch_execz .LBB444_15
; %bb.14:
	v_lshrrev_b32_e32 v1, 2, v0
	v_and_b32_e32 v1, 48, v1
	s_waitcnt lgkmcnt(2)
	ds_write_b8 v1, v6
	s_waitcnt lgkmcnt(1)
	ds_write_b64 v1, v[2:3] offset:8
.LBB444_15:
	s_or_b64 exec, exec, s[0:1]
	v_cmp_gt_u32_e32 vcc, 64, v0
	s_waitcnt lgkmcnt(0)
	s_barrier
	s_and_saveexec_b64 s[2:3], vcc
	s_cbranch_execz .LBB444_17
; %bb.16:
	v_and_b32_e32 v1, 3, v4
	v_lshlrev_b32_e32 v2, 4, v1
	ds_read_u8 v5, v2
	ds_read_b64 v[2:3], v2 offset:8
	v_cmp_ne_u32_e32 vcc, 3, v1
	v_addc_co_u32_e32 v6, vcc, 0, v4, vcc
	s_waitcnt lgkmcnt(1)
	v_and_b32_e32 v7, 0xff, v5
	v_lshlrev_b32_e32 v8, 2, v6
	ds_bpermute_b32 v9, v8, v7
	s_waitcnt lgkmcnt(1)
	ds_bpermute_b32 v6, v8, v2
	ds_bpermute_b32 v7, v8, v3
	v_and_b32_e32 v8, 1, v5
	s_waitcnt lgkmcnt(2)
	v_and_b32_e32 v10, 1, v9
	v_cmp_eq_u32_e64 s[0:1], 1, v10
	s_waitcnt lgkmcnt(0)
	v_cmp_lt_i64_e32 vcc, v[6:7], v[2:3]
	s_and_b64 vcc, s[0:1], vcc
	v_cndmask_b32_e64 v5, v5, 1, s[0:1]
	v_cndmask_b32_e32 v2, v2, v6, vcc
	v_cndmask_b32_e32 v3, v3, v7, vcc
	v_cmp_eq_u32_e32 vcc, 1, v8
	v_cndmask_b32_e32 v8, v9, v5, vcc
	v_cndmask_b32_e32 v3, v7, v3, vcc
	;; [unrolled: 1-line block ×3, first 2 shown]
	v_cmp_gt_u32_e32 vcc, 2, v1
	v_cndmask_b32_e64 v1, 0, 1, vcc
	v_lshlrev_b32_e32 v1, 1, v1
	v_and_b32_e32 v5, 0xff, v8
	v_add_lshl_u32 v1, v1, v4, 2
	ds_bpermute_b32 v6, v1, v5
	ds_bpermute_b32 v4, v1, v2
	;; [unrolled: 1-line block ×3, first 2 shown]
	v_and_b32_e32 v1, 1, v8
	s_waitcnt lgkmcnt(2)
	v_and_b32_e32 v7, 1, v6
	v_cmp_eq_u32_e64 s[0:1], 1, v7
	s_waitcnt lgkmcnt(0)
	v_cmp_lt_i64_e32 vcc, v[4:5], v[2:3]
	s_and_b64 vcc, s[0:1], vcc
	v_cndmask_b32_e64 v7, v8, 1, s[0:1]
	v_cndmask_b32_e32 v2, v2, v4, vcc
	v_cndmask_b32_e32 v3, v3, v5, vcc
	v_cmp_eq_u32_e32 vcc, 1, v1
	v_cndmask_b32_e32 v1, v6, v7, vcc
	v_cndmask_b32_e32 v3, v5, v3, vcc
	;; [unrolled: 1-line block ×3, first 2 shown]
	v_and_b32_e32 v6, 0xff, v1
.LBB444_17:
	s_or_b64 exec, exec, s[2:3]
	s_load_dword s10, s[4:5], 0x40
	s_load_dwordx2 s[2:3], s[4:5], 0x48
	s_branch .LBB444_46
.LBB444_18:
                                        ; implicit-def: $vgpr2_vgpr3
                                        ; implicit-def: $vgpr6
	s_load_dword s10, s[4:5], 0x40
	s_load_dwordx2 s[2:3], s[4:5], 0x48
	s_cbranch_execz .LBB444_46
; %bb.19:
	s_sub_i32 s11, s12, s23
	v_pk_mov_b32 v[4:5], 0, 0
	v_cmp_gt_u32_e32 vcc, s11, v0
	v_mov_b32_e32 v1, 0
	v_pk_mov_b32 v[2:3], v[4:5], v[4:5] op_sel:[0,1]
	v_mov_b32_e32 v7, 0
	s_and_saveexec_b64 s[0:1], vcc
	s_cbranch_execz .LBB444_21
; %bb.20:
	global_load_ubyte v6, v0, s[20:21]
	v_mov_b32_e32 v3, s9
	v_add_co_u32_e32 v2, vcc, s8, v0
	v_addc_co_u32_e32 v3, vcc, 0, v3, vcc
	s_waitcnt vmcnt(0)
	v_cmp_eq_u16_sdwa s[4:5], v6, s22 src0_sel:DWORD src1_sel:BYTE_0
	v_cndmask_b32_e64 v7, 0, 1, s[4:5]
.LBB444_21:
	s_or_b64 exec, exec, s[0:1]
	v_or_b32_e32 v6, 0x100, v0
	v_cmp_gt_u32_e32 vcc, s11, v6
	s_and_saveexec_b64 s[4:5], vcc
	s_cbranch_execz .LBB444_23
; %bb.22:
	global_load_ubyte v1, v0, s[20:21] offset:256
	v_mov_b32_e32 v5, s9
	v_add_co_u32_e64 v4, s[0:1], s8, v6
	v_addc_co_u32_e64 v5, s[0:1], 0, v5, s[0:1]
	s_waitcnt vmcnt(0)
	v_cmp_eq_u16_sdwa s[0:1], v1, s22 src0_sel:DWORD src1_sel:BYTE_0
	v_cndmask_b32_e64 v1, 0, 1, s[0:1]
.LBB444_23:
	s_or_b64 exec, exec, s[4:5]
	s_and_saveexec_b64 s[4:5], vcc
	s_cbranch_execz .LBB444_25
; %bb.24:
	v_and_b32_e32 v8, 1, v1
	v_cmp_lt_i64_e32 vcc, v[4:5], v[2:3]
	v_cmp_eq_u32_e64 s[0:1], 1, v8
	v_and_b32_e32 v6, 1, v7
	s_and_b64 vcc, s[0:1], vcc
	v_cndmask_b32_e64 v7, v7, 1, s[0:1]
	v_cndmask_b32_e32 v2, v2, v4, vcc
	v_cndmask_b32_e32 v3, v3, v5, vcc
	v_cmp_eq_u32_e32 vcc, 1, v6
	v_cndmask_b32_e32 v7, v1, v7, vcc
	v_cndmask_b32_e32 v3, v5, v3, vcc
	;; [unrolled: 1-line block ×3, first 2 shown]
.LBB444_25:
	s_or_b64 exec, exec, s[4:5]
	v_mbcnt_lo_u32_b32 v1, -1, 0
	v_mbcnt_hi_u32_b32 v1, -1, v1
	v_and_b32_e32 v8, 63, v1
	v_cmp_ne_u32_e32 vcc, 63, v8
	v_addc_co_u32_e32 v4, vcc, 0, v1, vcc
	v_and_b32_e32 v6, 0xffff, v7
	v_lshlrev_b32_e32 v5, 2, v4
	ds_bpermute_b32 v10, v5, v6
	ds_bpermute_b32 v4, v5, v2
	ds_bpermute_b32 v5, v5, v3
	s_min_u32 s8, s11, 0x100
	v_and_b32_e32 v9, 0xc0, v0
	v_sub_u32_e64 v9, s8, v9 clamp
	v_add_u32_e32 v11, 1, v8
	v_cmp_lt_u32_e32 vcc, v11, v9
	s_and_saveexec_b64 s[4:5], vcc
	s_cbranch_execz .LBB444_27
; %bb.26:
	s_waitcnt lgkmcnt(0)
	v_and_b32_e32 v11, 1, v10
	v_cmp_lt_i64_e32 vcc, v[4:5], v[2:3]
	v_cmp_eq_u32_e64 s[0:1], 1, v11
	v_and_b32_e32 v6, 1, v7
	s_and_b64 vcc, s[0:1], vcc
	v_cndmask_b32_e64 v7, v7, 1, s[0:1]
	v_cndmask_b32_e32 v2, v2, v4, vcc
	v_cndmask_b32_e32 v3, v3, v5, vcc
	v_cmp_eq_u32_e32 vcc, 1, v6
	v_cndmask_b32_e32 v7, v10, v7, vcc
	v_cndmask_b32_e32 v3, v5, v3, vcc
	;; [unrolled: 1-line block ×3, first 2 shown]
	v_and_b32_e32 v6, 0xff, v7
.LBB444_27:
	s_or_b64 exec, exec, s[4:5]
	v_cmp_gt_u32_e32 vcc, 62, v8
	s_waitcnt lgkmcnt(0)
	v_cndmask_b32_e64 v4, 0, 1, vcc
	v_lshlrev_b32_e32 v4, 1, v4
	v_add_lshl_u32 v5, v4, v1, 2
	ds_bpermute_b32 v10, v5, v6
	ds_bpermute_b32 v4, v5, v2
	ds_bpermute_b32 v5, v5, v3
	v_add_u32_e32 v11, 2, v8
	v_cmp_lt_u32_e32 vcc, v11, v9
	s_and_saveexec_b64 s[4:5], vcc
	s_cbranch_execz .LBB444_29
; %bb.28:
	s_waitcnt lgkmcnt(2)
	v_and_b32_e32 v11, 1, v10
	s_waitcnt lgkmcnt(0)
	v_cmp_lt_i64_e32 vcc, v[4:5], v[2:3]
	v_cmp_eq_u32_e64 s[0:1], 1, v11
	v_and_b32_e32 v6, 1, v7
	s_and_b64 vcc, s[0:1], vcc
	v_cndmask_b32_e64 v7, v7, 1, s[0:1]
	v_cndmask_b32_e32 v2, v2, v4, vcc
	v_cndmask_b32_e32 v3, v3, v5, vcc
	v_cmp_eq_u32_e32 vcc, 1, v6
	v_cndmask_b32_e32 v7, v10, v7, vcc
	v_cndmask_b32_e32 v3, v5, v3, vcc
	v_cndmask_b32_e32 v2, v4, v2, vcc
	v_and_b32_e32 v6, 0xff, v7
.LBB444_29:
	s_or_b64 exec, exec, s[4:5]
	v_cmp_gt_u32_e32 vcc, 60, v8
	s_waitcnt lgkmcnt(1)
	v_cndmask_b32_e64 v4, 0, 1, vcc
	v_lshlrev_b32_e32 v4, 2, v4
	s_waitcnt lgkmcnt(0)
	v_add_lshl_u32 v5, v4, v1, 2
	ds_bpermute_b32 v10, v5, v6
	ds_bpermute_b32 v4, v5, v2
	ds_bpermute_b32 v5, v5, v3
	v_add_u32_e32 v11, 4, v8
	v_cmp_lt_u32_e32 vcc, v11, v9
	s_and_saveexec_b64 s[4:5], vcc
	s_cbranch_execz .LBB444_31
; %bb.30:
	s_waitcnt lgkmcnt(2)
	v_and_b32_e32 v11, 1, v10
	s_waitcnt lgkmcnt(0)
	v_cmp_lt_i64_e32 vcc, v[4:5], v[2:3]
	v_cmp_eq_u32_e64 s[0:1], 1, v11
	v_and_b32_e32 v6, 1, v7
	s_and_b64 vcc, s[0:1], vcc
	v_cndmask_b32_e64 v7, v7, 1, s[0:1]
	v_cndmask_b32_e32 v2, v2, v4, vcc
	v_cndmask_b32_e32 v3, v3, v5, vcc
	v_cmp_eq_u32_e32 vcc, 1, v6
	v_cndmask_b32_e32 v7, v10, v7, vcc
	v_cndmask_b32_e32 v3, v5, v3, vcc
	v_cndmask_b32_e32 v2, v4, v2, vcc
	v_and_b32_e32 v6, 0xff, v7
.LBB444_31:
	s_or_b64 exec, exec, s[4:5]
	v_cmp_gt_u32_e32 vcc, 56, v8
	s_waitcnt lgkmcnt(1)
	v_cndmask_b32_e64 v4, 0, 1, vcc
	v_lshlrev_b32_e32 v4, 3, v4
	s_waitcnt lgkmcnt(0)
	v_add_lshl_u32 v5, v4, v1, 2
	ds_bpermute_b32 v10, v5, v6
	ds_bpermute_b32 v4, v5, v2
	ds_bpermute_b32 v5, v5, v3
	v_add_u32_e32 v11, 8, v8
	v_cmp_lt_u32_e32 vcc, v11, v9
	s_and_saveexec_b64 s[4:5], vcc
	s_cbranch_execz .LBB444_33
; %bb.32:
	s_waitcnt lgkmcnt(2)
	v_and_b32_e32 v11, 1, v10
	s_waitcnt lgkmcnt(0)
	v_cmp_lt_i64_e32 vcc, v[4:5], v[2:3]
	v_cmp_eq_u32_e64 s[0:1], 1, v11
	v_and_b32_e32 v6, 1, v7
	s_and_b64 vcc, s[0:1], vcc
	v_cndmask_b32_e64 v7, v7, 1, s[0:1]
	v_cndmask_b32_e32 v2, v2, v4, vcc
	v_cndmask_b32_e32 v3, v3, v5, vcc
	v_cmp_eq_u32_e32 vcc, 1, v6
	v_cndmask_b32_e32 v7, v10, v7, vcc
	v_cndmask_b32_e32 v3, v5, v3, vcc
	v_cndmask_b32_e32 v2, v4, v2, vcc
	v_and_b32_e32 v6, 0xff, v7
.LBB444_33:
	s_or_b64 exec, exec, s[4:5]
	v_cmp_gt_u32_e32 vcc, 48, v8
	s_waitcnt lgkmcnt(1)
	v_cndmask_b32_e64 v4, 0, 1, vcc
	v_lshlrev_b32_e32 v4, 4, v4
	s_waitcnt lgkmcnt(0)
	v_add_lshl_u32 v5, v4, v1, 2
	ds_bpermute_b32 v10, v5, v6
	ds_bpermute_b32 v4, v5, v2
	ds_bpermute_b32 v5, v5, v3
	v_add_u32_e32 v11, 16, v8
	v_cmp_lt_u32_e32 vcc, v11, v9
	s_and_saveexec_b64 s[4:5], vcc
	s_cbranch_execz .LBB444_35
; %bb.34:
	s_waitcnt lgkmcnt(2)
	v_and_b32_e32 v11, 1, v10
	s_waitcnt lgkmcnt(0)
	v_cmp_lt_i64_e32 vcc, v[4:5], v[2:3]
	v_cmp_eq_u32_e64 s[0:1], 1, v11
	v_and_b32_e32 v6, 1, v7
	s_and_b64 vcc, s[0:1], vcc
	v_cndmask_b32_e64 v7, v7, 1, s[0:1]
	v_cndmask_b32_e32 v2, v2, v4, vcc
	v_cndmask_b32_e32 v3, v3, v5, vcc
	v_cmp_eq_u32_e32 vcc, 1, v6
	v_cndmask_b32_e32 v7, v10, v7, vcc
	v_cndmask_b32_e32 v3, v5, v3, vcc
	v_cndmask_b32_e32 v2, v4, v2, vcc
	v_and_b32_e32 v6, 0xff, v7
.LBB444_35:
	s_or_b64 exec, exec, s[4:5]
	v_cmp_gt_u32_e32 vcc, 32, v8
	s_waitcnt lgkmcnt(1)
	v_cndmask_b32_e64 v4, 0, 1, vcc
	v_lshlrev_b32_e32 v4, 5, v4
	s_waitcnt lgkmcnt(0)
	v_add_lshl_u32 v5, v4, v1, 2
	ds_bpermute_b32 v10, v5, v6
	ds_bpermute_b32 v4, v5, v2
	;; [unrolled: 1-line block ×3, first 2 shown]
	v_add_u32_e32 v8, 32, v8
	v_cmp_lt_u32_e32 vcc, v8, v9
	s_and_saveexec_b64 s[4:5], vcc
	s_cbranch_execz .LBB444_37
; %bb.36:
	s_waitcnt lgkmcnt(2)
	v_and_b32_e32 v8, 1, v10
	s_waitcnt lgkmcnt(0)
	v_cmp_lt_i64_e32 vcc, v[4:5], v[2:3]
	v_cmp_eq_u32_e64 s[0:1], 1, v8
	v_and_b32_e32 v6, 1, v7
	s_and_b64 vcc, s[0:1], vcc
	v_cndmask_b32_e64 v7, v7, 1, s[0:1]
	v_cndmask_b32_e32 v2, v2, v4, vcc
	v_cndmask_b32_e32 v3, v3, v5, vcc
	v_cmp_eq_u32_e32 vcc, 1, v6
	v_cndmask_b32_e32 v7, v10, v7, vcc
	v_cndmask_b32_e32 v3, v5, v3, vcc
	;; [unrolled: 1-line block ×3, first 2 shown]
	v_and_b32_e32 v6, 0xff, v7
.LBB444_37:
	s_or_b64 exec, exec, s[4:5]
	v_cmp_eq_u32_e32 vcc, 0, v1
	s_and_saveexec_b64 s[0:1], vcc
	s_cbranch_execz .LBB444_39
; %bb.38:
	s_waitcnt lgkmcnt(1)
	v_lshrrev_b32_e32 v4, 2, v0
	v_and_b32_e32 v4, 48, v4
	ds_write_b8 v4, v7 offset:64
	ds_write_b64 v4, v[2:3] offset:72
.LBB444_39:
	s_or_b64 exec, exec, s[0:1]
	v_cmp_gt_u32_e32 vcc, 4, v0
	s_waitcnt lgkmcnt(0)
	s_barrier
	s_and_saveexec_b64 s[4:5], vcc
	s_cbranch_execz .LBB444_45
; %bb.40:
	v_lshlrev_b32_e32 v2, 4, v1
	ds_read_u8 v7, v2 offset:64
	ds_read_b64 v[2:3], v2 offset:72
	v_and_b32_e32 v8, 3, v1
	v_cmp_ne_u32_e32 vcc, 3, v8
	v_addc_co_u32_e32 v4, vcc, 0, v1, vcc
	s_waitcnt lgkmcnt(1)
	v_and_b32_e32 v6, 0xff, v7
	v_lshlrev_b32_e32 v5, 2, v4
	ds_bpermute_b32 v9, v5, v6
	s_waitcnt lgkmcnt(1)
	ds_bpermute_b32 v4, v5, v2
	ds_bpermute_b32 v5, v5, v3
	s_add_i32 s8, s8, 63
	s_lshr_b32 s11, s8, 6
	v_add_u32_e32 v10, 1, v8
	v_cmp_gt_u32_e32 vcc, s11, v10
	s_and_saveexec_b64 s[8:9], vcc
	s_cbranch_execz .LBB444_42
; %bb.41:
	s_waitcnt lgkmcnt(2)
	v_and_b32_e32 v10, 1, v9
	s_waitcnt lgkmcnt(0)
	v_cmp_lt_i64_e32 vcc, v[4:5], v[2:3]
	v_cmp_eq_u32_e64 s[0:1], 1, v10
	v_and_b32_e32 v6, 1, v7
	s_and_b64 vcc, s[0:1], vcc
	v_cndmask_b32_e64 v7, v7, 1, s[0:1]
	v_cndmask_b32_e32 v2, v2, v4, vcc
	v_cndmask_b32_e32 v3, v3, v5, vcc
	v_cmp_eq_u32_e32 vcc, 1, v6
	v_cndmask_b32_e32 v7, v9, v7, vcc
	v_cndmask_b32_e32 v3, v5, v3, vcc
	v_cndmask_b32_e32 v2, v4, v2, vcc
	v_and_b32_e32 v6, 0xff, v7
.LBB444_42:
	s_or_b64 exec, exec, s[8:9]
	v_cmp_gt_u32_e32 vcc, 2, v8
	s_waitcnt lgkmcnt(1)
	v_cndmask_b32_e64 v4, 0, 1, vcc
	v_lshlrev_b32_e32 v4, 1, v4
	s_waitcnt lgkmcnt(0)
	v_add_lshl_u32 v5, v4, v1, 2
	ds_bpermute_b32 v1, v5, v6
	ds_bpermute_b32 v4, v5, v2
	;; [unrolled: 1-line block ×3, first 2 shown]
	v_add_u32_e32 v8, 2, v8
	v_cmp_gt_u32_e32 vcc, s11, v8
	s_and_saveexec_b64 s[8:9], vcc
	s_cbranch_execz .LBB444_44
; %bb.43:
	s_waitcnt lgkmcnt(2)
	v_and_b32_e32 v8, 1, v1
	s_waitcnt lgkmcnt(0)
	v_cmp_lt_i64_e32 vcc, v[4:5], v[2:3]
	v_cmp_eq_u32_e64 s[0:1], 1, v8
	v_and_b32_e32 v6, 1, v7
	s_and_b64 vcc, s[0:1], vcc
	v_cndmask_b32_e64 v7, v7, 1, s[0:1]
	v_cndmask_b32_e32 v2, v2, v4, vcc
	v_cndmask_b32_e32 v3, v3, v5, vcc
	v_cmp_eq_u32_e32 vcc, 1, v6
	v_cndmask_b32_e32 v1, v1, v7, vcc
	v_cndmask_b32_e32 v3, v5, v3, vcc
	;; [unrolled: 1-line block ×3, first 2 shown]
	v_and_b32_e32 v6, 0xff, v1
.LBB444_44:
	s_or_b64 exec, exec, s[8:9]
.LBB444_45:
	s_or_b64 exec, exec, s[4:5]
.LBB444_46:
	v_cmp_eq_u32_e32 vcc, 0, v0
	s_and_saveexec_b64 s[0:1], vcc
	s_cbranch_execnz .LBB444_48
; %bb.47:
	s_endpgm
.LBB444_48:
	s_mul_i32 s0, s18, s17
	s_mul_hi_u32 s1, s18, s16
	s_add_i32 s0, s1, s0
	s_mul_i32 s1, s19, s16
	s_add_i32 s1, s0, s1
	s_mul_i32 s0, s18, s16
	s_lshl_b64 s[0:1], s[0:1], 4
	s_add_u32 s4, s14, s0
	s_addc_u32 s5, s15, s1
	s_cmp_eq_u64 s[12:13], 0
	s_waitcnt lgkmcnt(0)
	v_mov_b32_e32 v0, s3
	s_cselect_b64 vcc, -1, 0
	v_cndmask_b32_e32 v1, v3, v0, vcc
	v_mov_b32_e32 v0, s2
	s_lshl_b64 s[0:1], s[6:7], 4
	v_cndmask_b32_e32 v0, v2, v0, vcc
	v_mov_b32_e32 v2, s10
	s_add_u32 s0, s4, s0
	v_cndmask_b32_e32 v2, v6, v2, vcc
	s_addc_u32 s1, s5, s1
	v_mov_b32_e32 v3, 0
	global_store_byte v3, v2, s[0:1]
	global_store_dwordx2 v3, v[0:1], s[0:1] offset:8
	s_endpgm
	.section	.rodata,"a",@progbits
	.p2align	6, 0x0
	.amdhsa_kernel _ZN7rocprim17ROCPRIM_400000_NS6detail17trampoline_kernelINS0_14default_configENS1_22reduce_config_selectorIN6thrust23THRUST_200600_302600_NS5tupleIblNS6_9null_typeES8_S8_S8_S8_S8_S8_S8_EEEEZNS1_11reduce_implILb1ES3_NS6_12zip_iteratorINS7_INS6_11hip_rocprim26transform_input_iterator_tIbPhNS6_6detail10functional5actorINSH_9compositeIJNSH_27transparent_binary_operatorINS6_8equal_toIvEEEENSI_INSH_8argumentILj0EEEEENSH_5valueIhEEEEEEEEENSD_19counting_iterator_tIlEES8_S8_S8_S8_S8_S8_S8_S8_EEEEPS9_S9_NSD_9__find_if7functorIS9_EEEE10hipError_tPvRmT1_T2_T3_mT4_P12ihipStream_tbEUlT_E0_NS1_11comp_targetILNS1_3genE4ELNS1_11target_archE910ELNS1_3gpuE8ELNS1_3repE0EEENS1_30default_config_static_selectorELNS0_4arch9wavefront6targetE1EEEvS17_
		.amdhsa_group_segment_fixed_size 128
		.amdhsa_private_segment_fixed_size 0
		.amdhsa_kernarg_size 88
		.amdhsa_user_sgpr_count 6
		.amdhsa_user_sgpr_private_segment_buffer 1
		.amdhsa_user_sgpr_dispatch_ptr 0
		.amdhsa_user_sgpr_queue_ptr 0
		.amdhsa_user_sgpr_kernarg_segment_ptr 1
		.amdhsa_user_sgpr_dispatch_id 0
		.amdhsa_user_sgpr_flat_scratch_init 0
		.amdhsa_user_sgpr_kernarg_preload_length 0
		.amdhsa_user_sgpr_kernarg_preload_offset 0
		.amdhsa_user_sgpr_private_segment_size 0
		.amdhsa_uses_dynamic_stack 0
		.amdhsa_system_sgpr_private_segment_wavefront_offset 0
		.amdhsa_system_sgpr_workgroup_id_x 1
		.amdhsa_system_sgpr_workgroup_id_y 0
		.amdhsa_system_sgpr_workgroup_id_z 0
		.amdhsa_system_sgpr_workgroup_info 0
		.amdhsa_system_vgpr_workitem_id 0
		.amdhsa_next_free_vgpr 12
		.amdhsa_next_free_sgpr 24
		.amdhsa_accum_offset 12
		.amdhsa_reserve_vcc 1
		.amdhsa_reserve_flat_scratch 0
		.amdhsa_float_round_mode_32 0
		.amdhsa_float_round_mode_16_64 0
		.amdhsa_float_denorm_mode_32 3
		.amdhsa_float_denorm_mode_16_64 3
		.amdhsa_dx10_clamp 1
		.amdhsa_ieee_mode 1
		.amdhsa_fp16_overflow 0
		.amdhsa_tg_split 0
		.amdhsa_exception_fp_ieee_invalid_op 0
		.amdhsa_exception_fp_denorm_src 0
		.amdhsa_exception_fp_ieee_div_zero 0
		.amdhsa_exception_fp_ieee_overflow 0
		.amdhsa_exception_fp_ieee_underflow 0
		.amdhsa_exception_fp_ieee_inexact 0
		.amdhsa_exception_int_div_zero 0
	.end_amdhsa_kernel
	.section	.text._ZN7rocprim17ROCPRIM_400000_NS6detail17trampoline_kernelINS0_14default_configENS1_22reduce_config_selectorIN6thrust23THRUST_200600_302600_NS5tupleIblNS6_9null_typeES8_S8_S8_S8_S8_S8_S8_EEEEZNS1_11reduce_implILb1ES3_NS6_12zip_iteratorINS7_INS6_11hip_rocprim26transform_input_iterator_tIbPhNS6_6detail10functional5actorINSH_9compositeIJNSH_27transparent_binary_operatorINS6_8equal_toIvEEEENSI_INSH_8argumentILj0EEEEENSH_5valueIhEEEEEEEEENSD_19counting_iterator_tIlEES8_S8_S8_S8_S8_S8_S8_S8_EEEEPS9_S9_NSD_9__find_if7functorIS9_EEEE10hipError_tPvRmT1_T2_T3_mT4_P12ihipStream_tbEUlT_E0_NS1_11comp_targetILNS1_3genE4ELNS1_11target_archE910ELNS1_3gpuE8ELNS1_3repE0EEENS1_30default_config_static_selectorELNS0_4arch9wavefront6targetE1EEEvS17_,"axG",@progbits,_ZN7rocprim17ROCPRIM_400000_NS6detail17trampoline_kernelINS0_14default_configENS1_22reduce_config_selectorIN6thrust23THRUST_200600_302600_NS5tupleIblNS6_9null_typeES8_S8_S8_S8_S8_S8_S8_EEEEZNS1_11reduce_implILb1ES3_NS6_12zip_iteratorINS7_INS6_11hip_rocprim26transform_input_iterator_tIbPhNS6_6detail10functional5actorINSH_9compositeIJNSH_27transparent_binary_operatorINS6_8equal_toIvEEEENSI_INSH_8argumentILj0EEEEENSH_5valueIhEEEEEEEEENSD_19counting_iterator_tIlEES8_S8_S8_S8_S8_S8_S8_S8_EEEEPS9_S9_NSD_9__find_if7functorIS9_EEEE10hipError_tPvRmT1_T2_T3_mT4_P12ihipStream_tbEUlT_E0_NS1_11comp_targetILNS1_3genE4ELNS1_11target_archE910ELNS1_3gpuE8ELNS1_3repE0EEENS1_30default_config_static_selectorELNS0_4arch9wavefront6targetE1EEEvS17_,comdat
.Lfunc_end444:
	.size	_ZN7rocprim17ROCPRIM_400000_NS6detail17trampoline_kernelINS0_14default_configENS1_22reduce_config_selectorIN6thrust23THRUST_200600_302600_NS5tupleIblNS6_9null_typeES8_S8_S8_S8_S8_S8_S8_EEEEZNS1_11reduce_implILb1ES3_NS6_12zip_iteratorINS7_INS6_11hip_rocprim26transform_input_iterator_tIbPhNS6_6detail10functional5actorINSH_9compositeIJNSH_27transparent_binary_operatorINS6_8equal_toIvEEEENSI_INSH_8argumentILj0EEEEENSH_5valueIhEEEEEEEEENSD_19counting_iterator_tIlEES8_S8_S8_S8_S8_S8_S8_S8_EEEEPS9_S9_NSD_9__find_if7functorIS9_EEEE10hipError_tPvRmT1_T2_T3_mT4_P12ihipStream_tbEUlT_E0_NS1_11comp_targetILNS1_3genE4ELNS1_11target_archE910ELNS1_3gpuE8ELNS1_3repE0EEENS1_30default_config_static_selectorELNS0_4arch9wavefront6targetE1EEEvS17_, .Lfunc_end444-_ZN7rocprim17ROCPRIM_400000_NS6detail17trampoline_kernelINS0_14default_configENS1_22reduce_config_selectorIN6thrust23THRUST_200600_302600_NS5tupleIblNS6_9null_typeES8_S8_S8_S8_S8_S8_S8_EEEEZNS1_11reduce_implILb1ES3_NS6_12zip_iteratorINS7_INS6_11hip_rocprim26transform_input_iterator_tIbPhNS6_6detail10functional5actorINSH_9compositeIJNSH_27transparent_binary_operatorINS6_8equal_toIvEEEENSI_INSH_8argumentILj0EEEEENSH_5valueIhEEEEEEEEENSD_19counting_iterator_tIlEES8_S8_S8_S8_S8_S8_S8_S8_EEEEPS9_S9_NSD_9__find_if7functorIS9_EEEE10hipError_tPvRmT1_T2_T3_mT4_P12ihipStream_tbEUlT_E0_NS1_11comp_targetILNS1_3genE4ELNS1_11target_archE910ELNS1_3gpuE8ELNS1_3repE0EEENS1_30default_config_static_selectorELNS0_4arch9wavefront6targetE1EEEvS17_
                                        ; -- End function
	.section	.AMDGPU.csdata,"",@progbits
; Kernel info:
; codeLenInByte = 2792
; NumSgprs: 28
; NumVgprs: 12
; NumAgprs: 0
; TotalNumVgprs: 12
; ScratchSize: 0
; MemoryBound: 0
; FloatMode: 240
; IeeeMode: 1
; LDSByteSize: 128 bytes/workgroup (compile time only)
; SGPRBlocks: 3
; VGPRBlocks: 1
; NumSGPRsForWavesPerEU: 28
; NumVGPRsForWavesPerEU: 12
; AccumOffset: 12
; Occupancy: 8
; WaveLimiterHint : 1
; COMPUTE_PGM_RSRC2:SCRATCH_EN: 0
; COMPUTE_PGM_RSRC2:USER_SGPR: 6
; COMPUTE_PGM_RSRC2:TRAP_HANDLER: 0
; COMPUTE_PGM_RSRC2:TGID_X_EN: 1
; COMPUTE_PGM_RSRC2:TGID_Y_EN: 0
; COMPUTE_PGM_RSRC2:TGID_Z_EN: 0
; COMPUTE_PGM_RSRC2:TIDIG_COMP_CNT: 0
; COMPUTE_PGM_RSRC3_GFX90A:ACCUM_OFFSET: 2
; COMPUTE_PGM_RSRC3_GFX90A:TG_SPLIT: 0
	.section	.text._ZN7rocprim17ROCPRIM_400000_NS6detail17trampoline_kernelINS0_14default_configENS1_22reduce_config_selectorIN6thrust23THRUST_200600_302600_NS5tupleIblNS6_9null_typeES8_S8_S8_S8_S8_S8_S8_EEEEZNS1_11reduce_implILb1ES3_NS6_12zip_iteratorINS7_INS6_11hip_rocprim26transform_input_iterator_tIbPhNS6_6detail10functional5actorINSH_9compositeIJNSH_27transparent_binary_operatorINS6_8equal_toIvEEEENSI_INSH_8argumentILj0EEEEENSH_5valueIhEEEEEEEEENSD_19counting_iterator_tIlEES8_S8_S8_S8_S8_S8_S8_S8_EEEEPS9_S9_NSD_9__find_if7functorIS9_EEEE10hipError_tPvRmT1_T2_T3_mT4_P12ihipStream_tbEUlT_E0_NS1_11comp_targetILNS1_3genE3ELNS1_11target_archE908ELNS1_3gpuE7ELNS1_3repE0EEENS1_30default_config_static_selectorELNS0_4arch9wavefront6targetE1EEEvS17_,"axG",@progbits,_ZN7rocprim17ROCPRIM_400000_NS6detail17trampoline_kernelINS0_14default_configENS1_22reduce_config_selectorIN6thrust23THRUST_200600_302600_NS5tupleIblNS6_9null_typeES8_S8_S8_S8_S8_S8_S8_EEEEZNS1_11reduce_implILb1ES3_NS6_12zip_iteratorINS7_INS6_11hip_rocprim26transform_input_iterator_tIbPhNS6_6detail10functional5actorINSH_9compositeIJNSH_27transparent_binary_operatorINS6_8equal_toIvEEEENSI_INSH_8argumentILj0EEEEENSH_5valueIhEEEEEEEEENSD_19counting_iterator_tIlEES8_S8_S8_S8_S8_S8_S8_S8_EEEEPS9_S9_NSD_9__find_if7functorIS9_EEEE10hipError_tPvRmT1_T2_T3_mT4_P12ihipStream_tbEUlT_E0_NS1_11comp_targetILNS1_3genE3ELNS1_11target_archE908ELNS1_3gpuE7ELNS1_3repE0EEENS1_30default_config_static_selectorELNS0_4arch9wavefront6targetE1EEEvS17_,comdat
	.protected	_ZN7rocprim17ROCPRIM_400000_NS6detail17trampoline_kernelINS0_14default_configENS1_22reduce_config_selectorIN6thrust23THRUST_200600_302600_NS5tupleIblNS6_9null_typeES8_S8_S8_S8_S8_S8_S8_EEEEZNS1_11reduce_implILb1ES3_NS6_12zip_iteratorINS7_INS6_11hip_rocprim26transform_input_iterator_tIbPhNS6_6detail10functional5actorINSH_9compositeIJNSH_27transparent_binary_operatorINS6_8equal_toIvEEEENSI_INSH_8argumentILj0EEEEENSH_5valueIhEEEEEEEEENSD_19counting_iterator_tIlEES8_S8_S8_S8_S8_S8_S8_S8_EEEEPS9_S9_NSD_9__find_if7functorIS9_EEEE10hipError_tPvRmT1_T2_T3_mT4_P12ihipStream_tbEUlT_E0_NS1_11comp_targetILNS1_3genE3ELNS1_11target_archE908ELNS1_3gpuE7ELNS1_3repE0EEENS1_30default_config_static_selectorELNS0_4arch9wavefront6targetE1EEEvS17_ ; -- Begin function _ZN7rocprim17ROCPRIM_400000_NS6detail17trampoline_kernelINS0_14default_configENS1_22reduce_config_selectorIN6thrust23THRUST_200600_302600_NS5tupleIblNS6_9null_typeES8_S8_S8_S8_S8_S8_S8_EEEEZNS1_11reduce_implILb1ES3_NS6_12zip_iteratorINS7_INS6_11hip_rocprim26transform_input_iterator_tIbPhNS6_6detail10functional5actorINSH_9compositeIJNSH_27transparent_binary_operatorINS6_8equal_toIvEEEENSI_INSH_8argumentILj0EEEEENSH_5valueIhEEEEEEEEENSD_19counting_iterator_tIlEES8_S8_S8_S8_S8_S8_S8_S8_EEEEPS9_S9_NSD_9__find_if7functorIS9_EEEE10hipError_tPvRmT1_T2_T3_mT4_P12ihipStream_tbEUlT_E0_NS1_11comp_targetILNS1_3genE3ELNS1_11target_archE908ELNS1_3gpuE7ELNS1_3repE0EEENS1_30default_config_static_selectorELNS0_4arch9wavefront6targetE1EEEvS17_
	.globl	_ZN7rocprim17ROCPRIM_400000_NS6detail17trampoline_kernelINS0_14default_configENS1_22reduce_config_selectorIN6thrust23THRUST_200600_302600_NS5tupleIblNS6_9null_typeES8_S8_S8_S8_S8_S8_S8_EEEEZNS1_11reduce_implILb1ES3_NS6_12zip_iteratorINS7_INS6_11hip_rocprim26transform_input_iterator_tIbPhNS6_6detail10functional5actorINSH_9compositeIJNSH_27transparent_binary_operatorINS6_8equal_toIvEEEENSI_INSH_8argumentILj0EEEEENSH_5valueIhEEEEEEEEENSD_19counting_iterator_tIlEES8_S8_S8_S8_S8_S8_S8_S8_EEEEPS9_S9_NSD_9__find_if7functorIS9_EEEE10hipError_tPvRmT1_T2_T3_mT4_P12ihipStream_tbEUlT_E0_NS1_11comp_targetILNS1_3genE3ELNS1_11target_archE908ELNS1_3gpuE7ELNS1_3repE0EEENS1_30default_config_static_selectorELNS0_4arch9wavefront6targetE1EEEvS17_
	.p2align	8
	.type	_ZN7rocprim17ROCPRIM_400000_NS6detail17trampoline_kernelINS0_14default_configENS1_22reduce_config_selectorIN6thrust23THRUST_200600_302600_NS5tupleIblNS6_9null_typeES8_S8_S8_S8_S8_S8_S8_EEEEZNS1_11reduce_implILb1ES3_NS6_12zip_iteratorINS7_INS6_11hip_rocprim26transform_input_iterator_tIbPhNS6_6detail10functional5actorINSH_9compositeIJNSH_27transparent_binary_operatorINS6_8equal_toIvEEEENSI_INSH_8argumentILj0EEEEENSH_5valueIhEEEEEEEEENSD_19counting_iterator_tIlEES8_S8_S8_S8_S8_S8_S8_S8_EEEEPS9_S9_NSD_9__find_if7functorIS9_EEEE10hipError_tPvRmT1_T2_T3_mT4_P12ihipStream_tbEUlT_E0_NS1_11comp_targetILNS1_3genE3ELNS1_11target_archE908ELNS1_3gpuE7ELNS1_3repE0EEENS1_30default_config_static_selectorELNS0_4arch9wavefront6targetE1EEEvS17_,@function
_ZN7rocprim17ROCPRIM_400000_NS6detail17trampoline_kernelINS0_14default_configENS1_22reduce_config_selectorIN6thrust23THRUST_200600_302600_NS5tupleIblNS6_9null_typeES8_S8_S8_S8_S8_S8_S8_EEEEZNS1_11reduce_implILb1ES3_NS6_12zip_iteratorINS7_INS6_11hip_rocprim26transform_input_iterator_tIbPhNS6_6detail10functional5actorINSH_9compositeIJNSH_27transparent_binary_operatorINS6_8equal_toIvEEEENSI_INSH_8argumentILj0EEEEENSH_5valueIhEEEEEEEEENSD_19counting_iterator_tIlEES8_S8_S8_S8_S8_S8_S8_S8_EEEEPS9_S9_NSD_9__find_if7functorIS9_EEEE10hipError_tPvRmT1_T2_T3_mT4_P12ihipStream_tbEUlT_E0_NS1_11comp_targetILNS1_3genE3ELNS1_11target_archE908ELNS1_3gpuE7ELNS1_3repE0EEENS1_30default_config_static_selectorELNS0_4arch9wavefront6targetE1EEEvS17_: ; @_ZN7rocprim17ROCPRIM_400000_NS6detail17trampoline_kernelINS0_14default_configENS1_22reduce_config_selectorIN6thrust23THRUST_200600_302600_NS5tupleIblNS6_9null_typeES8_S8_S8_S8_S8_S8_S8_EEEEZNS1_11reduce_implILb1ES3_NS6_12zip_iteratorINS7_INS6_11hip_rocprim26transform_input_iterator_tIbPhNS6_6detail10functional5actorINSH_9compositeIJNSH_27transparent_binary_operatorINS6_8equal_toIvEEEENSI_INSH_8argumentILj0EEEEENSH_5valueIhEEEEEEEEENSD_19counting_iterator_tIlEES8_S8_S8_S8_S8_S8_S8_S8_EEEEPS9_S9_NSD_9__find_if7functorIS9_EEEE10hipError_tPvRmT1_T2_T3_mT4_P12ihipStream_tbEUlT_E0_NS1_11comp_targetILNS1_3genE3ELNS1_11target_archE908ELNS1_3gpuE7ELNS1_3repE0EEENS1_30default_config_static_selectorELNS0_4arch9wavefront6targetE1EEEvS17_
; %bb.0:
	.section	.rodata,"a",@progbits
	.p2align	6, 0x0
	.amdhsa_kernel _ZN7rocprim17ROCPRIM_400000_NS6detail17trampoline_kernelINS0_14default_configENS1_22reduce_config_selectorIN6thrust23THRUST_200600_302600_NS5tupleIblNS6_9null_typeES8_S8_S8_S8_S8_S8_S8_EEEEZNS1_11reduce_implILb1ES3_NS6_12zip_iteratorINS7_INS6_11hip_rocprim26transform_input_iterator_tIbPhNS6_6detail10functional5actorINSH_9compositeIJNSH_27transparent_binary_operatorINS6_8equal_toIvEEEENSI_INSH_8argumentILj0EEEEENSH_5valueIhEEEEEEEEENSD_19counting_iterator_tIlEES8_S8_S8_S8_S8_S8_S8_S8_EEEEPS9_S9_NSD_9__find_if7functorIS9_EEEE10hipError_tPvRmT1_T2_T3_mT4_P12ihipStream_tbEUlT_E0_NS1_11comp_targetILNS1_3genE3ELNS1_11target_archE908ELNS1_3gpuE7ELNS1_3repE0EEENS1_30default_config_static_selectorELNS0_4arch9wavefront6targetE1EEEvS17_
		.amdhsa_group_segment_fixed_size 0
		.amdhsa_private_segment_fixed_size 0
		.amdhsa_kernarg_size 88
		.amdhsa_user_sgpr_count 6
		.amdhsa_user_sgpr_private_segment_buffer 1
		.amdhsa_user_sgpr_dispatch_ptr 0
		.amdhsa_user_sgpr_queue_ptr 0
		.amdhsa_user_sgpr_kernarg_segment_ptr 1
		.amdhsa_user_sgpr_dispatch_id 0
		.amdhsa_user_sgpr_flat_scratch_init 0
		.amdhsa_user_sgpr_kernarg_preload_length 0
		.amdhsa_user_sgpr_kernarg_preload_offset 0
		.amdhsa_user_sgpr_private_segment_size 0
		.amdhsa_uses_dynamic_stack 0
		.amdhsa_system_sgpr_private_segment_wavefront_offset 0
		.amdhsa_system_sgpr_workgroup_id_x 1
		.amdhsa_system_sgpr_workgroup_id_y 0
		.amdhsa_system_sgpr_workgroup_id_z 0
		.amdhsa_system_sgpr_workgroup_info 0
		.amdhsa_system_vgpr_workitem_id 0
		.amdhsa_next_free_vgpr 1
		.amdhsa_next_free_sgpr 0
		.amdhsa_accum_offset 4
		.amdhsa_reserve_vcc 0
		.amdhsa_reserve_flat_scratch 0
		.amdhsa_float_round_mode_32 0
		.amdhsa_float_round_mode_16_64 0
		.amdhsa_float_denorm_mode_32 3
		.amdhsa_float_denorm_mode_16_64 3
		.amdhsa_dx10_clamp 1
		.amdhsa_ieee_mode 1
		.amdhsa_fp16_overflow 0
		.amdhsa_tg_split 0
		.amdhsa_exception_fp_ieee_invalid_op 0
		.amdhsa_exception_fp_denorm_src 0
		.amdhsa_exception_fp_ieee_div_zero 0
		.amdhsa_exception_fp_ieee_overflow 0
		.amdhsa_exception_fp_ieee_underflow 0
		.amdhsa_exception_fp_ieee_inexact 0
		.amdhsa_exception_int_div_zero 0
	.end_amdhsa_kernel
	.section	.text._ZN7rocprim17ROCPRIM_400000_NS6detail17trampoline_kernelINS0_14default_configENS1_22reduce_config_selectorIN6thrust23THRUST_200600_302600_NS5tupleIblNS6_9null_typeES8_S8_S8_S8_S8_S8_S8_EEEEZNS1_11reduce_implILb1ES3_NS6_12zip_iteratorINS7_INS6_11hip_rocprim26transform_input_iterator_tIbPhNS6_6detail10functional5actorINSH_9compositeIJNSH_27transparent_binary_operatorINS6_8equal_toIvEEEENSI_INSH_8argumentILj0EEEEENSH_5valueIhEEEEEEEEENSD_19counting_iterator_tIlEES8_S8_S8_S8_S8_S8_S8_S8_EEEEPS9_S9_NSD_9__find_if7functorIS9_EEEE10hipError_tPvRmT1_T2_T3_mT4_P12ihipStream_tbEUlT_E0_NS1_11comp_targetILNS1_3genE3ELNS1_11target_archE908ELNS1_3gpuE7ELNS1_3repE0EEENS1_30default_config_static_selectorELNS0_4arch9wavefront6targetE1EEEvS17_,"axG",@progbits,_ZN7rocprim17ROCPRIM_400000_NS6detail17trampoline_kernelINS0_14default_configENS1_22reduce_config_selectorIN6thrust23THRUST_200600_302600_NS5tupleIblNS6_9null_typeES8_S8_S8_S8_S8_S8_S8_EEEEZNS1_11reduce_implILb1ES3_NS6_12zip_iteratorINS7_INS6_11hip_rocprim26transform_input_iterator_tIbPhNS6_6detail10functional5actorINSH_9compositeIJNSH_27transparent_binary_operatorINS6_8equal_toIvEEEENSI_INSH_8argumentILj0EEEEENSH_5valueIhEEEEEEEEENSD_19counting_iterator_tIlEES8_S8_S8_S8_S8_S8_S8_S8_EEEEPS9_S9_NSD_9__find_if7functorIS9_EEEE10hipError_tPvRmT1_T2_T3_mT4_P12ihipStream_tbEUlT_E0_NS1_11comp_targetILNS1_3genE3ELNS1_11target_archE908ELNS1_3gpuE7ELNS1_3repE0EEENS1_30default_config_static_selectorELNS0_4arch9wavefront6targetE1EEEvS17_,comdat
.Lfunc_end445:
	.size	_ZN7rocprim17ROCPRIM_400000_NS6detail17trampoline_kernelINS0_14default_configENS1_22reduce_config_selectorIN6thrust23THRUST_200600_302600_NS5tupleIblNS6_9null_typeES8_S8_S8_S8_S8_S8_S8_EEEEZNS1_11reduce_implILb1ES3_NS6_12zip_iteratorINS7_INS6_11hip_rocprim26transform_input_iterator_tIbPhNS6_6detail10functional5actorINSH_9compositeIJNSH_27transparent_binary_operatorINS6_8equal_toIvEEEENSI_INSH_8argumentILj0EEEEENSH_5valueIhEEEEEEEEENSD_19counting_iterator_tIlEES8_S8_S8_S8_S8_S8_S8_S8_EEEEPS9_S9_NSD_9__find_if7functorIS9_EEEE10hipError_tPvRmT1_T2_T3_mT4_P12ihipStream_tbEUlT_E0_NS1_11comp_targetILNS1_3genE3ELNS1_11target_archE908ELNS1_3gpuE7ELNS1_3repE0EEENS1_30default_config_static_selectorELNS0_4arch9wavefront6targetE1EEEvS17_, .Lfunc_end445-_ZN7rocprim17ROCPRIM_400000_NS6detail17trampoline_kernelINS0_14default_configENS1_22reduce_config_selectorIN6thrust23THRUST_200600_302600_NS5tupleIblNS6_9null_typeES8_S8_S8_S8_S8_S8_S8_EEEEZNS1_11reduce_implILb1ES3_NS6_12zip_iteratorINS7_INS6_11hip_rocprim26transform_input_iterator_tIbPhNS6_6detail10functional5actorINSH_9compositeIJNSH_27transparent_binary_operatorINS6_8equal_toIvEEEENSI_INSH_8argumentILj0EEEEENSH_5valueIhEEEEEEEEENSD_19counting_iterator_tIlEES8_S8_S8_S8_S8_S8_S8_S8_EEEEPS9_S9_NSD_9__find_if7functorIS9_EEEE10hipError_tPvRmT1_T2_T3_mT4_P12ihipStream_tbEUlT_E0_NS1_11comp_targetILNS1_3genE3ELNS1_11target_archE908ELNS1_3gpuE7ELNS1_3repE0EEENS1_30default_config_static_selectorELNS0_4arch9wavefront6targetE1EEEvS17_
                                        ; -- End function
	.section	.AMDGPU.csdata,"",@progbits
; Kernel info:
; codeLenInByte = 0
; NumSgprs: 4
; NumVgprs: 0
; NumAgprs: 0
; TotalNumVgprs: 0
; ScratchSize: 0
; MemoryBound: 0
; FloatMode: 240
; IeeeMode: 1
; LDSByteSize: 0 bytes/workgroup (compile time only)
; SGPRBlocks: 0
; VGPRBlocks: 0
; NumSGPRsForWavesPerEU: 4
; NumVGPRsForWavesPerEU: 1
; AccumOffset: 4
; Occupancy: 8
; WaveLimiterHint : 0
; COMPUTE_PGM_RSRC2:SCRATCH_EN: 0
; COMPUTE_PGM_RSRC2:USER_SGPR: 6
; COMPUTE_PGM_RSRC2:TRAP_HANDLER: 0
; COMPUTE_PGM_RSRC2:TGID_X_EN: 1
; COMPUTE_PGM_RSRC2:TGID_Y_EN: 0
; COMPUTE_PGM_RSRC2:TGID_Z_EN: 0
; COMPUTE_PGM_RSRC2:TIDIG_COMP_CNT: 0
; COMPUTE_PGM_RSRC3_GFX90A:ACCUM_OFFSET: 0
; COMPUTE_PGM_RSRC3_GFX90A:TG_SPLIT: 0
	.section	.text._ZN7rocprim17ROCPRIM_400000_NS6detail17trampoline_kernelINS0_14default_configENS1_22reduce_config_selectorIN6thrust23THRUST_200600_302600_NS5tupleIblNS6_9null_typeES8_S8_S8_S8_S8_S8_S8_EEEEZNS1_11reduce_implILb1ES3_NS6_12zip_iteratorINS7_INS6_11hip_rocprim26transform_input_iterator_tIbPhNS6_6detail10functional5actorINSH_9compositeIJNSH_27transparent_binary_operatorINS6_8equal_toIvEEEENSI_INSH_8argumentILj0EEEEENSH_5valueIhEEEEEEEEENSD_19counting_iterator_tIlEES8_S8_S8_S8_S8_S8_S8_S8_EEEEPS9_S9_NSD_9__find_if7functorIS9_EEEE10hipError_tPvRmT1_T2_T3_mT4_P12ihipStream_tbEUlT_E0_NS1_11comp_targetILNS1_3genE2ELNS1_11target_archE906ELNS1_3gpuE6ELNS1_3repE0EEENS1_30default_config_static_selectorELNS0_4arch9wavefront6targetE1EEEvS17_,"axG",@progbits,_ZN7rocprim17ROCPRIM_400000_NS6detail17trampoline_kernelINS0_14default_configENS1_22reduce_config_selectorIN6thrust23THRUST_200600_302600_NS5tupleIblNS6_9null_typeES8_S8_S8_S8_S8_S8_S8_EEEEZNS1_11reduce_implILb1ES3_NS6_12zip_iteratorINS7_INS6_11hip_rocprim26transform_input_iterator_tIbPhNS6_6detail10functional5actorINSH_9compositeIJNSH_27transparent_binary_operatorINS6_8equal_toIvEEEENSI_INSH_8argumentILj0EEEEENSH_5valueIhEEEEEEEEENSD_19counting_iterator_tIlEES8_S8_S8_S8_S8_S8_S8_S8_EEEEPS9_S9_NSD_9__find_if7functorIS9_EEEE10hipError_tPvRmT1_T2_T3_mT4_P12ihipStream_tbEUlT_E0_NS1_11comp_targetILNS1_3genE2ELNS1_11target_archE906ELNS1_3gpuE6ELNS1_3repE0EEENS1_30default_config_static_selectorELNS0_4arch9wavefront6targetE1EEEvS17_,comdat
	.protected	_ZN7rocprim17ROCPRIM_400000_NS6detail17trampoline_kernelINS0_14default_configENS1_22reduce_config_selectorIN6thrust23THRUST_200600_302600_NS5tupleIblNS6_9null_typeES8_S8_S8_S8_S8_S8_S8_EEEEZNS1_11reduce_implILb1ES3_NS6_12zip_iteratorINS7_INS6_11hip_rocprim26transform_input_iterator_tIbPhNS6_6detail10functional5actorINSH_9compositeIJNSH_27transparent_binary_operatorINS6_8equal_toIvEEEENSI_INSH_8argumentILj0EEEEENSH_5valueIhEEEEEEEEENSD_19counting_iterator_tIlEES8_S8_S8_S8_S8_S8_S8_S8_EEEEPS9_S9_NSD_9__find_if7functorIS9_EEEE10hipError_tPvRmT1_T2_T3_mT4_P12ihipStream_tbEUlT_E0_NS1_11comp_targetILNS1_3genE2ELNS1_11target_archE906ELNS1_3gpuE6ELNS1_3repE0EEENS1_30default_config_static_selectorELNS0_4arch9wavefront6targetE1EEEvS17_ ; -- Begin function _ZN7rocprim17ROCPRIM_400000_NS6detail17trampoline_kernelINS0_14default_configENS1_22reduce_config_selectorIN6thrust23THRUST_200600_302600_NS5tupleIblNS6_9null_typeES8_S8_S8_S8_S8_S8_S8_EEEEZNS1_11reduce_implILb1ES3_NS6_12zip_iteratorINS7_INS6_11hip_rocprim26transform_input_iterator_tIbPhNS6_6detail10functional5actorINSH_9compositeIJNSH_27transparent_binary_operatorINS6_8equal_toIvEEEENSI_INSH_8argumentILj0EEEEENSH_5valueIhEEEEEEEEENSD_19counting_iterator_tIlEES8_S8_S8_S8_S8_S8_S8_S8_EEEEPS9_S9_NSD_9__find_if7functorIS9_EEEE10hipError_tPvRmT1_T2_T3_mT4_P12ihipStream_tbEUlT_E0_NS1_11comp_targetILNS1_3genE2ELNS1_11target_archE906ELNS1_3gpuE6ELNS1_3repE0EEENS1_30default_config_static_selectorELNS0_4arch9wavefront6targetE1EEEvS17_
	.globl	_ZN7rocprim17ROCPRIM_400000_NS6detail17trampoline_kernelINS0_14default_configENS1_22reduce_config_selectorIN6thrust23THRUST_200600_302600_NS5tupleIblNS6_9null_typeES8_S8_S8_S8_S8_S8_S8_EEEEZNS1_11reduce_implILb1ES3_NS6_12zip_iteratorINS7_INS6_11hip_rocprim26transform_input_iterator_tIbPhNS6_6detail10functional5actorINSH_9compositeIJNSH_27transparent_binary_operatorINS6_8equal_toIvEEEENSI_INSH_8argumentILj0EEEEENSH_5valueIhEEEEEEEEENSD_19counting_iterator_tIlEES8_S8_S8_S8_S8_S8_S8_S8_EEEEPS9_S9_NSD_9__find_if7functorIS9_EEEE10hipError_tPvRmT1_T2_T3_mT4_P12ihipStream_tbEUlT_E0_NS1_11comp_targetILNS1_3genE2ELNS1_11target_archE906ELNS1_3gpuE6ELNS1_3repE0EEENS1_30default_config_static_selectorELNS0_4arch9wavefront6targetE1EEEvS17_
	.p2align	8
	.type	_ZN7rocprim17ROCPRIM_400000_NS6detail17trampoline_kernelINS0_14default_configENS1_22reduce_config_selectorIN6thrust23THRUST_200600_302600_NS5tupleIblNS6_9null_typeES8_S8_S8_S8_S8_S8_S8_EEEEZNS1_11reduce_implILb1ES3_NS6_12zip_iteratorINS7_INS6_11hip_rocprim26transform_input_iterator_tIbPhNS6_6detail10functional5actorINSH_9compositeIJNSH_27transparent_binary_operatorINS6_8equal_toIvEEEENSI_INSH_8argumentILj0EEEEENSH_5valueIhEEEEEEEEENSD_19counting_iterator_tIlEES8_S8_S8_S8_S8_S8_S8_S8_EEEEPS9_S9_NSD_9__find_if7functorIS9_EEEE10hipError_tPvRmT1_T2_T3_mT4_P12ihipStream_tbEUlT_E0_NS1_11comp_targetILNS1_3genE2ELNS1_11target_archE906ELNS1_3gpuE6ELNS1_3repE0EEENS1_30default_config_static_selectorELNS0_4arch9wavefront6targetE1EEEvS17_,@function
_ZN7rocprim17ROCPRIM_400000_NS6detail17trampoline_kernelINS0_14default_configENS1_22reduce_config_selectorIN6thrust23THRUST_200600_302600_NS5tupleIblNS6_9null_typeES8_S8_S8_S8_S8_S8_S8_EEEEZNS1_11reduce_implILb1ES3_NS6_12zip_iteratorINS7_INS6_11hip_rocprim26transform_input_iterator_tIbPhNS6_6detail10functional5actorINSH_9compositeIJNSH_27transparent_binary_operatorINS6_8equal_toIvEEEENSI_INSH_8argumentILj0EEEEENSH_5valueIhEEEEEEEEENSD_19counting_iterator_tIlEES8_S8_S8_S8_S8_S8_S8_S8_EEEEPS9_S9_NSD_9__find_if7functorIS9_EEEE10hipError_tPvRmT1_T2_T3_mT4_P12ihipStream_tbEUlT_E0_NS1_11comp_targetILNS1_3genE2ELNS1_11target_archE906ELNS1_3gpuE6ELNS1_3repE0EEENS1_30default_config_static_selectorELNS0_4arch9wavefront6targetE1EEEvS17_: ; @_ZN7rocprim17ROCPRIM_400000_NS6detail17trampoline_kernelINS0_14default_configENS1_22reduce_config_selectorIN6thrust23THRUST_200600_302600_NS5tupleIblNS6_9null_typeES8_S8_S8_S8_S8_S8_S8_EEEEZNS1_11reduce_implILb1ES3_NS6_12zip_iteratorINS7_INS6_11hip_rocprim26transform_input_iterator_tIbPhNS6_6detail10functional5actorINSH_9compositeIJNSH_27transparent_binary_operatorINS6_8equal_toIvEEEENSI_INSH_8argumentILj0EEEEENSH_5valueIhEEEEEEEEENSD_19counting_iterator_tIlEES8_S8_S8_S8_S8_S8_S8_S8_EEEEPS9_S9_NSD_9__find_if7functorIS9_EEEE10hipError_tPvRmT1_T2_T3_mT4_P12ihipStream_tbEUlT_E0_NS1_11comp_targetILNS1_3genE2ELNS1_11target_archE906ELNS1_3gpuE6ELNS1_3repE0EEENS1_30default_config_static_selectorELNS0_4arch9wavefront6targetE1EEEvS17_
; %bb.0:
	.section	.rodata,"a",@progbits
	.p2align	6, 0x0
	.amdhsa_kernel _ZN7rocprim17ROCPRIM_400000_NS6detail17trampoline_kernelINS0_14default_configENS1_22reduce_config_selectorIN6thrust23THRUST_200600_302600_NS5tupleIblNS6_9null_typeES8_S8_S8_S8_S8_S8_S8_EEEEZNS1_11reduce_implILb1ES3_NS6_12zip_iteratorINS7_INS6_11hip_rocprim26transform_input_iterator_tIbPhNS6_6detail10functional5actorINSH_9compositeIJNSH_27transparent_binary_operatorINS6_8equal_toIvEEEENSI_INSH_8argumentILj0EEEEENSH_5valueIhEEEEEEEEENSD_19counting_iterator_tIlEES8_S8_S8_S8_S8_S8_S8_S8_EEEEPS9_S9_NSD_9__find_if7functorIS9_EEEE10hipError_tPvRmT1_T2_T3_mT4_P12ihipStream_tbEUlT_E0_NS1_11comp_targetILNS1_3genE2ELNS1_11target_archE906ELNS1_3gpuE6ELNS1_3repE0EEENS1_30default_config_static_selectorELNS0_4arch9wavefront6targetE1EEEvS17_
		.amdhsa_group_segment_fixed_size 0
		.amdhsa_private_segment_fixed_size 0
		.amdhsa_kernarg_size 88
		.amdhsa_user_sgpr_count 6
		.amdhsa_user_sgpr_private_segment_buffer 1
		.amdhsa_user_sgpr_dispatch_ptr 0
		.amdhsa_user_sgpr_queue_ptr 0
		.amdhsa_user_sgpr_kernarg_segment_ptr 1
		.amdhsa_user_sgpr_dispatch_id 0
		.amdhsa_user_sgpr_flat_scratch_init 0
		.amdhsa_user_sgpr_kernarg_preload_length 0
		.amdhsa_user_sgpr_kernarg_preload_offset 0
		.amdhsa_user_sgpr_private_segment_size 0
		.amdhsa_uses_dynamic_stack 0
		.amdhsa_system_sgpr_private_segment_wavefront_offset 0
		.amdhsa_system_sgpr_workgroup_id_x 1
		.amdhsa_system_sgpr_workgroup_id_y 0
		.amdhsa_system_sgpr_workgroup_id_z 0
		.amdhsa_system_sgpr_workgroup_info 0
		.amdhsa_system_vgpr_workitem_id 0
		.amdhsa_next_free_vgpr 1
		.amdhsa_next_free_sgpr 0
		.amdhsa_accum_offset 4
		.amdhsa_reserve_vcc 0
		.amdhsa_reserve_flat_scratch 0
		.amdhsa_float_round_mode_32 0
		.amdhsa_float_round_mode_16_64 0
		.amdhsa_float_denorm_mode_32 3
		.amdhsa_float_denorm_mode_16_64 3
		.amdhsa_dx10_clamp 1
		.amdhsa_ieee_mode 1
		.amdhsa_fp16_overflow 0
		.amdhsa_tg_split 0
		.amdhsa_exception_fp_ieee_invalid_op 0
		.amdhsa_exception_fp_denorm_src 0
		.amdhsa_exception_fp_ieee_div_zero 0
		.amdhsa_exception_fp_ieee_overflow 0
		.amdhsa_exception_fp_ieee_underflow 0
		.amdhsa_exception_fp_ieee_inexact 0
		.amdhsa_exception_int_div_zero 0
	.end_amdhsa_kernel
	.section	.text._ZN7rocprim17ROCPRIM_400000_NS6detail17trampoline_kernelINS0_14default_configENS1_22reduce_config_selectorIN6thrust23THRUST_200600_302600_NS5tupleIblNS6_9null_typeES8_S8_S8_S8_S8_S8_S8_EEEEZNS1_11reduce_implILb1ES3_NS6_12zip_iteratorINS7_INS6_11hip_rocprim26transform_input_iterator_tIbPhNS6_6detail10functional5actorINSH_9compositeIJNSH_27transparent_binary_operatorINS6_8equal_toIvEEEENSI_INSH_8argumentILj0EEEEENSH_5valueIhEEEEEEEEENSD_19counting_iterator_tIlEES8_S8_S8_S8_S8_S8_S8_S8_EEEEPS9_S9_NSD_9__find_if7functorIS9_EEEE10hipError_tPvRmT1_T2_T3_mT4_P12ihipStream_tbEUlT_E0_NS1_11comp_targetILNS1_3genE2ELNS1_11target_archE906ELNS1_3gpuE6ELNS1_3repE0EEENS1_30default_config_static_selectorELNS0_4arch9wavefront6targetE1EEEvS17_,"axG",@progbits,_ZN7rocprim17ROCPRIM_400000_NS6detail17trampoline_kernelINS0_14default_configENS1_22reduce_config_selectorIN6thrust23THRUST_200600_302600_NS5tupleIblNS6_9null_typeES8_S8_S8_S8_S8_S8_S8_EEEEZNS1_11reduce_implILb1ES3_NS6_12zip_iteratorINS7_INS6_11hip_rocprim26transform_input_iterator_tIbPhNS6_6detail10functional5actorINSH_9compositeIJNSH_27transparent_binary_operatorINS6_8equal_toIvEEEENSI_INSH_8argumentILj0EEEEENSH_5valueIhEEEEEEEEENSD_19counting_iterator_tIlEES8_S8_S8_S8_S8_S8_S8_S8_EEEEPS9_S9_NSD_9__find_if7functorIS9_EEEE10hipError_tPvRmT1_T2_T3_mT4_P12ihipStream_tbEUlT_E0_NS1_11comp_targetILNS1_3genE2ELNS1_11target_archE906ELNS1_3gpuE6ELNS1_3repE0EEENS1_30default_config_static_selectorELNS0_4arch9wavefront6targetE1EEEvS17_,comdat
.Lfunc_end446:
	.size	_ZN7rocprim17ROCPRIM_400000_NS6detail17trampoline_kernelINS0_14default_configENS1_22reduce_config_selectorIN6thrust23THRUST_200600_302600_NS5tupleIblNS6_9null_typeES8_S8_S8_S8_S8_S8_S8_EEEEZNS1_11reduce_implILb1ES3_NS6_12zip_iteratorINS7_INS6_11hip_rocprim26transform_input_iterator_tIbPhNS6_6detail10functional5actorINSH_9compositeIJNSH_27transparent_binary_operatorINS6_8equal_toIvEEEENSI_INSH_8argumentILj0EEEEENSH_5valueIhEEEEEEEEENSD_19counting_iterator_tIlEES8_S8_S8_S8_S8_S8_S8_S8_EEEEPS9_S9_NSD_9__find_if7functorIS9_EEEE10hipError_tPvRmT1_T2_T3_mT4_P12ihipStream_tbEUlT_E0_NS1_11comp_targetILNS1_3genE2ELNS1_11target_archE906ELNS1_3gpuE6ELNS1_3repE0EEENS1_30default_config_static_selectorELNS0_4arch9wavefront6targetE1EEEvS17_, .Lfunc_end446-_ZN7rocprim17ROCPRIM_400000_NS6detail17trampoline_kernelINS0_14default_configENS1_22reduce_config_selectorIN6thrust23THRUST_200600_302600_NS5tupleIblNS6_9null_typeES8_S8_S8_S8_S8_S8_S8_EEEEZNS1_11reduce_implILb1ES3_NS6_12zip_iteratorINS7_INS6_11hip_rocprim26transform_input_iterator_tIbPhNS6_6detail10functional5actorINSH_9compositeIJNSH_27transparent_binary_operatorINS6_8equal_toIvEEEENSI_INSH_8argumentILj0EEEEENSH_5valueIhEEEEEEEEENSD_19counting_iterator_tIlEES8_S8_S8_S8_S8_S8_S8_S8_EEEEPS9_S9_NSD_9__find_if7functorIS9_EEEE10hipError_tPvRmT1_T2_T3_mT4_P12ihipStream_tbEUlT_E0_NS1_11comp_targetILNS1_3genE2ELNS1_11target_archE906ELNS1_3gpuE6ELNS1_3repE0EEENS1_30default_config_static_selectorELNS0_4arch9wavefront6targetE1EEEvS17_
                                        ; -- End function
	.section	.AMDGPU.csdata,"",@progbits
; Kernel info:
; codeLenInByte = 0
; NumSgprs: 4
; NumVgprs: 0
; NumAgprs: 0
; TotalNumVgprs: 0
; ScratchSize: 0
; MemoryBound: 0
; FloatMode: 240
; IeeeMode: 1
; LDSByteSize: 0 bytes/workgroup (compile time only)
; SGPRBlocks: 0
; VGPRBlocks: 0
; NumSGPRsForWavesPerEU: 4
; NumVGPRsForWavesPerEU: 1
; AccumOffset: 4
; Occupancy: 8
; WaveLimiterHint : 0
; COMPUTE_PGM_RSRC2:SCRATCH_EN: 0
; COMPUTE_PGM_RSRC2:USER_SGPR: 6
; COMPUTE_PGM_RSRC2:TRAP_HANDLER: 0
; COMPUTE_PGM_RSRC2:TGID_X_EN: 1
; COMPUTE_PGM_RSRC2:TGID_Y_EN: 0
; COMPUTE_PGM_RSRC2:TGID_Z_EN: 0
; COMPUTE_PGM_RSRC2:TIDIG_COMP_CNT: 0
; COMPUTE_PGM_RSRC3_GFX90A:ACCUM_OFFSET: 0
; COMPUTE_PGM_RSRC3_GFX90A:TG_SPLIT: 0
	.section	.text._ZN7rocprim17ROCPRIM_400000_NS6detail17trampoline_kernelINS0_14default_configENS1_22reduce_config_selectorIN6thrust23THRUST_200600_302600_NS5tupleIblNS6_9null_typeES8_S8_S8_S8_S8_S8_S8_EEEEZNS1_11reduce_implILb1ES3_NS6_12zip_iteratorINS7_INS6_11hip_rocprim26transform_input_iterator_tIbPhNS6_6detail10functional5actorINSH_9compositeIJNSH_27transparent_binary_operatorINS6_8equal_toIvEEEENSI_INSH_8argumentILj0EEEEENSH_5valueIhEEEEEEEEENSD_19counting_iterator_tIlEES8_S8_S8_S8_S8_S8_S8_S8_EEEEPS9_S9_NSD_9__find_if7functorIS9_EEEE10hipError_tPvRmT1_T2_T3_mT4_P12ihipStream_tbEUlT_E0_NS1_11comp_targetILNS1_3genE10ELNS1_11target_archE1201ELNS1_3gpuE5ELNS1_3repE0EEENS1_30default_config_static_selectorELNS0_4arch9wavefront6targetE1EEEvS17_,"axG",@progbits,_ZN7rocprim17ROCPRIM_400000_NS6detail17trampoline_kernelINS0_14default_configENS1_22reduce_config_selectorIN6thrust23THRUST_200600_302600_NS5tupleIblNS6_9null_typeES8_S8_S8_S8_S8_S8_S8_EEEEZNS1_11reduce_implILb1ES3_NS6_12zip_iteratorINS7_INS6_11hip_rocprim26transform_input_iterator_tIbPhNS6_6detail10functional5actorINSH_9compositeIJNSH_27transparent_binary_operatorINS6_8equal_toIvEEEENSI_INSH_8argumentILj0EEEEENSH_5valueIhEEEEEEEEENSD_19counting_iterator_tIlEES8_S8_S8_S8_S8_S8_S8_S8_EEEEPS9_S9_NSD_9__find_if7functorIS9_EEEE10hipError_tPvRmT1_T2_T3_mT4_P12ihipStream_tbEUlT_E0_NS1_11comp_targetILNS1_3genE10ELNS1_11target_archE1201ELNS1_3gpuE5ELNS1_3repE0EEENS1_30default_config_static_selectorELNS0_4arch9wavefront6targetE1EEEvS17_,comdat
	.protected	_ZN7rocprim17ROCPRIM_400000_NS6detail17trampoline_kernelINS0_14default_configENS1_22reduce_config_selectorIN6thrust23THRUST_200600_302600_NS5tupleIblNS6_9null_typeES8_S8_S8_S8_S8_S8_S8_EEEEZNS1_11reduce_implILb1ES3_NS6_12zip_iteratorINS7_INS6_11hip_rocprim26transform_input_iterator_tIbPhNS6_6detail10functional5actorINSH_9compositeIJNSH_27transparent_binary_operatorINS6_8equal_toIvEEEENSI_INSH_8argumentILj0EEEEENSH_5valueIhEEEEEEEEENSD_19counting_iterator_tIlEES8_S8_S8_S8_S8_S8_S8_S8_EEEEPS9_S9_NSD_9__find_if7functorIS9_EEEE10hipError_tPvRmT1_T2_T3_mT4_P12ihipStream_tbEUlT_E0_NS1_11comp_targetILNS1_3genE10ELNS1_11target_archE1201ELNS1_3gpuE5ELNS1_3repE0EEENS1_30default_config_static_selectorELNS0_4arch9wavefront6targetE1EEEvS17_ ; -- Begin function _ZN7rocprim17ROCPRIM_400000_NS6detail17trampoline_kernelINS0_14default_configENS1_22reduce_config_selectorIN6thrust23THRUST_200600_302600_NS5tupleIblNS6_9null_typeES8_S8_S8_S8_S8_S8_S8_EEEEZNS1_11reduce_implILb1ES3_NS6_12zip_iteratorINS7_INS6_11hip_rocprim26transform_input_iterator_tIbPhNS6_6detail10functional5actorINSH_9compositeIJNSH_27transparent_binary_operatorINS6_8equal_toIvEEEENSI_INSH_8argumentILj0EEEEENSH_5valueIhEEEEEEEEENSD_19counting_iterator_tIlEES8_S8_S8_S8_S8_S8_S8_S8_EEEEPS9_S9_NSD_9__find_if7functorIS9_EEEE10hipError_tPvRmT1_T2_T3_mT4_P12ihipStream_tbEUlT_E0_NS1_11comp_targetILNS1_3genE10ELNS1_11target_archE1201ELNS1_3gpuE5ELNS1_3repE0EEENS1_30default_config_static_selectorELNS0_4arch9wavefront6targetE1EEEvS17_
	.globl	_ZN7rocprim17ROCPRIM_400000_NS6detail17trampoline_kernelINS0_14default_configENS1_22reduce_config_selectorIN6thrust23THRUST_200600_302600_NS5tupleIblNS6_9null_typeES8_S8_S8_S8_S8_S8_S8_EEEEZNS1_11reduce_implILb1ES3_NS6_12zip_iteratorINS7_INS6_11hip_rocprim26transform_input_iterator_tIbPhNS6_6detail10functional5actorINSH_9compositeIJNSH_27transparent_binary_operatorINS6_8equal_toIvEEEENSI_INSH_8argumentILj0EEEEENSH_5valueIhEEEEEEEEENSD_19counting_iterator_tIlEES8_S8_S8_S8_S8_S8_S8_S8_EEEEPS9_S9_NSD_9__find_if7functorIS9_EEEE10hipError_tPvRmT1_T2_T3_mT4_P12ihipStream_tbEUlT_E0_NS1_11comp_targetILNS1_3genE10ELNS1_11target_archE1201ELNS1_3gpuE5ELNS1_3repE0EEENS1_30default_config_static_selectorELNS0_4arch9wavefront6targetE1EEEvS17_
	.p2align	8
	.type	_ZN7rocprim17ROCPRIM_400000_NS6detail17trampoline_kernelINS0_14default_configENS1_22reduce_config_selectorIN6thrust23THRUST_200600_302600_NS5tupleIblNS6_9null_typeES8_S8_S8_S8_S8_S8_S8_EEEEZNS1_11reduce_implILb1ES3_NS6_12zip_iteratorINS7_INS6_11hip_rocprim26transform_input_iterator_tIbPhNS6_6detail10functional5actorINSH_9compositeIJNSH_27transparent_binary_operatorINS6_8equal_toIvEEEENSI_INSH_8argumentILj0EEEEENSH_5valueIhEEEEEEEEENSD_19counting_iterator_tIlEES8_S8_S8_S8_S8_S8_S8_S8_EEEEPS9_S9_NSD_9__find_if7functorIS9_EEEE10hipError_tPvRmT1_T2_T3_mT4_P12ihipStream_tbEUlT_E0_NS1_11comp_targetILNS1_3genE10ELNS1_11target_archE1201ELNS1_3gpuE5ELNS1_3repE0EEENS1_30default_config_static_selectorELNS0_4arch9wavefront6targetE1EEEvS17_,@function
_ZN7rocprim17ROCPRIM_400000_NS6detail17trampoline_kernelINS0_14default_configENS1_22reduce_config_selectorIN6thrust23THRUST_200600_302600_NS5tupleIblNS6_9null_typeES8_S8_S8_S8_S8_S8_S8_EEEEZNS1_11reduce_implILb1ES3_NS6_12zip_iteratorINS7_INS6_11hip_rocprim26transform_input_iterator_tIbPhNS6_6detail10functional5actorINSH_9compositeIJNSH_27transparent_binary_operatorINS6_8equal_toIvEEEENSI_INSH_8argumentILj0EEEEENSH_5valueIhEEEEEEEEENSD_19counting_iterator_tIlEES8_S8_S8_S8_S8_S8_S8_S8_EEEEPS9_S9_NSD_9__find_if7functorIS9_EEEE10hipError_tPvRmT1_T2_T3_mT4_P12ihipStream_tbEUlT_E0_NS1_11comp_targetILNS1_3genE10ELNS1_11target_archE1201ELNS1_3gpuE5ELNS1_3repE0EEENS1_30default_config_static_selectorELNS0_4arch9wavefront6targetE1EEEvS17_: ; @_ZN7rocprim17ROCPRIM_400000_NS6detail17trampoline_kernelINS0_14default_configENS1_22reduce_config_selectorIN6thrust23THRUST_200600_302600_NS5tupleIblNS6_9null_typeES8_S8_S8_S8_S8_S8_S8_EEEEZNS1_11reduce_implILb1ES3_NS6_12zip_iteratorINS7_INS6_11hip_rocprim26transform_input_iterator_tIbPhNS6_6detail10functional5actorINSH_9compositeIJNSH_27transparent_binary_operatorINS6_8equal_toIvEEEENSI_INSH_8argumentILj0EEEEENSH_5valueIhEEEEEEEEENSD_19counting_iterator_tIlEES8_S8_S8_S8_S8_S8_S8_S8_EEEEPS9_S9_NSD_9__find_if7functorIS9_EEEE10hipError_tPvRmT1_T2_T3_mT4_P12ihipStream_tbEUlT_E0_NS1_11comp_targetILNS1_3genE10ELNS1_11target_archE1201ELNS1_3gpuE5ELNS1_3repE0EEENS1_30default_config_static_selectorELNS0_4arch9wavefront6targetE1EEEvS17_
; %bb.0:
	.section	.rodata,"a",@progbits
	.p2align	6, 0x0
	.amdhsa_kernel _ZN7rocprim17ROCPRIM_400000_NS6detail17trampoline_kernelINS0_14default_configENS1_22reduce_config_selectorIN6thrust23THRUST_200600_302600_NS5tupleIblNS6_9null_typeES8_S8_S8_S8_S8_S8_S8_EEEEZNS1_11reduce_implILb1ES3_NS6_12zip_iteratorINS7_INS6_11hip_rocprim26transform_input_iterator_tIbPhNS6_6detail10functional5actorINSH_9compositeIJNSH_27transparent_binary_operatorINS6_8equal_toIvEEEENSI_INSH_8argumentILj0EEEEENSH_5valueIhEEEEEEEEENSD_19counting_iterator_tIlEES8_S8_S8_S8_S8_S8_S8_S8_EEEEPS9_S9_NSD_9__find_if7functorIS9_EEEE10hipError_tPvRmT1_T2_T3_mT4_P12ihipStream_tbEUlT_E0_NS1_11comp_targetILNS1_3genE10ELNS1_11target_archE1201ELNS1_3gpuE5ELNS1_3repE0EEENS1_30default_config_static_selectorELNS0_4arch9wavefront6targetE1EEEvS17_
		.amdhsa_group_segment_fixed_size 0
		.amdhsa_private_segment_fixed_size 0
		.amdhsa_kernarg_size 88
		.amdhsa_user_sgpr_count 6
		.amdhsa_user_sgpr_private_segment_buffer 1
		.amdhsa_user_sgpr_dispatch_ptr 0
		.amdhsa_user_sgpr_queue_ptr 0
		.amdhsa_user_sgpr_kernarg_segment_ptr 1
		.amdhsa_user_sgpr_dispatch_id 0
		.amdhsa_user_sgpr_flat_scratch_init 0
		.amdhsa_user_sgpr_kernarg_preload_length 0
		.amdhsa_user_sgpr_kernarg_preload_offset 0
		.amdhsa_user_sgpr_private_segment_size 0
		.amdhsa_uses_dynamic_stack 0
		.amdhsa_system_sgpr_private_segment_wavefront_offset 0
		.amdhsa_system_sgpr_workgroup_id_x 1
		.amdhsa_system_sgpr_workgroup_id_y 0
		.amdhsa_system_sgpr_workgroup_id_z 0
		.amdhsa_system_sgpr_workgroup_info 0
		.amdhsa_system_vgpr_workitem_id 0
		.amdhsa_next_free_vgpr 1
		.amdhsa_next_free_sgpr 0
		.amdhsa_accum_offset 4
		.amdhsa_reserve_vcc 0
		.amdhsa_reserve_flat_scratch 0
		.amdhsa_float_round_mode_32 0
		.amdhsa_float_round_mode_16_64 0
		.amdhsa_float_denorm_mode_32 3
		.amdhsa_float_denorm_mode_16_64 3
		.amdhsa_dx10_clamp 1
		.amdhsa_ieee_mode 1
		.amdhsa_fp16_overflow 0
		.amdhsa_tg_split 0
		.amdhsa_exception_fp_ieee_invalid_op 0
		.amdhsa_exception_fp_denorm_src 0
		.amdhsa_exception_fp_ieee_div_zero 0
		.amdhsa_exception_fp_ieee_overflow 0
		.amdhsa_exception_fp_ieee_underflow 0
		.amdhsa_exception_fp_ieee_inexact 0
		.amdhsa_exception_int_div_zero 0
	.end_amdhsa_kernel
	.section	.text._ZN7rocprim17ROCPRIM_400000_NS6detail17trampoline_kernelINS0_14default_configENS1_22reduce_config_selectorIN6thrust23THRUST_200600_302600_NS5tupleIblNS6_9null_typeES8_S8_S8_S8_S8_S8_S8_EEEEZNS1_11reduce_implILb1ES3_NS6_12zip_iteratorINS7_INS6_11hip_rocprim26transform_input_iterator_tIbPhNS6_6detail10functional5actorINSH_9compositeIJNSH_27transparent_binary_operatorINS6_8equal_toIvEEEENSI_INSH_8argumentILj0EEEEENSH_5valueIhEEEEEEEEENSD_19counting_iterator_tIlEES8_S8_S8_S8_S8_S8_S8_S8_EEEEPS9_S9_NSD_9__find_if7functorIS9_EEEE10hipError_tPvRmT1_T2_T3_mT4_P12ihipStream_tbEUlT_E0_NS1_11comp_targetILNS1_3genE10ELNS1_11target_archE1201ELNS1_3gpuE5ELNS1_3repE0EEENS1_30default_config_static_selectorELNS0_4arch9wavefront6targetE1EEEvS17_,"axG",@progbits,_ZN7rocprim17ROCPRIM_400000_NS6detail17trampoline_kernelINS0_14default_configENS1_22reduce_config_selectorIN6thrust23THRUST_200600_302600_NS5tupleIblNS6_9null_typeES8_S8_S8_S8_S8_S8_S8_EEEEZNS1_11reduce_implILb1ES3_NS6_12zip_iteratorINS7_INS6_11hip_rocprim26transform_input_iterator_tIbPhNS6_6detail10functional5actorINSH_9compositeIJNSH_27transparent_binary_operatorINS6_8equal_toIvEEEENSI_INSH_8argumentILj0EEEEENSH_5valueIhEEEEEEEEENSD_19counting_iterator_tIlEES8_S8_S8_S8_S8_S8_S8_S8_EEEEPS9_S9_NSD_9__find_if7functorIS9_EEEE10hipError_tPvRmT1_T2_T3_mT4_P12ihipStream_tbEUlT_E0_NS1_11comp_targetILNS1_3genE10ELNS1_11target_archE1201ELNS1_3gpuE5ELNS1_3repE0EEENS1_30default_config_static_selectorELNS0_4arch9wavefront6targetE1EEEvS17_,comdat
.Lfunc_end447:
	.size	_ZN7rocprim17ROCPRIM_400000_NS6detail17trampoline_kernelINS0_14default_configENS1_22reduce_config_selectorIN6thrust23THRUST_200600_302600_NS5tupleIblNS6_9null_typeES8_S8_S8_S8_S8_S8_S8_EEEEZNS1_11reduce_implILb1ES3_NS6_12zip_iteratorINS7_INS6_11hip_rocprim26transform_input_iterator_tIbPhNS6_6detail10functional5actorINSH_9compositeIJNSH_27transparent_binary_operatorINS6_8equal_toIvEEEENSI_INSH_8argumentILj0EEEEENSH_5valueIhEEEEEEEEENSD_19counting_iterator_tIlEES8_S8_S8_S8_S8_S8_S8_S8_EEEEPS9_S9_NSD_9__find_if7functorIS9_EEEE10hipError_tPvRmT1_T2_T3_mT4_P12ihipStream_tbEUlT_E0_NS1_11comp_targetILNS1_3genE10ELNS1_11target_archE1201ELNS1_3gpuE5ELNS1_3repE0EEENS1_30default_config_static_selectorELNS0_4arch9wavefront6targetE1EEEvS17_, .Lfunc_end447-_ZN7rocprim17ROCPRIM_400000_NS6detail17trampoline_kernelINS0_14default_configENS1_22reduce_config_selectorIN6thrust23THRUST_200600_302600_NS5tupleIblNS6_9null_typeES8_S8_S8_S8_S8_S8_S8_EEEEZNS1_11reduce_implILb1ES3_NS6_12zip_iteratorINS7_INS6_11hip_rocprim26transform_input_iterator_tIbPhNS6_6detail10functional5actorINSH_9compositeIJNSH_27transparent_binary_operatorINS6_8equal_toIvEEEENSI_INSH_8argumentILj0EEEEENSH_5valueIhEEEEEEEEENSD_19counting_iterator_tIlEES8_S8_S8_S8_S8_S8_S8_S8_EEEEPS9_S9_NSD_9__find_if7functorIS9_EEEE10hipError_tPvRmT1_T2_T3_mT4_P12ihipStream_tbEUlT_E0_NS1_11comp_targetILNS1_3genE10ELNS1_11target_archE1201ELNS1_3gpuE5ELNS1_3repE0EEENS1_30default_config_static_selectorELNS0_4arch9wavefront6targetE1EEEvS17_
                                        ; -- End function
	.section	.AMDGPU.csdata,"",@progbits
; Kernel info:
; codeLenInByte = 0
; NumSgprs: 4
; NumVgprs: 0
; NumAgprs: 0
; TotalNumVgprs: 0
; ScratchSize: 0
; MemoryBound: 0
; FloatMode: 240
; IeeeMode: 1
; LDSByteSize: 0 bytes/workgroup (compile time only)
; SGPRBlocks: 0
; VGPRBlocks: 0
; NumSGPRsForWavesPerEU: 4
; NumVGPRsForWavesPerEU: 1
; AccumOffset: 4
; Occupancy: 8
; WaveLimiterHint : 0
; COMPUTE_PGM_RSRC2:SCRATCH_EN: 0
; COMPUTE_PGM_RSRC2:USER_SGPR: 6
; COMPUTE_PGM_RSRC2:TRAP_HANDLER: 0
; COMPUTE_PGM_RSRC2:TGID_X_EN: 1
; COMPUTE_PGM_RSRC2:TGID_Y_EN: 0
; COMPUTE_PGM_RSRC2:TGID_Z_EN: 0
; COMPUTE_PGM_RSRC2:TIDIG_COMP_CNT: 0
; COMPUTE_PGM_RSRC3_GFX90A:ACCUM_OFFSET: 0
; COMPUTE_PGM_RSRC3_GFX90A:TG_SPLIT: 0
	.section	.text._ZN7rocprim17ROCPRIM_400000_NS6detail17trampoline_kernelINS0_14default_configENS1_22reduce_config_selectorIN6thrust23THRUST_200600_302600_NS5tupleIblNS6_9null_typeES8_S8_S8_S8_S8_S8_S8_EEEEZNS1_11reduce_implILb1ES3_NS6_12zip_iteratorINS7_INS6_11hip_rocprim26transform_input_iterator_tIbPhNS6_6detail10functional5actorINSH_9compositeIJNSH_27transparent_binary_operatorINS6_8equal_toIvEEEENSI_INSH_8argumentILj0EEEEENSH_5valueIhEEEEEEEEENSD_19counting_iterator_tIlEES8_S8_S8_S8_S8_S8_S8_S8_EEEEPS9_S9_NSD_9__find_if7functorIS9_EEEE10hipError_tPvRmT1_T2_T3_mT4_P12ihipStream_tbEUlT_E0_NS1_11comp_targetILNS1_3genE10ELNS1_11target_archE1200ELNS1_3gpuE4ELNS1_3repE0EEENS1_30default_config_static_selectorELNS0_4arch9wavefront6targetE1EEEvS17_,"axG",@progbits,_ZN7rocprim17ROCPRIM_400000_NS6detail17trampoline_kernelINS0_14default_configENS1_22reduce_config_selectorIN6thrust23THRUST_200600_302600_NS5tupleIblNS6_9null_typeES8_S8_S8_S8_S8_S8_S8_EEEEZNS1_11reduce_implILb1ES3_NS6_12zip_iteratorINS7_INS6_11hip_rocprim26transform_input_iterator_tIbPhNS6_6detail10functional5actorINSH_9compositeIJNSH_27transparent_binary_operatorINS6_8equal_toIvEEEENSI_INSH_8argumentILj0EEEEENSH_5valueIhEEEEEEEEENSD_19counting_iterator_tIlEES8_S8_S8_S8_S8_S8_S8_S8_EEEEPS9_S9_NSD_9__find_if7functorIS9_EEEE10hipError_tPvRmT1_T2_T3_mT4_P12ihipStream_tbEUlT_E0_NS1_11comp_targetILNS1_3genE10ELNS1_11target_archE1200ELNS1_3gpuE4ELNS1_3repE0EEENS1_30default_config_static_selectorELNS0_4arch9wavefront6targetE1EEEvS17_,comdat
	.protected	_ZN7rocprim17ROCPRIM_400000_NS6detail17trampoline_kernelINS0_14default_configENS1_22reduce_config_selectorIN6thrust23THRUST_200600_302600_NS5tupleIblNS6_9null_typeES8_S8_S8_S8_S8_S8_S8_EEEEZNS1_11reduce_implILb1ES3_NS6_12zip_iteratorINS7_INS6_11hip_rocprim26transform_input_iterator_tIbPhNS6_6detail10functional5actorINSH_9compositeIJNSH_27transparent_binary_operatorINS6_8equal_toIvEEEENSI_INSH_8argumentILj0EEEEENSH_5valueIhEEEEEEEEENSD_19counting_iterator_tIlEES8_S8_S8_S8_S8_S8_S8_S8_EEEEPS9_S9_NSD_9__find_if7functorIS9_EEEE10hipError_tPvRmT1_T2_T3_mT4_P12ihipStream_tbEUlT_E0_NS1_11comp_targetILNS1_3genE10ELNS1_11target_archE1200ELNS1_3gpuE4ELNS1_3repE0EEENS1_30default_config_static_selectorELNS0_4arch9wavefront6targetE1EEEvS17_ ; -- Begin function _ZN7rocprim17ROCPRIM_400000_NS6detail17trampoline_kernelINS0_14default_configENS1_22reduce_config_selectorIN6thrust23THRUST_200600_302600_NS5tupleIblNS6_9null_typeES8_S8_S8_S8_S8_S8_S8_EEEEZNS1_11reduce_implILb1ES3_NS6_12zip_iteratorINS7_INS6_11hip_rocprim26transform_input_iterator_tIbPhNS6_6detail10functional5actorINSH_9compositeIJNSH_27transparent_binary_operatorINS6_8equal_toIvEEEENSI_INSH_8argumentILj0EEEEENSH_5valueIhEEEEEEEEENSD_19counting_iterator_tIlEES8_S8_S8_S8_S8_S8_S8_S8_EEEEPS9_S9_NSD_9__find_if7functorIS9_EEEE10hipError_tPvRmT1_T2_T3_mT4_P12ihipStream_tbEUlT_E0_NS1_11comp_targetILNS1_3genE10ELNS1_11target_archE1200ELNS1_3gpuE4ELNS1_3repE0EEENS1_30default_config_static_selectorELNS0_4arch9wavefront6targetE1EEEvS17_
	.globl	_ZN7rocprim17ROCPRIM_400000_NS6detail17trampoline_kernelINS0_14default_configENS1_22reduce_config_selectorIN6thrust23THRUST_200600_302600_NS5tupleIblNS6_9null_typeES8_S8_S8_S8_S8_S8_S8_EEEEZNS1_11reduce_implILb1ES3_NS6_12zip_iteratorINS7_INS6_11hip_rocprim26transform_input_iterator_tIbPhNS6_6detail10functional5actorINSH_9compositeIJNSH_27transparent_binary_operatorINS6_8equal_toIvEEEENSI_INSH_8argumentILj0EEEEENSH_5valueIhEEEEEEEEENSD_19counting_iterator_tIlEES8_S8_S8_S8_S8_S8_S8_S8_EEEEPS9_S9_NSD_9__find_if7functorIS9_EEEE10hipError_tPvRmT1_T2_T3_mT4_P12ihipStream_tbEUlT_E0_NS1_11comp_targetILNS1_3genE10ELNS1_11target_archE1200ELNS1_3gpuE4ELNS1_3repE0EEENS1_30default_config_static_selectorELNS0_4arch9wavefront6targetE1EEEvS17_
	.p2align	8
	.type	_ZN7rocprim17ROCPRIM_400000_NS6detail17trampoline_kernelINS0_14default_configENS1_22reduce_config_selectorIN6thrust23THRUST_200600_302600_NS5tupleIblNS6_9null_typeES8_S8_S8_S8_S8_S8_S8_EEEEZNS1_11reduce_implILb1ES3_NS6_12zip_iteratorINS7_INS6_11hip_rocprim26transform_input_iterator_tIbPhNS6_6detail10functional5actorINSH_9compositeIJNSH_27transparent_binary_operatorINS6_8equal_toIvEEEENSI_INSH_8argumentILj0EEEEENSH_5valueIhEEEEEEEEENSD_19counting_iterator_tIlEES8_S8_S8_S8_S8_S8_S8_S8_EEEEPS9_S9_NSD_9__find_if7functorIS9_EEEE10hipError_tPvRmT1_T2_T3_mT4_P12ihipStream_tbEUlT_E0_NS1_11comp_targetILNS1_3genE10ELNS1_11target_archE1200ELNS1_3gpuE4ELNS1_3repE0EEENS1_30default_config_static_selectorELNS0_4arch9wavefront6targetE1EEEvS17_,@function
_ZN7rocprim17ROCPRIM_400000_NS6detail17trampoline_kernelINS0_14default_configENS1_22reduce_config_selectorIN6thrust23THRUST_200600_302600_NS5tupleIblNS6_9null_typeES8_S8_S8_S8_S8_S8_S8_EEEEZNS1_11reduce_implILb1ES3_NS6_12zip_iteratorINS7_INS6_11hip_rocprim26transform_input_iterator_tIbPhNS6_6detail10functional5actorINSH_9compositeIJNSH_27transparent_binary_operatorINS6_8equal_toIvEEEENSI_INSH_8argumentILj0EEEEENSH_5valueIhEEEEEEEEENSD_19counting_iterator_tIlEES8_S8_S8_S8_S8_S8_S8_S8_EEEEPS9_S9_NSD_9__find_if7functorIS9_EEEE10hipError_tPvRmT1_T2_T3_mT4_P12ihipStream_tbEUlT_E0_NS1_11comp_targetILNS1_3genE10ELNS1_11target_archE1200ELNS1_3gpuE4ELNS1_3repE0EEENS1_30default_config_static_selectorELNS0_4arch9wavefront6targetE1EEEvS17_: ; @_ZN7rocprim17ROCPRIM_400000_NS6detail17trampoline_kernelINS0_14default_configENS1_22reduce_config_selectorIN6thrust23THRUST_200600_302600_NS5tupleIblNS6_9null_typeES8_S8_S8_S8_S8_S8_S8_EEEEZNS1_11reduce_implILb1ES3_NS6_12zip_iteratorINS7_INS6_11hip_rocprim26transform_input_iterator_tIbPhNS6_6detail10functional5actorINSH_9compositeIJNSH_27transparent_binary_operatorINS6_8equal_toIvEEEENSI_INSH_8argumentILj0EEEEENSH_5valueIhEEEEEEEEENSD_19counting_iterator_tIlEES8_S8_S8_S8_S8_S8_S8_S8_EEEEPS9_S9_NSD_9__find_if7functorIS9_EEEE10hipError_tPvRmT1_T2_T3_mT4_P12ihipStream_tbEUlT_E0_NS1_11comp_targetILNS1_3genE10ELNS1_11target_archE1200ELNS1_3gpuE4ELNS1_3repE0EEENS1_30default_config_static_selectorELNS0_4arch9wavefront6targetE1EEEvS17_
; %bb.0:
	.section	.rodata,"a",@progbits
	.p2align	6, 0x0
	.amdhsa_kernel _ZN7rocprim17ROCPRIM_400000_NS6detail17trampoline_kernelINS0_14default_configENS1_22reduce_config_selectorIN6thrust23THRUST_200600_302600_NS5tupleIblNS6_9null_typeES8_S8_S8_S8_S8_S8_S8_EEEEZNS1_11reduce_implILb1ES3_NS6_12zip_iteratorINS7_INS6_11hip_rocprim26transform_input_iterator_tIbPhNS6_6detail10functional5actorINSH_9compositeIJNSH_27transparent_binary_operatorINS6_8equal_toIvEEEENSI_INSH_8argumentILj0EEEEENSH_5valueIhEEEEEEEEENSD_19counting_iterator_tIlEES8_S8_S8_S8_S8_S8_S8_S8_EEEEPS9_S9_NSD_9__find_if7functorIS9_EEEE10hipError_tPvRmT1_T2_T3_mT4_P12ihipStream_tbEUlT_E0_NS1_11comp_targetILNS1_3genE10ELNS1_11target_archE1200ELNS1_3gpuE4ELNS1_3repE0EEENS1_30default_config_static_selectorELNS0_4arch9wavefront6targetE1EEEvS17_
		.amdhsa_group_segment_fixed_size 0
		.amdhsa_private_segment_fixed_size 0
		.amdhsa_kernarg_size 88
		.amdhsa_user_sgpr_count 6
		.amdhsa_user_sgpr_private_segment_buffer 1
		.amdhsa_user_sgpr_dispatch_ptr 0
		.amdhsa_user_sgpr_queue_ptr 0
		.amdhsa_user_sgpr_kernarg_segment_ptr 1
		.amdhsa_user_sgpr_dispatch_id 0
		.amdhsa_user_sgpr_flat_scratch_init 0
		.amdhsa_user_sgpr_kernarg_preload_length 0
		.amdhsa_user_sgpr_kernarg_preload_offset 0
		.amdhsa_user_sgpr_private_segment_size 0
		.amdhsa_uses_dynamic_stack 0
		.amdhsa_system_sgpr_private_segment_wavefront_offset 0
		.amdhsa_system_sgpr_workgroup_id_x 1
		.amdhsa_system_sgpr_workgroup_id_y 0
		.amdhsa_system_sgpr_workgroup_id_z 0
		.amdhsa_system_sgpr_workgroup_info 0
		.amdhsa_system_vgpr_workitem_id 0
		.amdhsa_next_free_vgpr 1
		.amdhsa_next_free_sgpr 0
		.amdhsa_accum_offset 4
		.amdhsa_reserve_vcc 0
		.amdhsa_reserve_flat_scratch 0
		.amdhsa_float_round_mode_32 0
		.amdhsa_float_round_mode_16_64 0
		.amdhsa_float_denorm_mode_32 3
		.amdhsa_float_denorm_mode_16_64 3
		.amdhsa_dx10_clamp 1
		.amdhsa_ieee_mode 1
		.amdhsa_fp16_overflow 0
		.amdhsa_tg_split 0
		.amdhsa_exception_fp_ieee_invalid_op 0
		.amdhsa_exception_fp_denorm_src 0
		.amdhsa_exception_fp_ieee_div_zero 0
		.amdhsa_exception_fp_ieee_overflow 0
		.amdhsa_exception_fp_ieee_underflow 0
		.amdhsa_exception_fp_ieee_inexact 0
		.amdhsa_exception_int_div_zero 0
	.end_amdhsa_kernel
	.section	.text._ZN7rocprim17ROCPRIM_400000_NS6detail17trampoline_kernelINS0_14default_configENS1_22reduce_config_selectorIN6thrust23THRUST_200600_302600_NS5tupleIblNS6_9null_typeES8_S8_S8_S8_S8_S8_S8_EEEEZNS1_11reduce_implILb1ES3_NS6_12zip_iteratorINS7_INS6_11hip_rocprim26transform_input_iterator_tIbPhNS6_6detail10functional5actorINSH_9compositeIJNSH_27transparent_binary_operatorINS6_8equal_toIvEEEENSI_INSH_8argumentILj0EEEEENSH_5valueIhEEEEEEEEENSD_19counting_iterator_tIlEES8_S8_S8_S8_S8_S8_S8_S8_EEEEPS9_S9_NSD_9__find_if7functorIS9_EEEE10hipError_tPvRmT1_T2_T3_mT4_P12ihipStream_tbEUlT_E0_NS1_11comp_targetILNS1_3genE10ELNS1_11target_archE1200ELNS1_3gpuE4ELNS1_3repE0EEENS1_30default_config_static_selectorELNS0_4arch9wavefront6targetE1EEEvS17_,"axG",@progbits,_ZN7rocprim17ROCPRIM_400000_NS6detail17trampoline_kernelINS0_14default_configENS1_22reduce_config_selectorIN6thrust23THRUST_200600_302600_NS5tupleIblNS6_9null_typeES8_S8_S8_S8_S8_S8_S8_EEEEZNS1_11reduce_implILb1ES3_NS6_12zip_iteratorINS7_INS6_11hip_rocprim26transform_input_iterator_tIbPhNS6_6detail10functional5actorINSH_9compositeIJNSH_27transparent_binary_operatorINS6_8equal_toIvEEEENSI_INSH_8argumentILj0EEEEENSH_5valueIhEEEEEEEEENSD_19counting_iterator_tIlEES8_S8_S8_S8_S8_S8_S8_S8_EEEEPS9_S9_NSD_9__find_if7functorIS9_EEEE10hipError_tPvRmT1_T2_T3_mT4_P12ihipStream_tbEUlT_E0_NS1_11comp_targetILNS1_3genE10ELNS1_11target_archE1200ELNS1_3gpuE4ELNS1_3repE0EEENS1_30default_config_static_selectorELNS0_4arch9wavefront6targetE1EEEvS17_,comdat
.Lfunc_end448:
	.size	_ZN7rocprim17ROCPRIM_400000_NS6detail17trampoline_kernelINS0_14default_configENS1_22reduce_config_selectorIN6thrust23THRUST_200600_302600_NS5tupleIblNS6_9null_typeES8_S8_S8_S8_S8_S8_S8_EEEEZNS1_11reduce_implILb1ES3_NS6_12zip_iteratorINS7_INS6_11hip_rocprim26transform_input_iterator_tIbPhNS6_6detail10functional5actorINSH_9compositeIJNSH_27transparent_binary_operatorINS6_8equal_toIvEEEENSI_INSH_8argumentILj0EEEEENSH_5valueIhEEEEEEEEENSD_19counting_iterator_tIlEES8_S8_S8_S8_S8_S8_S8_S8_EEEEPS9_S9_NSD_9__find_if7functorIS9_EEEE10hipError_tPvRmT1_T2_T3_mT4_P12ihipStream_tbEUlT_E0_NS1_11comp_targetILNS1_3genE10ELNS1_11target_archE1200ELNS1_3gpuE4ELNS1_3repE0EEENS1_30default_config_static_selectorELNS0_4arch9wavefront6targetE1EEEvS17_, .Lfunc_end448-_ZN7rocprim17ROCPRIM_400000_NS6detail17trampoline_kernelINS0_14default_configENS1_22reduce_config_selectorIN6thrust23THRUST_200600_302600_NS5tupleIblNS6_9null_typeES8_S8_S8_S8_S8_S8_S8_EEEEZNS1_11reduce_implILb1ES3_NS6_12zip_iteratorINS7_INS6_11hip_rocprim26transform_input_iterator_tIbPhNS6_6detail10functional5actorINSH_9compositeIJNSH_27transparent_binary_operatorINS6_8equal_toIvEEEENSI_INSH_8argumentILj0EEEEENSH_5valueIhEEEEEEEEENSD_19counting_iterator_tIlEES8_S8_S8_S8_S8_S8_S8_S8_EEEEPS9_S9_NSD_9__find_if7functorIS9_EEEE10hipError_tPvRmT1_T2_T3_mT4_P12ihipStream_tbEUlT_E0_NS1_11comp_targetILNS1_3genE10ELNS1_11target_archE1200ELNS1_3gpuE4ELNS1_3repE0EEENS1_30default_config_static_selectorELNS0_4arch9wavefront6targetE1EEEvS17_
                                        ; -- End function
	.section	.AMDGPU.csdata,"",@progbits
; Kernel info:
; codeLenInByte = 0
; NumSgprs: 4
; NumVgprs: 0
; NumAgprs: 0
; TotalNumVgprs: 0
; ScratchSize: 0
; MemoryBound: 0
; FloatMode: 240
; IeeeMode: 1
; LDSByteSize: 0 bytes/workgroup (compile time only)
; SGPRBlocks: 0
; VGPRBlocks: 0
; NumSGPRsForWavesPerEU: 4
; NumVGPRsForWavesPerEU: 1
; AccumOffset: 4
; Occupancy: 8
; WaveLimiterHint : 0
; COMPUTE_PGM_RSRC2:SCRATCH_EN: 0
; COMPUTE_PGM_RSRC2:USER_SGPR: 6
; COMPUTE_PGM_RSRC2:TRAP_HANDLER: 0
; COMPUTE_PGM_RSRC2:TGID_X_EN: 1
; COMPUTE_PGM_RSRC2:TGID_Y_EN: 0
; COMPUTE_PGM_RSRC2:TGID_Z_EN: 0
; COMPUTE_PGM_RSRC2:TIDIG_COMP_CNT: 0
; COMPUTE_PGM_RSRC3_GFX90A:ACCUM_OFFSET: 0
; COMPUTE_PGM_RSRC3_GFX90A:TG_SPLIT: 0
	.section	.text._ZN7rocprim17ROCPRIM_400000_NS6detail17trampoline_kernelINS0_14default_configENS1_22reduce_config_selectorIN6thrust23THRUST_200600_302600_NS5tupleIblNS6_9null_typeES8_S8_S8_S8_S8_S8_S8_EEEEZNS1_11reduce_implILb1ES3_NS6_12zip_iteratorINS7_INS6_11hip_rocprim26transform_input_iterator_tIbPhNS6_6detail10functional5actorINSH_9compositeIJNSH_27transparent_binary_operatorINS6_8equal_toIvEEEENSI_INSH_8argumentILj0EEEEENSH_5valueIhEEEEEEEEENSD_19counting_iterator_tIlEES8_S8_S8_S8_S8_S8_S8_S8_EEEEPS9_S9_NSD_9__find_if7functorIS9_EEEE10hipError_tPvRmT1_T2_T3_mT4_P12ihipStream_tbEUlT_E0_NS1_11comp_targetILNS1_3genE9ELNS1_11target_archE1100ELNS1_3gpuE3ELNS1_3repE0EEENS1_30default_config_static_selectorELNS0_4arch9wavefront6targetE1EEEvS17_,"axG",@progbits,_ZN7rocprim17ROCPRIM_400000_NS6detail17trampoline_kernelINS0_14default_configENS1_22reduce_config_selectorIN6thrust23THRUST_200600_302600_NS5tupleIblNS6_9null_typeES8_S8_S8_S8_S8_S8_S8_EEEEZNS1_11reduce_implILb1ES3_NS6_12zip_iteratorINS7_INS6_11hip_rocprim26transform_input_iterator_tIbPhNS6_6detail10functional5actorINSH_9compositeIJNSH_27transparent_binary_operatorINS6_8equal_toIvEEEENSI_INSH_8argumentILj0EEEEENSH_5valueIhEEEEEEEEENSD_19counting_iterator_tIlEES8_S8_S8_S8_S8_S8_S8_S8_EEEEPS9_S9_NSD_9__find_if7functorIS9_EEEE10hipError_tPvRmT1_T2_T3_mT4_P12ihipStream_tbEUlT_E0_NS1_11comp_targetILNS1_3genE9ELNS1_11target_archE1100ELNS1_3gpuE3ELNS1_3repE0EEENS1_30default_config_static_selectorELNS0_4arch9wavefront6targetE1EEEvS17_,comdat
	.protected	_ZN7rocprim17ROCPRIM_400000_NS6detail17trampoline_kernelINS0_14default_configENS1_22reduce_config_selectorIN6thrust23THRUST_200600_302600_NS5tupleIblNS6_9null_typeES8_S8_S8_S8_S8_S8_S8_EEEEZNS1_11reduce_implILb1ES3_NS6_12zip_iteratorINS7_INS6_11hip_rocprim26transform_input_iterator_tIbPhNS6_6detail10functional5actorINSH_9compositeIJNSH_27transparent_binary_operatorINS6_8equal_toIvEEEENSI_INSH_8argumentILj0EEEEENSH_5valueIhEEEEEEEEENSD_19counting_iterator_tIlEES8_S8_S8_S8_S8_S8_S8_S8_EEEEPS9_S9_NSD_9__find_if7functorIS9_EEEE10hipError_tPvRmT1_T2_T3_mT4_P12ihipStream_tbEUlT_E0_NS1_11comp_targetILNS1_3genE9ELNS1_11target_archE1100ELNS1_3gpuE3ELNS1_3repE0EEENS1_30default_config_static_selectorELNS0_4arch9wavefront6targetE1EEEvS17_ ; -- Begin function _ZN7rocprim17ROCPRIM_400000_NS6detail17trampoline_kernelINS0_14default_configENS1_22reduce_config_selectorIN6thrust23THRUST_200600_302600_NS5tupleIblNS6_9null_typeES8_S8_S8_S8_S8_S8_S8_EEEEZNS1_11reduce_implILb1ES3_NS6_12zip_iteratorINS7_INS6_11hip_rocprim26transform_input_iterator_tIbPhNS6_6detail10functional5actorINSH_9compositeIJNSH_27transparent_binary_operatorINS6_8equal_toIvEEEENSI_INSH_8argumentILj0EEEEENSH_5valueIhEEEEEEEEENSD_19counting_iterator_tIlEES8_S8_S8_S8_S8_S8_S8_S8_EEEEPS9_S9_NSD_9__find_if7functorIS9_EEEE10hipError_tPvRmT1_T2_T3_mT4_P12ihipStream_tbEUlT_E0_NS1_11comp_targetILNS1_3genE9ELNS1_11target_archE1100ELNS1_3gpuE3ELNS1_3repE0EEENS1_30default_config_static_selectorELNS0_4arch9wavefront6targetE1EEEvS17_
	.globl	_ZN7rocprim17ROCPRIM_400000_NS6detail17trampoline_kernelINS0_14default_configENS1_22reduce_config_selectorIN6thrust23THRUST_200600_302600_NS5tupleIblNS6_9null_typeES8_S8_S8_S8_S8_S8_S8_EEEEZNS1_11reduce_implILb1ES3_NS6_12zip_iteratorINS7_INS6_11hip_rocprim26transform_input_iterator_tIbPhNS6_6detail10functional5actorINSH_9compositeIJNSH_27transparent_binary_operatorINS6_8equal_toIvEEEENSI_INSH_8argumentILj0EEEEENSH_5valueIhEEEEEEEEENSD_19counting_iterator_tIlEES8_S8_S8_S8_S8_S8_S8_S8_EEEEPS9_S9_NSD_9__find_if7functorIS9_EEEE10hipError_tPvRmT1_T2_T3_mT4_P12ihipStream_tbEUlT_E0_NS1_11comp_targetILNS1_3genE9ELNS1_11target_archE1100ELNS1_3gpuE3ELNS1_3repE0EEENS1_30default_config_static_selectorELNS0_4arch9wavefront6targetE1EEEvS17_
	.p2align	8
	.type	_ZN7rocprim17ROCPRIM_400000_NS6detail17trampoline_kernelINS0_14default_configENS1_22reduce_config_selectorIN6thrust23THRUST_200600_302600_NS5tupleIblNS6_9null_typeES8_S8_S8_S8_S8_S8_S8_EEEEZNS1_11reduce_implILb1ES3_NS6_12zip_iteratorINS7_INS6_11hip_rocprim26transform_input_iterator_tIbPhNS6_6detail10functional5actorINSH_9compositeIJNSH_27transparent_binary_operatorINS6_8equal_toIvEEEENSI_INSH_8argumentILj0EEEEENSH_5valueIhEEEEEEEEENSD_19counting_iterator_tIlEES8_S8_S8_S8_S8_S8_S8_S8_EEEEPS9_S9_NSD_9__find_if7functorIS9_EEEE10hipError_tPvRmT1_T2_T3_mT4_P12ihipStream_tbEUlT_E0_NS1_11comp_targetILNS1_3genE9ELNS1_11target_archE1100ELNS1_3gpuE3ELNS1_3repE0EEENS1_30default_config_static_selectorELNS0_4arch9wavefront6targetE1EEEvS17_,@function
_ZN7rocprim17ROCPRIM_400000_NS6detail17trampoline_kernelINS0_14default_configENS1_22reduce_config_selectorIN6thrust23THRUST_200600_302600_NS5tupleIblNS6_9null_typeES8_S8_S8_S8_S8_S8_S8_EEEEZNS1_11reduce_implILb1ES3_NS6_12zip_iteratorINS7_INS6_11hip_rocprim26transform_input_iterator_tIbPhNS6_6detail10functional5actorINSH_9compositeIJNSH_27transparent_binary_operatorINS6_8equal_toIvEEEENSI_INSH_8argumentILj0EEEEENSH_5valueIhEEEEEEEEENSD_19counting_iterator_tIlEES8_S8_S8_S8_S8_S8_S8_S8_EEEEPS9_S9_NSD_9__find_if7functorIS9_EEEE10hipError_tPvRmT1_T2_T3_mT4_P12ihipStream_tbEUlT_E0_NS1_11comp_targetILNS1_3genE9ELNS1_11target_archE1100ELNS1_3gpuE3ELNS1_3repE0EEENS1_30default_config_static_selectorELNS0_4arch9wavefront6targetE1EEEvS17_: ; @_ZN7rocprim17ROCPRIM_400000_NS6detail17trampoline_kernelINS0_14default_configENS1_22reduce_config_selectorIN6thrust23THRUST_200600_302600_NS5tupleIblNS6_9null_typeES8_S8_S8_S8_S8_S8_S8_EEEEZNS1_11reduce_implILb1ES3_NS6_12zip_iteratorINS7_INS6_11hip_rocprim26transform_input_iterator_tIbPhNS6_6detail10functional5actorINSH_9compositeIJNSH_27transparent_binary_operatorINS6_8equal_toIvEEEENSI_INSH_8argumentILj0EEEEENSH_5valueIhEEEEEEEEENSD_19counting_iterator_tIlEES8_S8_S8_S8_S8_S8_S8_S8_EEEEPS9_S9_NSD_9__find_if7functorIS9_EEEE10hipError_tPvRmT1_T2_T3_mT4_P12ihipStream_tbEUlT_E0_NS1_11comp_targetILNS1_3genE9ELNS1_11target_archE1100ELNS1_3gpuE3ELNS1_3repE0EEENS1_30default_config_static_selectorELNS0_4arch9wavefront6targetE1EEEvS17_
; %bb.0:
	.section	.rodata,"a",@progbits
	.p2align	6, 0x0
	.amdhsa_kernel _ZN7rocprim17ROCPRIM_400000_NS6detail17trampoline_kernelINS0_14default_configENS1_22reduce_config_selectorIN6thrust23THRUST_200600_302600_NS5tupleIblNS6_9null_typeES8_S8_S8_S8_S8_S8_S8_EEEEZNS1_11reduce_implILb1ES3_NS6_12zip_iteratorINS7_INS6_11hip_rocprim26transform_input_iterator_tIbPhNS6_6detail10functional5actorINSH_9compositeIJNSH_27transparent_binary_operatorINS6_8equal_toIvEEEENSI_INSH_8argumentILj0EEEEENSH_5valueIhEEEEEEEEENSD_19counting_iterator_tIlEES8_S8_S8_S8_S8_S8_S8_S8_EEEEPS9_S9_NSD_9__find_if7functorIS9_EEEE10hipError_tPvRmT1_T2_T3_mT4_P12ihipStream_tbEUlT_E0_NS1_11comp_targetILNS1_3genE9ELNS1_11target_archE1100ELNS1_3gpuE3ELNS1_3repE0EEENS1_30default_config_static_selectorELNS0_4arch9wavefront6targetE1EEEvS17_
		.amdhsa_group_segment_fixed_size 0
		.amdhsa_private_segment_fixed_size 0
		.amdhsa_kernarg_size 88
		.amdhsa_user_sgpr_count 6
		.amdhsa_user_sgpr_private_segment_buffer 1
		.amdhsa_user_sgpr_dispatch_ptr 0
		.amdhsa_user_sgpr_queue_ptr 0
		.amdhsa_user_sgpr_kernarg_segment_ptr 1
		.amdhsa_user_sgpr_dispatch_id 0
		.amdhsa_user_sgpr_flat_scratch_init 0
		.amdhsa_user_sgpr_kernarg_preload_length 0
		.amdhsa_user_sgpr_kernarg_preload_offset 0
		.amdhsa_user_sgpr_private_segment_size 0
		.amdhsa_uses_dynamic_stack 0
		.amdhsa_system_sgpr_private_segment_wavefront_offset 0
		.amdhsa_system_sgpr_workgroup_id_x 1
		.amdhsa_system_sgpr_workgroup_id_y 0
		.amdhsa_system_sgpr_workgroup_id_z 0
		.amdhsa_system_sgpr_workgroup_info 0
		.amdhsa_system_vgpr_workitem_id 0
		.amdhsa_next_free_vgpr 1
		.amdhsa_next_free_sgpr 0
		.amdhsa_accum_offset 4
		.amdhsa_reserve_vcc 0
		.amdhsa_reserve_flat_scratch 0
		.amdhsa_float_round_mode_32 0
		.amdhsa_float_round_mode_16_64 0
		.amdhsa_float_denorm_mode_32 3
		.amdhsa_float_denorm_mode_16_64 3
		.amdhsa_dx10_clamp 1
		.amdhsa_ieee_mode 1
		.amdhsa_fp16_overflow 0
		.amdhsa_tg_split 0
		.amdhsa_exception_fp_ieee_invalid_op 0
		.amdhsa_exception_fp_denorm_src 0
		.amdhsa_exception_fp_ieee_div_zero 0
		.amdhsa_exception_fp_ieee_overflow 0
		.amdhsa_exception_fp_ieee_underflow 0
		.amdhsa_exception_fp_ieee_inexact 0
		.amdhsa_exception_int_div_zero 0
	.end_amdhsa_kernel
	.section	.text._ZN7rocprim17ROCPRIM_400000_NS6detail17trampoline_kernelINS0_14default_configENS1_22reduce_config_selectorIN6thrust23THRUST_200600_302600_NS5tupleIblNS6_9null_typeES8_S8_S8_S8_S8_S8_S8_EEEEZNS1_11reduce_implILb1ES3_NS6_12zip_iteratorINS7_INS6_11hip_rocprim26transform_input_iterator_tIbPhNS6_6detail10functional5actorINSH_9compositeIJNSH_27transparent_binary_operatorINS6_8equal_toIvEEEENSI_INSH_8argumentILj0EEEEENSH_5valueIhEEEEEEEEENSD_19counting_iterator_tIlEES8_S8_S8_S8_S8_S8_S8_S8_EEEEPS9_S9_NSD_9__find_if7functorIS9_EEEE10hipError_tPvRmT1_T2_T3_mT4_P12ihipStream_tbEUlT_E0_NS1_11comp_targetILNS1_3genE9ELNS1_11target_archE1100ELNS1_3gpuE3ELNS1_3repE0EEENS1_30default_config_static_selectorELNS0_4arch9wavefront6targetE1EEEvS17_,"axG",@progbits,_ZN7rocprim17ROCPRIM_400000_NS6detail17trampoline_kernelINS0_14default_configENS1_22reduce_config_selectorIN6thrust23THRUST_200600_302600_NS5tupleIblNS6_9null_typeES8_S8_S8_S8_S8_S8_S8_EEEEZNS1_11reduce_implILb1ES3_NS6_12zip_iteratorINS7_INS6_11hip_rocprim26transform_input_iterator_tIbPhNS6_6detail10functional5actorINSH_9compositeIJNSH_27transparent_binary_operatorINS6_8equal_toIvEEEENSI_INSH_8argumentILj0EEEEENSH_5valueIhEEEEEEEEENSD_19counting_iterator_tIlEES8_S8_S8_S8_S8_S8_S8_S8_EEEEPS9_S9_NSD_9__find_if7functorIS9_EEEE10hipError_tPvRmT1_T2_T3_mT4_P12ihipStream_tbEUlT_E0_NS1_11comp_targetILNS1_3genE9ELNS1_11target_archE1100ELNS1_3gpuE3ELNS1_3repE0EEENS1_30default_config_static_selectorELNS0_4arch9wavefront6targetE1EEEvS17_,comdat
.Lfunc_end449:
	.size	_ZN7rocprim17ROCPRIM_400000_NS6detail17trampoline_kernelINS0_14default_configENS1_22reduce_config_selectorIN6thrust23THRUST_200600_302600_NS5tupleIblNS6_9null_typeES8_S8_S8_S8_S8_S8_S8_EEEEZNS1_11reduce_implILb1ES3_NS6_12zip_iteratorINS7_INS6_11hip_rocprim26transform_input_iterator_tIbPhNS6_6detail10functional5actorINSH_9compositeIJNSH_27transparent_binary_operatorINS6_8equal_toIvEEEENSI_INSH_8argumentILj0EEEEENSH_5valueIhEEEEEEEEENSD_19counting_iterator_tIlEES8_S8_S8_S8_S8_S8_S8_S8_EEEEPS9_S9_NSD_9__find_if7functorIS9_EEEE10hipError_tPvRmT1_T2_T3_mT4_P12ihipStream_tbEUlT_E0_NS1_11comp_targetILNS1_3genE9ELNS1_11target_archE1100ELNS1_3gpuE3ELNS1_3repE0EEENS1_30default_config_static_selectorELNS0_4arch9wavefront6targetE1EEEvS17_, .Lfunc_end449-_ZN7rocprim17ROCPRIM_400000_NS6detail17trampoline_kernelINS0_14default_configENS1_22reduce_config_selectorIN6thrust23THRUST_200600_302600_NS5tupleIblNS6_9null_typeES8_S8_S8_S8_S8_S8_S8_EEEEZNS1_11reduce_implILb1ES3_NS6_12zip_iteratorINS7_INS6_11hip_rocprim26transform_input_iterator_tIbPhNS6_6detail10functional5actorINSH_9compositeIJNSH_27transparent_binary_operatorINS6_8equal_toIvEEEENSI_INSH_8argumentILj0EEEEENSH_5valueIhEEEEEEEEENSD_19counting_iterator_tIlEES8_S8_S8_S8_S8_S8_S8_S8_EEEEPS9_S9_NSD_9__find_if7functorIS9_EEEE10hipError_tPvRmT1_T2_T3_mT4_P12ihipStream_tbEUlT_E0_NS1_11comp_targetILNS1_3genE9ELNS1_11target_archE1100ELNS1_3gpuE3ELNS1_3repE0EEENS1_30default_config_static_selectorELNS0_4arch9wavefront6targetE1EEEvS17_
                                        ; -- End function
	.section	.AMDGPU.csdata,"",@progbits
; Kernel info:
; codeLenInByte = 0
; NumSgprs: 4
; NumVgprs: 0
; NumAgprs: 0
; TotalNumVgprs: 0
; ScratchSize: 0
; MemoryBound: 0
; FloatMode: 240
; IeeeMode: 1
; LDSByteSize: 0 bytes/workgroup (compile time only)
; SGPRBlocks: 0
; VGPRBlocks: 0
; NumSGPRsForWavesPerEU: 4
; NumVGPRsForWavesPerEU: 1
; AccumOffset: 4
; Occupancy: 8
; WaveLimiterHint : 0
; COMPUTE_PGM_RSRC2:SCRATCH_EN: 0
; COMPUTE_PGM_RSRC2:USER_SGPR: 6
; COMPUTE_PGM_RSRC2:TRAP_HANDLER: 0
; COMPUTE_PGM_RSRC2:TGID_X_EN: 1
; COMPUTE_PGM_RSRC2:TGID_Y_EN: 0
; COMPUTE_PGM_RSRC2:TGID_Z_EN: 0
; COMPUTE_PGM_RSRC2:TIDIG_COMP_CNT: 0
; COMPUTE_PGM_RSRC3_GFX90A:ACCUM_OFFSET: 0
; COMPUTE_PGM_RSRC3_GFX90A:TG_SPLIT: 0
	.section	.text._ZN7rocprim17ROCPRIM_400000_NS6detail17trampoline_kernelINS0_14default_configENS1_22reduce_config_selectorIN6thrust23THRUST_200600_302600_NS5tupleIblNS6_9null_typeES8_S8_S8_S8_S8_S8_S8_EEEEZNS1_11reduce_implILb1ES3_NS6_12zip_iteratorINS7_INS6_11hip_rocprim26transform_input_iterator_tIbPhNS6_6detail10functional5actorINSH_9compositeIJNSH_27transparent_binary_operatorINS6_8equal_toIvEEEENSI_INSH_8argumentILj0EEEEENSH_5valueIhEEEEEEEEENSD_19counting_iterator_tIlEES8_S8_S8_S8_S8_S8_S8_S8_EEEEPS9_S9_NSD_9__find_if7functorIS9_EEEE10hipError_tPvRmT1_T2_T3_mT4_P12ihipStream_tbEUlT_E0_NS1_11comp_targetILNS1_3genE8ELNS1_11target_archE1030ELNS1_3gpuE2ELNS1_3repE0EEENS1_30default_config_static_selectorELNS0_4arch9wavefront6targetE1EEEvS17_,"axG",@progbits,_ZN7rocprim17ROCPRIM_400000_NS6detail17trampoline_kernelINS0_14default_configENS1_22reduce_config_selectorIN6thrust23THRUST_200600_302600_NS5tupleIblNS6_9null_typeES8_S8_S8_S8_S8_S8_S8_EEEEZNS1_11reduce_implILb1ES3_NS6_12zip_iteratorINS7_INS6_11hip_rocprim26transform_input_iterator_tIbPhNS6_6detail10functional5actorINSH_9compositeIJNSH_27transparent_binary_operatorINS6_8equal_toIvEEEENSI_INSH_8argumentILj0EEEEENSH_5valueIhEEEEEEEEENSD_19counting_iterator_tIlEES8_S8_S8_S8_S8_S8_S8_S8_EEEEPS9_S9_NSD_9__find_if7functorIS9_EEEE10hipError_tPvRmT1_T2_T3_mT4_P12ihipStream_tbEUlT_E0_NS1_11comp_targetILNS1_3genE8ELNS1_11target_archE1030ELNS1_3gpuE2ELNS1_3repE0EEENS1_30default_config_static_selectorELNS0_4arch9wavefront6targetE1EEEvS17_,comdat
	.protected	_ZN7rocprim17ROCPRIM_400000_NS6detail17trampoline_kernelINS0_14default_configENS1_22reduce_config_selectorIN6thrust23THRUST_200600_302600_NS5tupleIblNS6_9null_typeES8_S8_S8_S8_S8_S8_S8_EEEEZNS1_11reduce_implILb1ES3_NS6_12zip_iteratorINS7_INS6_11hip_rocprim26transform_input_iterator_tIbPhNS6_6detail10functional5actorINSH_9compositeIJNSH_27transparent_binary_operatorINS6_8equal_toIvEEEENSI_INSH_8argumentILj0EEEEENSH_5valueIhEEEEEEEEENSD_19counting_iterator_tIlEES8_S8_S8_S8_S8_S8_S8_S8_EEEEPS9_S9_NSD_9__find_if7functorIS9_EEEE10hipError_tPvRmT1_T2_T3_mT4_P12ihipStream_tbEUlT_E0_NS1_11comp_targetILNS1_3genE8ELNS1_11target_archE1030ELNS1_3gpuE2ELNS1_3repE0EEENS1_30default_config_static_selectorELNS0_4arch9wavefront6targetE1EEEvS17_ ; -- Begin function _ZN7rocprim17ROCPRIM_400000_NS6detail17trampoline_kernelINS0_14default_configENS1_22reduce_config_selectorIN6thrust23THRUST_200600_302600_NS5tupleIblNS6_9null_typeES8_S8_S8_S8_S8_S8_S8_EEEEZNS1_11reduce_implILb1ES3_NS6_12zip_iteratorINS7_INS6_11hip_rocprim26transform_input_iterator_tIbPhNS6_6detail10functional5actorINSH_9compositeIJNSH_27transparent_binary_operatorINS6_8equal_toIvEEEENSI_INSH_8argumentILj0EEEEENSH_5valueIhEEEEEEEEENSD_19counting_iterator_tIlEES8_S8_S8_S8_S8_S8_S8_S8_EEEEPS9_S9_NSD_9__find_if7functorIS9_EEEE10hipError_tPvRmT1_T2_T3_mT4_P12ihipStream_tbEUlT_E0_NS1_11comp_targetILNS1_3genE8ELNS1_11target_archE1030ELNS1_3gpuE2ELNS1_3repE0EEENS1_30default_config_static_selectorELNS0_4arch9wavefront6targetE1EEEvS17_
	.globl	_ZN7rocprim17ROCPRIM_400000_NS6detail17trampoline_kernelINS0_14default_configENS1_22reduce_config_selectorIN6thrust23THRUST_200600_302600_NS5tupleIblNS6_9null_typeES8_S8_S8_S8_S8_S8_S8_EEEEZNS1_11reduce_implILb1ES3_NS6_12zip_iteratorINS7_INS6_11hip_rocprim26transform_input_iterator_tIbPhNS6_6detail10functional5actorINSH_9compositeIJNSH_27transparent_binary_operatorINS6_8equal_toIvEEEENSI_INSH_8argumentILj0EEEEENSH_5valueIhEEEEEEEEENSD_19counting_iterator_tIlEES8_S8_S8_S8_S8_S8_S8_S8_EEEEPS9_S9_NSD_9__find_if7functorIS9_EEEE10hipError_tPvRmT1_T2_T3_mT4_P12ihipStream_tbEUlT_E0_NS1_11comp_targetILNS1_3genE8ELNS1_11target_archE1030ELNS1_3gpuE2ELNS1_3repE0EEENS1_30default_config_static_selectorELNS0_4arch9wavefront6targetE1EEEvS17_
	.p2align	8
	.type	_ZN7rocprim17ROCPRIM_400000_NS6detail17trampoline_kernelINS0_14default_configENS1_22reduce_config_selectorIN6thrust23THRUST_200600_302600_NS5tupleIblNS6_9null_typeES8_S8_S8_S8_S8_S8_S8_EEEEZNS1_11reduce_implILb1ES3_NS6_12zip_iteratorINS7_INS6_11hip_rocprim26transform_input_iterator_tIbPhNS6_6detail10functional5actorINSH_9compositeIJNSH_27transparent_binary_operatorINS6_8equal_toIvEEEENSI_INSH_8argumentILj0EEEEENSH_5valueIhEEEEEEEEENSD_19counting_iterator_tIlEES8_S8_S8_S8_S8_S8_S8_S8_EEEEPS9_S9_NSD_9__find_if7functorIS9_EEEE10hipError_tPvRmT1_T2_T3_mT4_P12ihipStream_tbEUlT_E0_NS1_11comp_targetILNS1_3genE8ELNS1_11target_archE1030ELNS1_3gpuE2ELNS1_3repE0EEENS1_30default_config_static_selectorELNS0_4arch9wavefront6targetE1EEEvS17_,@function
_ZN7rocprim17ROCPRIM_400000_NS6detail17trampoline_kernelINS0_14default_configENS1_22reduce_config_selectorIN6thrust23THRUST_200600_302600_NS5tupleIblNS6_9null_typeES8_S8_S8_S8_S8_S8_S8_EEEEZNS1_11reduce_implILb1ES3_NS6_12zip_iteratorINS7_INS6_11hip_rocprim26transform_input_iterator_tIbPhNS6_6detail10functional5actorINSH_9compositeIJNSH_27transparent_binary_operatorINS6_8equal_toIvEEEENSI_INSH_8argumentILj0EEEEENSH_5valueIhEEEEEEEEENSD_19counting_iterator_tIlEES8_S8_S8_S8_S8_S8_S8_S8_EEEEPS9_S9_NSD_9__find_if7functorIS9_EEEE10hipError_tPvRmT1_T2_T3_mT4_P12ihipStream_tbEUlT_E0_NS1_11comp_targetILNS1_3genE8ELNS1_11target_archE1030ELNS1_3gpuE2ELNS1_3repE0EEENS1_30default_config_static_selectorELNS0_4arch9wavefront6targetE1EEEvS17_: ; @_ZN7rocprim17ROCPRIM_400000_NS6detail17trampoline_kernelINS0_14default_configENS1_22reduce_config_selectorIN6thrust23THRUST_200600_302600_NS5tupleIblNS6_9null_typeES8_S8_S8_S8_S8_S8_S8_EEEEZNS1_11reduce_implILb1ES3_NS6_12zip_iteratorINS7_INS6_11hip_rocprim26transform_input_iterator_tIbPhNS6_6detail10functional5actorINSH_9compositeIJNSH_27transparent_binary_operatorINS6_8equal_toIvEEEENSI_INSH_8argumentILj0EEEEENSH_5valueIhEEEEEEEEENSD_19counting_iterator_tIlEES8_S8_S8_S8_S8_S8_S8_S8_EEEEPS9_S9_NSD_9__find_if7functorIS9_EEEE10hipError_tPvRmT1_T2_T3_mT4_P12ihipStream_tbEUlT_E0_NS1_11comp_targetILNS1_3genE8ELNS1_11target_archE1030ELNS1_3gpuE2ELNS1_3repE0EEENS1_30default_config_static_selectorELNS0_4arch9wavefront6targetE1EEEvS17_
; %bb.0:
	.section	.rodata,"a",@progbits
	.p2align	6, 0x0
	.amdhsa_kernel _ZN7rocprim17ROCPRIM_400000_NS6detail17trampoline_kernelINS0_14default_configENS1_22reduce_config_selectorIN6thrust23THRUST_200600_302600_NS5tupleIblNS6_9null_typeES8_S8_S8_S8_S8_S8_S8_EEEEZNS1_11reduce_implILb1ES3_NS6_12zip_iteratorINS7_INS6_11hip_rocprim26transform_input_iterator_tIbPhNS6_6detail10functional5actorINSH_9compositeIJNSH_27transparent_binary_operatorINS6_8equal_toIvEEEENSI_INSH_8argumentILj0EEEEENSH_5valueIhEEEEEEEEENSD_19counting_iterator_tIlEES8_S8_S8_S8_S8_S8_S8_S8_EEEEPS9_S9_NSD_9__find_if7functorIS9_EEEE10hipError_tPvRmT1_T2_T3_mT4_P12ihipStream_tbEUlT_E0_NS1_11comp_targetILNS1_3genE8ELNS1_11target_archE1030ELNS1_3gpuE2ELNS1_3repE0EEENS1_30default_config_static_selectorELNS0_4arch9wavefront6targetE1EEEvS17_
		.amdhsa_group_segment_fixed_size 0
		.amdhsa_private_segment_fixed_size 0
		.amdhsa_kernarg_size 88
		.amdhsa_user_sgpr_count 6
		.amdhsa_user_sgpr_private_segment_buffer 1
		.amdhsa_user_sgpr_dispatch_ptr 0
		.amdhsa_user_sgpr_queue_ptr 0
		.amdhsa_user_sgpr_kernarg_segment_ptr 1
		.amdhsa_user_sgpr_dispatch_id 0
		.amdhsa_user_sgpr_flat_scratch_init 0
		.amdhsa_user_sgpr_kernarg_preload_length 0
		.amdhsa_user_sgpr_kernarg_preload_offset 0
		.amdhsa_user_sgpr_private_segment_size 0
		.amdhsa_uses_dynamic_stack 0
		.amdhsa_system_sgpr_private_segment_wavefront_offset 0
		.amdhsa_system_sgpr_workgroup_id_x 1
		.amdhsa_system_sgpr_workgroup_id_y 0
		.amdhsa_system_sgpr_workgroup_id_z 0
		.amdhsa_system_sgpr_workgroup_info 0
		.amdhsa_system_vgpr_workitem_id 0
		.amdhsa_next_free_vgpr 1
		.amdhsa_next_free_sgpr 0
		.amdhsa_accum_offset 4
		.amdhsa_reserve_vcc 0
		.amdhsa_reserve_flat_scratch 0
		.amdhsa_float_round_mode_32 0
		.amdhsa_float_round_mode_16_64 0
		.amdhsa_float_denorm_mode_32 3
		.amdhsa_float_denorm_mode_16_64 3
		.amdhsa_dx10_clamp 1
		.amdhsa_ieee_mode 1
		.amdhsa_fp16_overflow 0
		.amdhsa_tg_split 0
		.amdhsa_exception_fp_ieee_invalid_op 0
		.amdhsa_exception_fp_denorm_src 0
		.amdhsa_exception_fp_ieee_div_zero 0
		.amdhsa_exception_fp_ieee_overflow 0
		.amdhsa_exception_fp_ieee_underflow 0
		.amdhsa_exception_fp_ieee_inexact 0
		.amdhsa_exception_int_div_zero 0
	.end_amdhsa_kernel
	.section	.text._ZN7rocprim17ROCPRIM_400000_NS6detail17trampoline_kernelINS0_14default_configENS1_22reduce_config_selectorIN6thrust23THRUST_200600_302600_NS5tupleIblNS6_9null_typeES8_S8_S8_S8_S8_S8_S8_EEEEZNS1_11reduce_implILb1ES3_NS6_12zip_iteratorINS7_INS6_11hip_rocprim26transform_input_iterator_tIbPhNS6_6detail10functional5actorINSH_9compositeIJNSH_27transparent_binary_operatorINS6_8equal_toIvEEEENSI_INSH_8argumentILj0EEEEENSH_5valueIhEEEEEEEEENSD_19counting_iterator_tIlEES8_S8_S8_S8_S8_S8_S8_S8_EEEEPS9_S9_NSD_9__find_if7functorIS9_EEEE10hipError_tPvRmT1_T2_T3_mT4_P12ihipStream_tbEUlT_E0_NS1_11comp_targetILNS1_3genE8ELNS1_11target_archE1030ELNS1_3gpuE2ELNS1_3repE0EEENS1_30default_config_static_selectorELNS0_4arch9wavefront6targetE1EEEvS17_,"axG",@progbits,_ZN7rocprim17ROCPRIM_400000_NS6detail17trampoline_kernelINS0_14default_configENS1_22reduce_config_selectorIN6thrust23THRUST_200600_302600_NS5tupleIblNS6_9null_typeES8_S8_S8_S8_S8_S8_S8_EEEEZNS1_11reduce_implILb1ES3_NS6_12zip_iteratorINS7_INS6_11hip_rocprim26transform_input_iterator_tIbPhNS6_6detail10functional5actorINSH_9compositeIJNSH_27transparent_binary_operatorINS6_8equal_toIvEEEENSI_INSH_8argumentILj0EEEEENSH_5valueIhEEEEEEEEENSD_19counting_iterator_tIlEES8_S8_S8_S8_S8_S8_S8_S8_EEEEPS9_S9_NSD_9__find_if7functorIS9_EEEE10hipError_tPvRmT1_T2_T3_mT4_P12ihipStream_tbEUlT_E0_NS1_11comp_targetILNS1_3genE8ELNS1_11target_archE1030ELNS1_3gpuE2ELNS1_3repE0EEENS1_30default_config_static_selectorELNS0_4arch9wavefront6targetE1EEEvS17_,comdat
.Lfunc_end450:
	.size	_ZN7rocprim17ROCPRIM_400000_NS6detail17trampoline_kernelINS0_14default_configENS1_22reduce_config_selectorIN6thrust23THRUST_200600_302600_NS5tupleIblNS6_9null_typeES8_S8_S8_S8_S8_S8_S8_EEEEZNS1_11reduce_implILb1ES3_NS6_12zip_iteratorINS7_INS6_11hip_rocprim26transform_input_iterator_tIbPhNS6_6detail10functional5actorINSH_9compositeIJNSH_27transparent_binary_operatorINS6_8equal_toIvEEEENSI_INSH_8argumentILj0EEEEENSH_5valueIhEEEEEEEEENSD_19counting_iterator_tIlEES8_S8_S8_S8_S8_S8_S8_S8_EEEEPS9_S9_NSD_9__find_if7functorIS9_EEEE10hipError_tPvRmT1_T2_T3_mT4_P12ihipStream_tbEUlT_E0_NS1_11comp_targetILNS1_3genE8ELNS1_11target_archE1030ELNS1_3gpuE2ELNS1_3repE0EEENS1_30default_config_static_selectorELNS0_4arch9wavefront6targetE1EEEvS17_, .Lfunc_end450-_ZN7rocprim17ROCPRIM_400000_NS6detail17trampoline_kernelINS0_14default_configENS1_22reduce_config_selectorIN6thrust23THRUST_200600_302600_NS5tupleIblNS6_9null_typeES8_S8_S8_S8_S8_S8_S8_EEEEZNS1_11reduce_implILb1ES3_NS6_12zip_iteratorINS7_INS6_11hip_rocprim26transform_input_iterator_tIbPhNS6_6detail10functional5actorINSH_9compositeIJNSH_27transparent_binary_operatorINS6_8equal_toIvEEEENSI_INSH_8argumentILj0EEEEENSH_5valueIhEEEEEEEEENSD_19counting_iterator_tIlEES8_S8_S8_S8_S8_S8_S8_S8_EEEEPS9_S9_NSD_9__find_if7functorIS9_EEEE10hipError_tPvRmT1_T2_T3_mT4_P12ihipStream_tbEUlT_E0_NS1_11comp_targetILNS1_3genE8ELNS1_11target_archE1030ELNS1_3gpuE2ELNS1_3repE0EEENS1_30default_config_static_selectorELNS0_4arch9wavefront6targetE1EEEvS17_
                                        ; -- End function
	.section	.AMDGPU.csdata,"",@progbits
; Kernel info:
; codeLenInByte = 0
; NumSgprs: 4
; NumVgprs: 0
; NumAgprs: 0
; TotalNumVgprs: 0
; ScratchSize: 0
; MemoryBound: 0
; FloatMode: 240
; IeeeMode: 1
; LDSByteSize: 0 bytes/workgroup (compile time only)
; SGPRBlocks: 0
; VGPRBlocks: 0
; NumSGPRsForWavesPerEU: 4
; NumVGPRsForWavesPerEU: 1
; AccumOffset: 4
; Occupancy: 8
; WaveLimiterHint : 0
; COMPUTE_PGM_RSRC2:SCRATCH_EN: 0
; COMPUTE_PGM_RSRC2:USER_SGPR: 6
; COMPUTE_PGM_RSRC2:TRAP_HANDLER: 0
; COMPUTE_PGM_RSRC2:TGID_X_EN: 1
; COMPUTE_PGM_RSRC2:TGID_Y_EN: 0
; COMPUTE_PGM_RSRC2:TGID_Z_EN: 0
; COMPUTE_PGM_RSRC2:TIDIG_COMP_CNT: 0
; COMPUTE_PGM_RSRC3_GFX90A:ACCUM_OFFSET: 0
; COMPUTE_PGM_RSRC3_GFX90A:TG_SPLIT: 0
	.section	.text._ZN7rocprim17ROCPRIM_400000_NS6detail17trampoline_kernelINS0_14default_configENS1_22reduce_config_selectorIN6thrust23THRUST_200600_302600_NS5tupleIblNS6_9null_typeES8_S8_S8_S8_S8_S8_S8_EEEEZNS1_11reduce_implILb1ES3_NS6_12zip_iteratorINS7_INS6_11hip_rocprim26transform_input_iterator_tIbPhNS6_6detail10functional5actorINSH_9compositeIJNSH_27transparent_binary_operatorINS6_8equal_toIvEEEENSI_INSH_8argumentILj0EEEEENSH_5valueIhEEEEEEEEENSD_19counting_iterator_tIlEES8_S8_S8_S8_S8_S8_S8_S8_EEEEPS9_S9_NSD_9__find_if7functorIS9_EEEE10hipError_tPvRmT1_T2_T3_mT4_P12ihipStream_tbEUlT_E1_NS1_11comp_targetILNS1_3genE0ELNS1_11target_archE4294967295ELNS1_3gpuE0ELNS1_3repE0EEENS1_30default_config_static_selectorELNS0_4arch9wavefront6targetE1EEEvS17_,"axG",@progbits,_ZN7rocprim17ROCPRIM_400000_NS6detail17trampoline_kernelINS0_14default_configENS1_22reduce_config_selectorIN6thrust23THRUST_200600_302600_NS5tupleIblNS6_9null_typeES8_S8_S8_S8_S8_S8_S8_EEEEZNS1_11reduce_implILb1ES3_NS6_12zip_iteratorINS7_INS6_11hip_rocprim26transform_input_iterator_tIbPhNS6_6detail10functional5actorINSH_9compositeIJNSH_27transparent_binary_operatorINS6_8equal_toIvEEEENSI_INSH_8argumentILj0EEEEENSH_5valueIhEEEEEEEEENSD_19counting_iterator_tIlEES8_S8_S8_S8_S8_S8_S8_S8_EEEEPS9_S9_NSD_9__find_if7functorIS9_EEEE10hipError_tPvRmT1_T2_T3_mT4_P12ihipStream_tbEUlT_E1_NS1_11comp_targetILNS1_3genE0ELNS1_11target_archE4294967295ELNS1_3gpuE0ELNS1_3repE0EEENS1_30default_config_static_selectorELNS0_4arch9wavefront6targetE1EEEvS17_,comdat
	.protected	_ZN7rocprim17ROCPRIM_400000_NS6detail17trampoline_kernelINS0_14default_configENS1_22reduce_config_selectorIN6thrust23THRUST_200600_302600_NS5tupleIblNS6_9null_typeES8_S8_S8_S8_S8_S8_S8_EEEEZNS1_11reduce_implILb1ES3_NS6_12zip_iteratorINS7_INS6_11hip_rocprim26transform_input_iterator_tIbPhNS6_6detail10functional5actorINSH_9compositeIJNSH_27transparent_binary_operatorINS6_8equal_toIvEEEENSI_INSH_8argumentILj0EEEEENSH_5valueIhEEEEEEEEENSD_19counting_iterator_tIlEES8_S8_S8_S8_S8_S8_S8_S8_EEEEPS9_S9_NSD_9__find_if7functorIS9_EEEE10hipError_tPvRmT1_T2_T3_mT4_P12ihipStream_tbEUlT_E1_NS1_11comp_targetILNS1_3genE0ELNS1_11target_archE4294967295ELNS1_3gpuE0ELNS1_3repE0EEENS1_30default_config_static_selectorELNS0_4arch9wavefront6targetE1EEEvS17_ ; -- Begin function _ZN7rocprim17ROCPRIM_400000_NS6detail17trampoline_kernelINS0_14default_configENS1_22reduce_config_selectorIN6thrust23THRUST_200600_302600_NS5tupleIblNS6_9null_typeES8_S8_S8_S8_S8_S8_S8_EEEEZNS1_11reduce_implILb1ES3_NS6_12zip_iteratorINS7_INS6_11hip_rocprim26transform_input_iterator_tIbPhNS6_6detail10functional5actorINSH_9compositeIJNSH_27transparent_binary_operatorINS6_8equal_toIvEEEENSI_INSH_8argumentILj0EEEEENSH_5valueIhEEEEEEEEENSD_19counting_iterator_tIlEES8_S8_S8_S8_S8_S8_S8_S8_EEEEPS9_S9_NSD_9__find_if7functorIS9_EEEE10hipError_tPvRmT1_T2_T3_mT4_P12ihipStream_tbEUlT_E1_NS1_11comp_targetILNS1_3genE0ELNS1_11target_archE4294967295ELNS1_3gpuE0ELNS1_3repE0EEENS1_30default_config_static_selectorELNS0_4arch9wavefront6targetE1EEEvS17_
	.globl	_ZN7rocprim17ROCPRIM_400000_NS6detail17trampoline_kernelINS0_14default_configENS1_22reduce_config_selectorIN6thrust23THRUST_200600_302600_NS5tupleIblNS6_9null_typeES8_S8_S8_S8_S8_S8_S8_EEEEZNS1_11reduce_implILb1ES3_NS6_12zip_iteratorINS7_INS6_11hip_rocprim26transform_input_iterator_tIbPhNS6_6detail10functional5actorINSH_9compositeIJNSH_27transparent_binary_operatorINS6_8equal_toIvEEEENSI_INSH_8argumentILj0EEEEENSH_5valueIhEEEEEEEEENSD_19counting_iterator_tIlEES8_S8_S8_S8_S8_S8_S8_S8_EEEEPS9_S9_NSD_9__find_if7functorIS9_EEEE10hipError_tPvRmT1_T2_T3_mT4_P12ihipStream_tbEUlT_E1_NS1_11comp_targetILNS1_3genE0ELNS1_11target_archE4294967295ELNS1_3gpuE0ELNS1_3repE0EEENS1_30default_config_static_selectorELNS0_4arch9wavefront6targetE1EEEvS17_
	.p2align	8
	.type	_ZN7rocprim17ROCPRIM_400000_NS6detail17trampoline_kernelINS0_14default_configENS1_22reduce_config_selectorIN6thrust23THRUST_200600_302600_NS5tupleIblNS6_9null_typeES8_S8_S8_S8_S8_S8_S8_EEEEZNS1_11reduce_implILb1ES3_NS6_12zip_iteratorINS7_INS6_11hip_rocprim26transform_input_iterator_tIbPhNS6_6detail10functional5actorINSH_9compositeIJNSH_27transparent_binary_operatorINS6_8equal_toIvEEEENSI_INSH_8argumentILj0EEEEENSH_5valueIhEEEEEEEEENSD_19counting_iterator_tIlEES8_S8_S8_S8_S8_S8_S8_S8_EEEEPS9_S9_NSD_9__find_if7functorIS9_EEEE10hipError_tPvRmT1_T2_T3_mT4_P12ihipStream_tbEUlT_E1_NS1_11comp_targetILNS1_3genE0ELNS1_11target_archE4294967295ELNS1_3gpuE0ELNS1_3repE0EEENS1_30default_config_static_selectorELNS0_4arch9wavefront6targetE1EEEvS17_,@function
_ZN7rocprim17ROCPRIM_400000_NS6detail17trampoline_kernelINS0_14default_configENS1_22reduce_config_selectorIN6thrust23THRUST_200600_302600_NS5tupleIblNS6_9null_typeES8_S8_S8_S8_S8_S8_S8_EEEEZNS1_11reduce_implILb1ES3_NS6_12zip_iteratorINS7_INS6_11hip_rocprim26transform_input_iterator_tIbPhNS6_6detail10functional5actorINSH_9compositeIJNSH_27transparent_binary_operatorINS6_8equal_toIvEEEENSI_INSH_8argumentILj0EEEEENSH_5valueIhEEEEEEEEENSD_19counting_iterator_tIlEES8_S8_S8_S8_S8_S8_S8_S8_EEEEPS9_S9_NSD_9__find_if7functorIS9_EEEE10hipError_tPvRmT1_T2_T3_mT4_P12ihipStream_tbEUlT_E1_NS1_11comp_targetILNS1_3genE0ELNS1_11target_archE4294967295ELNS1_3gpuE0ELNS1_3repE0EEENS1_30default_config_static_selectorELNS0_4arch9wavefront6targetE1EEEvS17_: ; @_ZN7rocprim17ROCPRIM_400000_NS6detail17trampoline_kernelINS0_14default_configENS1_22reduce_config_selectorIN6thrust23THRUST_200600_302600_NS5tupleIblNS6_9null_typeES8_S8_S8_S8_S8_S8_S8_EEEEZNS1_11reduce_implILb1ES3_NS6_12zip_iteratorINS7_INS6_11hip_rocprim26transform_input_iterator_tIbPhNS6_6detail10functional5actorINSH_9compositeIJNSH_27transparent_binary_operatorINS6_8equal_toIvEEEENSI_INSH_8argumentILj0EEEEENSH_5valueIhEEEEEEEEENSD_19counting_iterator_tIlEES8_S8_S8_S8_S8_S8_S8_S8_EEEEPS9_S9_NSD_9__find_if7functorIS9_EEEE10hipError_tPvRmT1_T2_T3_mT4_P12ihipStream_tbEUlT_E1_NS1_11comp_targetILNS1_3genE0ELNS1_11target_archE4294967295ELNS1_3gpuE0ELNS1_3repE0EEENS1_30default_config_static_selectorELNS0_4arch9wavefront6targetE1EEEvS17_
; %bb.0:
	.section	.rodata,"a",@progbits
	.p2align	6, 0x0
	.amdhsa_kernel _ZN7rocprim17ROCPRIM_400000_NS6detail17trampoline_kernelINS0_14default_configENS1_22reduce_config_selectorIN6thrust23THRUST_200600_302600_NS5tupleIblNS6_9null_typeES8_S8_S8_S8_S8_S8_S8_EEEEZNS1_11reduce_implILb1ES3_NS6_12zip_iteratorINS7_INS6_11hip_rocprim26transform_input_iterator_tIbPhNS6_6detail10functional5actorINSH_9compositeIJNSH_27transparent_binary_operatorINS6_8equal_toIvEEEENSI_INSH_8argumentILj0EEEEENSH_5valueIhEEEEEEEEENSD_19counting_iterator_tIlEES8_S8_S8_S8_S8_S8_S8_S8_EEEEPS9_S9_NSD_9__find_if7functorIS9_EEEE10hipError_tPvRmT1_T2_T3_mT4_P12ihipStream_tbEUlT_E1_NS1_11comp_targetILNS1_3genE0ELNS1_11target_archE4294967295ELNS1_3gpuE0ELNS1_3repE0EEENS1_30default_config_static_selectorELNS0_4arch9wavefront6targetE1EEEvS17_
		.amdhsa_group_segment_fixed_size 0
		.amdhsa_private_segment_fixed_size 0
		.amdhsa_kernarg_size 72
		.amdhsa_user_sgpr_count 6
		.amdhsa_user_sgpr_private_segment_buffer 1
		.amdhsa_user_sgpr_dispatch_ptr 0
		.amdhsa_user_sgpr_queue_ptr 0
		.amdhsa_user_sgpr_kernarg_segment_ptr 1
		.amdhsa_user_sgpr_dispatch_id 0
		.amdhsa_user_sgpr_flat_scratch_init 0
		.amdhsa_user_sgpr_kernarg_preload_length 0
		.amdhsa_user_sgpr_kernarg_preload_offset 0
		.amdhsa_user_sgpr_private_segment_size 0
		.amdhsa_uses_dynamic_stack 0
		.amdhsa_system_sgpr_private_segment_wavefront_offset 0
		.amdhsa_system_sgpr_workgroup_id_x 1
		.amdhsa_system_sgpr_workgroup_id_y 0
		.amdhsa_system_sgpr_workgroup_id_z 0
		.amdhsa_system_sgpr_workgroup_info 0
		.amdhsa_system_vgpr_workitem_id 0
		.amdhsa_next_free_vgpr 1
		.amdhsa_next_free_sgpr 0
		.amdhsa_accum_offset 4
		.amdhsa_reserve_vcc 0
		.amdhsa_reserve_flat_scratch 0
		.amdhsa_float_round_mode_32 0
		.amdhsa_float_round_mode_16_64 0
		.amdhsa_float_denorm_mode_32 3
		.amdhsa_float_denorm_mode_16_64 3
		.amdhsa_dx10_clamp 1
		.amdhsa_ieee_mode 1
		.amdhsa_fp16_overflow 0
		.amdhsa_tg_split 0
		.amdhsa_exception_fp_ieee_invalid_op 0
		.amdhsa_exception_fp_denorm_src 0
		.amdhsa_exception_fp_ieee_div_zero 0
		.amdhsa_exception_fp_ieee_overflow 0
		.amdhsa_exception_fp_ieee_underflow 0
		.amdhsa_exception_fp_ieee_inexact 0
		.amdhsa_exception_int_div_zero 0
	.end_amdhsa_kernel
	.section	.text._ZN7rocprim17ROCPRIM_400000_NS6detail17trampoline_kernelINS0_14default_configENS1_22reduce_config_selectorIN6thrust23THRUST_200600_302600_NS5tupleIblNS6_9null_typeES8_S8_S8_S8_S8_S8_S8_EEEEZNS1_11reduce_implILb1ES3_NS6_12zip_iteratorINS7_INS6_11hip_rocprim26transform_input_iterator_tIbPhNS6_6detail10functional5actorINSH_9compositeIJNSH_27transparent_binary_operatorINS6_8equal_toIvEEEENSI_INSH_8argumentILj0EEEEENSH_5valueIhEEEEEEEEENSD_19counting_iterator_tIlEES8_S8_S8_S8_S8_S8_S8_S8_EEEEPS9_S9_NSD_9__find_if7functorIS9_EEEE10hipError_tPvRmT1_T2_T3_mT4_P12ihipStream_tbEUlT_E1_NS1_11comp_targetILNS1_3genE0ELNS1_11target_archE4294967295ELNS1_3gpuE0ELNS1_3repE0EEENS1_30default_config_static_selectorELNS0_4arch9wavefront6targetE1EEEvS17_,"axG",@progbits,_ZN7rocprim17ROCPRIM_400000_NS6detail17trampoline_kernelINS0_14default_configENS1_22reduce_config_selectorIN6thrust23THRUST_200600_302600_NS5tupleIblNS6_9null_typeES8_S8_S8_S8_S8_S8_S8_EEEEZNS1_11reduce_implILb1ES3_NS6_12zip_iteratorINS7_INS6_11hip_rocprim26transform_input_iterator_tIbPhNS6_6detail10functional5actorINSH_9compositeIJNSH_27transparent_binary_operatorINS6_8equal_toIvEEEENSI_INSH_8argumentILj0EEEEENSH_5valueIhEEEEEEEEENSD_19counting_iterator_tIlEES8_S8_S8_S8_S8_S8_S8_S8_EEEEPS9_S9_NSD_9__find_if7functorIS9_EEEE10hipError_tPvRmT1_T2_T3_mT4_P12ihipStream_tbEUlT_E1_NS1_11comp_targetILNS1_3genE0ELNS1_11target_archE4294967295ELNS1_3gpuE0ELNS1_3repE0EEENS1_30default_config_static_selectorELNS0_4arch9wavefront6targetE1EEEvS17_,comdat
.Lfunc_end451:
	.size	_ZN7rocprim17ROCPRIM_400000_NS6detail17trampoline_kernelINS0_14default_configENS1_22reduce_config_selectorIN6thrust23THRUST_200600_302600_NS5tupleIblNS6_9null_typeES8_S8_S8_S8_S8_S8_S8_EEEEZNS1_11reduce_implILb1ES3_NS6_12zip_iteratorINS7_INS6_11hip_rocprim26transform_input_iterator_tIbPhNS6_6detail10functional5actorINSH_9compositeIJNSH_27transparent_binary_operatorINS6_8equal_toIvEEEENSI_INSH_8argumentILj0EEEEENSH_5valueIhEEEEEEEEENSD_19counting_iterator_tIlEES8_S8_S8_S8_S8_S8_S8_S8_EEEEPS9_S9_NSD_9__find_if7functorIS9_EEEE10hipError_tPvRmT1_T2_T3_mT4_P12ihipStream_tbEUlT_E1_NS1_11comp_targetILNS1_3genE0ELNS1_11target_archE4294967295ELNS1_3gpuE0ELNS1_3repE0EEENS1_30default_config_static_selectorELNS0_4arch9wavefront6targetE1EEEvS17_, .Lfunc_end451-_ZN7rocprim17ROCPRIM_400000_NS6detail17trampoline_kernelINS0_14default_configENS1_22reduce_config_selectorIN6thrust23THRUST_200600_302600_NS5tupleIblNS6_9null_typeES8_S8_S8_S8_S8_S8_S8_EEEEZNS1_11reduce_implILb1ES3_NS6_12zip_iteratorINS7_INS6_11hip_rocprim26transform_input_iterator_tIbPhNS6_6detail10functional5actorINSH_9compositeIJNSH_27transparent_binary_operatorINS6_8equal_toIvEEEENSI_INSH_8argumentILj0EEEEENSH_5valueIhEEEEEEEEENSD_19counting_iterator_tIlEES8_S8_S8_S8_S8_S8_S8_S8_EEEEPS9_S9_NSD_9__find_if7functorIS9_EEEE10hipError_tPvRmT1_T2_T3_mT4_P12ihipStream_tbEUlT_E1_NS1_11comp_targetILNS1_3genE0ELNS1_11target_archE4294967295ELNS1_3gpuE0ELNS1_3repE0EEENS1_30default_config_static_selectorELNS0_4arch9wavefront6targetE1EEEvS17_
                                        ; -- End function
	.section	.AMDGPU.csdata,"",@progbits
; Kernel info:
; codeLenInByte = 0
; NumSgprs: 4
; NumVgprs: 0
; NumAgprs: 0
; TotalNumVgprs: 0
; ScratchSize: 0
; MemoryBound: 0
; FloatMode: 240
; IeeeMode: 1
; LDSByteSize: 0 bytes/workgroup (compile time only)
; SGPRBlocks: 0
; VGPRBlocks: 0
; NumSGPRsForWavesPerEU: 4
; NumVGPRsForWavesPerEU: 1
; AccumOffset: 4
; Occupancy: 8
; WaveLimiterHint : 0
; COMPUTE_PGM_RSRC2:SCRATCH_EN: 0
; COMPUTE_PGM_RSRC2:USER_SGPR: 6
; COMPUTE_PGM_RSRC2:TRAP_HANDLER: 0
; COMPUTE_PGM_RSRC2:TGID_X_EN: 1
; COMPUTE_PGM_RSRC2:TGID_Y_EN: 0
; COMPUTE_PGM_RSRC2:TGID_Z_EN: 0
; COMPUTE_PGM_RSRC2:TIDIG_COMP_CNT: 0
; COMPUTE_PGM_RSRC3_GFX90A:ACCUM_OFFSET: 0
; COMPUTE_PGM_RSRC3_GFX90A:TG_SPLIT: 0
	.section	.text._ZN7rocprim17ROCPRIM_400000_NS6detail17trampoline_kernelINS0_14default_configENS1_22reduce_config_selectorIN6thrust23THRUST_200600_302600_NS5tupleIblNS6_9null_typeES8_S8_S8_S8_S8_S8_S8_EEEEZNS1_11reduce_implILb1ES3_NS6_12zip_iteratorINS7_INS6_11hip_rocprim26transform_input_iterator_tIbPhNS6_6detail10functional5actorINSH_9compositeIJNSH_27transparent_binary_operatorINS6_8equal_toIvEEEENSI_INSH_8argumentILj0EEEEENSH_5valueIhEEEEEEEEENSD_19counting_iterator_tIlEES8_S8_S8_S8_S8_S8_S8_S8_EEEEPS9_S9_NSD_9__find_if7functorIS9_EEEE10hipError_tPvRmT1_T2_T3_mT4_P12ihipStream_tbEUlT_E1_NS1_11comp_targetILNS1_3genE5ELNS1_11target_archE942ELNS1_3gpuE9ELNS1_3repE0EEENS1_30default_config_static_selectorELNS0_4arch9wavefront6targetE1EEEvS17_,"axG",@progbits,_ZN7rocprim17ROCPRIM_400000_NS6detail17trampoline_kernelINS0_14default_configENS1_22reduce_config_selectorIN6thrust23THRUST_200600_302600_NS5tupleIblNS6_9null_typeES8_S8_S8_S8_S8_S8_S8_EEEEZNS1_11reduce_implILb1ES3_NS6_12zip_iteratorINS7_INS6_11hip_rocprim26transform_input_iterator_tIbPhNS6_6detail10functional5actorINSH_9compositeIJNSH_27transparent_binary_operatorINS6_8equal_toIvEEEENSI_INSH_8argumentILj0EEEEENSH_5valueIhEEEEEEEEENSD_19counting_iterator_tIlEES8_S8_S8_S8_S8_S8_S8_S8_EEEEPS9_S9_NSD_9__find_if7functorIS9_EEEE10hipError_tPvRmT1_T2_T3_mT4_P12ihipStream_tbEUlT_E1_NS1_11comp_targetILNS1_3genE5ELNS1_11target_archE942ELNS1_3gpuE9ELNS1_3repE0EEENS1_30default_config_static_selectorELNS0_4arch9wavefront6targetE1EEEvS17_,comdat
	.protected	_ZN7rocprim17ROCPRIM_400000_NS6detail17trampoline_kernelINS0_14default_configENS1_22reduce_config_selectorIN6thrust23THRUST_200600_302600_NS5tupleIblNS6_9null_typeES8_S8_S8_S8_S8_S8_S8_EEEEZNS1_11reduce_implILb1ES3_NS6_12zip_iteratorINS7_INS6_11hip_rocprim26transform_input_iterator_tIbPhNS6_6detail10functional5actorINSH_9compositeIJNSH_27transparent_binary_operatorINS6_8equal_toIvEEEENSI_INSH_8argumentILj0EEEEENSH_5valueIhEEEEEEEEENSD_19counting_iterator_tIlEES8_S8_S8_S8_S8_S8_S8_S8_EEEEPS9_S9_NSD_9__find_if7functorIS9_EEEE10hipError_tPvRmT1_T2_T3_mT4_P12ihipStream_tbEUlT_E1_NS1_11comp_targetILNS1_3genE5ELNS1_11target_archE942ELNS1_3gpuE9ELNS1_3repE0EEENS1_30default_config_static_selectorELNS0_4arch9wavefront6targetE1EEEvS17_ ; -- Begin function _ZN7rocprim17ROCPRIM_400000_NS6detail17trampoline_kernelINS0_14default_configENS1_22reduce_config_selectorIN6thrust23THRUST_200600_302600_NS5tupleIblNS6_9null_typeES8_S8_S8_S8_S8_S8_S8_EEEEZNS1_11reduce_implILb1ES3_NS6_12zip_iteratorINS7_INS6_11hip_rocprim26transform_input_iterator_tIbPhNS6_6detail10functional5actorINSH_9compositeIJNSH_27transparent_binary_operatorINS6_8equal_toIvEEEENSI_INSH_8argumentILj0EEEEENSH_5valueIhEEEEEEEEENSD_19counting_iterator_tIlEES8_S8_S8_S8_S8_S8_S8_S8_EEEEPS9_S9_NSD_9__find_if7functorIS9_EEEE10hipError_tPvRmT1_T2_T3_mT4_P12ihipStream_tbEUlT_E1_NS1_11comp_targetILNS1_3genE5ELNS1_11target_archE942ELNS1_3gpuE9ELNS1_3repE0EEENS1_30default_config_static_selectorELNS0_4arch9wavefront6targetE1EEEvS17_
	.globl	_ZN7rocprim17ROCPRIM_400000_NS6detail17trampoline_kernelINS0_14default_configENS1_22reduce_config_selectorIN6thrust23THRUST_200600_302600_NS5tupleIblNS6_9null_typeES8_S8_S8_S8_S8_S8_S8_EEEEZNS1_11reduce_implILb1ES3_NS6_12zip_iteratorINS7_INS6_11hip_rocprim26transform_input_iterator_tIbPhNS6_6detail10functional5actorINSH_9compositeIJNSH_27transparent_binary_operatorINS6_8equal_toIvEEEENSI_INSH_8argumentILj0EEEEENSH_5valueIhEEEEEEEEENSD_19counting_iterator_tIlEES8_S8_S8_S8_S8_S8_S8_S8_EEEEPS9_S9_NSD_9__find_if7functorIS9_EEEE10hipError_tPvRmT1_T2_T3_mT4_P12ihipStream_tbEUlT_E1_NS1_11comp_targetILNS1_3genE5ELNS1_11target_archE942ELNS1_3gpuE9ELNS1_3repE0EEENS1_30default_config_static_selectorELNS0_4arch9wavefront6targetE1EEEvS17_
	.p2align	8
	.type	_ZN7rocprim17ROCPRIM_400000_NS6detail17trampoline_kernelINS0_14default_configENS1_22reduce_config_selectorIN6thrust23THRUST_200600_302600_NS5tupleIblNS6_9null_typeES8_S8_S8_S8_S8_S8_S8_EEEEZNS1_11reduce_implILb1ES3_NS6_12zip_iteratorINS7_INS6_11hip_rocprim26transform_input_iterator_tIbPhNS6_6detail10functional5actorINSH_9compositeIJNSH_27transparent_binary_operatorINS6_8equal_toIvEEEENSI_INSH_8argumentILj0EEEEENSH_5valueIhEEEEEEEEENSD_19counting_iterator_tIlEES8_S8_S8_S8_S8_S8_S8_S8_EEEEPS9_S9_NSD_9__find_if7functorIS9_EEEE10hipError_tPvRmT1_T2_T3_mT4_P12ihipStream_tbEUlT_E1_NS1_11comp_targetILNS1_3genE5ELNS1_11target_archE942ELNS1_3gpuE9ELNS1_3repE0EEENS1_30default_config_static_selectorELNS0_4arch9wavefront6targetE1EEEvS17_,@function
_ZN7rocprim17ROCPRIM_400000_NS6detail17trampoline_kernelINS0_14default_configENS1_22reduce_config_selectorIN6thrust23THRUST_200600_302600_NS5tupleIblNS6_9null_typeES8_S8_S8_S8_S8_S8_S8_EEEEZNS1_11reduce_implILb1ES3_NS6_12zip_iteratorINS7_INS6_11hip_rocprim26transform_input_iterator_tIbPhNS6_6detail10functional5actorINSH_9compositeIJNSH_27transparent_binary_operatorINS6_8equal_toIvEEEENSI_INSH_8argumentILj0EEEEENSH_5valueIhEEEEEEEEENSD_19counting_iterator_tIlEES8_S8_S8_S8_S8_S8_S8_S8_EEEEPS9_S9_NSD_9__find_if7functorIS9_EEEE10hipError_tPvRmT1_T2_T3_mT4_P12ihipStream_tbEUlT_E1_NS1_11comp_targetILNS1_3genE5ELNS1_11target_archE942ELNS1_3gpuE9ELNS1_3repE0EEENS1_30default_config_static_selectorELNS0_4arch9wavefront6targetE1EEEvS17_: ; @_ZN7rocprim17ROCPRIM_400000_NS6detail17trampoline_kernelINS0_14default_configENS1_22reduce_config_selectorIN6thrust23THRUST_200600_302600_NS5tupleIblNS6_9null_typeES8_S8_S8_S8_S8_S8_S8_EEEEZNS1_11reduce_implILb1ES3_NS6_12zip_iteratorINS7_INS6_11hip_rocprim26transform_input_iterator_tIbPhNS6_6detail10functional5actorINSH_9compositeIJNSH_27transparent_binary_operatorINS6_8equal_toIvEEEENSI_INSH_8argumentILj0EEEEENSH_5valueIhEEEEEEEEENSD_19counting_iterator_tIlEES8_S8_S8_S8_S8_S8_S8_S8_EEEEPS9_S9_NSD_9__find_if7functorIS9_EEEE10hipError_tPvRmT1_T2_T3_mT4_P12ihipStream_tbEUlT_E1_NS1_11comp_targetILNS1_3genE5ELNS1_11target_archE942ELNS1_3gpuE9ELNS1_3repE0EEENS1_30default_config_static_selectorELNS0_4arch9wavefront6targetE1EEEvS17_
; %bb.0:
	.section	.rodata,"a",@progbits
	.p2align	6, 0x0
	.amdhsa_kernel _ZN7rocprim17ROCPRIM_400000_NS6detail17trampoline_kernelINS0_14default_configENS1_22reduce_config_selectorIN6thrust23THRUST_200600_302600_NS5tupleIblNS6_9null_typeES8_S8_S8_S8_S8_S8_S8_EEEEZNS1_11reduce_implILb1ES3_NS6_12zip_iteratorINS7_INS6_11hip_rocprim26transform_input_iterator_tIbPhNS6_6detail10functional5actorINSH_9compositeIJNSH_27transparent_binary_operatorINS6_8equal_toIvEEEENSI_INSH_8argumentILj0EEEEENSH_5valueIhEEEEEEEEENSD_19counting_iterator_tIlEES8_S8_S8_S8_S8_S8_S8_S8_EEEEPS9_S9_NSD_9__find_if7functorIS9_EEEE10hipError_tPvRmT1_T2_T3_mT4_P12ihipStream_tbEUlT_E1_NS1_11comp_targetILNS1_3genE5ELNS1_11target_archE942ELNS1_3gpuE9ELNS1_3repE0EEENS1_30default_config_static_selectorELNS0_4arch9wavefront6targetE1EEEvS17_
		.amdhsa_group_segment_fixed_size 0
		.amdhsa_private_segment_fixed_size 0
		.amdhsa_kernarg_size 72
		.amdhsa_user_sgpr_count 6
		.amdhsa_user_sgpr_private_segment_buffer 1
		.amdhsa_user_sgpr_dispatch_ptr 0
		.amdhsa_user_sgpr_queue_ptr 0
		.amdhsa_user_sgpr_kernarg_segment_ptr 1
		.amdhsa_user_sgpr_dispatch_id 0
		.amdhsa_user_sgpr_flat_scratch_init 0
		.amdhsa_user_sgpr_kernarg_preload_length 0
		.amdhsa_user_sgpr_kernarg_preload_offset 0
		.amdhsa_user_sgpr_private_segment_size 0
		.amdhsa_uses_dynamic_stack 0
		.amdhsa_system_sgpr_private_segment_wavefront_offset 0
		.amdhsa_system_sgpr_workgroup_id_x 1
		.amdhsa_system_sgpr_workgroup_id_y 0
		.amdhsa_system_sgpr_workgroup_id_z 0
		.amdhsa_system_sgpr_workgroup_info 0
		.amdhsa_system_vgpr_workitem_id 0
		.amdhsa_next_free_vgpr 1
		.amdhsa_next_free_sgpr 0
		.amdhsa_accum_offset 4
		.amdhsa_reserve_vcc 0
		.amdhsa_reserve_flat_scratch 0
		.amdhsa_float_round_mode_32 0
		.amdhsa_float_round_mode_16_64 0
		.amdhsa_float_denorm_mode_32 3
		.amdhsa_float_denorm_mode_16_64 3
		.amdhsa_dx10_clamp 1
		.amdhsa_ieee_mode 1
		.amdhsa_fp16_overflow 0
		.amdhsa_tg_split 0
		.amdhsa_exception_fp_ieee_invalid_op 0
		.amdhsa_exception_fp_denorm_src 0
		.amdhsa_exception_fp_ieee_div_zero 0
		.amdhsa_exception_fp_ieee_overflow 0
		.amdhsa_exception_fp_ieee_underflow 0
		.amdhsa_exception_fp_ieee_inexact 0
		.amdhsa_exception_int_div_zero 0
	.end_amdhsa_kernel
	.section	.text._ZN7rocprim17ROCPRIM_400000_NS6detail17trampoline_kernelINS0_14default_configENS1_22reduce_config_selectorIN6thrust23THRUST_200600_302600_NS5tupleIblNS6_9null_typeES8_S8_S8_S8_S8_S8_S8_EEEEZNS1_11reduce_implILb1ES3_NS6_12zip_iteratorINS7_INS6_11hip_rocprim26transform_input_iterator_tIbPhNS6_6detail10functional5actorINSH_9compositeIJNSH_27transparent_binary_operatorINS6_8equal_toIvEEEENSI_INSH_8argumentILj0EEEEENSH_5valueIhEEEEEEEEENSD_19counting_iterator_tIlEES8_S8_S8_S8_S8_S8_S8_S8_EEEEPS9_S9_NSD_9__find_if7functorIS9_EEEE10hipError_tPvRmT1_T2_T3_mT4_P12ihipStream_tbEUlT_E1_NS1_11comp_targetILNS1_3genE5ELNS1_11target_archE942ELNS1_3gpuE9ELNS1_3repE0EEENS1_30default_config_static_selectorELNS0_4arch9wavefront6targetE1EEEvS17_,"axG",@progbits,_ZN7rocprim17ROCPRIM_400000_NS6detail17trampoline_kernelINS0_14default_configENS1_22reduce_config_selectorIN6thrust23THRUST_200600_302600_NS5tupleIblNS6_9null_typeES8_S8_S8_S8_S8_S8_S8_EEEEZNS1_11reduce_implILb1ES3_NS6_12zip_iteratorINS7_INS6_11hip_rocprim26transform_input_iterator_tIbPhNS6_6detail10functional5actorINSH_9compositeIJNSH_27transparent_binary_operatorINS6_8equal_toIvEEEENSI_INSH_8argumentILj0EEEEENSH_5valueIhEEEEEEEEENSD_19counting_iterator_tIlEES8_S8_S8_S8_S8_S8_S8_S8_EEEEPS9_S9_NSD_9__find_if7functorIS9_EEEE10hipError_tPvRmT1_T2_T3_mT4_P12ihipStream_tbEUlT_E1_NS1_11comp_targetILNS1_3genE5ELNS1_11target_archE942ELNS1_3gpuE9ELNS1_3repE0EEENS1_30default_config_static_selectorELNS0_4arch9wavefront6targetE1EEEvS17_,comdat
.Lfunc_end452:
	.size	_ZN7rocprim17ROCPRIM_400000_NS6detail17trampoline_kernelINS0_14default_configENS1_22reduce_config_selectorIN6thrust23THRUST_200600_302600_NS5tupleIblNS6_9null_typeES8_S8_S8_S8_S8_S8_S8_EEEEZNS1_11reduce_implILb1ES3_NS6_12zip_iteratorINS7_INS6_11hip_rocprim26transform_input_iterator_tIbPhNS6_6detail10functional5actorINSH_9compositeIJNSH_27transparent_binary_operatorINS6_8equal_toIvEEEENSI_INSH_8argumentILj0EEEEENSH_5valueIhEEEEEEEEENSD_19counting_iterator_tIlEES8_S8_S8_S8_S8_S8_S8_S8_EEEEPS9_S9_NSD_9__find_if7functorIS9_EEEE10hipError_tPvRmT1_T2_T3_mT4_P12ihipStream_tbEUlT_E1_NS1_11comp_targetILNS1_3genE5ELNS1_11target_archE942ELNS1_3gpuE9ELNS1_3repE0EEENS1_30default_config_static_selectorELNS0_4arch9wavefront6targetE1EEEvS17_, .Lfunc_end452-_ZN7rocprim17ROCPRIM_400000_NS6detail17trampoline_kernelINS0_14default_configENS1_22reduce_config_selectorIN6thrust23THRUST_200600_302600_NS5tupleIblNS6_9null_typeES8_S8_S8_S8_S8_S8_S8_EEEEZNS1_11reduce_implILb1ES3_NS6_12zip_iteratorINS7_INS6_11hip_rocprim26transform_input_iterator_tIbPhNS6_6detail10functional5actorINSH_9compositeIJNSH_27transparent_binary_operatorINS6_8equal_toIvEEEENSI_INSH_8argumentILj0EEEEENSH_5valueIhEEEEEEEEENSD_19counting_iterator_tIlEES8_S8_S8_S8_S8_S8_S8_S8_EEEEPS9_S9_NSD_9__find_if7functorIS9_EEEE10hipError_tPvRmT1_T2_T3_mT4_P12ihipStream_tbEUlT_E1_NS1_11comp_targetILNS1_3genE5ELNS1_11target_archE942ELNS1_3gpuE9ELNS1_3repE0EEENS1_30default_config_static_selectorELNS0_4arch9wavefront6targetE1EEEvS17_
                                        ; -- End function
	.section	.AMDGPU.csdata,"",@progbits
; Kernel info:
; codeLenInByte = 0
; NumSgprs: 4
; NumVgprs: 0
; NumAgprs: 0
; TotalNumVgprs: 0
; ScratchSize: 0
; MemoryBound: 0
; FloatMode: 240
; IeeeMode: 1
; LDSByteSize: 0 bytes/workgroup (compile time only)
; SGPRBlocks: 0
; VGPRBlocks: 0
; NumSGPRsForWavesPerEU: 4
; NumVGPRsForWavesPerEU: 1
; AccumOffset: 4
; Occupancy: 8
; WaveLimiterHint : 0
; COMPUTE_PGM_RSRC2:SCRATCH_EN: 0
; COMPUTE_PGM_RSRC2:USER_SGPR: 6
; COMPUTE_PGM_RSRC2:TRAP_HANDLER: 0
; COMPUTE_PGM_RSRC2:TGID_X_EN: 1
; COMPUTE_PGM_RSRC2:TGID_Y_EN: 0
; COMPUTE_PGM_RSRC2:TGID_Z_EN: 0
; COMPUTE_PGM_RSRC2:TIDIG_COMP_CNT: 0
; COMPUTE_PGM_RSRC3_GFX90A:ACCUM_OFFSET: 0
; COMPUTE_PGM_RSRC3_GFX90A:TG_SPLIT: 0
	.section	.text._ZN7rocprim17ROCPRIM_400000_NS6detail17trampoline_kernelINS0_14default_configENS1_22reduce_config_selectorIN6thrust23THRUST_200600_302600_NS5tupleIblNS6_9null_typeES8_S8_S8_S8_S8_S8_S8_EEEEZNS1_11reduce_implILb1ES3_NS6_12zip_iteratorINS7_INS6_11hip_rocprim26transform_input_iterator_tIbPhNS6_6detail10functional5actorINSH_9compositeIJNSH_27transparent_binary_operatorINS6_8equal_toIvEEEENSI_INSH_8argumentILj0EEEEENSH_5valueIhEEEEEEEEENSD_19counting_iterator_tIlEES8_S8_S8_S8_S8_S8_S8_S8_EEEEPS9_S9_NSD_9__find_if7functorIS9_EEEE10hipError_tPvRmT1_T2_T3_mT4_P12ihipStream_tbEUlT_E1_NS1_11comp_targetILNS1_3genE4ELNS1_11target_archE910ELNS1_3gpuE8ELNS1_3repE0EEENS1_30default_config_static_selectorELNS0_4arch9wavefront6targetE1EEEvS17_,"axG",@progbits,_ZN7rocprim17ROCPRIM_400000_NS6detail17trampoline_kernelINS0_14default_configENS1_22reduce_config_selectorIN6thrust23THRUST_200600_302600_NS5tupleIblNS6_9null_typeES8_S8_S8_S8_S8_S8_S8_EEEEZNS1_11reduce_implILb1ES3_NS6_12zip_iteratorINS7_INS6_11hip_rocprim26transform_input_iterator_tIbPhNS6_6detail10functional5actorINSH_9compositeIJNSH_27transparent_binary_operatorINS6_8equal_toIvEEEENSI_INSH_8argumentILj0EEEEENSH_5valueIhEEEEEEEEENSD_19counting_iterator_tIlEES8_S8_S8_S8_S8_S8_S8_S8_EEEEPS9_S9_NSD_9__find_if7functorIS9_EEEE10hipError_tPvRmT1_T2_T3_mT4_P12ihipStream_tbEUlT_E1_NS1_11comp_targetILNS1_3genE4ELNS1_11target_archE910ELNS1_3gpuE8ELNS1_3repE0EEENS1_30default_config_static_selectorELNS0_4arch9wavefront6targetE1EEEvS17_,comdat
	.protected	_ZN7rocprim17ROCPRIM_400000_NS6detail17trampoline_kernelINS0_14default_configENS1_22reduce_config_selectorIN6thrust23THRUST_200600_302600_NS5tupleIblNS6_9null_typeES8_S8_S8_S8_S8_S8_S8_EEEEZNS1_11reduce_implILb1ES3_NS6_12zip_iteratorINS7_INS6_11hip_rocprim26transform_input_iterator_tIbPhNS6_6detail10functional5actorINSH_9compositeIJNSH_27transparent_binary_operatorINS6_8equal_toIvEEEENSI_INSH_8argumentILj0EEEEENSH_5valueIhEEEEEEEEENSD_19counting_iterator_tIlEES8_S8_S8_S8_S8_S8_S8_S8_EEEEPS9_S9_NSD_9__find_if7functorIS9_EEEE10hipError_tPvRmT1_T2_T3_mT4_P12ihipStream_tbEUlT_E1_NS1_11comp_targetILNS1_3genE4ELNS1_11target_archE910ELNS1_3gpuE8ELNS1_3repE0EEENS1_30default_config_static_selectorELNS0_4arch9wavefront6targetE1EEEvS17_ ; -- Begin function _ZN7rocprim17ROCPRIM_400000_NS6detail17trampoline_kernelINS0_14default_configENS1_22reduce_config_selectorIN6thrust23THRUST_200600_302600_NS5tupleIblNS6_9null_typeES8_S8_S8_S8_S8_S8_S8_EEEEZNS1_11reduce_implILb1ES3_NS6_12zip_iteratorINS7_INS6_11hip_rocprim26transform_input_iterator_tIbPhNS6_6detail10functional5actorINSH_9compositeIJNSH_27transparent_binary_operatorINS6_8equal_toIvEEEENSI_INSH_8argumentILj0EEEEENSH_5valueIhEEEEEEEEENSD_19counting_iterator_tIlEES8_S8_S8_S8_S8_S8_S8_S8_EEEEPS9_S9_NSD_9__find_if7functorIS9_EEEE10hipError_tPvRmT1_T2_T3_mT4_P12ihipStream_tbEUlT_E1_NS1_11comp_targetILNS1_3genE4ELNS1_11target_archE910ELNS1_3gpuE8ELNS1_3repE0EEENS1_30default_config_static_selectorELNS0_4arch9wavefront6targetE1EEEvS17_
	.globl	_ZN7rocprim17ROCPRIM_400000_NS6detail17trampoline_kernelINS0_14default_configENS1_22reduce_config_selectorIN6thrust23THRUST_200600_302600_NS5tupleIblNS6_9null_typeES8_S8_S8_S8_S8_S8_S8_EEEEZNS1_11reduce_implILb1ES3_NS6_12zip_iteratorINS7_INS6_11hip_rocprim26transform_input_iterator_tIbPhNS6_6detail10functional5actorINSH_9compositeIJNSH_27transparent_binary_operatorINS6_8equal_toIvEEEENSI_INSH_8argumentILj0EEEEENSH_5valueIhEEEEEEEEENSD_19counting_iterator_tIlEES8_S8_S8_S8_S8_S8_S8_S8_EEEEPS9_S9_NSD_9__find_if7functorIS9_EEEE10hipError_tPvRmT1_T2_T3_mT4_P12ihipStream_tbEUlT_E1_NS1_11comp_targetILNS1_3genE4ELNS1_11target_archE910ELNS1_3gpuE8ELNS1_3repE0EEENS1_30default_config_static_selectorELNS0_4arch9wavefront6targetE1EEEvS17_
	.p2align	8
	.type	_ZN7rocprim17ROCPRIM_400000_NS6detail17trampoline_kernelINS0_14default_configENS1_22reduce_config_selectorIN6thrust23THRUST_200600_302600_NS5tupleIblNS6_9null_typeES8_S8_S8_S8_S8_S8_S8_EEEEZNS1_11reduce_implILb1ES3_NS6_12zip_iteratorINS7_INS6_11hip_rocprim26transform_input_iterator_tIbPhNS6_6detail10functional5actorINSH_9compositeIJNSH_27transparent_binary_operatorINS6_8equal_toIvEEEENSI_INSH_8argumentILj0EEEEENSH_5valueIhEEEEEEEEENSD_19counting_iterator_tIlEES8_S8_S8_S8_S8_S8_S8_S8_EEEEPS9_S9_NSD_9__find_if7functorIS9_EEEE10hipError_tPvRmT1_T2_T3_mT4_P12ihipStream_tbEUlT_E1_NS1_11comp_targetILNS1_3genE4ELNS1_11target_archE910ELNS1_3gpuE8ELNS1_3repE0EEENS1_30default_config_static_selectorELNS0_4arch9wavefront6targetE1EEEvS17_,@function
_ZN7rocprim17ROCPRIM_400000_NS6detail17trampoline_kernelINS0_14default_configENS1_22reduce_config_selectorIN6thrust23THRUST_200600_302600_NS5tupleIblNS6_9null_typeES8_S8_S8_S8_S8_S8_S8_EEEEZNS1_11reduce_implILb1ES3_NS6_12zip_iteratorINS7_INS6_11hip_rocprim26transform_input_iterator_tIbPhNS6_6detail10functional5actorINSH_9compositeIJNSH_27transparent_binary_operatorINS6_8equal_toIvEEEENSI_INSH_8argumentILj0EEEEENSH_5valueIhEEEEEEEEENSD_19counting_iterator_tIlEES8_S8_S8_S8_S8_S8_S8_S8_EEEEPS9_S9_NSD_9__find_if7functorIS9_EEEE10hipError_tPvRmT1_T2_T3_mT4_P12ihipStream_tbEUlT_E1_NS1_11comp_targetILNS1_3genE4ELNS1_11target_archE910ELNS1_3gpuE8ELNS1_3repE0EEENS1_30default_config_static_selectorELNS0_4arch9wavefront6targetE1EEEvS17_: ; @_ZN7rocprim17ROCPRIM_400000_NS6detail17trampoline_kernelINS0_14default_configENS1_22reduce_config_selectorIN6thrust23THRUST_200600_302600_NS5tupleIblNS6_9null_typeES8_S8_S8_S8_S8_S8_S8_EEEEZNS1_11reduce_implILb1ES3_NS6_12zip_iteratorINS7_INS6_11hip_rocprim26transform_input_iterator_tIbPhNS6_6detail10functional5actorINSH_9compositeIJNSH_27transparent_binary_operatorINS6_8equal_toIvEEEENSI_INSH_8argumentILj0EEEEENSH_5valueIhEEEEEEEEENSD_19counting_iterator_tIlEES8_S8_S8_S8_S8_S8_S8_S8_EEEEPS9_S9_NSD_9__find_if7functorIS9_EEEE10hipError_tPvRmT1_T2_T3_mT4_P12ihipStream_tbEUlT_E1_NS1_11comp_targetILNS1_3genE4ELNS1_11target_archE910ELNS1_3gpuE8ELNS1_3repE0EEENS1_30default_config_static_selectorELNS0_4arch9wavefront6targetE1EEEvS17_
; %bb.0:
	s_load_dword s33, s[4:5], 0x4
	s_load_dwordx2 s[24:25], s[4:5], 0x8
	s_load_dword s0, s[4:5], 0x10
	s_load_dwordx4 s[20:23], s[4:5], 0x18
	s_load_dword s30, s[4:5], 0x30
	s_load_dwordx2 s[18:19], s[4:5], 0x38
	s_waitcnt lgkmcnt(0)
	s_lshr_b32 s31, s0, 16
	s_cmp_lt_i32 s33, 4
	s_cbranch_scc1 .LBB453_21
; %bb.1:
	s_cmp_gt_i32 s33, 7
	s_cbranch_scc0 .LBB453_22
; %bb.2:
	s_cmp_eq_u32 s33, 8
	s_mov_b64 s[26:27], 0
	s_cbranch_scc0 .LBB453_23
; %bb.3:
	s_lshl_b32 s8, s6, 11
	s_lshr_b64 s[0:1], s[22:23], 11
	s_add_u32 s16, s24, s8
	s_addc_u32 s17, s25, 0
	s_add_u32 s34, s20, s8
	s_mov_b32 s7, 0
	s_addc_u32 s35, s21, 0
	s_cmp_lg_u64 s[0:1], s[6:7]
	s_cbranch_scc0 .LBB453_44
; %bb.4:
	global_load_ubyte v1, v0, s[16:17] offset:512
	global_load_ubyte v2, v0, s[16:17] offset:1024
	;; [unrolled: 1-line block ×7, first 2 shown]
	global_load_ubyte v8, v0, s[16:17]
	v_mov_b32_e32 v9, s35
	v_add_co_u32_e32 v17, vcc, s34, v0
	v_addc_co_u32_e32 v9, vcc, 0, v9, vcc
	v_mov_b32_e32 v10, 0x200
	v_mov_b32_e32 v11, 0x100
	;; [unrolled: 1-line block ×7, first 2 shown]
	s_waitcnt vmcnt(7)
	v_cmp_eq_u16_sdwa s[10:11], v1, s31 src0_sel:BYTE_0 src1_sel:BYTE_0
	s_waitcnt vmcnt(6)
	v_cmp_eq_u16_sdwa s[12:13], v2, s31 src0_sel:BYTE_0 src1_sel:BYTE_0
	;; [unrolled: 2-line block ×4, first 2 shown]
	s_waitcnt vmcnt(3)
	v_cmp_eq_u16_sdwa vcc, v5, s31 src0_sel:DWORD src1_sel:BYTE_0
	v_cndmask_b32_e32 v1, v10, v11, vcc
	s_waitcnt vmcnt(2)
	v_cmp_eq_u16_sdwa s[0:1], v6, s31 src0_sel:DWORD src1_sel:BYTE_0
	s_waitcnt vmcnt(0)
	v_cmp_eq_u16_sdwa s[36:37], v8, s31 src0_sel:DWORD src1_sel:BYTE_0
	v_cndmask_b32_e64 v1, v1, 0, s[36:37]
	s_or_b64 s[36:37], s[36:37], vcc
	s_or_b64 vcc, s[36:37], s[10:11]
	v_cndmask_b32_e64 v2, v12, v13, s[0:1]
	s_or_b64 s[0:1], vcc, s[0:1]
	v_cmp_eq_u16_sdwa s[2:3], v7, s31 src0_sel:DWORD src1_sel:BYTE_0
	v_cndmask_b32_e32 v1, v2, v1, vcc
	s_or_b64 vcc, s[0:1], s[12:13]
	v_cndmask_b32_e64 v3, v14, v15, s[2:3]
	s_or_b64 s[0:1], vcc, s[2:3]
	v_cndmask_b32_e32 v1, v3, v1, vcc
	s_or_b64 vcc, s[0:1], s[14:15]
	v_cndmask_b32_e32 v1, v16, v1, vcc
	v_add_co_u32_e64 v2, s[0:1], v17, v1
	v_addc_co_u32_e64 v3, s[0:1], 0, v9, s[0:1]
	s_or_b64 s[0:1], vcc, s[28:29]
	v_cndmask_b32_e64 v1, 0, 1, s[0:1]
	v_mov_b32_dpp v4, v2 quad_perm:[1,0,3,2] row_mask:0xf bank_mask:0xf bound_ctrl:1
	v_mov_b32_dpp v5, v3 quad_perm:[1,0,3,2] row_mask:0xf bank_mask:0xf bound_ctrl:1
	;; [unrolled: 1-line block ×3, first 2 shown]
	v_and_b32_e32 v7, 1, v6
	v_cmp_eq_u32_e32 vcc, 1, v7
	s_and_saveexec_b64 s[2:3], vcc
; %bb.5:
	v_cmp_lt_i64_e32 vcc, v[2:3], v[4:5]
	v_cndmask_b32_e64 v6, v6, 1, s[0:1]
	s_and_b64 vcc, s[0:1], vcc
	v_cndmask_b32_e32 v2, v4, v2, vcc
	v_and_b32_e32 v4, 1, v6
	v_cndmask_b32_e32 v3, v5, v3, vcc
	v_cmp_eq_u32_e32 vcc, 1, v4
	s_andn2_b64 s[0:1], s[0:1], exec
	s_and_b64 s[10:11], vcc, exec
	v_and_b32_e32 v1, 0xff, v6
	s_or_b64 s[0:1], s[0:1], s[10:11]
; %bb.6:
	s_or_b64 exec, exec, s[2:3]
	v_mov_b32_dpp v6, v1 quad_perm:[2,3,0,1] row_mask:0xf bank_mask:0xf bound_ctrl:1
	v_and_b32_e32 v7, 1, v6
	v_mov_b32_dpp v4, v2 quad_perm:[2,3,0,1] row_mask:0xf bank_mask:0xf bound_ctrl:1
	v_mov_b32_dpp v5, v3 quad_perm:[2,3,0,1] row_mask:0xf bank_mask:0xf bound_ctrl:1
	v_cmp_eq_u32_e32 vcc, 1, v7
	s_and_saveexec_b64 s[2:3], vcc
; %bb.7:
	v_cmp_lt_i64_e32 vcc, v[2:3], v[4:5]
	v_cndmask_b32_e64 v6, v6, 1, s[0:1]
	s_and_b64 vcc, s[0:1], vcc
	v_cndmask_b32_e32 v2, v4, v2, vcc
	v_and_b32_e32 v4, 1, v6
	v_cndmask_b32_e32 v3, v5, v3, vcc
	v_cmp_eq_u32_e32 vcc, 1, v4
	s_andn2_b64 s[0:1], s[0:1], exec
	s_and_b64 s[10:11], vcc, exec
	v_and_b32_e32 v1, 0xff, v6
	s_or_b64 s[0:1], s[0:1], s[10:11]
; %bb.8:
	s_or_b64 exec, exec, s[2:3]
	v_mov_b32_dpp v6, v1 row_ror:4 row_mask:0xf bank_mask:0xf bound_ctrl:1
	v_and_b32_e32 v7, 1, v6
	v_mov_b32_dpp v4, v2 row_ror:4 row_mask:0xf bank_mask:0xf bound_ctrl:1
	v_mov_b32_dpp v5, v3 row_ror:4 row_mask:0xf bank_mask:0xf bound_ctrl:1
	v_cmp_eq_u32_e32 vcc, 1, v7
	s_and_saveexec_b64 s[2:3], vcc
; %bb.9:
	v_cmp_lt_i64_e32 vcc, v[2:3], v[4:5]
	v_cndmask_b32_e64 v6, v6, 1, s[0:1]
	s_and_b64 vcc, s[0:1], vcc
	v_cndmask_b32_e32 v2, v4, v2, vcc
	v_and_b32_e32 v4, 1, v6
	v_cndmask_b32_e32 v3, v5, v3, vcc
	v_cmp_eq_u32_e32 vcc, 1, v4
	s_andn2_b64 s[0:1], s[0:1], exec
	s_and_b64 s[10:11], vcc, exec
	v_and_b32_e32 v1, 0xff, v6
	s_or_b64 s[0:1], s[0:1], s[10:11]
; %bb.10:
	s_or_b64 exec, exec, s[2:3]
	v_mov_b32_dpp v6, v1 row_ror:8 row_mask:0xf bank_mask:0xf bound_ctrl:1
	v_and_b32_e32 v7, 1, v6
	v_mov_b32_dpp v4, v2 row_ror:8 row_mask:0xf bank_mask:0xf bound_ctrl:1
	v_mov_b32_dpp v5, v3 row_ror:8 row_mask:0xf bank_mask:0xf bound_ctrl:1
	v_cmp_eq_u32_e32 vcc, 1, v7
	s_and_saveexec_b64 s[2:3], vcc
; %bb.11:
	v_cmp_lt_i64_e32 vcc, v[2:3], v[4:5]
	v_cndmask_b32_e64 v6, v6, 1, s[0:1]
	s_and_b64 vcc, s[0:1], vcc
	v_cndmask_b32_e32 v2, v4, v2, vcc
	v_and_b32_e32 v4, 1, v6
	v_cndmask_b32_e32 v3, v5, v3, vcc
	v_cmp_eq_u32_e32 vcc, 1, v4
	s_andn2_b64 s[0:1], s[0:1], exec
	s_and_b64 s[10:11], vcc, exec
	v_and_b32_e32 v1, 0xff, v6
	s_or_b64 s[0:1], s[0:1], s[10:11]
; %bb.12:
	s_or_b64 exec, exec, s[2:3]
	v_mov_b32_dpp v6, v1 row_bcast:15 row_mask:0xf bank_mask:0xf bound_ctrl:1
	v_and_b32_e32 v7, 1, v6
	v_mov_b32_dpp v4, v2 row_bcast:15 row_mask:0xf bank_mask:0xf bound_ctrl:1
	v_mov_b32_dpp v5, v3 row_bcast:15 row_mask:0xf bank_mask:0xf bound_ctrl:1
	v_cmp_eq_u32_e32 vcc, 1, v7
	s_and_saveexec_b64 s[2:3], vcc
; %bb.13:
	v_cmp_lt_i64_e32 vcc, v[2:3], v[4:5]
	v_cndmask_b32_e64 v6, v6, 1, s[0:1]
	s_and_b64 vcc, s[0:1], vcc
	v_cndmask_b32_e32 v2, v4, v2, vcc
	v_and_b32_e32 v4, 1, v6
	v_cndmask_b32_e32 v3, v5, v3, vcc
	v_cmp_eq_u32_e32 vcc, 1, v4
	s_andn2_b64 s[0:1], s[0:1], exec
	s_and_b64 s[10:11], vcc, exec
	v_and_b32_e32 v1, 0xff, v6
	s_or_b64 s[0:1], s[0:1], s[10:11]
; %bb.14:
	s_or_b64 exec, exec, s[2:3]
	v_mov_b32_dpp v6, v1 row_bcast:31 row_mask:0xf bank_mask:0xf bound_ctrl:1
	v_and_b32_e32 v7, 1, v6
	v_mov_b32_dpp v4, v2 row_bcast:31 row_mask:0xf bank_mask:0xf bound_ctrl:1
	v_mov_b32_dpp v5, v3 row_bcast:31 row_mask:0xf bank_mask:0xf bound_ctrl:1
	v_cmp_eq_u32_e32 vcc, 1, v7
	s_and_saveexec_b64 s[2:3], vcc
; %bb.15:
	v_cmp_lt_i64_e32 vcc, v[2:3], v[4:5]
	v_and_b32_e32 v1, 0xff, v6
	s_and_b64 vcc, s[0:1], vcc
	v_cndmask_b32_e32 v2, v4, v2, vcc
	v_cndmask_b32_e32 v3, v5, v3, vcc
	v_cndmask_b32_e64 v1, v1, 1, s[0:1]
; %bb.16:
	s_or_b64 exec, exec, s[2:3]
	v_mbcnt_lo_u32_b32 v4, -1, 0
	v_mbcnt_hi_u32_b32 v4, -1, v4
	v_bfrev_b32_e32 v5, 0.5
	v_lshl_or_b32 v5, v4, 2, v5
	ds_bpermute_b32 v7, v5, v1
	ds_bpermute_b32 v2, v5, v2
	;; [unrolled: 1-line block ×3, first 2 shown]
	v_cmp_eq_u32_e32 vcc, 0, v4
	s_and_saveexec_b64 s[0:1], vcc
	s_cbranch_execz .LBB453_18
; %bb.17:
	v_lshrrev_b32_e32 v1, 2, v0
	v_and_b32_e32 v1, 48, v1
	s_waitcnt lgkmcnt(2)
	ds_write_b8 v1, v7 offset:192
	s_waitcnt lgkmcnt(1)
	ds_write_b64 v1, v[2:3] offset:200
.LBB453_18:
	s_or_b64 exec, exec, s[0:1]
	v_cmp_gt_u32_e32 vcc, 64, v0
	s_waitcnt lgkmcnt(0)
	s_barrier
	s_and_saveexec_b64 s[2:3], vcc
	s_cbranch_execz .LBB453_20
; %bb.19:
	v_and_b32_e32 v1, 3, v4
	v_lshlrev_b32_e32 v2, 4, v1
	ds_read_u8 v5, v2 offset:192
	ds_read_b64 v[2:3], v2 offset:200
	v_cmp_ne_u32_e32 vcc, 3, v1
	v_addc_co_u32_e32 v6, vcc, 0, v4, vcc
	s_waitcnt lgkmcnt(1)
	v_and_b32_e32 v7, 0xff, v5
	v_lshlrev_b32_e32 v8, 2, v6
	ds_bpermute_b32 v9, v8, v7
	s_waitcnt lgkmcnt(1)
	ds_bpermute_b32 v6, v8, v2
	ds_bpermute_b32 v7, v8, v3
	v_and_b32_e32 v8, 1, v5
	s_waitcnt lgkmcnt(2)
	v_and_b32_e32 v10, 1, v9
	v_cmp_eq_u32_e64 s[0:1], 1, v10
	s_waitcnt lgkmcnt(0)
	v_cmp_lt_i64_e32 vcc, v[6:7], v[2:3]
	s_and_b64 vcc, s[0:1], vcc
	v_cndmask_b32_e64 v5, v5, 1, s[0:1]
	v_cndmask_b32_e32 v2, v2, v6, vcc
	v_cndmask_b32_e32 v3, v3, v7, vcc
	v_cmp_eq_u32_e32 vcc, 1, v8
	v_cndmask_b32_e32 v8, v9, v5, vcc
	v_cndmask_b32_e32 v3, v7, v3, vcc
	;; [unrolled: 1-line block ×3, first 2 shown]
	v_cmp_gt_u32_e32 vcc, 2, v1
	v_cndmask_b32_e64 v1, 0, 1, vcc
	v_lshlrev_b32_e32 v1, 1, v1
	v_and_b32_e32 v5, 0xff, v8
	v_add_lshl_u32 v1, v1, v4, 2
	ds_bpermute_b32 v6, v1, v5
	ds_bpermute_b32 v4, v1, v2
	;; [unrolled: 1-line block ×3, first 2 shown]
	v_and_b32_e32 v1, 1, v8
	s_waitcnt lgkmcnt(2)
	v_and_b32_e32 v7, 1, v6
	v_cmp_eq_u32_e64 s[0:1], 1, v7
	s_waitcnt lgkmcnt(0)
	v_cmp_lt_i64_e32 vcc, v[4:5], v[2:3]
	s_and_b64 vcc, s[0:1], vcc
	v_cndmask_b32_e64 v7, v8, 1, s[0:1]
	v_cndmask_b32_e32 v2, v2, v4, vcc
	v_cndmask_b32_e32 v3, v3, v5, vcc
	v_cmp_eq_u32_e32 vcc, 1, v1
	v_cndmask_b32_e32 v1, v6, v7, vcc
	v_cndmask_b32_e32 v3, v5, v3, vcc
	;; [unrolled: 1-line block ×3, first 2 shown]
	v_and_b32_e32 v7, 0xff, v1
.LBB453_20:
	s_or_b64 exec, exec, s[2:3]
	s_branch .LBB453_89
.LBB453_21:
	s_mov_b64 s[10:11], 0
                                        ; implicit-def: $vgpr4_vgpr5
                                        ; implicit-def: $vgpr1
	s_cbranch_execnz .LBB453_133
	s_branch .LBB453_208
.LBB453_22:
	s_mov_b64 s[26:27], -1
.LBB453_23:
	s_mov_b64 s[10:11], 0
                                        ; implicit-def: $vgpr4_vgpr5
                                        ; implicit-def: $vgpr1
	s_and_b64 vcc, exec, s[26:27]
	s_cbranch_vccz .LBB453_94
.LBB453_24:
	s_cmp_eq_u32 s33, 4
	s_cbranch_scc0 .LBB453_43
; %bb.25:
	s_lshl_b32 s12, s6, 10
	s_lshr_b64 s[0:1], s[22:23], 10
	s_add_u32 s8, s24, s12
	s_addc_u32 s9, s25, 0
	s_add_u32 s14, s20, s12
	s_mov_b32 s7, 0
	s_addc_u32 s15, s21, 0
	s_cmp_lg_u64 s[0:1], s[6:7]
	s_cbranch_scc0 .LBB453_95
; %bb.26:
	global_load_ubyte v1, v0, s[8:9] offset:512
	global_load_ubyte v2, v0, s[8:9] offset:768
	;; [unrolled: 1-line block ×3, first 2 shown]
	s_waitcnt lgkmcnt(1)
	global_load_ubyte v4, v0, s[8:9]
	s_waitcnt lgkmcnt(0)
	v_mov_b32_e32 v5, s15
	v_add_co_u32_e32 v9, vcc, s14, v0
	v_addc_co_u32_e32 v5, vcc, 0, v5, vcc
	v_mov_b32_e32 v6, 0x200
	v_mov_b32_e32 v7, 0x100
	;; [unrolled: 1-line block ×3, first 2 shown]
	s_waitcnt vmcnt(3)
	v_cmp_eq_u16_sdwa s[0:1], v1, s31 src0_sel:BYTE_0 src1_sel:BYTE_0
	s_waitcnt vmcnt(2)
	v_cmp_eq_u16_sdwa s[2:3], v2, s31 src0_sel:BYTE_0 src1_sel:BYTE_0
	s_waitcnt vmcnt(1)
	v_cmp_eq_u16_sdwa vcc, v3, s31 src0_sel:DWORD src1_sel:BYTE_0
	v_cndmask_b32_e32 v1, v6, v7, vcc
	s_waitcnt vmcnt(0)
	v_cmp_eq_u16_sdwa s[16:17], v4, s31 src0_sel:DWORD src1_sel:BYTE_0
	v_cndmask_b32_e64 v1, v1, 0, s[16:17]
	s_or_b64 s[16:17], s[16:17], vcc
	s_or_b64 vcc, s[16:17], s[0:1]
	v_cndmask_b32_e32 v1, v8, v1, vcc
	v_add_co_u32_e64 v2, s[0:1], v9, v1
	v_addc_co_u32_e64 v3, s[0:1], 0, v5, s[0:1]
	s_or_b64 s[0:1], vcc, s[2:3]
	v_cndmask_b32_e64 v1, 0, 1, s[0:1]
	v_mov_b32_dpp v4, v2 quad_perm:[1,0,3,2] row_mask:0xf bank_mask:0xf bound_ctrl:1
	v_mov_b32_dpp v5, v3 quad_perm:[1,0,3,2] row_mask:0xf bank_mask:0xf bound_ctrl:1
	;; [unrolled: 1-line block ×3, first 2 shown]
	v_and_b32_e32 v7, 1, v6
	v_cmp_eq_u32_e32 vcc, 1, v7
	s_and_saveexec_b64 s[2:3], vcc
; %bb.27:
	v_cmp_lt_i64_e32 vcc, v[2:3], v[4:5]
	v_cndmask_b32_e64 v6, v6, 1, s[0:1]
	s_and_b64 vcc, s[0:1], vcc
	v_cndmask_b32_e32 v2, v4, v2, vcc
	v_and_b32_e32 v4, 1, v6
	v_cndmask_b32_e32 v3, v5, v3, vcc
	v_cmp_eq_u32_e32 vcc, 1, v4
	s_andn2_b64 s[0:1], s[0:1], exec
	s_and_b64 s[16:17], vcc, exec
	v_and_b32_e32 v1, 0xff, v6
	s_or_b64 s[0:1], s[0:1], s[16:17]
; %bb.28:
	s_or_b64 exec, exec, s[2:3]
	v_mov_b32_dpp v6, v1 quad_perm:[2,3,0,1] row_mask:0xf bank_mask:0xf bound_ctrl:1
	v_and_b32_e32 v7, 1, v6
	v_mov_b32_dpp v4, v2 quad_perm:[2,3,0,1] row_mask:0xf bank_mask:0xf bound_ctrl:1
	v_mov_b32_dpp v5, v3 quad_perm:[2,3,0,1] row_mask:0xf bank_mask:0xf bound_ctrl:1
	v_cmp_eq_u32_e32 vcc, 1, v7
	s_and_saveexec_b64 s[2:3], vcc
; %bb.29:
	v_cmp_lt_i64_e32 vcc, v[2:3], v[4:5]
	v_cndmask_b32_e64 v6, v6, 1, s[0:1]
	s_and_b64 vcc, s[0:1], vcc
	v_cndmask_b32_e32 v2, v4, v2, vcc
	v_and_b32_e32 v4, 1, v6
	v_cndmask_b32_e32 v3, v5, v3, vcc
	v_cmp_eq_u32_e32 vcc, 1, v4
	s_andn2_b64 s[0:1], s[0:1], exec
	s_and_b64 s[16:17], vcc, exec
	v_and_b32_e32 v1, 0xff, v6
	s_or_b64 s[0:1], s[0:1], s[16:17]
; %bb.30:
	s_or_b64 exec, exec, s[2:3]
	v_mov_b32_dpp v6, v1 row_ror:4 row_mask:0xf bank_mask:0xf bound_ctrl:1
	v_and_b32_e32 v7, 1, v6
	v_mov_b32_dpp v4, v2 row_ror:4 row_mask:0xf bank_mask:0xf bound_ctrl:1
	v_mov_b32_dpp v5, v3 row_ror:4 row_mask:0xf bank_mask:0xf bound_ctrl:1
	v_cmp_eq_u32_e32 vcc, 1, v7
	s_and_saveexec_b64 s[2:3], vcc
; %bb.31:
	v_cmp_lt_i64_e32 vcc, v[2:3], v[4:5]
	v_cndmask_b32_e64 v6, v6, 1, s[0:1]
	s_and_b64 vcc, s[0:1], vcc
	v_cndmask_b32_e32 v2, v4, v2, vcc
	v_and_b32_e32 v4, 1, v6
	v_cndmask_b32_e32 v3, v5, v3, vcc
	v_cmp_eq_u32_e32 vcc, 1, v4
	s_andn2_b64 s[0:1], s[0:1], exec
	s_and_b64 s[16:17], vcc, exec
	v_and_b32_e32 v1, 0xff, v6
	s_or_b64 s[0:1], s[0:1], s[16:17]
; %bb.32:
	s_or_b64 exec, exec, s[2:3]
	v_mov_b32_dpp v6, v1 row_ror:8 row_mask:0xf bank_mask:0xf bound_ctrl:1
	v_and_b32_e32 v7, 1, v6
	v_mov_b32_dpp v4, v2 row_ror:8 row_mask:0xf bank_mask:0xf bound_ctrl:1
	v_mov_b32_dpp v5, v3 row_ror:8 row_mask:0xf bank_mask:0xf bound_ctrl:1
	v_cmp_eq_u32_e32 vcc, 1, v7
	s_and_saveexec_b64 s[2:3], vcc
; %bb.33:
	v_cmp_lt_i64_e32 vcc, v[2:3], v[4:5]
	v_cndmask_b32_e64 v6, v6, 1, s[0:1]
	s_and_b64 vcc, s[0:1], vcc
	v_cndmask_b32_e32 v2, v4, v2, vcc
	v_and_b32_e32 v4, 1, v6
	v_cndmask_b32_e32 v3, v5, v3, vcc
	v_cmp_eq_u32_e32 vcc, 1, v4
	s_andn2_b64 s[0:1], s[0:1], exec
	s_and_b64 s[16:17], vcc, exec
	v_and_b32_e32 v1, 0xff, v6
	s_or_b64 s[0:1], s[0:1], s[16:17]
; %bb.34:
	s_or_b64 exec, exec, s[2:3]
	v_mov_b32_dpp v6, v1 row_bcast:15 row_mask:0xf bank_mask:0xf bound_ctrl:1
	v_and_b32_e32 v7, 1, v6
	v_mov_b32_dpp v4, v2 row_bcast:15 row_mask:0xf bank_mask:0xf bound_ctrl:1
	v_mov_b32_dpp v5, v3 row_bcast:15 row_mask:0xf bank_mask:0xf bound_ctrl:1
	v_cmp_eq_u32_e32 vcc, 1, v7
	s_and_saveexec_b64 s[2:3], vcc
; %bb.35:
	v_cmp_lt_i64_e32 vcc, v[2:3], v[4:5]
	v_cndmask_b32_e64 v6, v6, 1, s[0:1]
	s_and_b64 vcc, s[0:1], vcc
	v_cndmask_b32_e32 v2, v4, v2, vcc
	v_and_b32_e32 v4, 1, v6
	v_cndmask_b32_e32 v3, v5, v3, vcc
	v_cmp_eq_u32_e32 vcc, 1, v4
	s_andn2_b64 s[0:1], s[0:1], exec
	s_and_b64 s[16:17], vcc, exec
	v_and_b32_e32 v1, 0xff, v6
	s_or_b64 s[0:1], s[0:1], s[16:17]
; %bb.36:
	s_or_b64 exec, exec, s[2:3]
	v_mov_b32_dpp v6, v1 row_bcast:31 row_mask:0xf bank_mask:0xf bound_ctrl:1
	v_and_b32_e32 v7, 1, v6
	v_mov_b32_dpp v4, v2 row_bcast:31 row_mask:0xf bank_mask:0xf bound_ctrl:1
	v_mov_b32_dpp v5, v3 row_bcast:31 row_mask:0xf bank_mask:0xf bound_ctrl:1
	v_cmp_eq_u32_e32 vcc, 1, v7
	s_and_saveexec_b64 s[2:3], vcc
; %bb.37:
	v_cmp_lt_i64_e32 vcc, v[2:3], v[4:5]
	v_and_b32_e32 v1, 0xff, v6
	s_and_b64 vcc, s[0:1], vcc
	v_cndmask_b32_e32 v2, v4, v2, vcc
	v_cndmask_b32_e32 v3, v5, v3, vcc
	v_cndmask_b32_e64 v1, v1, 1, s[0:1]
; %bb.38:
	s_or_b64 exec, exec, s[2:3]
	v_mbcnt_lo_u32_b32 v4, -1, 0
	v_mbcnt_hi_u32_b32 v4, -1, v4
	v_bfrev_b32_e32 v5, 0.5
	v_lshl_or_b32 v5, v4, 2, v5
	ds_bpermute_b32 v6, v5, v1
	ds_bpermute_b32 v2, v5, v2
	;; [unrolled: 1-line block ×3, first 2 shown]
	v_cmp_eq_u32_e32 vcc, 0, v4
	s_and_saveexec_b64 s[0:1], vcc
	s_cbranch_execz .LBB453_40
; %bb.39:
	v_lshrrev_b32_e32 v1, 2, v0
	v_and_b32_e32 v1, 48, v1
	s_waitcnt lgkmcnt(2)
	ds_write_b8 v1, v6 offset:128
	s_waitcnt lgkmcnt(1)
	ds_write_b64 v1, v[2:3] offset:136
.LBB453_40:
	s_or_b64 exec, exec, s[0:1]
	v_cmp_gt_u32_e32 vcc, 64, v0
	s_waitcnt lgkmcnt(0)
	s_barrier
	s_and_saveexec_b64 s[2:3], vcc
	s_cbranch_execz .LBB453_42
; %bb.41:
	v_and_b32_e32 v1, 3, v4
	v_lshlrev_b32_e32 v2, 4, v1
	ds_read_u8 v5, v2 offset:128
	ds_read_b64 v[2:3], v2 offset:136
	v_cmp_ne_u32_e32 vcc, 3, v1
	v_addc_co_u32_e32 v6, vcc, 0, v4, vcc
	s_waitcnt lgkmcnt(1)
	v_and_b32_e32 v7, 0xff, v5
	v_lshlrev_b32_e32 v8, 2, v6
	ds_bpermute_b32 v9, v8, v7
	s_waitcnt lgkmcnt(1)
	ds_bpermute_b32 v6, v8, v2
	ds_bpermute_b32 v7, v8, v3
	v_and_b32_e32 v8, 1, v5
	s_waitcnt lgkmcnt(2)
	v_and_b32_e32 v10, 1, v9
	v_cmp_eq_u32_e64 s[0:1], 1, v10
	s_waitcnt lgkmcnt(0)
	v_cmp_lt_i64_e32 vcc, v[6:7], v[2:3]
	s_and_b64 vcc, s[0:1], vcc
	v_cndmask_b32_e64 v5, v5, 1, s[0:1]
	v_cndmask_b32_e32 v2, v2, v6, vcc
	v_cndmask_b32_e32 v3, v3, v7, vcc
	v_cmp_eq_u32_e32 vcc, 1, v8
	v_cndmask_b32_e32 v8, v9, v5, vcc
	v_cndmask_b32_e32 v3, v7, v3, vcc
	;; [unrolled: 1-line block ×3, first 2 shown]
	v_cmp_gt_u32_e32 vcc, 2, v1
	v_cndmask_b32_e64 v1, 0, 1, vcc
	v_lshlrev_b32_e32 v1, 1, v1
	v_and_b32_e32 v5, 0xff, v8
	v_add_lshl_u32 v1, v1, v4, 2
	ds_bpermute_b32 v6, v1, v5
	ds_bpermute_b32 v4, v1, v2
	;; [unrolled: 1-line block ×3, first 2 shown]
	v_and_b32_e32 v1, 1, v8
	s_waitcnt lgkmcnt(2)
	v_and_b32_e32 v7, 1, v6
	v_cmp_eq_u32_e64 s[0:1], 1, v7
	s_waitcnt lgkmcnt(0)
	v_cmp_lt_i64_e32 vcc, v[4:5], v[2:3]
	s_and_b64 vcc, s[0:1], vcc
	v_cndmask_b32_e64 v7, v8, 1, s[0:1]
	v_cndmask_b32_e32 v2, v2, v4, vcc
	v_cndmask_b32_e32 v3, v3, v5, vcc
	v_cmp_eq_u32_e32 vcc, 1, v1
	v_cndmask_b32_e32 v1, v6, v7, vcc
	v_cndmask_b32_e32 v3, v5, v3, vcc
	;; [unrolled: 1-line block ×3, first 2 shown]
	v_and_b32_e32 v6, 0xff, v1
.LBB453_42:
	s_or_b64 exec, exec, s[2:3]
	s_branch .LBB453_128
.LBB453_43:
                                        ; implicit-def: $vgpr4_vgpr5
                                        ; implicit-def: $vgpr1
	s_branch .LBB453_208
.LBB453_44:
                                        ; implicit-def: $vgpr2_vgpr3
                                        ; implicit-def: $vgpr7
	s_cbranch_execz .LBB453_89
; %bb.45:
	s_sub_i32 s36, s22, s8
	v_pk_mov_b32 v[10:11], 0, 0
	v_cmp_gt_u32_e32 vcc, s36, v0
	v_mov_b32_e32 v21, 0
	v_pk_mov_b32 v[2:3], v[10:11], v[10:11] op_sel:[0,1]
	v_mov_b32_e32 v1, 0
	s_and_saveexec_b64 s[0:1], vcc
	s_cbranch_execz .LBB453_47
; %bb.46:
	global_load_ubyte v1, v0, s[16:17]
	v_mov_b32_e32 v3, s35
	v_add_co_u32_e32 v2, vcc, s34, v0
	v_addc_co_u32_e32 v3, vcc, 0, v3, vcc
	s_waitcnt vmcnt(0)
	v_cmp_eq_u16_sdwa s[2:3], v1, s31 src0_sel:DWORD src1_sel:BYTE_0
	v_cndmask_b32_e64 v1, 0, 1, s[2:3]
.LBB453_47:
	s_or_b64 exec, exec, s[0:1]
	v_or_b32_e32 v4, 0x100, v0
	v_cmp_gt_u32_e64 s[14:15], s36, v4
	s_and_saveexec_b64 s[0:1], s[14:15]
	s_cbranch_execz .LBB453_49
; %bb.48:
	global_load_ubyte v5, v0, s[16:17] offset:256
	v_mov_b32_e32 v6, s35
	v_add_co_u32_e32 v10, vcc, s34, v4
	v_addc_co_u32_e32 v11, vcc, 0, v6, vcc
	s_waitcnt vmcnt(0)
	v_cmp_eq_u16_sdwa s[2:3], v5, s31 src0_sel:DWORD src1_sel:BYTE_0
	v_cndmask_b32_e64 v21, 0, 1, s[2:3]
.LBB453_49:
	s_or_b64 exec, exec, s[0:1]
	v_or_b32_e32 v4, 0x200, v0
	v_pk_mov_b32 v[8:9], 0, 0
	v_cmp_gt_u32_e64 s[12:13], s36, v4
	v_mov_b32_e32 v20, 0
	v_pk_mov_b32 v[16:17], v[8:9], v[8:9] op_sel:[0,1]
	v_mov_b32_e32 v24, 0
	s_and_saveexec_b64 s[0:1], s[12:13]
	s_cbranch_execz .LBB453_51
; %bb.50:
	global_load_ubyte v5, v0, s[16:17] offset:512
	v_mov_b32_e32 v6, s35
	v_add_co_u32_e32 v16, vcc, s34, v4
	v_addc_co_u32_e32 v17, vcc, 0, v6, vcc
	s_waitcnt vmcnt(0)
	v_cmp_eq_u16_sdwa s[2:3], v5, s31 src0_sel:DWORD src1_sel:BYTE_0
	v_cndmask_b32_e64 v24, 0, 1, s[2:3]
.LBB453_51:
	s_or_b64 exec, exec, s[0:1]
	v_or_b32_e32 v4, 0x300, v0
	v_cmp_gt_u32_e64 s[10:11], s36, v4
	s_and_saveexec_b64 s[0:1], s[10:11]
	s_cbranch_execz .LBB453_53
; %bb.52:
	global_load_ubyte v5, v0, s[16:17] offset:768
	v_mov_b32_e32 v6, s35
	v_add_co_u32_e32 v8, vcc, s34, v4
	v_addc_co_u32_e32 v9, vcc, 0, v6, vcc
	s_waitcnt vmcnt(0)
	v_cmp_eq_u16_sdwa s[2:3], v5, s31 src0_sel:DWORD src1_sel:BYTE_0
	v_cndmask_b32_e64 v20, 0, 1, s[2:3]
.LBB453_53:
	s_or_b64 exec, exec, s[0:1]
	v_or_b32_e32 v4, 0x400, v0
	v_pk_mov_b32 v[6:7], 0, 0
	v_cmp_gt_u32_e64 s[8:9], s36, v4
	v_mov_b32_e32 v19, 0
	v_pk_mov_b32 v[14:15], v[6:7], v[6:7] op_sel:[0,1]
	v_mov_b32_e32 v23, 0
	s_and_saveexec_b64 s[0:1], s[8:9]
	s_cbranch_execz .LBB453_55
; %bb.54:
	global_load_ubyte v5, v0, s[16:17] offset:1024
	v_mov_b32_e32 v12, s35
	v_add_co_u32_e32 v14, vcc, s34, v4
	v_addc_co_u32_e32 v15, vcc, 0, v12, vcc
	s_waitcnt vmcnt(0)
	v_cmp_eq_u16_sdwa s[2:3], v5, s31 src0_sel:DWORD src1_sel:BYTE_0
	v_cndmask_b32_e64 v23, 0, 1, s[2:3]
.LBB453_55:
	s_or_b64 exec, exec, s[0:1]
	v_or_b32_e32 v4, 0x500, v0
	v_cmp_gt_u32_e64 s[2:3], s36, v4
	s_and_saveexec_b64 s[0:1], s[2:3]
	s_cbranch_execz .LBB453_57
; %bb.56:
	global_load_ubyte v5, v0, s[16:17] offset:1280
	v_mov_b32_e32 v7, s35
	v_add_co_u32_e32 v6, vcc, s34, v4
	v_addc_co_u32_e32 v7, vcc, 0, v7, vcc
	s_waitcnt vmcnt(0)
	v_cmp_eq_u16_sdwa s[28:29], v5, s31 src0_sel:DWORD src1_sel:BYTE_0
	v_cndmask_b32_e64 v19, 0, 1, s[28:29]
.LBB453_57:
	s_or_b64 exec, exec, s[0:1]
	v_or_b32_e32 v25, 0x600, v0
	v_pk_mov_b32 v[4:5], 0, 0
	v_cmp_gt_u32_e64 s[0:1], s36, v25
	v_mov_b32_e32 v18, 0
	v_mov_b32_e32 v22, 0
	v_pk_mov_b32 v[12:13], v[4:5], v[4:5] op_sel:[0,1]
	s_and_saveexec_b64 s[28:29], s[0:1]
	s_cbranch_execz .LBB453_59
; %bb.58:
	global_load_ubyte v22, v0, s[16:17] offset:1536
	v_mov_b32_e32 v13, s35
	v_add_co_u32_e32 v12, vcc, s34, v25
	v_addc_co_u32_e32 v13, vcc, 0, v13, vcc
	s_waitcnt vmcnt(0)
	v_cmp_eq_u16_sdwa s[38:39], v22, s31 src0_sel:DWORD src1_sel:BYTE_0
	v_cndmask_b32_e64 v22, 0, 1, s[38:39]
.LBB453_59:
	s_or_b64 exec, exec, s[28:29]
	v_or_b32_e32 v25, 0x700, v0
	v_cmp_gt_u32_e32 vcc, s36, v25
	s_and_saveexec_b64 s[28:29], vcc
	s_cbranch_execnz .LBB453_240
; %bb.60:
	s_or_b64 exec, exec, s[28:29]
	s_and_saveexec_b64 s[28:29], s[14:15]
	s_cbranch_execnz .LBB453_241
.LBB453_61:
	s_or_b64 exec, exec, s[28:29]
	s_and_saveexec_b64 s[16:17], s[12:13]
	s_cbranch_execnz .LBB453_242
.LBB453_62:
	s_or_b64 exec, exec, s[16:17]
	s_and_saveexec_b64 s[14:15], s[10:11]
	s_cbranch_execnz .LBB453_243
.LBB453_63:
	s_or_b64 exec, exec, s[14:15]
	s_and_saveexec_b64 s[12:13], s[8:9]
	s_cbranch_execnz .LBB453_244
.LBB453_64:
	s_or_b64 exec, exec, s[12:13]
	s_and_saveexec_b64 s[10:11], s[2:3]
	s_cbranch_execnz .LBB453_245
.LBB453_65:
	s_or_b64 exec, exec, s[10:11]
	s_and_saveexec_b64 s[8:9], s[0:1]
	s_cbranch_execnz .LBB453_246
.LBB453_66:
	s_or_b64 exec, exec, s[8:9]
	s_and_saveexec_b64 s[2:3], vcc
	s_cbranch_execz .LBB453_68
.LBB453_67:
	v_and_b32_e32 v7, 1, v18
	v_cmp_lt_i64_e32 vcc, v[4:5], v[2:3]
	v_cmp_eq_u32_e64 s[0:1], 1, v7
	v_and_b32_e32 v6, 1, v1
	s_and_b64 vcc, s[0:1], vcc
	v_cndmask_b32_e64 v1, v1, 1, s[0:1]
	v_cndmask_b32_e32 v2, v2, v4, vcc
	v_cndmask_b32_e32 v3, v3, v5, vcc
	v_cmp_eq_u32_e32 vcc, 1, v6
	v_cndmask_b32_e32 v1, v18, v1, vcc
	v_cndmask_b32_e32 v3, v5, v3, vcc
	;; [unrolled: 1-line block ×3, first 2 shown]
.LBB453_68:
	s_or_b64 exec, exec, s[2:3]
	v_mbcnt_lo_u32_b32 v4, -1, 0
	v_mbcnt_hi_u32_b32 v6, -1, v4
	v_and_b32_e32 v8, 63, v6
	v_cmp_ne_u32_e32 vcc, 63, v8
	v_addc_co_u32_e32 v4, vcc, 0, v6, vcc
	v_and_b32_e32 v7, 0xffff, v1
	v_lshlrev_b32_e32 v5, 2, v4
	ds_bpermute_b32 v11, v5, v7
	ds_bpermute_b32 v4, v5, v2
	;; [unrolled: 1-line block ×3, first 2 shown]
	s_min_u32 s8, s36, 0x100
	v_and_b32_e32 v9, 0xc0, v0
	v_sub_u32_e64 v10, s8, v9 clamp
	v_add_u32_e32 v9, 1, v8
	v_cmp_lt_u32_e32 vcc, v9, v10
	v_mov_b32_e32 v9, v7
	s_and_saveexec_b64 s[0:1], vcc
	s_xor_b64 s[2:3], exec, s[0:1]
	s_cbranch_execz .LBB453_70
; %bb.69:
	s_waitcnt lgkmcnt(2)
	v_and_b32_e32 v9, 1, v11
	s_waitcnt lgkmcnt(0)
	v_cmp_lt_i64_e32 vcc, v[4:5], v[2:3]
	v_cmp_eq_u32_e64 s[0:1], 1, v9
	v_and_b32_e32 v1, 1, v1
	s_and_b64 vcc, s[0:1], vcc
	v_cndmask_b32_e64 v7, v7, 1, s[0:1]
	v_cndmask_b32_e32 v2, v2, v4, vcc
	v_cndmask_b32_e32 v3, v3, v5, vcc
	v_cmp_eq_u32_e32 vcc, 1, v1
	v_cndmask_b32_e32 v9, v11, v7, vcc
	v_cndmask_b32_e32 v3, v5, v3, vcc
	;; [unrolled: 1-line block ×3, first 2 shown]
	v_and_b32_e32 v7, 0xff, v9
.LBB453_70:
	s_or_b64 exec, exec, s[2:3]
	v_cmp_gt_u32_e32 vcc, 62, v8
	v_cndmask_b32_e64 v1, 0, 1, vcc
	v_lshlrev_b32_e32 v1, 1, v1
	s_waitcnt lgkmcnt(0)
	v_add_lshl_u32 v5, v1, v6, 2
	ds_bpermute_b32 v1, v5, v7
	ds_bpermute_b32 v4, v5, v2
	ds_bpermute_b32 v5, v5, v3
	v_add_u32_e32 v11, 2, v8
	v_cmp_lt_u32_e32 vcc, v11, v10
	s_and_saveexec_b64 s[2:3], vcc
	s_cbranch_execz .LBB453_72
; %bb.71:
	s_waitcnt lgkmcnt(2)
	v_and_b32_e32 v11, 1, v1
	s_waitcnt lgkmcnt(0)
	v_cmp_lt_i64_e32 vcc, v[4:5], v[2:3]
	v_cmp_eq_u32_e64 s[0:1], 1, v11
	v_and_b32_e32 v7, 1, v9
	s_and_b64 vcc, s[0:1], vcc
	v_cndmask_b32_e64 v9, v9, 1, s[0:1]
	v_cndmask_b32_e32 v2, v2, v4, vcc
	v_cndmask_b32_e32 v3, v3, v5, vcc
	v_cmp_eq_u32_e32 vcc, 1, v7
	v_cndmask_b32_e32 v9, v1, v9, vcc
	v_cndmask_b32_e32 v3, v5, v3, vcc
	v_cndmask_b32_e32 v2, v4, v2, vcc
	v_and_b32_e32 v7, 0xff, v9
.LBB453_72:
	s_or_b64 exec, exec, s[2:3]
	v_cmp_gt_u32_e32 vcc, 60, v8
	s_waitcnt lgkmcnt(2)
	v_cndmask_b32_e64 v1, 0, 1, vcc
	v_lshlrev_b32_e32 v1, 2, v1
	s_waitcnt lgkmcnt(0)
	v_add_lshl_u32 v5, v1, v6, 2
	ds_bpermute_b32 v1, v5, v7
	ds_bpermute_b32 v4, v5, v2
	ds_bpermute_b32 v5, v5, v3
	v_add_u32_e32 v11, 4, v8
	v_cmp_lt_u32_e32 vcc, v11, v10
	s_and_saveexec_b64 s[2:3], vcc
	s_cbranch_execz .LBB453_74
; %bb.73:
	s_waitcnt lgkmcnt(2)
	v_and_b32_e32 v11, 1, v1
	s_waitcnt lgkmcnt(0)
	v_cmp_lt_i64_e32 vcc, v[4:5], v[2:3]
	v_cmp_eq_u32_e64 s[0:1], 1, v11
	v_and_b32_e32 v7, 1, v9
	s_and_b64 vcc, s[0:1], vcc
	v_cndmask_b32_e64 v9, v9, 1, s[0:1]
	v_cndmask_b32_e32 v2, v2, v4, vcc
	v_cndmask_b32_e32 v3, v3, v5, vcc
	v_cmp_eq_u32_e32 vcc, 1, v7
	v_cndmask_b32_e32 v9, v1, v9, vcc
	v_cndmask_b32_e32 v3, v5, v3, vcc
	v_cndmask_b32_e32 v2, v4, v2, vcc
	v_and_b32_e32 v7, 0xff, v9
.LBB453_74:
	s_or_b64 exec, exec, s[2:3]
	v_cmp_gt_u32_e32 vcc, 56, v8
	s_waitcnt lgkmcnt(2)
	;; [unrolled: 31-line block ×4, first 2 shown]
	v_cndmask_b32_e64 v1, 0, 1, vcc
	v_lshlrev_b32_e32 v1, 5, v1
	s_waitcnt lgkmcnt(0)
	v_add_lshl_u32 v5, v1, v6, 2
	ds_bpermute_b32 v1, v5, v7
	ds_bpermute_b32 v4, v5, v2
	;; [unrolled: 1-line block ×3, first 2 shown]
	v_add_u32_e32 v8, 32, v8
	v_cmp_lt_u32_e32 vcc, v8, v10
	s_and_saveexec_b64 s[2:3], vcc
	s_cbranch_execz .LBB453_80
; %bb.79:
	s_waitcnt lgkmcnt(2)
	v_and_b32_e32 v8, 1, v1
	s_waitcnt lgkmcnt(0)
	v_cmp_lt_i64_e32 vcc, v[4:5], v[2:3]
	v_cmp_eq_u32_e64 s[0:1], 1, v8
	v_and_b32_e32 v7, 1, v9
	s_and_b64 vcc, s[0:1], vcc
	v_cndmask_b32_e64 v8, v9, 1, s[0:1]
	v_cndmask_b32_e32 v2, v2, v4, vcc
	v_cndmask_b32_e32 v3, v3, v5, vcc
	v_cmp_eq_u32_e32 vcc, 1, v7
	v_cndmask_b32_e32 v9, v1, v8, vcc
	v_cndmask_b32_e32 v3, v5, v3, vcc
	;; [unrolled: 1-line block ×3, first 2 shown]
	v_and_b32_e32 v7, 0xff, v9
.LBB453_80:
	s_or_b64 exec, exec, s[2:3]
	v_cmp_eq_u32_e32 vcc, 0, v6
	s_and_saveexec_b64 s[0:1], vcc
	s_cbranch_execz .LBB453_82
; %bb.81:
	s_waitcnt lgkmcnt(2)
	v_lshrrev_b32_e32 v1, 2, v0
	v_and_b32_e32 v1, 48, v1
	ds_write_b8 v1, v9 offset:256
	ds_write_b64 v1, v[2:3] offset:264
.LBB453_82:
	s_or_b64 exec, exec, s[0:1]
	v_cmp_gt_u32_e32 vcc, 4, v0
	s_waitcnt lgkmcnt(0)
	s_barrier
	s_and_saveexec_b64 s[2:3], vcc
	s_cbranch_execz .LBB453_88
; %bb.83:
	v_lshlrev_b32_e32 v2, 4, v6
	ds_read_u8 v1, v2 offset:256
	ds_read_b64 v[2:3], v2 offset:264
	v_and_b32_e32 v8, 3, v6
	v_cmp_ne_u32_e32 vcc, 3, v8
	v_addc_co_u32_e32 v4, vcc, 0, v6, vcc
	s_waitcnt lgkmcnt(1)
	v_and_b32_e32 v7, 0xff, v1
	v_lshlrev_b32_e32 v5, 2, v4
	ds_bpermute_b32 v9, v5, v7
	s_waitcnt lgkmcnt(1)
	ds_bpermute_b32 v4, v5, v2
	ds_bpermute_b32 v5, v5, v3
	s_add_i32 s8, s8, 63
	s_lshr_b32 s10, s8, 6
	v_add_u32_e32 v10, 1, v8
	v_cmp_gt_u32_e32 vcc, s10, v10
	s_and_saveexec_b64 s[8:9], vcc
	s_cbranch_execz .LBB453_85
; %bb.84:
	s_waitcnt lgkmcnt(2)
	v_and_b32_e32 v10, 1, v9
	s_waitcnt lgkmcnt(0)
	v_cmp_lt_i64_e32 vcc, v[4:5], v[2:3]
	v_cmp_eq_u32_e64 s[0:1], 1, v10
	v_and_b32_e32 v7, 1, v1
	s_and_b64 vcc, s[0:1], vcc
	v_cndmask_b32_e64 v1, v1, 1, s[0:1]
	v_cndmask_b32_e32 v2, v2, v4, vcc
	v_cndmask_b32_e32 v3, v3, v5, vcc
	v_cmp_eq_u32_e32 vcc, 1, v7
	v_cndmask_b32_e32 v1, v9, v1, vcc
	v_cndmask_b32_e32 v3, v5, v3, vcc
	;; [unrolled: 1-line block ×3, first 2 shown]
	v_and_b32_e32 v7, 0xff, v1
.LBB453_85:
	s_or_b64 exec, exec, s[8:9]
	v_cmp_gt_u32_e32 vcc, 2, v8
	s_waitcnt lgkmcnt(1)
	v_cndmask_b32_e64 v4, 0, 1, vcc
	v_lshlrev_b32_e32 v4, 1, v4
	s_waitcnt lgkmcnt(0)
	v_add_lshl_u32 v5, v4, v6, 2
	ds_bpermute_b32 v6, v5, v7
	ds_bpermute_b32 v4, v5, v2
	;; [unrolled: 1-line block ×3, first 2 shown]
	v_add_u32_e32 v8, 2, v8
	v_cmp_gt_u32_e32 vcc, s10, v8
	s_and_saveexec_b64 s[8:9], vcc
	s_cbranch_execz .LBB453_87
; %bb.86:
	s_waitcnt lgkmcnt(2)
	v_and_b32_e32 v8, 1, v6
	s_waitcnt lgkmcnt(0)
	v_cmp_lt_i64_e32 vcc, v[4:5], v[2:3]
	v_cmp_eq_u32_e64 s[0:1], 1, v8
	v_and_b32_e32 v7, 1, v1
	s_and_b64 vcc, s[0:1], vcc
	v_cndmask_b32_e64 v1, v1, 1, s[0:1]
	v_cndmask_b32_e32 v2, v2, v4, vcc
	v_cndmask_b32_e32 v3, v3, v5, vcc
	v_cmp_eq_u32_e32 vcc, 1, v7
	v_cndmask_b32_e32 v1, v6, v1, vcc
	v_cndmask_b32_e32 v3, v5, v3, vcc
	;; [unrolled: 1-line block ×3, first 2 shown]
	v_and_b32_e32 v7, 0xff, v1
.LBB453_87:
	s_or_b64 exec, exec, s[8:9]
.LBB453_88:
	s_or_b64 exec, exec, s[2:3]
.LBB453_89:
	v_cmp_eq_u32_e32 vcc, 0, v0
	s_mov_b64 s[10:11], 0
                                        ; implicit-def: $vgpr4_vgpr5
                                        ; implicit-def: $vgpr1
	s_and_saveexec_b64 s[0:1], vcc
	s_xor_b64 s[8:9], exec, s[0:1]
	s_cbranch_execz .LBB453_93
; %bb.90:
	s_cmp_eq_u64 s[22:23], 0
	s_waitcnt lgkmcnt(0)
	v_pk_mov_b32 v[4:5], s[18:19], s[18:19] op_sel:[0,1]
	v_mov_b32_e32 v1, s30
	s_cbranch_scc1 .LBB453_92
; %bb.91:
	v_and_b32_e32 v1, 1, v7
	s_bitcmp1_b32 s30, 0
	v_mov_b32_e32 v4, s30
	v_cmp_eq_u32_e32 vcc, 1, v1
	v_cmp_gt_i64_e64 s[2:3], s[18:19], v[2:3]
	v_cndmask_b32_e64 v1, v4, 1, vcc
	s_cselect_b64 s[0:1], -1, 0
	v_mov_b32_e32 v4, s18
	s_and_b64 vcc, vcc, s[2:3]
	v_mov_b32_e32 v5, s19
	v_cndmask_b32_e32 v4, v4, v2, vcc
	v_cndmask_b32_e32 v5, v5, v3, vcc
	v_cndmask_b32_e64 v1, v7, v1, s[0:1]
	v_cndmask_b32_e64 v5, v3, v5, s[0:1]
	;; [unrolled: 1-line block ×3, first 2 shown]
.LBB453_92:
	s_mov_b64 s[10:11], exec
.LBB453_93:
	s_or_b64 exec, exec, s[8:9]
	s_and_b64 vcc, exec, s[26:27]
	s_cbranch_vccnz .LBB453_24
.LBB453_94:
	s_branch .LBB453_208
.LBB453_95:
                                        ; implicit-def: $vgpr2_vgpr3
                                        ; implicit-def: $vgpr6
	s_cbranch_execz .LBB453_128
; %bb.96:
	s_sub_i32 s16, s22, s12
	s_waitcnt lgkmcnt(2)
	v_pk_mov_b32 v[6:7], 0, 0
	v_cmp_gt_u32_e32 vcc, s16, v0
	v_mov_b32_e32 v11, 0
	v_pk_mov_b32 v[2:3], v[6:7], v[6:7] op_sel:[0,1]
	v_mov_b32_e32 v10, 0
	s_and_saveexec_b64 s[0:1], vcc
	s_cbranch_execz .LBB453_98
; %bb.97:
	global_load_ubyte v1, v0, s[8:9]
	v_mov_b32_e32 v3, s15
	v_add_co_u32_e32 v2, vcc, s14, v0
	v_addc_co_u32_e32 v3, vcc, 0, v3, vcc
	s_waitcnt vmcnt(0)
	v_cmp_eq_u16_sdwa s[2:3], v1, s31 src0_sel:DWORD src1_sel:BYTE_0
	v_cndmask_b32_e64 v10, 0, 1, s[2:3]
.LBB453_98:
	s_or_b64 exec, exec, s[0:1]
	v_or_b32_e32 v1, 0x100, v0
	v_cmp_gt_u32_e64 s[2:3], s16, v1
	s_and_saveexec_b64 s[0:1], s[2:3]
	s_cbranch_execz .LBB453_100
; %bb.99:
	s_waitcnt lgkmcnt(1)
	global_load_ubyte v4, v0, s[8:9] offset:256
	s_waitcnt lgkmcnt(0)
	v_mov_b32_e32 v5, s15
	v_add_co_u32_e32 v6, vcc, s14, v1
	v_addc_co_u32_e32 v7, vcc, 0, v5, vcc
	s_waitcnt vmcnt(0)
	v_cmp_eq_u16_sdwa s[12:13], v4, s31 src0_sel:DWORD src1_sel:BYTE_0
	v_cndmask_b32_e64 v11, 0, 1, s[12:13]
.LBB453_100:
	s_or_b64 exec, exec, s[0:1]
	v_or_b32_e32 v13, 0x200, v0
	s_waitcnt lgkmcnt(0)
	v_pk_mov_b32 v[4:5], 0, 0
	v_cmp_gt_u32_e64 s[0:1], s16, v13
	v_mov_b32_e32 v1, 0
	v_pk_mov_b32 v[8:9], v[4:5], v[4:5] op_sel:[0,1]
	v_mov_b32_e32 v12, 0
	s_and_saveexec_b64 s[12:13], s[0:1]
	s_cbranch_execz .LBB453_102
; %bb.101:
	global_load_ubyte v12, v0, s[8:9] offset:512
	v_mov_b32_e32 v9, s15
	v_add_co_u32_e32 v8, vcc, s14, v13
	v_addc_co_u32_e32 v9, vcc, 0, v9, vcc
	s_waitcnt vmcnt(0)
	v_cmp_eq_u16_sdwa s[26:27], v12, s31 src0_sel:DWORD src1_sel:BYTE_0
	v_cndmask_b32_e64 v12, 0, 1, s[26:27]
.LBB453_102:
	s_or_b64 exec, exec, s[12:13]
	v_or_b32_e32 v13, 0x300, v0
	v_cmp_gt_u32_e32 vcc, s16, v13
	s_and_saveexec_b64 s[12:13], vcc
	s_cbranch_execnz .LBB453_247
; %bb.103:
	s_or_b64 exec, exec, s[12:13]
	s_and_saveexec_b64 s[12:13], s[2:3]
	s_cbranch_execnz .LBB453_248
.LBB453_104:
	s_or_b64 exec, exec, s[12:13]
	s_and_saveexec_b64 s[8:9], s[0:1]
	s_cbranch_execnz .LBB453_249
.LBB453_105:
	s_or_b64 exec, exec, s[8:9]
	s_and_saveexec_b64 s[2:3], vcc
	s_cbranch_execz .LBB453_107
.LBB453_106:
	v_and_b32_e32 v7, 1, v1
	v_cmp_lt_i64_e32 vcc, v[4:5], v[2:3]
	v_cmp_eq_u32_e64 s[0:1], 1, v7
	v_and_b32_e32 v6, 1, v10
	s_and_b64 vcc, s[0:1], vcc
	v_cndmask_b32_e64 v7, v10, 1, s[0:1]
	v_cndmask_b32_e32 v2, v2, v4, vcc
	v_cndmask_b32_e32 v3, v3, v5, vcc
	v_cmp_eq_u32_e32 vcc, 1, v6
	v_cndmask_b32_e32 v10, v1, v7, vcc
	v_cndmask_b32_e32 v3, v5, v3, vcc
	;; [unrolled: 1-line block ×3, first 2 shown]
.LBB453_107:
	s_or_b64 exec, exec, s[2:3]
	v_mbcnt_lo_u32_b32 v1, -1, 0
	v_mbcnt_hi_u32_b32 v1, -1, v1
	v_and_b32_e32 v7, 63, v1
	v_cmp_ne_u32_e32 vcc, 63, v7
	v_addc_co_u32_e32 v4, vcc, 0, v1, vcc
	v_and_b32_e32 v6, 0xffff, v10
	v_lshlrev_b32_e32 v5, 2, v4
	ds_bpermute_b32 v11, v5, v6
	ds_bpermute_b32 v4, v5, v2
	ds_bpermute_b32 v5, v5, v3
	s_min_u32 s8, s16, 0x100
	v_and_b32_e32 v8, 0xc0, v0
	v_sub_u32_e64 v9, s8, v8 clamp
	v_add_u32_e32 v8, 1, v7
	v_cmp_lt_u32_e32 vcc, v8, v9
	v_mov_b32_e32 v8, v6
	s_and_saveexec_b64 s[0:1], vcc
	s_xor_b64 s[2:3], exec, s[0:1]
	s_cbranch_execz .LBB453_109
; %bb.108:
	v_and_b32_e32 v8, 1, v10
	s_waitcnt lgkmcnt(2)
	v_and_b32_e32 v10, 1, v11
	s_waitcnt lgkmcnt(0)
	v_cmp_lt_i64_e32 vcc, v[4:5], v[2:3]
	v_cmp_eq_u32_e64 s[0:1], 1, v10
	s_and_b64 vcc, s[0:1], vcc
	v_cndmask_b32_e64 v6, v6, 1, s[0:1]
	v_cndmask_b32_e32 v2, v2, v4, vcc
	v_cndmask_b32_e32 v3, v3, v5, vcc
	v_cmp_eq_u32_e32 vcc, 1, v8
	v_cndmask_b32_e32 v8, v11, v6, vcc
	v_cndmask_b32_e32 v3, v5, v3, vcc
	;; [unrolled: 1-line block ×3, first 2 shown]
	v_and_b32_e32 v6, 0xff, v8
.LBB453_109:
	s_or_b64 exec, exec, s[2:3]
	v_cmp_gt_u32_e32 vcc, 62, v7
	s_waitcnt lgkmcnt(1)
	v_cndmask_b32_e64 v4, 0, 1, vcc
	v_lshlrev_b32_e32 v4, 1, v4
	s_waitcnt lgkmcnt(0)
	v_add_lshl_u32 v5, v4, v1, 2
	ds_bpermute_b32 v10, v5, v6
	ds_bpermute_b32 v4, v5, v2
	ds_bpermute_b32 v5, v5, v3
	v_add_u32_e32 v11, 2, v7
	v_cmp_lt_u32_e32 vcc, v11, v9
	s_and_saveexec_b64 s[2:3], vcc
	s_cbranch_execz .LBB453_111
; %bb.110:
	s_waitcnt lgkmcnt(2)
	v_and_b32_e32 v11, 1, v10
	s_waitcnt lgkmcnt(0)
	v_cmp_lt_i64_e32 vcc, v[4:5], v[2:3]
	v_cmp_eq_u32_e64 s[0:1], 1, v11
	v_and_b32_e32 v6, 1, v8
	s_and_b64 vcc, s[0:1], vcc
	v_cndmask_b32_e64 v8, v8, 1, s[0:1]
	v_cndmask_b32_e32 v2, v2, v4, vcc
	v_cndmask_b32_e32 v3, v3, v5, vcc
	v_cmp_eq_u32_e32 vcc, 1, v6
	v_cndmask_b32_e32 v8, v10, v8, vcc
	v_cndmask_b32_e32 v3, v5, v3, vcc
	v_cndmask_b32_e32 v2, v4, v2, vcc
	v_and_b32_e32 v6, 0xff, v8
.LBB453_111:
	s_or_b64 exec, exec, s[2:3]
	v_cmp_gt_u32_e32 vcc, 60, v7
	s_waitcnt lgkmcnt(1)
	v_cndmask_b32_e64 v4, 0, 1, vcc
	v_lshlrev_b32_e32 v4, 2, v4
	s_waitcnt lgkmcnt(0)
	v_add_lshl_u32 v5, v4, v1, 2
	ds_bpermute_b32 v10, v5, v6
	ds_bpermute_b32 v4, v5, v2
	ds_bpermute_b32 v5, v5, v3
	v_add_u32_e32 v11, 4, v7
	v_cmp_lt_u32_e32 vcc, v11, v9
	s_and_saveexec_b64 s[2:3], vcc
	s_cbranch_execz .LBB453_113
; %bb.112:
	s_waitcnt lgkmcnt(2)
	v_and_b32_e32 v11, 1, v10
	s_waitcnt lgkmcnt(0)
	v_cmp_lt_i64_e32 vcc, v[4:5], v[2:3]
	v_cmp_eq_u32_e64 s[0:1], 1, v11
	v_and_b32_e32 v6, 1, v8
	s_and_b64 vcc, s[0:1], vcc
	v_cndmask_b32_e64 v8, v8, 1, s[0:1]
	v_cndmask_b32_e32 v2, v2, v4, vcc
	v_cndmask_b32_e32 v3, v3, v5, vcc
	v_cmp_eq_u32_e32 vcc, 1, v6
	v_cndmask_b32_e32 v8, v10, v8, vcc
	v_cndmask_b32_e32 v3, v5, v3, vcc
	v_cndmask_b32_e32 v2, v4, v2, vcc
	v_and_b32_e32 v6, 0xff, v8
.LBB453_113:
	;; [unrolled: 31-line block ×5, first 2 shown]
	s_or_b64 exec, exec, s[2:3]
	v_cmp_eq_u32_e32 vcc, 0, v1
	s_and_saveexec_b64 s[0:1], vcc
	s_cbranch_execz .LBB453_121
; %bb.120:
	s_waitcnt lgkmcnt(1)
	v_lshrrev_b32_e32 v4, 2, v0
	v_and_b32_e32 v4, 48, v4
	ds_write_b8 v4, v8 offset:256
	ds_write_b64 v4, v[2:3] offset:264
.LBB453_121:
	s_or_b64 exec, exec, s[0:1]
	v_cmp_gt_u32_e32 vcc, 4, v0
	s_waitcnt lgkmcnt(0)
	s_barrier
	s_and_saveexec_b64 s[2:3], vcc
	s_cbranch_execz .LBB453_127
; %bb.122:
	v_lshlrev_b32_e32 v2, 4, v1
	ds_read_u8 v7, v2 offset:256
	ds_read_b64 v[2:3], v2 offset:264
	v_and_b32_e32 v8, 3, v1
	v_cmp_ne_u32_e32 vcc, 3, v8
	v_addc_co_u32_e32 v4, vcc, 0, v1, vcc
	s_waitcnt lgkmcnt(1)
	v_and_b32_e32 v6, 0xff, v7
	v_lshlrev_b32_e32 v5, 2, v4
	ds_bpermute_b32 v9, v5, v6
	s_waitcnt lgkmcnt(1)
	ds_bpermute_b32 v4, v5, v2
	ds_bpermute_b32 v5, v5, v3
	s_add_i32 s8, s8, 63
	s_lshr_b32 s12, s8, 6
	v_add_u32_e32 v10, 1, v8
	v_cmp_gt_u32_e32 vcc, s12, v10
	s_and_saveexec_b64 s[8:9], vcc
	s_cbranch_execz .LBB453_124
; %bb.123:
	s_waitcnt lgkmcnt(2)
	v_and_b32_e32 v10, 1, v9
	s_waitcnt lgkmcnt(0)
	v_cmp_lt_i64_e32 vcc, v[4:5], v[2:3]
	v_cmp_eq_u32_e64 s[0:1], 1, v10
	v_and_b32_e32 v6, 1, v7
	s_and_b64 vcc, s[0:1], vcc
	v_cndmask_b32_e64 v7, v7, 1, s[0:1]
	v_cndmask_b32_e32 v2, v2, v4, vcc
	v_cndmask_b32_e32 v3, v3, v5, vcc
	v_cmp_eq_u32_e32 vcc, 1, v6
	v_cndmask_b32_e32 v7, v9, v7, vcc
	v_cndmask_b32_e32 v3, v5, v3, vcc
	;; [unrolled: 1-line block ×3, first 2 shown]
	v_and_b32_e32 v6, 0xff, v7
.LBB453_124:
	s_or_b64 exec, exec, s[8:9]
	v_cmp_gt_u32_e32 vcc, 2, v8
	s_waitcnt lgkmcnt(1)
	v_cndmask_b32_e64 v4, 0, 1, vcc
	v_lshlrev_b32_e32 v4, 1, v4
	s_waitcnt lgkmcnt(0)
	v_add_lshl_u32 v5, v4, v1, 2
	ds_bpermute_b32 v1, v5, v6
	ds_bpermute_b32 v4, v5, v2
	;; [unrolled: 1-line block ×3, first 2 shown]
	v_add_u32_e32 v8, 2, v8
	v_cmp_gt_u32_e32 vcc, s12, v8
	s_and_saveexec_b64 s[8:9], vcc
	s_cbranch_execz .LBB453_126
; %bb.125:
	s_waitcnt lgkmcnt(2)
	v_and_b32_e32 v8, 1, v1
	s_waitcnt lgkmcnt(0)
	v_cmp_lt_i64_e32 vcc, v[4:5], v[2:3]
	v_cmp_eq_u32_e64 s[0:1], 1, v8
	v_and_b32_e32 v6, 1, v7
	s_and_b64 vcc, s[0:1], vcc
	v_cndmask_b32_e64 v7, v7, 1, s[0:1]
	v_cndmask_b32_e32 v2, v2, v4, vcc
	v_cndmask_b32_e32 v3, v3, v5, vcc
	v_cmp_eq_u32_e32 vcc, 1, v6
	v_cndmask_b32_e32 v1, v1, v7, vcc
	v_cndmask_b32_e32 v3, v5, v3, vcc
	;; [unrolled: 1-line block ×3, first 2 shown]
	v_and_b32_e32 v6, 0xff, v1
.LBB453_126:
	s_or_b64 exec, exec, s[8:9]
.LBB453_127:
	s_or_b64 exec, exec, s[2:3]
.LBB453_128:
	v_cmp_eq_u32_e32 vcc, 0, v0
                                        ; implicit-def: $vgpr4_vgpr5
                                        ; implicit-def: $vgpr1
	s_and_saveexec_b64 s[0:1], vcc
	s_xor_b64 s[8:9], exec, s[0:1]
	s_cbranch_execz .LBB453_132
; %bb.129:
	s_cmp_eq_u64 s[22:23], 0
	s_waitcnt lgkmcnt(0)
	v_pk_mov_b32 v[4:5], s[18:19], s[18:19] op_sel:[0,1]
	v_mov_b32_e32 v1, s30
	s_cbranch_scc1 .LBB453_131
; %bb.130:
	v_and_b32_e32 v1, 1, v6
	s_bitcmp1_b32 s30, 0
	v_mov_b32_e32 v4, s30
	v_cmp_eq_u32_e32 vcc, 1, v1
	v_cmp_gt_i64_e64 s[2:3], s[18:19], v[2:3]
	v_cndmask_b32_e64 v1, v4, 1, vcc
	s_cselect_b64 s[0:1], -1, 0
	v_mov_b32_e32 v4, s18
	s_and_b64 vcc, vcc, s[2:3]
	v_mov_b32_e32 v5, s19
	v_cndmask_b32_e32 v4, v4, v2, vcc
	v_cndmask_b32_e32 v5, v5, v3, vcc
	v_cndmask_b32_e64 v1, v6, v1, s[0:1]
	v_cndmask_b32_e64 v5, v3, v5, s[0:1]
	;; [unrolled: 1-line block ×3, first 2 shown]
.LBB453_131:
	s_or_b64 s[10:11], s[10:11], exec
.LBB453_132:
	s_or_b64 exec, exec, s[8:9]
	s_branch .LBB453_208
.LBB453_133:
	s_cmp_gt_i32 s33, 1
	s_cbranch_scc0 .LBB453_153
; %bb.134:
	s_cmp_eq_u32 s33, 2
	s_cbranch_scc0 .LBB453_154
; %bb.135:
	s_lshl_b32 s14, s6, 9
	s_lshr_b64 s[0:1], s[22:23], 9
	s_add_u32 s2, s24, s14
	s_addc_u32 s3, s25, 0
	s_add_u32 s12, s20, s14
	s_mov_b32 s7, 0
	s_addc_u32 s13, s21, 0
	s_cmp_lg_u64 s[0:1], s[6:7]
	s_cbranch_scc0 .LBB453_155
; %bb.136:
	s_waitcnt lgkmcnt(2)
	global_load_ubyte v1, v0, s[2:3] offset:256
	global_load_ubyte v2, v0, s[2:3]
	v_mov_b32_e32 v3, s13
	s_waitcnt lgkmcnt(1)
	v_add_co_u32_e32 v4, vcc, s12, v0
	v_addc_co_u32_e32 v3, vcc, 0, v3, vcc
	s_waitcnt lgkmcnt(0)
	v_add_co_u32_e32 v5, vcc, 0x100, v4
	v_addc_co_u32_e32 v6, vcc, 0, v3, vcc
	s_waitcnt vmcnt(1)
	v_cmp_eq_u16_sdwa s[0:1], v1, s31 src0_sel:BYTE_0 src1_sel:BYTE_0
	s_waitcnt vmcnt(0)
	v_cmp_eq_u16_sdwa vcc, v2, s31 src0_sel:DWORD src1_sel:BYTE_0
	s_or_b64 s[0:1], vcc, s[0:1]
	v_cndmask_b32_e64 v1, 0, 1, s[0:1]
	v_cndmask_b32_e32 v3, v6, v3, vcc
	v_cndmask_b32_e32 v2, v5, v4, vcc
	v_mov_b32_dpp v6, v1 quad_perm:[1,0,3,2] row_mask:0xf bank_mask:0xf bound_ctrl:1
	v_and_b32_e32 v7, 1, v6
	v_mov_b32_dpp v4, v2 quad_perm:[1,0,3,2] row_mask:0xf bank_mask:0xf bound_ctrl:1
	v_mov_b32_dpp v5, v3 quad_perm:[1,0,3,2] row_mask:0xf bank_mask:0xf bound_ctrl:1
	v_cmp_eq_u32_e32 vcc, 1, v7
	s_and_saveexec_b64 s[8:9], vcc
; %bb.137:
	v_cmp_lt_i64_e32 vcc, v[2:3], v[4:5]
	v_cndmask_b32_e64 v6, v6, 1, s[0:1]
	s_and_b64 vcc, s[0:1], vcc
	v_cndmask_b32_e32 v2, v4, v2, vcc
	v_and_b32_e32 v4, 1, v6
	v_cndmask_b32_e32 v3, v5, v3, vcc
	v_cmp_eq_u32_e32 vcc, 1, v4
	s_andn2_b64 s[0:1], s[0:1], exec
	s_and_b64 s[16:17], vcc, exec
	v_and_b32_e32 v1, 0xff, v6
	s_or_b64 s[0:1], s[0:1], s[16:17]
; %bb.138:
	s_or_b64 exec, exec, s[8:9]
	v_mov_b32_dpp v6, v1 quad_perm:[2,3,0,1] row_mask:0xf bank_mask:0xf bound_ctrl:1
	v_and_b32_e32 v7, 1, v6
	v_mov_b32_dpp v4, v2 quad_perm:[2,3,0,1] row_mask:0xf bank_mask:0xf bound_ctrl:1
	v_mov_b32_dpp v5, v3 quad_perm:[2,3,0,1] row_mask:0xf bank_mask:0xf bound_ctrl:1
	v_cmp_eq_u32_e32 vcc, 1, v7
	s_and_saveexec_b64 s[8:9], vcc
; %bb.139:
	v_cmp_lt_i64_e32 vcc, v[2:3], v[4:5]
	v_cndmask_b32_e64 v6, v6, 1, s[0:1]
	s_and_b64 vcc, s[0:1], vcc
	v_cndmask_b32_e32 v2, v4, v2, vcc
	v_and_b32_e32 v4, 1, v6
	v_cndmask_b32_e32 v3, v5, v3, vcc
	v_cmp_eq_u32_e32 vcc, 1, v4
	s_andn2_b64 s[0:1], s[0:1], exec
	s_and_b64 s[16:17], vcc, exec
	v_and_b32_e32 v1, 0xff, v6
	s_or_b64 s[0:1], s[0:1], s[16:17]
; %bb.140:
	s_or_b64 exec, exec, s[8:9]
	v_mov_b32_dpp v6, v1 row_ror:4 row_mask:0xf bank_mask:0xf bound_ctrl:1
	v_and_b32_e32 v7, 1, v6
	v_mov_b32_dpp v4, v2 row_ror:4 row_mask:0xf bank_mask:0xf bound_ctrl:1
	v_mov_b32_dpp v5, v3 row_ror:4 row_mask:0xf bank_mask:0xf bound_ctrl:1
	v_cmp_eq_u32_e32 vcc, 1, v7
	s_and_saveexec_b64 s[8:9], vcc
; %bb.141:
	v_cmp_lt_i64_e32 vcc, v[2:3], v[4:5]
	v_cndmask_b32_e64 v6, v6, 1, s[0:1]
	s_and_b64 vcc, s[0:1], vcc
	v_cndmask_b32_e32 v2, v4, v2, vcc
	v_and_b32_e32 v4, 1, v6
	v_cndmask_b32_e32 v3, v5, v3, vcc
	v_cmp_eq_u32_e32 vcc, 1, v4
	s_andn2_b64 s[0:1], s[0:1], exec
	s_and_b64 s[16:17], vcc, exec
	v_and_b32_e32 v1, 0xff, v6
	s_or_b64 s[0:1], s[0:1], s[16:17]
; %bb.142:
	s_or_b64 exec, exec, s[8:9]
	v_mov_b32_dpp v6, v1 row_ror:8 row_mask:0xf bank_mask:0xf bound_ctrl:1
	v_and_b32_e32 v7, 1, v6
	v_mov_b32_dpp v4, v2 row_ror:8 row_mask:0xf bank_mask:0xf bound_ctrl:1
	v_mov_b32_dpp v5, v3 row_ror:8 row_mask:0xf bank_mask:0xf bound_ctrl:1
	v_cmp_eq_u32_e32 vcc, 1, v7
	s_and_saveexec_b64 s[8:9], vcc
; %bb.143:
	v_cmp_lt_i64_e32 vcc, v[2:3], v[4:5]
	v_cndmask_b32_e64 v6, v6, 1, s[0:1]
	s_and_b64 vcc, s[0:1], vcc
	v_cndmask_b32_e32 v2, v4, v2, vcc
	v_and_b32_e32 v4, 1, v6
	v_cndmask_b32_e32 v3, v5, v3, vcc
	v_cmp_eq_u32_e32 vcc, 1, v4
	s_andn2_b64 s[0:1], s[0:1], exec
	s_and_b64 s[16:17], vcc, exec
	v_and_b32_e32 v1, 0xff, v6
	s_or_b64 s[0:1], s[0:1], s[16:17]
; %bb.144:
	s_or_b64 exec, exec, s[8:9]
	v_mov_b32_dpp v6, v1 row_bcast:15 row_mask:0xf bank_mask:0xf bound_ctrl:1
	v_and_b32_e32 v7, 1, v6
	v_mov_b32_dpp v4, v2 row_bcast:15 row_mask:0xf bank_mask:0xf bound_ctrl:1
	v_mov_b32_dpp v5, v3 row_bcast:15 row_mask:0xf bank_mask:0xf bound_ctrl:1
	v_cmp_eq_u32_e32 vcc, 1, v7
	s_and_saveexec_b64 s[8:9], vcc
; %bb.145:
	v_cmp_lt_i64_e32 vcc, v[2:3], v[4:5]
	v_cndmask_b32_e64 v6, v6, 1, s[0:1]
	s_and_b64 vcc, s[0:1], vcc
	v_cndmask_b32_e32 v2, v4, v2, vcc
	v_and_b32_e32 v4, 1, v6
	v_cndmask_b32_e32 v3, v5, v3, vcc
	v_cmp_eq_u32_e32 vcc, 1, v4
	s_andn2_b64 s[0:1], s[0:1], exec
	s_and_b64 s[16:17], vcc, exec
	v_and_b32_e32 v1, 0xff, v6
	s_or_b64 s[0:1], s[0:1], s[16:17]
; %bb.146:
	s_or_b64 exec, exec, s[8:9]
	v_mov_b32_dpp v6, v1 row_bcast:31 row_mask:0xf bank_mask:0xf bound_ctrl:1
	v_and_b32_e32 v7, 1, v6
	v_mov_b32_dpp v4, v2 row_bcast:31 row_mask:0xf bank_mask:0xf bound_ctrl:1
	v_mov_b32_dpp v5, v3 row_bcast:31 row_mask:0xf bank_mask:0xf bound_ctrl:1
	v_cmp_eq_u32_e32 vcc, 1, v7
	s_and_saveexec_b64 s[8:9], vcc
; %bb.147:
	v_cmp_lt_i64_e32 vcc, v[2:3], v[4:5]
	v_and_b32_e32 v1, 0xff, v6
	s_and_b64 vcc, s[0:1], vcc
	v_cndmask_b32_e32 v2, v4, v2, vcc
	v_cndmask_b32_e32 v3, v5, v3, vcc
	v_cndmask_b32_e64 v1, v1, 1, s[0:1]
; %bb.148:
	s_or_b64 exec, exec, s[8:9]
	v_mbcnt_lo_u32_b32 v4, -1, 0
	v_mbcnt_hi_u32_b32 v4, -1, v4
	v_bfrev_b32_e32 v5, 0.5
	v_lshl_or_b32 v5, v4, 2, v5
	ds_bpermute_b32 v6, v5, v1
	ds_bpermute_b32 v2, v5, v2
	;; [unrolled: 1-line block ×3, first 2 shown]
	v_cmp_eq_u32_e32 vcc, 0, v4
	s_and_saveexec_b64 s[0:1], vcc
	s_cbranch_execz .LBB453_150
; %bb.149:
	v_lshrrev_b32_e32 v1, 2, v0
	v_and_b32_e32 v1, 48, v1
	s_waitcnt lgkmcnt(2)
	ds_write_b8 v1, v6 offset:64
	s_waitcnt lgkmcnt(1)
	ds_write_b64 v1, v[2:3] offset:72
.LBB453_150:
	s_or_b64 exec, exec, s[0:1]
	v_cmp_gt_u32_e32 vcc, 64, v0
	s_waitcnt lgkmcnt(0)
	s_barrier
	s_and_saveexec_b64 s[8:9], vcc
	s_cbranch_execz .LBB453_152
; %bb.151:
	v_and_b32_e32 v1, 3, v4
	v_lshlrev_b32_e32 v2, 4, v1
	ds_read_u8 v5, v2 offset:64
	ds_read_b64 v[2:3], v2 offset:72
	v_cmp_ne_u32_e32 vcc, 3, v1
	v_addc_co_u32_e32 v6, vcc, 0, v4, vcc
	s_waitcnt lgkmcnt(1)
	v_and_b32_e32 v7, 0xff, v5
	v_lshlrev_b32_e32 v8, 2, v6
	ds_bpermute_b32 v9, v8, v7
	s_waitcnt lgkmcnt(1)
	ds_bpermute_b32 v6, v8, v2
	ds_bpermute_b32 v7, v8, v3
	v_and_b32_e32 v8, 1, v5
	s_waitcnt lgkmcnt(2)
	v_and_b32_e32 v10, 1, v9
	v_cmp_eq_u32_e64 s[0:1], 1, v10
	s_waitcnt lgkmcnt(0)
	v_cmp_lt_i64_e32 vcc, v[6:7], v[2:3]
	s_and_b64 vcc, s[0:1], vcc
	v_cndmask_b32_e64 v5, v5, 1, s[0:1]
	v_cndmask_b32_e32 v2, v2, v6, vcc
	v_cndmask_b32_e32 v3, v3, v7, vcc
	v_cmp_eq_u32_e32 vcc, 1, v8
	v_cndmask_b32_e32 v8, v9, v5, vcc
	v_cndmask_b32_e32 v3, v7, v3, vcc
	;; [unrolled: 1-line block ×3, first 2 shown]
	v_cmp_gt_u32_e32 vcc, 2, v1
	v_cndmask_b32_e64 v1, 0, 1, vcc
	v_lshlrev_b32_e32 v1, 1, v1
	v_and_b32_e32 v5, 0xff, v8
	v_add_lshl_u32 v1, v1, v4, 2
	ds_bpermute_b32 v6, v1, v5
	ds_bpermute_b32 v4, v1, v2
	;; [unrolled: 1-line block ×3, first 2 shown]
	v_and_b32_e32 v1, 1, v8
	s_waitcnt lgkmcnt(2)
	v_and_b32_e32 v7, 1, v6
	v_cmp_eq_u32_e64 s[0:1], 1, v7
	s_waitcnt lgkmcnt(0)
	v_cmp_lt_i64_e32 vcc, v[4:5], v[2:3]
	s_and_b64 vcc, s[0:1], vcc
	v_cndmask_b32_e64 v7, v8, 1, s[0:1]
	v_cndmask_b32_e32 v2, v2, v4, vcc
	v_cndmask_b32_e32 v3, v3, v5, vcc
	v_cmp_eq_u32_e32 vcc, 1, v1
	v_cndmask_b32_e32 v1, v6, v7, vcc
	v_cndmask_b32_e32 v3, v5, v3, vcc
	;; [unrolled: 1-line block ×3, first 2 shown]
	v_and_b32_e32 v6, 0xff, v1
.LBB453_152:
	s_or_b64 exec, exec, s[8:9]
	s_branch .LBB453_183
.LBB453_153:
                                        ; implicit-def: $vgpr4_vgpr5
                                        ; implicit-def: $vgpr1
	s_cbranch_execnz .LBB453_188
	s_branch .LBB453_208
.LBB453_154:
                                        ; implicit-def: $vgpr4_vgpr5
                                        ; implicit-def: $vgpr1
	s_branch .LBB453_208
.LBB453_155:
                                        ; implicit-def: $vgpr2_vgpr3
                                        ; implicit-def: $vgpr6
	s_cbranch_execz .LBB453_183
; %bb.156:
	s_sub_i32 s14, s22, s14
	s_waitcnt lgkmcnt(0)
	v_pk_mov_b32 v[4:5], 0, 0
	v_cmp_gt_u32_e32 vcc, s14, v0
	v_mov_b32_e32 v1, 0
	v_pk_mov_b32 v[2:3], v[4:5], v[4:5] op_sel:[0,1]
	v_mov_b32_e32 v7, 0
	s_and_saveexec_b64 s[0:1], vcc
	s_cbranch_execz .LBB453_158
; %bb.157:
	global_load_ubyte v6, v0, s[2:3]
	v_mov_b32_e32 v3, s13
	v_add_co_u32_e32 v2, vcc, s12, v0
	v_addc_co_u32_e32 v3, vcc, 0, v3, vcc
	s_waitcnt vmcnt(0)
	v_cmp_eq_u16_sdwa s[8:9], v6, s31 src0_sel:DWORD src1_sel:BYTE_0
	v_cndmask_b32_e64 v7, 0, 1, s[8:9]
.LBB453_158:
	s_or_b64 exec, exec, s[0:1]
	v_or_b32_e32 v6, 0x100, v0
	v_cmp_gt_u32_e32 vcc, s14, v6
	s_and_saveexec_b64 s[8:9], vcc
	s_cbranch_execz .LBB453_160
; %bb.159:
	global_load_ubyte v1, v0, s[2:3] offset:256
	v_mov_b32_e32 v5, s13
	v_add_co_u32_e64 v4, s[0:1], s12, v6
	v_addc_co_u32_e64 v5, s[0:1], 0, v5, s[0:1]
	s_waitcnt vmcnt(0)
	v_cmp_eq_u16_sdwa s[0:1], v1, s31 src0_sel:DWORD src1_sel:BYTE_0
	v_cndmask_b32_e64 v1, 0, 1, s[0:1]
.LBB453_160:
	s_or_b64 exec, exec, s[8:9]
	s_and_saveexec_b64 s[2:3], vcc
	s_cbranch_execz .LBB453_162
; %bb.161:
	v_and_b32_e32 v8, 1, v1
	v_cmp_lt_i64_e32 vcc, v[4:5], v[2:3]
	v_cmp_eq_u32_e64 s[0:1], 1, v8
	v_and_b32_e32 v6, 1, v7
	s_and_b64 vcc, s[0:1], vcc
	v_cndmask_b32_e64 v7, v7, 1, s[0:1]
	v_cndmask_b32_e32 v2, v2, v4, vcc
	v_cndmask_b32_e32 v3, v3, v5, vcc
	v_cmp_eq_u32_e32 vcc, 1, v6
	v_cndmask_b32_e32 v7, v1, v7, vcc
	v_cndmask_b32_e32 v3, v5, v3, vcc
	;; [unrolled: 1-line block ×3, first 2 shown]
.LBB453_162:
	s_or_b64 exec, exec, s[2:3]
	v_mbcnt_lo_u32_b32 v1, -1, 0
	v_mbcnt_hi_u32_b32 v1, -1, v1
	v_and_b32_e32 v8, 63, v1
	v_cmp_ne_u32_e32 vcc, 63, v8
	v_addc_co_u32_e32 v4, vcc, 0, v1, vcc
	v_and_b32_e32 v6, 0xffff, v7
	v_lshlrev_b32_e32 v5, 2, v4
	ds_bpermute_b32 v10, v5, v6
	ds_bpermute_b32 v4, v5, v2
	;; [unrolled: 1-line block ×3, first 2 shown]
	s_min_u32 s8, s14, 0x100
	v_and_b32_e32 v9, 0xc0, v0
	v_sub_u32_e64 v9, s8, v9 clamp
	v_add_u32_e32 v11, 1, v8
	v_cmp_lt_u32_e32 vcc, v11, v9
	s_and_saveexec_b64 s[2:3], vcc
	s_cbranch_execz .LBB453_164
; %bb.163:
	s_waitcnt lgkmcnt(2)
	v_and_b32_e32 v11, 1, v10
	s_waitcnt lgkmcnt(0)
	v_cmp_lt_i64_e32 vcc, v[4:5], v[2:3]
	v_cmp_eq_u32_e64 s[0:1], 1, v11
	v_and_b32_e32 v6, 1, v7
	s_and_b64 vcc, s[0:1], vcc
	v_cndmask_b32_e64 v7, v7, 1, s[0:1]
	v_cndmask_b32_e32 v2, v2, v4, vcc
	v_cndmask_b32_e32 v3, v3, v5, vcc
	v_cmp_eq_u32_e32 vcc, 1, v6
	v_cndmask_b32_e32 v7, v10, v7, vcc
	v_cndmask_b32_e32 v3, v5, v3, vcc
	v_cndmask_b32_e32 v2, v4, v2, vcc
	v_and_b32_e32 v6, 0xff, v7
.LBB453_164:
	s_or_b64 exec, exec, s[2:3]
	v_cmp_gt_u32_e32 vcc, 62, v8
	s_waitcnt lgkmcnt(1)
	v_cndmask_b32_e64 v4, 0, 1, vcc
	v_lshlrev_b32_e32 v4, 1, v4
	s_waitcnt lgkmcnt(0)
	v_add_lshl_u32 v5, v4, v1, 2
	ds_bpermute_b32 v10, v5, v6
	ds_bpermute_b32 v4, v5, v2
	ds_bpermute_b32 v5, v5, v3
	v_add_u32_e32 v11, 2, v8
	v_cmp_lt_u32_e32 vcc, v11, v9
	s_and_saveexec_b64 s[2:3], vcc
	s_cbranch_execz .LBB453_166
; %bb.165:
	s_waitcnt lgkmcnt(2)
	v_and_b32_e32 v11, 1, v10
	s_waitcnt lgkmcnt(0)
	v_cmp_lt_i64_e32 vcc, v[4:5], v[2:3]
	v_cmp_eq_u32_e64 s[0:1], 1, v11
	v_and_b32_e32 v6, 1, v7
	s_and_b64 vcc, s[0:1], vcc
	v_cndmask_b32_e64 v7, v7, 1, s[0:1]
	v_cndmask_b32_e32 v2, v2, v4, vcc
	v_cndmask_b32_e32 v3, v3, v5, vcc
	v_cmp_eq_u32_e32 vcc, 1, v6
	v_cndmask_b32_e32 v7, v10, v7, vcc
	v_cndmask_b32_e32 v3, v5, v3, vcc
	v_cndmask_b32_e32 v2, v4, v2, vcc
	v_and_b32_e32 v6, 0xff, v7
.LBB453_166:
	s_or_b64 exec, exec, s[2:3]
	v_cmp_gt_u32_e32 vcc, 60, v8
	s_waitcnt lgkmcnt(1)
	v_cndmask_b32_e64 v4, 0, 1, vcc
	v_lshlrev_b32_e32 v4, 2, v4
	s_waitcnt lgkmcnt(0)
	v_add_lshl_u32 v5, v4, v1, 2
	ds_bpermute_b32 v10, v5, v6
	ds_bpermute_b32 v4, v5, v2
	ds_bpermute_b32 v5, v5, v3
	v_add_u32_e32 v11, 4, v8
	v_cmp_lt_u32_e32 vcc, v11, v9
	s_and_saveexec_b64 s[2:3], vcc
	s_cbranch_execz .LBB453_168
; %bb.167:
	s_waitcnt lgkmcnt(2)
	v_and_b32_e32 v11, 1, v10
	s_waitcnt lgkmcnt(0)
	v_cmp_lt_i64_e32 vcc, v[4:5], v[2:3]
	v_cmp_eq_u32_e64 s[0:1], 1, v11
	v_and_b32_e32 v6, 1, v7
	s_and_b64 vcc, s[0:1], vcc
	v_cndmask_b32_e64 v7, v7, 1, s[0:1]
	v_cndmask_b32_e32 v2, v2, v4, vcc
	v_cndmask_b32_e32 v3, v3, v5, vcc
	v_cmp_eq_u32_e32 vcc, 1, v6
	v_cndmask_b32_e32 v7, v10, v7, vcc
	v_cndmask_b32_e32 v3, v5, v3, vcc
	v_cndmask_b32_e32 v2, v4, v2, vcc
	v_and_b32_e32 v6, 0xff, v7
.LBB453_168:
	s_or_b64 exec, exec, s[2:3]
	v_cmp_gt_u32_e32 vcc, 56, v8
	s_waitcnt lgkmcnt(1)
	v_cndmask_b32_e64 v4, 0, 1, vcc
	v_lshlrev_b32_e32 v4, 3, v4
	s_waitcnt lgkmcnt(0)
	v_add_lshl_u32 v5, v4, v1, 2
	ds_bpermute_b32 v10, v5, v6
	ds_bpermute_b32 v4, v5, v2
	ds_bpermute_b32 v5, v5, v3
	v_add_u32_e32 v11, 8, v8
	v_cmp_lt_u32_e32 vcc, v11, v9
	s_and_saveexec_b64 s[2:3], vcc
	s_cbranch_execz .LBB453_170
; %bb.169:
	s_waitcnt lgkmcnt(2)
	v_and_b32_e32 v11, 1, v10
	s_waitcnt lgkmcnt(0)
	v_cmp_lt_i64_e32 vcc, v[4:5], v[2:3]
	v_cmp_eq_u32_e64 s[0:1], 1, v11
	v_and_b32_e32 v6, 1, v7
	s_and_b64 vcc, s[0:1], vcc
	v_cndmask_b32_e64 v7, v7, 1, s[0:1]
	v_cndmask_b32_e32 v2, v2, v4, vcc
	v_cndmask_b32_e32 v3, v3, v5, vcc
	v_cmp_eq_u32_e32 vcc, 1, v6
	v_cndmask_b32_e32 v7, v10, v7, vcc
	v_cndmask_b32_e32 v3, v5, v3, vcc
	v_cndmask_b32_e32 v2, v4, v2, vcc
	v_and_b32_e32 v6, 0xff, v7
.LBB453_170:
	s_or_b64 exec, exec, s[2:3]
	v_cmp_gt_u32_e32 vcc, 48, v8
	s_waitcnt lgkmcnt(1)
	v_cndmask_b32_e64 v4, 0, 1, vcc
	v_lshlrev_b32_e32 v4, 4, v4
	s_waitcnt lgkmcnt(0)
	v_add_lshl_u32 v5, v4, v1, 2
	ds_bpermute_b32 v10, v5, v6
	ds_bpermute_b32 v4, v5, v2
	ds_bpermute_b32 v5, v5, v3
	v_add_u32_e32 v11, 16, v8
	v_cmp_lt_u32_e32 vcc, v11, v9
	s_and_saveexec_b64 s[2:3], vcc
	s_cbranch_execz .LBB453_172
; %bb.171:
	s_waitcnt lgkmcnt(2)
	v_and_b32_e32 v11, 1, v10
	s_waitcnt lgkmcnt(0)
	v_cmp_lt_i64_e32 vcc, v[4:5], v[2:3]
	v_cmp_eq_u32_e64 s[0:1], 1, v11
	v_and_b32_e32 v6, 1, v7
	s_and_b64 vcc, s[0:1], vcc
	v_cndmask_b32_e64 v7, v7, 1, s[0:1]
	v_cndmask_b32_e32 v2, v2, v4, vcc
	v_cndmask_b32_e32 v3, v3, v5, vcc
	v_cmp_eq_u32_e32 vcc, 1, v6
	v_cndmask_b32_e32 v7, v10, v7, vcc
	v_cndmask_b32_e32 v3, v5, v3, vcc
	v_cndmask_b32_e32 v2, v4, v2, vcc
	v_and_b32_e32 v6, 0xff, v7
.LBB453_172:
	s_or_b64 exec, exec, s[2:3]
	v_cmp_gt_u32_e32 vcc, 32, v8
	s_waitcnt lgkmcnt(1)
	v_cndmask_b32_e64 v4, 0, 1, vcc
	v_lshlrev_b32_e32 v4, 5, v4
	s_waitcnt lgkmcnt(0)
	v_add_lshl_u32 v5, v4, v1, 2
	ds_bpermute_b32 v10, v5, v6
	ds_bpermute_b32 v4, v5, v2
	ds_bpermute_b32 v5, v5, v3
	v_add_u32_e32 v8, 32, v8
	v_cmp_lt_u32_e32 vcc, v8, v9
	s_and_saveexec_b64 s[2:3], vcc
	s_cbranch_execz .LBB453_174
; %bb.173:
	s_waitcnt lgkmcnt(2)
	v_and_b32_e32 v8, 1, v10
	s_waitcnt lgkmcnt(0)
	v_cmp_lt_i64_e32 vcc, v[4:5], v[2:3]
	v_cmp_eq_u32_e64 s[0:1], 1, v8
	v_and_b32_e32 v6, 1, v7
	s_and_b64 vcc, s[0:1], vcc
	v_cndmask_b32_e64 v7, v7, 1, s[0:1]
	v_cndmask_b32_e32 v2, v2, v4, vcc
	v_cndmask_b32_e32 v3, v3, v5, vcc
	v_cmp_eq_u32_e32 vcc, 1, v6
	v_cndmask_b32_e32 v7, v10, v7, vcc
	v_cndmask_b32_e32 v3, v5, v3, vcc
	;; [unrolled: 1-line block ×3, first 2 shown]
	v_and_b32_e32 v6, 0xff, v7
.LBB453_174:
	s_or_b64 exec, exec, s[2:3]
	v_cmp_eq_u32_e32 vcc, 0, v1
	s_and_saveexec_b64 s[0:1], vcc
	s_cbranch_execz .LBB453_176
; %bb.175:
	s_waitcnt lgkmcnt(1)
	v_lshrrev_b32_e32 v4, 2, v0
	v_and_b32_e32 v4, 48, v4
	ds_write_b8 v4, v7 offset:256
	ds_write_b64 v4, v[2:3] offset:264
.LBB453_176:
	s_or_b64 exec, exec, s[0:1]
	v_cmp_gt_u32_e32 vcc, 4, v0
	s_waitcnt lgkmcnt(0)
	s_barrier
	s_and_saveexec_b64 s[2:3], vcc
	s_cbranch_execz .LBB453_182
; %bb.177:
	v_lshlrev_b32_e32 v2, 4, v1
	ds_read_u8 v7, v2 offset:256
	ds_read_b64 v[2:3], v2 offset:264
	v_and_b32_e32 v8, 3, v1
	v_cmp_ne_u32_e32 vcc, 3, v8
	v_addc_co_u32_e32 v4, vcc, 0, v1, vcc
	s_waitcnt lgkmcnt(1)
	v_and_b32_e32 v6, 0xff, v7
	v_lshlrev_b32_e32 v5, 2, v4
	ds_bpermute_b32 v9, v5, v6
	s_waitcnt lgkmcnt(1)
	ds_bpermute_b32 v4, v5, v2
	ds_bpermute_b32 v5, v5, v3
	s_add_i32 s8, s8, 63
	s_lshr_b32 s12, s8, 6
	v_add_u32_e32 v10, 1, v8
	v_cmp_gt_u32_e32 vcc, s12, v10
	s_and_saveexec_b64 s[8:9], vcc
	s_cbranch_execz .LBB453_179
; %bb.178:
	s_waitcnt lgkmcnt(2)
	v_and_b32_e32 v10, 1, v9
	s_waitcnt lgkmcnt(0)
	v_cmp_lt_i64_e32 vcc, v[4:5], v[2:3]
	v_cmp_eq_u32_e64 s[0:1], 1, v10
	v_and_b32_e32 v6, 1, v7
	s_and_b64 vcc, s[0:1], vcc
	v_cndmask_b32_e64 v7, v7, 1, s[0:1]
	v_cndmask_b32_e32 v2, v2, v4, vcc
	v_cndmask_b32_e32 v3, v3, v5, vcc
	v_cmp_eq_u32_e32 vcc, 1, v6
	v_cndmask_b32_e32 v7, v9, v7, vcc
	v_cndmask_b32_e32 v3, v5, v3, vcc
	;; [unrolled: 1-line block ×3, first 2 shown]
	v_and_b32_e32 v6, 0xff, v7
.LBB453_179:
	s_or_b64 exec, exec, s[8:9]
	v_cmp_gt_u32_e32 vcc, 2, v8
	s_waitcnt lgkmcnt(1)
	v_cndmask_b32_e64 v4, 0, 1, vcc
	v_lshlrev_b32_e32 v4, 1, v4
	s_waitcnt lgkmcnt(0)
	v_add_lshl_u32 v5, v4, v1, 2
	ds_bpermute_b32 v1, v5, v6
	ds_bpermute_b32 v4, v5, v2
	;; [unrolled: 1-line block ×3, first 2 shown]
	v_add_u32_e32 v8, 2, v8
	v_cmp_gt_u32_e32 vcc, s12, v8
	s_and_saveexec_b64 s[8:9], vcc
	s_cbranch_execz .LBB453_181
; %bb.180:
	s_waitcnt lgkmcnt(2)
	v_and_b32_e32 v8, 1, v1
	s_waitcnt lgkmcnt(0)
	v_cmp_lt_i64_e32 vcc, v[4:5], v[2:3]
	v_cmp_eq_u32_e64 s[0:1], 1, v8
	v_and_b32_e32 v6, 1, v7
	s_and_b64 vcc, s[0:1], vcc
	v_cndmask_b32_e64 v7, v7, 1, s[0:1]
	v_cndmask_b32_e32 v2, v2, v4, vcc
	v_cndmask_b32_e32 v3, v3, v5, vcc
	v_cmp_eq_u32_e32 vcc, 1, v6
	v_cndmask_b32_e32 v1, v1, v7, vcc
	v_cndmask_b32_e32 v3, v5, v3, vcc
	;; [unrolled: 1-line block ×3, first 2 shown]
	v_and_b32_e32 v6, 0xff, v1
.LBB453_181:
	s_or_b64 exec, exec, s[8:9]
.LBB453_182:
	s_or_b64 exec, exec, s[2:3]
.LBB453_183:
	v_cmp_eq_u32_e32 vcc, 0, v0
                                        ; implicit-def: $vgpr4_vgpr5
                                        ; implicit-def: $vgpr1
	s_and_saveexec_b64 s[0:1], vcc
	s_xor_b64 s[8:9], exec, s[0:1]
	s_cbranch_execz .LBB453_187
; %bb.184:
	s_cmp_eq_u64 s[22:23], 0
	s_waitcnt lgkmcnt(0)
	v_pk_mov_b32 v[4:5], s[18:19], s[18:19] op_sel:[0,1]
	v_mov_b32_e32 v1, s30
	s_cbranch_scc1 .LBB453_186
; %bb.185:
	v_and_b32_e32 v1, 1, v6
	s_bitcmp1_b32 s30, 0
	v_mov_b32_e32 v4, s30
	v_cmp_eq_u32_e32 vcc, 1, v1
	v_cmp_gt_i64_e64 s[2:3], s[18:19], v[2:3]
	v_cndmask_b32_e64 v1, v4, 1, vcc
	s_cselect_b64 s[0:1], -1, 0
	v_mov_b32_e32 v4, s18
	s_and_b64 vcc, vcc, s[2:3]
	v_mov_b32_e32 v5, s19
	v_cndmask_b32_e32 v4, v4, v2, vcc
	v_cndmask_b32_e32 v5, v5, v3, vcc
	v_cndmask_b32_e64 v1, v6, v1, s[0:1]
	v_cndmask_b32_e64 v5, v3, v5, s[0:1]
	;; [unrolled: 1-line block ×3, first 2 shown]
.LBB453_186:
	s_or_b64 s[10:11], s[10:11], exec
.LBB453_187:
	s_or_b64 exec, exec, s[8:9]
	s_branch .LBB453_208
.LBB453_188:
	s_cmp_eq_u32 s33, 1
	s_cbranch_scc0 .LBB453_207
; %bb.189:
	s_lshl_b32 s8, s6, 8
	s_mov_b32 s7, 0
	s_lshr_b64 s[0:1], s[22:23], 8
	s_cmp_lg_u64 s[0:1], s[6:7]
	s_cbranch_scc0 .LBB453_211
; %bb.190:
	s_add_u32 s0, s24, s8
	s_addc_u32 s1, s25, 0
	s_waitcnt lgkmcnt(2)
	global_load_ubyte v1, v0, s[0:1]
	s_add_u32 s0, s20, s8
	s_addc_u32 s1, s21, 0
	v_mov_b32_e32 v3, s1
	v_add_co_u32_e32 v2, vcc, s0, v0
	v_addc_co_u32_e32 v3, vcc, 0, v3, vcc
	s_waitcnt lgkmcnt(1)
	v_mov_b32_dpp v4, v2 quad_perm:[1,0,3,2] row_mask:0xf bank_mask:0xf bound_ctrl:1
	s_waitcnt lgkmcnt(0)
	v_mov_b32_dpp v5, v3 quad_perm:[1,0,3,2] row_mask:0xf bank_mask:0xf bound_ctrl:1
	s_waitcnt vmcnt(0)
	v_cmp_eq_u16_sdwa s[2:3], v1, s31 src0_sel:DWORD src1_sel:BYTE_0
	v_cndmask_b32_e64 v1, 0, 1, s[2:3]
	v_cndmask_b32_e64 v6, 0, 1, s[2:3]
	s_nop 0
	v_mov_b32_dpp v1, v1 quad_perm:[1,0,3,2] row_mask:0xf bank_mask:0xf bound_ctrl:1
	v_and_b32_e32 v7, 1, v1
	v_cmp_eq_u32_e32 vcc, 1, v7
	s_and_saveexec_b64 s[0:1], vcc
; %bb.191:
	v_cmp_lt_i64_e32 vcc, v[2:3], v[4:5]
	s_and_b64 vcc, s[2:3], vcc
	v_cndmask_b32_e64 v6, v1, 1, s[2:3]
	v_cndmask_b32_e32 v3, v5, v3, vcc
	v_cndmask_b32_e32 v2, v4, v2, vcc
; %bb.192:
	s_or_b64 exec, exec, s[0:1]
	v_and_b32_e32 v1, 0xff, v6
	v_and_b32_e32 v6, 1, v6
	v_mov_b32_dpp v4, v2 quad_perm:[2,3,0,1] row_mask:0xf bank_mask:0xf bound_ctrl:1
	v_mov_b32_dpp v7, v1 quad_perm:[2,3,0,1] row_mask:0xf bank_mask:0xf bound_ctrl:1
	v_and_b32_e32 v8, 1, v7
	v_mov_b32_dpp v5, v3 quad_perm:[2,3,0,1] row_mask:0xf bank_mask:0xf bound_ctrl:1
	v_cmp_eq_u32_e32 vcc, 1, v8
	v_cmp_eq_u32_e64 s[0:1], 1, v6
	s_and_saveexec_b64 s[2:3], vcc
; %bb.193:
	v_cmp_lt_i64_e32 vcc, v[2:3], v[4:5]
	v_cndmask_b32_e64 v6, v7, 1, s[0:1]
	s_and_b64 vcc, s[0:1], vcc
	v_cndmask_b32_e32 v2, v4, v2, vcc
	v_and_b32_e32 v4, 1, v6
	v_cndmask_b32_e32 v3, v5, v3, vcc
	v_cmp_eq_u32_e32 vcc, 1, v4
	s_andn2_b64 s[0:1], s[0:1], exec
	s_and_b64 s[12:13], vcc, exec
	v_and_b32_e32 v1, 0xff, v6
	s_or_b64 s[0:1], s[0:1], s[12:13]
; %bb.194:
	s_or_b64 exec, exec, s[2:3]
	v_mov_b32_dpp v6, v1 row_ror:4 row_mask:0xf bank_mask:0xf bound_ctrl:1
	v_and_b32_e32 v7, 1, v6
	v_mov_b32_dpp v4, v2 row_ror:4 row_mask:0xf bank_mask:0xf bound_ctrl:1
	v_mov_b32_dpp v5, v3 row_ror:4 row_mask:0xf bank_mask:0xf bound_ctrl:1
	v_cmp_eq_u32_e32 vcc, 1, v7
	s_and_saveexec_b64 s[2:3], vcc
; %bb.195:
	v_cmp_lt_i64_e32 vcc, v[2:3], v[4:5]
	v_cndmask_b32_e64 v6, v6, 1, s[0:1]
	s_and_b64 vcc, s[0:1], vcc
	v_cndmask_b32_e32 v2, v4, v2, vcc
	v_and_b32_e32 v4, 1, v6
	v_cndmask_b32_e32 v3, v5, v3, vcc
	v_cmp_eq_u32_e32 vcc, 1, v4
	s_andn2_b64 s[0:1], s[0:1], exec
	s_and_b64 s[12:13], vcc, exec
	v_and_b32_e32 v1, 0xff, v6
	s_or_b64 s[0:1], s[0:1], s[12:13]
; %bb.196:
	s_or_b64 exec, exec, s[2:3]
	v_mov_b32_dpp v6, v1 row_ror:8 row_mask:0xf bank_mask:0xf bound_ctrl:1
	v_and_b32_e32 v7, 1, v6
	v_mov_b32_dpp v4, v2 row_ror:8 row_mask:0xf bank_mask:0xf bound_ctrl:1
	v_mov_b32_dpp v5, v3 row_ror:8 row_mask:0xf bank_mask:0xf bound_ctrl:1
	v_cmp_eq_u32_e32 vcc, 1, v7
	s_and_saveexec_b64 s[2:3], vcc
; %bb.197:
	v_cmp_lt_i64_e32 vcc, v[2:3], v[4:5]
	v_cndmask_b32_e64 v6, v6, 1, s[0:1]
	s_and_b64 vcc, s[0:1], vcc
	v_cndmask_b32_e32 v2, v4, v2, vcc
	v_and_b32_e32 v4, 1, v6
	v_cndmask_b32_e32 v3, v5, v3, vcc
	v_cmp_eq_u32_e32 vcc, 1, v4
	s_andn2_b64 s[0:1], s[0:1], exec
	s_and_b64 s[12:13], vcc, exec
	v_and_b32_e32 v1, 0xff, v6
	s_or_b64 s[0:1], s[0:1], s[12:13]
; %bb.198:
	s_or_b64 exec, exec, s[2:3]
	v_mov_b32_dpp v6, v1 row_bcast:15 row_mask:0xf bank_mask:0xf bound_ctrl:1
	v_and_b32_e32 v7, 1, v6
	v_mov_b32_dpp v4, v2 row_bcast:15 row_mask:0xf bank_mask:0xf bound_ctrl:1
	v_mov_b32_dpp v5, v3 row_bcast:15 row_mask:0xf bank_mask:0xf bound_ctrl:1
	v_cmp_eq_u32_e32 vcc, 1, v7
	s_and_saveexec_b64 s[2:3], vcc
; %bb.199:
	v_cmp_lt_i64_e32 vcc, v[2:3], v[4:5]
	v_cndmask_b32_e64 v6, v6, 1, s[0:1]
	s_and_b64 vcc, s[0:1], vcc
	v_cndmask_b32_e32 v2, v4, v2, vcc
	v_and_b32_e32 v4, 1, v6
	v_cndmask_b32_e32 v3, v5, v3, vcc
	v_cmp_eq_u32_e32 vcc, 1, v4
	s_andn2_b64 s[0:1], s[0:1], exec
	s_and_b64 s[12:13], vcc, exec
	v_and_b32_e32 v1, 0xff, v6
	s_or_b64 s[0:1], s[0:1], s[12:13]
; %bb.200:
	s_or_b64 exec, exec, s[2:3]
	v_mov_b32_dpp v6, v1 row_bcast:31 row_mask:0xf bank_mask:0xf bound_ctrl:1
	v_and_b32_e32 v7, 1, v6
	v_mov_b32_dpp v4, v2 row_bcast:31 row_mask:0xf bank_mask:0xf bound_ctrl:1
	v_mov_b32_dpp v5, v3 row_bcast:31 row_mask:0xf bank_mask:0xf bound_ctrl:1
	v_cmp_eq_u32_e32 vcc, 1, v7
	s_and_saveexec_b64 s[2:3], vcc
; %bb.201:
	v_cmp_lt_i64_e32 vcc, v[2:3], v[4:5]
	v_and_b32_e32 v1, 0xff, v6
	s_and_b64 vcc, s[0:1], vcc
	v_cndmask_b32_e32 v2, v4, v2, vcc
	v_cndmask_b32_e32 v3, v5, v3, vcc
	v_cndmask_b32_e64 v1, v1, 1, s[0:1]
; %bb.202:
	s_or_b64 exec, exec, s[2:3]
	v_mbcnt_lo_u32_b32 v4, -1, 0
	v_mbcnt_hi_u32_b32 v4, -1, v4
	v_bfrev_b32_e32 v5, 0.5
	v_lshl_or_b32 v5, v4, 2, v5
	ds_bpermute_b32 v6, v5, v1
	ds_bpermute_b32 v2, v5, v2
	;; [unrolled: 1-line block ×3, first 2 shown]
	v_cmp_eq_u32_e32 vcc, 0, v4
	s_and_saveexec_b64 s[0:1], vcc
	s_cbranch_execz .LBB453_204
; %bb.203:
	v_lshrrev_b32_e32 v1, 2, v0
	v_and_b32_e32 v1, 48, v1
	s_waitcnt lgkmcnt(2)
	ds_write_b8 v1, v6
	s_waitcnt lgkmcnt(1)
	ds_write_b64 v1, v[2:3] offset:8
.LBB453_204:
	s_or_b64 exec, exec, s[0:1]
	v_cmp_gt_u32_e32 vcc, 64, v0
	s_waitcnt lgkmcnt(0)
	s_barrier
	s_and_saveexec_b64 s[2:3], vcc
	s_cbranch_execz .LBB453_206
; %bb.205:
	v_and_b32_e32 v1, 3, v4
	v_lshlrev_b32_e32 v2, 4, v1
	ds_read_u8 v5, v2
	ds_read_b64 v[2:3], v2 offset:8
	v_cmp_ne_u32_e32 vcc, 3, v1
	v_addc_co_u32_e32 v6, vcc, 0, v4, vcc
	s_waitcnt lgkmcnt(1)
	v_and_b32_e32 v7, 0xff, v5
	v_lshlrev_b32_e32 v8, 2, v6
	ds_bpermute_b32 v9, v8, v7
	s_waitcnt lgkmcnt(1)
	ds_bpermute_b32 v6, v8, v2
	ds_bpermute_b32 v7, v8, v3
	v_and_b32_e32 v8, 1, v5
	s_waitcnt lgkmcnt(2)
	v_and_b32_e32 v10, 1, v9
	v_cmp_eq_u32_e64 s[0:1], 1, v10
	s_waitcnt lgkmcnt(0)
	v_cmp_lt_i64_e32 vcc, v[6:7], v[2:3]
	s_and_b64 vcc, s[0:1], vcc
	v_cndmask_b32_e64 v5, v5, 1, s[0:1]
	v_cndmask_b32_e32 v2, v2, v6, vcc
	v_cndmask_b32_e32 v3, v3, v7, vcc
	v_cmp_eq_u32_e32 vcc, 1, v8
	v_cndmask_b32_e32 v8, v9, v5, vcc
	v_cndmask_b32_e32 v3, v7, v3, vcc
	;; [unrolled: 1-line block ×3, first 2 shown]
	v_cmp_gt_u32_e32 vcc, 2, v1
	v_cndmask_b32_e64 v1, 0, 1, vcc
	v_lshlrev_b32_e32 v1, 1, v1
	v_and_b32_e32 v5, 0xff, v8
	v_add_lshl_u32 v1, v1, v4, 2
	ds_bpermute_b32 v6, v1, v5
	ds_bpermute_b32 v4, v1, v2
	;; [unrolled: 1-line block ×3, first 2 shown]
	v_and_b32_e32 v1, 1, v8
	s_waitcnt lgkmcnt(2)
	v_and_b32_e32 v7, 1, v6
	v_cmp_eq_u32_e64 s[0:1], 1, v7
	s_waitcnt lgkmcnt(0)
	v_cmp_lt_i64_e32 vcc, v[4:5], v[2:3]
	s_and_b64 vcc, s[0:1], vcc
	v_cndmask_b32_e64 v7, v8, 1, s[0:1]
	v_cndmask_b32_e32 v2, v2, v4, vcc
	v_cndmask_b32_e32 v3, v3, v5, vcc
	v_cmp_eq_u32_e32 vcc, 1, v1
	v_cndmask_b32_e32 v1, v6, v7, vcc
	v_cndmask_b32_e32 v3, v5, v3, vcc
	;; [unrolled: 1-line block ×3, first 2 shown]
	v_and_b32_e32 v6, 0xff, v1
.LBB453_206:
	s_or_b64 exec, exec, s[2:3]
	s_branch .LBB453_235
.LBB453_207:
                                        ; implicit-def: $vgpr4_vgpr5
                                        ; implicit-def: $vgpr1
                                        ; implicit-def: $sgpr6_sgpr7
.LBB453_208:
	s_and_saveexec_b64 s[0:1], s[10:11]
	s_cbranch_execz .LBB453_210
.LBB453_209:
	s_load_dwordx2 s[0:1], s[4:5], 0x28
	s_lshl_b64 s[2:3], s[6:7], 4
	v_mov_b32_e32 v0, 0
	s_waitcnt lgkmcnt(0)
	s_add_u32 s0, s0, s2
	s_addc_u32 s1, s1, s3
	global_store_byte v0, v1, s[0:1]
	global_store_dwordx2 v0, v[4:5], s[0:1] offset:8
.LBB453_210:
	s_endpgm
.LBB453_211:
                                        ; implicit-def: $vgpr2_vgpr3
                                        ; implicit-def: $vgpr6
	s_cbranch_execz .LBB453_235
; %bb.212:
	s_sub_i32 s2, s22, s8
	v_cmp_gt_u32_e32 vcc, s2, v0
	v_pk_mov_b32 v[2:3], 0, 0
	v_mov_b32_e32 v7, 0
	s_and_saveexec_b64 s[0:1], vcc
	s_cbranch_execz .LBB453_214
; %bb.213:
	s_add_u32 s3, s20, s8
	s_addc_u32 s12, s21, 0
	s_add_u32 s8, s24, s8
	s_addc_u32 s9, s25, 0
	s_waitcnt lgkmcnt(2)
	global_load_ubyte v1, v0, s[8:9]
	v_mov_b32_e32 v3, s12
	v_add_co_u32_e32 v2, vcc, s3, v0
	v_addc_co_u32_e32 v3, vcc, 0, v3, vcc
	s_waitcnt vmcnt(0)
	v_cmp_eq_u16_sdwa s[8:9], v1, s31 src0_sel:DWORD src1_sel:BYTE_0
	v_cndmask_b32_e64 v7, 0, 1, s[8:9]
.LBB453_214:
	s_or_b64 exec, exec, s[0:1]
	s_waitcnt lgkmcnt(2)
	v_mbcnt_lo_u32_b32 v1, -1, 0
	v_mbcnt_hi_u32_b32 v1, -1, v1
	v_and_b32_e32 v8, 63, v1
	v_cmp_ne_u32_e32 vcc, 63, v8
	s_waitcnt lgkmcnt(1)
	v_addc_co_u32_e32 v4, vcc, 0, v1, vcc
	v_and_b32_e32 v6, 0xffff, v7
	s_waitcnt lgkmcnt(0)
	v_lshlrev_b32_e32 v5, 2, v4
	ds_bpermute_b32 v10, v5, v6
	ds_bpermute_b32 v4, v5, v2
	;; [unrolled: 1-line block ×3, first 2 shown]
	s_min_u32 s8, s2, 0x100
	v_and_b32_e32 v9, 0xc0, v0
	v_sub_u32_e64 v9, s8, v9 clamp
	v_add_u32_e32 v11, 1, v8
	v_cmp_lt_u32_e32 vcc, v11, v9
	s_and_saveexec_b64 s[2:3], vcc
	s_cbranch_execz .LBB453_216
; %bb.215:
	s_waitcnt lgkmcnt(2)
	v_and_b32_e32 v11, 1, v10
	s_waitcnt lgkmcnt(0)
	v_cmp_lt_i64_e32 vcc, v[4:5], v[2:3]
	v_cmp_eq_u32_e64 s[0:1], 1, v11
	v_and_b32_e32 v6, 1, v7
	s_and_b64 vcc, s[0:1], vcc
	v_cndmask_b32_e64 v7, v7, 1, s[0:1]
	v_cndmask_b32_e32 v2, v2, v4, vcc
	v_cndmask_b32_e32 v3, v3, v5, vcc
	v_cmp_eq_u32_e32 vcc, 1, v6
	v_cndmask_b32_e32 v7, v10, v7, vcc
	v_cndmask_b32_e32 v3, v5, v3, vcc
	v_cndmask_b32_e32 v2, v4, v2, vcc
	v_and_b32_e32 v6, 0xff, v7
.LBB453_216:
	s_or_b64 exec, exec, s[2:3]
	v_cmp_gt_u32_e32 vcc, 62, v8
	s_waitcnt lgkmcnt(1)
	v_cndmask_b32_e64 v4, 0, 1, vcc
	v_lshlrev_b32_e32 v4, 1, v4
	s_waitcnt lgkmcnt(0)
	v_add_lshl_u32 v5, v4, v1, 2
	ds_bpermute_b32 v10, v5, v6
	ds_bpermute_b32 v4, v5, v2
	ds_bpermute_b32 v5, v5, v3
	v_add_u32_e32 v11, 2, v8
	v_cmp_lt_u32_e32 vcc, v11, v9
	s_and_saveexec_b64 s[2:3], vcc
	s_cbranch_execz .LBB453_218
; %bb.217:
	s_waitcnt lgkmcnt(2)
	v_and_b32_e32 v11, 1, v10
	s_waitcnt lgkmcnt(0)
	v_cmp_lt_i64_e32 vcc, v[4:5], v[2:3]
	v_cmp_eq_u32_e64 s[0:1], 1, v11
	v_and_b32_e32 v6, 1, v7
	s_and_b64 vcc, s[0:1], vcc
	v_cndmask_b32_e64 v7, v7, 1, s[0:1]
	v_cndmask_b32_e32 v2, v2, v4, vcc
	v_cndmask_b32_e32 v3, v3, v5, vcc
	v_cmp_eq_u32_e32 vcc, 1, v6
	v_cndmask_b32_e32 v7, v10, v7, vcc
	v_cndmask_b32_e32 v3, v5, v3, vcc
	v_cndmask_b32_e32 v2, v4, v2, vcc
	v_and_b32_e32 v6, 0xff, v7
.LBB453_218:
	s_or_b64 exec, exec, s[2:3]
	v_cmp_gt_u32_e32 vcc, 60, v8
	s_waitcnt lgkmcnt(1)
	v_cndmask_b32_e64 v4, 0, 1, vcc
	v_lshlrev_b32_e32 v4, 2, v4
	s_waitcnt lgkmcnt(0)
	v_add_lshl_u32 v5, v4, v1, 2
	ds_bpermute_b32 v10, v5, v6
	ds_bpermute_b32 v4, v5, v2
	ds_bpermute_b32 v5, v5, v3
	v_add_u32_e32 v11, 4, v8
	v_cmp_lt_u32_e32 vcc, v11, v9
	s_and_saveexec_b64 s[2:3], vcc
	s_cbranch_execz .LBB453_220
; %bb.219:
	s_waitcnt lgkmcnt(2)
	v_and_b32_e32 v11, 1, v10
	s_waitcnt lgkmcnt(0)
	v_cmp_lt_i64_e32 vcc, v[4:5], v[2:3]
	v_cmp_eq_u32_e64 s[0:1], 1, v11
	v_and_b32_e32 v6, 1, v7
	s_and_b64 vcc, s[0:1], vcc
	v_cndmask_b32_e64 v7, v7, 1, s[0:1]
	v_cndmask_b32_e32 v2, v2, v4, vcc
	v_cndmask_b32_e32 v3, v3, v5, vcc
	v_cmp_eq_u32_e32 vcc, 1, v6
	v_cndmask_b32_e32 v7, v10, v7, vcc
	v_cndmask_b32_e32 v3, v5, v3, vcc
	v_cndmask_b32_e32 v2, v4, v2, vcc
	v_and_b32_e32 v6, 0xff, v7
.LBB453_220:
	s_or_b64 exec, exec, s[2:3]
	v_cmp_gt_u32_e32 vcc, 56, v8
	s_waitcnt lgkmcnt(1)
	v_cndmask_b32_e64 v4, 0, 1, vcc
	v_lshlrev_b32_e32 v4, 3, v4
	s_waitcnt lgkmcnt(0)
	v_add_lshl_u32 v5, v4, v1, 2
	ds_bpermute_b32 v10, v5, v6
	ds_bpermute_b32 v4, v5, v2
	ds_bpermute_b32 v5, v5, v3
	v_add_u32_e32 v11, 8, v8
	v_cmp_lt_u32_e32 vcc, v11, v9
	s_and_saveexec_b64 s[2:3], vcc
	s_cbranch_execz .LBB453_222
; %bb.221:
	s_waitcnt lgkmcnt(2)
	v_and_b32_e32 v11, 1, v10
	s_waitcnt lgkmcnt(0)
	v_cmp_lt_i64_e32 vcc, v[4:5], v[2:3]
	v_cmp_eq_u32_e64 s[0:1], 1, v11
	v_and_b32_e32 v6, 1, v7
	s_and_b64 vcc, s[0:1], vcc
	v_cndmask_b32_e64 v7, v7, 1, s[0:1]
	v_cndmask_b32_e32 v2, v2, v4, vcc
	v_cndmask_b32_e32 v3, v3, v5, vcc
	v_cmp_eq_u32_e32 vcc, 1, v6
	v_cndmask_b32_e32 v7, v10, v7, vcc
	v_cndmask_b32_e32 v3, v5, v3, vcc
	v_cndmask_b32_e32 v2, v4, v2, vcc
	v_and_b32_e32 v6, 0xff, v7
.LBB453_222:
	s_or_b64 exec, exec, s[2:3]
	v_cmp_gt_u32_e32 vcc, 48, v8
	s_waitcnt lgkmcnt(1)
	v_cndmask_b32_e64 v4, 0, 1, vcc
	v_lshlrev_b32_e32 v4, 4, v4
	s_waitcnt lgkmcnt(0)
	v_add_lshl_u32 v5, v4, v1, 2
	ds_bpermute_b32 v10, v5, v6
	ds_bpermute_b32 v4, v5, v2
	ds_bpermute_b32 v5, v5, v3
	v_add_u32_e32 v11, 16, v8
	v_cmp_lt_u32_e32 vcc, v11, v9
	s_and_saveexec_b64 s[2:3], vcc
	s_cbranch_execz .LBB453_224
; %bb.223:
	s_waitcnt lgkmcnt(2)
	v_and_b32_e32 v11, 1, v10
	s_waitcnt lgkmcnt(0)
	v_cmp_lt_i64_e32 vcc, v[4:5], v[2:3]
	v_cmp_eq_u32_e64 s[0:1], 1, v11
	v_and_b32_e32 v6, 1, v7
	s_and_b64 vcc, s[0:1], vcc
	v_cndmask_b32_e64 v7, v7, 1, s[0:1]
	v_cndmask_b32_e32 v2, v2, v4, vcc
	v_cndmask_b32_e32 v3, v3, v5, vcc
	v_cmp_eq_u32_e32 vcc, 1, v6
	v_cndmask_b32_e32 v7, v10, v7, vcc
	v_cndmask_b32_e32 v3, v5, v3, vcc
	v_cndmask_b32_e32 v2, v4, v2, vcc
	v_and_b32_e32 v6, 0xff, v7
.LBB453_224:
	s_or_b64 exec, exec, s[2:3]
	v_cmp_gt_u32_e32 vcc, 32, v8
	s_waitcnt lgkmcnt(1)
	v_cndmask_b32_e64 v4, 0, 1, vcc
	v_lshlrev_b32_e32 v4, 5, v4
	s_waitcnt lgkmcnt(0)
	v_add_lshl_u32 v5, v4, v1, 2
	ds_bpermute_b32 v10, v5, v6
	ds_bpermute_b32 v4, v5, v2
	ds_bpermute_b32 v5, v5, v3
	v_add_u32_e32 v8, 32, v8
	v_cmp_lt_u32_e32 vcc, v8, v9
	s_and_saveexec_b64 s[2:3], vcc
	s_cbranch_execz .LBB453_226
; %bb.225:
	s_waitcnt lgkmcnt(2)
	v_and_b32_e32 v8, 1, v10
	s_waitcnt lgkmcnt(0)
	v_cmp_lt_i64_e32 vcc, v[4:5], v[2:3]
	v_cmp_eq_u32_e64 s[0:1], 1, v8
	v_and_b32_e32 v6, 1, v7
	s_and_b64 vcc, s[0:1], vcc
	v_cndmask_b32_e64 v7, v7, 1, s[0:1]
	v_cndmask_b32_e32 v2, v2, v4, vcc
	v_cndmask_b32_e32 v3, v3, v5, vcc
	v_cmp_eq_u32_e32 vcc, 1, v6
	v_cndmask_b32_e32 v7, v10, v7, vcc
	v_cndmask_b32_e32 v3, v5, v3, vcc
	;; [unrolled: 1-line block ×3, first 2 shown]
	v_and_b32_e32 v6, 0xff, v7
.LBB453_226:
	s_or_b64 exec, exec, s[2:3]
	v_cmp_eq_u32_e32 vcc, 0, v1
	s_and_saveexec_b64 s[0:1], vcc
	s_cbranch_execz .LBB453_228
; %bb.227:
	s_waitcnt lgkmcnt(1)
	v_lshrrev_b32_e32 v4, 2, v0
	v_and_b32_e32 v4, 48, v4
	ds_write_b8 v4, v7 offset:256
	ds_write_b64 v4, v[2:3] offset:264
.LBB453_228:
	s_or_b64 exec, exec, s[0:1]
	v_cmp_gt_u32_e32 vcc, 4, v0
	s_waitcnt lgkmcnt(0)
	s_barrier
	s_and_saveexec_b64 s[2:3], vcc
	s_cbranch_execz .LBB453_234
; %bb.229:
	v_lshlrev_b32_e32 v2, 4, v1
	ds_read_u8 v7, v2 offset:256
	ds_read_b64 v[2:3], v2 offset:264
	v_and_b32_e32 v8, 3, v1
	v_cmp_ne_u32_e32 vcc, 3, v8
	v_addc_co_u32_e32 v4, vcc, 0, v1, vcc
	s_waitcnt lgkmcnt(1)
	v_and_b32_e32 v6, 0xff, v7
	v_lshlrev_b32_e32 v5, 2, v4
	ds_bpermute_b32 v9, v5, v6
	s_waitcnt lgkmcnt(1)
	ds_bpermute_b32 v4, v5, v2
	ds_bpermute_b32 v5, v5, v3
	s_add_i32 s8, s8, 63
	s_lshr_b32 s12, s8, 6
	v_add_u32_e32 v10, 1, v8
	v_cmp_gt_u32_e32 vcc, s12, v10
	s_and_saveexec_b64 s[8:9], vcc
	s_cbranch_execz .LBB453_231
; %bb.230:
	s_waitcnt lgkmcnt(2)
	v_and_b32_e32 v10, 1, v9
	s_waitcnt lgkmcnt(0)
	v_cmp_lt_i64_e32 vcc, v[4:5], v[2:3]
	v_cmp_eq_u32_e64 s[0:1], 1, v10
	v_and_b32_e32 v6, 1, v7
	s_and_b64 vcc, s[0:1], vcc
	v_cndmask_b32_e64 v7, v7, 1, s[0:1]
	v_cndmask_b32_e32 v2, v2, v4, vcc
	v_cndmask_b32_e32 v3, v3, v5, vcc
	v_cmp_eq_u32_e32 vcc, 1, v6
	v_cndmask_b32_e32 v7, v9, v7, vcc
	v_cndmask_b32_e32 v3, v5, v3, vcc
	;; [unrolled: 1-line block ×3, first 2 shown]
	v_and_b32_e32 v6, 0xff, v7
.LBB453_231:
	s_or_b64 exec, exec, s[8:9]
	v_cmp_gt_u32_e32 vcc, 2, v8
	s_waitcnt lgkmcnt(1)
	v_cndmask_b32_e64 v4, 0, 1, vcc
	v_lshlrev_b32_e32 v4, 1, v4
	s_waitcnt lgkmcnt(0)
	v_add_lshl_u32 v5, v4, v1, 2
	ds_bpermute_b32 v1, v5, v6
	ds_bpermute_b32 v4, v5, v2
	;; [unrolled: 1-line block ×3, first 2 shown]
	v_add_u32_e32 v8, 2, v8
	v_cmp_gt_u32_e32 vcc, s12, v8
	s_and_saveexec_b64 s[8:9], vcc
	s_cbranch_execz .LBB453_233
; %bb.232:
	s_waitcnt lgkmcnt(2)
	v_and_b32_e32 v8, 1, v1
	s_waitcnt lgkmcnt(0)
	v_cmp_lt_i64_e32 vcc, v[4:5], v[2:3]
	v_cmp_eq_u32_e64 s[0:1], 1, v8
	v_and_b32_e32 v6, 1, v7
	s_and_b64 vcc, s[0:1], vcc
	v_cndmask_b32_e64 v7, v7, 1, s[0:1]
	v_cndmask_b32_e32 v2, v2, v4, vcc
	v_cndmask_b32_e32 v3, v3, v5, vcc
	v_cmp_eq_u32_e32 vcc, 1, v6
	v_cndmask_b32_e32 v1, v1, v7, vcc
	v_cndmask_b32_e32 v3, v5, v3, vcc
	;; [unrolled: 1-line block ×3, first 2 shown]
	v_and_b32_e32 v6, 0xff, v1
.LBB453_233:
	s_or_b64 exec, exec, s[8:9]
.LBB453_234:
	s_or_b64 exec, exec, s[2:3]
.LBB453_235:
	v_cmp_eq_u32_e32 vcc, 0, v0
                                        ; implicit-def: $vgpr4_vgpr5
                                        ; implicit-def: $vgpr1
	s_and_saveexec_b64 s[8:9], vcc
	s_cbranch_execz .LBB453_239
; %bb.236:
	s_cmp_eq_u64 s[22:23], 0
	s_waitcnt lgkmcnt(0)
	v_pk_mov_b32 v[4:5], s[18:19], s[18:19] op_sel:[0,1]
	v_mov_b32_e32 v1, s30
	s_cbranch_scc1 .LBB453_238
; %bb.237:
	v_and_b32_e32 v0, 1, v6
	s_bitcmp1_b32 s30, 0
	v_mov_b32_e32 v1, s30
	v_cmp_eq_u32_e32 vcc, 1, v0
	v_cmp_gt_i64_e64 s[2:3], s[18:19], v[2:3]
	v_cndmask_b32_e64 v0, v1, 1, vcc
	s_cselect_b64 s[0:1], -1, 0
	v_mov_b32_e32 v1, s18
	s_and_b64 vcc, vcc, s[2:3]
	v_cndmask_b32_e32 v4, v1, v2, vcc
	v_mov_b32_e32 v1, s19
	v_cndmask_b32_e32 v5, v1, v3, vcc
	v_cndmask_b32_e64 v1, v6, v0, s[0:1]
	v_cndmask_b32_e64 v5, v3, v5, s[0:1]
	;; [unrolled: 1-line block ×3, first 2 shown]
.LBB453_238:
	s_or_b64 s[10:11], s[10:11], exec
.LBB453_239:
	s_or_b64 exec, exec, s[8:9]
	s_and_saveexec_b64 s[0:1], s[10:11]
	s_cbranch_execnz .LBB453_209
	s_branch .LBB453_210
.LBB453_240:
	global_load_ubyte v18, v0, s[16:17] offset:1792
	v_mov_b32_e32 v5, s35
	v_add_co_u32_e64 v4, s[16:17], s34, v25
	v_addc_co_u32_e64 v5, s[16:17], 0, v5, s[16:17]
	s_waitcnt vmcnt(0)
	v_cmp_eq_u16_sdwa s[16:17], v18, s31 src0_sel:DWORD src1_sel:BYTE_0
	v_cndmask_b32_e64 v18, 0, 1, s[16:17]
	s_or_b64 exec, exec, s[28:29]
	s_and_saveexec_b64 s[28:29], s[14:15]
	s_cbranch_execz .LBB453_61
.LBB453_241:
	v_and_b32_e32 v26, 1, v21
	v_cmp_lt_i64_e64 s[14:15], v[10:11], v[2:3]
	v_cmp_eq_u32_e64 s[16:17], 1, v26
	v_and_b32_e32 v25, 1, v1
	s_and_b64 s[14:15], s[16:17], s[14:15]
	v_cndmask_b32_e64 v1, v1, 1, s[16:17]
	v_cndmask_b32_e64 v2, v2, v10, s[14:15]
	;; [unrolled: 1-line block ×3, first 2 shown]
	v_cmp_eq_u32_e64 s[14:15], 1, v25
	v_cndmask_b32_e64 v1, v21, v1, s[14:15]
	v_cndmask_b32_e64 v3, v11, v3, s[14:15]
	;; [unrolled: 1-line block ×3, first 2 shown]
	s_or_b64 exec, exec, s[28:29]
	s_and_saveexec_b64 s[16:17], s[12:13]
	s_cbranch_execz .LBB453_62
.LBB453_242:
	v_and_b32_e32 v11, 1, v24
	v_cmp_lt_i64_e64 s[12:13], v[16:17], v[2:3]
	v_cmp_eq_u32_e64 s[14:15], 1, v11
	v_and_b32_e32 v10, 1, v1
	s_and_b64 s[12:13], s[14:15], s[12:13]
	v_cndmask_b32_e64 v1, v1, 1, s[14:15]
	v_cndmask_b32_e64 v2, v2, v16, s[12:13]
	;; [unrolled: 1-line block ×3, first 2 shown]
	v_cmp_eq_u32_e64 s[12:13], 1, v10
	v_cndmask_b32_e64 v1, v24, v1, s[12:13]
	v_cndmask_b32_e64 v3, v17, v3, s[12:13]
	;; [unrolled: 1-line block ×3, first 2 shown]
	s_or_b64 exec, exec, s[16:17]
	s_and_saveexec_b64 s[14:15], s[10:11]
	s_cbranch_execz .LBB453_63
.LBB453_243:
	v_and_b32_e32 v11, 1, v20
	v_cmp_lt_i64_e64 s[10:11], v[8:9], v[2:3]
	v_cmp_eq_u32_e64 s[12:13], 1, v11
	v_and_b32_e32 v10, 1, v1
	s_and_b64 s[10:11], s[12:13], s[10:11]
	v_cndmask_b32_e64 v1, v1, 1, s[12:13]
	v_cndmask_b32_e64 v2, v2, v8, s[10:11]
	;; [unrolled: 1-line block ×3, first 2 shown]
	v_cmp_eq_u32_e64 s[10:11], 1, v10
	v_cndmask_b32_e64 v1, v20, v1, s[10:11]
	v_cndmask_b32_e64 v3, v9, v3, s[10:11]
	;; [unrolled: 1-line block ×3, first 2 shown]
	s_or_b64 exec, exec, s[14:15]
	s_and_saveexec_b64 s[12:13], s[8:9]
	s_cbranch_execz .LBB453_64
.LBB453_244:
	v_and_b32_e32 v9, 1, v23
	v_cmp_lt_i64_e64 s[8:9], v[14:15], v[2:3]
	v_cmp_eq_u32_e64 s[10:11], 1, v9
	v_and_b32_e32 v8, 1, v1
	s_and_b64 s[8:9], s[10:11], s[8:9]
	v_cndmask_b32_e64 v1, v1, 1, s[10:11]
	v_cndmask_b32_e64 v2, v2, v14, s[8:9]
	;; [unrolled: 1-line block ×3, first 2 shown]
	v_cmp_eq_u32_e64 s[8:9], 1, v8
	v_cndmask_b32_e64 v1, v23, v1, s[8:9]
	v_cndmask_b32_e64 v3, v15, v3, s[8:9]
	;; [unrolled: 1-line block ×3, first 2 shown]
	s_or_b64 exec, exec, s[12:13]
	s_and_saveexec_b64 s[10:11], s[2:3]
	s_cbranch_execz .LBB453_65
.LBB453_245:
	v_and_b32_e32 v9, 1, v19
	v_cmp_lt_i64_e64 s[2:3], v[6:7], v[2:3]
	v_cmp_eq_u32_e64 s[8:9], 1, v9
	v_and_b32_e32 v8, 1, v1
	s_and_b64 s[2:3], s[8:9], s[2:3]
	v_cndmask_b32_e64 v1, v1, 1, s[8:9]
	v_cndmask_b32_e64 v2, v2, v6, s[2:3]
	v_cndmask_b32_e64 v3, v3, v7, s[2:3]
	v_cmp_eq_u32_e64 s[2:3], 1, v8
	v_cndmask_b32_e64 v1, v19, v1, s[2:3]
	v_cndmask_b32_e64 v3, v7, v3, s[2:3]
	;; [unrolled: 1-line block ×3, first 2 shown]
	s_or_b64 exec, exec, s[10:11]
	s_and_saveexec_b64 s[8:9], s[0:1]
	s_cbranch_execz .LBB453_66
.LBB453_246:
	v_and_b32_e32 v7, 1, v22
	v_cmp_lt_i64_e64 s[0:1], v[12:13], v[2:3]
	v_cmp_eq_u32_e64 s[2:3], 1, v7
	v_and_b32_e32 v6, 1, v1
	s_and_b64 s[0:1], s[2:3], s[0:1]
	v_cndmask_b32_e64 v1, v1, 1, s[2:3]
	v_cndmask_b32_e64 v2, v2, v12, s[0:1]
	;; [unrolled: 1-line block ×3, first 2 shown]
	v_cmp_eq_u32_e64 s[0:1], 1, v6
	v_cndmask_b32_e64 v1, v22, v1, s[0:1]
	v_cndmask_b32_e64 v3, v13, v3, s[0:1]
	;; [unrolled: 1-line block ×3, first 2 shown]
	s_or_b64 exec, exec, s[8:9]
	s_and_saveexec_b64 s[2:3], vcc
	s_cbranch_execnz .LBB453_67
	s_branch .LBB453_68
.LBB453_247:
	global_load_ubyte v1, v0, s[8:9] offset:768
	v_mov_b32_e32 v5, s15
	v_add_co_u32_e64 v4, s[8:9], s14, v13
	v_addc_co_u32_e64 v5, s[8:9], 0, v5, s[8:9]
	s_waitcnt vmcnt(0)
	v_cmp_eq_u16_sdwa s[8:9], v1, s31 src0_sel:DWORD src1_sel:BYTE_0
	v_cndmask_b32_e64 v1, 0, 1, s[8:9]
	s_or_b64 exec, exec, s[12:13]
	s_and_saveexec_b64 s[12:13], s[2:3]
	s_cbranch_execz .LBB453_104
.LBB453_248:
	v_and_b32_e32 v14, 1, v11
	v_cmp_lt_i64_e64 s[2:3], v[6:7], v[2:3]
	v_cmp_eq_u32_e64 s[8:9], 1, v14
	v_and_b32_e32 v13, 1, v10
	s_and_b64 s[2:3], s[8:9], s[2:3]
	v_cndmask_b32_e64 v10, v10, 1, s[8:9]
	v_cndmask_b32_e64 v2, v2, v6, s[2:3]
	;; [unrolled: 1-line block ×3, first 2 shown]
	v_cmp_eq_u32_e64 s[2:3], 1, v13
	v_cndmask_b32_e64 v10, v11, v10, s[2:3]
	v_cndmask_b32_e64 v3, v7, v3, s[2:3]
	;; [unrolled: 1-line block ×3, first 2 shown]
	s_or_b64 exec, exec, s[12:13]
	s_and_saveexec_b64 s[8:9], s[0:1]
	s_cbranch_execz .LBB453_105
.LBB453_249:
	v_and_b32_e32 v7, 1, v12
	v_cmp_lt_i64_e64 s[0:1], v[8:9], v[2:3]
	v_cmp_eq_u32_e64 s[2:3], 1, v7
	v_and_b32_e32 v6, 1, v10
	s_and_b64 s[0:1], s[2:3], s[0:1]
	v_cndmask_b32_e64 v7, v10, 1, s[2:3]
	v_cndmask_b32_e64 v2, v2, v8, s[0:1]
	;; [unrolled: 1-line block ×3, first 2 shown]
	v_cmp_eq_u32_e64 s[0:1], 1, v6
	v_cndmask_b32_e64 v10, v12, v7, s[0:1]
	v_cndmask_b32_e64 v3, v9, v3, s[0:1]
	;; [unrolled: 1-line block ×3, first 2 shown]
	s_or_b64 exec, exec, s[8:9]
	s_and_saveexec_b64 s[2:3], vcc
	s_cbranch_execnz .LBB453_106
	s_branch .LBB453_107
	.section	.rodata,"a",@progbits
	.p2align	6, 0x0
	.amdhsa_kernel _ZN7rocprim17ROCPRIM_400000_NS6detail17trampoline_kernelINS0_14default_configENS1_22reduce_config_selectorIN6thrust23THRUST_200600_302600_NS5tupleIblNS6_9null_typeES8_S8_S8_S8_S8_S8_S8_EEEEZNS1_11reduce_implILb1ES3_NS6_12zip_iteratorINS7_INS6_11hip_rocprim26transform_input_iterator_tIbPhNS6_6detail10functional5actorINSH_9compositeIJNSH_27transparent_binary_operatorINS6_8equal_toIvEEEENSI_INSH_8argumentILj0EEEEENSH_5valueIhEEEEEEEEENSD_19counting_iterator_tIlEES8_S8_S8_S8_S8_S8_S8_S8_EEEEPS9_S9_NSD_9__find_if7functorIS9_EEEE10hipError_tPvRmT1_T2_T3_mT4_P12ihipStream_tbEUlT_E1_NS1_11comp_targetILNS1_3genE4ELNS1_11target_archE910ELNS1_3gpuE8ELNS1_3repE0EEENS1_30default_config_static_selectorELNS0_4arch9wavefront6targetE1EEEvS17_
		.amdhsa_group_segment_fixed_size 320
		.amdhsa_private_segment_fixed_size 0
		.amdhsa_kernarg_size 72
		.amdhsa_user_sgpr_count 6
		.amdhsa_user_sgpr_private_segment_buffer 1
		.amdhsa_user_sgpr_dispatch_ptr 0
		.amdhsa_user_sgpr_queue_ptr 0
		.amdhsa_user_sgpr_kernarg_segment_ptr 1
		.amdhsa_user_sgpr_dispatch_id 0
		.amdhsa_user_sgpr_flat_scratch_init 0
		.amdhsa_user_sgpr_kernarg_preload_length 0
		.amdhsa_user_sgpr_kernarg_preload_offset 0
		.amdhsa_user_sgpr_private_segment_size 0
		.amdhsa_uses_dynamic_stack 0
		.amdhsa_system_sgpr_private_segment_wavefront_offset 0
		.amdhsa_system_sgpr_workgroup_id_x 1
		.amdhsa_system_sgpr_workgroup_id_y 0
		.amdhsa_system_sgpr_workgroup_id_z 0
		.amdhsa_system_sgpr_workgroup_info 0
		.amdhsa_system_vgpr_workitem_id 0
		.amdhsa_next_free_vgpr 27
		.amdhsa_next_free_sgpr 40
		.amdhsa_accum_offset 28
		.amdhsa_reserve_vcc 1
		.amdhsa_reserve_flat_scratch 0
		.amdhsa_float_round_mode_32 0
		.amdhsa_float_round_mode_16_64 0
		.amdhsa_float_denorm_mode_32 3
		.amdhsa_float_denorm_mode_16_64 3
		.amdhsa_dx10_clamp 1
		.amdhsa_ieee_mode 1
		.amdhsa_fp16_overflow 0
		.amdhsa_tg_split 0
		.amdhsa_exception_fp_ieee_invalid_op 0
		.amdhsa_exception_fp_denorm_src 0
		.amdhsa_exception_fp_ieee_div_zero 0
		.amdhsa_exception_fp_ieee_overflow 0
		.amdhsa_exception_fp_ieee_underflow 0
		.amdhsa_exception_fp_ieee_inexact 0
		.amdhsa_exception_int_div_zero 0
	.end_amdhsa_kernel
	.section	.text._ZN7rocprim17ROCPRIM_400000_NS6detail17trampoline_kernelINS0_14default_configENS1_22reduce_config_selectorIN6thrust23THRUST_200600_302600_NS5tupleIblNS6_9null_typeES8_S8_S8_S8_S8_S8_S8_EEEEZNS1_11reduce_implILb1ES3_NS6_12zip_iteratorINS7_INS6_11hip_rocprim26transform_input_iterator_tIbPhNS6_6detail10functional5actorINSH_9compositeIJNSH_27transparent_binary_operatorINS6_8equal_toIvEEEENSI_INSH_8argumentILj0EEEEENSH_5valueIhEEEEEEEEENSD_19counting_iterator_tIlEES8_S8_S8_S8_S8_S8_S8_S8_EEEEPS9_S9_NSD_9__find_if7functorIS9_EEEE10hipError_tPvRmT1_T2_T3_mT4_P12ihipStream_tbEUlT_E1_NS1_11comp_targetILNS1_3genE4ELNS1_11target_archE910ELNS1_3gpuE8ELNS1_3repE0EEENS1_30default_config_static_selectorELNS0_4arch9wavefront6targetE1EEEvS17_,"axG",@progbits,_ZN7rocprim17ROCPRIM_400000_NS6detail17trampoline_kernelINS0_14default_configENS1_22reduce_config_selectorIN6thrust23THRUST_200600_302600_NS5tupleIblNS6_9null_typeES8_S8_S8_S8_S8_S8_S8_EEEEZNS1_11reduce_implILb1ES3_NS6_12zip_iteratorINS7_INS6_11hip_rocprim26transform_input_iterator_tIbPhNS6_6detail10functional5actorINSH_9compositeIJNSH_27transparent_binary_operatorINS6_8equal_toIvEEEENSI_INSH_8argumentILj0EEEEENSH_5valueIhEEEEEEEEENSD_19counting_iterator_tIlEES8_S8_S8_S8_S8_S8_S8_S8_EEEEPS9_S9_NSD_9__find_if7functorIS9_EEEE10hipError_tPvRmT1_T2_T3_mT4_P12ihipStream_tbEUlT_E1_NS1_11comp_targetILNS1_3genE4ELNS1_11target_archE910ELNS1_3gpuE8ELNS1_3repE0EEENS1_30default_config_static_selectorELNS0_4arch9wavefront6targetE1EEEvS17_,comdat
.Lfunc_end453:
	.size	_ZN7rocprim17ROCPRIM_400000_NS6detail17trampoline_kernelINS0_14default_configENS1_22reduce_config_selectorIN6thrust23THRUST_200600_302600_NS5tupleIblNS6_9null_typeES8_S8_S8_S8_S8_S8_S8_EEEEZNS1_11reduce_implILb1ES3_NS6_12zip_iteratorINS7_INS6_11hip_rocprim26transform_input_iterator_tIbPhNS6_6detail10functional5actorINSH_9compositeIJNSH_27transparent_binary_operatorINS6_8equal_toIvEEEENSI_INSH_8argumentILj0EEEEENSH_5valueIhEEEEEEEEENSD_19counting_iterator_tIlEES8_S8_S8_S8_S8_S8_S8_S8_EEEEPS9_S9_NSD_9__find_if7functorIS9_EEEE10hipError_tPvRmT1_T2_T3_mT4_P12ihipStream_tbEUlT_E1_NS1_11comp_targetILNS1_3genE4ELNS1_11target_archE910ELNS1_3gpuE8ELNS1_3repE0EEENS1_30default_config_static_selectorELNS0_4arch9wavefront6targetE1EEEvS17_, .Lfunc_end453-_ZN7rocprim17ROCPRIM_400000_NS6detail17trampoline_kernelINS0_14default_configENS1_22reduce_config_selectorIN6thrust23THRUST_200600_302600_NS5tupleIblNS6_9null_typeES8_S8_S8_S8_S8_S8_S8_EEEEZNS1_11reduce_implILb1ES3_NS6_12zip_iteratorINS7_INS6_11hip_rocprim26transform_input_iterator_tIbPhNS6_6detail10functional5actorINSH_9compositeIJNSH_27transparent_binary_operatorINS6_8equal_toIvEEEENSI_INSH_8argumentILj0EEEEENSH_5valueIhEEEEEEEEENSD_19counting_iterator_tIlEES8_S8_S8_S8_S8_S8_S8_S8_EEEEPS9_S9_NSD_9__find_if7functorIS9_EEEE10hipError_tPvRmT1_T2_T3_mT4_P12ihipStream_tbEUlT_E1_NS1_11comp_targetILNS1_3genE4ELNS1_11target_archE910ELNS1_3gpuE8ELNS1_3repE0EEENS1_30default_config_static_selectorELNS0_4arch9wavefront6targetE1EEEvS17_
                                        ; -- End function
	.section	.AMDGPU.csdata,"",@progbits
; Kernel info:
; codeLenInByte = 12868
; NumSgprs: 44
; NumVgprs: 27
; NumAgprs: 0
; TotalNumVgprs: 27
; ScratchSize: 0
; MemoryBound: 0
; FloatMode: 240
; IeeeMode: 1
; LDSByteSize: 320 bytes/workgroup (compile time only)
; SGPRBlocks: 5
; VGPRBlocks: 3
; NumSGPRsForWavesPerEU: 44
; NumVGPRsForWavesPerEU: 27
; AccumOffset: 28
; Occupancy: 8
; WaveLimiterHint : 1
; COMPUTE_PGM_RSRC2:SCRATCH_EN: 0
; COMPUTE_PGM_RSRC2:USER_SGPR: 6
; COMPUTE_PGM_RSRC2:TRAP_HANDLER: 0
; COMPUTE_PGM_RSRC2:TGID_X_EN: 1
; COMPUTE_PGM_RSRC2:TGID_Y_EN: 0
; COMPUTE_PGM_RSRC2:TGID_Z_EN: 0
; COMPUTE_PGM_RSRC2:TIDIG_COMP_CNT: 0
; COMPUTE_PGM_RSRC3_GFX90A:ACCUM_OFFSET: 6
; COMPUTE_PGM_RSRC3_GFX90A:TG_SPLIT: 0
	.section	.text._ZN7rocprim17ROCPRIM_400000_NS6detail17trampoline_kernelINS0_14default_configENS1_22reduce_config_selectorIN6thrust23THRUST_200600_302600_NS5tupleIblNS6_9null_typeES8_S8_S8_S8_S8_S8_S8_EEEEZNS1_11reduce_implILb1ES3_NS6_12zip_iteratorINS7_INS6_11hip_rocprim26transform_input_iterator_tIbPhNS6_6detail10functional5actorINSH_9compositeIJNSH_27transparent_binary_operatorINS6_8equal_toIvEEEENSI_INSH_8argumentILj0EEEEENSH_5valueIhEEEEEEEEENSD_19counting_iterator_tIlEES8_S8_S8_S8_S8_S8_S8_S8_EEEEPS9_S9_NSD_9__find_if7functorIS9_EEEE10hipError_tPvRmT1_T2_T3_mT4_P12ihipStream_tbEUlT_E1_NS1_11comp_targetILNS1_3genE3ELNS1_11target_archE908ELNS1_3gpuE7ELNS1_3repE0EEENS1_30default_config_static_selectorELNS0_4arch9wavefront6targetE1EEEvS17_,"axG",@progbits,_ZN7rocprim17ROCPRIM_400000_NS6detail17trampoline_kernelINS0_14default_configENS1_22reduce_config_selectorIN6thrust23THRUST_200600_302600_NS5tupleIblNS6_9null_typeES8_S8_S8_S8_S8_S8_S8_EEEEZNS1_11reduce_implILb1ES3_NS6_12zip_iteratorINS7_INS6_11hip_rocprim26transform_input_iterator_tIbPhNS6_6detail10functional5actorINSH_9compositeIJNSH_27transparent_binary_operatorINS6_8equal_toIvEEEENSI_INSH_8argumentILj0EEEEENSH_5valueIhEEEEEEEEENSD_19counting_iterator_tIlEES8_S8_S8_S8_S8_S8_S8_S8_EEEEPS9_S9_NSD_9__find_if7functorIS9_EEEE10hipError_tPvRmT1_T2_T3_mT4_P12ihipStream_tbEUlT_E1_NS1_11comp_targetILNS1_3genE3ELNS1_11target_archE908ELNS1_3gpuE7ELNS1_3repE0EEENS1_30default_config_static_selectorELNS0_4arch9wavefront6targetE1EEEvS17_,comdat
	.protected	_ZN7rocprim17ROCPRIM_400000_NS6detail17trampoline_kernelINS0_14default_configENS1_22reduce_config_selectorIN6thrust23THRUST_200600_302600_NS5tupleIblNS6_9null_typeES8_S8_S8_S8_S8_S8_S8_EEEEZNS1_11reduce_implILb1ES3_NS6_12zip_iteratorINS7_INS6_11hip_rocprim26transform_input_iterator_tIbPhNS6_6detail10functional5actorINSH_9compositeIJNSH_27transparent_binary_operatorINS6_8equal_toIvEEEENSI_INSH_8argumentILj0EEEEENSH_5valueIhEEEEEEEEENSD_19counting_iterator_tIlEES8_S8_S8_S8_S8_S8_S8_S8_EEEEPS9_S9_NSD_9__find_if7functorIS9_EEEE10hipError_tPvRmT1_T2_T3_mT4_P12ihipStream_tbEUlT_E1_NS1_11comp_targetILNS1_3genE3ELNS1_11target_archE908ELNS1_3gpuE7ELNS1_3repE0EEENS1_30default_config_static_selectorELNS0_4arch9wavefront6targetE1EEEvS17_ ; -- Begin function _ZN7rocprim17ROCPRIM_400000_NS6detail17trampoline_kernelINS0_14default_configENS1_22reduce_config_selectorIN6thrust23THRUST_200600_302600_NS5tupleIblNS6_9null_typeES8_S8_S8_S8_S8_S8_S8_EEEEZNS1_11reduce_implILb1ES3_NS6_12zip_iteratorINS7_INS6_11hip_rocprim26transform_input_iterator_tIbPhNS6_6detail10functional5actorINSH_9compositeIJNSH_27transparent_binary_operatorINS6_8equal_toIvEEEENSI_INSH_8argumentILj0EEEEENSH_5valueIhEEEEEEEEENSD_19counting_iterator_tIlEES8_S8_S8_S8_S8_S8_S8_S8_EEEEPS9_S9_NSD_9__find_if7functorIS9_EEEE10hipError_tPvRmT1_T2_T3_mT4_P12ihipStream_tbEUlT_E1_NS1_11comp_targetILNS1_3genE3ELNS1_11target_archE908ELNS1_3gpuE7ELNS1_3repE0EEENS1_30default_config_static_selectorELNS0_4arch9wavefront6targetE1EEEvS17_
	.globl	_ZN7rocprim17ROCPRIM_400000_NS6detail17trampoline_kernelINS0_14default_configENS1_22reduce_config_selectorIN6thrust23THRUST_200600_302600_NS5tupleIblNS6_9null_typeES8_S8_S8_S8_S8_S8_S8_EEEEZNS1_11reduce_implILb1ES3_NS6_12zip_iteratorINS7_INS6_11hip_rocprim26transform_input_iterator_tIbPhNS6_6detail10functional5actorINSH_9compositeIJNSH_27transparent_binary_operatorINS6_8equal_toIvEEEENSI_INSH_8argumentILj0EEEEENSH_5valueIhEEEEEEEEENSD_19counting_iterator_tIlEES8_S8_S8_S8_S8_S8_S8_S8_EEEEPS9_S9_NSD_9__find_if7functorIS9_EEEE10hipError_tPvRmT1_T2_T3_mT4_P12ihipStream_tbEUlT_E1_NS1_11comp_targetILNS1_3genE3ELNS1_11target_archE908ELNS1_3gpuE7ELNS1_3repE0EEENS1_30default_config_static_selectorELNS0_4arch9wavefront6targetE1EEEvS17_
	.p2align	8
	.type	_ZN7rocprim17ROCPRIM_400000_NS6detail17trampoline_kernelINS0_14default_configENS1_22reduce_config_selectorIN6thrust23THRUST_200600_302600_NS5tupleIblNS6_9null_typeES8_S8_S8_S8_S8_S8_S8_EEEEZNS1_11reduce_implILb1ES3_NS6_12zip_iteratorINS7_INS6_11hip_rocprim26transform_input_iterator_tIbPhNS6_6detail10functional5actorINSH_9compositeIJNSH_27transparent_binary_operatorINS6_8equal_toIvEEEENSI_INSH_8argumentILj0EEEEENSH_5valueIhEEEEEEEEENSD_19counting_iterator_tIlEES8_S8_S8_S8_S8_S8_S8_S8_EEEEPS9_S9_NSD_9__find_if7functorIS9_EEEE10hipError_tPvRmT1_T2_T3_mT4_P12ihipStream_tbEUlT_E1_NS1_11comp_targetILNS1_3genE3ELNS1_11target_archE908ELNS1_3gpuE7ELNS1_3repE0EEENS1_30default_config_static_selectorELNS0_4arch9wavefront6targetE1EEEvS17_,@function
_ZN7rocprim17ROCPRIM_400000_NS6detail17trampoline_kernelINS0_14default_configENS1_22reduce_config_selectorIN6thrust23THRUST_200600_302600_NS5tupleIblNS6_9null_typeES8_S8_S8_S8_S8_S8_S8_EEEEZNS1_11reduce_implILb1ES3_NS6_12zip_iteratorINS7_INS6_11hip_rocprim26transform_input_iterator_tIbPhNS6_6detail10functional5actorINSH_9compositeIJNSH_27transparent_binary_operatorINS6_8equal_toIvEEEENSI_INSH_8argumentILj0EEEEENSH_5valueIhEEEEEEEEENSD_19counting_iterator_tIlEES8_S8_S8_S8_S8_S8_S8_S8_EEEEPS9_S9_NSD_9__find_if7functorIS9_EEEE10hipError_tPvRmT1_T2_T3_mT4_P12ihipStream_tbEUlT_E1_NS1_11comp_targetILNS1_3genE3ELNS1_11target_archE908ELNS1_3gpuE7ELNS1_3repE0EEENS1_30default_config_static_selectorELNS0_4arch9wavefront6targetE1EEEvS17_: ; @_ZN7rocprim17ROCPRIM_400000_NS6detail17trampoline_kernelINS0_14default_configENS1_22reduce_config_selectorIN6thrust23THRUST_200600_302600_NS5tupleIblNS6_9null_typeES8_S8_S8_S8_S8_S8_S8_EEEEZNS1_11reduce_implILb1ES3_NS6_12zip_iteratorINS7_INS6_11hip_rocprim26transform_input_iterator_tIbPhNS6_6detail10functional5actorINSH_9compositeIJNSH_27transparent_binary_operatorINS6_8equal_toIvEEEENSI_INSH_8argumentILj0EEEEENSH_5valueIhEEEEEEEEENSD_19counting_iterator_tIlEES8_S8_S8_S8_S8_S8_S8_S8_EEEEPS9_S9_NSD_9__find_if7functorIS9_EEEE10hipError_tPvRmT1_T2_T3_mT4_P12ihipStream_tbEUlT_E1_NS1_11comp_targetILNS1_3genE3ELNS1_11target_archE908ELNS1_3gpuE7ELNS1_3repE0EEENS1_30default_config_static_selectorELNS0_4arch9wavefront6targetE1EEEvS17_
; %bb.0:
	.section	.rodata,"a",@progbits
	.p2align	6, 0x0
	.amdhsa_kernel _ZN7rocprim17ROCPRIM_400000_NS6detail17trampoline_kernelINS0_14default_configENS1_22reduce_config_selectorIN6thrust23THRUST_200600_302600_NS5tupleIblNS6_9null_typeES8_S8_S8_S8_S8_S8_S8_EEEEZNS1_11reduce_implILb1ES3_NS6_12zip_iteratorINS7_INS6_11hip_rocprim26transform_input_iterator_tIbPhNS6_6detail10functional5actorINSH_9compositeIJNSH_27transparent_binary_operatorINS6_8equal_toIvEEEENSI_INSH_8argumentILj0EEEEENSH_5valueIhEEEEEEEEENSD_19counting_iterator_tIlEES8_S8_S8_S8_S8_S8_S8_S8_EEEEPS9_S9_NSD_9__find_if7functorIS9_EEEE10hipError_tPvRmT1_T2_T3_mT4_P12ihipStream_tbEUlT_E1_NS1_11comp_targetILNS1_3genE3ELNS1_11target_archE908ELNS1_3gpuE7ELNS1_3repE0EEENS1_30default_config_static_selectorELNS0_4arch9wavefront6targetE1EEEvS17_
		.amdhsa_group_segment_fixed_size 0
		.amdhsa_private_segment_fixed_size 0
		.amdhsa_kernarg_size 72
		.amdhsa_user_sgpr_count 6
		.amdhsa_user_sgpr_private_segment_buffer 1
		.amdhsa_user_sgpr_dispatch_ptr 0
		.amdhsa_user_sgpr_queue_ptr 0
		.amdhsa_user_sgpr_kernarg_segment_ptr 1
		.amdhsa_user_sgpr_dispatch_id 0
		.amdhsa_user_sgpr_flat_scratch_init 0
		.amdhsa_user_sgpr_kernarg_preload_length 0
		.amdhsa_user_sgpr_kernarg_preload_offset 0
		.amdhsa_user_sgpr_private_segment_size 0
		.amdhsa_uses_dynamic_stack 0
		.amdhsa_system_sgpr_private_segment_wavefront_offset 0
		.amdhsa_system_sgpr_workgroup_id_x 1
		.amdhsa_system_sgpr_workgroup_id_y 0
		.amdhsa_system_sgpr_workgroup_id_z 0
		.amdhsa_system_sgpr_workgroup_info 0
		.amdhsa_system_vgpr_workitem_id 0
		.amdhsa_next_free_vgpr 1
		.amdhsa_next_free_sgpr 0
		.amdhsa_accum_offset 4
		.amdhsa_reserve_vcc 0
		.amdhsa_reserve_flat_scratch 0
		.amdhsa_float_round_mode_32 0
		.amdhsa_float_round_mode_16_64 0
		.amdhsa_float_denorm_mode_32 3
		.amdhsa_float_denorm_mode_16_64 3
		.amdhsa_dx10_clamp 1
		.amdhsa_ieee_mode 1
		.amdhsa_fp16_overflow 0
		.amdhsa_tg_split 0
		.amdhsa_exception_fp_ieee_invalid_op 0
		.amdhsa_exception_fp_denorm_src 0
		.amdhsa_exception_fp_ieee_div_zero 0
		.amdhsa_exception_fp_ieee_overflow 0
		.amdhsa_exception_fp_ieee_underflow 0
		.amdhsa_exception_fp_ieee_inexact 0
		.amdhsa_exception_int_div_zero 0
	.end_amdhsa_kernel
	.section	.text._ZN7rocprim17ROCPRIM_400000_NS6detail17trampoline_kernelINS0_14default_configENS1_22reduce_config_selectorIN6thrust23THRUST_200600_302600_NS5tupleIblNS6_9null_typeES8_S8_S8_S8_S8_S8_S8_EEEEZNS1_11reduce_implILb1ES3_NS6_12zip_iteratorINS7_INS6_11hip_rocprim26transform_input_iterator_tIbPhNS6_6detail10functional5actorINSH_9compositeIJNSH_27transparent_binary_operatorINS6_8equal_toIvEEEENSI_INSH_8argumentILj0EEEEENSH_5valueIhEEEEEEEEENSD_19counting_iterator_tIlEES8_S8_S8_S8_S8_S8_S8_S8_EEEEPS9_S9_NSD_9__find_if7functorIS9_EEEE10hipError_tPvRmT1_T2_T3_mT4_P12ihipStream_tbEUlT_E1_NS1_11comp_targetILNS1_3genE3ELNS1_11target_archE908ELNS1_3gpuE7ELNS1_3repE0EEENS1_30default_config_static_selectorELNS0_4arch9wavefront6targetE1EEEvS17_,"axG",@progbits,_ZN7rocprim17ROCPRIM_400000_NS6detail17trampoline_kernelINS0_14default_configENS1_22reduce_config_selectorIN6thrust23THRUST_200600_302600_NS5tupleIblNS6_9null_typeES8_S8_S8_S8_S8_S8_S8_EEEEZNS1_11reduce_implILb1ES3_NS6_12zip_iteratorINS7_INS6_11hip_rocprim26transform_input_iterator_tIbPhNS6_6detail10functional5actorINSH_9compositeIJNSH_27transparent_binary_operatorINS6_8equal_toIvEEEENSI_INSH_8argumentILj0EEEEENSH_5valueIhEEEEEEEEENSD_19counting_iterator_tIlEES8_S8_S8_S8_S8_S8_S8_S8_EEEEPS9_S9_NSD_9__find_if7functorIS9_EEEE10hipError_tPvRmT1_T2_T3_mT4_P12ihipStream_tbEUlT_E1_NS1_11comp_targetILNS1_3genE3ELNS1_11target_archE908ELNS1_3gpuE7ELNS1_3repE0EEENS1_30default_config_static_selectorELNS0_4arch9wavefront6targetE1EEEvS17_,comdat
.Lfunc_end454:
	.size	_ZN7rocprim17ROCPRIM_400000_NS6detail17trampoline_kernelINS0_14default_configENS1_22reduce_config_selectorIN6thrust23THRUST_200600_302600_NS5tupleIblNS6_9null_typeES8_S8_S8_S8_S8_S8_S8_EEEEZNS1_11reduce_implILb1ES3_NS6_12zip_iteratorINS7_INS6_11hip_rocprim26transform_input_iterator_tIbPhNS6_6detail10functional5actorINSH_9compositeIJNSH_27transparent_binary_operatorINS6_8equal_toIvEEEENSI_INSH_8argumentILj0EEEEENSH_5valueIhEEEEEEEEENSD_19counting_iterator_tIlEES8_S8_S8_S8_S8_S8_S8_S8_EEEEPS9_S9_NSD_9__find_if7functorIS9_EEEE10hipError_tPvRmT1_T2_T3_mT4_P12ihipStream_tbEUlT_E1_NS1_11comp_targetILNS1_3genE3ELNS1_11target_archE908ELNS1_3gpuE7ELNS1_3repE0EEENS1_30default_config_static_selectorELNS0_4arch9wavefront6targetE1EEEvS17_, .Lfunc_end454-_ZN7rocprim17ROCPRIM_400000_NS6detail17trampoline_kernelINS0_14default_configENS1_22reduce_config_selectorIN6thrust23THRUST_200600_302600_NS5tupleIblNS6_9null_typeES8_S8_S8_S8_S8_S8_S8_EEEEZNS1_11reduce_implILb1ES3_NS6_12zip_iteratorINS7_INS6_11hip_rocprim26transform_input_iterator_tIbPhNS6_6detail10functional5actorINSH_9compositeIJNSH_27transparent_binary_operatorINS6_8equal_toIvEEEENSI_INSH_8argumentILj0EEEEENSH_5valueIhEEEEEEEEENSD_19counting_iterator_tIlEES8_S8_S8_S8_S8_S8_S8_S8_EEEEPS9_S9_NSD_9__find_if7functorIS9_EEEE10hipError_tPvRmT1_T2_T3_mT4_P12ihipStream_tbEUlT_E1_NS1_11comp_targetILNS1_3genE3ELNS1_11target_archE908ELNS1_3gpuE7ELNS1_3repE0EEENS1_30default_config_static_selectorELNS0_4arch9wavefront6targetE1EEEvS17_
                                        ; -- End function
	.section	.AMDGPU.csdata,"",@progbits
; Kernel info:
; codeLenInByte = 0
; NumSgprs: 4
; NumVgprs: 0
; NumAgprs: 0
; TotalNumVgprs: 0
; ScratchSize: 0
; MemoryBound: 0
; FloatMode: 240
; IeeeMode: 1
; LDSByteSize: 0 bytes/workgroup (compile time only)
; SGPRBlocks: 0
; VGPRBlocks: 0
; NumSGPRsForWavesPerEU: 4
; NumVGPRsForWavesPerEU: 1
; AccumOffset: 4
; Occupancy: 8
; WaveLimiterHint : 0
; COMPUTE_PGM_RSRC2:SCRATCH_EN: 0
; COMPUTE_PGM_RSRC2:USER_SGPR: 6
; COMPUTE_PGM_RSRC2:TRAP_HANDLER: 0
; COMPUTE_PGM_RSRC2:TGID_X_EN: 1
; COMPUTE_PGM_RSRC2:TGID_Y_EN: 0
; COMPUTE_PGM_RSRC2:TGID_Z_EN: 0
; COMPUTE_PGM_RSRC2:TIDIG_COMP_CNT: 0
; COMPUTE_PGM_RSRC3_GFX90A:ACCUM_OFFSET: 0
; COMPUTE_PGM_RSRC3_GFX90A:TG_SPLIT: 0
	.section	.text._ZN7rocprim17ROCPRIM_400000_NS6detail17trampoline_kernelINS0_14default_configENS1_22reduce_config_selectorIN6thrust23THRUST_200600_302600_NS5tupleIblNS6_9null_typeES8_S8_S8_S8_S8_S8_S8_EEEEZNS1_11reduce_implILb1ES3_NS6_12zip_iteratorINS7_INS6_11hip_rocprim26transform_input_iterator_tIbPhNS6_6detail10functional5actorINSH_9compositeIJNSH_27transparent_binary_operatorINS6_8equal_toIvEEEENSI_INSH_8argumentILj0EEEEENSH_5valueIhEEEEEEEEENSD_19counting_iterator_tIlEES8_S8_S8_S8_S8_S8_S8_S8_EEEEPS9_S9_NSD_9__find_if7functorIS9_EEEE10hipError_tPvRmT1_T2_T3_mT4_P12ihipStream_tbEUlT_E1_NS1_11comp_targetILNS1_3genE2ELNS1_11target_archE906ELNS1_3gpuE6ELNS1_3repE0EEENS1_30default_config_static_selectorELNS0_4arch9wavefront6targetE1EEEvS17_,"axG",@progbits,_ZN7rocprim17ROCPRIM_400000_NS6detail17trampoline_kernelINS0_14default_configENS1_22reduce_config_selectorIN6thrust23THRUST_200600_302600_NS5tupleIblNS6_9null_typeES8_S8_S8_S8_S8_S8_S8_EEEEZNS1_11reduce_implILb1ES3_NS6_12zip_iteratorINS7_INS6_11hip_rocprim26transform_input_iterator_tIbPhNS6_6detail10functional5actorINSH_9compositeIJNSH_27transparent_binary_operatorINS6_8equal_toIvEEEENSI_INSH_8argumentILj0EEEEENSH_5valueIhEEEEEEEEENSD_19counting_iterator_tIlEES8_S8_S8_S8_S8_S8_S8_S8_EEEEPS9_S9_NSD_9__find_if7functorIS9_EEEE10hipError_tPvRmT1_T2_T3_mT4_P12ihipStream_tbEUlT_E1_NS1_11comp_targetILNS1_3genE2ELNS1_11target_archE906ELNS1_3gpuE6ELNS1_3repE0EEENS1_30default_config_static_selectorELNS0_4arch9wavefront6targetE1EEEvS17_,comdat
	.protected	_ZN7rocprim17ROCPRIM_400000_NS6detail17trampoline_kernelINS0_14default_configENS1_22reduce_config_selectorIN6thrust23THRUST_200600_302600_NS5tupleIblNS6_9null_typeES8_S8_S8_S8_S8_S8_S8_EEEEZNS1_11reduce_implILb1ES3_NS6_12zip_iteratorINS7_INS6_11hip_rocprim26transform_input_iterator_tIbPhNS6_6detail10functional5actorINSH_9compositeIJNSH_27transparent_binary_operatorINS6_8equal_toIvEEEENSI_INSH_8argumentILj0EEEEENSH_5valueIhEEEEEEEEENSD_19counting_iterator_tIlEES8_S8_S8_S8_S8_S8_S8_S8_EEEEPS9_S9_NSD_9__find_if7functorIS9_EEEE10hipError_tPvRmT1_T2_T3_mT4_P12ihipStream_tbEUlT_E1_NS1_11comp_targetILNS1_3genE2ELNS1_11target_archE906ELNS1_3gpuE6ELNS1_3repE0EEENS1_30default_config_static_selectorELNS0_4arch9wavefront6targetE1EEEvS17_ ; -- Begin function _ZN7rocprim17ROCPRIM_400000_NS6detail17trampoline_kernelINS0_14default_configENS1_22reduce_config_selectorIN6thrust23THRUST_200600_302600_NS5tupleIblNS6_9null_typeES8_S8_S8_S8_S8_S8_S8_EEEEZNS1_11reduce_implILb1ES3_NS6_12zip_iteratorINS7_INS6_11hip_rocprim26transform_input_iterator_tIbPhNS6_6detail10functional5actorINSH_9compositeIJNSH_27transparent_binary_operatorINS6_8equal_toIvEEEENSI_INSH_8argumentILj0EEEEENSH_5valueIhEEEEEEEEENSD_19counting_iterator_tIlEES8_S8_S8_S8_S8_S8_S8_S8_EEEEPS9_S9_NSD_9__find_if7functorIS9_EEEE10hipError_tPvRmT1_T2_T3_mT4_P12ihipStream_tbEUlT_E1_NS1_11comp_targetILNS1_3genE2ELNS1_11target_archE906ELNS1_3gpuE6ELNS1_3repE0EEENS1_30default_config_static_selectorELNS0_4arch9wavefront6targetE1EEEvS17_
	.globl	_ZN7rocprim17ROCPRIM_400000_NS6detail17trampoline_kernelINS0_14default_configENS1_22reduce_config_selectorIN6thrust23THRUST_200600_302600_NS5tupleIblNS6_9null_typeES8_S8_S8_S8_S8_S8_S8_EEEEZNS1_11reduce_implILb1ES3_NS6_12zip_iteratorINS7_INS6_11hip_rocprim26transform_input_iterator_tIbPhNS6_6detail10functional5actorINSH_9compositeIJNSH_27transparent_binary_operatorINS6_8equal_toIvEEEENSI_INSH_8argumentILj0EEEEENSH_5valueIhEEEEEEEEENSD_19counting_iterator_tIlEES8_S8_S8_S8_S8_S8_S8_S8_EEEEPS9_S9_NSD_9__find_if7functorIS9_EEEE10hipError_tPvRmT1_T2_T3_mT4_P12ihipStream_tbEUlT_E1_NS1_11comp_targetILNS1_3genE2ELNS1_11target_archE906ELNS1_3gpuE6ELNS1_3repE0EEENS1_30default_config_static_selectorELNS0_4arch9wavefront6targetE1EEEvS17_
	.p2align	8
	.type	_ZN7rocprim17ROCPRIM_400000_NS6detail17trampoline_kernelINS0_14default_configENS1_22reduce_config_selectorIN6thrust23THRUST_200600_302600_NS5tupleIblNS6_9null_typeES8_S8_S8_S8_S8_S8_S8_EEEEZNS1_11reduce_implILb1ES3_NS6_12zip_iteratorINS7_INS6_11hip_rocprim26transform_input_iterator_tIbPhNS6_6detail10functional5actorINSH_9compositeIJNSH_27transparent_binary_operatorINS6_8equal_toIvEEEENSI_INSH_8argumentILj0EEEEENSH_5valueIhEEEEEEEEENSD_19counting_iterator_tIlEES8_S8_S8_S8_S8_S8_S8_S8_EEEEPS9_S9_NSD_9__find_if7functorIS9_EEEE10hipError_tPvRmT1_T2_T3_mT4_P12ihipStream_tbEUlT_E1_NS1_11comp_targetILNS1_3genE2ELNS1_11target_archE906ELNS1_3gpuE6ELNS1_3repE0EEENS1_30default_config_static_selectorELNS0_4arch9wavefront6targetE1EEEvS17_,@function
_ZN7rocprim17ROCPRIM_400000_NS6detail17trampoline_kernelINS0_14default_configENS1_22reduce_config_selectorIN6thrust23THRUST_200600_302600_NS5tupleIblNS6_9null_typeES8_S8_S8_S8_S8_S8_S8_EEEEZNS1_11reduce_implILb1ES3_NS6_12zip_iteratorINS7_INS6_11hip_rocprim26transform_input_iterator_tIbPhNS6_6detail10functional5actorINSH_9compositeIJNSH_27transparent_binary_operatorINS6_8equal_toIvEEEENSI_INSH_8argumentILj0EEEEENSH_5valueIhEEEEEEEEENSD_19counting_iterator_tIlEES8_S8_S8_S8_S8_S8_S8_S8_EEEEPS9_S9_NSD_9__find_if7functorIS9_EEEE10hipError_tPvRmT1_T2_T3_mT4_P12ihipStream_tbEUlT_E1_NS1_11comp_targetILNS1_3genE2ELNS1_11target_archE906ELNS1_3gpuE6ELNS1_3repE0EEENS1_30default_config_static_selectorELNS0_4arch9wavefront6targetE1EEEvS17_: ; @_ZN7rocprim17ROCPRIM_400000_NS6detail17trampoline_kernelINS0_14default_configENS1_22reduce_config_selectorIN6thrust23THRUST_200600_302600_NS5tupleIblNS6_9null_typeES8_S8_S8_S8_S8_S8_S8_EEEEZNS1_11reduce_implILb1ES3_NS6_12zip_iteratorINS7_INS6_11hip_rocprim26transform_input_iterator_tIbPhNS6_6detail10functional5actorINSH_9compositeIJNSH_27transparent_binary_operatorINS6_8equal_toIvEEEENSI_INSH_8argumentILj0EEEEENSH_5valueIhEEEEEEEEENSD_19counting_iterator_tIlEES8_S8_S8_S8_S8_S8_S8_S8_EEEEPS9_S9_NSD_9__find_if7functorIS9_EEEE10hipError_tPvRmT1_T2_T3_mT4_P12ihipStream_tbEUlT_E1_NS1_11comp_targetILNS1_3genE2ELNS1_11target_archE906ELNS1_3gpuE6ELNS1_3repE0EEENS1_30default_config_static_selectorELNS0_4arch9wavefront6targetE1EEEvS17_
; %bb.0:
	.section	.rodata,"a",@progbits
	.p2align	6, 0x0
	.amdhsa_kernel _ZN7rocprim17ROCPRIM_400000_NS6detail17trampoline_kernelINS0_14default_configENS1_22reduce_config_selectorIN6thrust23THRUST_200600_302600_NS5tupleIblNS6_9null_typeES8_S8_S8_S8_S8_S8_S8_EEEEZNS1_11reduce_implILb1ES3_NS6_12zip_iteratorINS7_INS6_11hip_rocprim26transform_input_iterator_tIbPhNS6_6detail10functional5actorINSH_9compositeIJNSH_27transparent_binary_operatorINS6_8equal_toIvEEEENSI_INSH_8argumentILj0EEEEENSH_5valueIhEEEEEEEEENSD_19counting_iterator_tIlEES8_S8_S8_S8_S8_S8_S8_S8_EEEEPS9_S9_NSD_9__find_if7functorIS9_EEEE10hipError_tPvRmT1_T2_T3_mT4_P12ihipStream_tbEUlT_E1_NS1_11comp_targetILNS1_3genE2ELNS1_11target_archE906ELNS1_3gpuE6ELNS1_3repE0EEENS1_30default_config_static_selectorELNS0_4arch9wavefront6targetE1EEEvS17_
		.amdhsa_group_segment_fixed_size 0
		.amdhsa_private_segment_fixed_size 0
		.amdhsa_kernarg_size 72
		.amdhsa_user_sgpr_count 6
		.amdhsa_user_sgpr_private_segment_buffer 1
		.amdhsa_user_sgpr_dispatch_ptr 0
		.amdhsa_user_sgpr_queue_ptr 0
		.amdhsa_user_sgpr_kernarg_segment_ptr 1
		.amdhsa_user_sgpr_dispatch_id 0
		.amdhsa_user_sgpr_flat_scratch_init 0
		.amdhsa_user_sgpr_kernarg_preload_length 0
		.amdhsa_user_sgpr_kernarg_preload_offset 0
		.amdhsa_user_sgpr_private_segment_size 0
		.amdhsa_uses_dynamic_stack 0
		.amdhsa_system_sgpr_private_segment_wavefront_offset 0
		.amdhsa_system_sgpr_workgroup_id_x 1
		.amdhsa_system_sgpr_workgroup_id_y 0
		.amdhsa_system_sgpr_workgroup_id_z 0
		.amdhsa_system_sgpr_workgroup_info 0
		.amdhsa_system_vgpr_workitem_id 0
		.amdhsa_next_free_vgpr 1
		.amdhsa_next_free_sgpr 0
		.amdhsa_accum_offset 4
		.amdhsa_reserve_vcc 0
		.amdhsa_reserve_flat_scratch 0
		.amdhsa_float_round_mode_32 0
		.amdhsa_float_round_mode_16_64 0
		.amdhsa_float_denorm_mode_32 3
		.amdhsa_float_denorm_mode_16_64 3
		.amdhsa_dx10_clamp 1
		.amdhsa_ieee_mode 1
		.amdhsa_fp16_overflow 0
		.amdhsa_tg_split 0
		.amdhsa_exception_fp_ieee_invalid_op 0
		.amdhsa_exception_fp_denorm_src 0
		.amdhsa_exception_fp_ieee_div_zero 0
		.amdhsa_exception_fp_ieee_overflow 0
		.amdhsa_exception_fp_ieee_underflow 0
		.amdhsa_exception_fp_ieee_inexact 0
		.amdhsa_exception_int_div_zero 0
	.end_amdhsa_kernel
	.section	.text._ZN7rocprim17ROCPRIM_400000_NS6detail17trampoline_kernelINS0_14default_configENS1_22reduce_config_selectorIN6thrust23THRUST_200600_302600_NS5tupleIblNS6_9null_typeES8_S8_S8_S8_S8_S8_S8_EEEEZNS1_11reduce_implILb1ES3_NS6_12zip_iteratorINS7_INS6_11hip_rocprim26transform_input_iterator_tIbPhNS6_6detail10functional5actorINSH_9compositeIJNSH_27transparent_binary_operatorINS6_8equal_toIvEEEENSI_INSH_8argumentILj0EEEEENSH_5valueIhEEEEEEEEENSD_19counting_iterator_tIlEES8_S8_S8_S8_S8_S8_S8_S8_EEEEPS9_S9_NSD_9__find_if7functorIS9_EEEE10hipError_tPvRmT1_T2_T3_mT4_P12ihipStream_tbEUlT_E1_NS1_11comp_targetILNS1_3genE2ELNS1_11target_archE906ELNS1_3gpuE6ELNS1_3repE0EEENS1_30default_config_static_selectorELNS0_4arch9wavefront6targetE1EEEvS17_,"axG",@progbits,_ZN7rocprim17ROCPRIM_400000_NS6detail17trampoline_kernelINS0_14default_configENS1_22reduce_config_selectorIN6thrust23THRUST_200600_302600_NS5tupleIblNS6_9null_typeES8_S8_S8_S8_S8_S8_S8_EEEEZNS1_11reduce_implILb1ES3_NS6_12zip_iteratorINS7_INS6_11hip_rocprim26transform_input_iterator_tIbPhNS6_6detail10functional5actorINSH_9compositeIJNSH_27transparent_binary_operatorINS6_8equal_toIvEEEENSI_INSH_8argumentILj0EEEEENSH_5valueIhEEEEEEEEENSD_19counting_iterator_tIlEES8_S8_S8_S8_S8_S8_S8_S8_EEEEPS9_S9_NSD_9__find_if7functorIS9_EEEE10hipError_tPvRmT1_T2_T3_mT4_P12ihipStream_tbEUlT_E1_NS1_11comp_targetILNS1_3genE2ELNS1_11target_archE906ELNS1_3gpuE6ELNS1_3repE0EEENS1_30default_config_static_selectorELNS0_4arch9wavefront6targetE1EEEvS17_,comdat
.Lfunc_end455:
	.size	_ZN7rocprim17ROCPRIM_400000_NS6detail17trampoline_kernelINS0_14default_configENS1_22reduce_config_selectorIN6thrust23THRUST_200600_302600_NS5tupleIblNS6_9null_typeES8_S8_S8_S8_S8_S8_S8_EEEEZNS1_11reduce_implILb1ES3_NS6_12zip_iteratorINS7_INS6_11hip_rocprim26transform_input_iterator_tIbPhNS6_6detail10functional5actorINSH_9compositeIJNSH_27transparent_binary_operatorINS6_8equal_toIvEEEENSI_INSH_8argumentILj0EEEEENSH_5valueIhEEEEEEEEENSD_19counting_iterator_tIlEES8_S8_S8_S8_S8_S8_S8_S8_EEEEPS9_S9_NSD_9__find_if7functorIS9_EEEE10hipError_tPvRmT1_T2_T3_mT4_P12ihipStream_tbEUlT_E1_NS1_11comp_targetILNS1_3genE2ELNS1_11target_archE906ELNS1_3gpuE6ELNS1_3repE0EEENS1_30default_config_static_selectorELNS0_4arch9wavefront6targetE1EEEvS17_, .Lfunc_end455-_ZN7rocprim17ROCPRIM_400000_NS6detail17trampoline_kernelINS0_14default_configENS1_22reduce_config_selectorIN6thrust23THRUST_200600_302600_NS5tupleIblNS6_9null_typeES8_S8_S8_S8_S8_S8_S8_EEEEZNS1_11reduce_implILb1ES3_NS6_12zip_iteratorINS7_INS6_11hip_rocprim26transform_input_iterator_tIbPhNS6_6detail10functional5actorINSH_9compositeIJNSH_27transparent_binary_operatorINS6_8equal_toIvEEEENSI_INSH_8argumentILj0EEEEENSH_5valueIhEEEEEEEEENSD_19counting_iterator_tIlEES8_S8_S8_S8_S8_S8_S8_S8_EEEEPS9_S9_NSD_9__find_if7functorIS9_EEEE10hipError_tPvRmT1_T2_T3_mT4_P12ihipStream_tbEUlT_E1_NS1_11comp_targetILNS1_3genE2ELNS1_11target_archE906ELNS1_3gpuE6ELNS1_3repE0EEENS1_30default_config_static_selectorELNS0_4arch9wavefront6targetE1EEEvS17_
                                        ; -- End function
	.section	.AMDGPU.csdata,"",@progbits
; Kernel info:
; codeLenInByte = 0
; NumSgprs: 4
; NumVgprs: 0
; NumAgprs: 0
; TotalNumVgprs: 0
; ScratchSize: 0
; MemoryBound: 0
; FloatMode: 240
; IeeeMode: 1
; LDSByteSize: 0 bytes/workgroup (compile time only)
; SGPRBlocks: 0
; VGPRBlocks: 0
; NumSGPRsForWavesPerEU: 4
; NumVGPRsForWavesPerEU: 1
; AccumOffset: 4
; Occupancy: 8
; WaveLimiterHint : 0
; COMPUTE_PGM_RSRC2:SCRATCH_EN: 0
; COMPUTE_PGM_RSRC2:USER_SGPR: 6
; COMPUTE_PGM_RSRC2:TRAP_HANDLER: 0
; COMPUTE_PGM_RSRC2:TGID_X_EN: 1
; COMPUTE_PGM_RSRC2:TGID_Y_EN: 0
; COMPUTE_PGM_RSRC2:TGID_Z_EN: 0
; COMPUTE_PGM_RSRC2:TIDIG_COMP_CNT: 0
; COMPUTE_PGM_RSRC3_GFX90A:ACCUM_OFFSET: 0
; COMPUTE_PGM_RSRC3_GFX90A:TG_SPLIT: 0
	.section	.text._ZN7rocprim17ROCPRIM_400000_NS6detail17trampoline_kernelINS0_14default_configENS1_22reduce_config_selectorIN6thrust23THRUST_200600_302600_NS5tupleIblNS6_9null_typeES8_S8_S8_S8_S8_S8_S8_EEEEZNS1_11reduce_implILb1ES3_NS6_12zip_iteratorINS7_INS6_11hip_rocprim26transform_input_iterator_tIbPhNS6_6detail10functional5actorINSH_9compositeIJNSH_27transparent_binary_operatorINS6_8equal_toIvEEEENSI_INSH_8argumentILj0EEEEENSH_5valueIhEEEEEEEEENSD_19counting_iterator_tIlEES8_S8_S8_S8_S8_S8_S8_S8_EEEEPS9_S9_NSD_9__find_if7functorIS9_EEEE10hipError_tPvRmT1_T2_T3_mT4_P12ihipStream_tbEUlT_E1_NS1_11comp_targetILNS1_3genE10ELNS1_11target_archE1201ELNS1_3gpuE5ELNS1_3repE0EEENS1_30default_config_static_selectorELNS0_4arch9wavefront6targetE1EEEvS17_,"axG",@progbits,_ZN7rocprim17ROCPRIM_400000_NS6detail17trampoline_kernelINS0_14default_configENS1_22reduce_config_selectorIN6thrust23THRUST_200600_302600_NS5tupleIblNS6_9null_typeES8_S8_S8_S8_S8_S8_S8_EEEEZNS1_11reduce_implILb1ES3_NS6_12zip_iteratorINS7_INS6_11hip_rocprim26transform_input_iterator_tIbPhNS6_6detail10functional5actorINSH_9compositeIJNSH_27transparent_binary_operatorINS6_8equal_toIvEEEENSI_INSH_8argumentILj0EEEEENSH_5valueIhEEEEEEEEENSD_19counting_iterator_tIlEES8_S8_S8_S8_S8_S8_S8_S8_EEEEPS9_S9_NSD_9__find_if7functorIS9_EEEE10hipError_tPvRmT1_T2_T3_mT4_P12ihipStream_tbEUlT_E1_NS1_11comp_targetILNS1_3genE10ELNS1_11target_archE1201ELNS1_3gpuE5ELNS1_3repE0EEENS1_30default_config_static_selectorELNS0_4arch9wavefront6targetE1EEEvS17_,comdat
	.protected	_ZN7rocprim17ROCPRIM_400000_NS6detail17trampoline_kernelINS0_14default_configENS1_22reduce_config_selectorIN6thrust23THRUST_200600_302600_NS5tupleIblNS6_9null_typeES8_S8_S8_S8_S8_S8_S8_EEEEZNS1_11reduce_implILb1ES3_NS6_12zip_iteratorINS7_INS6_11hip_rocprim26transform_input_iterator_tIbPhNS6_6detail10functional5actorINSH_9compositeIJNSH_27transparent_binary_operatorINS6_8equal_toIvEEEENSI_INSH_8argumentILj0EEEEENSH_5valueIhEEEEEEEEENSD_19counting_iterator_tIlEES8_S8_S8_S8_S8_S8_S8_S8_EEEEPS9_S9_NSD_9__find_if7functorIS9_EEEE10hipError_tPvRmT1_T2_T3_mT4_P12ihipStream_tbEUlT_E1_NS1_11comp_targetILNS1_3genE10ELNS1_11target_archE1201ELNS1_3gpuE5ELNS1_3repE0EEENS1_30default_config_static_selectorELNS0_4arch9wavefront6targetE1EEEvS17_ ; -- Begin function _ZN7rocprim17ROCPRIM_400000_NS6detail17trampoline_kernelINS0_14default_configENS1_22reduce_config_selectorIN6thrust23THRUST_200600_302600_NS5tupleIblNS6_9null_typeES8_S8_S8_S8_S8_S8_S8_EEEEZNS1_11reduce_implILb1ES3_NS6_12zip_iteratorINS7_INS6_11hip_rocprim26transform_input_iterator_tIbPhNS6_6detail10functional5actorINSH_9compositeIJNSH_27transparent_binary_operatorINS6_8equal_toIvEEEENSI_INSH_8argumentILj0EEEEENSH_5valueIhEEEEEEEEENSD_19counting_iterator_tIlEES8_S8_S8_S8_S8_S8_S8_S8_EEEEPS9_S9_NSD_9__find_if7functorIS9_EEEE10hipError_tPvRmT1_T2_T3_mT4_P12ihipStream_tbEUlT_E1_NS1_11comp_targetILNS1_3genE10ELNS1_11target_archE1201ELNS1_3gpuE5ELNS1_3repE0EEENS1_30default_config_static_selectorELNS0_4arch9wavefront6targetE1EEEvS17_
	.globl	_ZN7rocprim17ROCPRIM_400000_NS6detail17trampoline_kernelINS0_14default_configENS1_22reduce_config_selectorIN6thrust23THRUST_200600_302600_NS5tupleIblNS6_9null_typeES8_S8_S8_S8_S8_S8_S8_EEEEZNS1_11reduce_implILb1ES3_NS6_12zip_iteratorINS7_INS6_11hip_rocprim26transform_input_iterator_tIbPhNS6_6detail10functional5actorINSH_9compositeIJNSH_27transparent_binary_operatorINS6_8equal_toIvEEEENSI_INSH_8argumentILj0EEEEENSH_5valueIhEEEEEEEEENSD_19counting_iterator_tIlEES8_S8_S8_S8_S8_S8_S8_S8_EEEEPS9_S9_NSD_9__find_if7functorIS9_EEEE10hipError_tPvRmT1_T2_T3_mT4_P12ihipStream_tbEUlT_E1_NS1_11comp_targetILNS1_3genE10ELNS1_11target_archE1201ELNS1_3gpuE5ELNS1_3repE0EEENS1_30default_config_static_selectorELNS0_4arch9wavefront6targetE1EEEvS17_
	.p2align	8
	.type	_ZN7rocprim17ROCPRIM_400000_NS6detail17trampoline_kernelINS0_14default_configENS1_22reduce_config_selectorIN6thrust23THRUST_200600_302600_NS5tupleIblNS6_9null_typeES8_S8_S8_S8_S8_S8_S8_EEEEZNS1_11reduce_implILb1ES3_NS6_12zip_iteratorINS7_INS6_11hip_rocprim26transform_input_iterator_tIbPhNS6_6detail10functional5actorINSH_9compositeIJNSH_27transparent_binary_operatorINS6_8equal_toIvEEEENSI_INSH_8argumentILj0EEEEENSH_5valueIhEEEEEEEEENSD_19counting_iterator_tIlEES8_S8_S8_S8_S8_S8_S8_S8_EEEEPS9_S9_NSD_9__find_if7functorIS9_EEEE10hipError_tPvRmT1_T2_T3_mT4_P12ihipStream_tbEUlT_E1_NS1_11comp_targetILNS1_3genE10ELNS1_11target_archE1201ELNS1_3gpuE5ELNS1_3repE0EEENS1_30default_config_static_selectorELNS0_4arch9wavefront6targetE1EEEvS17_,@function
_ZN7rocprim17ROCPRIM_400000_NS6detail17trampoline_kernelINS0_14default_configENS1_22reduce_config_selectorIN6thrust23THRUST_200600_302600_NS5tupleIblNS6_9null_typeES8_S8_S8_S8_S8_S8_S8_EEEEZNS1_11reduce_implILb1ES3_NS6_12zip_iteratorINS7_INS6_11hip_rocprim26transform_input_iterator_tIbPhNS6_6detail10functional5actorINSH_9compositeIJNSH_27transparent_binary_operatorINS6_8equal_toIvEEEENSI_INSH_8argumentILj0EEEEENSH_5valueIhEEEEEEEEENSD_19counting_iterator_tIlEES8_S8_S8_S8_S8_S8_S8_S8_EEEEPS9_S9_NSD_9__find_if7functorIS9_EEEE10hipError_tPvRmT1_T2_T3_mT4_P12ihipStream_tbEUlT_E1_NS1_11comp_targetILNS1_3genE10ELNS1_11target_archE1201ELNS1_3gpuE5ELNS1_3repE0EEENS1_30default_config_static_selectorELNS0_4arch9wavefront6targetE1EEEvS17_: ; @_ZN7rocprim17ROCPRIM_400000_NS6detail17trampoline_kernelINS0_14default_configENS1_22reduce_config_selectorIN6thrust23THRUST_200600_302600_NS5tupleIblNS6_9null_typeES8_S8_S8_S8_S8_S8_S8_EEEEZNS1_11reduce_implILb1ES3_NS6_12zip_iteratorINS7_INS6_11hip_rocprim26transform_input_iterator_tIbPhNS6_6detail10functional5actorINSH_9compositeIJNSH_27transparent_binary_operatorINS6_8equal_toIvEEEENSI_INSH_8argumentILj0EEEEENSH_5valueIhEEEEEEEEENSD_19counting_iterator_tIlEES8_S8_S8_S8_S8_S8_S8_S8_EEEEPS9_S9_NSD_9__find_if7functorIS9_EEEE10hipError_tPvRmT1_T2_T3_mT4_P12ihipStream_tbEUlT_E1_NS1_11comp_targetILNS1_3genE10ELNS1_11target_archE1201ELNS1_3gpuE5ELNS1_3repE0EEENS1_30default_config_static_selectorELNS0_4arch9wavefront6targetE1EEEvS17_
; %bb.0:
	.section	.rodata,"a",@progbits
	.p2align	6, 0x0
	.amdhsa_kernel _ZN7rocprim17ROCPRIM_400000_NS6detail17trampoline_kernelINS0_14default_configENS1_22reduce_config_selectorIN6thrust23THRUST_200600_302600_NS5tupleIblNS6_9null_typeES8_S8_S8_S8_S8_S8_S8_EEEEZNS1_11reduce_implILb1ES3_NS6_12zip_iteratorINS7_INS6_11hip_rocprim26transform_input_iterator_tIbPhNS6_6detail10functional5actorINSH_9compositeIJNSH_27transparent_binary_operatorINS6_8equal_toIvEEEENSI_INSH_8argumentILj0EEEEENSH_5valueIhEEEEEEEEENSD_19counting_iterator_tIlEES8_S8_S8_S8_S8_S8_S8_S8_EEEEPS9_S9_NSD_9__find_if7functorIS9_EEEE10hipError_tPvRmT1_T2_T3_mT4_P12ihipStream_tbEUlT_E1_NS1_11comp_targetILNS1_3genE10ELNS1_11target_archE1201ELNS1_3gpuE5ELNS1_3repE0EEENS1_30default_config_static_selectorELNS0_4arch9wavefront6targetE1EEEvS17_
		.amdhsa_group_segment_fixed_size 0
		.amdhsa_private_segment_fixed_size 0
		.amdhsa_kernarg_size 72
		.amdhsa_user_sgpr_count 6
		.amdhsa_user_sgpr_private_segment_buffer 1
		.amdhsa_user_sgpr_dispatch_ptr 0
		.amdhsa_user_sgpr_queue_ptr 0
		.amdhsa_user_sgpr_kernarg_segment_ptr 1
		.amdhsa_user_sgpr_dispatch_id 0
		.amdhsa_user_sgpr_flat_scratch_init 0
		.amdhsa_user_sgpr_kernarg_preload_length 0
		.amdhsa_user_sgpr_kernarg_preload_offset 0
		.amdhsa_user_sgpr_private_segment_size 0
		.amdhsa_uses_dynamic_stack 0
		.amdhsa_system_sgpr_private_segment_wavefront_offset 0
		.amdhsa_system_sgpr_workgroup_id_x 1
		.amdhsa_system_sgpr_workgroup_id_y 0
		.amdhsa_system_sgpr_workgroup_id_z 0
		.amdhsa_system_sgpr_workgroup_info 0
		.amdhsa_system_vgpr_workitem_id 0
		.amdhsa_next_free_vgpr 1
		.amdhsa_next_free_sgpr 0
		.amdhsa_accum_offset 4
		.amdhsa_reserve_vcc 0
		.amdhsa_reserve_flat_scratch 0
		.amdhsa_float_round_mode_32 0
		.amdhsa_float_round_mode_16_64 0
		.amdhsa_float_denorm_mode_32 3
		.amdhsa_float_denorm_mode_16_64 3
		.amdhsa_dx10_clamp 1
		.amdhsa_ieee_mode 1
		.amdhsa_fp16_overflow 0
		.amdhsa_tg_split 0
		.amdhsa_exception_fp_ieee_invalid_op 0
		.amdhsa_exception_fp_denorm_src 0
		.amdhsa_exception_fp_ieee_div_zero 0
		.amdhsa_exception_fp_ieee_overflow 0
		.amdhsa_exception_fp_ieee_underflow 0
		.amdhsa_exception_fp_ieee_inexact 0
		.amdhsa_exception_int_div_zero 0
	.end_amdhsa_kernel
	.section	.text._ZN7rocprim17ROCPRIM_400000_NS6detail17trampoline_kernelINS0_14default_configENS1_22reduce_config_selectorIN6thrust23THRUST_200600_302600_NS5tupleIblNS6_9null_typeES8_S8_S8_S8_S8_S8_S8_EEEEZNS1_11reduce_implILb1ES3_NS6_12zip_iteratorINS7_INS6_11hip_rocprim26transform_input_iterator_tIbPhNS6_6detail10functional5actorINSH_9compositeIJNSH_27transparent_binary_operatorINS6_8equal_toIvEEEENSI_INSH_8argumentILj0EEEEENSH_5valueIhEEEEEEEEENSD_19counting_iterator_tIlEES8_S8_S8_S8_S8_S8_S8_S8_EEEEPS9_S9_NSD_9__find_if7functorIS9_EEEE10hipError_tPvRmT1_T2_T3_mT4_P12ihipStream_tbEUlT_E1_NS1_11comp_targetILNS1_3genE10ELNS1_11target_archE1201ELNS1_3gpuE5ELNS1_3repE0EEENS1_30default_config_static_selectorELNS0_4arch9wavefront6targetE1EEEvS17_,"axG",@progbits,_ZN7rocprim17ROCPRIM_400000_NS6detail17trampoline_kernelINS0_14default_configENS1_22reduce_config_selectorIN6thrust23THRUST_200600_302600_NS5tupleIblNS6_9null_typeES8_S8_S8_S8_S8_S8_S8_EEEEZNS1_11reduce_implILb1ES3_NS6_12zip_iteratorINS7_INS6_11hip_rocprim26transform_input_iterator_tIbPhNS6_6detail10functional5actorINSH_9compositeIJNSH_27transparent_binary_operatorINS6_8equal_toIvEEEENSI_INSH_8argumentILj0EEEEENSH_5valueIhEEEEEEEEENSD_19counting_iterator_tIlEES8_S8_S8_S8_S8_S8_S8_S8_EEEEPS9_S9_NSD_9__find_if7functorIS9_EEEE10hipError_tPvRmT1_T2_T3_mT4_P12ihipStream_tbEUlT_E1_NS1_11comp_targetILNS1_3genE10ELNS1_11target_archE1201ELNS1_3gpuE5ELNS1_3repE0EEENS1_30default_config_static_selectorELNS0_4arch9wavefront6targetE1EEEvS17_,comdat
.Lfunc_end456:
	.size	_ZN7rocprim17ROCPRIM_400000_NS6detail17trampoline_kernelINS0_14default_configENS1_22reduce_config_selectorIN6thrust23THRUST_200600_302600_NS5tupleIblNS6_9null_typeES8_S8_S8_S8_S8_S8_S8_EEEEZNS1_11reduce_implILb1ES3_NS6_12zip_iteratorINS7_INS6_11hip_rocprim26transform_input_iterator_tIbPhNS6_6detail10functional5actorINSH_9compositeIJNSH_27transparent_binary_operatorINS6_8equal_toIvEEEENSI_INSH_8argumentILj0EEEEENSH_5valueIhEEEEEEEEENSD_19counting_iterator_tIlEES8_S8_S8_S8_S8_S8_S8_S8_EEEEPS9_S9_NSD_9__find_if7functorIS9_EEEE10hipError_tPvRmT1_T2_T3_mT4_P12ihipStream_tbEUlT_E1_NS1_11comp_targetILNS1_3genE10ELNS1_11target_archE1201ELNS1_3gpuE5ELNS1_3repE0EEENS1_30default_config_static_selectorELNS0_4arch9wavefront6targetE1EEEvS17_, .Lfunc_end456-_ZN7rocprim17ROCPRIM_400000_NS6detail17trampoline_kernelINS0_14default_configENS1_22reduce_config_selectorIN6thrust23THRUST_200600_302600_NS5tupleIblNS6_9null_typeES8_S8_S8_S8_S8_S8_S8_EEEEZNS1_11reduce_implILb1ES3_NS6_12zip_iteratorINS7_INS6_11hip_rocprim26transform_input_iterator_tIbPhNS6_6detail10functional5actorINSH_9compositeIJNSH_27transparent_binary_operatorINS6_8equal_toIvEEEENSI_INSH_8argumentILj0EEEEENSH_5valueIhEEEEEEEEENSD_19counting_iterator_tIlEES8_S8_S8_S8_S8_S8_S8_S8_EEEEPS9_S9_NSD_9__find_if7functorIS9_EEEE10hipError_tPvRmT1_T2_T3_mT4_P12ihipStream_tbEUlT_E1_NS1_11comp_targetILNS1_3genE10ELNS1_11target_archE1201ELNS1_3gpuE5ELNS1_3repE0EEENS1_30default_config_static_selectorELNS0_4arch9wavefront6targetE1EEEvS17_
                                        ; -- End function
	.section	.AMDGPU.csdata,"",@progbits
; Kernel info:
; codeLenInByte = 0
; NumSgprs: 4
; NumVgprs: 0
; NumAgprs: 0
; TotalNumVgprs: 0
; ScratchSize: 0
; MemoryBound: 0
; FloatMode: 240
; IeeeMode: 1
; LDSByteSize: 0 bytes/workgroup (compile time only)
; SGPRBlocks: 0
; VGPRBlocks: 0
; NumSGPRsForWavesPerEU: 4
; NumVGPRsForWavesPerEU: 1
; AccumOffset: 4
; Occupancy: 8
; WaveLimiterHint : 0
; COMPUTE_PGM_RSRC2:SCRATCH_EN: 0
; COMPUTE_PGM_RSRC2:USER_SGPR: 6
; COMPUTE_PGM_RSRC2:TRAP_HANDLER: 0
; COMPUTE_PGM_RSRC2:TGID_X_EN: 1
; COMPUTE_PGM_RSRC2:TGID_Y_EN: 0
; COMPUTE_PGM_RSRC2:TGID_Z_EN: 0
; COMPUTE_PGM_RSRC2:TIDIG_COMP_CNT: 0
; COMPUTE_PGM_RSRC3_GFX90A:ACCUM_OFFSET: 0
; COMPUTE_PGM_RSRC3_GFX90A:TG_SPLIT: 0
	.section	.text._ZN7rocprim17ROCPRIM_400000_NS6detail17trampoline_kernelINS0_14default_configENS1_22reduce_config_selectorIN6thrust23THRUST_200600_302600_NS5tupleIblNS6_9null_typeES8_S8_S8_S8_S8_S8_S8_EEEEZNS1_11reduce_implILb1ES3_NS6_12zip_iteratorINS7_INS6_11hip_rocprim26transform_input_iterator_tIbPhNS6_6detail10functional5actorINSH_9compositeIJNSH_27transparent_binary_operatorINS6_8equal_toIvEEEENSI_INSH_8argumentILj0EEEEENSH_5valueIhEEEEEEEEENSD_19counting_iterator_tIlEES8_S8_S8_S8_S8_S8_S8_S8_EEEEPS9_S9_NSD_9__find_if7functorIS9_EEEE10hipError_tPvRmT1_T2_T3_mT4_P12ihipStream_tbEUlT_E1_NS1_11comp_targetILNS1_3genE10ELNS1_11target_archE1200ELNS1_3gpuE4ELNS1_3repE0EEENS1_30default_config_static_selectorELNS0_4arch9wavefront6targetE1EEEvS17_,"axG",@progbits,_ZN7rocprim17ROCPRIM_400000_NS6detail17trampoline_kernelINS0_14default_configENS1_22reduce_config_selectorIN6thrust23THRUST_200600_302600_NS5tupleIblNS6_9null_typeES8_S8_S8_S8_S8_S8_S8_EEEEZNS1_11reduce_implILb1ES3_NS6_12zip_iteratorINS7_INS6_11hip_rocprim26transform_input_iterator_tIbPhNS6_6detail10functional5actorINSH_9compositeIJNSH_27transparent_binary_operatorINS6_8equal_toIvEEEENSI_INSH_8argumentILj0EEEEENSH_5valueIhEEEEEEEEENSD_19counting_iterator_tIlEES8_S8_S8_S8_S8_S8_S8_S8_EEEEPS9_S9_NSD_9__find_if7functorIS9_EEEE10hipError_tPvRmT1_T2_T3_mT4_P12ihipStream_tbEUlT_E1_NS1_11comp_targetILNS1_3genE10ELNS1_11target_archE1200ELNS1_3gpuE4ELNS1_3repE0EEENS1_30default_config_static_selectorELNS0_4arch9wavefront6targetE1EEEvS17_,comdat
	.protected	_ZN7rocprim17ROCPRIM_400000_NS6detail17trampoline_kernelINS0_14default_configENS1_22reduce_config_selectorIN6thrust23THRUST_200600_302600_NS5tupleIblNS6_9null_typeES8_S8_S8_S8_S8_S8_S8_EEEEZNS1_11reduce_implILb1ES3_NS6_12zip_iteratorINS7_INS6_11hip_rocprim26transform_input_iterator_tIbPhNS6_6detail10functional5actorINSH_9compositeIJNSH_27transparent_binary_operatorINS6_8equal_toIvEEEENSI_INSH_8argumentILj0EEEEENSH_5valueIhEEEEEEEEENSD_19counting_iterator_tIlEES8_S8_S8_S8_S8_S8_S8_S8_EEEEPS9_S9_NSD_9__find_if7functorIS9_EEEE10hipError_tPvRmT1_T2_T3_mT4_P12ihipStream_tbEUlT_E1_NS1_11comp_targetILNS1_3genE10ELNS1_11target_archE1200ELNS1_3gpuE4ELNS1_3repE0EEENS1_30default_config_static_selectorELNS0_4arch9wavefront6targetE1EEEvS17_ ; -- Begin function _ZN7rocprim17ROCPRIM_400000_NS6detail17trampoline_kernelINS0_14default_configENS1_22reduce_config_selectorIN6thrust23THRUST_200600_302600_NS5tupleIblNS6_9null_typeES8_S8_S8_S8_S8_S8_S8_EEEEZNS1_11reduce_implILb1ES3_NS6_12zip_iteratorINS7_INS6_11hip_rocprim26transform_input_iterator_tIbPhNS6_6detail10functional5actorINSH_9compositeIJNSH_27transparent_binary_operatorINS6_8equal_toIvEEEENSI_INSH_8argumentILj0EEEEENSH_5valueIhEEEEEEEEENSD_19counting_iterator_tIlEES8_S8_S8_S8_S8_S8_S8_S8_EEEEPS9_S9_NSD_9__find_if7functorIS9_EEEE10hipError_tPvRmT1_T2_T3_mT4_P12ihipStream_tbEUlT_E1_NS1_11comp_targetILNS1_3genE10ELNS1_11target_archE1200ELNS1_3gpuE4ELNS1_3repE0EEENS1_30default_config_static_selectorELNS0_4arch9wavefront6targetE1EEEvS17_
	.globl	_ZN7rocprim17ROCPRIM_400000_NS6detail17trampoline_kernelINS0_14default_configENS1_22reduce_config_selectorIN6thrust23THRUST_200600_302600_NS5tupleIblNS6_9null_typeES8_S8_S8_S8_S8_S8_S8_EEEEZNS1_11reduce_implILb1ES3_NS6_12zip_iteratorINS7_INS6_11hip_rocprim26transform_input_iterator_tIbPhNS6_6detail10functional5actorINSH_9compositeIJNSH_27transparent_binary_operatorINS6_8equal_toIvEEEENSI_INSH_8argumentILj0EEEEENSH_5valueIhEEEEEEEEENSD_19counting_iterator_tIlEES8_S8_S8_S8_S8_S8_S8_S8_EEEEPS9_S9_NSD_9__find_if7functorIS9_EEEE10hipError_tPvRmT1_T2_T3_mT4_P12ihipStream_tbEUlT_E1_NS1_11comp_targetILNS1_3genE10ELNS1_11target_archE1200ELNS1_3gpuE4ELNS1_3repE0EEENS1_30default_config_static_selectorELNS0_4arch9wavefront6targetE1EEEvS17_
	.p2align	8
	.type	_ZN7rocprim17ROCPRIM_400000_NS6detail17trampoline_kernelINS0_14default_configENS1_22reduce_config_selectorIN6thrust23THRUST_200600_302600_NS5tupleIblNS6_9null_typeES8_S8_S8_S8_S8_S8_S8_EEEEZNS1_11reduce_implILb1ES3_NS6_12zip_iteratorINS7_INS6_11hip_rocprim26transform_input_iterator_tIbPhNS6_6detail10functional5actorINSH_9compositeIJNSH_27transparent_binary_operatorINS6_8equal_toIvEEEENSI_INSH_8argumentILj0EEEEENSH_5valueIhEEEEEEEEENSD_19counting_iterator_tIlEES8_S8_S8_S8_S8_S8_S8_S8_EEEEPS9_S9_NSD_9__find_if7functorIS9_EEEE10hipError_tPvRmT1_T2_T3_mT4_P12ihipStream_tbEUlT_E1_NS1_11comp_targetILNS1_3genE10ELNS1_11target_archE1200ELNS1_3gpuE4ELNS1_3repE0EEENS1_30default_config_static_selectorELNS0_4arch9wavefront6targetE1EEEvS17_,@function
_ZN7rocprim17ROCPRIM_400000_NS6detail17trampoline_kernelINS0_14default_configENS1_22reduce_config_selectorIN6thrust23THRUST_200600_302600_NS5tupleIblNS6_9null_typeES8_S8_S8_S8_S8_S8_S8_EEEEZNS1_11reduce_implILb1ES3_NS6_12zip_iteratorINS7_INS6_11hip_rocprim26transform_input_iterator_tIbPhNS6_6detail10functional5actorINSH_9compositeIJNSH_27transparent_binary_operatorINS6_8equal_toIvEEEENSI_INSH_8argumentILj0EEEEENSH_5valueIhEEEEEEEEENSD_19counting_iterator_tIlEES8_S8_S8_S8_S8_S8_S8_S8_EEEEPS9_S9_NSD_9__find_if7functorIS9_EEEE10hipError_tPvRmT1_T2_T3_mT4_P12ihipStream_tbEUlT_E1_NS1_11comp_targetILNS1_3genE10ELNS1_11target_archE1200ELNS1_3gpuE4ELNS1_3repE0EEENS1_30default_config_static_selectorELNS0_4arch9wavefront6targetE1EEEvS17_: ; @_ZN7rocprim17ROCPRIM_400000_NS6detail17trampoline_kernelINS0_14default_configENS1_22reduce_config_selectorIN6thrust23THRUST_200600_302600_NS5tupleIblNS6_9null_typeES8_S8_S8_S8_S8_S8_S8_EEEEZNS1_11reduce_implILb1ES3_NS6_12zip_iteratorINS7_INS6_11hip_rocprim26transform_input_iterator_tIbPhNS6_6detail10functional5actorINSH_9compositeIJNSH_27transparent_binary_operatorINS6_8equal_toIvEEEENSI_INSH_8argumentILj0EEEEENSH_5valueIhEEEEEEEEENSD_19counting_iterator_tIlEES8_S8_S8_S8_S8_S8_S8_S8_EEEEPS9_S9_NSD_9__find_if7functorIS9_EEEE10hipError_tPvRmT1_T2_T3_mT4_P12ihipStream_tbEUlT_E1_NS1_11comp_targetILNS1_3genE10ELNS1_11target_archE1200ELNS1_3gpuE4ELNS1_3repE0EEENS1_30default_config_static_selectorELNS0_4arch9wavefront6targetE1EEEvS17_
; %bb.0:
	.section	.rodata,"a",@progbits
	.p2align	6, 0x0
	.amdhsa_kernel _ZN7rocprim17ROCPRIM_400000_NS6detail17trampoline_kernelINS0_14default_configENS1_22reduce_config_selectorIN6thrust23THRUST_200600_302600_NS5tupleIblNS6_9null_typeES8_S8_S8_S8_S8_S8_S8_EEEEZNS1_11reduce_implILb1ES3_NS6_12zip_iteratorINS7_INS6_11hip_rocprim26transform_input_iterator_tIbPhNS6_6detail10functional5actorINSH_9compositeIJNSH_27transparent_binary_operatorINS6_8equal_toIvEEEENSI_INSH_8argumentILj0EEEEENSH_5valueIhEEEEEEEEENSD_19counting_iterator_tIlEES8_S8_S8_S8_S8_S8_S8_S8_EEEEPS9_S9_NSD_9__find_if7functorIS9_EEEE10hipError_tPvRmT1_T2_T3_mT4_P12ihipStream_tbEUlT_E1_NS1_11comp_targetILNS1_3genE10ELNS1_11target_archE1200ELNS1_3gpuE4ELNS1_3repE0EEENS1_30default_config_static_selectorELNS0_4arch9wavefront6targetE1EEEvS17_
		.amdhsa_group_segment_fixed_size 0
		.amdhsa_private_segment_fixed_size 0
		.amdhsa_kernarg_size 72
		.amdhsa_user_sgpr_count 6
		.amdhsa_user_sgpr_private_segment_buffer 1
		.amdhsa_user_sgpr_dispatch_ptr 0
		.amdhsa_user_sgpr_queue_ptr 0
		.amdhsa_user_sgpr_kernarg_segment_ptr 1
		.amdhsa_user_sgpr_dispatch_id 0
		.amdhsa_user_sgpr_flat_scratch_init 0
		.amdhsa_user_sgpr_kernarg_preload_length 0
		.amdhsa_user_sgpr_kernarg_preload_offset 0
		.amdhsa_user_sgpr_private_segment_size 0
		.amdhsa_uses_dynamic_stack 0
		.amdhsa_system_sgpr_private_segment_wavefront_offset 0
		.amdhsa_system_sgpr_workgroup_id_x 1
		.amdhsa_system_sgpr_workgroup_id_y 0
		.amdhsa_system_sgpr_workgroup_id_z 0
		.amdhsa_system_sgpr_workgroup_info 0
		.amdhsa_system_vgpr_workitem_id 0
		.amdhsa_next_free_vgpr 1
		.amdhsa_next_free_sgpr 0
		.amdhsa_accum_offset 4
		.amdhsa_reserve_vcc 0
		.amdhsa_reserve_flat_scratch 0
		.amdhsa_float_round_mode_32 0
		.amdhsa_float_round_mode_16_64 0
		.amdhsa_float_denorm_mode_32 3
		.amdhsa_float_denorm_mode_16_64 3
		.amdhsa_dx10_clamp 1
		.amdhsa_ieee_mode 1
		.amdhsa_fp16_overflow 0
		.amdhsa_tg_split 0
		.amdhsa_exception_fp_ieee_invalid_op 0
		.amdhsa_exception_fp_denorm_src 0
		.amdhsa_exception_fp_ieee_div_zero 0
		.amdhsa_exception_fp_ieee_overflow 0
		.amdhsa_exception_fp_ieee_underflow 0
		.amdhsa_exception_fp_ieee_inexact 0
		.amdhsa_exception_int_div_zero 0
	.end_amdhsa_kernel
	.section	.text._ZN7rocprim17ROCPRIM_400000_NS6detail17trampoline_kernelINS0_14default_configENS1_22reduce_config_selectorIN6thrust23THRUST_200600_302600_NS5tupleIblNS6_9null_typeES8_S8_S8_S8_S8_S8_S8_EEEEZNS1_11reduce_implILb1ES3_NS6_12zip_iteratorINS7_INS6_11hip_rocprim26transform_input_iterator_tIbPhNS6_6detail10functional5actorINSH_9compositeIJNSH_27transparent_binary_operatorINS6_8equal_toIvEEEENSI_INSH_8argumentILj0EEEEENSH_5valueIhEEEEEEEEENSD_19counting_iterator_tIlEES8_S8_S8_S8_S8_S8_S8_S8_EEEEPS9_S9_NSD_9__find_if7functorIS9_EEEE10hipError_tPvRmT1_T2_T3_mT4_P12ihipStream_tbEUlT_E1_NS1_11comp_targetILNS1_3genE10ELNS1_11target_archE1200ELNS1_3gpuE4ELNS1_3repE0EEENS1_30default_config_static_selectorELNS0_4arch9wavefront6targetE1EEEvS17_,"axG",@progbits,_ZN7rocprim17ROCPRIM_400000_NS6detail17trampoline_kernelINS0_14default_configENS1_22reduce_config_selectorIN6thrust23THRUST_200600_302600_NS5tupleIblNS6_9null_typeES8_S8_S8_S8_S8_S8_S8_EEEEZNS1_11reduce_implILb1ES3_NS6_12zip_iteratorINS7_INS6_11hip_rocprim26transform_input_iterator_tIbPhNS6_6detail10functional5actorINSH_9compositeIJNSH_27transparent_binary_operatorINS6_8equal_toIvEEEENSI_INSH_8argumentILj0EEEEENSH_5valueIhEEEEEEEEENSD_19counting_iterator_tIlEES8_S8_S8_S8_S8_S8_S8_S8_EEEEPS9_S9_NSD_9__find_if7functorIS9_EEEE10hipError_tPvRmT1_T2_T3_mT4_P12ihipStream_tbEUlT_E1_NS1_11comp_targetILNS1_3genE10ELNS1_11target_archE1200ELNS1_3gpuE4ELNS1_3repE0EEENS1_30default_config_static_selectorELNS0_4arch9wavefront6targetE1EEEvS17_,comdat
.Lfunc_end457:
	.size	_ZN7rocprim17ROCPRIM_400000_NS6detail17trampoline_kernelINS0_14default_configENS1_22reduce_config_selectorIN6thrust23THRUST_200600_302600_NS5tupleIblNS6_9null_typeES8_S8_S8_S8_S8_S8_S8_EEEEZNS1_11reduce_implILb1ES3_NS6_12zip_iteratorINS7_INS6_11hip_rocprim26transform_input_iterator_tIbPhNS6_6detail10functional5actorINSH_9compositeIJNSH_27transparent_binary_operatorINS6_8equal_toIvEEEENSI_INSH_8argumentILj0EEEEENSH_5valueIhEEEEEEEEENSD_19counting_iterator_tIlEES8_S8_S8_S8_S8_S8_S8_S8_EEEEPS9_S9_NSD_9__find_if7functorIS9_EEEE10hipError_tPvRmT1_T2_T3_mT4_P12ihipStream_tbEUlT_E1_NS1_11comp_targetILNS1_3genE10ELNS1_11target_archE1200ELNS1_3gpuE4ELNS1_3repE0EEENS1_30default_config_static_selectorELNS0_4arch9wavefront6targetE1EEEvS17_, .Lfunc_end457-_ZN7rocprim17ROCPRIM_400000_NS6detail17trampoline_kernelINS0_14default_configENS1_22reduce_config_selectorIN6thrust23THRUST_200600_302600_NS5tupleIblNS6_9null_typeES8_S8_S8_S8_S8_S8_S8_EEEEZNS1_11reduce_implILb1ES3_NS6_12zip_iteratorINS7_INS6_11hip_rocprim26transform_input_iterator_tIbPhNS6_6detail10functional5actorINSH_9compositeIJNSH_27transparent_binary_operatorINS6_8equal_toIvEEEENSI_INSH_8argumentILj0EEEEENSH_5valueIhEEEEEEEEENSD_19counting_iterator_tIlEES8_S8_S8_S8_S8_S8_S8_S8_EEEEPS9_S9_NSD_9__find_if7functorIS9_EEEE10hipError_tPvRmT1_T2_T3_mT4_P12ihipStream_tbEUlT_E1_NS1_11comp_targetILNS1_3genE10ELNS1_11target_archE1200ELNS1_3gpuE4ELNS1_3repE0EEENS1_30default_config_static_selectorELNS0_4arch9wavefront6targetE1EEEvS17_
                                        ; -- End function
	.section	.AMDGPU.csdata,"",@progbits
; Kernel info:
; codeLenInByte = 0
; NumSgprs: 4
; NumVgprs: 0
; NumAgprs: 0
; TotalNumVgprs: 0
; ScratchSize: 0
; MemoryBound: 0
; FloatMode: 240
; IeeeMode: 1
; LDSByteSize: 0 bytes/workgroup (compile time only)
; SGPRBlocks: 0
; VGPRBlocks: 0
; NumSGPRsForWavesPerEU: 4
; NumVGPRsForWavesPerEU: 1
; AccumOffset: 4
; Occupancy: 8
; WaveLimiterHint : 0
; COMPUTE_PGM_RSRC2:SCRATCH_EN: 0
; COMPUTE_PGM_RSRC2:USER_SGPR: 6
; COMPUTE_PGM_RSRC2:TRAP_HANDLER: 0
; COMPUTE_PGM_RSRC2:TGID_X_EN: 1
; COMPUTE_PGM_RSRC2:TGID_Y_EN: 0
; COMPUTE_PGM_RSRC2:TGID_Z_EN: 0
; COMPUTE_PGM_RSRC2:TIDIG_COMP_CNT: 0
; COMPUTE_PGM_RSRC3_GFX90A:ACCUM_OFFSET: 0
; COMPUTE_PGM_RSRC3_GFX90A:TG_SPLIT: 0
	.section	.text._ZN7rocprim17ROCPRIM_400000_NS6detail17trampoline_kernelINS0_14default_configENS1_22reduce_config_selectorIN6thrust23THRUST_200600_302600_NS5tupleIblNS6_9null_typeES8_S8_S8_S8_S8_S8_S8_EEEEZNS1_11reduce_implILb1ES3_NS6_12zip_iteratorINS7_INS6_11hip_rocprim26transform_input_iterator_tIbPhNS6_6detail10functional5actorINSH_9compositeIJNSH_27transparent_binary_operatorINS6_8equal_toIvEEEENSI_INSH_8argumentILj0EEEEENSH_5valueIhEEEEEEEEENSD_19counting_iterator_tIlEES8_S8_S8_S8_S8_S8_S8_S8_EEEEPS9_S9_NSD_9__find_if7functorIS9_EEEE10hipError_tPvRmT1_T2_T3_mT4_P12ihipStream_tbEUlT_E1_NS1_11comp_targetILNS1_3genE9ELNS1_11target_archE1100ELNS1_3gpuE3ELNS1_3repE0EEENS1_30default_config_static_selectorELNS0_4arch9wavefront6targetE1EEEvS17_,"axG",@progbits,_ZN7rocprim17ROCPRIM_400000_NS6detail17trampoline_kernelINS0_14default_configENS1_22reduce_config_selectorIN6thrust23THRUST_200600_302600_NS5tupleIblNS6_9null_typeES8_S8_S8_S8_S8_S8_S8_EEEEZNS1_11reduce_implILb1ES3_NS6_12zip_iteratorINS7_INS6_11hip_rocprim26transform_input_iterator_tIbPhNS6_6detail10functional5actorINSH_9compositeIJNSH_27transparent_binary_operatorINS6_8equal_toIvEEEENSI_INSH_8argumentILj0EEEEENSH_5valueIhEEEEEEEEENSD_19counting_iterator_tIlEES8_S8_S8_S8_S8_S8_S8_S8_EEEEPS9_S9_NSD_9__find_if7functorIS9_EEEE10hipError_tPvRmT1_T2_T3_mT4_P12ihipStream_tbEUlT_E1_NS1_11comp_targetILNS1_3genE9ELNS1_11target_archE1100ELNS1_3gpuE3ELNS1_3repE0EEENS1_30default_config_static_selectorELNS0_4arch9wavefront6targetE1EEEvS17_,comdat
	.protected	_ZN7rocprim17ROCPRIM_400000_NS6detail17trampoline_kernelINS0_14default_configENS1_22reduce_config_selectorIN6thrust23THRUST_200600_302600_NS5tupleIblNS6_9null_typeES8_S8_S8_S8_S8_S8_S8_EEEEZNS1_11reduce_implILb1ES3_NS6_12zip_iteratorINS7_INS6_11hip_rocprim26transform_input_iterator_tIbPhNS6_6detail10functional5actorINSH_9compositeIJNSH_27transparent_binary_operatorINS6_8equal_toIvEEEENSI_INSH_8argumentILj0EEEEENSH_5valueIhEEEEEEEEENSD_19counting_iterator_tIlEES8_S8_S8_S8_S8_S8_S8_S8_EEEEPS9_S9_NSD_9__find_if7functorIS9_EEEE10hipError_tPvRmT1_T2_T3_mT4_P12ihipStream_tbEUlT_E1_NS1_11comp_targetILNS1_3genE9ELNS1_11target_archE1100ELNS1_3gpuE3ELNS1_3repE0EEENS1_30default_config_static_selectorELNS0_4arch9wavefront6targetE1EEEvS17_ ; -- Begin function _ZN7rocprim17ROCPRIM_400000_NS6detail17trampoline_kernelINS0_14default_configENS1_22reduce_config_selectorIN6thrust23THRUST_200600_302600_NS5tupleIblNS6_9null_typeES8_S8_S8_S8_S8_S8_S8_EEEEZNS1_11reduce_implILb1ES3_NS6_12zip_iteratorINS7_INS6_11hip_rocprim26transform_input_iterator_tIbPhNS6_6detail10functional5actorINSH_9compositeIJNSH_27transparent_binary_operatorINS6_8equal_toIvEEEENSI_INSH_8argumentILj0EEEEENSH_5valueIhEEEEEEEEENSD_19counting_iterator_tIlEES8_S8_S8_S8_S8_S8_S8_S8_EEEEPS9_S9_NSD_9__find_if7functorIS9_EEEE10hipError_tPvRmT1_T2_T3_mT4_P12ihipStream_tbEUlT_E1_NS1_11comp_targetILNS1_3genE9ELNS1_11target_archE1100ELNS1_3gpuE3ELNS1_3repE0EEENS1_30default_config_static_selectorELNS0_4arch9wavefront6targetE1EEEvS17_
	.globl	_ZN7rocprim17ROCPRIM_400000_NS6detail17trampoline_kernelINS0_14default_configENS1_22reduce_config_selectorIN6thrust23THRUST_200600_302600_NS5tupleIblNS6_9null_typeES8_S8_S8_S8_S8_S8_S8_EEEEZNS1_11reduce_implILb1ES3_NS6_12zip_iteratorINS7_INS6_11hip_rocprim26transform_input_iterator_tIbPhNS6_6detail10functional5actorINSH_9compositeIJNSH_27transparent_binary_operatorINS6_8equal_toIvEEEENSI_INSH_8argumentILj0EEEEENSH_5valueIhEEEEEEEEENSD_19counting_iterator_tIlEES8_S8_S8_S8_S8_S8_S8_S8_EEEEPS9_S9_NSD_9__find_if7functorIS9_EEEE10hipError_tPvRmT1_T2_T3_mT4_P12ihipStream_tbEUlT_E1_NS1_11comp_targetILNS1_3genE9ELNS1_11target_archE1100ELNS1_3gpuE3ELNS1_3repE0EEENS1_30default_config_static_selectorELNS0_4arch9wavefront6targetE1EEEvS17_
	.p2align	8
	.type	_ZN7rocprim17ROCPRIM_400000_NS6detail17trampoline_kernelINS0_14default_configENS1_22reduce_config_selectorIN6thrust23THRUST_200600_302600_NS5tupleIblNS6_9null_typeES8_S8_S8_S8_S8_S8_S8_EEEEZNS1_11reduce_implILb1ES3_NS6_12zip_iteratorINS7_INS6_11hip_rocprim26transform_input_iterator_tIbPhNS6_6detail10functional5actorINSH_9compositeIJNSH_27transparent_binary_operatorINS6_8equal_toIvEEEENSI_INSH_8argumentILj0EEEEENSH_5valueIhEEEEEEEEENSD_19counting_iterator_tIlEES8_S8_S8_S8_S8_S8_S8_S8_EEEEPS9_S9_NSD_9__find_if7functorIS9_EEEE10hipError_tPvRmT1_T2_T3_mT4_P12ihipStream_tbEUlT_E1_NS1_11comp_targetILNS1_3genE9ELNS1_11target_archE1100ELNS1_3gpuE3ELNS1_3repE0EEENS1_30default_config_static_selectorELNS0_4arch9wavefront6targetE1EEEvS17_,@function
_ZN7rocprim17ROCPRIM_400000_NS6detail17trampoline_kernelINS0_14default_configENS1_22reduce_config_selectorIN6thrust23THRUST_200600_302600_NS5tupleIblNS6_9null_typeES8_S8_S8_S8_S8_S8_S8_EEEEZNS1_11reduce_implILb1ES3_NS6_12zip_iteratorINS7_INS6_11hip_rocprim26transform_input_iterator_tIbPhNS6_6detail10functional5actorINSH_9compositeIJNSH_27transparent_binary_operatorINS6_8equal_toIvEEEENSI_INSH_8argumentILj0EEEEENSH_5valueIhEEEEEEEEENSD_19counting_iterator_tIlEES8_S8_S8_S8_S8_S8_S8_S8_EEEEPS9_S9_NSD_9__find_if7functorIS9_EEEE10hipError_tPvRmT1_T2_T3_mT4_P12ihipStream_tbEUlT_E1_NS1_11comp_targetILNS1_3genE9ELNS1_11target_archE1100ELNS1_3gpuE3ELNS1_3repE0EEENS1_30default_config_static_selectorELNS0_4arch9wavefront6targetE1EEEvS17_: ; @_ZN7rocprim17ROCPRIM_400000_NS6detail17trampoline_kernelINS0_14default_configENS1_22reduce_config_selectorIN6thrust23THRUST_200600_302600_NS5tupleIblNS6_9null_typeES8_S8_S8_S8_S8_S8_S8_EEEEZNS1_11reduce_implILb1ES3_NS6_12zip_iteratorINS7_INS6_11hip_rocprim26transform_input_iterator_tIbPhNS6_6detail10functional5actorINSH_9compositeIJNSH_27transparent_binary_operatorINS6_8equal_toIvEEEENSI_INSH_8argumentILj0EEEEENSH_5valueIhEEEEEEEEENSD_19counting_iterator_tIlEES8_S8_S8_S8_S8_S8_S8_S8_EEEEPS9_S9_NSD_9__find_if7functorIS9_EEEE10hipError_tPvRmT1_T2_T3_mT4_P12ihipStream_tbEUlT_E1_NS1_11comp_targetILNS1_3genE9ELNS1_11target_archE1100ELNS1_3gpuE3ELNS1_3repE0EEENS1_30default_config_static_selectorELNS0_4arch9wavefront6targetE1EEEvS17_
; %bb.0:
	.section	.rodata,"a",@progbits
	.p2align	6, 0x0
	.amdhsa_kernel _ZN7rocprim17ROCPRIM_400000_NS6detail17trampoline_kernelINS0_14default_configENS1_22reduce_config_selectorIN6thrust23THRUST_200600_302600_NS5tupleIblNS6_9null_typeES8_S8_S8_S8_S8_S8_S8_EEEEZNS1_11reduce_implILb1ES3_NS6_12zip_iteratorINS7_INS6_11hip_rocprim26transform_input_iterator_tIbPhNS6_6detail10functional5actorINSH_9compositeIJNSH_27transparent_binary_operatorINS6_8equal_toIvEEEENSI_INSH_8argumentILj0EEEEENSH_5valueIhEEEEEEEEENSD_19counting_iterator_tIlEES8_S8_S8_S8_S8_S8_S8_S8_EEEEPS9_S9_NSD_9__find_if7functorIS9_EEEE10hipError_tPvRmT1_T2_T3_mT4_P12ihipStream_tbEUlT_E1_NS1_11comp_targetILNS1_3genE9ELNS1_11target_archE1100ELNS1_3gpuE3ELNS1_3repE0EEENS1_30default_config_static_selectorELNS0_4arch9wavefront6targetE1EEEvS17_
		.amdhsa_group_segment_fixed_size 0
		.amdhsa_private_segment_fixed_size 0
		.amdhsa_kernarg_size 72
		.amdhsa_user_sgpr_count 6
		.amdhsa_user_sgpr_private_segment_buffer 1
		.amdhsa_user_sgpr_dispatch_ptr 0
		.amdhsa_user_sgpr_queue_ptr 0
		.amdhsa_user_sgpr_kernarg_segment_ptr 1
		.amdhsa_user_sgpr_dispatch_id 0
		.amdhsa_user_sgpr_flat_scratch_init 0
		.amdhsa_user_sgpr_kernarg_preload_length 0
		.amdhsa_user_sgpr_kernarg_preload_offset 0
		.amdhsa_user_sgpr_private_segment_size 0
		.amdhsa_uses_dynamic_stack 0
		.amdhsa_system_sgpr_private_segment_wavefront_offset 0
		.amdhsa_system_sgpr_workgroup_id_x 1
		.amdhsa_system_sgpr_workgroup_id_y 0
		.amdhsa_system_sgpr_workgroup_id_z 0
		.amdhsa_system_sgpr_workgroup_info 0
		.amdhsa_system_vgpr_workitem_id 0
		.amdhsa_next_free_vgpr 1
		.amdhsa_next_free_sgpr 0
		.amdhsa_accum_offset 4
		.amdhsa_reserve_vcc 0
		.amdhsa_reserve_flat_scratch 0
		.amdhsa_float_round_mode_32 0
		.amdhsa_float_round_mode_16_64 0
		.amdhsa_float_denorm_mode_32 3
		.amdhsa_float_denorm_mode_16_64 3
		.amdhsa_dx10_clamp 1
		.amdhsa_ieee_mode 1
		.amdhsa_fp16_overflow 0
		.amdhsa_tg_split 0
		.amdhsa_exception_fp_ieee_invalid_op 0
		.amdhsa_exception_fp_denorm_src 0
		.amdhsa_exception_fp_ieee_div_zero 0
		.amdhsa_exception_fp_ieee_overflow 0
		.amdhsa_exception_fp_ieee_underflow 0
		.amdhsa_exception_fp_ieee_inexact 0
		.amdhsa_exception_int_div_zero 0
	.end_amdhsa_kernel
	.section	.text._ZN7rocprim17ROCPRIM_400000_NS6detail17trampoline_kernelINS0_14default_configENS1_22reduce_config_selectorIN6thrust23THRUST_200600_302600_NS5tupleIblNS6_9null_typeES8_S8_S8_S8_S8_S8_S8_EEEEZNS1_11reduce_implILb1ES3_NS6_12zip_iteratorINS7_INS6_11hip_rocprim26transform_input_iterator_tIbPhNS6_6detail10functional5actorINSH_9compositeIJNSH_27transparent_binary_operatorINS6_8equal_toIvEEEENSI_INSH_8argumentILj0EEEEENSH_5valueIhEEEEEEEEENSD_19counting_iterator_tIlEES8_S8_S8_S8_S8_S8_S8_S8_EEEEPS9_S9_NSD_9__find_if7functorIS9_EEEE10hipError_tPvRmT1_T2_T3_mT4_P12ihipStream_tbEUlT_E1_NS1_11comp_targetILNS1_3genE9ELNS1_11target_archE1100ELNS1_3gpuE3ELNS1_3repE0EEENS1_30default_config_static_selectorELNS0_4arch9wavefront6targetE1EEEvS17_,"axG",@progbits,_ZN7rocprim17ROCPRIM_400000_NS6detail17trampoline_kernelINS0_14default_configENS1_22reduce_config_selectorIN6thrust23THRUST_200600_302600_NS5tupleIblNS6_9null_typeES8_S8_S8_S8_S8_S8_S8_EEEEZNS1_11reduce_implILb1ES3_NS6_12zip_iteratorINS7_INS6_11hip_rocprim26transform_input_iterator_tIbPhNS6_6detail10functional5actorINSH_9compositeIJNSH_27transparent_binary_operatorINS6_8equal_toIvEEEENSI_INSH_8argumentILj0EEEEENSH_5valueIhEEEEEEEEENSD_19counting_iterator_tIlEES8_S8_S8_S8_S8_S8_S8_S8_EEEEPS9_S9_NSD_9__find_if7functorIS9_EEEE10hipError_tPvRmT1_T2_T3_mT4_P12ihipStream_tbEUlT_E1_NS1_11comp_targetILNS1_3genE9ELNS1_11target_archE1100ELNS1_3gpuE3ELNS1_3repE0EEENS1_30default_config_static_selectorELNS0_4arch9wavefront6targetE1EEEvS17_,comdat
.Lfunc_end458:
	.size	_ZN7rocprim17ROCPRIM_400000_NS6detail17trampoline_kernelINS0_14default_configENS1_22reduce_config_selectorIN6thrust23THRUST_200600_302600_NS5tupleIblNS6_9null_typeES8_S8_S8_S8_S8_S8_S8_EEEEZNS1_11reduce_implILb1ES3_NS6_12zip_iteratorINS7_INS6_11hip_rocprim26transform_input_iterator_tIbPhNS6_6detail10functional5actorINSH_9compositeIJNSH_27transparent_binary_operatorINS6_8equal_toIvEEEENSI_INSH_8argumentILj0EEEEENSH_5valueIhEEEEEEEEENSD_19counting_iterator_tIlEES8_S8_S8_S8_S8_S8_S8_S8_EEEEPS9_S9_NSD_9__find_if7functorIS9_EEEE10hipError_tPvRmT1_T2_T3_mT4_P12ihipStream_tbEUlT_E1_NS1_11comp_targetILNS1_3genE9ELNS1_11target_archE1100ELNS1_3gpuE3ELNS1_3repE0EEENS1_30default_config_static_selectorELNS0_4arch9wavefront6targetE1EEEvS17_, .Lfunc_end458-_ZN7rocprim17ROCPRIM_400000_NS6detail17trampoline_kernelINS0_14default_configENS1_22reduce_config_selectorIN6thrust23THRUST_200600_302600_NS5tupleIblNS6_9null_typeES8_S8_S8_S8_S8_S8_S8_EEEEZNS1_11reduce_implILb1ES3_NS6_12zip_iteratorINS7_INS6_11hip_rocprim26transform_input_iterator_tIbPhNS6_6detail10functional5actorINSH_9compositeIJNSH_27transparent_binary_operatorINS6_8equal_toIvEEEENSI_INSH_8argumentILj0EEEEENSH_5valueIhEEEEEEEEENSD_19counting_iterator_tIlEES8_S8_S8_S8_S8_S8_S8_S8_EEEEPS9_S9_NSD_9__find_if7functorIS9_EEEE10hipError_tPvRmT1_T2_T3_mT4_P12ihipStream_tbEUlT_E1_NS1_11comp_targetILNS1_3genE9ELNS1_11target_archE1100ELNS1_3gpuE3ELNS1_3repE0EEENS1_30default_config_static_selectorELNS0_4arch9wavefront6targetE1EEEvS17_
                                        ; -- End function
	.section	.AMDGPU.csdata,"",@progbits
; Kernel info:
; codeLenInByte = 0
; NumSgprs: 4
; NumVgprs: 0
; NumAgprs: 0
; TotalNumVgprs: 0
; ScratchSize: 0
; MemoryBound: 0
; FloatMode: 240
; IeeeMode: 1
; LDSByteSize: 0 bytes/workgroup (compile time only)
; SGPRBlocks: 0
; VGPRBlocks: 0
; NumSGPRsForWavesPerEU: 4
; NumVGPRsForWavesPerEU: 1
; AccumOffset: 4
; Occupancy: 8
; WaveLimiterHint : 0
; COMPUTE_PGM_RSRC2:SCRATCH_EN: 0
; COMPUTE_PGM_RSRC2:USER_SGPR: 6
; COMPUTE_PGM_RSRC2:TRAP_HANDLER: 0
; COMPUTE_PGM_RSRC2:TGID_X_EN: 1
; COMPUTE_PGM_RSRC2:TGID_Y_EN: 0
; COMPUTE_PGM_RSRC2:TGID_Z_EN: 0
; COMPUTE_PGM_RSRC2:TIDIG_COMP_CNT: 0
; COMPUTE_PGM_RSRC3_GFX90A:ACCUM_OFFSET: 0
; COMPUTE_PGM_RSRC3_GFX90A:TG_SPLIT: 0
	.section	.text._ZN7rocprim17ROCPRIM_400000_NS6detail17trampoline_kernelINS0_14default_configENS1_22reduce_config_selectorIN6thrust23THRUST_200600_302600_NS5tupleIblNS6_9null_typeES8_S8_S8_S8_S8_S8_S8_EEEEZNS1_11reduce_implILb1ES3_NS6_12zip_iteratorINS7_INS6_11hip_rocprim26transform_input_iterator_tIbPhNS6_6detail10functional5actorINSH_9compositeIJNSH_27transparent_binary_operatorINS6_8equal_toIvEEEENSI_INSH_8argumentILj0EEEEENSH_5valueIhEEEEEEEEENSD_19counting_iterator_tIlEES8_S8_S8_S8_S8_S8_S8_S8_EEEEPS9_S9_NSD_9__find_if7functorIS9_EEEE10hipError_tPvRmT1_T2_T3_mT4_P12ihipStream_tbEUlT_E1_NS1_11comp_targetILNS1_3genE8ELNS1_11target_archE1030ELNS1_3gpuE2ELNS1_3repE0EEENS1_30default_config_static_selectorELNS0_4arch9wavefront6targetE1EEEvS17_,"axG",@progbits,_ZN7rocprim17ROCPRIM_400000_NS6detail17trampoline_kernelINS0_14default_configENS1_22reduce_config_selectorIN6thrust23THRUST_200600_302600_NS5tupleIblNS6_9null_typeES8_S8_S8_S8_S8_S8_S8_EEEEZNS1_11reduce_implILb1ES3_NS6_12zip_iteratorINS7_INS6_11hip_rocprim26transform_input_iterator_tIbPhNS6_6detail10functional5actorINSH_9compositeIJNSH_27transparent_binary_operatorINS6_8equal_toIvEEEENSI_INSH_8argumentILj0EEEEENSH_5valueIhEEEEEEEEENSD_19counting_iterator_tIlEES8_S8_S8_S8_S8_S8_S8_S8_EEEEPS9_S9_NSD_9__find_if7functorIS9_EEEE10hipError_tPvRmT1_T2_T3_mT4_P12ihipStream_tbEUlT_E1_NS1_11comp_targetILNS1_3genE8ELNS1_11target_archE1030ELNS1_3gpuE2ELNS1_3repE0EEENS1_30default_config_static_selectorELNS0_4arch9wavefront6targetE1EEEvS17_,comdat
	.protected	_ZN7rocprim17ROCPRIM_400000_NS6detail17trampoline_kernelINS0_14default_configENS1_22reduce_config_selectorIN6thrust23THRUST_200600_302600_NS5tupleIblNS6_9null_typeES8_S8_S8_S8_S8_S8_S8_EEEEZNS1_11reduce_implILb1ES3_NS6_12zip_iteratorINS7_INS6_11hip_rocprim26transform_input_iterator_tIbPhNS6_6detail10functional5actorINSH_9compositeIJNSH_27transparent_binary_operatorINS6_8equal_toIvEEEENSI_INSH_8argumentILj0EEEEENSH_5valueIhEEEEEEEEENSD_19counting_iterator_tIlEES8_S8_S8_S8_S8_S8_S8_S8_EEEEPS9_S9_NSD_9__find_if7functorIS9_EEEE10hipError_tPvRmT1_T2_T3_mT4_P12ihipStream_tbEUlT_E1_NS1_11comp_targetILNS1_3genE8ELNS1_11target_archE1030ELNS1_3gpuE2ELNS1_3repE0EEENS1_30default_config_static_selectorELNS0_4arch9wavefront6targetE1EEEvS17_ ; -- Begin function _ZN7rocprim17ROCPRIM_400000_NS6detail17trampoline_kernelINS0_14default_configENS1_22reduce_config_selectorIN6thrust23THRUST_200600_302600_NS5tupleIblNS6_9null_typeES8_S8_S8_S8_S8_S8_S8_EEEEZNS1_11reduce_implILb1ES3_NS6_12zip_iteratorINS7_INS6_11hip_rocprim26transform_input_iterator_tIbPhNS6_6detail10functional5actorINSH_9compositeIJNSH_27transparent_binary_operatorINS6_8equal_toIvEEEENSI_INSH_8argumentILj0EEEEENSH_5valueIhEEEEEEEEENSD_19counting_iterator_tIlEES8_S8_S8_S8_S8_S8_S8_S8_EEEEPS9_S9_NSD_9__find_if7functorIS9_EEEE10hipError_tPvRmT1_T2_T3_mT4_P12ihipStream_tbEUlT_E1_NS1_11comp_targetILNS1_3genE8ELNS1_11target_archE1030ELNS1_3gpuE2ELNS1_3repE0EEENS1_30default_config_static_selectorELNS0_4arch9wavefront6targetE1EEEvS17_
	.globl	_ZN7rocprim17ROCPRIM_400000_NS6detail17trampoline_kernelINS0_14default_configENS1_22reduce_config_selectorIN6thrust23THRUST_200600_302600_NS5tupleIblNS6_9null_typeES8_S8_S8_S8_S8_S8_S8_EEEEZNS1_11reduce_implILb1ES3_NS6_12zip_iteratorINS7_INS6_11hip_rocprim26transform_input_iterator_tIbPhNS6_6detail10functional5actorINSH_9compositeIJNSH_27transparent_binary_operatorINS6_8equal_toIvEEEENSI_INSH_8argumentILj0EEEEENSH_5valueIhEEEEEEEEENSD_19counting_iterator_tIlEES8_S8_S8_S8_S8_S8_S8_S8_EEEEPS9_S9_NSD_9__find_if7functorIS9_EEEE10hipError_tPvRmT1_T2_T3_mT4_P12ihipStream_tbEUlT_E1_NS1_11comp_targetILNS1_3genE8ELNS1_11target_archE1030ELNS1_3gpuE2ELNS1_3repE0EEENS1_30default_config_static_selectorELNS0_4arch9wavefront6targetE1EEEvS17_
	.p2align	8
	.type	_ZN7rocprim17ROCPRIM_400000_NS6detail17trampoline_kernelINS0_14default_configENS1_22reduce_config_selectorIN6thrust23THRUST_200600_302600_NS5tupleIblNS6_9null_typeES8_S8_S8_S8_S8_S8_S8_EEEEZNS1_11reduce_implILb1ES3_NS6_12zip_iteratorINS7_INS6_11hip_rocprim26transform_input_iterator_tIbPhNS6_6detail10functional5actorINSH_9compositeIJNSH_27transparent_binary_operatorINS6_8equal_toIvEEEENSI_INSH_8argumentILj0EEEEENSH_5valueIhEEEEEEEEENSD_19counting_iterator_tIlEES8_S8_S8_S8_S8_S8_S8_S8_EEEEPS9_S9_NSD_9__find_if7functorIS9_EEEE10hipError_tPvRmT1_T2_T3_mT4_P12ihipStream_tbEUlT_E1_NS1_11comp_targetILNS1_3genE8ELNS1_11target_archE1030ELNS1_3gpuE2ELNS1_3repE0EEENS1_30default_config_static_selectorELNS0_4arch9wavefront6targetE1EEEvS17_,@function
_ZN7rocprim17ROCPRIM_400000_NS6detail17trampoline_kernelINS0_14default_configENS1_22reduce_config_selectorIN6thrust23THRUST_200600_302600_NS5tupleIblNS6_9null_typeES8_S8_S8_S8_S8_S8_S8_EEEEZNS1_11reduce_implILb1ES3_NS6_12zip_iteratorINS7_INS6_11hip_rocprim26transform_input_iterator_tIbPhNS6_6detail10functional5actorINSH_9compositeIJNSH_27transparent_binary_operatorINS6_8equal_toIvEEEENSI_INSH_8argumentILj0EEEEENSH_5valueIhEEEEEEEEENSD_19counting_iterator_tIlEES8_S8_S8_S8_S8_S8_S8_S8_EEEEPS9_S9_NSD_9__find_if7functorIS9_EEEE10hipError_tPvRmT1_T2_T3_mT4_P12ihipStream_tbEUlT_E1_NS1_11comp_targetILNS1_3genE8ELNS1_11target_archE1030ELNS1_3gpuE2ELNS1_3repE0EEENS1_30default_config_static_selectorELNS0_4arch9wavefront6targetE1EEEvS17_: ; @_ZN7rocprim17ROCPRIM_400000_NS6detail17trampoline_kernelINS0_14default_configENS1_22reduce_config_selectorIN6thrust23THRUST_200600_302600_NS5tupleIblNS6_9null_typeES8_S8_S8_S8_S8_S8_S8_EEEEZNS1_11reduce_implILb1ES3_NS6_12zip_iteratorINS7_INS6_11hip_rocprim26transform_input_iterator_tIbPhNS6_6detail10functional5actorINSH_9compositeIJNSH_27transparent_binary_operatorINS6_8equal_toIvEEEENSI_INSH_8argumentILj0EEEEENSH_5valueIhEEEEEEEEENSD_19counting_iterator_tIlEES8_S8_S8_S8_S8_S8_S8_S8_EEEEPS9_S9_NSD_9__find_if7functorIS9_EEEE10hipError_tPvRmT1_T2_T3_mT4_P12ihipStream_tbEUlT_E1_NS1_11comp_targetILNS1_3genE8ELNS1_11target_archE1030ELNS1_3gpuE2ELNS1_3repE0EEENS1_30default_config_static_selectorELNS0_4arch9wavefront6targetE1EEEvS17_
; %bb.0:
	.section	.rodata,"a",@progbits
	.p2align	6, 0x0
	.amdhsa_kernel _ZN7rocprim17ROCPRIM_400000_NS6detail17trampoline_kernelINS0_14default_configENS1_22reduce_config_selectorIN6thrust23THRUST_200600_302600_NS5tupleIblNS6_9null_typeES8_S8_S8_S8_S8_S8_S8_EEEEZNS1_11reduce_implILb1ES3_NS6_12zip_iteratorINS7_INS6_11hip_rocprim26transform_input_iterator_tIbPhNS6_6detail10functional5actorINSH_9compositeIJNSH_27transparent_binary_operatorINS6_8equal_toIvEEEENSI_INSH_8argumentILj0EEEEENSH_5valueIhEEEEEEEEENSD_19counting_iterator_tIlEES8_S8_S8_S8_S8_S8_S8_S8_EEEEPS9_S9_NSD_9__find_if7functorIS9_EEEE10hipError_tPvRmT1_T2_T3_mT4_P12ihipStream_tbEUlT_E1_NS1_11comp_targetILNS1_3genE8ELNS1_11target_archE1030ELNS1_3gpuE2ELNS1_3repE0EEENS1_30default_config_static_selectorELNS0_4arch9wavefront6targetE1EEEvS17_
		.amdhsa_group_segment_fixed_size 0
		.amdhsa_private_segment_fixed_size 0
		.amdhsa_kernarg_size 72
		.amdhsa_user_sgpr_count 6
		.amdhsa_user_sgpr_private_segment_buffer 1
		.amdhsa_user_sgpr_dispatch_ptr 0
		.amdhsa_user_sgpr_queue_ptr 0
		.amdhsa_user_sgpr_kernarg_segment_ptr 1
		.amdhsa_user_sgpr_dispatch_id 0
		.amdhsa_user_sgpr_flat_scratch_init 0
		.amdhsa_user_sgpr_kernarg_preload_length 0
		.amdhsa_user_sgpr_kernarg_preload_offset 0
		.amdhsa_user_sgpr_private_segment_size 0
		.amdhsa_uses_dynamic_stack 0
		.amdhsa_system_sgpr_private_segment_wavefront_offset 0
		.amdhsa_system_sgpr_workgroup_id_x 1
		.amdhsa_system_sgpr_workgroup_id_y 0
		.amdhsa_system_sgpr_workgroup_id_z 0
		.amdhsa_system_sgpr_workgroup_info 0
		.amdhsa_system_vgpr_workitem_id 0
		.amdhsa_next_free_vgpr 1
		.amdhsa_next_free_sgpr 0
		.amdhsa_accum_offset 4
		.amdhsa_reserve_vcc 0
		.amdhsa_reserve_flat_scratch 0
		.amdhsa_float_round_mode_32 0
		.amdhsa_float_round_mode_16_64 0
		.amdhsa_float_denorm_mode_32 3
		.amdhsa_float_denorm_mode_16_64 3
		.amdhsa_dx10_clamp 1
		.amdhsa_ieee_mode 1
		.amdhsa_fp16_overflow 0
		.amdhsa_tg_split 0
		.amdhsa_exception_fp_ieee_invalid_op 0
		.amdhsa_exception_fp_denorm_src 0
		.amdhsa_exception_fp_ieee_div_zero 0
		.amdhsa_exception_fp_ieee_overflow 0
		.amdhsa_exception_fp_ieee_underflow 0
		.amdhsa_exception_fp_ieee_inexact 0
		.amdhsa_exception_int_div_zero 0
	.end_amdhsa_kernel
	.section	.text._ZN7rocprim17ROCPRIM_400000_NS6detail17trampoline_kernelINS0_14default_configENS1_22reduce_config_selectorIN6thrust23THRUST_200600_302600_NS5tupleIblNS6_9null_typeES8_S8_S8_S8_S8_S8_S8_EEEEZNS1_11reduce_implILb1ES3_NS6_12zip_iteratorINS7_INS6_11hip_rocprim26transform_input_iterator_tIbPhNS6_6detail10functional5actorINSH_9compositeIJNSH_27transparent_binary_operatorINS6_8equal_toIvEEEENSI_INSH_8argumentILj0EEEEENSH_5valueIhEEEEEEEEENSD_19counting_iterator_tIlEES8_S8_S8_S8_S8_S8_S8_S8_EEEEPS9_S9_NSD_9__find_if7functorIS9_EEEE10hipError_tPvRmT1_T2_T3_mT4_P12ihipStream_tbEUlT_E1_NS1_11comp_targetILNS1_3genE8ELNS1_11target_archE1030ELNS1_3gpuE2ELNS1_3repE0EEENS1_30default_config_static_selectorELNS0_4arch9wavefront6targetE1EEEvS17_,"axG",@progbits,_ZN7rocprim17ROCPRIM_400000_NS6detail17trampoline_kernelINS0_14default_configENS1_22reduce_config_selectorIN6thrust23THRUST_200600_302600_NS5tupleIblNS6_9null_typeES8_S8_S8_S8_S8_S8_S8_EEEEZNS1_11reduce_implILb1ES3_NS6_12zip_iteratorINS7_INS6_11hip_rocprim26transform_input_iterator_tIbPhNS6_6detail10functional5actorINSH_9compositeIJNSH_27transparent_binary_operatorINS6_8equal_toIvEEEENSI_INSH_8argumentILj0EEEEENSH_5valueIhEEEEEEEEENSD_19counting_iterator_tIlEES8_S8_S8_S8_S8_S8_S8_S8_EEEEPS9_S9_NSD_9__find_if7functorIS9_EEEE10hipError_tPvRmT1_T2_T3_mT4_P12ihipStream_tbEUlT_E1_NS1_11comp_targetILNS1_3genE8ELNS1_11target_archE1030ELNS1_3gpuE2ELNS1_3repE0EEENS1_30default_config_static_selectorELNS0_4arch9wavefront6targetE1EEEvS17_,comdat
.Lfunc_end459:
	.size	_ZN7rocprim17ROCPRIM_400000_NS6detail17trampoline_kernelINS0_14default_configENS1_22reduce_config_selectorIN6thrust23THRUST_200600_302600_NS5tupleIblNS6_9null_typeES8_S8_S8_S8_S8_S8_S8_EEEEZNS1_11reduce_implILb1ES3_NS6_12zip_iteratorINS7_INS6_11hip_rocprim26transform_input_iterator_tIbPhNS6_6detail10functional5actorINSH_9compositeIJNSH_27transparent_binary_operatorINS6_8equal_toIvEEEENSI_INSH_8argumentILj0EEEEENSH_5valueIhEEEEEEEEENSD_19counting_iterator_tIlEES8_S8_S8_S8_S8_S8_S8_S8_EEEEPS9_S9_NSD_9__find_if7functorIS9_EEEE10hipError_tPvRmT1_T2_T3_mT4_P12ihipStream_tbEUlT_E1_NS1_11comp_targetILNS1_3genE8ELNS1_11target_archE1030ELNS1_3gpuE2ELNS1_3repE0EEENS1_30default_config_static_selectorELNS0_4arch9wavefront6targetE1EEEvS17_, .Lfunc_end459-_ZN7rocprim17ROCPRIM_400000_NS6detail17trampoline_kernelINS0_14default_configENS1_22reduce_config_selectorIN6thrust23THRUST_200600_302600_NS5tupleIblNS6_9null_typeES8_S8_S8_S8_S8_S8_S8_EEEEZNS1_11reduce_implILb1ES3_NS6_12zip_iteratorINS7_INS6_11hip_rocprim26transform_input_iterator_tIbPhNS6_6detail10functional5actorINSH_9compositeIJNSH_27transparent_binary_operatorINS6_8equal_toIvEEEENSI_INSH_8argumentILj0EEEEENSH_5valueIhEEEEEEEEENSD_19counting_iterator_tIlEES8_S8_S8_S8_S8_S8_S8_S8_EEEEPS9_S9_NSD_9__find_if7functorIS9_EEEE10hipError_tPvRmT1_T2_T3_mT4_P12ihipStream_tbEUlT_E1_NS1_11comp_targetILNS1_3genE8ELNS1_11target_archE1030ELNS1_3gpuE2ELNS1_3repE0EEENS1_30default_config_static_selectorELNS0_4arch9wavefront6targetE1EEEvS17_
                                        ; -- End function
	.section	.AMDGPU.csdata,"",@progbits
; Kernel info:
; codeLenInByte = 0
; NumSgprs: 4
; NumVgprs: 0
; NumAgprs: 0
; TotalNumVgprs: 0
; ScratchSize: 0
; MemoryBound: 0
; FloatMode: 240
; IeeeMode: 1
; LDSByteSize: 0 bytes/workgroup (compile time only)
; SGPRBlocks: 0
; VGPRBlocks: 0
; NumSGPRsForWavesPerEU: 4
; NumVGPRsForWavesPerEU: 1
; AccumOffset: 4
; Occupancy: 8
; WaveLimiterHint : 0
; COMPUTE_PGM_RSRC2:SCRATCH_EN: 0
; COMPUTE_PGM_RSRC2:USER_SGPR: 6
; COMPUTE_PGM_RSRC2:TRAP_HANDLER: 0
; COMPUTE_PGM_RSRC2:TGID_X_EN: 1
; COMPUTE_PGM_RSRC2:TGID_Y_EN: 0
; COMPUTE_PGM_RSRC2:TGID_Z_EN: 0
; COMPUTE_PGM_RSRC2:TIDIG_COMP_CNT: 0
; COMPUTE_PGM_RSRC3_GFX90A:ACCUM_OFFSET: 0
; COMPUTE_PGM_RSRC3_GFX90A:TG_SPLIT: 0
	.section	.text._ZN7rocprim17ROCPRIM_400000_NS6detail17trampoline_kernelINS0_13kernel_configILj256ELj4ELj4294967295EEENS1_37radix_sort_block_sort_config_selectorIalEEZNS1_21radix_sort_block_sortIS4_Lb0EPaS8_N6thrust23THRUST_200600_302600_NS10device_ptrIlEESC_NS0_19identity_decomposerEEE10hipError_tT1_T2_T3_T4_jRjT5_jjP12ihipStream_tbEUlT_E_NS1_11comp_targetILNS1_3genE0ELNS1_11target_archE4294967295ELNS1_3gpuE0ELNS1_3repE0EEENS1_44radix_sort_block_sort_config_static_selectorELNS0_4arch9wavefront6targetE1EEEvSF_,"axG",@progbits,_ZN7rocprim17ROCPRIM_400000_NS6detail17trampoline_kernelINS0_13kernel_configILj256ELj4ELj4294967295EEENS1_37radix_sort_block_sort_config_selectorIalEEZNS1_21radix_sort_block_sortIS4_Lb0EPaS8_N6thrust23THRUST_200600_302600_NS10device_ptrIlEESC_NS0_19identity_decomposerEEE10hipError_tT1_T2_T3_T4_jRjT5_jjP12ihipStream_tbEUlT_E_NS1_11comp_targetILNS1_3genE0ELNS1_11target_archE4294967295ELNS1_3gpuE0ELNS1_3repE0EEENS1_44radix_sort_block_sort_config_static_selectorELNS0_4arch9wavefront6targetE1EEEvSF_,comdat
	.protected	_ZN7rocprim17ROCPRIM_400000_NS6detail17trampoline_kernelINS0_13kernel_configILj256ELj4ELj4294967295EEENS1_37radix_sort_block_sort_config_selectorIalEEZNS1_21radix_sort_block_sortIS4_Lb0EPaS8_N6thrust23THRUST_200600_302600_NS10device_ptrIlEESC_NS0_19identity_decomposerEEE10hipError_tT1_T2_T3_T4_jRjT5_jjP12ihipStream_tbEUlT_E_NS1_11comp_targetILNS1_3genE0ELNS1_11target_archE4294967295ELNS1_3gpuE0ELNS1_3repE0EEENS1_44radix_sort_block_sort_config_static_selectorELNS0_4arch9wavefront6targetE1EEEvSF_ ; -- Begin function _ZN7rocprim17ROCPRIM_400000_NS6detail17trampoline_kernelINS0_13kernel_configILj256ELj4ELj4294967295EEENS1_37radix_sort_block_sort_config_selectorIalEEZNS1_21radix_sort_block_sortIS4_Lb0EPaS8_N6thrust23THRUST_200600_302600_NS10device_ptrIlEESC_NS0_19identity_decomposerEEE10hipError_tT1_T2_T3_T4_jRjT5_jjP12ihipStream_tbEUlT_E_NS1_11comp_targetILNS1_3genE0ELNS1_11target_archE4294967295ELNS1_3gpuE0ELNS1_3repE0EEENS1_44radix_sort_block_sort_config_static_selectorELNS0_4arch9wavefront6targetE1EEEvSF_
	.globl	_ZN7rocprim17ROCPRIM_400000_NS6detail17trampoline_kernelINS0_13kernel_configILj256ELj4ELj4294967295EEENS1_37radix_sort_block_sort_config_selectorIalEEZNS1_21radix_sort_block_sortIS4_Lb0EPaS8_N6thrust23THRUST_200600_302600_NS10device_ptrIlEESC_NS0_19identity_decomposerEEE10hipError_tT1_T2_T3_T4_jRjT5_jjP12ihipStream_tbEUlT_E_NS1_11comp_targetILNS1_3genE0ELNS1_11target_archE4294967295ELNS1_3gpuE0ELNS1_3repE0EEENS1_44radix_sort_block_sort_config_static_selectorELNS0_4arch9wavefront6targetE1EEEvSF_
	.p2align	8
	.type	_ZN7rocprim17ROCPRIM_400000_NS6detail17trampoline_kernelINS0_13kernel_configILj256ELj4ELj4294967295EEENS1_37radix_sort_block_sort_config_selectorIalEEZNS1_21radix_sort_block_sortIS4_Lb0EPaS8_N6thrust23THRUST_200600_302600_NS10device_ptrIlEESC_NS0_19identity_decomposerEEE10hipError_tT1_T2_T3_T4_jRjT5_jjP12ihipStream_tbEUlT_E_NS1_11comp_targetILNS1_3genE0ELNS1_11target_archE4294967295ELNS1_3gpuE0ELNS1_3repE0EEENS1_44radix_sort_block_sort_config_static_selectorELNS0_4arch9wavefront6targetE1EEEvSF_,@function
_ZN7rocprim17ROCPRIM_400000_NS6detail17trampoline_kernelINS0_13kernel_configILj256ELj4ELj4294967295EEENS1_37radix_sort_block_sort_config_selectorIalEEZNS1_21radix_sort_block_sortIS4_Lb0EPaS8_N6thrust23THRUST_200600_302600_NS10device_ptrIlEESC_NS0_19identity_decomposerEEE10hipError_tT1_T2_T3_T4_jRjT5_jjP12ihipStream_tbEUlT_E_NS1_11comp_targetILNS1_3genE0ELNS1_11target_archE4294967295ELNS1_3gpuE0ELNS1_3repE0EEENS1_44radix_sort_block_sort_config_static_selectorELNS0_4arch9wavefront6targetE1EEEvSF_: ; @_ZN7rocprim17ROCPRIM_400000_NS6detail17trampoline_kernelINS0_13kernel_configILj256ELj4ELj4294967295EEENS1_37radix_sort_block_sort_config_selectorIalEEZNS1_21radix_sort_block_sortIS4_Lb0EPaS8_N6thrust23THRUST_200600_302600_NS10device_ptrIlEESC_NS0_19identity_decomposerEEE10hipError_tT1_T2_T3_T4_jRjT5_jjP12ihipStream_tbEUlT_E_NS1_11comp_targetILNS1_3genE0ELNS1_11target_archE4294967295ELNS1_3gpuE0ELNS1_3repE0EEENS1_44radix_sort_block_sort_config_static_selectorELNS0_4arch9wavefront6targetE1EEEvSF_
; %bb.0:
	.section	.rodata,"a",@progbits
	.p2align	6, 0x0
	.amdhsa_kernel _ZN7rocprim17ROCPRIM_400000_NS6detail17trampoline_kernelINS0_13kernel_configILj256ELj4ELj4294967295EEENS1_37radix_sort_block_sort_config_selectorIalEEZNS1_21radix_sort_block_sortIS4_Lb0EPaS8_N6thrust23THRUST_200600_302600_NS10device_ptrIlEESC_NS0_19identity_decomposerEEE10hipError_tT1_T2_T3_T4_jRjT5_jjP12ihipStream_tbEUlT_E_NS1_11comp_targetILNS1_3genE0ELNS1_11target_archE4294967295ELNS1_3gpuE0ELNS1_3repE0EEENS1_44radix_sort_block_sort_config_static_selectorELNS0_4arch9wavefront6targetE1EEEvSF_
		.amdhsa_group_segment_fixed_size 0
		.amdhsa_private_segment_fixed_size 0
		.amdhsa_kernarg_size 48
		.amdhsa_user_sgpr_count 6
		.amdhsa_user_sgpr_private_segment_buffer 1
		.amdhsa_user_sgpr_dispatch_ptr 0
		.amdhsa_user_sgpr_queue_ptr 0
		.amdhsa_user_sgpr_kernarg_segment_ptr 1
		.amdhsa_user_sgpr_dispatch_id 0
		.amdhsa_user_sgpr_flat_scratch_init 0
		.amdhsa_user_sgpr_kernarg_preload_length 0
		.amdhsa_user_sgpr_kernarg_preload_offset 0
		.amdhsa_user_sgpr_private_segment_size 0
		.amdhsa_uses_dynamic_stack 0
		.amdhsa_system_sgpr_private_segment_wavefront_offset 0
		.amdhsa_system_sgpr_workgroup_id_x 1
		.amdhsa_system_sgpr_workgroup_id_y 0
		.amdhsa_system_sgpr_workgroup_id_z 0
		.amdhsa_system_sgpr_workgroup_info 0
		.amdhsa_system_vgpr_workitem_id 0
		.amdhsa_next_free_vgpr 1
		.amdhsa_next_free_sgpr 0
		.amdhsa_accum_offset 4
		.amdhsa_reserve_vcc 0
		.amdhsa_reserve_flat_scratch 0
		.amdhsa_float_round_mode_32 0
		.amdhsa_float_round_mode_16_64 0
		.amdhsa_float_denorm_mode_32 3
		.amdhsa_float_denorm_mode_16_64 3
		.amdhsa_dx10_clamp 1
		.amdhsa_ieee_mode 1
		.amdhsa_fp16_overflow 0
		.amdhsa_tg_split 0
		.amdhsa_exception_fp_ieee_invalid_op 0
		.amdhsa_exception_fp_denorm_src 0
		.amdhsa_exception_fp_ieee_div_zero 0
		.amdhsa_exception_fp_ieee_overflow 0
		.amdhsa_exception_fp_ieee_underflow 0
		.amdhsa_exception_fp_ieee_inexact 0
		.amdhsa_exception_int_div_zero 0
	.end_amdhsa_kernel
	.section	.text._ZN7rocprim17ROCPRIM_400000_NS6detail17trampoline_kernelINS0_13kernel_configILj256ELj4ELj4294967295EEENS1_37radix_sort_block_sort_config_selectorIalEEZNS1_21radix_sort_block_sortIS4_Lb0EPaS8_N6thrust23THRUST_200600_302600_NS10device_ptrIlEESC_NS0_19identity_decomposerEEE10hipError_tT1_T2_T3_T4_jRjT5_jjP12ihipStream_tbEUlT_E_NS1_11comp_targetILNS1_3genE0ELNS1_11target_archE4294967295ELNS1_3gpuE0ELNS1_3repE0EEENS1_44radix_sort_block_sort_config_static_selectorELNS0_4arch9wavefront6targetE1EEEvSF_,"axG",@progbits,_ZN7rocprim17ROCPRIM_400000_NS6detail17trampoline_kernelINS0_13kernel_configILj256ELj4ELj4294967295EEENS1_37radix_sort_block_sort_config_selectorIalEEZNS1_21radix_sort_block_sortIS4_Lb0EPaS8_N6thrust23THRUST_200600_302600_NS10device_ptrIlEESC_NS0_19identity_decomposerEEE10hipError_tT1_T2_T3_T4_jRjT5_jjP12ihipStream_tbEUlT_E_NS1_11comp_targetILNS1_3genE0ELNS1_11target_archE4294967295ELNS1_3gpuE0ELNS1_3repE0EEENS1_44radix_sort_block_sort_config_static_selectorELNS0_4arch9wavefront6targetE1EEEvSF_,comdat
.Lfunc_end460:
	.size	_ZN7rocprim17ROCPRIM_400000_NS6detail17trampoline_kernelINS0_13kernel_configILj256ELj4ELj4294967295EEENS1_37radix_sort_block_sort_config_selectorIalEEZNS1_21radix_sort_block_sortIS4_Lb0EPaS8_N6thrust23THRUST_200600_302600_NS10device_ptrIlEESC_NS0_19identity_decomposerEEE10hipError_tT1_T2_T3_T4_jRjT5_jjP12ihipStream_tbEUlT_E_NS1_11comp_targetILNS1_3genE0ELNS1_11target_archE4294967295ELNS1_3gpuE0ELNS1_3repE0EEENS1_44radix_sort_block_sort_config_static_selectorELNS0_4arch9wavefront6targetE1EEEvSF_, .Lfunc_end460-_ZN7rocprim17ROCPRIM_400000_NS6detail17trampoline_kernelINS0_13kernel_configILj256ELj4ELj4294967295EEENS1_37radix_sort_block_sort_config_selectorIalEEZNS1_21radix_sort_block_sortIS4_Lb0EPaS8_N6thrust23THRUST_200600_302600_NS10device_ptrIlEESC_NS0_19identity_decomposerEEE10hipError_tT1_T2_T3_T4_jRjT5_jjP12ihipStream_tbEUlT_E_NS1_11comp_targetILNS1_3genE0ELNS1_11target_archE4294967295ELNS1_3gpuE0ELNS1_3repE0EEENS1_44radix_sort_block_sort_config_static_selectorELNS0_4arch9wavefront6targetE1EEEvSF_
                                        ; -- End function
	.section	.AMDGPU.csdata,"",@progbits
; Kernel info:
; codeLenInByte = 0
; NumSgprs: 4
; NumVgprs: 0
; NumAgprs: 0
; TotalNumVgprs: 0
; ScratchSize: 0
; MemoryBound: 0
; FloatMode: 240
; IeeeMode: 1
; LDSByteSize: 0 bytes/workgroup (compile time only)
; SGPRBlocks: 0
; VGPRBlocks: 0
; NumSGPRsForWavesPerEU: 4
; NumVGPRsForWavesPerEU: 1
; AccumOffset: 4
; Occupancy: 8
; WaveLimiterHint : 0
; COMPUTE_PGM_RSRC2:SCRATCH_EN: 0
; COMPUTE_PGM_RSRC2:USER_SGPR: 6
; COMPUTE_PGM_RSRC2:TRAP_HANDLER: 0
; COMPUTE_PGM_RSRC2:TGID_X_EN: 1
; COMPUTE_PGM_RSRC2:TGID_Y_EN: 0
; COMPUTE_PGM_RSRC2:TGID_Z_EN: 0
; COMPUTE_PGM_RSRC2:TIDIG_COMP_CNT: 0
; COMPUTE_PGM_RSRC3_GFX90A:ACCUM_OFFSET: 0
; COMPUTE_PGM_RSRC3_GFX90A:TG_SPLIT: 0
	.section	.text._ZN7rocprim17ROCPRIM_400000_NS6detail17trampoline_kernelINS0_13kernel_configILj256ELj4ELj4294967295EEENS1_37radix_sort_block_sort_config_selectorIalEEZNS1_21radix_sort_block_sortIS4_Lb0EPaS8_N6thrust23THRUST_200600_302600_NS10device_ptrIlEESC_NS0_19identity_decomposerEEE10hipError_tT1_T2_T3_T4_jRjT5_jjP12ihipStream_tbEUlT_E_NS1_11comp_targetILNS1_3genE5ELNS1_11target_archE942ELNS1_3gpuE9ELNS1_3repE0EEENS1_44radix_sort_block_sort_config_static_selectorELNS0_4arch9wavefront6targetE1EEEvSF_,"axG",@progbits,_ZN7rocprim17ROCPRIM_400000_NS6detail17trampoline_kernelINS0_13kernel_configILj256ELj4ELj4294967295EEENS1_37radix_sort_block_sort_config_selectorIalEEZNS1_21radix_sort_block_sortIS4_Lb0EPaS8_N6thrust23THRUST_200600_302600_NS10device_ptrIlEESC_NS0_19identity_decomposerEEE10hipError_tT1_T2_T3_T4_jRjT5_jjP12ihipStream_tbEUlT_E_NS1_11comp_targetILNS1_3genE5ELNS1_11target_archE942ELNS1_3gpuE9ELNS1_3repE0EEENS1_44radix_sort_block_sort_config_static_selectorELNS0_4arch9wavefront6targetE1EEEvSF_,comdat
	.protected	_ZN7rocprim17ROCPRIM_400000_NS6detail17trampoline_kernelINS0_13kernel_configILj256ELj4ELj4294967295EEENS1_37radix_sort_block_sort_config_selectorIalEEZNS1_21radix_sort_block_sortIS4_Lb0EPaS8_N6thrust23THRUST_200600_302600_NS10device_ptrIlEESC_NS0_19identity_decomposerEEE10hipError_tT1_T2_T3_T4_jRjT5_jjP12ihipStream_tbEUlT_E_NS1_11comp_targetILNS1_3genE5ELNS1_11target_archE942ELNS1_3gpuE9ELNS1_3repE0EEENS1_44radix_sort_block_sort_config_static_selectorELNS0_4arch9wavefront6targetE1EEEvSF_ ; -- Begin function _ZN7rocprim17ROCPRIM_400000_NS6detail17trampoline_kernelINS0_13kernel_configILj256ELj4ELj4294967295EEENS1_37radix_sort_block_sort_config_selectorIalEEZNS1_21radix_sort_block_sortIS4_Lb0EPaS8_N6thrust23THRUST_200600_302600_NS10device_ptrIlEESC_NS0_19identity_decomposerEEE10hipError_tT1_T2_T3_T4_jRjT5_jjP12ihipStream_tbEUlT_E_NS1_11comp_targetILNS1_3genE5ELNS1_11target_archE942ELNS1_3gpuE9ELNS1_3repE0EEENS1_44radix_sort_block_sort_config_static_selectorELNS0_4arch9wavefront6targetE1EEEvSF_
	.globl	_ZN7rocprim17ROCPRIM_400000_NS6detail17trampoline_kernelINS0_13kernel_configILj256ELj4ELj4294967295EEENS1_37radix_sort_block_sort_config_selectorIalEEZNS1_21radix_sort_block_sortIS4_Lb0EPaS8_N6thrust23THRUST_200600_302600_NS10device_ptrIlEESC_NS0_19identity_decomposerEEE10hipError_tT1_T2_T3_T4_jRjT5_jjP12ihipStream_tbEUlT_E_NS1_11comp_targetILNS1_3genE5ELNS1_11target_archE942ELNS1_3gpuE9ELNS1_3repE0EEENS1_44radix_sort_block_sort_config_static_selectorELNS0_4arch9wavefront6targetE1EEEvSF_
	.p2align	8
	.type	_ZN7rocprim17ROCPRIM_400000_NS6detail17trampoline_kernelINS0_13kernel_configILj256ELj4ELj4294967295EEENS1_37radix_sort_block_sort_config_selectorIalEEZNS1_21radix_sort_block_sortIS4_Lb0EPaS8_N6thrust23THRUST_200600_302600_NS10device_ptrIlEESC_NS0_19identity_decomposerEEE10hipError_tT1_T2_T3_T4_jRjT5_jjP12ihipStream_tbEUlT_E_NS1_11comp_targetILNS1_3genE5ELNS1_11target_archE942ELNS1_3gpuE9ELNS1_3repE0EEENS1_44radix_sort_block_sort_config_static_selectorELNS0_4arch9wavefront6targetE1EEEvSF_,@function
_ZN7rocprim17ROCPRIM_400000_NS6detail17trampoline_kernelINS0_13kernel_configILj256ELj4ELj4294967295EEENS1_37radix_sort_block_sort_config_selectorIalEEZNS1_21radix_sort_block_sortIS4_Lb0EPaS8_N6thrust23THRUST_200600_302600_NS10device_ptrIlEESC_NS0_19identity_decomposerEEE10hipError_tT1_T2_T3_T4_jRjT5_jjP12ihipStream_tbEUlT_E_NS1_11comp_targetILNS1_3genE5ELNS1_11target_archE942ELNS1_3gpuE9ELNS1_3repE0EEENS1_44radix_sort_block_sort_config_static_selectorELNS0_4arch9wavefront6targetE1EEEvSF_: ; @_ZN7rocprim17ROCPRIM_400000_NS6detail17trampoline_kernelINS0_13kernel_configILj256ELj4ELj4294967295EEENS1_37radix_sort_block_sort_config_selectorIalEEZNS1_21radix_sort_block_sortIS4_Lb0EPaS8_N6thrust23THRUST_200600_302600_NS10device_ptrIlEESC_NS0_19identity_decomposerEEE10hipError_tT1_T2_T3_T4_jRjT5_jjP12ihipStream_tbEUlT_E_NS1_11comp_targetILNS1_3genE5ELNS1_11target_archE942ELNS1_3gpuE9ELNS1_3repE0EEENS1_44radix_sort_block_sort_config_static_selectorELNS0_4arch9wavefront6targetE1EEEvSF_
; %bb.0:
	.section	.rodata,"a",@progbits
	.p2align	6, 0x0
	.amdhsa_kernel _ZN7rocprim17ROCPRIM_400000_NS6detail17trampoline_kernelINS0_13kernel_configILj256ELj4ELj4294967295EEENS1_37radix_sort_block_sort_config_selectorIalEEZNS1_21radix_sort_block_sortIS4_Lb0EPaS8_N6thrust23THRUST_200600_302600_NS10device_ptrIlEESC_NS0_19identity_decomposerEEE10hipError_tT1_T2_T3_T4_jRjT5_jjP12ihipStream_tbEUlT_E_NS1_11comp_targetILNS1_3genE5ELNS1_11target_archE942ELNS1_3gpuE9ELNS1_3repE0EEENS1_44radix_sort_block_sort_config_static_selectorELNS0_4arch9wavefront6targetE1EEEvSF_
		.amdhsa_group_segment_fixed_size 0
		.amdhsa_private_segment_fixed_size 0
		.amdhsa_kernarg_size 48
		.amdhsa_user_sgpr_count 6
		.amdhsa_user_sgpr_private_segment_buffer 1
		.amdhsa_user_sgpr_dispatch_ptr 0
		.amdhsa_user_sgpr_queue_ptr 0
		.amdhsa_user_sgpr_kernarg_segment_ptr 1
		.amdhsa_user_sgpr_dispatch_id 0
		.amdhsa_user_sgpr_flat_scratch_init 0
		.amdhsa_user_sgpr_kernarg_preload_length 0
		.amdhsa_user_sgpr_kernarg_preload_offset 0
		.amdhsa_user_sgpr_private_segment_size 0
		.amdhsa_uses_dynamic_stack 0
		.amdhsa_system_sgpr_private_segment_wavefront_offset 0
		.amdhsa_system_sgpr_workgroup_id_x 1
		.amdhsa_system_sgpr_workgroup_id_y 0
		.amdhsa_system_sgpr_workgroup_id_z 0
		.amdhsa_system_sgpr_workgroup_info 0
		.amdhsa_system_vgpr_workitem_id 0
		.amdhsa_next_free_vgpr 1
		.amdhsa_next_free_sgpr 0
		.amdhsa_accum_offset 4
		.amdhsa_reserve_vcc 0
		.amdhsa_reserve_flat_scratch 0
		.amdhsa_float_round_mode_32 0
		.amdhsa_float_round_mode_16_64 0
		.amdhsa_float_denorm_mode_32 3
		.amdhsa_float_denorm_mode_16_64 3
		.amdhsa_dx10_clamp 1
		.amdhsa_ieee_mode 1
		.amdhsa_fp16_overflow 0
		.amdhsa_tg_split 0
		.amdhsa_exception_fp_ieee_invalid_op 0
		.amdhsa_exception_fp_denorm_src 0
		.amdhsa_exception_fp_ieee_div_zero 0
		.amdhsa_exception_fp_ieee_overflow 0
		.amdhsa_exception_fp_ieee_underflow 0
		.amdhsa_exception_fp_ieee_inexact 0
		.amdhsa_exception_int_div_zero 0
	.end_amdhsa_kernel
	.section	.text._ZN7rocprim17ROCPRIM_400000_NS6detail17trampoline_kernelINS0_13kernel_configILj256ELj4ELj4294967295EEENS1_37radix_sort_block_sort_config_selectorIalEEZNS1_21radix_sort_block_sortIS4_Lb0EPaS8_N6thrust23THRUST_200600_302600_NS10device_ptrIlEESC_NS0_19identity_decomposerEEE10hipError_tT1_T2_T3_T4_jRjT5_jjP12ihipStream_tbEUlT_E_NS1_11comp_targetILNS1_3genE5ELNS1_11target_archE942ELNS1_3gpuE9ELNS1_3repE0EEENS1_44radix_sort_block_sort_config_static_selectorELNS0_4arch9wavefront6targetE1EEEvSF_,"axG",@progbits,_ZN7rocprim17ROCPRIM_400000_NS6detail17trampoline_kernelINS0_13kernel_configILj256ELj4ELj4294967295EEENS1_37radix_sort_block_sort_config_selectorIalEEZNS1_21radix_sort_block_sortIS4_Lb0EPaS8_N6thrust23THRUST_200600_302600_NS10device_ptrIlEESC_NS0_19identity_decomposerEEE10hipError_tT1_T2_T3_T4_jRjT5_jjP12ihipStream_tbEUlT_E_NS1_11comp_targetILNS1_3genE5ELNS1_11target_archE942ELNS1_3gpuE9ELNS1_3repE0EEENS1_44radix_sort_block_sort_config_static_selectorELNS0_4arch9wavefront6targetE1EEEvSF_,comdat
.Lfunc_end461:
	.size	_ZN7rocprim17ROCPRIM_400000_NS6detail17trampoline_kernelINS0_13kernel_configILj256ELj4ELj4294967295EEENS1_37radix_sort_block_sort_config_selectorIalEEZNS1_21radix_sort_block_sortIS4_Lb0EPaS8_N6thrust23THRUST_200600_302600_NS10device_ptrIlEESC_NS0_19identity_decomposerEEE10hipError_tT1_T2_T3_T4_jRjT5_jjP12ihipStream_tbEUlT_E_NS1_11comp_targetILNS1_3genE5ELNS1_11target_archE942ELNS1_3gpuE9ELNS1_3repE0EEENS1_44radix_sort_block_sort_config_static_selectorELNS0_4arch9wavefront6targetE1EEEvSF_, .Lfunc_end461-_ZN7rocprim17ROCPRIM_400000_NS6detail17trampoline_kernelINS0_13kernel_configILj256ELj4ELj4294967295EEENS1_37radix_sort_block_sort_config_selectorIalEEZNS1_21radix_sort_block_sortIS4_Lb0EPaS8_N6thrust23THRUST_200600_302600_NS10device_ptrIlEESC_NS0_19identity_decomposerEEE10hipError_tT1_T2_T3_T4_jRjT5_jjP12ihipStream_tbEUlT_E_NS1_11comp_targetILNS1_3genE5ELNS1_11target_archE942ELNS1_3gpuE9ELNS1_3repE0EEENS1_44radix_sort_block_sort_config_static_selectorELNS0_4arch9wavefront6targetE1EEEvSF_
                                        ; -- End function
	.section	.AMDGPU.csdata,"",@progbits
; Kernel info:
; codeLenInByte = 0
; NumSgprs: 4
; NumVgprs: 0
; NumAgprs: 0
; TotalNumVgprs: 0
; ScratchSize: 0
; MemoryBound: 0
; FloatMode: 240
; IeeeMode: 1
; LDSByteSize: 0 bytes/workgroup (compile time only)
; SGPRBlocks: 0
; VGPRBlocks: 0
; NumSGPRsForWavesPerEU: 4
; NumVGPRsForWavesPerEU: 1
; AccumOffset: 4
; Occupancy: 8
; WaveLimiterHint : 0
; COMPUTE_PGM_RSRC2:SCRATCH_EN: 0
; COMPUTE_PGM_RSRC2:USER_SGPR: 6
; COMPUTE_PGM_RSRC2:TRAP_HANDLER: 0
; COMPUTE_PGM_RSRC2:TGID_X_EN: 1
; COMPUTE_PGM_RSRC2:TGID_Y_EN: 0
; COMPUTE_PGM_RSRC2:TGID_Z_EN: 0
; COMPUTE_PGM_RSRC2:TIDIG_COMP_CNT: 0
; COMPUTE_PGM_RSRC3_GFX90A:ACCUM_OFFSET: 0
; COMPUTE_PGM_RSRC3_GFX90A:TG_SPLIT: 0
	.section	.text._ZN7rocprim17ROCPRIM_400000_NS6detail17trampoline_kernelINS0_13kernel_configILj256ELj4ELj4294967295EEENS1_37radix_sort_block_sort_config_selectorIalEEZNS1_21radix_sort_block_sortIS4_Lb0EPaS8_N6thrust23THRUST_200600_302600_NS10device_ptrIlEESC_NS0_19identity_decomposerEEE10hipError_tT1_T2_T3_T4_jRjT5_jjP12ihipStream_tbEUlT_E_NS1_11comp_targetILNS1_3genE4ELNS1_11target_archE910ELNS1_3gpuE8ELNS1_3repE0EEENS1_44radix_sort_block_sort_config_static_selectorELNS0_4arch9wavefront6targetE1EEEvSF_,"axG",@progbits,_ZN7rocprim17ROCPRIM_400000_NS6detail17trampoline_kernelINS0_13kernel_configILj256ELj4ELj4294967295EEENS1_37radix_sort_block_sort_config_selectorIalEEZNS1_21radix_sort_block_sortIS4_Lb0EPaS8_N6thrust23THRUST_200600_302600_NS10device_ptrIlEESC_NS0_19identity_decomposerEEE10hipError_tT1_T2_T3_T4_jRjT5_jjP12ihipStream_tbEUlT_E_NS1_11comp_targetILNS1_3genE4ELNS1_11target_archE910ELNS1_3gpuE8ELNS1_3repE0EEENS1_44radix_sort_block_sort_config_static_selectorELNS0_4arch9wavefront6targetE1EEEvSF_,comdat
	.protected	_ZN7rocprim17ROCPRIM_400000_NS6detail17trampoline_kernelINS0_13kernel_configILj256ELj4ELj4294967295EEENS1_37radix_sort_block_sort_config_selectorIalEEZNS1_21radix_sort_block_sortIS4_Lb0EPaS8_N6thrust23THRUST_200600_302600_NS10device_ptrIlEESC_NS0_19identity_decomposerEEE10hipError_tT1_T2_T3_T4_jRjT5_jjP12ihipStream_tbEUlT_E_NS1_11comp_targetILNS1_3genE4ELNS1_11target_archE910ELNS1_3gpuE8ELNS1_3repE0EEENS1_44radix_sort_block_sort_config_static_selectorELNS0_4arch9wavefront6targetE1EEEvSF_ ; -- Begin function _ZN7rocprim17ROCPRIM_400000_NS6detail17trampoline_kernelINS0_13kernel_configILj256ELj4ELj4294967295EEENS1_37radix_sort_block_sort_config_selectorIalEEZNS1_21radix_sort_block_sortIS4_Lb0EPaS8_N6thrust23THRUST_200600_302600_NS10device_ptrIlEESC_NS0_19identity_decomposerEEE10hipError_tT1_T2_T3_T4_jRjT5_jjP12ihipStream_tbEUlT_E_NS1_11comp_targetILNS1_3genE4ELNS1_11target_archE910ELNS1_3gpuE8ELNS1_3repE0EEENS1_44radix_sort_block_sort_config_static_selectorELNS0_4arch9wavefront6targetE1EEEvSF_
	.globl	_ZN7rocprim17ROCPRIM_400000_NS6detail17trampoline_kernelINS0_13kernel_configILj256ELj4ELj4294967295EEENS1_37radix_sort_block_sort_config_selectorIalEEZNS1_21radix_sort_block_sortIS4_Lb0EPaS8_N6thrust23THRUST_200600_302600_NS10device_ptrIlEESC_NS0_19identity_decomposerEEE10hipError_tT1_T2_T3_T4_jRjT5_jjP12ihipStream_tbEUlT_E_NS1_11comp_targetILNS1_3genE4ELNS1_11target_archE910ELNS1_3gpuE8ELNS1_3repE0EEENS1_44radix_sort_block_sort_config_static_selectorELNS0_4arch9wavefront6targetE1EEEvSF_
	.p2align	8
	.type	_ZN7rocprim17ROCPRIM_400000_NS6detail17trampoline_kernelINS0_13kernel_configILj256ELj4ELj4294967295EEENS1_37radix_sort_block_sort_config_selectorIalEEZNS1_21radix_sort_block_sortIS4_Lb0EPaS8_N6thrust23THRUST_200600_302600_NS10device_ptrIlEESC_NS0_19identity_decomposerEEE10hipError_tT1_T2_T3_T4_jRjT5_jjP12ihipStream_tbEUlT_E_NS1_11comp_targetILNS1_3genE4ELNS1_11target_archE910ELNS1_3gpuE8ELNS1_3repE0EEENS1_44radix_sort_block_sort_config_static_selectorELNS0_4arch9wavefront6targetE1EEEvSF_,@function
_ZN7rocprim17ROCPRIM_400000_NS6detail17trampoline_kernelINS0_13kernel_configILj256ELj4ELj4294967295EEENS1_37radix_sort_block_sort_config_selectorIalEEZNS1_21radix_sort_block_sortIS4_Lb0EPaS8_N6thrust23THRUST_200600_302600_NS10device_ptrIlEESC_NS0_19identity_decomposerEEE10hipError_tT1_T2_T3_T4_jRjT5_jjP12ihipStream_tbEUlT_E_NS1_11comp_targetILNS1_3genE4ELNS1_11target_archE910ELNS1_3gpuE8ELNS1_3repE0EEENS1_44radix_sort_block_sort_config_static_selectorELNS0_4arch9wavefront6targetE1EEEvSF_: ; @_ZN7rocprim17ROCPRIM_400000_NS6detail17trampoline_kernelINS0_13kernel_configILj256ELj4ELj4294967295EEENS1_37radix_sort_block_sort_config_selectorIalEEZNS1_21radix_sort_block_sortIS4_Lb0EPaS8_N6thrust23THRUST_200600_302600_NS10device_ptrIlEESC_NS0_19identity_decomposerEEE10hipError_tT1_T2_T3_T4_jRjT5_jjP12ihipStream_tbEUlT_E_NS1_11comp_targetILNS1_3genE4ELNS1_11target_archE910ELNS1_3gpuE8ELNS1_3repE0EEENS1_44radix_sort_block_sort_config_static_selectorELNS0_4arch9wavefront6targetE1EEEvSF_
; %bb.0:
	s_load_dword s2, s[4:5], 0x20
	s_load_dwordx8 s[36:43], s[4:5], 0x0
	s_lshl_b32 s28, s6, 10
	v_mbcnt_lo_u32_b32 v1, -1, 0
	v_mbcnt_hi_u32_b32 v1, -1, v1
	s_waitcnt lgkmcnt(0)
	s_lshr_b32 s0, s2, 10
	s_cmp_lg_u32 s6, s0
	s_cselect_b64 s[30:31], -1, 0
	s_add_u32 s1, s36, s28
	v_and_b32_e32 v8, 0x3ff, v0
	s_addc_u32 s3, s37, 0
	v_and_b32_e32 v6, 63, v1
	v_lshlrev_b32_e32 v7, 2, v8
	v_mov_b32_e32 v2, s3
	v_add_co_u32_e32 v3, vcc, s1, v6
	v_and_b32_e32 v10, 0x300, v7
	v_addc_co_u32_e32 v2, vcc, 0, v2, vcc
	v_add_co_u32_e32 v4, vcc, v3, v10
	s_mov_b32 s29, 0
	s_cmp_eq_u32 s6, s0
	v_addc_co_u32_e32 v5, vcc, 0, v2, vcc
	v_lshlrev_b32_e32 v17, 3, v6
	v_lshlrev_b32_e32 v16, 3, v10
	v_or_b32_e32 v15, v6, v10
	s_cbranch_scc1 .LBB462_2
; %bb.1:
	s_lshl_b64 s[0:1], s[28:29], 3
	s_add_u32 s0, s40, s0
	s_addc_u32 s1, s41, s1
	v_mov_b32_e32 v2, s1
	v_add_co_u32_e32 v3, vcc, s0, v17
	v_addc_co_u32_e32 v2, vcc, 0, v2, vcc
	v_add_co_u32_e32 v18, vcc, v3, v16
	v_addc_co_u32_e32 v19, vcc, 0, v2, vcc
	global_load_ubyte v12, v[4:5], off offset:192
	global_load_ubyte v14, v[4:5], off offset:128
	;; [unrolled: 1-line block ×3, first 2 shown]
	global_load_ubyte v11, v[4:5], off
	global_load_dwordx2 v[2:3], v[18:19], off
	global_load_dwordx2 v[20:21], v[18:19], off offset:512
	global_load_dwordx2 v[22:23], v[18:19], off offset:1024
	global_load_dwordx2 v[24:25], v[18:19], off offset:1536
	v_or_b32_e32 v31, v6, v10
	v_or_b32_e32 v9, 64, v31
	;; [unrolled: 1-line block ×4, first 2 shown]
	s_load_dwordx2 s[34:35], s[4:5], 0x28
	s_sub_i32 s33, s2, s28
	s_cbranch_execz .LBB462_3
	s_branch .LBB462_17
.LBB462_2:
                                        ; implicit-def: $vgpr11
                                        ; implicit-def: $vgpr13
                                        ; implicit-def: $vgpr14
                                        ; implicit-def: $vgpr12
                                        ; implicit-def: $vgpr2_vgpr3
                                        ; implicit-def: $vgpr20_vgpr21
                                        ; implicit-def: $vgpr22_vgpr23
                                        ; implicit-def: $vgpr24_vgpr25
                                        ; implicit-def: $vgpr31
                                        ; implicit-def: $vgpr9
                                        ; implicit-def: $vgpr27
                                        ; implicit-def: $vgpr29
	s_load_dwordx2 s[34:35], s[4:5], 0x28
	s_sub_i32 s33, s2, s28
.LBB462_3:
	v_cmp_gt_u32_e32 vcc, s33, v15
	s_waitcnt vmcnt(4)
	v_mov_b32_e32 v11, 0x7f
	v_mov_b32_e32 v12, 0x7f
	;; [unrolled: 1-line block ×4, first 2 shown]
	s_and_saveexec_b64 s[0:1], vcc
	s_cbranch_execz .LBB462_5
; %bb.4:
	global_load_ubyte v11, v[4:5], off
	v_mov_b32_e32 v13, 0x7f
	v_mov_b32_e32 v14, 0x7f
	;; [unrolled: 1-line block ×3, first 2 shown]
.LBB462_5:
	s_or_b64 exec, exec, s[0:1]
	v_or_b32_e32 v9, 64, v15
	v_cmp_gt_u32_e64 s[0:1], s33, v9
	s_and_saveexec_b64 s[2:3], s[0:1]
	s_cbranch_execz .LBB462_7
; %bb.6:
	global_load_ubyte v13, v[4:5], off offset:64
.LBB462_7:
	s_or_b64 exec, exec, s[2:3]
	v_or_b32_e32 v27, 0x80, v15
	v_cmp_gt_u32_e64 s[2:3], s33, v27
	s_and_saveexec_b64 s[6:7], s[2:3]
	s_cbranch_execz .LBB462_9
; %bb.8:
	global_load_ubyte v14, v[4:5], off offset:128
.LBB462_9:
	;; [unrolled: 8-line block ×3, first 2 shown]
	s_or_b64 exec, exec, s[8:9]
	s_lshl_b64 s[8:9], s[28:29], 3
	s_add_u32 s8, s40, s8
	s_addc_u32 s9, s41, s9
	s_waitcnt vmcnt(3)
	v_mov_b32_e32 v2, s9
	v_add_co_u32_e64 v3, s[8:9], s8, v17
	v_addc_co_u32_e64 v2, s[8:9], 0, v2, s[8:9]
	v_add_co_u32_e64 v4, s[8:9], v3, v16
	v_addc_co_u32_e64 v5, s[8:9], 0, v2, s[8:9]
                                        ; implicit-def: $vgpr2_vgpr3
	s_and_saveexec_b64 s[8:9], vcc
	s_cbranch_execnz .LBB462_54
; %bb.12:
	s_or_b64 exec, exec, s[8:9]
                                        ; implicit-def: $vgpr20_vgpr21
	s_and_saveexec_b64 s[8:9], s[0:1]
	s_cbranch_execnz .LBB462_55
.LBB462_13:
	s_or_b64 exec, exec, s[8:9]
                                        ; implicit-def: $vgpr22_vgpr23
	s_and_saveexec_b64 s[0:1], s[2:3]
	s_cbranch_execnz .LBB462_56
.LBB462_14:
	s_or_b64 exec, exec, s[0:1]
                                        ; implicit-def: $vgpr24_vgpr25
	s_and_saveexec_b64 s[0:1], s[6:7]
	s_cbranch_execz .LBB462_16
.LBB462_15:
	global_load_dwordx2 v[24:25], v[4:5], off offset:1536
.LBB462_16:
	s_or_b64 exec, exec, s[0:1]
	v_mov_b32_e32 v31, v15
.LBB462_17:
	s_load_dword s2, s[4:5], 0x3c
	s_movk_i32 s0, 0x80
	s_waitcnt lgkmcnt(0)
	s_add_i32 s36, s35, s34
	s_waitcnt vmcnt(0)
	v_xor_b32_e32 v4, 0x80, v11
	v_xor_b32_sdwa v5, v13, s0 dst_sel:BYTE_1 dst_unused:UNUSED_PAD src0_sel:DWORD src1_sel:DWORD
	v_xor_b32_e32 v6, 0x80, v14
	v_xor_b32_sdwa v10, v12, s0 dst_sel:BYTE_1 dst_unused:UNUSED_PAD src0_sel:DWORD src1_sel:DWORD
	v_or_b32_sdwa v4, v4, v5 dst_sel:DWORD dst_unused:UNUSED_PAD src0_sel:BYTE_0 src1_sel:DWORD
	v_or_b32_sdwa v5, v6, v10 dst_sel:WORD_1 dst_unused:UNUSED_PAD src0_sel:BYTE_0 src1_sel:DWORD
	s_getpc_b64 s[0:1]
	s_add_u32 s0, s0, _ZN7rocprim17ROCPRIM_400000_NS16block_radix_sortIaLj256ELj4ElLj1ELj1ELj0ELNS0_26block_radix_rank_algorithmE1ELNS0_18block_padding_hintE2ELNS0_4arch9wavefront6targetE1EE19radix_bits_per_passE@rel32@lo+4
	s_addc_u32 s1, s1, _ZN7rocprim17ROCPRIM_400000_NS16block_radix_sortIaLj256ELj4ElLj1ELj1ELj0ELNS0_26block_radix_rank_algorithmE1ELNS0_18block_padding_hintE2ELNS0_4arch9wavefront6targetE1EE19radix_bits_per_passE@rel32@hi+12
	v_or_b32_sdwa v34, v4, v5 dst_sel:DWORD dst_unused:UNUSED_PAD src0_sel:WORD_0 src1_sel:DWORD
	s_load_dword s37, s[0:1], 0x0
	s_lshr_b32 s0, s2, 16
	v_bfe_u32 v4, v0, 10, 10
	v_bfe_u32 v0, v0, 20, 10
	s_and_b32 s1, s2, 0xffff
	v_mad_u32_u24 v0, v0, s0, v4
	v_mad_u64_u32 v[4:5], s[0:1], v0, s1, v[8:9]
	v_and_b32_e32 v0, 15, v1
	v_cmp_eq_u32_e64 s[0:1], 0, v0
	v_cmp_lt_u32_e64 s[2:3], 1, v0
	v_cmp_lt_u32_e64 s[4:5], 3, v0
	v_cmp_lt_u32_e64 s[6:7], 7, v0
	v_and_b32_e32 v0, 16, v1
	v_cmp_eq_u32_e64 s[8:9], 0, v0
	v_and_b32_e32 v0, 0x3c0, v8
	v_min_u32_e32 v0, 0xc0, v0
	v_or_b32_e32 v0, 63, v0
	v_lshrrev_b32_e32 v33, 6, v4
	v_cmp_eq_u32_e64 s[12:13], v0, v8
	v_add_u32_e32 v0, -1, v1
	v_and_b32_e32 v4, 64, v1
	v_cmp_lt_i32_e32 vcc, v0, v4
	v_cndmask_b32_e32 v0, v0, v1, vcc
	s_mov_b32 s26, 0
	v_cmp_lt_u32_e64 s[10:11], 31, v1
	v_lshlrev_b32_e32 v35, 2, v0
	v_cmp_eq_u32_e64 s[18:19], 0, v1
	v_lshrrev_b32_e32 v0, 4, v8
	v_and_b32_e32 v1, 3, v1
	v_lshlrev_b32_e32 v32, 2, v7
	v_and_b32_e32 v36, 60, v0
	v_mul_i32_i24_e32 v0, -12, v8
	v_cmp_eq_u32_e64 s[22:23], 0, v1
	v_cmp_lt_u32_e64 s[24:25], 1, v1
	v_mul_i32_i24_e32 v1, 7, v31
	v_mul_i32_i24_e32 v4, 7, v9
	;; [unrolled: 1-line block ×4, first 2 shown]
	s_mov_b32 s27, s26
	s_mov_b32 s40, s26
	;; [unrolled: 1-line block ×3, first 2 shown]
	v_cmp_gt_u32_e64 s[14:15], 4, v8
	v_cmp_lt_u32_e64 s[16:17], 63, v8
	v_cmp_eq_u32_e64 s[20:21], 0, v8
	v_add_u32_e32 v37, -4, v36
	v_pk_mov_b32 v[14:15], s[26:27], s[26:27] op_sel:[0,1]
	v_pk_mov_b32 v[16:17], s[40:41], s[40:41] op_sel:[0,1]
	v_add_u32_e32 v38, v32, v0
	v_add_u32_e32 v39, v31, v1
	;; [unrolled: 1-line block ×5, first 2 shown]
	v_mov_b32_e32 v18, 0
	s_branch .LBB462_19
.LBB462_18:                             ;   in Loop: Header=BB462_19 Depth=1
	s_barrier
	ds_write_b8 v30, v34
	ds_write_b8 v28, v46
	;; [unrolled: 1-line block ×4, first 2 shown]
	s_waitcnt lgkmcnt(0)
	s_barrier
	ds_read_u8 v2, v9
	ds_read_u8 v3, v31
	;; [unrolled: 1-line block ×4, first 2 shown]
	s_waitcnt lgkmcnt(0)
	v_lshlrev_b16_e32 v2, 8, v2
	v_or_b32_e32 v2, v3, v2
	v_lshlrev_b16_e32 v3, 8, v20
	v_or_b32_sdwa v3, v21, v3 dst_sel:WORD_1 dst_unused:UNUSED_PAD src0_sel:DWORD src1_sel:DWORD
	v_or_b32_sdwa v34, v2, v3 dst_sel:DWORD dst_unused:UNUSED_PAD src0_sel:WORD_0 src1_sel:DWORD
	v_mad_u64_u32 v[2:3], s[26:27], v30, 7, v[30:31]
	s_barrier
	ds_write_b64 v2, v[12:13]
	v_mad_u64_u32 v[2:3], s[26:27], v28, 7, v[28:29]
	ds_write_b64 v2, v[10:11]
	v_mad_u64_u32 v[2:3], s[26:27], v26, 7, v[26:27]
	;; [unrolled: 2-line block ×3, first 2 shown]
	ds_write_b64 v2, v[4:5]
	s_waitcnt lgkmcnt(0)
	s_barrier
	ds_read_b64 v[2:3], v39
	ds_read_b64 v[20:21], v40
	;; [unrolled: 1-line block ×4, first 2 shown]
	s_add_i32 s35, s35, -8
	s_waitcnt lgkmcnt(0)
	s_barrier
	s_cbranch_execz .LBB462_35
.LBB462_19:                             ; =>This Inner Loop Header: Depth=1
	s_waitcnt lgkmcnt(0)
	s_min_u32 s26, s37, s35
	s_lshl_b32 s26, -1, s26
	s_not_b32 s40, s26
	v_lshrrev_b32_sdwa v0, s34, v34 dst_sel:DWORD dst_unused:UNUSED_PAD src0_sel:DWORD src1_sel:BYTE_0
	v_and_b32_e32 v0, s40, v0
	v_lshl_add_u32 v1, v0, 2, v33
	v_pk_mov_b32 v[10:11], v[20:21], v[20:21] op_sel:[0,1]
	v_lshl_add_u32 v20, v1, 2, 16
	v_and_b32_e32 v1, 1, v0
	v_pk_mov_b32 v[12:13], v[2:3], v[2:3] op_sel:[0,1]
	v_add_co_u32_e32 v2, vcc, -1, v1
	v_addc_co_u32_e64 v3, s[26:27], 0, -1, vcc
	v_cmp_ne_u32_e32 vcc, 0, v1
	v_lshlrev_b32_e32 v19, 30, v0
	v_xor_b32_e32 v1, vcc_hi, v3
	v_not_b32_e32 v3, v19
	v_xor_b32_e32 v2, vcc_lo, v2
	v_cmp_gt_i64_e32 vcc, 0, v[18:19]
	v_ashrrev_i32_e32 v3, 31, v3
	v_and_b32_e32 v1, exec_hi, v1
	v_xor_b32_e32 v19, vcc_hi, v3
	v_and_b32_e32 v2, exec_lo, v2
	v_xor_b32_e32 v3, vcc_lo, v3
	v_and_b32_e32 v1, v1, v19
	v_lshlrev_b32_e32 v19, 29, v0
	v_and_b32_e32 v2, v2, v3
	v_not_b32_e32 v3, v19
	v_cmp_gt_i64_e32 vcc, 0, v[18:19]
	v_ashrrev_i32_e32 v3, 31, v3
	v_xor_b32_e32 v19, vcc_hi, v3
	v_xor_b32_e32 v3, vcc_lo, v3
	v_and_b32_e32 v1, v1, v19
	v_lshlrev_b32_e32 v19, 28, v0
	v_and_b32_e32 v2, v2, v3
	v_not_b32_e32 v3, v19
	v_cmp_gt_i64_e32 vcc, 0, v[18:19]
	v_ashrrev_i32_e32 v3, 31, v3
	v_xor_b32_e32 v19, vcc_hi, v3
	v_xor_b32_e32 v3, vcc_lo, v3
	v_and_b32_e32 v1, v1, v19
	v_lshlrev_b32_e32 v19, 27, v0
	v_and_b32_e32 v2, v2, v3
	v_not_b32_e32 v3, v19
	v_cmp_gt_i64_e32 vcc, 0, v[18:19]
	v_ashrrev_i32_e32 v3, 31, v3
	v_xor_b32_e32 v19, vcc_hi, v3
	v_xor_b32_e32 v3, vcc_lo, v3
	v_and_b32_e32 v1, v1, v19
	v_lshlrev_b32_e32 v19, 26, v0
	v_and_b32_e32 v2, v2, v3
	v_not_b32_e32 v3, v19
	v_cmp_gt_i64_e32 vcc, 0, v[18:19]
	v_ashrrev_i32_e32 v3, 31, v3
	v_xor_b32_e32 v19, vcc_hi, v3
	v_xor_b32_e32 v3, vcc_lo, v3
	v_and_b32_e32 v1, v1, v19
	v_lshlrev_b32_e32 v19, 25, v0
	v_and_b32_e32 v2, v2, v3
	v_not_b32_e32 v3, v19
	v_cmp_gt_i64_e32 vcc, 0, v[18:19]
	v_ashrrev_i32_e32 v3, 31, v3
	v_xor_b32_e32 v19, vcc_hi, v3
	v_and_b32_e32 v1, v1, v19
	v_lshlrev_b32_e32 v19, 24, v0
	v_not_b32_e32 v0, v19
	v_xor_b32_e32 v3, vcc_lo, v3
	v_cmp_gt_i64_e32 vcc, 0, v[18:19]
	v_ashrrev_i32_e32 v0, 31, v0
	v_and_b32_e32 v2, v2, v3
	v_xor_b32_e32 v3, vcc_hi, v0
	v_xor_b32_e32 v0, vcc_lo, v0
	v_and_b32_e32 v0, v2, v0
	v_and_b32_e32 v1, v1, v3
	v_mbcnt_lo_u32_b32 v2, v0, 0
	v_mbcnt_hi_u32_b32 v21, v1, v2
	v_cmp_eq_u32_e32 vcc, 0, v21
	v_cmp_ne_u64_e64 s[26:27], 0, v[0:1]
	v_pk_mov_b32 v[6:7], v[22:23], v[22:23] op_sel:[0,1]
	v_pk_mov_b32 v[4:5], v[24:25], v[24:25] op_sel:[0,1]
	s_and_b64 s[44:45], s[26:27], vcc
	ds_write2_b64 v32, v[14:15], v[16:17] offset0:2 offset1:3
	s_waitcnt lgkmcnt(0)
	s_barrier
	s_waitcnt lgkmcnt(0)
	; wave barrier
	s_and_saveexec_b64 s[26:27], s[44:45]
	s_cbranch_execz .LBB462_21
; %bb.20:                               ;   in Loop: Header=BB462_19 Depth=1
	v_bcnt_u32_b32 v0, v0, 0
	v_bcnt_u32_b32 v0, v1, v0
	ds_write_b32 v20, v0
.LBB462_21:                             ;   in Loop: Header=BB462_19 Depth=1
	s_or_b64 exec, exec, s[26:27]
	v_lshrrev_b32_sdwa v0, s34, v34 dst_sel:DWORD dst_unused:UNUSED_PAD src0_sel:DWORD src1_sel:BYTE_1
	v_and_b32_e32 v0, s40, v0
	v_lshlrev_b32_e32 v1, 2, v0
	v_add_lshl_u32 v1, v1, v33, 2
	; wave barrier
	v_add_u32_e32 v23, 16, v1
	ds_read_b32 v22, v1 offset:16
	v_and_b32_e32 v1, 1, v0
	v_add_co_u32_e32 v2, vcc, -1, v1
	v_addc_co_u32_e64 v3, s[26:27], 0, -1, vcc
	v_cmp_ne_u32_e32 vcc, 0, v1
	v_lshlrev_b32_e32 v19, 30, v0
	v_xor_b32_e32 v1, vcc_hi, v3
	v_not_b32_e32 v3, v19
	v_xor_b32_e32 v2, vcc_lo, v2
	v_cmp_gt_i64_e32 vcc, 0, v[18:19]
	v_ashrrev_i32_e32 v3, 31, v3
	v_and_b32_e32 v1, exec_hi, v1
	v_xor_b32_e32 v19, vcc_hi, v3
	v_and_b32_e32 v2, exec_lo, v2
	v_xor_b32_e32 v3, vcc_lo, v3
	v_and_b32_e32 v1, v1, v19
	v_lshlrev_b32_e32 v19, 29, v0
	v_and_b32_e32 v2, v2, v3
	v_not_b32_e32 v3, v19
	v_cmp_gt_i64_e32 vcc, 0, v[18:19]
	v_ashrrev_i32_e32 v3, 31, v3
	v_xor_b32_e32 v19, vcc_hi, v3
	v_xor_b32_e32 v3, vcc_lo, v3
	v_and_b32_e32 v1, v1, v19
	v_lshlrev_b32_e32 v19, 28, v0
	v_and_b32_e32 v2, v2, v3
	v_not_b32_e32 v3, v19
	v_cmp_gt_i64_e32 vcc, 0, v[18:19]
	v_ashrrev_i32_e32 v3, 31, v3
	v_xor_b32_e32 v19, vcc_hi, v3
	;; [unrolled: 8-line block ×5, first 2 shown]
	v_and_b32_e32 v1, v1, v19
	v_lshlrev_b32_e32 v19, 24, v0
	v_not_b32_e32 v0, v19
	v_xor_b32_e32 v3, vcc_lo, v3
	v_cmp_gt_i64_e32 vcc, 0, v[18:19]
	v_ashrrev_i32_e32 v0, 31, v0
	v_and_b32_e32 v2, v2, v3
	v_xor_b32_e32 v3, vcc_hi, v0
	v_xor_b32_e32 v0, vcc_lo, v0
	v_and_b32_e32 v0, v2, v0
	v_and_b32_e32 v1, v1, v3
	v_mbcnt_lo_u32_b32 v2, v0, 0
	v_mbcnt_hi_u32_b32 v24, v1, v2
	v_cmp_eq_u32_e32 vcc, 0, v24
	v_cmp_ne_u64_e64 s[26:27], 0, v[0:1]
	s_and_b64 s[44:45], s[26:27], vcc
	; wave barrier
	s_and_saveexec_b64 s[26:27], s[44:45]
	s_cbranch_execz .LBB462_23
; %bb.22:                               ;   in Loop: Header=BB462_19 Depth=1
	v_bcnt_u32_b32 v0, v0, 0
	v_bcnt_u32_b32 v0, v1, v0
	s_waitcnt lgkmcnt(0)
	v_add_u32_e32 v0, v22, v0
	ds_write_b32 v23, v0
.LBB462_23:                             ;   in Loop: Header=BB462_19 Depth=1
	s_or_b64 exec, exec, s[26:27]
	v_lshrrev_b32_sdwa v0, s34, v34 dst_sel:DWORD dst_unused:UNUSED_PAD src0_sel:DWORD src1_sel:BYTE_2
	v_and_b32_e32 v0, s40, v0
	v_lshlrev_b32_e32 v1, 2, v0
	v_add_lshl_u32 v1, v1, v33, 2
	; wave barrier
	v_add_u32_e32 v26, 16, v1
	ds_read_b32 v25, v1 offset:16
	v_and_b32_e32 v1, 1, v0
	v_add_co_u32_e32 v2, vcc, -1, v1
	v_addc_co_u32_e64 v3, s[26:27], 0, -1, vcc
	v_cmp_ne_u32_e32 vcc, 0, v1
	v_lshlrev_b32_e32 v19, 30, v0
	v_xor_b32_e32 v1, vcc_hi, v3
	v_not_b32_e32 v3, v19
	v_xor_b32_e32 v2, vcc_lo, v2
	v_cmp_gt_i64_e32 vcc, 0, v[18:19]
	v_ashrrev_i32_e32 v3, 31, v3
	v_and_b32_e32 v1, exec_hi, v1
	v_xor_b32_e32 v19, vcc_hi, v3
	v_and_b32_e32 v2, exec_lo, v2
	v_xor_b32_e32 v3, vcc_lo, v3
	v_and_b32_e32 v1, v1, v19
	v_lshlrev_b32_e32 v19, 29, v0
	v_and_b32_e32 v2, v2, v3
	v_not_b32_e32 v3, v19
	v_cmp_gt_i64_e32 vcc, 0, v[18:19]
	v_ashrrev_i32_e32 v3, 31, v3
	v_xor_b32_e32 v19, vcc_hi, v3
	v_xor_b32_e32 v3, vcc_lo, v3
	v_and_b32_e32 v1, v1, v19
	v_lshlrev_b32_e32 v19, 28, v0
	v_and_b32_e32 v2, v2, v3
	v_not_b32_e32 v3, v19
	v_cmp_gt_i64_e32 vcc, 0, v[18:19]
	v_ashrrev_i32_e32 v3, 31, v3
	v_xor_b32_e32 v19, vcc_hi, v3
	;; [unrolled: 8-line block ×5, first 2 shown]
	v_and_b32_e32 v1, v1, v19
	v_lshlrev_b32_e32 v19, 24, v0
	v_not_b32_e32 v0, v19
	v_xor_b32_e32 v3, vcc_lo, v3
	v_cmp_gt_i64_e32 vcc, 0, v[18:19]
	v_ashrrev_i32_e32 v0, 31, v0
	v_and_b32_e32 v2, v2, v3
	v_xor_b32_e32 v3, vcc_hi, v0
	v_xor_b32_e32 v0, vcc_lo, v0
	v_and_b32_e32 v0, v2, v0
	v_and_b32_e32 v1, v1, v3
	v_mbcnt_lo_u32_b32 v2, v0, 0
	v_mbcnt_hi_u32_b32 v44, v1, v2
	v_cmp_eq_u32_e32 vcc, 0, v44
	v_cmp_ne_u64_e64 s[26:27], 0, v[0:1]
	s_and_b64 s[44:45], s[26:27], vcc
	; wave barrier
	s_and_saveexec_b64 s[26:27], s[44:45]
	s_cbranch_execz .LBB462_25
; %bb.24:                               ;   in Loop: Header=BB462_19 Depth=1
	v_bcnt_u32_b32 v0, v0, 0
	v_bcnt_u32_b32 v0, v1, v0
	s_waitcnt lgkmcnt(0)
	v_add_u32_e32 v0, v25, v0
	ds_write_b32 v26, v0
.LBB462_25:                             ;   in Loop: Header=BB462_19 Depth=1
	s_or_b64 exec, exec, s[26:27]
	v_lshrrev_b32_e32 v43, 24, v34
	v_lshrrev_b32_e32 v0, s34, v43
	v_and_b32_e32 v0, s40, v0
	v_lshlrev_b32_e32 v1, 2, v0
	v_add_lshl_u32 v1, v1, v33, 2
	; wave barrier
	v_add_u32_e32 v28, 16, v1
	ds_read_b32 v45, v1 offset:16
	v_and_b32_e32 v1, 1, v0
	v_add_co_u32_e32 v2, vcc, -1, v1
	v_addc_co_u32_e64 v3, s[26:27], 0, -1, vcc
	v_cmp_ne_u32_e32 vcc, 0, v1
	v_lshlrev_b32_e32 v19, 30, v0
	v_xor_b32_e32 v1, vcc_hi, v3
	v_not_b32_e32 v3, v19
	v_xor_b32_e32 v2, vcc_lo, v2
	v_cmp_gt_i64_e32 vcc, 0, v[18:19]
	v_ashrrev_i32_e32 v3, 31, v3
	v_and_b32_e32 v1, exec_hi, v1
	v_xor_b32_e32 v19, vcc_hi, v3
	v_and_b32_e32 v2, exec_lo, v2
	v_xor_b32_e32 v3, vcc_lo, v3
	v_and_b32_e32 v1, v1, v19
	v_lshlrev_b32_e32 v19, 29, v0
	v_and_b32_e32 v2, v2, v3
	v_not_b32_e32 v3, v19
	v_cmp_gt_i64_e32 vcc, 0, v[18:19]
	v_ashrrev_i32_e32 v3, 31, v3
	v_xor_b32_e32 v19, vcc_hi, v3
	v_xor_b32_e32 v3, vcc_lo, v3
	v_and_b32_e32 v1, v1, v19
	v_lshlrev_b32_e32 v19, 28, v0
	v_and_b32_e32 v2, v2, v3
	v_not_b32_e32 v3, v19
	v_cmp_gt_i64_e32 vcc, 0, v[18:19]
	v_ashrrev_i32_e32 v3, 31, v3
	v_xor_b32_e32 v19, vcc_hi, v3
	;; [unrolled: 8-line block ×5, first 2 shown]
	v_and_b32_e32 v1, v1, v19
	v_lshlrev_b32_e32 v19, 24, v0
	v_not_b32_e32 v0, v19
	v_xor_b32_e32 v3, vcc_lo, v3
	v_cmp_gt_i64_e32 vcc, 0, v[18:19]
	v_ashrrev_i32_e32 v0, 31, v0
	v_and_b32_e32 v2, v2, v3
	v_xor_b32_e32 v3, vcc_hi, v0
	v_xor_b32_e32 v0, vcc_lo, v0
	v_and_b32_e32 v0, v2, v0
	v_and_b32_e32 v1, v1, v3
	v_mbcnt_lo_u32_b32 v2, v0, 0
	v_mbcnt_hi_u32_b32 v47, v1, v2
	v_cmp_eq_u32_e32 vcc, 0, v47
	v_cmp_ne_u64_e64 s[26:27], 0, v[0:1]
	s_and_b64 s[40:41], s[26:27], vcc
	; wave barrier
	s_and_saveexec_b64 s[26:27], s[40:41]
	s_cbranch_execz .LBB462_27
; %bb.26:                               ;   in Loop: Header=BB462_19 Depth=1
	v_bcnt_u32_b32 v0, v0, 0
	v_bcnt_u32_b32 v0, v1, v0
	s_waitcnt lgkmcnt(0)
	v_add_u32_e32 v0, v45, v0
	ds_write_b32 v28, v0
.LBB462_27:                             ;   in Loop: Header=BB462_19 Depth=1
	s_or_b64 exec, exec, s[26:27]
	; wave barrier
	s_waitcnt lgkmcnt(0)
	s_barrier
	ds_read2_b64 v[0:3], v32 offset0:2 offset1:3
	s_waitcnt lgkmcnt(0)
	v_add_u32_e32 v19, v1, v0
	v_add3_u32 v3, v19, v2, v3
	s_nop 1
	v_mov_b32_dpp v19, v3 row_shr:1 row_mask:0xf bank_mask:0xf
	v_cndmask_b32_e64 v19, v19, 0, s[0:1]
	v_add_u32_e32 v3, v19, v3
	s_nop 1
	v_mov_b32_dpp v19, v3 row_shr:2 row_mask:0xf bank_mask:0xf
	v_cndmask_b32_e64 v19, 0, v19, s[2:3]
	v_add_u32_e32 v3, v3, v19
	;; [unrolled: 4-line block ×4, first 2 shown]
	s_nop 1
	v_mov_b32_dpp v19, v3 row_bcast:15 row_mask:0xf bank_mask:0xf
	v_cndmask_b32_e64 v19, v19, 0, s[8:9]
	v_add_u32_e32 v3, v3, v19
	s_nop 1
	v_mov_b32_dpp v19, v3 row_bcast:31 row_mask:0xf bank_mask:0xf
	v_cndmask_b32_e64 v19, 0, v19, s[10:11]
	v_add_u32_e32 v3, v3, v19
	s_and_saveexec_b64 s[26:27], s[12:13]
	s_cbranch_execz .LBB462_29
; %bb.28:                               ;   in Loop: Header=BB462_19 Depth=1
	ds_write_b32 v36, v3
.LBB462_29:                             ;   in Loop: Header=BB462_19 Depth=1
	s_or_b64 exec, exec, s[26:27]
	s_waitcnt lgkmcnt(0)
	s_barrier
	s_and_saveexec_b64 s[26:27], s[14:15]
	s_cbranch_execz .LBB462_31
; %bb.30:                               ;   in Loop: Header=BB462_19 Depth=1
	ds_read_b32 v19, v38
	s_waitcnt lgkmcnt(0)
	s_nop 0
	v_mov_b32_dpp v30, v19 row_shr:1 row_mask:0xf bank_mask:0xf
	v_cndmask_b32_e64 v30, v30, 0, s[22:23]
	v_add_u32_e32 v19, v30, v19
	s_nop 1
	v_mov_b32_dpp v30, v19 row_shr:2 row_mask:0xf bank_mask:0xf
	v_cndmask_b32_e64 v30, 0, v30, s[24:25]
	v_add_u32_e32 v19, v19, v30
	ds_write_b32 v38, v19
.LBB462_31:                             ;   in Loop: Header=BB462_19 Depth=1
	s_or_b64 exec, exec, s[26:27]
	v_mov_b32_e32 v30, 0
	s_waitcnt lgkmcnt(0)
	s_barrier
	s_and_saveexec_b64 s[26:27], s[16:17]
	s_cbranch_execz .LBB462_33
; %bb.32:                               ;   in Loop: Header=BB462_19 Depth=1
	ds_read_b32 v30, v37
.LBB462_33:                             ;   in Loop: Header=BB462_19 Depth=1
	s_or_b64 exec, exec, s[26:27]
	s_waitcnt lgkmcnt(0)
	v_add_u32_e32 v3, v30, v3
	ds_bpermute_b32 v3, v35, v3
	s_add_i32 s34, s34, 8
	v_mov_b32_e32 v19, v34
	v_lshrrev_b32_e32 v46, 8, v34
	s_cmp_ge_u32 s34, s36
	s_waitcnt lgkmcnt(0)
	v_cndmask_b32_e64 v3, v3, v30, s[18:19]
	v_cndmask_b32_e64 v48, v3, 0, s[20:21]
	v_add_u32_e32 v49, v48, v0
	v_add_u32_e32 v0, v49, v1
	;; [unrolled: 1-line block ×3, first 2 shown]
	ds_write2_b64 v32, v[48:49], v[0:1] offset0:2 offset1:3
	s_waitcnt lgkmcnt(0)
	s_barrier
	ds_read_b32 v0, v20
	ds_read_b32 v2, v23
	;; [unrolled: 1-line block ×4, first 2 shown]
	v_lshrrev_b32_e32 v1, 16, v34
	s_waitcnt lgkmcnt(3)
	v_add_u32_e32 v30, v0, v21
	s_waitcnt lgkmcnt(2)
	v_add3_u32 v28, v24, v22, v2
	s_waitcnt lgkmcnt(1)
	v_add3_u32 v26, v44, v25, v3
	;; [unrolled: 2-line block ×3, first 2 shown]
	s_cbranch_scc0 .LBB462_18
; %bb.34:
                                        ; implicit-def: $sgpr34
                                        ; implicit-def: $vgpr34
                                        ; implicit-def: $vgpr2_vgpr3
                                        ; implicit-def: $vgpr20_vgpr21
                                        ; implicit-def: $vgpr22_vgpr23
                                        ; implicit-def: $vgpr24_vgpr25
.LBB462_35:
	v_mad_u64_u32 v[2:3], s[0:1], v30, 7, v[30:31]
	s_barrier
	ds_write_b8 v30, v19
	ds_write_b8 v28, v46
	;; [unrolled: 1-line block ×4, first 2 shown]
	s_waitcnt lgkmcnt(0)
	s_barrier
	ds_read_u8 v9, v8
	ds_read_u8 v14, v8 offset:256
	ds_read_u8 v16, v8 offset:512
	;; [unrolled: 1-line block ×3, first 2 shown]
	s_waitcnt lgkmcnt(0)
	s_barrier
	ds_write_b64 v2, v[12:13]
	v_mad_u64_u32 v[2:3], s[0:1], v28, 7, v[28:29]
	ds_write_b64 v2, v[10:11]
	v_mad_u64_u32 v[2:3], s[0:1], v26, 7, v[26:27]
	v_mad_u64_u32 v[0:1], s[0:1], v0, 7, v[0:1]
	ds_write_b64 v2, v[6:7]
	ds_write_b64 v0, v[4:5]
	v_mad_u32_u24 v0, v8, 7, v8
	s_waitcnt lgkmcnt(0)
	s_barrier
	ds_read2st64_b64 v[4:7], v0 offset1:4
	ds_read2st64_b64 v[0:3], v0 offset0:8 offset1:12
	s_add_u32 s0, s38, s28
	s_addc_u32 s1, s39, 0
	v_mov_b32_e32 v11, s1
	v_add_co_u32_e32 v10, vcc, s0, v8
	v_addc_co_u32_e32 v11, vcc, 0, v11, vcc
	v_xor_b32_e32 v15, 0xffffff80, v9
	v_xor_b32_e32 v14, 0xffffff80, v14
	;; [unrolled: 1-line block ×4, first 2 shown]
	s_andn2_b64 vcc, exec, s[30:31]
	v_lshlrev_b32_e32 v12, 3, v8
	s_cbranch_vccnz .LBB462_37
; %bb.36:
	s_lshl_b64 s[0:1], s[28:29], 3
	s_add_u32 s0, s42, s0
	s_addc_u32 s1, s43, s1
	v_mov_b32_e32 v16, s1
	v_add_co_u32_e32 v17, vcc, s0, v12
	v_addc_co_u32_e32 v18, vcc, 0, v16, vcc
	v_add_co_u32_e32 v16, vcc, 0x1000, v17
	global_store_byte v[10:11], v15, off
	global_store_byte v[10:11], v14, off offset:256
	global_store_byte v[10:11], v13, off offset:512
	;; [unrolled: 1-line block ×3, first 2 shown]
	s_waitcnt lgkmcnt(1)
	global_store_dwordx2 v12, v[4:5], s[0:1]
	global_store_dwordx2 v12, v[6:7], s[0:1] offset:2048
	v_addc_co_u32_e32 v17, vcc, 0, v18, vcc
	s_mov_b64 s[6:7], -1
	s_waitcnt lgkmcnt(0)
	global_store_dwordx2 v[16:17], v[0:1], off
	s_cbranch_execz .LBB462_38
	s_branch .LBB462_51
.LBB462_37:
	s_mov_b64 s[6:7], 0
.LBB462_38:
	v_cmp_gt_u32_e32 vcc, s33, v8
	s_and_saveexec_b64 s[0:1], vcc
	s_cbranch_execz .LBB462_40
; %bb.39:
	global_store_byte v[10:11], v15, off
.LBB462_40:
	s_or_b64 exec, exec, s[0:1]
	v_add_u32_e32 v15, 0x100, v8
	v_cmp_gt_u32_e64 s[0:1], s33, v15
	s_and_saveexec_b64 s[2:3], s[0:1]
	s_cbranch_execz .LBB462_42
; %bb.41:
	global_store_byte v[10:11], v14, off offset:256
.LBB462_42:
	s_or_b64 exec, exec, s[2:3]
	v_add_u32_e32 v14, 0x200, v8
	v_cmp_gt_u32_e64 s[2:3], s33, v14
	s_and_saveexec_b64 s[4:5], s[2:3]
	s_cbranch_execz .LBB462_44
; %bb.43:
	global_store_byte v[10:11], v13, off offset:512
.LBB462_44:
	;; [unrolled: 8-line block ×3, first 2 shown]
	s_or_b64 exec, exec, s[4:5]
	s_lshl_b64 s[4:5], s[28:29], 3
	s_add_u32 s4, s42, s4
	s_addc_u32 s5, s43, s5
	v_mov_b32_e32 v9, s5
	v_add_co_u32_e64 v8, s[4:5], s4, v12
	v_addc_co_u32_e64 v9, s[4:5], 0, v9, s[4:5]
	s_and_saveexec_b64 s[4:5], vcc
	s_cbranch_execnz .LBB462_57
; %bb.47:
	s_or_b64 exec, exec, s[4:5]
	s_and_saveexec_b64 s[4:5], s[0:1]
	s_cbranch_execnz .LBB462_58
.LBB462_48:
	s_or_b64 exec, exec, s[4:5]
	s_and_saveexec_b64 s[0:1], s[2:3]
	s_cbranch_execz .LBB462_50
.LBB462_49:
	s_waitcnt lgkmcnt(1)
	v_add_co_u32_e32 v4, vcc, 0x1000, v8
	v_addc_co_u32_e32 v5, vcc, 0, v9, vcc
	s_waitcnt lgkmcnt(0)
	global_store_dwordx2 v[4:5], v[0:1], off
.LBB462_50:
	s_or_b64 exec, exec, s[0:1]
.LBB462_51:
	s_and_saveexec_b64 s[0:1], s[6:7]
	s_cbranch_execnz .LBB462_53
; %bb.52:
	s_endpgm
.LBB462_53:
	s_lshl_b64 s[0:1], s[28:29], 3
	s_add_u32 s0, s42, s0
	s_addc_u32 s1, s43, s1
	s_waitcnt lgkmcnt(0)
	v_mov_b32_e32 v0, s1
	v_add_co_u32_e32 v1, vcc, s0, v12
	v_addc_co_u32_e32 v4, vcc, 0, v0, vcc
	v_add_co_u32_e32 v0, vcc, 0x1000, v1
	v_addc_co_u32_e32 v1, vcc, 0, v4, vcc
	global_store_dwordx2 v[0:1], v[2:3], off offset:2048
	s_endpgm
.LBB462_54:
	global_load_dwordx2 v[2:3], v[4:5], off
	s_or_b64 exec, exec, s[8:9]
                                        ; implicit-def: $vgpr20_vgpr21
	s_and_saveexec_b64 s[8:9], s[0:1]
	s_cbranch_execz .LBB462_13
.LBB462_55:
	global_load_dwordx2 v[20:21], v[4:5], off offset:512
	s_or_b64 exec, exec, s[8:9]
                                        ; implicit-def: $vgpr22_vgpr23
	s_and_saveexec_b64 s[0:1], s[2:3]
	s_cbranch_execz .LBB462_14
.LBB462_56:
	global_load_dwordx2 v[22:23], v[4:5], off offset:1024
	s_or_b64 exec, exec, s[0:1]
                                        ; implicit-def: $vgpr24_vgpr25
	s_and_saveexec_b64 s[0:1], s[6:7]
	s_cbranch_execnz .LBB462_15
	s_branch .LBB462_16
.LBB462_57:
	s_waitcnt lgkmcnt(1)
	global_store_dwordx2 v[8:9], v[4:5], off
	s_or_b64 exec, exec, s[4:5]
	s_and_saveexec_b64 s[4:5], s[0:1]
	s_cbranch_execz .LBB462_48
.LBB462_58:
	s_waitcnt lgkmcnt(1)
	global_store_dwordx2 v[8:9], v[6:7], off offset:2048
	s_or_b64 exec, exec, s[4:5]
	s_and_saveexec_b64 s[0:1], s[2:3]
	s_cbranch_execnz .LBB462_49
	s_branch .LBB462_50
	.section	.rodata,"a",@progbits
	.p2align	6, 0x0
	.amdhsa_kernel _ZN7rocprim17ROCPRIM_400000_NS6detail17trampoline_kernelINS0_13kernel_configILj256ELj4ELj4294967295EEENS1_37radix_sort_block_sort_config_selectorIalEEZNS1_21radix_sort_block_sortIS4_Lb0EPaS8_N6thrust23THRUST_200600_302600_NS10device_ptrIlEESC_NS0_19identity_decomposerEEE10hipError_tT1_T2_T3_T4_jRjT5_jjP12ihipStream_tbEUlT_E_NS1_11comp_targetILNS1_3genE4ELNS1_11target_archE910ELNS1_3gpuE8ELNS1_3repE0EEENS1_44radix_sort_block_sort_config_static_selectorELNS0_4arch9wavefront6targetE1EEEvSF_
		.amdhsa_group_segment_fixed_size 8192
		.amdhsa_private_segment_fixed_size 0
		.amdhsa_kernarg_size 304
		.amdhsa_user_sgpr_count 6
		.amdhsa_user_sgpr_private_segment_buffer 1
		.amdhsa_user_sgpr_dispatch_ptr 0
		.amdhsa_user_sgpr_queue_ptr 0
		.amdhsa_user_sgpr_kernarg_segment_ptr 1
		.amdhsa_user_sgpr_dispatch_id 0
		.amdhsa_user_sgpr_flat_scratch_init 0
		.amdhsa_user_sgpr_kernarg_preload_length 0
		.amdhsa_user_sgpr_kernarg_preload_offset 0
		.amdhsa_user_sgpr_private_segment_size 0
		.amdhsa_uses_dynamic_stack 0
		.amdhsa_system_sgpr_private_segment_wavefront_offset 0
		.amdhsa_system_sgpr_workgroup_id_x 1
		.amdhsa_system_sgpr_workgroup_id_y 0
		.amdhsa_system_sgpr_workgroup_id_z 0
		.amdhsa_system_sgpr_workgroup_info 0
		.amdhsa_system_vgpr_workitem_id 2
		.amdhsa_next_free_vgpr 50
		.amdhsa_next_free_sgpr 46
		.amdhsa_accum_offset 52
		.amdhsa_reserve_vcc 1
		.amdhsa_reserve_flat_scratch 0
		.amdhsa_float_round_mode_32 0
		.amdhsa_float_round_mode_16_64 0
		.amdhsa_float_denorm_mode_32 3
		.amdhsa_float_denorm_mode_16_64 3
		.amdhsa_dx10_clamp 1
		.amdhsa_ieee_mode 1
		.amdhsa_fp16_overflow 0
		.amdhsa_tg_split 0
		.amdhsa_exception_fp_ieee_invalid_op 0
		.amdhsa_exception_fp_denorm_src 0
		.amdhsa_exception_fp_ieee_div_zero 0
		.amdhsa_exception_fp_ieee_overflow 0
		.amdhsa_exception_fp_ieee_underflow 0
		.amdhsa_exception_fp_ieee_inexact 0
		.amdhsa_exception_int_div_zero 0
	.end_amdhsa_kernel
	.section	.text._ZN7rocprim17ROCPRIM_400000_NS6detail17trampoline_kernelINS0_13kernel_configILj256ELj4ELj4294967295EEENS1_37radix_sort_block_sort_config_selectorIalEEZNS1_21radix_sort_block_sortIS4_Lb0EPaS8_N6thrust23THRUST_200600_302600_NS10device_ptrIlEESC_NS0_19identity_decomposerEEE10hipError_tT1_T2_T3_T4_jRjT5_jjP12ihipStream_tbEUlT_E_NS1_11comp_targetILNS1_3genE4ELNS1_11target_archE910ELNS1_3gpuE8ELNS1_3repE0EEENS1_44radix_sort_block_sort_config_static_selectorELNS0_4arch9wavefront6targetE1EEEvSF_,"axG",@progbits,_ZN7rocprim17ROCPRIM_400000_NS6detail17trampoline_kernelINS0_13kernel_configILj256ELj4ELj4294967295EEENS1_37radix_sort_block_sort_config_selectorIalEEZNS1_21radix_sort_block_sortIS4_Lb0EPaS8_N6thrust23THRUST_200600_302600_NS10device_ptrIlEESC_NS0_19identity_decomposerEEE10hipError_tT1_T2_T3_T4_jRjT5_jjP12ihipStream_tbEUlT_E_NS1_11comp_targetILNS1_3genE4ELNS1_11target_archE910ELNS1_3gpuE8ELNS1_3repE0EEENS1_44radix_sort_block_sort_config_static_selectorELNS0_4arch9wavefront6targetE1EEEvSF_,comdat
.Lfunc_end462:
	.size	_ZN7rocprim17ROCPRIM_400000_NS6detail17trampoline_kernelINS0_13kernel_configILj256ELj4ELj4294967295EEENS1_37radix_sort_block_sort_config_selectorIalEEZNS1_21radix_sort_block_sortIS4_Lb0EPaS8_N6thrust23THRUST_200600_302600_NS10device_ptrIlEESC_NS0_19identity_decomposerEEE10hipError_tT1_T2_T3_T4_jRjT5_jjP12ihipStream_tbEUlT_E_NS1_11comp_targetILNS1_3genE4ELNS1_11target_archE910ELNS1_3gpuE8ELNS1_3repE0EEENS1_44radix_sort_block_sort_config_static_selectorELNS0_4arch9wavefront6targetE1EEEvSF_, .Lfunc_end462-_ZN7rocprim17ROCPRIM_400000_NS6detail17trampoline_kernelINS0_13kernel_configILj256ELj4ELj4294967295EEENS1_37radix_sort_block_sort_config_selectorIalEEZNS1_21radix_sort_block_sortIS4_Lb0EPaS8_N6thrust23THRUST_200600_302600_NS10device_ptrIlEESC_NS0_19identity_decomposerEEE10hipError_tT1_T2_T3_T4_jRjT5_jjP12ihipStream_tbEUlT_E_NS1_11comp_targetILNS1_3genE4ELNS1_11target_archE910ELNS1_3gpuE8ELNS1_3repE0EEENS1_44radix_sort_block_sort_config_static_selectorELNS0_4arch9wavefront6targetE1EEEvSF_
                                        ; -- End function
	.section	.AMDGPU.csdata,"",@progbits
; Kernel info:
; codeLenInByte = 4008
; NumSgprs: 50
; NumVgprs: 50
; NumAgprs: 0
; TotalNumVgprs: 50
; ScratchSize: 0
; MemoryBound: 0
; FloatMode: 240
; IeeeMode: 1
; LDSByteSize: 8192 bytes/workgroup (compile time only)
; SGPRBlocks: 6
; VGPRBlocks: 6
; NumSGPRsForWavesPerEU: 50
; NumVGPRsForWavesPerEU: 50
; AccumOffset: 52
; Occupancy: 8
; WaveLimiterHint : 1
; COMPUTE_PGM_RSRC2:SCRATCH_EN: 0
; COMPUTE_PGM_RSRC2:USER_SGPR: 6
; COMPUTE_PGM_RSRC2:TRAP_HANDLER: 0
; COMPUTE_PGM_RSRC2:TGID_X_EN: 1
; COMPUTE_PGM_RSRC2:TGID_Y_EN: 0
; COMPUTE_PGM_RSRC2:TGID_Z_EN: 0
; COMPUTE_PGM_RSRC2:TIDIG_COMP_CNT: 2
; COMPUTE_PGM_RSRC3_GFX90A:ACCUM_OFFSET: 12
; COMPUTE_PGM_RSRC3_GFX90A:TG_SPLIT: 0
	.section	.text._ZN7rocprim17ROCPRIM_400000_NS6detail17trampoline_kernelINS0_13kernel_configILj256ELj4ELj4294967295EEENS1_37radix_sort_block_sort_config_selectorIalEEZNS1_21radix_sort_block_sortIS4_Lb0EPaS8_N6thrust23THRUST_200600_302600_NS10device_ptrIlEESC_NS0_19identity_decomposerEEE10hipError_tT1_T2_T3_T4_jRjT5_jjP12ihipStream_tbEUlT_E_NS1_11comp_targetILNS1_3genE3ELNS1_11target_archE908ELNS1_3gpuE7ELNS1_3repE0EEENS1_44radix_sort_block_sort_config_static_selectorELNS0_4arch9wavefront6targetE1EEEvSF_,"axG",@progbits,_ZN7rocprim17ROCPRIM_400000_NS6detail17trampoline_kernelINS0_13kernel_configILj256ELj4ELj4294967295EEENS1_37radix_sort_block_sort_config_selectorIalEEZNS1_21radix_sort_block_sortIS4_Lb0EPaS8_N6thrust23THRUST_200600_302600_NS10device_ptrIlEESC_NS0_19identity_decomposerEEE10hipError_tT1_T2_T3_T4_jRjT5_jjP12ihipStream_tbEUlT_E_NS1_11comp_targetILNS1_3genE3ELNS1_11target_archE908ELNS1_3gpuE7ELNS1_3repE0EEENS1_44radix_sort_block_sort_config_static_selectorELNS0_4arch9wavefront6targetE1EEEvSF_,comdat
	.protected	_ZN7rocprim17ROCPRIM_400000_NS6detail17trampoline_kernelINS0_13kernel_configILj256ELj4ELj4294967295EEENS1_37radix_sort_block_sort_config_selectorIalEEZNS1_21radix_sort_block_sortIS4_Lb0EPaS8_N6thrust23THRUST_200600_302600_NS10device_ptrIlEESC_NS0_19identity_decomposerEEE10hipError_tT1_T2_T3_T4_jRjT5_jjP12ihipStream_tbEUlT_E_NS1_11comp_targetILNS1_3genE3ELNS1_11target_archE908ELNS1_3gpuE7ELNS1_3repE0EEENS1_44radix_sort_block_sort_config_static_selectorELNS0_4arch9wavefront6targetE1EEEvSF_ ; -- Begin function _ZN7rocprim17ROCPRIM_400000_NS6detail17trampoline_kernelINS0_13kernel_configILj256ELj4ELj4294967295EEENS1_37radix_sort_block_sort_config_selectorIalEEZNS1_21radix_sort_block_sortIS4_Lb0EPaS8_N6thrust23THRUST_200600_302600_NS10device_ptrIlEESC_NS0_19identity_decomposerEEE10hipError_tT1_T2_T3_T4_jRjT5_jjP12ihipStream_tbEUlT_E_NS1_11comp_targetILNS1_3genE3ELNS1_11target_archE908ELNS1_3gpuE7ELNS1_3repE0EEENS1_44radix_sort_block_sort_config_static_selectorELNS0_4arch9wavefront6targetE1EEEvSF_
	.globl	_ZN7rocprim17ROCPRIM_400000_NS6detail17trampoline_kernelINS0_13kernel_configILj256ELj4ELj4294967295EEENS1_37radix_sort_block_sort_config_selectorIalEEZNS1_21radix_sort_block_sortIS4_Lb0EPaS8_N6thrust23THRUST_200600_302600_NS10device_ptrIlEESC_NS0_19identity_decomposerEEE10hipError_tT1_T2_T3_T4_jRjT5_jjP12ihipStream_tbEUlT_E_NS1_11comp_targetILNS1_3genE3ELNS1_11target_archE908ELNS1_3gpuE7ELNS1_3repE0EEENS1_44radix_sort_block_sort_config_static_selectorELNS0_4arch9wavefront6targetE1EEEvSF_
	.p2align	8
	.type	_ZN7rocprim17ROCPRIM_400000_NS6detail17trampoline_kernelINS0_13kernel_configILj256ELj4ELj4294967295EEENS1_37radix_sort_block_sort_config_selectorIalEEZNS1_21radix_sort_block_sortIS4_Lb0EPaS8_N6thrust23THRUST_200600_302600_NS10device_ptrIlEESC_NS0_19identity_decomposerEEE10hipError_tT1_T2_T3_T4_jRjT5_jjP12ihipStream_tbEUlT_E_NS1_11comp_targetILNS1_3genE3ELNS1_11target_archE908ELNS1_3gpuE7ELNS1_3repE0EEENS1_44radix_sort_block_sort_config_static_selectorELNS0_4arch9wavefront6targetE1EEEvSF_,@function
_ZN7rocprim17ROCPRIM_400000_NS6detail17trampoline_kernelINS0_13kernel_configILj256ELj4ELj4294967295EEENS1_37radix_sort_block_sort_config_selectorIalEEZNS1_21radix_sort_block_sortIS4_Lb0EPaS8_N6thrust23THRUST_200600_302600_NS10device_ptrIlEESC_NS0_19identity_decomposerEEE10hipError_tT1_T2_T3_T4_jRjT5_jjP12ihipStream_tbEUlT_E_NS1_11comp_targetILNS1_3genE3ELNS1_11target_archE908ELNS1_3gpuE7ELNS1_3repE0EEENS1_44radix_sort_block_sort_config_static_selectorELNS0_4arch9wavefront6targetE1EEEvSF_: ; @_ZN7rocprim17ROCPRIM_400000_NS6detail17trampoline_kernelINS0_13kernel_configILj256ELj4ELj4294967295EEENS1_37radix_sort_block_sort_config_selectorIalEEZNS1_21radix_sort_block_sortIS4_Lb0EPaS8_N6thrust23THRUST_200600_302600_NS10device_ptrIlEESC_NS0_19identity_decomposerEEE10hipError_tT1_T2_T3_T4_jRjT5_jjP12ihipStream_tbEUlT_E_NS1_11comp_targetILNS1_3genE3ELNS1_11target_archE908ELNS1_3gpuE7ELNS1_3repE0EEENS1_44radix_sort_block_sort_config_static_selectorELNS0_4arch9wavefront6targetE1EEEvSF_
; %bb.0:
	.section	.rodata,"a",@progbits
	.p2align	6, 0x0
	.amdhsa_kernel _ZN7rocprim17ROCPRIM_400000_NS6detail17trampoline_kernelINS0_13kernel_configILj256ELj4ELj4294967295EEENS1_37radix_sort_block_sort_config_selectorIalEEZNS1_21radix_sort_block_sortIS4_Lb0EPaS8_N6thrust23THRUST_200600_302600_NS10device_ptrIlEESC_NS0_19identity_decomposerEEE10hipError_tT1_T2_T3_T4_jRjT5_jjP12ihipStream_tbEUlT_E_NS1_11comp_targetILNS1_3genE3ELNS1_11target_archE908ELNS1_3gpuE7ELNS1_3repE0EEENS1_44radix_sort_block_sort_config_static_selectorELNS0_4arch9wavefront6targetE1EEEvSF_
		.amdhsa_group_segment_fixed_size 0
		.amdhsa_private_segment_fixed_size 0
		.amdhsa_kernarg_size 48
		.amdhsa_user_sgpr_count 6
		.amdhsa_user_sgpr_private_segment_buffer 1
		.amdhsa_user_sgpr_dispatch_ptr 0
		.amdhsa_user_sgpr_queue_ptr 0
		.amdhsa_user_sgpr_kernarg_segment_ptr 1
		.amdhsa_user_sgpr_dispatch_id 0
		.amdhsa_user_sgpr_flat_scratch_init 0
		.amdhsa_user_sgpr_kernarg_preload_length 0
		.amdhsa_user_sgpr_kernarg_preload_offset 0
		.amdhsa_user_sgpr_private_segment_size 0
		.amdhsa_uses_dynamic_stack 0
		.amdhsa_system_sgpr_private_segment_wavefront_offset 0
		.amdhsa_system_sgpr_workgroup_id_x 1
		.amdhsa_system_sgpr_workgroup_id_y 0
		.amdhsa_system_sgpr_workgroup_id_z 0
		.amdhsa_system_sgpr_workgroup_info 0
		.amdhsa_system_vgpr_workitem_id 0
		.amdhsa_next_free_vgpr 1
		.amdhsa_next_free_sgpr 0
		.amdhsa_accum_offset 4
		.amdhsa_reserve_vcc 0
		.amdhsa_reserve_flat_scratch 0
		.amdhsa_float_round_mode_32 0
		.amdhsa_float_round_mode_16_64 0
		.amdhsa_float_denorm_mode_32 3
		.amdhsa_float_denorm_mode_16_64 3
		.amdhsa_dx10_clamp 1
		.amdhsa_ieee_mode 1
		.amdhsa_fp16_overflow 0
		.amdhsa_tg_split 0
		.amdhsa_exception_fp_ieee_invalid_op 0
		.amdhsa_exception_fp_denorm_src 0
		.amdhsa_exception_fp_ieee_div_zero 0
		.amdhsa_exception_fp_ieee_overflow 0
		.amdhsa_exception_fp_ieee_underflow 0
		.amdhsa_exception_fp_ieee_inexact 0
		.amdhsa_exception_int_div_zero 0
	.end_amdhsa_kernel
	.section	.text._ZN7rocprim17ROCPRIM_400000_NS6detail17trampoline_kernelINS0_13kernel_configILj256ELj4ELj4294967295EEENS1_37radix_sort_block_sort_config_selectorIalEEZNS1_21radix_sort_block_sortIS4_Lb0EPaS8_N6thrust23THRUST_200600_302600_NS10device_ptrIlEESC_NS0_19identity_decomposerEEE10hipError_tT1_T2_T3_T4_jRjT5_jjP12ihipStream_tbEUlT_E_NS1_11comp_targetILNS1_3genE3ELNS1_11target_archE908ELNS1_3gpuE7ELNS1_3repE0EEENS1_44radix_sort_block_sort_config_static_selectorELNS0_4arch9wavefront6targetE1EEEvSF_,"axG",@progbits,_ZN7rocprim17ROCPRIM_400000_NS6detail17trampoline_kernelINS0_13kernel_configILj256ELj4ELj4294967295EEENS1_37radix_sort_block_sort_config_selectorIalEEZNS1_21radix_sort_block_sortIS4_Lb0EPaS8_N6thrust23THRUST_200600_302600_NS10device_ptrIlEESC_NS0_19identity_decomposerEEE10hipError_tT1_T2_T3_T4_jRjT5_jjP12ihipStream_tbEUlT_E_NS1_11comp_targetILNS1_3genE3ELNS1_11target_archE908ELNS1_3gpuE7ELNS1_3repE0EEENS1_44radix_sort_block_sort_config_static_selectorELNS0_4arch9wavefront6targetE1EEEvSF_,comdat
.Lfunc_end463:
	.size	_ZN7rocprim17ROCPRIM_400000_NS6detail17trampoline_kernelINS0_13kernel_configILj256ELj4ELj4294967295EEENS1_37radix_sort_block_sort_config_selectorIalEEZNS1_21radix_sort_block_sortIS4_Lb0EPaS8_N6thrust23THRUST_200600_302600_NS10device_ptrIlEESC_NS0_19identity_decomposerEEE10hipError_tT1_T2_T3_T4_jRjT5_jjP12ihipStream_tbEUlT_E_NS1_11comp_targetILNS1_3genE3ELNS1_11target_archE908ELNS1_3gpuE7ELNS1_3repE0EEENS1_44radix_sort_block_sort_config_static_selectorELNS0_4arch9wavefront6targetE1EEEvSF_, .Lfunc_end463-_ZN7rocprim17ROCPRIM_400000_NS6detail17trampoline_kernelINS0_13kernel_configILj256ELj4ELj4294967295EEENS1_37radix_sort_block_sort_config_selectorIalEEZNS1_21radix_sort_block_sortIS4_Lb0EPaS8_N6thrust23THRUST_200600_302600_NS10device_ptrIlEESC_NS0_19identity_decomposerEEE10hipError_tT1_T2_T3_T4_jRjT5_jjP12ihipStream_tbEUlT_E_NS1_11comp_targetILNS1_3genE3ELNS1_11target_archE908ELNS1_3gpuE7ELNS1_3repE0EEENS1_44radix_sort_block_sort_config_static_selectorELNS0_4arch9wavefront6targetE1EEEvSF_
                                        ; -- End function
	.section	.AMDGPU.csdata,"",@progbits
; Kernel info:
; codeLenInByte = 0
; NumSgprs: 4
; NumVgprs: 0
; NumAgprs: 0
; TotalNumVgprs: 0
; ScratchSize: 0
; MemoryBound: 0
; FloatMode: 240
; IeeeMode: 1
; LDSByteSize: 0 bytes/workgroup (compile time only)
; SGPRBlocks: 0
; VGPRBlocks: 0
; NumSGPRsForWavesPerEU: 4
; NumVGPRsForWavesPerEU: 1
; AccumOffset: 4
; Occupancy: 8
; WaveLimiterHint : 0
; COMPUTE_PGM_RSRC2:SCRATCH_EN: 0
; COMPUTE_PGM_RSRC2:USER_SGPR: 6
; COMPUTE_PGM_RSRC2:TRAP_HANDLER: 0
; COMPUTE_PGM_RSRC2:TGID_X_EN: 1
; COMPUTE_PGM_RSRC2:TGID_Y_EN: 0
; COMPUTE_PGM_RSRC2:TGID_Z_EN: 0
; COMPUTE_PGM_RSRC2:TIDIG_COMP_CNT: 0
; COMPUTE_PGM_RSRC3_GFX90A:ACCUM_OFFSET: 0
; COMPUTE_PGM_RSRC3_GFX90A:TG_SPLIT: 0
	.section	.text._ZN7rocprim17ROCPRIM_400000_NS6detail17trampoline_kernelINS0_13kernel_configILj256ELj4ELj4294967295EEENS1_37radix_sort_block_sort_config_selectorIalEEZNS1_21radix_sort_block_sortIS4_Lb0EPaS8_N6thrust23THRUST_200600_302600_NS10device_ptrIlEESC_NS0_19identity_decomposerEEE10hipError_tT1_T2_T3_T4_jRjT5_jjP12ihipStream_tbEUlT_E_NS1_11comp_targetILNS1_3genE2ELNS1_11target_archE906ELNS1_3gpuE6ELNS1_3repE0EEENS1_44radix_sort_block_sort_config_static_selectorELNS0_4arch9wavefront6targetE1EEEvSF_,"axG",@progbits,_ZN7rocprim17ROCPRIM_400000_NS6detail17trampoline_kernelINS0_13kernel_configILj256ELj4ELj4294967295EEENS1_37radix_sort_block_sort_config_selectorIalEEZNS1_21radix_sort_block_sortIS4_Lb0EPaS8_N6thrust23THRUST_200600_302600_NS10device_ptrIlEESC_NS0_19identity_decomposerEEE10hipError_tT1_T2_T3_T4_jRjT5_jjP12ihipStream_tbEUlT_E_NS1_11comp_targetILNS1_3genE2ELNS1_11target_archE906ELNS1_3gpuE6ELNS1_3repE0EEENS1_44radix_sort_block_sort_config_static_selectorELNS0_4arch9wavefront6targetE1EEEvSF_,comdat
	.protected	_ZN7rocprim17ROCPRIM_400000_NS6detail17trampoline_kernelINS0_13kernel_configILj256ELj4ELj4294967295EEENS1_37radix_sort_block_sort_config_selectorIalEEZNS1_21radix_sort_block_sortIS4_Lb0EPaS8_N6thrust23THRUST_200600_302600_NS10device_ptrIlEESC_NS0_19identity_decomposerEEE10hipError_tT1_T2_T3_T4_jRjT5_jjP12ihipStream_tbEUlT_E_NS1_11comp_targetILNS1_3genE2ELNS1_11target_archE906ELNS1_3gpuE6ELNS1_3repE0EEENS1_44radix_sort_block_sort_config_static_selectorELNS0_4arch9wavefront6targetE1EEEvSF_ ; -- Begin function _ZN7rocprim17ROCPRIM_400000_NS6detail17trampoline_kernelINS0_13kernel_configILj256ELj4ELj4294967295EEENS1_37radix_sort_block_sort_config_selectorIalEEZNS1_21radix_sort_block_sortIS4_Lb0EPaS8_N6thrust23THRUST_200600_302600_NS10device_ptrIlEESC_NS0_19identity_decomposerEEE10hipError_tT1_T2_T3_T4_jRjT5_jjP12ihipStream_tbEUlT_E_NS1_11comp_targetILNS1_3genE2ELNS1_11target_archE906ELNS1_3gpuE6ELNS1_3repE0EEENS1_44radix_sort_block_sort_config_static_selectorELNS0_4arch9wavefront6targetE1EEEvSF_
	.globl	_ZN7rocprim17ROCPRIM_400000_NS6detail17trampoline_kernelINS0_13kernel_configILj256ELj4ELj4294967295EEENS1_37radix_sort_block_sort_config_selectorIalEEZNS1_21radix_sort_block_sortIS4_Lb0EPaS8_N6thrust23THRUST_200600_302600_NS10device_ptrIlEESC_NS0_19identity_decomposerEEE10hipError_tT1_T2_T3_T4_jRjT5_jjP12ihipStream_tbEUlT_E_NS1_11comp_targetILNS1_3genE2ELNS1_11target_archE906ELNS1_3gpuE6ELNS1_3repE0EEENS1_44radix_sort_block_sort_config_static_selectorELNS0_4arch9wavefront6targetE1EEEvSF_
	.p2align	8
	.type	_ZN7rocprim17ROCPRIM_400000_NS6detail17trampoline_kernelINS0_13kernel_configILj256ELj4ELj4294967295EEENS1_37radix_sort_block_sort_config_selectorIalEEZNS1_21radix_sort_block_sortIS4_Lb0EPaS8_N6thrust23THRUST_200600_302600_NS10device_ptrIlEESC_NS0_19identity_decomposerEEE10hipError_tT1_T2_T3_T4_jRjT5_jjP12ihipStream_tbEUlT_E_NS1_11comp_targetILNS1_3genE2ELNS1_11target_archE906ELNS1_3gpuE6ELNS1_3repE0EEENS1_44radix_sort_block_sort_config_static_selectorELNS0_4arch9wavefront6targetE1EEEvSF_,@function
_ZN7rocprim17ROCPRIM_400000_NS6detail17trampoline_kernelINS0_13kernel_configILj256ELj4ELj4294967295EEENS1_37radix_sort_block_sort_config_selectorIalEEZNS1_21radix_sort_block_sortIS4_Lb0EPaS8_N6thrust23THRUST_200600_302600_NS10device_ptrIlEESC_NS0_19identity_decomposerEEE10hipError_tT1_T2_T3_T4_jRjT5_jjP12ihipStream_tbEUlT_E_NS1_11comp_targetILNS1_3genE2ELNS1_11target_archE906ELNS1_3gpuE6ELNS1_3repE0EEENS1_44radix_sort_block_sort_config_static_selectorELNS0_4arch9wavefront6targetE1EEEvSF_: ; @_ZN7rocprim17ROCPRIM_400000_NS6detail17trampoline_kernelINS0_13kernel_configILj256ELj4ELj4294967295EEENS1_37radix_sort_block_sort_config_selectorIalEEZNS1_21radix_sort_block_sortIS4_Lb0EPaS8_N6thrust23THRUST_200600_302600_NS10device_ptrIlEESC_NS0_19identity_decomposerEEE10hipError_tT1_T2_T3_T4_jRjT5_jjP12ihipStream_tbEUlT_E_NS1_11comp_targetILNS1_3genE2ELNS1_11target_archE906ELNS1_3gpuE6ELNS1_3repE0EEENS1_44radix_sort_block_sort_config_static_selectorELNS0_4arch9wavefront6targetE1EEEvSF_
; %bb.0:
	.section	.rodata,"a",@progbits
	.p2align	6, 0x0
	.amdhsa_kernel _ZN7rocprim17ROCPRIM_400000_NS6detail17trampoline_kernelINS0_13kernel_configILj256ELj4ELj4294967295EEENS1_37radix_sort_block_sort_config_selectorIalEEZNS1_21radix_sort_block_sortIS4_Lb0EPaS8_N6thrust23THRUST_200600_302600_NS10device_ptrIlEESC_NS0_19identity_decomposerEEE10hipError_tT1_T2_T3_T4_jRjT5_jjP12ihipStream_tbEUlT_E_NS1_11comp_targetILNS1_3genE2ELNS1_11target_archE906ELNS1_3gpuE6ELNS1_3repE0EEENS1_44radix_sort_block_sort_config_static_selectorELNS0_4arch9wavefront6targetE1EEEvSF_
		.amdhsa_group_segment_fixed_size 0
		.amdhsa_private_segment_fixed_size 0
		.amdhsa_kernarg_size 48
		.amdhsa_user_sgpr_count 6
		.amdhsa_user_sgpr_private_segment_buffer 1
		.amdhsa_user_sgpr_dispatch_ptr 0
		.amdhsa_user_sgpr_queue_ptr 0
		.amdhsa_user_sgpr_kernarg_segment_ptr 1
		.amdhsa_user_sgpr_dispatch_id 0
		.amdhsa_user_sgpr_flat_scratch_init 0
		.amdhsa_user_sgpr_kernarg_preload_length 0
		.amdhsa_user_sgpr_kernarg_preload_offset 0
		.amdhsa_user_sgpr_private_segment_size 0
		.amdhsa_uses_dynamic_stack 0
		.amdhsa_system_sgpr_private_segment_wavefront_offset 0
		.amdhsa_system_sgpr_workgroup_id_x 1
		.amdhsa_system_sgpr_workgroup_id_y 0
		.amdhsa_system_sgpr_workgroup_id_z 0
		.amdhsa_system_sgpr_workgroup_info 0
		.amdhsa_system_vgpr_workitem_id 0
		.amdhsa_next_free_vgpr 1
		.amdhsa_next_free_sgpr 0
		.amdhsa_accum_offset 4
		.amdhsa_reserve_vcc 0
		.amdhsa_reserve_flat_scratch 0
		.amdhsa_float_round_mode_32 0
		.amdhsa_float_round_mode_16_64 0
		.amdhsa_float_denorm_mode_32 3
		.amdhsa_float_denorm_mode_16_64 3
		.amdhsa_dx10_clamp 1
		.amdhsa_ieee_mode 1
		.amdhsa_fp16_overflow 0
		.amdhsa_tg_split 0
		.amdhsa_exception_fp_ieee_invalid_op 0
		.amdhsa_exception_fp_denorm_src 0
		.amdhsa_exception_fp_ieee_div_zero 0
		.amdhsa_exception_fp_ieee_overflow 0
		.amdhsa_exception_fp_ieee_underflow 0
		.amdhsa_exception_fp_ieee_inexact 0
		.amdhsa_exception_int_div_zero 0
	.end_amdhsa_kernel
	.section	.text._ZN7rocprim17ROCPRIM_400000_NS6detail17trampoline_kernelINS0_13kernel_configILj256ELj4ELj4294967295EEENS1_37radix_sort_block_sort_config_selectorIalEEZNS1_21radix_sort_block_sortIS4_Lb0EPaS8_N6thrust23THRUST_200600_302600_NS10device_ptrIlEESC_NS0_19identity_decomposerEEE10hipError_tT1_T2_T3_T4_jRjT5_jjP12ihipStream_tbEUlT_E_NS1_11comp_targetILNS1_3genE2ELNS1_11target_archE906ELNS1_3gpuE6ELNS1_3repE0EEENS1_44radix_sort_block_sort_config_static_selectorELNS0_4arch9wavefront6targetE1EEEvSF_,"axG",@progbits,_ZN7rocprim17ROCPRIM_400000_NS6detail17trampoline_kernelINS0_13kernel_configILj256ELj4ELj4294967295EEENS1_37radix_sort_block_sort_config_selectorIalEEZNS1_21radix_sort_block_sortIS4_Lb0EPaS8_N6thrust23THRUST_200600_302600_NS10device_ptrIlEESC_NS0_19identity_decomposerEEE10hipError_tT1_T2_T3_T4_jRjT5_jjP12ihipStream_tbEUlT_E_NS1_11comp_targetILNS1_3genE2ELNS1_11target_archE906ELNS1_3gpuE6ELNS1_3repE0EEENS1_44radix_sort_block_sort_config_static_selectorELNS0_4arch9wavefront6targetE1EEEvSF_,comdat
.Lfunc_end464:
	.size	_ZN7rocprim17ROCPRIM_400000_NS6detail17trampoline_kernelINS0_13kernel_configILj256ELj4ELj4294967295EEENS1_37radix_sort_block_sort_config_selectorIalEEZNS1_21radix_sort_block_sortIS4_Lb0EPaS8_N6thrust23THRUST_200600_302600_NS10device_ptrIlEESC_NS0_19identity_decomposerEEE10hipError_tT1_T2_T3_T4_jRjT5_jjP12ihipStream_tbEUlT_E_NS1_11comp_targetILNS1_3genE2ELNS1_11target_archE906ELNS1_3gpuE6ELNS1_3repE0EEENS1_44radix_sort_block_sort_config_static_selectorELNS0_4arch9wavefront6targetE1EEEvSF_, .Lfunc_end464-_ZN7rocprim17ROCPRIM_400000_NS6detail17trampoline_kernelINS0_13kernel_configILj256ELj4ELj4294967295EEENS1_37radix_sort_block_sort_config_selectorIalEEZNS1_21radix_sort_block_sortIS4_Lb0EPaS8_N6thrust23THRUST_200600_302600_NS10device_ptrIlEESC_NS0_19identity_decomposerEEE10hipError_tT1_T2_T3_T4_jRjT5_jjP12ihipStream_tbEUlT_E_NS1_11comp_targetILNS1_3genE2ELNS1_11target_archE906ELNS1_3gpuE6ELNS1_3repE0EEENS1_44radix_sort_block_sort_config_static_selectorELNS0_4arch9wavefront6targetE1EEEvSF_
                                        ; -- End function
	.section	.AMDGPU.csdata,"",@progbits
; Kernel info:
; codeLenInByte = 0
; NumSgprs: 4
; NumVgprs: 0
; NumAgprs: 0
; TotalNumVgprs: 0
; ScratchSize: 0
; MemoryBound: 0
; FloatMode: 240
; IeeeMode: 1
; LDSByteSize: 0 bytes/workgroup (compile time only)
; SGPRBlocks: 0
; VGPRBlocks: 0
; NumSGPRsForWavesPerEU: 4
; NumVGPRsForWavesPerEU: 1
; AccumOffset: 4
; Occupancy: 8
; WaveLimiterHint : 0
; COMPUTE_PGM_RSRC2:SCRATCH_EN: 0
; COMPUTE_PGM_RSRC2:USER_SGPR: 6
; COMPUTE_PGM_RSRC2:TRAP_HANDLER: 0
; COMPUTE_PGM_RSRC2:TGID_X_EN: 1
; COMPUTE_PGM_RSRC2:TGID_Y_EN: 0
; COMPUTE_PGM_RSRC2:TGID_Z_EN: 0
; COMPUTE_PGM_RSRC2:TIDIG_COMP_CNT: 0
; COMPUTE_PGM_RSRC3_GFX90A:ACCUM_OFFSET: 0
; COMPUTE_PGM_RSRC3_GFX90A:TG_SPLIT: 0
	.section	.text._ZN7rocprim17ROCPRIM_400000_NS6detail17trampoline_kernelINS0_13kernel_configILj256ELj4ELj4294967295EEENS1_37radix_sort_block_sort_config_selectorIalEEZNS1_21radix_sort_block_sortIS4_Lb0EPaS8_N6thrust23THRUST_200600_302600_NS10device_ptrIlEESC_NS0_19identity_decomposerEEE10hipError_tT1_T2_T3_T4_jRjT5_jjP12ihipStream_tbEUlT_E_NS1_11comp_targetILNS1_3genE10ELNS1_11target_archE1201ELNS1_3gpuE5ELNS1_3repE0EEENS1_44radix_sort_block_sort_config_static_selectorELNS0_4arch9wavefront6targetE1EEEvSF_,"axG",@progbits,_ZN7rocprim17ROCPRIM_400000_NS6detail17trampoline_kernelINS0_13kernel_configILj256ELj4ELj4294967295EEENS1_37radix_sort_block_sort_config_selectorIalEEZNS1_21radix_sort_block_sortIS4_Lb0EPaS8_N6thrust23THRUST_200600_302600_NS10device_ptrIlEESC_NS0_19identity_decomposerEEE10hipError_tT1_T2_T3_T4_jRjT5_jjP12ihipStream_tbEUlT_E_NS1_11comp_targetILNS1_3genE10ELNS1_11target_archE1201ELNS1_3gpuE5ELNS1_3repE0EEENS1_44radix_sort_block_sort_config_static_selectorELNS0_4arch9wavefront6targetE1EEEvSF_,comdat
	.protected	_ZN7rocprim17ROCPRIM_400000_NS6detail17trampoline_kernelINS0_13kernel_configILj256ELj4ELj4294967295EEENS1_37radix_sort_block_sort_config_selectorIalEEZNS1_21radix_sort_block_sortIS4_Lb0EPaS8_N6thrust23THRUST_200600_302600_NS10device_ptrIlEESC_NS0_19identity_decomposerEEE10hipError_tT1_T2_T3_T4_jRjT5_jjP12ihipStream_tbEUlT_E_NS1_11comp_targetILNS1_3genE10ELNS1_11target_archE1201ELNS1_3gpuE5ELNS1_3repE0EEENS1_44radix_sort_block_sort_config_static_selectorELNS0_4arch9wavefront6targetE1EEEvSF_ ; -- Begin function _ZN7rocprim17ROCPRIM_400000_NS6detail17trampoline_kernelINS0_13kernel_configILj256ELj4ELj4294967295EEENS1_37radix_sort_block_sort_config_selectorIalEEZNS1_21radix_sort_block_sortIS4_Lb0EPaS8_N6thrust23THRUST_200600_302600_NS10device_ptrIlEESC_NS0_19identity_decomposerEEE10hipError_tT1_T2_T3_T4_jRjT5_jjP12ihipStream_tbEUlT_E_NS1_11comp_targetILNS1_3genE10ELNS1_11target_archE1201ELNS1_3gpuE5ELNS1_3repE0EEENS1_44radix_sort_block_sort_config_static_selectorELNS0_4arch9wavefront6targetE1EEEvSF_
	.globl	_ZN7rocprim17ROCPRIM_400000_NS6detail17trampoline_kernelINS0_13kernel_configILj256ELj4ELj4294967295EEENS1_37radix_sort_block_sort_config_selectorIalEEZNS1_21radix_sort_block_sortIS4_Lb0EPaS8_N6thrust23THRUST_200600_302600_NS10device_ptrIlEESC_NS0_19identity_decomposerEEE10hipError_tT1_T2_T3_T4_jRjT5_jjP12ihipStream_tbEUlT_E_NS1_11comp_targetILNS1_3genE10ELNS1_11target_archE1201ELNS1_3gpuE5ELNS1_3repE0EEENS1_44radix_sort_block_sort_config_static_selectorELNS0_4arch9wavefront6targetE1EEEvSF_
	.p2align	8
	.type	_ZN7rocprim17ROCPRIM_400000_NS6detail17trampoline_kernelINS0_13kernel_configILj256ELj4ELj4294967295EEENS1_37radix_sort_block_sort_config_selectorIalEEZNS1_21radix_sort_block_sortIS4_Lb0EPaS8_N6thrust23THRUST_200600_302600_NS10device_ptrIlEESC_NS0_19identity_decomposerEEE10hipError_tT1_T2_T3_T4_jRjT5_jjP12ihipStream_tbEUlT_E_NS1_11comp_targetILNS1_3genE10ELNS1_11target_archE1201ELNS1_3gpuE5ELNS1_3repE0EEENS1_44radix_sort_block_sort_config_static_selectorELNS0_4arch9wavefront6targetE1EEEvSF_,@function
_ZN7rocprim17ROCPRIM_400000_NS6detail17trampoline_kernelINS0_13kernel_configILj256ELj4ELj4294967295EEENS1_37radix_sort_block_sort_config_selectorIalEEZNS1_21radix_sort_block_sortIS4_Lb0EPaS8_N6thrust23THRUST_200600_302600_NS10device_ptrIlEESC_NS0_19identity_decomposerEEE10hipError_tT1_T2_T3_T4_jRjT5_jjP12ihipStream_tbEUlT_E_NS1_11comp_targetILNS1_3genE10ELNS1_11target_archE1201ELNS1_3gpuE5ELNS1_3repE0EEENS1_44radix_sort_block_sort_config_static_selectorELNS0_4arch9wavefront6targetE1EEEvSF_: ; @_ZN7rocprim17ROCPRIM_400000_NS6detail17trampoline_kernelINS0_13kernel_configILj256ELj4ELj4294967295EEENS1_37radix_sort_block_sort_config_selectorIalEEZNS1_21radix_sort_block_sortIS4_Lb0EPaS8_N6thrust23THRUST_200600_302600_NS10device_ptrIlEESC_NS0_19identity_decomposerEEE10hipError_tT1_T2_T3_T4_jRjT5_jjP12ihipStream_tbEUlT_E_NS1_11comp_targetILNS1_3genE10ELNS1_11target_archE1201ELNS1_3gpuE5ELNS1_3repE0EEENS1_44radix_sort_block_sort_config_static_selectorELNS0_4arch9wavefront6targetE1EEEvSF_
; %bb.0:
	.section	.rodata,"a",@progbits
	.p2align	6, 0x0
	.amdhsa_kernel _ZN7rocprim17ROCPRIM_400000_NS6detail17trampoline_kernelINS0_13kernel_configILj256ELj4ELj4294967295EEENS1_37radix_sort_block_sort_config_selectorIalEEZNS1_21radix_sort_block_sortIS4_Lb0EPaS8_N6thrust23THRUST_200600_302600_NS10device_ptrIlEESC_NS0_19identity_decomposerEEE10hipError_tT1_T2_T3_T4_jRjT5_jjP12ihipStream_tbEUlT_E_NS1_11comp_targetILNS1_3genE10ELNS1_11target_archE1201ELNS1_3gpuE5ELNS1_3repE0EEENS1_44radix_sort_block_sort_config_static_selectorELNS0_4arch9wavefront6targetE1EEEvSF_
		.amdhsa_group_segment_fixed_size 0
		.amdhsa_private_segment_fixed_size 0
		.amdhsa_kernarg_size 48
		.amdhsa_user_sgpr_count 6
		.amdhsa_user_sgpr_private_segment_buffer 1
		.amdhsa_user_sgpr_dispatch_ptr 0
		.amdhsa_user_sgpr_queue_ptr 0
		.amdhsa_user_sgpr_kernarg_segment_ptr 1
		.amdhsa_user_sgpr_dispatch_id 0
		.amdhsa_user_sgpr_flat_scratch_init 0
		.amdhsa_user_sgpr_kernarg_preload_length 0
		.amdhsa_user_sgpr_kernarg_preload_offset 0
		.amdhsa_user_sgpr_private_segment_size 0
		.amdhsa_uses_dynamic_stack 0
		.amdhsa_system_sgpr_private_segment_wavefront_offset 0
		.amdhsa_system_sgpr_workgroup_id_x 1
		.amdhsa_system_sgpr_workgroup_id_y 0
		.amdhsa_system_sgpr_workgroup_id_z 0
		.amdhsa_system_sgpr_workgroup_info 0
		.amdhsa_system_vgpr_workitem_id 0
		.amdhsa_next_free_vgpr 1
		.amdhsa_next_free_sgpr 0
		.amdhsa_accum_offset 4
		.amdhsa_reserve_vcc 0
		.amdhsa_reserve_flat_scratch 0
		.amdhsa_float_round_mode_32 0
		.amdhsa_float_round_mode_16_64 0
		.amdhsa_float_denorm_mode_32 3
		.amdhsa_float_denorm_mode_16_64 3
		.amdhsa_dx10_clamp 1
		.amdhsa_ieee_mode 1
		.amdhsa_fp16_overflow 0
		.amdhsa_tg_split 0
		.amdhsa_exception_fp_ieee_invalid_op 0
		.amdhsa_exception_fp_denorm_src 0
		.amdhsa_exception_fp_ieee_div_zero 0
		.amdhsa_exception_fp_ieee_overflow 0
		.amdhsa_exception_fp_ieee_underflow 0
		.amdhsa_exception_fp_ieee_inexact 0
		.amdhsa_exception_int_div_zero 0
	.end_amdhsa_kernel
	.section	.text._ZN7rocprim17ROCPRIM_400000_NS6detail17trampoline_kernelINS0_13kernel_configILj256ELj4ELj4294967295EEENS1_37radix_sort_block_sort_config_selectorIalEEZNS1_21radix_sort_block_sortIS4_Lb0EPaS8_N6thrust23THRUST_200600_302600_NS10device_ptrIlEESC_NS0_19identity_decomposerEEE10hipError_tT1_T2_T3_T4_jRjT5_jjP12ihipStream_tbEUlT_E_NS1_11comp_targetILNS1_3genE10ELNS1_11target_archE1201ELNS1_3gpuE5ELNS1_3repE0EEENS1_44radix_sort_block_sort_config_static_selectorELNS0_4arch9wavefront6targetE1EEEvSF_,"axG",@progbits,_ZN7rocprim17ROCPRIM_400000_NS6detail17trampoline_kernelINS0_13kernel_configILj256ELj4ELj4294967295EEENS1_37radix_sort_block_sort_config_selectorIalEEZNS1_21radix_sort_block_sortIS4_Lb0EPaS8_N6thrust23THRUST_200600_302600_NS10device_ptrIlEESC_NS0_19identity_decomposerEEE10hipError_tT1_T2_T3_T4_jRjT5_jjP12ihipStream_tbEUlT_E_NS1_11comp_targetILNS1_3genE10ELNS1_11target_archE1201ELNS1_3gpuE5ELNS1_3repE0EEENS1_44radix_sort_block_sort_config_static_selectorELNS0_4arch9wavefront6targetE1EEEvSF_,comdat
.Lfunc_end465:
	.size	_ZN7rocprim17ROCPRIM_400000_NS6detail17trampoline_kernelINS0_13kernel_configILj256ELj4ELj4294967295EEENS1_37radix_sort_block_sort_config_selectorIalEEZNS1_21radix_sort_block_sortIS4_Lb0EPaS8_N6thrust23THRUST_200600_302600_NS10device_ptrIlEESC_NS0_19identity_decomposerEEE10hipError_tT1_T2_T3_T4_jRjT5_jjP12ihipStream_tbEUlT_E_NS1_11comp_targetILNS1_3genE10ELNS1_11target_archE1201ELNS1_3gpuE5ELNS1_3repE0EEENS1_44radix_sort_block_sort_config_static_selectorELNS0_4arch9wavefront6targetE1EEEvSF_, .Lfunc_end465-_ZN7rocprim17ROCPRIM_400000_NS6detail17trampoline_kernelINS0_13kernel_configILj256ELj4ELj4294967295EEENS1_37radix_sort_block_sort_config_selectorIalEEZNS1_21radix_sort_block_sortIS4_Lb0EPaS8_N6thrust23THRUST_200600_302600_NS10device_ptrIlEESC_NS0_19identity_decomposerEEE10hipError_tT1_T2_T3_T4_jRjT5_jjP12ihipStream_tbEUlT_E_NS1_11comp_targetILNS1_3genE10ELNS1_11target_archE1201ELNS1_3gpuE5ELNS1_3repE0EEENS1_44radix_sort_block_sort_config_static_selectorELNS0_4arch9wavefront6targetE1EEEvSF_
                                        ; -- End function
	.section	.AMDGPU.csdata,"",@progbits
; Kernel info:
; codeLenInByte = 0
; NumSgprs: 4
; NumVgprs: 0
; NumAgprs: 0
; TotalNumVgprs: 0
; ScratchSize: 0
; MemoryBound: 0
; FloatMode: 240
; IeeeMode: 1
; LDSByteSize: 0 bytes/workgroup (compile time only)
; SGPRBlocks: 0
; VGPRBlocks: 0
; NumSGPRsForWavesPerEU: 4
; NumVGPRsForWavesPerEU: 1
; AccumOffset: 4
; Occupancy: 8
; WaveLimiterHint : 0
; COMPUTE_PGM_RSRC2:SCRATCH_EN: 0
; COMPUTE_PGM_RSRC2:USER_SGPR: 6
; COMPUTE_PGM_RSRC2:TRAP_HANDLER: 0
; COMPUTE_PGM_RSRC2:TGID_X_EN: 1
; COMPUTE_PGM_RSRC2:TGID_Y_EN: 0
; COMPUTE_PGM_RSRC2:TGID_Z_EN: 0
; COMPUTE_PGM_RSRC2:TIDIG_COMP_CNT: 0
; COMPUTE_PGM_RSRC3_GFX90A:ACCUM_OFFSET: 0
; COMPUTE_PGM_RSRC3_GFX90A:TG_SPLIT: 0
	.section	.text._ZN7rocprim17ROCPRIM_400000_NS6detail17trampoline_kernelINS0_13kernel_configILj256ELj4ELj4294967295EEENS1_37radix_sort_block_sort_config_selectorIalEEZNS1_21radix_sort_block_sortIS4_Lb0EPaS8_N6thrust23THRUST_200600_302600_NS10device_ptrIlEESC_NS0_19identity_decomposerEEE10hipError_tT1_T2_T3_T4_jRjT5_jjP12ihipStream_tbEUlT_E_NS1_11comp_targetILNS1_3genE10ELNS1_11target_archE1200ELNS1_3gpuE4ELNS1_3repE0EEENS1_44radix_sort_block_sort_config_static_selectorELNS0_4arch9wavefront6targetE1EEEvSF_,"axG",@progbits,_ZN7rocprim17ROCPRIM_400000_NS6detail17trampoline_kernelINS0_13kernel_configILj256ELj4ELj4294967295EEENS1_37radix_sort_block_sort_config_selectorIalEEZNS1_21radix_sort_block_sortIS4_Lb0EPaS8_N6thrust23THRUST_200600_302600_NS10device_ptrIlEESC_NS0_19identity_decomposerEEE10hipError_tT1_T2_T3_T4_jRjT5_jjP12ihipStream_tbEUlT_E_NS1_11comp_targetILNS1_3genE10ELNS1_11target_archE1200ELNS1_3gpuE4ELNS1_3repE0EEENS1_44radix_sort_block_sort_config_static_selectorELNS0_4arch9wavefront6targetE1EEEvSF_,comdat
	.protected	_ZN7rocprim17ROCPRIM_400000_NS6detail17trampoline_kernelINS0_13kernel_configILj256ELj4ELj4294967295EEENS1_37radix_sort_block_sort_config_selectorIalEEZNS1_21radix_sort_block_sortIS4_Lb0EPaS8_N6thrust23THRUST_200600_302600_NS10device_ptrIlEESC_NS0_19identity_decomposerEEE10hipError_tT1_T2_T3_T4_jRjT5_jjP12ihipStream_tbEUlT_E_NS1_11comp_targetILNS1_3genE10ELNS1_11target_archE1200ELNS1_3gpuE4ELNS1_3repE0EEENS1_44radix_sort_block_sort_config_static_selectorELNS0_4arch9wavefront6targetE1EEEvSF_ ; -- Begin function _ZN7rocprim17ROCPRIM_400000_NS6detail17trampoline_kernelINS0_13kernel_configILj256ELj4ELj4294967295EEENS1_37radix_sort_block_sort_config_selectorIalEEZNS1_21radix_sort_block_sortIS4_Lb0EPaS8_N6thrust23THRUST_200600_302600_NS10device_ptrIlEESC_NS0_19identity_decomposerEEE10hipError_tT1_T2_T3_T4_jRjT5_jjP12ihipStream_tbEUlT_E_NS1_11comp_targetILNS1_3genE10ELNS1_11target_archE1200ELNS1_3gpuE4ELNS1_3repE0EEENS1_44radix_sort_block_sort_config_static_selectorELNS0_4arch9wavefront6targetE1EEEvSF_
	.globl	_ZN7rocprim17ROCPRIM_400000_NS6detail17trampoline_kernelINS0_13kernel_configILj256ELj4ELj4294967295EEENS1_37radix_sort_block_sort_config_selectorIalEEZNS1_21radix_sort_block_sortIS4_Lb0EPaS8_N6thrust23THRUST_200600_302600_NS10device_ptrIlEESC_NS0_19identity_decomposerEEE10hipError_tT1_T2_T3_T4_jRjT5_jjP12ihipStream_tbEUlT_E_NS1_11comp_targetILNS1_3genE10ELNS1_11target_archE1200ELNS1_3gpuE4ELNS1_3repE0EEENS1_44radix_sort_block_sort_config_static_selectorELNS0_4arch9wavefront6targetE1EEEvSF_
	.p2align	8
	.type	_ZN7rocprim17ROCPRIM_400000_NS6detail17trampoline_kernelINS0_13kernel_configILj256ELj4ELj4294967295EEENS1_37radix_sort_block_sort_config_selectorIalEEZNS1_21radix_sort_block_sortIS4_Lb0EPaS8_N6thrust23THRUST_200600_302600_NS10device_ptrIlEESC_NS0_19identity_decomposerEEE10hipError_tT1_T2_T3_T4_jRjT5_jjP12ihipStream_tbEUlT_E_NS1_11comp_targetILNS1_3genE10ELNS1_11target_archE1200ELNS1_3gpuE4ELNS1_3repE0EEENS1_44radix_sort_block_sort_config_static_selectorELNS0_4arch9wavefront6targetE1EEEvSF_,@function
_ZN7rocprim17ROCPRIM_400000_NS6detail17trampoline_kernelINS0_13kernel_configILj256ELj4ELj4294967295EEENS1_37radix_sort_block_sort_config_selectorIalEEZNS1_21radix_sort_block_sortIS4_Lb0EPaS8_N6thrust23THRUST_200600_302600_NS10device_ptrIlEESC_NS0_19identity_decomposerEEE10hipError_tT1_T2_T3_T4_jRjT5_jjP12ihipStream_tbEUlT_E_NS1_11comp_targetILNS1_3genE10ELNS1_11target_archE1200ELNS1_3gpuE4ELNS1_3repE0EEENS1_44radix_sort_block_sort_config_static_selectorELNS0_4arch9wavefront6targetE1EEEvSF_: ; @_ZN7rocprim17ROCPRIM_400000_NS6detail17trampoline_kernelINS0_13kernel_configILj256ELj4ELj4294967295EEENS1_37radix_sort_block_sort_config_selectorIalEEZNS1_21radix_sort_block_sortIS4_Lb0EPaS8_N6thrust23THRUST_200600_302600_NS10device_ptrIlEESC_NS0_19identity_decomposerEEE10hipError_tT1_T2_T3_T4_jRjT5_jjP12ihipStream_tbEUlT_E_NS1_11comp_targetILNS1_3genE10ELNS1_11target_archE1200ELNS1_3gpuE4ELNS1_3repE0EEENS1_44radix_sort_block_sort_config_static_selectorELNS0_4arch9wavefront6targetE1EEEvSF_
; %bb.0:
	.section	.rodata,"a",@progbits
	.p2align	6, 0x0
	.amdhsa_kernel _ZN7rocprim17ROCPRIM_400000_NS6detail17trampoline_kernelINS0_13kernel_configILj256ELj4ELj4294967295EEENS1_37radix_sort_block_sort_config_selectorIalEEZNS1_21radix_sort_block_sortIS4_Lb0EPaS8_N6thrust23THRUST_200600_302600_NS10device_ptrIlEESC_NS0_19identity_decomposerEEE10hipError_tT1_T2_T3_T4_jRjT5_jjP12ihipStream_tbEUlT_E_NS1_11comp_targetILNS1_3genE10ELNS1_11target_archE1200ELNS1_3gpuE4ELNS1_3repE0EEENS1_44radix_sort_block_sort_config_static_selectorELNS0_4arch9wavefront6targetE1EEEvSF_
		.amdhsa_group_segment_fixed_size 0
		.amdhsa_private_segment_fixed_size 0
		.amdhsa_kernarg_size 48
		.amdhsa_user_sgpr_count 6
		.amdhsa_user_sgpr_private_segment_buffer 1
		.amdhsa_user_sgpr_dispatch_ptr 0
		.amdhsa_user_sgpr_queue_ptr 0
		.amdhsa_user_sgpr_kernarg_segment_ptr 1
		.amdhsa_user_sgpr_dispatch_id 0
		.amdhsa_user_sgpr_flat_scratch_init 0
		.amdhsa_user_sgpr_kernarg_preload_length 0
		.amdhsa_user_sgpr_kernarg_preload_offset 0
		.amdhsa_user_sgpr_private_segment_size 0
		.amdhsa_uses_dynamic_stack 0
		.amdhsa_system_sgpr_private_segment_wavefront_offset 0
		.amdhsa_system_sgpr_workgroup_id_x 1
		.amdhsa_system_sgpr_workgroup_id_y 0
		.amdhsa_system_sgpr_workgroup_id_z 0
		.amdhsa_system_sgpr_workgroup_info 0
		.amdhsa_system_vgpr_workitem_id 0
		.amdhsa_next_free_vgpr 1
		.amdhsa_next_free_sgpr 0
		.amdhsa_accum_offset 4
		.amdhsa_reserve_vcc 0
		.amdhsa_reserve_flat_scratch 0
		.amdhsa_float_round_mode_32 0
		.amdhsa_float_round_mode_16_64 0
		.amdhsa_float_denorm_mode_32 3
		.amdhsa_float_denorm_mode_16_64 3
		.amdhsa_dx10_clamp 1
		.amdhsa_ieee_mode 1
		.amdhsa_fp16_overflow 0
		.amdhsa_tg_split 0
		.amdhsa_exception_fp_ieee_invalid_op 0
		.amdhsa_exception_fp_denorm_src 0
		.amdhsa_exception_fp_ieee_div_zero 0
		.amdhsa_exception_fp_ieee_overflow 0
		.amdhsa_exception_fp_ieee_underflow 0
		.amdhsa_exception_fp_ieee_inexact 0
		.amdhsa_exception_int_div_zero 0
	.end_amdhsa_kernel
	.section	.text._ZN7rocprim17ROCPRIM_400000_NS6detail17trampoline_kernelINS0_13kernel_configILj256ELj4ELj4294967295EEENS1_37radix_sort_block_sort_config_selectorIalEEZNS1_21radix_sort_block_sortIS4_Lb0EPaS8_N6thrust23THRUST_200600_302600_NS10device_ptrIlEESC_NS0_19identity_decomposerEEE10hipError_tT1_T2_T3_T4_jRjT5_jjP12ihipStream_tbEUlT_E_NS1_11comp_targetILNS1_3genE10ELNS1_11target_archE1200ELNS1_3gpuE4ELNS1_3repE0EEENS1_44radix_sort_block_sort_config_static_selectorELNS0_4arch9wavefront6targetE1EEEvSF_,"axG",@progbits,_ZN7rocprim17ROCPRIM_400000_NS6detail17trampoline_kernelINS0_13kernel_configILj256ELj4ELj4294967295EEENS1_37radix_sort_block_sort_config_selectorIalEEZNS1_21radix_sort_block_sortIS4_Lb0EPaS8_N6thrust23THRUST_200600_302600_NS10device_ptrIlEESC_NS0_19identity_decomposerEEE10hipError_tT1_T2_T3_T4_jRjT5_jjP12ihipStream_tbEUlT_E_NS1_11comp_targetILNS1_3genE10ELNS1_11target_archE1200ELNS1_3gpuE4ELNS1_3repE0EEENS1_44radix_sort_block_sort_config_static_selectorELNS0_4arch9wavefront6targetE1EEEvSF_,comdat
.Lfunc_end466:
	.size	_ZN7rocprim17ROCPRIM_400000_NS6detail17trampoline_kernelINS0_13kernel_configILj256ELj4ELj4294967295EEENS1_37radix_sort_block_sort_config_selectorIalEEZNS1_21radix_sort_block_sortIS4_Lb0EPaS8_N6thrust23THRUST_200600_302600_NS10device_ptrIlEESC_NS0_19identity_decomposerEEE10hipError_tT1_T2_T3_T4_jRjT5_jjP12ihipStream_tbEUlT_E_NS1_11comp_targetILNS1_3genE10ELNS1_11target_archE1200ELNS1_3gpuE4ELNS1_3repE0EEENS1_44radix_sort_block_sort_config_static_selectorELNS0_4arch9wavefront6targetE1EEEvSF_, .Lfunc_end466-_ZN7rocprim17ROCPRIM_400000_NS6detail17trampoline_kernelINS0_13kernel_configILj256ELj4ELj4294967295EEENS1_37radix_sort_block_sort_config_selectorIalEEZNS1_21radix_sort_block_sortIS4_Lb0EPaS8_N6thrust23THRUST_200600_302600_NS10device_ptrIlEESC_NS0_19identity_decomposerEEE10hipError_tT1_T2_T3_T4_jRjT5_jjP12ihipStream_tbEUlT_E_NS1_11comp_targetILNS1_3genE10ELNS1_11target_archE1200ELNS1_3gpuE4ELNS1_3repE0EEENS1_44radix_sort_block_sort_config_static_selectorELNS0_4arch9wavefront6targetE1EEEvSF_
                                        ; -- End function
	.section	.AMDGPU.csdata,"",@progbits
; Kernel info:
; codeLenInByte = 0
; NumSgprs: 4
; NumVgprs: 0
; NumAgprs: 0
; TotalNumVgprs: 0
; ScratchSize: 0
; MemoryBound: 0
; FloatMode: 240
; IeeeMode: 1
; LDSByteSize: 0 bytes/workgroup (compile time only)
; SGPRBlocks: 0
; VGPRBlocks: 0
; NumSGPRsForWavesPerEU: 4
; NumVGPRsForWavesPerEU: 1
; AccumOffset: 4
; Occupancy: 8
; WaveLimiterHint : 0
; COMPUTE_PGM_RSRC2:SCRATCH_EN: 0
; COMPUTE_PGM_RSRC2:USER_SGPR: 6
; COMPUTE_PGM_RSRC2:TRAP_HANDLER: 0
; COMPUTE_PGM_RSRC2:TGID_X_EN: 1
; COMPUTE_PGM_RSRC2:TGID_Y_EN: 0
; COMPUTE_PGM_RSRC2:TGID_Z_EN: 0
; COMPUTE_PGM_RSRC2:TIDIG_COMP_CNT: 0
; COMPUTE_PGM_RSRC3_GFX90A:ACCUM_OFFSET: 0
; COMPUTE_PGM_RSRC3_GFX90A:TG_SPLIT: 0
	.section	.text._ZN7rocprim17ROCPRIM_400000_NS6detail17trampoline_kernelINS0_13kernel_configILj256ELj4ELj4294967295EEENS1_37radix_sort_block_sort_config_selectorIalEEZNS1_21radix_sort_block_sortIS4_Lb0EPaS8_N6thrust23THRUST_200600_302600_NS10device_ptrIlEESC_NS0_19identity_decomposerEEE10hipError_tT1_T2_T3_T4_jRjT5_jjP12ihipStream_tbEUlT_E_NS1_11comp_targetILNS1_3genE9ELNS1_11target_archE1100ELNS1_3gpuE3ELNS1_3repE0EEENS1_44radix_sort_block_sort_config_static_selectorELNS0_4arch9wavefront6targetE1EEEvSF_,"axG",@progbits,_ZN7rocprim17ROCPRIM_400000_NS6detail17trampoline_kernelINS0_13kernel_configILj256ELj4ELj4294967295EEENS1_37radix_sort_block_sort_config_selectorIalEEZNS1_21radix_sort_block_sortIS4_Lb0EPaS8_N6thrust23THRUST_200600_302600_NS10device_ptrIlEESC_NS0_19identity_decomposerEEE10hipError_tT1_T2_T3_T4_jRjT5_jjP12ihipStream_tbEUlT_E_NS1_11comp_targetILNS1_3genE9ELNS1_11target_archE1100ELNS1_3gpuE3ELNS1_3repE0EEENS1_44radix_sort_block_sort_config_static_selectorELNS0_4arch9wavefront6targetE1EEEvSF_,comdat
	.protected	_ZN7rocprim17ROCPRIM_400000_NS6detail17trampoline_kernelINS0_13kernel_configILj256ELj4ELj4294967295EEENS1_37radix_sort_block_sort_config_selectorIalEEZNS1_21radix_sort_block_sortIS4_Lb0EPaS8_N6thrust23THRUST_200600_302600_NS10device_ptrIlEESC_NS0_19identity_decomposerEEE10hipError_tT1_T2_T3_T4_jRjT5_jjP12ihipStream_tbEUlT_E_NS1_11comp_targetILNS1_3genE9ELNS1_11target_archE1100ELNS1_3gpuE3ELNS1_3repE0EEENS1_44radix_sort_block_sort_config_static_selectorELNS0_4arch9wavefront6targetE1EEEvSF_ ; -- Begin function _ZN7rocprim17ROCPRIM_400000_NS6detail17trampoline_kernelINS0_13kernel_configILj256ELj4ELj4294967295EEENS1_37radix_sort_block_sort_config_selectorIalEEZNS1_21radix_sort_block_sortIS4_Lb0EPaS8_N6thrust23THRUST_200600_302600_NS10device_ptrIlEESC_NS0_19identity_decomposerEEE10hipError_tT1_T2_T3_T4_jRjT5_jjP12ihipStream_tbEUlT_E_NS1_11comp_targetILNS1_3genE9ELNS1_11target_archE1100ELNS1_3gpuE3ELNS1_3repE0EEENS1_44radix_sort_block_sort_config_static_selectorELNS0_4arch9wavefront6targetE1EEEvSF_
	.globl	_ZN7rocprim17ROCPRIM_400000_NS6detail17trampoline_kernelINS0_13kernel_configILj256ELj4ELj4294967295EEENS1_37radix_sort_block_sort_config_selectorIalEEZNS1_21radix_sort_block_sortIS4_Lb0EPaS8_N6thrust23THRUST_200600_302600_NS10device_ptrIlEESC_NS0_19identity_decomposerEEE10hipError_tT1_T2_T3_T4_jRjT5_jjP12ihipStream_tbEUlT_E_NS1_11comp_targetILNS1_3genE9ELNS1_11target_archE1100ELNS1_3gpuE3ELNS1_3repE0EEENS1_44radix_sort_block_sort_config_static_selectorELNS0_4arch9wavefront6targetE1EEEvSF_
	.p2align	8
	.type	_ZN7rocprim17ROCPRIM_400000_NS6detail17trampoline_kernelINS0_13kernel_configILj256ELj4ELj4294967295EEENS1_37radix_sort_block_sort_config_selectorIalEEZNS1_21radix_sort_block_sortIS4_Lb0EPaS8_N6thrust23THRUST_200600_302600_NS10device_ptrIlEESC_NS0_19identity_decomposerEEE10hipError_tT1_T2_T3_T4_jRjT5_jjP12ihipStream_tbEUlT_E_NS1_11comp_targetILNS1_3genE9ELNS1_11target_archE1100ELNS1_3gpuE3ELNS1_3repE0EEENS1_44radix_sort_block_sort_config_static_selectorELNS0_4arch9wavefront6targetE1EEEvSF_,@function
_ZN7rocprim17ROCPRIM_400000_NS6detail17trampoline_kernelINS0_13kernel_configILj256ELj4ELj4294967295EEENS1_37radix_sort_block_sort_config_selectorIalEEZNS1_21radix_sort_block_sortIS4_Lb0EPaS8_N6thrust23THRUST_200600_302600_NS10device_ptrIlEESC_NS0_19identity_decomposerEEE10hipError_tT1_T2_T3_T4_jRjT5_jjP12ihipStream_tbEUlT_E_NS1_11comp_targetILNS1_3genE9ELNS1_11target_archE1100ELNS1_3gpuE3ELNS1_3repE0EEENS1_44radix_sort_block_sort_config_static_selectorELNS0_4arch9wavefront6targetE1EEEvSF_: ; @_ZN7rocprim17ROCPRIM_400000_NS6detail17trampoline_kernelINS0_13kernel_configILj256ELj4ELj4294967295EEENS1_37radix_sort_block_sort_config_selectorIalEEZNS1_21radix_sort_block_sortIS4_Lb0EPaS8_N6thrust23THRUST_200600_302600_NS10device_ptrIlEESC_NS0_19identity_decomposerEEE10hipError_tT1_T2_T3_T4_jRjT5_jjP12ihipStream_tbEUlT_E_NS1_11comp_targetILNS1_3genE9ELNS1_11target_archE1100ELNS1_3gpuE3ELNS1_3repE0EEENS1_44radix_sort_block_sort_config_static_selectorELNS0_4arch9wavefront6targetE1EEEvSF_
; %bb.0:
	.section	.rodata,"a",@progbits
	.p2align	6, 0x0
	.amdhsa_kernel _ZN7rocprim17ROCPRIM_400000_NS6detail17trampoline_kernelINS0_13kernel_configILj256ELj4ELj4294967295EEENS1_37radix_sort_block_sort_config_selectorIalEEZNS1_21radix_sort_block_sortIS4_Lb0EPaS8_N6thrust23THRUST_200600_302600_NS10device_ptrIlEESC_NS0_19identity_decomposerEEE10hipError_tT1_T2_T3_T4_jRjT5_jjP12ihipStream_tbEUlT_E_NS1_11comp_targetILNS1_3genE9ELNS1_11target_archE1100ELNS1_3gpuE3ELNS1_3repE0EEENS1_44radix_sort_block_sort_config_static_selectorELNS0_4arch9wavefront6targetE1EEEvSF_
		.amdhsa_group_segment_fixed_size 0
		.amdhsa_private_segment_fixed_size 0
		.amdhsa_kernarg_size 48
		.amdhsa_user_sgpr_count 6
		.amdhsa_user_sgpr_private_segment_buffer 1
		.amdhsa_user_sgpr_dispatch_ptr 0
		.amdhsa_user_sgpr_queue_ptr 0
		.amdhsa_user_sgpr_kernarg_segment_ptr 1
		.amdhsa_user_sgpr_dispatch_id 0
		.amdhsa_user_sgpr_flat_scratch_init 0
		.amdhsa_user_sgpr_kernarg_preload_length 0
		.amdhsa_user_sgpr_kernarg_preload_offset 0
		.amdhsa_user_sgpr_private_segment_size 0
		.amdhsa_uses_dynamic_stack 0
		.amdhsa_system_sgpr_private_segment_wavefront_offset 0
		.amdhsa_system_sgpr_workgroup_id_x 1
		.amdhsa_system_sgpr_workgroup_id_y 0
		.amdhsa_system_sgpr_workgroup_id_z 0
		.amdhsa_system_sgpr_workgroup_info 0
		.amdhsa_system_vgpr_workitem_id 0
		.amdhsa_next_free_vgpr 1
		.amdhsa_next_free_sgpr 0
		.amdhsa_accum_offset 4
		.amdhsa_reserve_vcc 0
		.amdhsa_reserve_flat_scratch 0
		.amdhsa_float_round_mode_32 0
		.amdhsa_float_round_mode_16_64 0
		.amdhsa_float_denorm_mode_32 3
		.amdhsa_float_denorm_mode_16_64 3
		.amdhsa_dx10_clamp 1
		.amdhsa_ieee_mode 1
		.amdhsa_fp16_overflow 0
		.amdhsa_tg_split 0
		.amdhsa_exception_fp_ieee_invalid_op 0
		.amdhsa_exception_fp_denorm_src 0
		.amdhsa_exception_fp_ieee_div_zero 0
		.amdhsa_exception_fp_ieee_overflow 0
		.amdhsa_exception_fp_ieee_underflow 0
		.amdhsa_exception_fp_ieee_inexact 0
		.amdhsa_exception_int_div_zero 0
	.end_amdhsa_kernel
	.section	.text._ZN7rocprim17ROCPRIM_400000_NS6detail17trampoline_kernelINS0_13kernel_configILj256ELj4ELj4294967295EEENS1_37radix_sort_block_sort_config_selectorIalEEZNS1_21radix_sort_block_sortIS4_Lb0EPaS8_N6thrust23THRUST_200600_302600_NS10device_ptrIlEESC_NS0_19identity_decomposerEEE10hipError_tT1_T2_T3_T4_jRjT5_jjP12ihipStream_tbEUlT_E_NS1_11comp_targetILNS1_3genE9ELNS1_11target_archE1100ELNS1_3gpuE3ELNS1_3repE0EEENS1_44radix_sort_block_sort_config_static_selectorELNS0_4arch9wavefront6targetE1EEEvSF_,"axG",@progbits,_ZN7rocprim17ROCPRIM_400000_NS6detail17trampoline_kernelINS0_13kernel_configILj256ELj4ELj4294967295EEENS1_37radix_sort_block_sort_config_selectorIalEEZNS1_21radix_sort_block_sortIS4_Lb0EPaS8_N6thrust23THRUST_200600_302600_NS10device_ptrIlEESC_NS0_19identity_decomposerEEE10hipError_tT1_T2_T3_T4_jRjT5_jjP12ihipStream_tbEUlT_E_NS1_11comp_targetILNS1_3genE9ELNS1_11target_archE1100ELNS1_3gpuE3ELNS1_3repE0EEENS1_44radix_sort_block_sort_config_static_selectorELNS0_4arch9wavefront6targetE1EEEvSF_,comdat
.Lfunc_end467:
	.size	_ZN7rocprim17ROCPRIM_400000_NS6detail17trampoline_kernelINS0_13kernel_configILj256ELj4ELj4294967295EEENS1_37radix_sort_block_sort_config_selectorIalEEZNS1_21radix_sort_block_sortIS4_Lb0EPaS8_N6thrust23THRUST_200600_302600_NS10device_ptrIlEESC_NS0_19identity_decomposerEEE10hipError_tT1_T2_T3_T4_jRjT5_jjP12ihipStream_tbEUlT_E_NS1_11comp_targetILNS1_3genE9ELNS1_11target_archE1100ELNS1_3gpuE3ELNS1_3repE0EEENS1_44radix_sort_block_sort_config_static_selectorELNS0_4arch9wavefront6targetE1EEEvSF_, .Lfunc_end467-_ZN7rocprim17ROCPRIM_400000_NS6detail17trampoline_kernelINS0_13kernel_configILj256ELj4ELj4294967295EEENS1_37radix_sort_block_sort_config_selectorIalEEZNS1_21radix_sort_block_sortIS4_Lb0EPaS8_N6thrust23THRUST_200600_302600_NS10device_ptrIlEESC_NS0_19identity_decomposerEEE10hipError_tT1_T2_T3_T4_jRjT5_jjP12ihipStream_tbEUlT_E_NS1_11comp_targetILNS1_3genE9ELNS1_11target_archE1100ELNS1_3gpuE3ELNS1_3repE0EEENS1_44radix_sort_block_sort_config_static_selectorELNS0_4arch9wavefront6targetE1EEEvSF_
                                        ; -- End function
	.section	.AMDGPU.csdata,"",@progbits
; Kernel info:
; codeLenInByte = 0
; NumSgprs: 4
; NumVgprs: 0
; NumAgprs: 0
; TotalNumVgprs: 0
; ScratchSize: 0
; MemoryBound: 0
; FloatMode: 240
; IeeeMode: 1
; LDSByteSize: 0 bytes/workgroup (compile time only)
; SGPRBlocks: 0
; VGPRBlocks: 0
; NumSGPRsForWavesPerEU: 4
; NumVGPRsForWavesPerEU: 1
; AccumOffset: 4
; Occupancy: 8
; WaveLimiterHint : 0
; COMPUTE_PGM_RSRC2:SCRATCH_EN: 0
; COMPUTE_PGM_RSRC2:USER_SGPR: 6
; COMPUTE_PGM_RSRC2:TRAP_HANDLER: 0
; COMPUTE_PGM_RSRC2:TGID_X_EN: 1
; COMPUTE_PGM_RSRC2:TGID_Y_EN: 0
; COMPUTE_PGM_RSRC2:TGID_Z_EN: 0
; COMPUTE_PGM_RSRC2:TIDIG_COMP_CNT: 0
; COMPUTE_PGM_RSRC3_GFX90A:ACCUM_OFFSET: 0
; COMPUTE_PGM_RSRC3_GFX90A:TG_SPLIT: 0
	.section	.text._ZN7rocprim17ROCPRIM_400000_NS6detail17trampoline_kernelINS0_13kernel_configILj256ELj4ELj4294967295EEENS1_37radix_sort_block_sort_config_selectorIalEEZNS1_21radix_sort_block_sortIS4_Lb0EPaS8_N6thrust23THRUST_200600_302600_NS10device_ptrIlEESC_NS0_19identity_decomposerEEE10hipError_tT1_T2_T3_T4_jRjT5_jjP12ihipStream_tbEUlT_E_NS1_11comp_targetILNS1_3genE8ELNS1_11target_archE1030ELNS1_3gpuE2ELNS1_3repE0EEENS1_44radix_sort_block_sort_config_static_selectorELNS0_4arch9wavefront6targetE1EEEvSF_,"axG",@progbits,_ZN7rocprim17ROCPRIM_400000_NS6detail17trampoline_kernelINS0_13kernel_configILj256ELj4ELj4294967295EEENS1_37radix_sort_block_sort_config_selectorIalEEZNS1_21radix_sort_block_sortIS4_Lb0EPaS8_N6thrust23THRUST_200600_302600_NS10device_ptrIlEESC_NS0_19identity_decomposerEEE10hipError_tT1_T2_T3_T4_jRjT5_jjP12ihipStream_tbEUlT_E_NS1_11comp_targetILNS1_3genE8ELNS1_11target_archE1030ELNS1_3gpuE2ELNS1_3repE0EEENS1_44radix_sort_block_sort_config_static_selectorELNS0_4arch9wavefront6targetE1EEEvSF_,comdat
	.protected	_ZN7rocprim17ROCPRIM_400000_NS6detail17trampoline_kernelINS0_13kernel_configILj256ELj4ELj4294967295EEENS1_37radix_sort_block_sort_config_selectorIalEEZNS1_21radix_sort_block_sortIS4_Lb0EPaS8_N6thrust23THRUST_200600_302600_NS10device_ptrIlEESC_NS0_19identity_decomposerEEE10hipError_tT1_T2_T3_T4_jRjT5_jjP12ihipStream_tbEUlT_E_NS1_11comp_targetILNS1_3genE8ELNS1_11target_archE1030ELNS1_3gpuE2ELNS1_3repE0EEENS1_44radix_sort_block_sort_config_static_selectorELNS0_4arch9wavefront6targetE1EEEvSF_ ; -- Begin function _ZN7rocprim17ROCPRIM_400000_NS6detail17trampoline_kernelINS0_13kernel_configILj256ELj4ELj4294967295EEENS1_37radix_sort_block_sort_config_selectorIalEEZNS1_21radix_sort_block_sortIS4_Lb0EPaS8_N6thrust23THRUST_200600_302600_NS10device_ptrIlEESC_NS0_19identity_decomposerEEE10hipError_tT1_T2_T3_T4_jRjT5_jjP12ihipStream_tbEUlT_E_NS1_11comp_targetILNS1_3genE8ELNS1_11target_archE1030ELNS1_3gpuE2ELNS1_3repE0EEENS1_44radix_sort_block_sort_config_static_selectorELNS0_4arch9wavefront6targetE1EEEvSF_
	.globl	_ZN7rocprim17ROCPRIM_400000_NS6detail17trampoline_kernelINS0_13kernel_configILj256ELj4ELj4294967295EEENS1_37radix_sort_block_sort_config_selectorIalEEZNS1_21radix_sort_block_sortIS4_Lb0EPaS8_N6thrust23THRUST_200600_302600_NS10device_ptrIlEESC_NS0_19identity_decomposerEEE10hipError_tT1_T2_T3_T4_jRjT5_jjP12ihipStream_tbEUlT_E_NS1_11comp_targetILNS1_3genE8ELNS1_11target_archE1030ELNS1_3gpuE2ELNS1_3repE0EEENS1_44radix_sort_block_sort_config_static_selectorELNS0_4arch9wavefront6targetE1EEEvSF_
	.p2align	8
	.type	_ZN7rocprim17ROCPRIM_400000_NS6detail17trampoline_kernelINS0_13kernel_configILj256ELj4ELj4294967295EEENS1_37radix_sort_block_sort_config_selectorIalEEZNS1_21radix_sort_block_sortIS4_Lb0EPaS8_N6thrust23THRUST_200600_302600_NS10device_ptrIlEESC_NS0_19identity_decomposerEEE10hipError_tT1_T2_T3_T4_jRjT5_jjP12ihipStream_tbEUlT_E_NS1_11comp_targetILNS1_3genE8ELNS1_11target_archE1030ELNS1_3gpuE2ELNS1_3repE0EEENS1_44radix_sort_block_sort_config_static_selectorELNS0_4arch9wavefront6targetE1EEEvSF_,@function
_ZN7rocprim17ROCPRIM_400000_NS6detail17trampoline_kernelINS0_13kernel_configILj256ELj4ELj4294967295EEENS1_37radix_sort_block_sort_config_selectorIalEEZNS1_21radix_sort_block_sortIS4_Lb0EPaS8_N6thrust23THRUST_200600_302600_NS10device_ptrIlEESC_NS0_19identity_decomposerEEE10hipError_tT1_T2_T3_T4_jRjT5_jjP12ihipStream_tbEUlT_E_NS1_11comp_targetILNS1_3genE8ELNS1_11target_archE1030ELNS1_3gpuE2ELNS1_3repE0EEENS1_44radix_sort_block_sort_config_static_selectorELNS0_4arch9wavefront6targetE1EEEvSF_: ; @_ZN7rocprim17ROCPRIM_400000_NS6detail17trampoline_kernelINS0_13kernel_configILj256ELj4ELj4294967295EEENS1_37radix_sort_block_sort_config_selectorIalEEZNS1_21radix_sort_block_sortIS4_Lb0EPaS8_N6thrust23THRUST_200600_302600_NS10device_ptrIlEESC_NS0_19identity_decomposerEEE10hipError_tT1_T2_T3_T4_jRjT5_jjP12ihipStream_tbEUlT_E_NS1_11comp_targetILNS1_3genE8ELNS1_11target_archE1030ELNS1_3gpuE2ELNS1_3repE0EEENS1_44radix_sort_block_sort_config_static_selectorELNS0_4arch9wavefront6targetE1EEEvSF_
; %bb.0:
	.section	.rodata,"a",@progbits
	.p2align	6, 0x0
	.amdhsa_kernel _ZN7rocprim17ROCPRIM_400000_NS6detail17trampoline_kernelINS0_13kernel_configILj256ELj4ELj4294967295EEENS1_37radix_sort_block_sort_config_selectorIalEEZNS1_21radix_sort_block_sortIS4_Lb0EPaS8_N6thrust23THRUST_200600_302600_NS10device_ptrIlEESC_NS0_19identity_decomposerEEE10hipError_tT1_T2_T3_T4_jRjT5_jjP12ihipStream_tbEUlT_E_NS1_11comp_targetILNS1_3genE8ELNS1_11target_archE1030ELNS1_3gpuE2ELNS1_3repE0EEENS1_44radix_sort_block_sort_config_static_selectorELNS0_4arch9wavefront6targetE1EEEvSF_
		.amdhsa_group_segment_fixed_size 0
		.amdhsa_private_segment_fixed_size 0
		.amdhsa_kernarg_size 48
		.amdhsa_user_sgpr_count 6
		.amdhsa_user_sgpr_private_segment_buffer 1
		.amdhsa_user_sgpr_dispatch_ptr 0
		.amdhsa_user_sgpr_queue_ptr 0
		.amdhsa_user_sgpr_kernarg_segment_ptr 1
		.amdhsa_user_sgpr_dispatch_id 0
		.amdhsa_user_sgpr_flat_scratch_init 0
		.amdhsa_user_sgpr_kernarg_preload_length 0
		.amdhsa_user_sgpr_kernarg_preload_offset 0
		.amdhsa_user_sgpr_private_segment_size 0
		.amdhsa_uses_dynamic_stack 0
		.amdhsa_system_sgpr_private_segment_wavefront_offset 0
		.amdhsa_system_sgpr_workgroup_id_x 1
		.amdhsa_system_sgpr_workgroup_id_y 0
		.amdhsa_system_sgpr_workgroup_id_z 0
		.amdhsa_system_sgpr_workgroup_info 0
		.amdhsa_system_vgpr_workitem_id 0
		.amdhsa_next_free_vgpr 1
		.amdhsa_next_free_sgpr 0
		.amdhsa_accum_offset 4
		.amdhsa_reserve_vcc 0
		.amdhsa_reserve_flat_scratch 0
		.amdhsa_float_round_mode_32 0
		.amdhsa_float_round_mode_16_64 0
		.amdhsa_float_denorm_mode_32 3
		.amdhsa_float_denorm_mode_16_64 3
		.amdhsa_dx10_clamp 1
		.amdhsa_ieee_mode 1
		.amdhsa_fp16_overflow 0
		.amdhsa_tg_split 0
		.amdhsa_exception_fp_ieee_invalid_op 0
		.amdhsa_exception_fp_denorm_src 0
		.amdhsa_exception_fp_ieee_div_zero 0
		.amdhsa_exception_fp_ieee_overflow 0
		.amdhsa_exception_fp_ieee_underflow 0
		.amdhsa_exception_fp_ieee_inexact 0
		.amdhsa_exception_int_div_zero 0
	.end_amdhsa_kernel
	.section	.text._ZN7rocprim17ROCPRIM_400000_NS6detail17trampoline_kernelINS0_13kernel_configILj256ELj4ELj4294967295EEENS1_37radix_sort_block_sort_config_selectorIalEEZNS1_21radix_sort_block_sortIS4_Lb0EPaS8_N6thrust23THRUST_200600_302600_NS10device_ptrIlEESC_NS0_19identity_decomposerEEE10hipError_tT1_T2_T3_T4_jRjT5_jjP12ihipStream_tbEUlT_E_NS1_11comp_targetILNS1_3genE8ELNS1_11target_archE1030ELNS1_3gpuE2ELNS1_3repE0EEENS1_44radix_sort_block_sort_config_static_selectorELNS0_4arch9wavefront6targetE1EEEvSF_,"axG",@progbits,_ZN7rocprim17ROCPRIM_400000_NS6detail17trampoline_kernelINS0_13kernel_configILj256ELj4ELj4294967295EEENS1_37radix_sort_block_sort_config_selectorIalEEZNS1_21radix_sort_block_sortIS4_Lb0EPaS8_N6thrust23THRUST_200600_302600_NS10device_ptrIlEESC_NS0_19identity_decomposerEEE10hipError_tT1_T2_T3_T4_jRjT5_jjP12ihipStream_tbEUlT_E_NS1_11comp_targetILNS1_3genE8ELNS1_11target_archE1030ELNS1_3gpuE2ELNS1_3repE0EEENS1_44radix_sort_block_sort_config_static_selectorELNS0_4arch9wavefront6targetE1EEEvSF_,comdat
.Lfunc_end468:
	.size	_ZN7rocprim17ROCPRIM_400000_NS6detail17trampoline_kernelINS0_13kernel_configILj256ELj4ELj4294967295EEENS1_37radix_sort_block_sort_config_selectorIalEEZNS1_21radix_sort_block_sortIS4_Lb0EPaS8_N6thrust23THRUST_200600_302600_NS10device_ptrIlEESC_NS0_19identity_decomposerEEE10hipError_tT1_T2_T3_T4_jRjT5_jjP12ihipStream_tbEUlT_E_NS1_11comp_targetILNS1_3genE8ELNS1_11target_archE1030ELNS1_3gpuE2ELNS1_3repE0EEENS1_44radix_sort_block_sort_config_static_selectorELNS0_4arch9wavefront6targetE1EEEvSF_, .Lfunc_end468-_ZN7rocprim17ROCPRIM_400000_NS6detail17trampoline_kernelINS0_13kernel_configILj256ELj4ELj4294967295EEENS1_37radix_sort_block_sort_config_selectorIalEEZNS1_21radix_sort_block_sortIS4_Lb0EPaS8_N6thrust23THRUST_200600_302600_NS10device_ptrIlEESC_NS0_19identity_decomposerEEE10hipError_tT1_T2_T3_T4_jRjT5_jjP12ihipStream_tbEUlT_E_NS1_11comp_targetILNS1_3genE8ELNS1_11target_archE1030ELNS1_3gpuE2ELNS1_3repE0EEENS1_44radix_sort_block_sort_config_static_selectorELNS0_4arch9wavefront6targetE1EEEvSF_
                                        ; -- End function
	.section	.AMDGPU.csdata,"",@progbits
; Kernel info:
; codeLenInByte = 0
; NumSgprs: 4
; NumVgprs: 0
; NumAgprs: 0
; TotalNumVgprs: 0
; ScratchSize: 0
; MemoryBound: 0
; FloatMode: 240
; IeeeMode: 1
; LDSByteSize: 0 bytes/workgroup (compile time only)
; SGPRBlocks: 0
; VGPRBlocks: 0
; NumSGPRsForWavesPerEU: 4
; NumVGPRsForWavesPerEU: 1
; AccumOffset: 4
; Occupancy: 8
; WaveLimiterHint : 0
; COMPUTE_PGM_RSRC2:SCRATCH_EN: 0
; COMPUTE_PGM_RSRC2:USER_SGPR: 6
; COMPUTE_PGM_RSRC2:TRAP_HANDLER: 0
; COMPUTE_PGM_RSRC2:TGID_X_EN: 1
; COMPUTE_PGM_RSRC2:TGID_Y_EN: 0
; COMPUTE_PGM_RSRC2:TGID_Z_EN: 0
; COMPUTE_PGM_RSRC2:TIDIG_COMP_CNT: 0
; COMPUTE_PGM_RSRC3_GFX90A:ACCUM_OFFSET: 0
; COMPUTE_PGM_RSRC3_GFX90A:TG_SPLIT: 0
	.section	.text._ZN7rocprim17ROCPRIM_400000_NS6detail44device_merge_sort_compile_time_verifier_archINS1_11comp_targetILNS1_3genE0ELNS1_11target_archE4294967295ELNS1_3gpuE0ELNS1_3repE0EEES8_NS1_28merge_sort_block_sort_configILj256ELj4ELNS0_20block_sort_algorithmE0EEENS0_14default_configENS1_37merge_sort_block_sort_config_selectorIalEENS1_38merge_sort_block_merge_config_selectorIalEEEEvv,"axG",@progbits,_ZN7rocprim17ROCPRIM_400000_NS6detail44device_merge_sort_compile_time_verifier_archINS1_11comp_targetILNS1_3genE0ELNS1_11target_archE4294967295ELNS1_3gpuE0ELNS1_3repE0EEES8_NS1_28merge_sort_block_sort_configILj256ELj4ELNS0_20block_sort_algorithmE0EEENS0_14default_configENS1_37merge_sort_block_sort_config_selectorIalEENS1_38merge_sort_block_merge_config_selectorIalEEEEvv,comdat
	.protected	_ZN7rocprim17ROCPRIM_400000_NS6detail44device_merge_sort_compile_time_verifier_archINS1_11comp_targetILNS1_3genE0ELNS1_11target_archE4294967295ELNS1_3gpuE0ELNS1_3repE0EEES8_NS1_28merge_sort_block_sort_configILj256ELj4ELNS0_20block_sort_algorithmE0EEENS0_14default_configENS1_37merge_sort_block_sort_config_selectorIalEENS1_38merge_sort_block_merge_config_selectorIalEEEEvv ; -- Begin function _ZN7rocprim17ROCPRIM_400000_NS6detail44device_merge_sort_compile_time_verifier_archINS1_11comp_targetILNS1_3genE0ELNS1_11target_archE4294967295ELNS1_3gpuE0ELNS1_3repE0EEES8_NS1_28merge_sort_block_sort_configILj256ELj4ELNS0_20block_sort_algorithmE0EEENS0_14default_configENS1_37merge_sort_block_sort_config_selectorIalEENS1_38merge_sort_block_merge_config_selectorIalEEEEvv
	.globl	_ZN7rocprim17ROCPRIM_400000_NS6detail44device_merge_sort_compile_time_verifier_archINS1_11comp_targetILNS1_3genE0ELNS1_11target_archE4294967295ELNS1_3gpuE0ELNS1_3repE0EEES8_NS1_28merge_sort_block_sort_configILj256ELj4ELNS0_20block_sort_algorithmE0EEENS0_14default_configENS1_37merge_sort_block_sort_config_selectorIalEENS1_38merge_sort_block_merge_config_selectorIalEEEEvv
	.p2align	8
	.type	_ZN7rocprim17ROCPRIM_400000_NS6detail44device_merge_sort_compile_time_verifier_archINS1_11comp_targetILNS1_3genE0ELNS1_11target_archE4294967295ELNS1_3gpuE0ELNS1_3repE0EEES8_NS1_28merge_sort_block_sort_configILj256ELj4ELNS0_20block_sort_algorithmE0EEENS0_14default_configENS1_37merge_sort_block_sort_config_selectorIalEENS1_38merge_sort_block_merge_config_selectorIalEEEEvv,@function
_ZN7rocprim17ROCPRIM_400000_NS6detail44device_merge_sort_compile_time_verifier_archINS1_11comp_targetILNS1_3genE0ELNS1_11target_archE4294967295ELNS1_3gpuE0ELNS1_3repE0EEES8_NS1_28merge_sort_block_sort_configILj256ELj4ELNS0_20block_sort_algorithmE0EEENS0_14default_configENS1_37merge_sort_block_sort_config_selectorIalEENS1_38merge_sort_block_merge_config_selectorIalEEEEvv: ; @_ZN7rocprim17ROCPRIM_400000_NS6detail44device_merge_sort_compile_time_verifier_archINS1_11comp_targetILNS1_3genE0ELNS1_11target_archE4294967295ELNS1_3gpuE0ELNS1_3repE0EEES8_NS1_28merge_sort_block_sort_configILj256ELj4ELNS0_20block_sort_algorithmE0EEENS0_14default_configENS1_37merge_sort_block_sort_config_selectorIalEENS1_38merge_sort_block_merge_config_selectorIalEEEEvv
; %bb.0:
	s_endpgm
	.section	.rodata,"a",@progbits
	.p2align	6, 0x0
	.amdhsa_kernel _ZN7rocprim17ROCPRIM_400000_NS6detail44device_merge_sort_compile_time_verifier_archINS1_11comp_targetILNS1_3genE0ELNS1_11target_archE4294967295ELNS1_3gpuE0ELNS1_3repE0EEES8_NS1_28merge_sort_block_sort_configILj256ELj4ELNS0_20block_sort_algorithmE0EEENS0_14default_configENS1_37merge_sort_block_sort_config_selectorIalEENS1_38merge_sort_block_merge_config_selectorIalEEEEvv
		.amdhsa_group_segment_fixed_size 0
		.amdhsa_private_segment_fixed_size 0
		.amdhsa_kernarg_size 0
		.amdhsa_user_sgpr_count 4
		.amdhsa_user_sgpr_private_segment_buffer 1
		.amdhsa_user_sgpr_dispatch_ptr 0
		.amdhsa_user_sgpr_queue_ptr 0
		.amdhsa_user_sgpr_kernarg_segment_ptr 0
		.amdhsa_user_sgpr_dispatch_id 0
		.amdhsa_user_sgpr_flat_scratch_init 0
		.amdhsa_user_sgpr_kernarg_preload_length 0
		.amdhsa_user_sgpr_kernarg_preload_offset 0
		.amdhsa_user_sgpr_private_segment_size 0
		.amdhsa_uses_dynamic_stack 0
		.amdhsa_system_sgpr_private_segment_wavefront_offset 0
		.amdhsa_system_sgpr_workgroup_id_x 1
		.amdhsa_system_sgpr_workgroup_id_y 0
		.amdhsa_system_sgpr_workgroup_id_z 0
		.amdhsa_system_sgpr_workgroup_info 0
		.amdhsa_system_vgpr_workitem_id 0
		.amdhsa_next_free_vgpr 1
		.amdhsa_next_free_sgpr 0
		.amdhsa_accum_offset 4
		.amdhsa_reserve_vcc 0
		.amdhsa_reserve_flat_scratch 0
		.amdhsa_float_round_mode_32 0
		.amdhsa_float_round_mode_16_64 0
		.amdhsa_float_denorm_mode_32 3
		.amdhsa_float_denorm_mode_16_64 3
		.amdhsa_dx10_clamp 1
		.amdhsa_ieee_mode 1
		.amdhsa_fp16_overflow 0
		.amdhsa_tg_split 0
		.amdhsa_exception_fp_ieee_invalid_op 0
		.amdhsa_exception_fp_denorm_src 0
		.amdhsa_exception_fp_ieee_div_zero 0
		.amdhsa_exception_fp_ieee_overflow 0
		.amdhsa_exception_fp_ieee_underflow 0
		.amdhsa_exception_fp_ieee_inexact 0
		.amdhsa_exception_int_div_zero 0
	.end_amdhsa_kernel
	.section	.text._ZN7rocprim17ROCPRIM_400000_NS6detail44device_merge_sort_compile_time_verifier_archINS1_11comp_targetILNS1_3genE0ELNS1_11target_archE4294967295ELNS1_3gpuE0ELNS1_3repE0EEES8_NS1_28merge_sort_block_sort_configILj256ELj4ELNS0_20block_sort_algorithmE0EEENS0_14default_configENS1_37merge_sort_block_sort_config_selectorIalEENS1_38merge_sort_block_merge_config_selectorIalEEEEvv,"axG",@progbits,_ZN7rocprim17ROCPRIM_400000_NS6detail44device_merge_sort_compile_time_verifier_archINS1_11comp_targetILNS1_3genE0ELNS1_11target_archE4294967295ELNS1_3gpuE0ELNS1_3repE0EEES8_NS1_28merge_sort_block_sort_configILj256ELj4ELNS0_20block_sort_algorithmE0EEENS0_14default_configENS1_37merge_sort_block_sort_config_selectorIalEENS1_38merge_sort_block_merge_config_selectorIalEEEEvv,comdat
.Lfunc_end469:
	.size	_ZN7rocprim17ROCPRIM_400000_NS6detail44device_merge_sort_compile_time_verifier_archINS1_11comp_targetILNS1_3genE0ELNS1_11target_archE4294967295ELNS1_3gpuE0ELNS1_3repE0EEES8_NS1_28merge_sort_block_sort_configILj256ELj4ELNS0_20block_sort_algorithmE0EEENS0_14default_configENS1_37merge_sort_block_sort_config_selectorIalEENS1_38merge_sort_block_merge_config_selectorIalEEEEvv, .Lfunc_end469-_ZN7rocprim17ROCPRIM_400000_NS6detail44device_merge_sort_compile_time_verifier_archINS1_11comp_targetILNS1_3genE0ELNS1_11target_archE4294967295ELNS1_3gpuE0ELNS1_3repE0EEES8_NS1_28merge_sort_block_sort_configILj256ELj4ELNS0_20block_sort_algorithmE0EEENS0_14default_configENS1_37merge_sort_block_sort_config_selectorIalEENS1_38merge_sort_block_merge_config_selectorIalEEEEvv
                                        ; -- End function
	.section	.AMDGPU.csdata,"",@progbits
; Kernel info:
; codeLenInByte = 4
; NumSgprs: 4
; NumVgprs: 0
; NumAgprs: 0
; TotalNumVgprs: 0
; ScratchSize: 0
; MemoryBound: 0
; FloatMode: 240
; IeeeMode: 1
; LDSByteSize: 0 bytes/workgroup (compile time only)
; SGPRBlocks: 0
; VGPRBlocks: 0
; NumSGPRsForWavesPerEU: 4
; NumVGPRsForWavesPerEU: 1
; AccumOffset: 4
; Occupancy: 8
; WaveLimiterHint : 0
; COMPUTE_PGM_RSRC2:SCRATCH_EN: 0
; COMPUTE_PGM_RSRC2:USER_SGPR: 4
; COMPUTE_PGM_RSRC2:TRAP_HANDLER: 0
; COMPUTE_PGM_RSRC2:TGID_X_EN: 1
; COMPUTE_PGM_RSRC2:TGID_Y_EN: 0
; COMPUTE_PGM_RSRC2:TGID_Z_EN: 0
; COMPUTE_PGM_RSRC2:TIDIG_COMP_CNT: 0
; COMPUTE_PGM_RSRC3_GFX90A:ACCUM_OFFSET: 0
; COMPUTE_PGM_RSRC3_GFX90A:TG_SPLIT: 0
	.section	.text._ZN7rocprim17ROCPRIM_400000_NS6detail44device_merge_sort_compile_time_verifier_archINS1_11comp_targetILNS1_3genE5ELNS1_11target_archE942ELNS1_3gpuE9ELNS1_3repE0EEES8_NS1_28merge_sort_block_sort_configILj256ELj4ELNS0_20block_sort_algorithmE0EEENS0_14default_configENS1_37merge_sort_block_sort_config_selectorIalEENS1_38merge_sort_block_merge_config_selectorIalEEEEvv,"axG",@progbits,_ZN7rocprim17ROCPRIM_400000_NS6detail44device_merge_sort_compile_time_verifier_archINS1_11comp_targetILNS1_3genE5ELNS1_11target_archE942ELNS1_3gpuE9ELNS1_3repE0EEES8_NS1_28merge_sort_block_sort_configILj256ELj4ELNS0_20block_sort_algorithmE0EEENS0_14default_configENS1_37merge_sort_block_sort_config_selectorIalEENS1_38merge_sort_block_merge_config_selectorIalEEEEvv,comdat
	.protected	_ZN7rocprim17ROCPRIM_400000_NS6detail44device_merge_sort_compile_time_verifier_archINS1_11comp_targetILNS1_3genE5ELNS1_11target_archE942ELNS1_3gpuE9ELNS1_3repE0EEES8_NS1_28merge_sort_block_sort_configILj256ELj4ELNS0_20block_sort_algorithmE0EEENS0_14default_configENS1_37merge_sort_block_sort_config_selectorIalEENS1_38merge_sort_block_merge_config_selectorIalEEEEvv ; -- Begin function _ZN7rocprim17ROCPRIM_400000_NS6detail44device_merge_sort_compile_time_verifier_archINS1_11comp_targetILNS1_3genE5ELNS1_11target_archE942ELNS1_3gpuE9ELNS1_3repE0EEES8_NS1_28merge_sort_block_sort_configILj256ELj4ELNS0_20block_sort_algorithmE0EEENS0_14default_configENS1_37merge_sort_block_sort_config_selectorIalEENS1_38merge_sort_block_merge_config_selectorIalEEEEvv
	.globl	_ZN7rocprim17ROCPRIM_400000_NS6detail44device_merge_sort_compile_time_verifier_archINS1_11comp_targetILNS1_3genE5ELNS1_11target_archE942ELNS1_3gpuE9ELNS1_3repE0EEES8_NS1_28merge_sort_block_sort_configILj256ELj4ELNS0_20block_sort_algorithmE0EEENS0_14default_configENS1_37merge_sort_block_sort_config_selectorIalEENS1_38merge_sort_block_merge_config_selectorIalEEEEvv
	.p2align	8
	.type	_ZN7rocprim17ROCPRIM_400000_NS6detail44device_merge_sort_compile_time_verifier_archINS1_11comp_targetILNS1_3genE5ELNS1_11target_archE942ELNS1_3gpuE9ELNS1_3repE0EEES8_NS1_28merge_sort_block_sort_configILj256ELj4ELNS0_20block_sort_algorithmE0EEENS0_14default_configENS1_37merge_sort_block_sort_config_selectorIalEENS1_38merge_sort_block_merge_config_selectorIalEEEEvv,@function
_ZN7rocprim17ROCPRIM_400000_NS6detail44device_merge_sort_compile_time_verifier_archINS1_11comp_targetILNS1_3genE5ELNS1_11target_archE942ELNS1_3gpuE9ELNS1_3repE0EEES8_NS1_28merge_sort_block_sort_configILj256ELj4ELNS0_20block_sort_algorithmE0EEENS0_14default_configENS1_37merge_sort_block_sort_config_selectorIalEENS1_38merge_sort_block_merge_config_selectorIalEEEEvv: ; @_ZN7rocprim17ROCPRIM_400000_NS6detail44device_merge_sort_compile_time_verifier_archINS1_11comp_targetILNS1_3genE5ELNS1_11target_archE942ELNS1_3gpuE9ELNS1_3repE0EEES8_NS1_28merge_sort_block_sort_configILj256ELj4ELNS0_20block_sort_algorithmE0EEENS0_14default_configENS1_37merge_sort_block_sort_config_selectorIalEENS1_38merge_sort_block_merge_config_selectorIalEEEEvv
; %bb.0:
	s_endpgm
	.section	.rodata,"a",@progbits
	.p2align	6, 0x0
	.amdhsa_kernel _ZN7rocprim17ROCPRIM_400000_NS6detail44device_merge_sort_compile_time_verifier_archINS1_11comp_targetILNS1_3genE5ELNS1_11target_archE942ELNS1_3gpuE9ELNS1_3repE0EEES8_NS1_28merge_sort_block_sort_configILj256ELj4ELNS0_20block_sort_algorithmE0EEENS0_14default_configENS1_37merge_sort_block_sort_config_selectorIalEENS1_38merge_sort_block_merge_config_selectorIalEEEEvv
		.amdhsa_group_segment_fixed_size 0
		.amdhsa_private_segment_fixed_size 0
		.amdhsa_kernarg_size 0
		.amdhsa_user_sgpr_count 4
		.amdhsa_user_sgpr_private_segment_buffer 1
		.amdhsa_user_sgpr_dispatch_ptr 0
		.amdhsa_user_sgpr_queue_ptr 0
		.amdhsa_user_sgpr_kernarg_segment_ptr 0
		.amdhsa_user_sgpr_dispatch_id 0
		.amdhsa_user_sgpr_flat_scratch_init 0
		.amdhsa_user_sgpr_kernarg_preload_length 0
		.amdhsa_user_sgpr_kernarg_preload_offset 0
		.amdhsa_user_sgpr_private_segment_size 0
		.amdhsa_uses_dynamic_stack 0
		.amdhsa_system_sgpr_private_segment_wavefront_offset 0
		.amdhsa_system_sgpr_workgroup_id_x 1
		.amdhsa_system_sgpr_workgroup_id_y 0
		.amdhsa_system_sgpr_workgroup_id_z 0
		.amdhsa_system_sgpr_workgroup_info 0
		.amdhsa_system_vgpr_workitem_id 0
		.amdhsa_next_free_vgpr 1
		.amdhsa_next_free_sgpr 0
		.amdhsa_accum_offset 4
		.amdhsa_reserve_vcc 0
		.amdhsa_reserve_flat_scratch 0
		.amdhsa_float_round_mode_32 0
		.amdhsa_float_round_mode_16_64 0
		.amdhsa_float_denorm_mode_32 3
		.amdhsa_float_denorm_mode_16_64 3
		.amdhsa_dx10_clamp 1
		.amdhsa_ieee_mode 1
		.amdhsa_fp16_overflow 0
		.amdhsa_tg_split 0
		.amdhsa_exception_fp_ieee_invalid_op 0
		.amdhsa_exception_fp_denorm_src 0
		.amdhsa_exception_fp_ieee_div_zero 0
		.amdhsa_exception_fp_ieee_overflow 0
		.amdhsa_exception_fp_ieee_underflow 0
		.amdhsa_exception_fp_ieee_inexact 0
		.amdhsa_exception_int_div_zero 0
	.end_amdhsa_kernel
	.section	.text._ZN7rocprim17ROCPRIM_400000_NS6detail44device_merge_sort_compile_time_verifier_archINS1_11comp_targetILNS1_3genE5ELNS1_11target_archE942ELNS1_3gpuE9ELNS1_3repE0EEES8_NS1_28merge_sort_block_sort_configILj256ELj4ELNS0_20block_sort_algorithmE0EEENS0_14default_configENS1_37merge_sort_block_sort_config_selectorIalEENS1_38merge_sort_block_merge_config_selectorIalEEEEvv,"axG",@progbits,_ZN7rocprim17ROCPRIM_400000_NS6detail44device_merge_sort_compile_time_verifier_archINS1_11comp_targetILNS1_3genE5ELNS1_11target_archE942ELNS1_3gpuE9ELNS1_3repE0EEES8_NS1_28merge_sort_block_sort_configILj256ELj4ELNS0_20block_sort_algorithmE0EEENS0_14default_configENS1_37merge_sort_block_sort_config_selectorIalEENS1_38merge_sort_block_merge_config_selectorIalEEEEvv,comdat
.Lfunc_end470:
	.size	_ZN7rocprim17ROCPRIM_400000_NS6detail44device_merge_sort_compile_time_verifier_archINS1_11comp_targetILNS1_3genE5ELNS1_11target_archE942ELNS1_3gpuE9ELNS1_3repE0EEES8_NS1_28merge_sort_block_sort_configILj256ELj4ELNS0_20block_sort_algorithmE0EEENS0_14default_configENS1_37merge_sort_block_sort_config_selectorIalEENS1_38merge_sort_block_merge_config_selectorIalEEEEvv, .Lfunc_end470-_ZN7rocprim17ROCPRIM_400000_NS6detail44device_merge_sort_compile_time_verifier_archINS1_11comp_targetILNS1_3genE5ELNS1_11target_archE942ELNS1_3gpuE9ELNS1_3repE0EEES8_NS1_28merge_sort_block_sort_configILj256ELj4ELNS0_20block_sort_algorithmE0EEENS0_14default_configENS1_37merge_sort_block_sort_config_selectorIalEENS1_38merge_sort_block_merge_config_selectorIalEEEEvv
                                        ; -- End function
	.section	.AMDGPU.csdata,"",@progbits
; Kernel info:
; codeLenInByte = 4
; NumSgprs: 4
; NumVgprs: 0
; NumAgprs: 0
; TotalNumVgprs: 0
; ScratchSize: 0
; MemoryBound: 0
; FloatMode: 240
; IeeeMode: 1
; LDSByteSize: 0 bytes/workgroup (compile time only)
; SGPRBlocks: 0
; VGPRBlocks: 0
; NumSGPRsForWavesPerEU: 4
; NumVGPRsForWavesPerEU: 1
; AccumOffset: 4
; Occupancy: 8
; WaveLimiterHint : 0
; COMPUTE_PGM_RSRC2:SCRATCH_EN: 0
; COMPUTE_PGM_RSRC2:USER_SGPR: 4
; COMPUTE_PGM_RSRC2:TRAP_HANDLER: 0
; COMPUTE_PGM_RSRC2:TGID_X_EN: 1
; COMPUTE_PGM_RSRC2:TGID_Y_EN: 0
; COMPUTE_PGM_RSRC2:TGID_Z_EN: 0
; COMPUTE_PGM_RSRC2:TIDIG_COMP_CNT: 0
; COMPUTE_PGM_RSRC3_GFX90A:ACCUM_OFFSET: 0
; COMPUTE_PGM_RSRC3_GFX90A:TG_SPLIT: 0
	.section	.text._ZN7rocprim17ROCPRIM_400000_NS6detail44device_merge_sort_compile_time_verifier_archINS1_11comp_targetILNS1_3genE4ELNS1_11target_archE910ELNS1_3gpuE8ELNS1_3repE0EEES8_NS1_28merge_sort_block_sort_configILj256ELj4ELNS0_20block_sort_algorithmE0EEENS0_14default_configENS1_37merge_sort_block_sort_config_selectorIalEENS1_38merge_sort_block_merge_config_selectorIalEEEEvv,"axG",@progbits,_ZN7rocprim17ROCPRIM_400000_NS6detail44device_merge_sort_compile_time_verifier_archINS1_11comp_targetILNS1_3genE4ELNS1_11target_archE910ELNS1_3gpuE8ELNS1_3repE0EEES8_NS1_28merge_sort_block_sort_configILj256ELj4ELNS0_20block_sort_algorithmE0EEENS0_14default_configENS1_37merge_sort_block_sort_config_selectorIalEENS1_38merge_sort_block_merge_config_selectorIalEEEEvv,comdat
	.protected	_ZN7rocprim17ROCPRIM_400000_NS6detail44device_merge_sort_compile_time_verifier_archINS1_11comp_targetILNS1_3genE4ELNS1_11target_archE910ELNS1_3gpuE8ELNS1_3repE0EEES8_NS1_28merge_sort_block_sort_configILj256ELj4ELNS0_20block_sort_algorithmE0EEENS0_14default_configENS1_37merge_sort_block_sort_config_selectorIalEENS1_38merge_sort_block_merge_config_selectorIalEEEEvv ; -- Begin function _ZN7rocprim17ROCPRIM_400000_NS6detail44device_merge_sort_compile_time_verifier_archINS1_11comp_targetILNS1_3genE4ELNS1_11target_archE910ELNS1_3gpuE8ELNS1_3repE0EEES8_NS1_28merge_sort_block_sort_configILj256ELj4ELNS0_20block_sort_algorithmE0EEENS0_14default_configENS1_37merge_sort_block_sort_config_selectorIalEENS1_38merge_sort_block_merge_config_selectorIalEEEEvv
	.globl	_ZN7rocprim17ROCPRIM_400000_NS6detail44device_merge_sort_compile_time_verifier_archINS1_11comp_targetILNS1_3genE4ELNS1_11target_archE910ELNS1_3gpuE8ELNS1_3repE0EEES8_NS1_28merge_sort_block_sort_configILj256ELj4ELNS0_20block_sort_algorithmE0EEENS0_14default_configENS1_37merge_sort_block_sort_config_selectorIalEENS1_38merge_sort_block_merge_config_selectorIalEEEEvv
	.p2align	8
	.type	_ZN7rocprim17ROCPRIM_400000_NS6detail44device_merge_sort_compile_time_verifier_archINS1_11comp_targetILNS1_3genE4ELNS1_11target_archE910ELNS1_3gpuE8ELNS1_3repE0EEES8_NS1_28merge_sort_block_sort_configILj256ELj4ELNS0_20block_sort_algorithmE0EEENS0_14default_configENS1_37merge_sort_block_sort_config_selectorIalEENS1_38merge_sort_block_merge_config_selectorIalEEEEvv,@function
_ZN7rocprim17ROCPRIM_400000_NS6detail44device_merge_sort_compile_time_verifier_archINS1_11comp_targetILNS1_3genE4ELNS1_11target_archE910ELNS1_3gpuE8ELNS1_3repE0EEES8_NS1_28merge_sort_block_sort_configILj256ELj4ELNS0_20block_sort_algorithmE0EEENS0_14default_configENS1_37merge_sort_block_sort_config_selectorIalEENS1_38merge_sort_block_merge_config_selectorIalEEEEvv: ; @_ZN7rocprim17ROCPRIM_400000_NS6detail44device_merge_sort_compile_time_verifier_archINS1_11comp_targetILNS1_3genE4ELNS1_11target_archE910ELNS1_3gpuE8ELNS1_3repE0EEES8_NS1_28merge_sort_block_sort_configILj256ELj4ELNS0_20block_sort_algorithmE0EEENS0_14default_configENS1_37merge_sort_block_sort_config_selectorIalEENS1_38merge_sort_block_merge_config_selectorIalEEEEvv
; %bb.0:
	s_endpgm
	.section	.rodata,"a",@progbits
	.p2align	6, 0x0
	.amdhsa_kernel _ZN7rocprim17ROCPRIM_400000_NS6detail44device_merge_sort_compile_time_verifier_archINS1_11comp_targetILNS1_3genE4ELNS1_11target_archE910ELNS1_3gpuE8ELNS1_3repE0EEES8_NS1_28merge_sort_block_sort_configILj256ELj4ELNS0_20block_sort_algorithmE0EEENS0_14default_configENS1_37merge_sort_block_sort_config_selectorIalEENS1_38merge_sort_block_merge_config_selectorIalEEEEvv
		.amdhsa_group_segment_fixed_size 0
		.amdhsa_private_segment_fixed_size 0
		.amdhsa_kernarg_size 0
		.amdhsa_user_sgpr_count 4
		.amdhsa_user_sgpr_private_segment_buffer 1
		.amdhsa_user_sgpr_dispatch_ptr 0
		.amdhsa_user_sgpr_queue_ptr 0
		.amdhsa_user_sgpr_kernarg_segment_ptr 0
		.amdhsa_user_sgpr_dispatch_id 0
		.amdhsa_user_sgpr_flat_scratch_init 0
		.amdhsa_user_sgpr_kernarg_preload_length 0
		.amdhsa_user_sgpr_kernarg_preload_offset 0
		.amdhsa_user_sgpr_private_segment_size 0
		.amdhsa_uses_dynamic_stack 0
		.amdhsa_system_sgpr_private_segment_wavefront_offset 0
		.amdhsa_system_sgpr_workgroup_id_x 1
		.amdhsa_system_sgpr_workgroup_id_y 0
		.amdhsa_system_sgpr_workgroup_id_z 0
		.amdhsa_system_sgpr_workgroup_info 0
		.amdhsa_system_vgpr_workitem_id 0
		.amdhsa_next_free_vgpr 1
		.amdhsa_next_free_sgpr 0
		.amdhsa_accum_offset 4
		.amdhsa_reserve_vcc 0
		.amdhsa_reserve_flat_scratch 0
		.amdhsa_float_round_mode_32 0
		.amdhsa_float_round_mode_16_64 0
		.amdhsa_float_denorm_mode_32 3
		.amdhsa_float_denorm_mode_16_64 3
		.amdhsa_dx10_clamp 1
		.amdhsa_ieee_mode 1
		.amdhsa_fp16_overflow 0
		.amdhsa_tg_split 0
		.amdhsa_exception_fp_ieee_invalid_op 0
		.amdhsa_exception_fp_denorm_src 0
		.amdhsa_exception_fp_ieee_div_zero 0
		.amdhsa_exception_fp_ieee_overflow 0
		.amdhsa_exception_fp_ieee_underflow 0
		.amdhsa_exception_fp_ieee_inexact 0
		.amdhsa_exception_int_div_zero 0
	.end_amdhsa_kernel
	.section	.text._ZN7rocprim17ROCPRIM_400000_NS6detail44device_merge_sort_compile_time_verifier_archINS1_11comp_targetILNS1_3genE4ELNS1_11target_archE910ELNS1_3gpuE8ELNS1_3repE0EEES8_NS1_28merge_sort_block_sort_configILj256ELj4ELNS0_20block_sort_algorithmE0EEENS0_14default_configENS1_37merge_sort_block_sort_config_selectorIalEENS1_38merge_sort_block_merge_config_selectorIalEEEEvv,"axG",@progbits,_ZN7rocprim17ROCPRIM_400000_NS6detail44device_merge_sort_compile_time_verifier_archINS1_11comp_targetILNS1_3genE4ELNS1_11target_archE910ELNS1_3gpuE8ELNS1_3repE0EEES8_NS1_28merge_sort_block_sort_configILj256ELj4ELNS0_20block_sort_algorithmE0EEENS0_14default_configENS1_37merge_sort_block_sort_config_selectorIalEENS1_38merge_sort_block_merge_config_selectorIalEEEEvv,comdat
.Lfunc_end471:
	.size	_ZN7rocprim17ROCPRIM_400000_NS6detail44device_merge_sort_compile_time_verifier_archINS1_11comp_targetILNS1_3genE4ELNS1_11target_archE910ELNS1_3gpuE8ELNS1_3repE0EEES8_NS1_28merge_sort_block_sort_configILj256ELj4ELNS0_20block_sort_algorithmE0EEENS0_14default_configENS1_37merge_sort_block_sort_config_selectorIalEENS1_38merge_sort_block_merge_config_selectorIalEEEEvv, .Lfunc_end471-_ZN7rocprim17ROCPRIM_400000_NS6detail44device_merge_sort_compile_time_verifier_archINS1_11comp_targetILNS1_3genE4ELNS1_11target_archE910ELNS1_3gpuE8ELNS1_3repE0EEES8_NS1_28merge_sort_block_sort_configILj256ELj4ELNS0_20block_sort_algorithmE0EEENS0_14default_configENS1_37merge_sort_block_sort_config_selectorIalEENS1_38merge_sort_block_merge_config_selectorIalEEEEvv
                                        ; -- End function
	.section	.AMDGPU.csdata,"",@progbits
; Kernel info:
; codeLenInByte = 4
; NumSgprs: 4
; NumVgprs: 0
; NumAgprs: 0
; TotalNumVgprs: 0
; ScratchSize: 0
; MemoryBound: 0
; FloatMode: 240
; IeeeMode: 1
; LDSByteSize: 0 bytes/workgroup (compile time only)
; SGPRBlocks: 0
; VGPRBlocks: 0
; NumSGPRsForWavesPerEU: 4
; NumVGPRsForWavesPerEU: 1
; AccumOffset: 4
; Occupancy: 8
; WaveLimiterHint : 0
; COMPUTE_PGM_RSRC2:SCRATCH_EN: 0
; COMPUTE_PGM_RSRC2:USER_SGPR: 4
; COMPUTE_PGM_RSRC2:TRAP_HANDLER: 0
; COMPUTE_PGM_RSRC2:TGID_X_EN: 1
; COMPUTE_PGM_RSRC2:TGID_Y_EN: 0
; COMPUTE_PGM_RSRC2:TGID_Z_EN: 0
; COMPUTE_PGM_RSRC2:TIDIG_COMP_CNT: 0
; COMPUTE_PGM_RSRC3_GFX90A:ACCUM_OFFSET: 0
; COMPUTE_PGM_RSRC3_GFX90A:TG_SPLIT: 0
	.section	.text._ZN7rocprim17ROCPRIM_400000_NS6detail44device_merge_sort_compile_time_verifier_archINS1_11comp_targetILNS1_3genE3ELNS1_11target_archE908ELNS1_3gpuE7ELNS1_3repE0EEES8_NS1_28merge_sort_block_sort_configILj256ELj4ELNS0_20block_sort_algorithmE0EEENS0_14default_configENS1_37merge_sort_block_sort_config_selectorIalEENS1_38merge_sort_block_merge_config_selectorIalEEEEvv,"axG",@progbits,_ZN7rocprim17ROCPRIM_400000_NS6detail44device_merge_sort_compile_time_verifier_archINS1_11comp_targetILNS1_3genE3ELNS1_11target_archE908ELNS1_3gpuE7ELNS1_3repE0EEES8_NS1_28merge_sort_block_sort_configILj256ELj4ELNS0_20block_sort_algorithmE0EEENS0_14default_configENS1_37merge_sort_block_sort_config_selectorIalEENS1_38merge_sort_block_merge_config_selectorIalEEEEvv,comdat
	.protected	_ZN7rocprim17ROCPRIM_400000_NS6detail44device_merge_sort_compile_time_verifier_archINS1_11comp_targetILNS1_3genE3ELNS1_11target_archE908ELNS1_3gpuE7ELNS1_3repE0EEES8_NS1_28merge_sort_block_sort_configILj256ELj4ELNS0_20block_sort_algorithmE0EEENS0_14default_configENS1_37merge_sort_block_sort_config_selectorIalEENS1_38merge_sort_block_merge_config_selectorIalEEEEvv ; -- Begin function _ZN7rocprim17ROCPRIM_400000_NS6detail44device_merge_sort_compile_time_verifier_archINS1_11comp_targetILNS1_3genE3ELNS1_11target_archE908ELNS1_3gpuE7ELNS1_3repE0EEES8_NS1_28merge_sort_block_sort_configILj256ELj4ELNS0_20block_sort_algorithmE0EEENS0_14default_configENS1_37merge_sort_block_sort_config_selectorIalEENS1_38merge_sort_block_merge_config_selectorIalEEEEvv
	.globl	_ZN7rocprim17ROCPRIM_400000_NS6detail44device_merge_sort_compile_time_verifier_archINS1_11comp_targetILNS1_3genE3ELNS1_11target_archE908ELNS1_3gpuE7ELNS1_3repE0EEES8_NS1_28merge_sort_block_sort_configILj256ELj4ELNS0_20block_sort_algorithmE0EEENS0_14default_configENS1_37merge_sort_block_sort_config_selectorIalEENS1_38merge_sort_block_merge_config_selectorIalEEEEvv
	.p2align	8
	.type	_ZN7rocprim17ROCPRIM_400000_NS6detail44device_merge_sort_compile_time_verifier_archINS1_11comp_targetILNS1_3genE3ELNS1_11target_archE908ELNS1_3gpuE7ELNS1_3repE0EEES8_NS1_28merge_sort_block_sort_configILj256ELj4ELNS0_20block_sort_algorithmE0EEENS0_14default_configENS1_37merge_sort_block_sort_config_selectorIalEENS1_38merge_sort_block_merge_config_selectorIalEEEEvv,@function
_ZN7rocprim17ROCPRIM_400000_NS6detail44device_merge_sort_compile_time_verifier_archINS1_11comp_targetILNS1_3genE3ELNS1_11target_archE908ELNS1_3gpuE7ELNS1_3repE0EEES8_NS1_28merge_sort_block_sort_configILj256ELj4ELNS0_20block_sort_algorithmE0EEENS0_14default_configENS1_37merge_sort_block_sort_config_selectorIalEENS1_38merge_sort_block_merge_config_selectorIalEEEEvv: ; @_ZN7rocprim17ROCPRIM_400000_NS6detail44device_merge_sort_compile_time_verifier_archINS1_11comp_targetILNS1_3genE3ELNS1_11target_archE908ELNS1_3gpuE7ELNS1_3repE0EEES8_NS1_28merge_sort_block_sort_configILj256ELj4ELNS0_20block_sort_algorithmE0EEENS0_14default_configENS1_37merge_sort_block_sort_config_selectorIalEENS1_38merge_sort_block_merge_config_selectorIalEEEEvv
; %bb.0:
	s_endpgm
	.section	.rodata,"a",@progbits
	.p2align	6, 0x0
	.amdhsa_kernel _ZN7rocprim17ROCPRIM_400000_NS6detail44device_merge_sort_compile_time_verifier_archINS1_11comp_targetILNS1_3genE3ELNS1_11target_archE908ELNS1_3gpuE7ELNS1_3repE0EEES8_NS1_28merge_sort_block_sort_configILj256ELj4ELNS0_20block_sort_algorithmE0EEENS0_14default_configENS1_37merge_sort_block_sort_config_selectorIalEENS1_38merge_sort_block_merge_config_selectorIalEEEEvv
		.amdhsa_group_segment_fixed_size 0
		.amdhsa_private_segment_fixed_size 0
		.amdhsa_kernarg_size 0
		.amdhsa_user_sgpr_count 4
		.amdhsa_user_sgpr_private_segment_buffer 1
		.amdhsa_user_sgpr_dispatch_ptr 0
		.amdhsa_user_sgpr_queue_ptr 0
		.amdhsa_user_sgpr_kernarg_segment_ptr 0
		.amdhsa_user_sgpr_dispatch_id 0
		.amdhsa_user_sgpr_flat_scratch_init 0
		.amdhsa_user_sgpr_kernarg_preload_length 0
		.amdhsa_user_sgpr_kernarg_preload_offset 0
		.amdhsa_user_sgpr_private_segment_size 0
		.amdhsa_uses_dynamic_stack 0
		.amdhsa_system_sgpr_private_segment_wavefront_offset 0
		.amdhsa_system_sgpr_workgroup_id_x 1
		.amdhsa_system_sgpr_workgroup_id_y 0
		.amdhsa_system_sgpr_workgroup_id_z 0
		.amdhsa_system_sgpr_workgroup_info 0
		.amdhsa_system_vgpr_workitem_id 0
		.amdhsa_next_free_vgpr 1
		.amdhsa_next_free_sgpr 0
		.amdhsa_accum_offset 4
		.amdhsa_reserve_vcc 0
		.amdhsa_reserve_flat_scratch 0
		.amdhsa_float_round_mode_32 0
		.amdhsa_float_round_mode_16_64 0
		.amdhsa_float_denorm_mode_32 3
		.amdhsa_float_denorm_mode_16_64 3
		.amdhsa_dx10_clamp 1
		.amdhsa_ieee_mode 1
		.amdhsa_fp16_overflow 0
		.amdhsa_tg_split 0
		.amdhsa_exception_fp_ieee_invalid_op 0
		.amdhsa_exception_fp_denorm_src 0
		.amdhsa_exception_fp_ieee_div_zero 0
		.amdhsa_exception_fp_ieee_overflow 0
		.amdhsa_exception_fp_ieee_underflow 0
		.amdhsa_exception_fp_ieee_inexact 0
		.amdhsa_exception_int_div_zero 0
	.end_amdhsa_kernel
	.section	.text._ZN7rocprim17ROCPRIM_400000_NS6detail44device_merge_sort_compile_time_verifier_archINS1_11comp_targetILNS1_3genE3ELNS1_11target_archE908ELNS1_3gpuE7ELNS1_3repE0EEES8_NS1_28merge_sort_block_sort_configILj256ELj4ELNS0_20block_sort_algorithmE0EEENS0_14default_configENS1_37merge_sort_block_sort_config_selectorIalEENS1_38merge_sort_block_merge_config_selectorIalEEEEvv,"axG",@progbits,_ZN7rocprim17ROCPRIM_400000_NS6detail44device_merge_sort_compile_time_verifier_archINS1_11comp_targetILNS1_3genE3ELNS1_11target_archE908ELNS1_3gpuE7ELNS1_3repE0EEES8_NS1_28merge_sort_block_sort_configILj256ELj4ELNS0_20block_sort_algorithmE0EEENS0_14default_configENS1_37merge_sort_block_sort_config_selectorIalEENS1_38merge_sort_block_merge_config_selectorIalEEEEvv,comdat
.Lfunc_end472:
	.size	_ZN7rocprim17ROCPRIM_400000_NS6detail44device_merge_sort_compile_time_verifier_archINS1_11comp_targetILNS1_3genE3ELNS1_11target_archE908ELNS1_3gpuE7ELNS1_3repE0EEES8_NS1_28merge_sort_block_sort_configILj256ELj4ELNS0_20block_sort_algorithmE0EEENS0_14default_configENS1_37merge_sort_block_sort_config_selectorIalEENS1_38merge_sort_block_merge_config_selectorIalEEEEvv, .Lfunc_end472-_ZN7rocprim17ROCPRIM_400000_NS6detail44device_merge_sort_compile_time_verifier_archINS1_11comp_targetILNS1_3genE3ELNS1_11target_archE908ELNS1_3gpuE7ELNS1_3repE0EEES8_NS1_28merge_sort_block_sort_configILj256ELj4ELNS0_20block_sort_algorithmE0EEENS0_14default_configENS1_37merge_sort_block_sort_config_selectorIalEENS1_38merge_sort_block_merge_config_selectorIalEEEEvv
                                        ; -- End function
	.section	.AMDGPU.csdata,"",@progbits
; Kernel info:
; codeLenInByte = 4
; NumSgprs: 4
; NumVgprs: 0
; NumAgprs: 0
; TotalNumVgprs: 0
; ScratchSize: 0
; MemoryBound: 0
; FloatMode: 240
; IeeeMode: 1
; LDSByteSize: 0 bytes/workgroup (compile time only)
; SGPRBlocks: 0
; VGPRBlocks: 0
; NumSGPRsForWavesPerEU: 4
; NumVGPRsForWavesPerEU: 1
; AccumOffset: 4
; Occupancy: 8
; WaveLimiterHint : 0
; COMPUTE_PGM_RSRC2:SCRATCH_EN: 0
; COMPUTE_PGM_RSRC2:USER_SGPR: 4
; COMPUTE_PGM_RSRC2:TRAP_HANDLER: 0
; COMPUTE_PGM_RSRC2:TGID_X_EN: 1
; COMPUTE_PGM_RSRC2:TGID_Y_EN: 0
; COMPUTE_PGM_RSRC2:TGID_Z_EN: 0
; COMPUTE_PGM_RSRC2:TIDIG_COMP_CNT: 0
; COMPUTE_PGM_RSRC3_GFX90A:ACCUM_OFFSET: 0
; COMPUTE_PGM_RSRC3_GFX90A:TG_SPLIT: 0
	.section	.text._ZN7rocprim17ROCPRIM_400000_NS6detail44device_merge_sort_compile_time_verifier_archINS1_11comp_targetILNS1_3genE2ELNS1_11target_archE906ELNS1_3gpuE6ELNS1_3repE0EEES8_NS1_28merge_sort_block_sort_configILj256ELj4ELNS0_20block_sort_algorithmE0EEENS0_14default_configENS1_37merge_sort_block_sort_config_selectorIalEENS1_38merge_sort_block_merge_config_selectorIalEEEEvv,"axG",@progbits,_ZN7rocprim17ROCPRIM_400000_NS6detail44device_merge_sort_compile_time_verifier_archINS1_11comp_targetILNS1_3genE2ELNS1_11target_archE906ELNS1_3gpuE6ELNS1_3repE0EEES8_NS1_28merge_sort_block_sort_configILj256ELj4ELNS0_20block_sort_algorithmE0EEENS0_14default_configENS1_37merge_sort_block_sort_config_selectorIalEENS1_38merge_sort_block_merge_config_selectorIalEEEEvv,comdat
	.protected	_ZN7rocprim17ROCPRIM_400000_NS6detail44device_merge_sort_compile_time_verifier_archINS1_11comp_targetILNS1_3genE2ELNS1_11target_archE906ELNS1_3gpuE6ELNS1_3repE0EEES8_NS1_28merge_sort_block_sort_configILj256ELj4ELNS0_20block_sort_algorithmE0EEENS0_14default_configENS1_37merge_sort_block_sort_config_selectorIalEENS1_38merge_sort_block_merge_config_selectorIalEEEEvv ; -- Begin function _ZN7rocprim17ROCPRIM_400000_NS6detail44device_merge_sort_compile_time_verifier_archINS1_11comp_targetILNS1_3genE2ELNS1_11target_archE906ELNS1_3gpuE6ELNS1_3repE0EEES8_NS1_28merge_sort_block_sort_configILj256ELj4ELNS0_20block_sort_algorithmE0EEENS0_14default_configENS1_37merge_sort_block_sort_config_selectorIalEENS1_38merge_sort_block_merge_config_selectorIalEEEEvv
	.globl	_ZN7rocprim17ROCPRIM_400000_NS6detail44device_merge_sort_compile_time_verifier_archINS1_11comp_targetILNS1_3genE2ELNS1_11target_archE906ELNS1_3gpuE6ELNS1_3repE0EEES8_NS1_28merge_sort_block_sort_configILj256ELj4ELNS0_20block_sort_algorithmE0EEENS0_14default_configENS1_37merge_sort_block_sort_config_selectorIalEENS1_38merge_sort_block_merge_config_selectorIalEEEEvv
	.p2align	8
	.type	_ZN7rocprim17ROCPRIM_400000_NS6detail44device_merge_sort_compile_time_verifier_archINS1_11comp_targetILNS1_3genE2ELNS1_11target_archE906ELNS1_3gpuE6ELNS1_3repE0EEES8_NS1_28merge_sort_block_sort_configILj256ELj4ELNS0_20block_sort_algorithmE0EEENS0_14default_configENS1_37merge_sort_block_sort_config_selectorIalEENS1_38merge_sort_block_merge_config_selectorIalEEEEvv,@function
_ZN7rocprim17ROCPRIM_400000_NS6detail44device_merge_sort_compile_time_verifier_archINS1_11comp_targetILNS1_3genE2ELNS1_11target_archE906ELNS1_3gpuE6ELNS1_3repE0EEES8_NS1_28merge_sort_block_sort_configILj256ELj4ELNS0_20block_sort_algorithmE0EEENS0_14default_configENS1_37merge_sort_block_sort_config_selectorIalEENS1_38merge_sort_block_merge_config_selectorIalEEEEvv: ; @_ZN7rocprim17ROCPRIM_400000_NS6detail44device_merge_sort_compile_time_verifier_archINS1_11comp_targetILNS1_3genE2ELNS1_11target_archE906ELNS1_3gpuE6ELNS1_3repE0EEES8_NS1_28merge_sort_block_sort_configILj256ELj4ELNS0_20block_sort_algorithmE0EEENS0_14default_configENS1_37merge_sort_block_sort_config_selectorIalEENS1_38merge_sort_block_merge_config_selectorIalEEEEvv
; %bb.0:
	s_endpgm
	.section	.rodata,"a",@progbits
	.p2align	6, 0x0
	.amdhsa_kernel _ZN7rocprim17ROCPRIM_400000_NS6detail44device_merge_sort_compile_time_verifier_archINS1_11comp_targetILNS1_3genE2ELNS1_11target_archE906ELNS1_3gpuE6ELNS1_3repE0EEES8_NS1_28merge_sort_block_sort_configILj256ELj4ELNS0_20block_sort_algorithmE0EEENS0_14default_configENS1_37merge_sort_block_sort_config_selectorIalEENS1_38merge_sort_block_merge_config_selectorIalEEEEvv
		.amdhsa_group_segment_fixed_size 0
		.amdhsa_private_segment_fixed_size 0
		.amdhsa_kernarg_size 0
		.amdhsa_user_sgpr_count 4
		.amdhsa_user_sgpr_private_segment_buffer 1
		.amdhsa_user_sgpr_dispatch_ptr 0
		.amdhsa_user_sgpr_queue_ptr 0
		.amdhsa_user_sgpr_kernarg_segment_ptr 0
		.amdhsa_user_sgpr_dispatch_id 0
		.amdhsa_user_sgpr_flat_scratch_init 0
		.amdhsa_user_sgpr_kernarg_preload_length 0
		.amdhsa_user_sgpr_kernarg_preload_offset 0
		.amdhsa_user_sgpr_private_segment_size 0
		.amdhsa_uses_dynamic_stack 0
		.amdhsa_system_sgpr_private_segment_wavefront_offset 0
		.amdhsa_system_sgpr_workgroup_id_x 1
		.amdhsa_system_sgpr_workgroup_id_y 0
		.amdhsa_system_sgpr_workgroup_id_z 0
		.amdhsa_system_sgpr_workgroup_info 0
		.amdhsa_system_vgpr_workitem_id 0
		.amdhsa_next_free_vgpr 1
		.amdhsa_next_free_sgpr 0
		.amdhsa_accum_offset 4
		.amdhsa_reserve_vcc 0
		.amdhsa_reserve_flat_scratch 0
		.amdhsa_float_round_mode_32 0
		.amdhsa_float_round_mode_16_64 0
		.amdhsa_float_denorm_mode_32 3
		.amdhsa_float_denorm_mode_16_64 3
		.amdhsa_dx10_clamp 1
		.amdhsa_ieee_mode 1
		.amdhsa_fp16_overflow 0
		.amdhsa_tg_split 0
		.amdhsa_exception_fp_ieee_invalid_op 0
		.amdhsa_exception_fp_denorm_src 0
		.amdhsa_exception_fp_ieee_div_zero 0
		.amdhsa_exception_fp_ieee_overflow 0
		.amdhsa_exception_fp_ieee_underflow 0
		.amdhsa_exception_fp_ieee_inexact 0
		.amdhsa_exception_int_div_zero 0
	.end_amdhsa_kernel
	.section	.text._ZN7rocprim17ROCPRIM_400000_NS6detail44device_merge_sort_compile_time_verifier_archINS1_11comp_targetILNS1_3genE2ELNS1_11target_archE906ELNS1_3gpuE6ELNS1_3repE0EEES8_NS1_28merge_sort_block_sort_configILj256ELj4ELNS0_20block_sort_algorithmE0EEENS0_14default_configENS1_37merge_sort_block_sort_config_selectorIalEENS1_38merge_sort_block_merge_config_selectorIalEEEEvv,"axG",@progbits,_ZN7rocprim17ROCPRIM_400000_NS6detail44device_merge_sort_compile_time_verifier_archINS1_11comp_targetILNS1_3genE2ELNS1_11target_archE906ELNS1_3gpuE6ELNS1_3repE0EEES8_NS1_28merge_sort_block_sort_configILj256ELj4ELNS0_20block_sort_algorithmE0EEENS0_14default_configENS1_37merge_sort_block_sort_config_selectorIalEENS1_38merge_sort_block_merge_config_selectorIalEEEEvv,comdat
.Lfunc_end473:
	.size	_ZN7rocprim17ROCPRIM_400000_NS6detail44device_merge_sort_compile_time_verifier_archINS1_11comp_targetILNS1_3genE2ELNS1_11target_archE906ELNS1_3gpuE6ELNS1_3repE0EEES8_NS1_28merge_sort_block_sort_configILj256ELj4ELNS0_20block_sort_algorithmE0EEENS0_14default_configENS1_37merge_sort_block_sort_config_selectorIalEENS1_38merge_sort_block_merge_config_selectorIalEEEEvv, .Lfunc_end473-_ZN7rocprim17ROCPRIM_400000_NS6detail44device_merge_sort_compile_time_verifier_archINS1_11comp_targetILNS1_3genE2ELNS1_11target_archE906ELNS1_3gpuE6ELNS1_3repE0EEES8_NS1_28merge_sort_block_sort_configILj256ELj4ELNS0_20block_sort_algorithmE0EEENS0_14default_configENS1_37merge_sort_block_sort_config_selectorIalEENS1_38merge_sort_block_merge_config_selectorIalEEEEvv
                                        ; -- End function
	.section	.AMDGPU.csdata,"",@progbits
; Kernel info:
; codeLenInByte = 4
; NumSgprs: 4
; NumVgprs: 0
; NumAgprs: 0
; TotalNumVgprs: 0
; ScratchSize: 0
; MemoryBound: 0
; FloatMode: 240
; IeeeMode: 1
; LDSByteSize: 0 bytes/workgroup (compile time only)
; SGPRBlocks: 0
; VGPRBlocks: 0
; NumSGPRsForWavesPerEU: 4
; NumVGPRsForWavesPerEU: 1
; AccumOffset: 4
; Occupancy: 8
; WaveLimiterHint : 0
; COMPUTE_PGM_RSRC2:SCRATCH_EN: 0
; COMPUTE_PGM_RSRC2:USER_SGPR: 4
; COMPUTE_PGM_RSRC2:TRAP_HANDLER: 0
; COMPUTE_PGM_RSRC2:TGID_X_EN: 1
; COMPUTE_PGM_RSRC2:TGID_Y_EN: 0
; COMPUTE_PGM_RSRC2:TGID_Z_EN: 0
; COMPUTE_PGM_RSRC2:TIDIG_COMP_CNT: 0
; COMPUTE_PGM_RSRC3_GFX90A:ACCUM_OFFSET: 0
; COMPUTE_PGM_RSRC3_GFX90A:TG_SPLIT: 0
	.section	.text._ZN7rocprim17ROCPRIM_400000_NS6detail44device_merge_sort_compile_time_verifier_archINS1_11comp_targetILNS1_3genE10ELNS1_11target_archE1201ELNS1_3gpuE5ELNS1_3repE0EEES8_NS1_28merge_sort_block_sort_configILj256ELj4ELNS0_20block_sort_algorithmE0EEENS0_14default_configENS1_37merge_sort_block_sort_config_selectorIalEENS1_38merge_sort_block_merge_config_selectorIalEEEEvv,"axG",@progbits,_ZN7rocprim17ROCPRIM_400000_NS6detail44device_merge_sort_compile_time_verifier_archINS1_11comp_targetILNS1_3genE10ELNS1_11target_archE1201ELNS1_3gpuE5ELNS1_3repE0EEES8_NS1_28merge_sort_block_sort_configILj256ELj4ELNS0_20block_sort_algorithmE0EEENS0_14default_configENS1_37merge_sort_block_sort_config_selectorIalEENS1_38merge_sort_block_merge_config_selectorIalEEEEvv,comdat
	.protected	_ZN7rocprim17ROCPRIM_400000_NS6detail44device_merge_sort_compile_time_verifier_archINS1_11comp_targetILNS1_3genE10ELNS1_11target_archE1201ELNS1_3gpuE5ELNS1_3repE0EEES8_NS1_28merge_sort_block_sort_configILj256ELj4ELNS0_20block_sort_algorithmE0EEENS0_14default_configENS1_37merge_sort_block_sort_config_selectorIalEENS1_38merge_sort_block_merge_config_selectorIalEEEEvv ; -- Begin function _ZN7rocprim17ROCPRIM_400000_NS6detail44device_merge_sort_compile_time_verifier_archINS1_11comp_targetILNS1_3genE10ELNS1_11target_archE1201ELNS1_3gpuE5ELNS1_3repE0EEES8_NS1_28merge_sort_block_sort_configILj256ELj4ELNS0_20block_sort_algorithmE0EEENS0_14default_configENS1_37merge_sort_block_sort_config_selectorIalEENS1_38merge_sort_block_merge_config_selectorIalEEEEvv
	.globl	_ZN7rocprim17ROCPRIM_400000_NS6detail44device_merge_sort_compile_time_verifier_archINS1_11comp_targetILNS1_3genE10ELNS1_11target_archE1201ELNS1_3gpuE5ELNS1_3repE0EEES8_NS1_28merge_sort_block_sort_configILj256ELj4ELNS0_20block_sort_algorithmE0EEENS0_14default_configENS1_37merge_sort_block_sort_config_selectorIalEENS1_38merge_sort_block_merge_config_selectorIalEEEEvv
	.p2align	8
	.type	_ZN7rocprim17ROCPRIM_400000_NS6detail44device_merge_sort_compile_time_verifier_archINS1_11comp_targetILNS1_3genE10ELNS1_11target_archE1201ELNS1_3gpuE5ELNS1_3repE0EEES8_NS1_28merge_sort_block_sort_configILj256ELj4ELNS0_20block_sort_algorithmE0EEENS0_14default_configENS1_37merge_sort_block_sort_config_selectorIalEENS1_38merge_sort_block_merge_config_selectorIalEEEEvv,@function
_ZN7rocprim17ROCPRIM_400000_NS6detail44device_merge_sort_compile_time_verifier_archINS1_11comp_targetILNS1_3genE10ELNS1_11target_archE1201ELNS1_3gpuE5ELNS1_3repE0EEES8_NS1_28merge_sort_block_sort_configILj256ELj4ELNS0_20block_sort_algorithmE0EEENS0_14default_configENS1_37merge_sort_block_sort_config_selectorIalEENS1_38merge_sort_block_merge_config_selectorIalEEEEvv: ; @_ZN7rocprim17ROCPRIM_400000_NS6detail44device_merge_sort_compile_time_verifier_archINS1_11comp_targetILNS1_3genE10ELNS1_11target_archE1201ELNS1_3gpuE5ELNS1_3repE0EEES8_NS1_28merge_sort_block_sort_configILj256ELj4ELNS0_20block_sort_algorithmE0EEENS0_14default_configENS1_37merge_sort_block_sort_config_selectorIalEENS1_38merge_sort_block_merge_config_selectorIalEEEEvv
; %bb.0:
	s_endpgm
	.section	.rodata,"a",@progbits
	.p2align	6, 0x0
	.amdhsa_kernel _ZN7rocprim17ROCPRIM_400000_NS6detail44device_merge_sort_compile_time_verifier_archINS1_11comp_targetILNS1_3genE10ELNS1_11target_archE1201ELNS1_3gpuE5ELNS1_3repE0EEES8_NS1_28merge_sort_block_sort_configILj256ELj4ELNS0_20block_sort_algorithmE0EEENS0_14default_configENS1_37merge_sort_block_sort_config_selectorIalEENS1_38merge_sort_block_merge_config_selectorIalEEEEvv
		.amdhsa_group_segment_fixed_size 0
		.amdhsa_private_segment_fixed_size 0
		.amdhsa_kernarg_size 0
		.amdhsa_user_sgpr_count 4
		.amdhsa_user_sgpr_private_segment_buffer 1
		.amdhsa_user_sgpr_dispatch_ptr 0
		.amdhsa_user_sgpr_queue_ptr 0
		.amdhsa_user_sgpr_kernarg_segment_ptr 0
		.amdhsa_user_sgpr_dispatch_id 0
		.amdhsa_user_sgpr_flat_scratch_init 0
		.amdhsa_user_sgpr_kernarg_preload_length 0
		.amdhsa_user_sgpr_kernarg_preload_offset 0
		.amdhsa_user_sgpr_private_segment_size 0
		.amdhsa_uses_dynamic_stack 0
		.amdhsa_system_sgpr_private_segment_wavefront_offset 0
		.amdhsa_system_sgpr_workgroup_id_x 1
		.amdhsa_system_sgpr_workgroup_id_y 0
		.amdhsa_system_sgpr_workgroup_id_z 0
		.amdhsa_system_sgpr_workgroup_info 0
		.amdhsa_system_vgpr_workitem_id 0
		.amdhsa_next_free_vgpr 1
		.amdhsa_next_free_sgpr 0
		.amdhsa_accum_offset 4
		.amdhsa_reserve_vcc 0
		.amdhsa_reserve_flat_scratch 0
		.amdhsa_float_round_mode_32 0
		.amdhsa_float_round_mode_16_64 0
		.amdhsa_float_denorm_mode_32 3
		.amdhsa_float_denorm_mode_16_64 3
		.amdhsa_dx10_clamp 1
		.amdhsa_ieee_mode 1
		.amdhsa_fp16_overflow 0
		.amdhsa_tg_split 0
		.amdhsa_exception_fp_ieee_invalid_op 0
		.amdhsa_exception_fp_denorm_src 0
		.amdhsa_exception_fp_ieee_div_zero 0
		.amdhsa_exception_fp_ieee_overflow 0
		.amdhsa_exception_fp_ieee_underflow 0
		.amdhsa_exception_fp_ieee_inexact 0
		.amdhsa_exception_int_div_zero 0
	.end_amdhsa_kernel
	.section	.text._ZN7rocprim17ROCPRIM_400000_NS6detail44device_merge_sort_compile_time_verifier_archINS1_11comp_targetILNS1_3genE10ELNS1_11target_archE1201ELNS1_3gpuE5ELNS1_3repE0EEES8_NS1_28merge_sort_block_sort_configILj256ELj4ELNS0_20block_sort_algorithmE0EEENS0_14default_configENS1_37merge_sort_block_sort_config_selectorIalEENS1_38merge_sort_block_merge_config_selectorIalEEEEvv,"axG",@progbits,_ZN7rocprim17ROCPRIM_400000_NS6detail44device_merge_sort_compile_time_verifier_archINS1_11comp_targetILNS1_3genE10ELNS1_11target_archE1201ELNS1_3gpuE5ELNS1_3repE0EEES8_NS1_28merge_sort_block_sort_configILj256ELj4ELNS0_20block_sort_algorithmE0EEENS0_14default_configENS1_37merge_sort_block_sort_config_selectorIalEENS1_38merge_sort_block_merge_config_selectorIalEEEEvv,comdat
.Lfunc_end474:
	.size	_ZN7rocprim17ROCPRIM_400000_NS6detail44device_merge_sort_compile_time_verifier_archINS1_11comp_targetILNS1_3genE10ELNS1_11target_archE1201ELNS1_3gpuE5ELNS1_3repE0EEES8_NS1_28merge_sort_block_sort_configILj256ELj4ELNS0_20block_sort_algorithmE0EEENS0_14default_configENS1_37merge_sort_block_sort_config_selectorIalEENS1_38merge_sort_block_merge_config_selectorIalEEEEvv, .Lfunc_end474-_ZN7rocprim17ROCPRIM_400000_NS6detail44device_merge_sort_compile_time_verifier_archINS1_11comp_targetILNS1_3genE10ELNS1_11target_archE1201ELNS1_3gpuE5ELNS1_3repE0EEES8_NS1_28merge_sort_block_sort_configILj256ELj4ELNS0_20block_sort_algorithmE0EEENS0_14default_configENS1_37merge_sort_block_sort_config_selectorIalEENS1_38merge_sort_block_merge_config_selectorIalEEEEvv
                                        ; -- End function
	.section	.AMDGPU.csdata,"",@progbits
; Kernel info:
; codeLenInByte = 4
; NumSgprs: 4
; NumVgprs: 0
; NumAgprs: 0
; TotalNumVgprs: 0
; ScratchSize: 0
; MemoryBound: 0
; FloatMode: 240
; IeeeMode: 1
; LDSByteSize: 0 bytes/workgroup (compile time only)
; SGPRBlocks: 0
; VGPRBlocks: 0
; NumSGPRsForWavesPerEU: 4
; NumVGPRsForWavesPerEU: 1
; AccumOffset: 4
; Occupancy: 8
; WaveLimiterHint : 0
; COMPUTE_PGM_RSRC2:SCRATCH_EN: 0
; COMPUTE_PGM_RSRC2:USER_SGPR: 4
; COMPUTE_PGM_RSRC2:TRAP_HANDLER: 0
; COMPUTE_PGM_RSRC2:TGID_X_EN: 1
; COMPUTE_PGM_RSRC2:TGID_Y_EN: 0
; COMPUTE_PGM_RSRC2:TGID_Z_EN: 0
; COMPUTE_PGM_RSRC2:TIDIG_COMP_CNT: 0
; COMPUTE_PGM_RSRC3_GFX90A:ACCUM_OFFSET: 0
; COMPUTE_PGM_RSRC3_GFX90A:TG_SPLIT: 0
	.section	.text._ZN7rocprim17ROCPRIM_400000_NS6detail44device_merge_sort_compile_time_verifier_archINS1_11comp_targetILNS1_3genE10ELNS1_11target_archE1200ELNS1_3gpuE4ELNS1_3repE0EEENS3_ILS4_10ELS5_1201ELS6_5ELS7_0EEENS1_28merge_sort_block_sort_configILj256ELj4ELNS0_20block_sort_algorithmE0EEENS0_14default_configENS1_37merge_sort_block_sort_config_selectorIalEENS1_38merge_sort_block_merge_config_selectorIalEEEEvv,"axG",@progbits,_ZN7rocprim17ROCPRIM_400000_NS6detail44device_merge_sort_compile_time_verifier_archINS1_11comp_targetILNS1_3genE10ELNS1_11target_archE1200ELNS1_3gpuE4ELNS1_3repE0EEENS3_ILS4_10ELS5_1201ELS6_5ELS7_0EEENS1_28merge_sort_block_sort_configILj256ELj4ELNS0_20block_sort_algorithmE0EEENS0_14default_configENS1_37merge_sort_block_sort_config_selectorIalEENS1_38merge_sort_block_merge_config_selectorIalEEEEvv,comdat
	.protected	_ZN7rocprim17ROCPRIM_400000_NS6detail44device_merge_sort_compile_time_verifier_archINS1_11comp_targetILNS1_3genE10ELNS1_11target_archE1200ELNS1_3gpuE4ELNS1_3repE0EEENS3_ILS4_10ELS5_1201ELS6_5ELS7_0EEENS1_28merge_sort_block_sort_configILj256ELj4ELNS0_20block_sort_algorithmE0EEENS0_14default_configENS1_37merge_sort_block_sort_config_selectorIalEENS1_38merge_sort_block_merge_config_selectorIalEEEEvv ; -- Begin function _ZN7rocprim17ROCPRIM_400000_NS6detail44device_merge_sort_compile_time_verifier_archINS1_11comp_targetILNS1_3genE10ELNS1_11target_archE1200ELNS1_3gpuE4ELNS1_3repE0EEENS3_ILS4_10ELS5_1201ELS6_5ELS7_0EEENS1_28merge_sort_block_sort_configILj256ELj4ELNS0_20block_sort_algorithmE0EEENS0_14default_configENS1_37merge_sort_block_sort_config_selectorIalEENS1_38merge_sort_block_merge_config_selectorIalEEEEvv
	.globl	_ZN7rocprim17ROCPRIM_400000_NS6detail44device_merge_sort_compile_time_verifier_archINS1_11comp_targetILNS1_3genE10ELNS1_11target_archE1200ELNS1_3gpuE4ELNS1_3repE0EEENS3_ILS4_10ELS5_1201ELS6_5ELS7_0EEENS1_28merge_sort_block_sort_configILj256ELj4ELNS0_20block_sort_algorithmE0EEENS0_14default_configENS1_37merge_sort_block_sort_config_selectorIalEENS1_38merge_sort_block_merge_config_selectorIalEEEEvv
	.p2align	8
	.type	_ZN7rocprim17ROCPRIM_400000_NS6detail44device_merge_sort_compile_time_verifier_archINS1_11comp_targetILNS1_3genE10ELNS1_11target_archE1200ELNS1_3gpuE4ELNS1_3repE0EEENS3_ILS4_10ELS5_1201ELS6_5ELS7_0EEENS1_28merge_sort_block_sort_configILj256ELj4ELNS0_20block_sort_algorithmE0EEENS0_14default_configENS1_37merge_sort_block_sort_config_selectorIalEENS1_38merge_sort_block_merge_config_selectorIalEEEEvv,@function
_ZN7rocprim17ROCPRIM_400000_NS6detail44device_merge_sort_compile_time_verifier_archINS1_11comp_targetILNS1_3genE10ELNS1_11target_archE1200ELNS1_3gpuE4ELNS1_3repE0EEENS3_ILS4_10ELS5_1201ELS6_5ELS7_0EEENS1_28merge_sort_block_sort_configILj256ELj4ELNS0_20block_sort_algorithmE0EEENS0_14default_configENS1_37merge_sort_block_sort_config_selectorIalEENS1_38merge_sort_block_merge_config_selectorIalEEEEvv: ; @_ZN7rocprim17ROCPRIM_400000_NS6detail44device_merge_sort_compile_time_verifier_archINS1_11comp_targetILNS1_3genE10ELNS1_11target_archE1200ELNS1_3gpuE4ELNS1_3repE0EEENS3_ILS4_10ELS5_1201ELS6_5ELS7_0EEENS1_28merge_sort_block_sort_configILj256ELj4ELNS0_20block_sort_algorithmE0EEENS0_14default_configENS1_37merge_sort_block_sort_config_selectorIalEENS1_38merge_sort_block_merge_config_selectorIalEEEEvv
; %bb.0:
	s_endpgm
	.section	.rodata,"a",@progbits
	.p2align	6, 0x0
	.amdhsa_kernel _ZN7rocprim17ROCPRIM_400000_NS6detail44device_merge_sort_compile_time_verifier_archINS1_11comp_targetILNS1_3genE10ELNS1_11target_archE1200ELNS1_3gpuE4ELNS1_3repE0EEENS3_ILS4_10ELS5_1201ELS6_5ELS7_0EEENS1_28merge_sort_block_sort_configILj256ELj4ELNS0_20block_sort_algorithmE0EEENS0_14default_configENS1_37merge_sort_block_sort_config_selectorIalEENS1_38merge_sort_block_merge_config_selectorIalEEEEvv
		.amdhsa_group_segment_fixed_size 0
		.amdhsa_private_segment_fixed_size 0
		.amdhsa_kernarg_size 0
		.amdhsa_user_sgpr_count 4
		.amdhsa_user_sgpr_private_segment_buffer 1
		.amdhsa_user_sgpr_dispatch_ptr 0
		.amdhsa_user_sgpr_queue_ptr 0
		.amdhsa_user_sgpr_kernarg_segment_ptr 0
		.amdhsa_user_sgpr_dispatch_id 0
		.amdhsa_user_sgpr_flat_scratch_init 0
		.amdhsa_user_sgpr_kernarg_preload_length 0
		.amdhsa_user_sgpr_kernarg_preload_offset 0
		.amdhsa_user_sgpr_private_segment_size 0
		.amdhsa_uses_dynamic_stack 0
		.amdhsa_system_sgpr_private_segment_wavefront_offset 0
		.amdhsa_system_sgpr_workgroup_id_x 1
		.amdhsa_system_sgpr_workgroup_id_y 0
		.amdhsa_system_sgpr_workgroup_id_z 0
		.amdhsa_system_sgpr_workgroup_info 0
		.amdhsa_system_vgpr_workitem_id 0
		.amdhsa_next_free_vgpr 1
		.amdhsa_next_free_sgpr 0
		.amdhsa_accum_offset 4
		.amdhsa_reserve_vcc 0
		.amdhsa_reserve_flat_scratch 0
		.amdhsa_float_round_mode_32 0
		.amdhsa_float_round_mode_16_64 0
		.amdhsa_float_denorm_mode_32 3
		.amdhsa_float_denorm_mode_16_64 3
		.amdhsa_dx10_clamp 1
		.amdhsa_ieee_mode 1
		.amdhsa_fp16_overflow 0
		.amdhsa_tg_split 0
		.amdhsa_exception_fp_ieee_invalid_op 0
		.amdhsa_exception_fp_denorm_src 0
		.amdhsa_exception_fp_ieee_div_zero 0
		.amdhsa_exception_fp_ieee_overflow 0
		.amdhsa_exception_fp_ieee_underflow 0
		.amdhsa_exception_fp_ieee_inexact 0
		.amdhsa_exception_int_div_zero 0
	.end_amdhsa_kernel
	.section	.text._ZN7rocprim17ROCPRIM_400000_NS6detail44device_merge_sort_compile_time_verifier_archINS1_11comp_targetILNS1_3genE10ELNS1_11target_archE1200ELNS1_3gpuE4ELNS1_3repE0EEENS3_ILS4_10ELS5_1201ELS6_5ELS7_0EEENS1_28merge_sort_block_sort_configILj256ELj4ELNS0_20block_sort_algorithmE0EEENS0_14default_configENS1_37merge_sort_block_sort_config_selectorIalEENS1_38merge_sort_block_merge_config_selectorIalEEEEvv,"axG",@progbits,_ZN7rocprim17ROCPRIM_400000_NS6detail44device_merge_sort_compile_time_verifier_archINS1_11comp_targetILNS1_3genE10ELNS1_11target_archE1200ELNS1_3gpuE4ELNS1_3repE0EEENS3_ILS4_10ELS5_1201ELS6_5ELS7_0EEENS1_28merge_sort_block_sort_configILj256ELj4ELNS0_20block_sort_algorithmE0EEENS0_14default_configENS1_37merge_sort_block_sort_config_selectorIalEENS1_38merge_sort_block_merge_config_selectorIalEEEEvv,comdat
.Lfunc_end475:
	.size	_ZN7rocprim17ROCPRIM_400000_NS6detail44device_merge_sort_compile_time_verifier_archINS1_11comp_targetILNS1_3genE10ELNS1_11target_archE1200ELNS1_3gpuE4ELNS1_3repE0EEENS3_ILS4_10ELS5_1201ELS6_5ELS7_0EEENS1_28merge_sort_block_sort_configILj256ELj4ELNS0_20block_sort_algorithmE0EEENS0_14default_configENS1_37merge_sort_block_sort_config_selectorIalEENS1_38merge_sort_block_merge_config_selectorIalEEEEvv, .Lfunc_end475-_ZN7rocprim17ROCPRIM_400000_NS6detail44device_merge_sort_compile_time_verifier_archINS1_11comp_targetILNS1_3genE10ELNS1_11target_archE1200ELNS1_3gpuE4ELNS1_3repE0EEENS3_ILS4_10ELS5_1201ELS6_5ELS7_0EEENS1_28merge_sort_block_sort_configILj256ELj4ELNS0_20block_sort_algorithmE0EEENS0_14default_configENS1_37merge_sort_block_sort_config_selectorIalEENS1_38merge_sort_block_merge_config_selectorIalEEEEvv
                                        ; -- End function
	.section	.AMDGPU.csdata,"",@progbits
; Kernel info:
; codeLenInByte = 4
; NumSgprs: 4
; NumVgprs: 0
; NumAgprs: 0
; TotalNumVgprs: 0
; ScratchSize: 0
; MemoryBound: 0
; FloatMode: 240
; IeeeMode: 1
; LDSByteSize: 0 bytes/workgroup (compile time only)
; SGPRBlocks: 0
; VGPRBlocks: 0
; NumSGPRsForWavesPerEU: 4
; NumVGPRsForWavesPerEU: 1
; AccumOffset: 4
; Occupancy: 8
; WaveLimiterHint : 0
; COMPUTE_PGM_RSRC2:SCRATCH_EN: 0
; COMPUTE_PGM_RSRC2:USER_SGPR: 4
; COMPUTE_PGM_RSRC2:TRAP_HANDLER: 0
; COMPUTE_PGM_RSRC2:TGID_X_EN: 1
; COMPUTE_PGM_RSRC2:TGID_Y_EN: 0
; COMPUTE_PGM_RSRC2:TGID_Z_EN: 0
; COMPUTE_PGM_RSRC2:TIDIG_COMP_CNT: 0
; COMPUTE_PGM_RSRC3_GFX90A:ACCUM_OFFSET: 0
; COMPUTE_PGM_RSRC3_GFX90A:TG_SPLIT: 0
	.section	.text._ZN7rocprim17ROCPRIM_400000_NS6detail44device_merge_sort_compile_time_verifier_archINS1_11comp_targetILNS1_3genE9ELNS1_11target_archE1100ELNS1_3gpuE3ELNS1_3repE0EEES8_NS1_28merge_sort_block_sort_configILj256ELj4ELNS0_20block_sort_algorithmE0EEENS0_14default_configENS1_37merge_sort_block_sort_config_selectorIalEENS1_38merge_sort_block_merge_config_selectorIalEEEEvv,"axG",@progbits,_ZN7rocprim17ROCPRIM_400000_NS6detail44device_merge_sort_compile_time_verifier_archINS1_11comp_targetILNS1_3genE9ELNS1_11target_archE1100ELNS1_3gpuE3ELNS1_3repE0EEES8_NS1_28merge_sort_block_sort_configILj256ELj4ELNS0_20block_sort_algorithmE0EEENS0_14default_configENS1_37merge_sort_block_sort_config_selectorIalEENS1_38merge_sort_block_merge_config_selectorIalEEEEvv,comdat
	.protected	_ZN7rocprim17ROCPRIM_400000_NS6detail44device_merge_sort_compile_time_verifier_archINS1_11comp_targetILNS1_3genE9ELNS1_11target_archE1100ELNS1_3gpuE3ELNS1_3repE0EEES8_NS1_28merge_sort_block_sort_configILj256ELj4ELNS0_20block_sort_algorithmE0EEENS0_14default_configENS1_37merge_sort_block_sort_config_selectorIalEENS1_38merge_sort_block_merge_config_selectorIalEEEEvv ; -- Begin function _ZN7rocprim17ROCPRIM_400000_NS6detail44device_merge_sort_compile_time_verifier_archINS1_11comp_targetILNS1_3genE9ELNS1_11target_archE1100ELNS1_3gpuE3ELNS1_3repE0EEES8_NS1_28merge_sort_block_sort_configILj256ELj4ELNS0_20block_sort_algorithmE0EEENS0_14default_configENS1_37merge_sort_block_sort_config_selectorIalEENS1_38merge_sort_block_merge_config_selectorIalEEEEvv
	.globl	_ZN7rocprim17ROCPRIM_400000_NS6detail44device_merge_sort_compile_time_verifier_archINS1_11comp_targetILNS1_3genE9ELNS1_11target_archE1100ELNS1_3gpuE3ELNS1_3repE0EEES8_NS1_28merge_sort_block_sort_configILj256ELj4ELNS0_20block_sort_algorithmE0EEENS0_14default_configENS1_37merge_sort_block_sort_config_selectorIalEENS1_38merge_sort_block_merge_config_selectorIalEEEEvv
	.p2align	8
	.type	_ZN7rocprim17ROCPRIM_400000_NS6detail44device_merge_sort_compile_time_verifier_archINS1_11comp_targetILNS1_3genE9ELNS1_11target_archE1100ELNS1_3gpuE3ELNS1_3repE0EEES8_NS1_28merge_sort_block_sort_configILj256ELj4ELNS0_20block_sort_algorithmE0EEENS0_14default_configENS1_37merge_sort_block_sort_config_selectorIalEENS1_38merge_sort_block_merge_config_selectorIalEEEEvv,@function
_ZN7rocprim17ROCPRIM_400000_NS6detail44device_merge_sort_compile_time_verifier_archINS1_11comp_targetILNS1_3genE9ELNS1_11target_archE1100ELNS1_3gpuE3ELNS1_3repE0EEES8_NS1_28merge_sort_block_sort_configILj256ELj4ELNS0_20block_sort_algorithmE0EEENS0_14default_configENS1_37merge_sort_block_sort_config_selectorIalEENS1_38merge_sort_block_merge_config_selectorIalEEEEvv: ; @_ZN7rocprim17ROCPRIM_400000_NS6detail44device_merge_sort_compile_time_verifier_archINS1_11comp_targetILNS1_3genE9ELNS1_11target_archE1100ELNS1_3gpuE3ELNS1_3repE0EEES8_NS1_28merge_sort_block_sort_configILj256ELj4ELNS0_20block_sort_algorithmE0EEENS0_14default_configENS1_37merge_sort_block_sort_config_selectorIalEENS1_38merge_sort_block_merge_config_selectorIalEEEEvv
; %bb.0:
	s_endpgm
	.section	.rodata,"a",@progbits
	.p2align	6, 0x0
	.amdhsa_kernel _ZN7rocprim17ROCPRIM_400000_NS6detail44device_merge_sort_compile_time_verifier_archINS1_11comp_targetILNS1_3genE9ELNS1_11target_archE1100ELNS1_3gpuE3ELNS1_3repE0EEES8_NS1_28merge_sort_block_sort_configILj256ELj4ELNS0_20block_sort_algorithmE0EEENS0_14default_configENS1_37merge_sort_block_sort_config_selectorIalEENS1_38merge_sort_block_merge_config_selectorIalEEEEvv
		.amdhsa_group_segment_fixed_size 0
		.amdhsa_private_segment_fixed_size 0
		.amdhsa_kernarg_size 0
		.amdhsa_user_sgpr_count 4
		.amdhsa_user_sgpr_private_segment_buffer 1
		.amdhsa_user_sgpr_dispatch_ptr 0
		.amdhsa_user_sgpr_queue_ptr 0
		.amdhsa_user_sgpr_kernarg_segment_ptr 0
		.amdhsa_user_sgpr_dispatch_id 0
		.amdhsa_user_sgpr_flat_scratch_init 0
		.amdhsa_user_sgpr_kernarg_preload_length 0
		.amdhsa_user_sgpr_kernarg_preload_offset 0
		.amdhsa_user_sgpr_private_segment_size 0
		.amdhsa_uses_dynamic_stack 0
		.amdhsa_system_sgpr_private_segment_wavefront_offset 0
		.amdhsa_system_sgpr_workgroup_id_x 1
		.amdhsa_system_sgpr_workgroup_id_y 0
		.amdhsa_system_sgpr_workgroup_id_z 0
		.amdhsa_system_sgpr_workgroup_info 0
		.amdhsa_system_vgpr_workitem_id 0
		.amdhsa_next_free_vgpr 1
		.amdhsa_next_free_sgpr 0
		.amdhsa_accum_offset 4
		.amdhsa_reserve_vcc 0
		.amdhsa_reserve_flat_scratch 0
		.amdhsa_float_round_mode_32 0
		.amdhsa_float_round_mode_16_64 0
		.amdhsa_float_denorm_mode_32 3
		.amdhsa_float_denorm_mode_16_64 3
		.amdhsa_dx10_clamp 1
		.amdhsa_ieee_mode 1
		.amdhsa_fp16_overflow 0
		.amdhsa_tg_split 0
		.amdhsa_exception_fp_ieee_invalid_op 0
		.amdhsa_exception_fp_denorm_src 0
		.amdhsa_exception_fp_ieee_div_zero 0
		.amdhsa_exception_fp_ieee_overflow 0
		.amdhsa_exception_fp_ieee_underflow 0
		.amdhsa_exception_fp_ieee_inexact 0
		.amdhsa_exception_int_div_zero 0
	.end_amdhsa_kernel
	.section	.text._ZN7rocprim17ROCPRIM_400000_NS6detail44device_merge_sort_compile_time_verifier_archINS1_11comp_targetILNS1_3genE9ELNS1_11target_archE1100ELNS1_3gpuE3ELNS1_3repE0EEES8_NS1_28merge_sort_block_sort_configILj256ELj4ELNS0_20block_sort_algorithmE0EEENS0_14default_configENS1_37merge_sort_block_sort_config_selectorIalEENS1_38merge_sort_block_merge_config_selectorIalEEEEvv,"axG",@progbits,_ZN7rocprim17ROCPRIM_400000_NS6detail44device_merge_sort_compile_time_verifier_archINS1_11comp_targetILNS1_3genE9ELNS1_11target_archE1100ELNS1_3gpuE3ELNS1_3repE0EEES8_NS1_28merge_sort_block_sort_configILj256ELj4ELNS0_20block_sort_algorithmE0EEENS0_14default_configENS1_37merge_sort_block_sort_config_selectorIalEENS1_38merge_sort_block_merge_config_selectorIalEEEEvv,comdat
.Lfunc_end476:
	.size	_ZN7rocprim17ROCPRIM_400000_NS6detail44device_merge_sort_compile_time_verifier_archINS1_11comp_targetILNS1_3genE9ELNS1_11target_archE1100ELNS1_3gpuE3ELNS1_3repE0EEES8_NS1_28merge_sort_block_sort_configILj256ELj4ELNS0_20block_sort_algorithmE0EEENS0_14default_configENS1_37merge_sort_block_sort_config_selectorIalEENS1_38merge_sort_block_merge_config_selectorIalEEEEvv, .Lfunc_end476-_ZN7rocprim17ROCPRIM_400000_NS6detail44device_merge_sort_compile_time_verifier_archINS1_11comp_targetILNS1_3genE9ELNS1_11target_archE1100ELNS1_3gpuE3ELNS1_3repE0EEES8_NS1_28merge_sort_block_sort_configILj256ELj4ELNS0_20block_sort_algorithmE0EEENS0_14default_configENS1_37merge_sort_block_sort_config_selectorIalEENS1_38merge_sort_block_merge_config_selectorIalEEEEvv
                                        ; -- End function
	.section	.AMDGPU.csdata,"",@progbits
; Kernel info:
; codeLenInByte = 4
; NumSgprs: 4
; NumVgprs: 0
; NumAgprs: 0
; TotalNumVgprs: 0
; ScratchSize: 0
; MemoryBound: 0
; FloatMode: 240
; IeeeMode: 1
; LDSByteSize: 0 bytes/workgroup (compile time only)
; SGPRBlocks: 0
; VGPRBlocks: 0
; NumSGPRsForWavesPerEU: 4
; NumVGPRsForWavesPerEU: 1
; AccumOffset: 4
; Occupancy: 8
; WaveLimiterHint : 0
; COMPUTE_PGM_RSRC2:SCRATCH_EN: 0
; COMPUTE_PGM_RSRC2:USER_SGPR: 4
; COMPUTE_PGM_RSRC2:TRAP_HANDLER: 0
; COMPUTE_PGM_RSRC2:TGID_X_EN: 1
; COMPUTE_PGM_RSRC2:TGID_Y_EN: 0
; COMPUTE_PGM_RSRC2:TGID_Z_EN: 0
; COMPUTE_PGM_RSRC2:TIDIG_COMP_CNT: 0
; COMPUTE_PGM_RSRC3_GFX90A:ACCUM_OFFSET: 0
; COMPUTE_PGM_RSRC3_GFX90A:TG_SPLIT: 0
	.section	.text._ZN7rocprim17ROCPRIM_400000_NS6detail44device_merge_sort_compile_time_verifier_archINS1_11comp_targetILNS1_3genE8ELNS1_11target_archE1030ELNS1_3gpuE2ELNS1_3repE0EEES8_NS1_28merge_sort_block_sort_configILj256ELj4ELNS0_20block_sort_algorithmE0EEENS0_14default_configENS1_37merge_sort_block_sort_config_selectorIalEENS1_38merge_sort_block_merge_config_selectorIalEEEEvv,"axG",@progbits,_ZN7rocprim17ROCPRIM_400000_NS6detail44device_merge_sort_compile_time_verifier_archINS1_11comp_targetILNS1_3genE8ELNS1_11target_archE1030ELNS1_3gpuE2ELNS1_3repE0EEES8_NS1_28merge_sort_block_sort_configILj256ELj4ELNS0_20block_sort_algorithmE0EEENS0_14default_configENS1_37merge_sort_block_sort_config_selectorIalEENS1_38merge_sort_block_merge_config_selectorIalEEEEvv,comdat
	.protected	_ZN7rocprim17ROCPRIM_400000_NS6detail44device_merge_sort_compile_time_verifier_archINS1_11comp_targetILNS1_3genE8ELNS1_11target_archE1030ELNS1_3gpuE2ELNS1_3repE0EEES8_NS1_28merge_sort_block_sort_configILj256ELj4ELNS0_20block_sort_algorithmE0EEENS0_14default_configENS1_37merge_sort_block_sort_config_selectorIalEENS1_38merge_sort_block_merge_config_selectorIalEEEEvv ; -- Begin function _ZN7rocprim17ROCPRIM_400000_NS6detail44device_merge_sort_compile_time_verifier_archINS1_11comp_targetILNS1_3genE8ELNS1_11target_archE1030ELNS1_3gpuE2ELNS1_3repE0EEES8_NS1_28merge_sort_block_sort_configILj256ELj4ELNS0_20block_sort_algorithmE0EEENS0_14default_configENS1_37merge_sort_block_sort_config_selectorIalEENS1_38merge_sort_block_merge_config_selectorIalEEEEvv
	.globl	_ZN7rocprim17ROCPRIM_400000_NS6detail44device_merge_sort_compile_time_verifier_archINS1_11comp_targetILNS1_3genE8ELNS1_11target_archE1030ELNS1_3gpuE2ELNS1_3repE0EEES8_NS1_28merge_sort_block_sort_configILj256ELj4ELNS0_20block_sort_algorithmE0EEENS0_14default_configENS1_37merge_sort_block_sort_config_selectorIalEENS1_38merge_sort_block_merge_config_selectorIalEEEEvv
	.p2align	8
	.type	_ZN7rocprim17ROCPRIM_400000_NS6detail44device_merge_sort_compile_time_verifier_archINS1_11comp_targetILNS1_3genE8ELNS1_11target_archE1030ELNS1_3gpuE2ELNS1_3repE0EEES8_NS1_28merge_sort_block_sort_configILj256ELj4ELNS0_20block_sort_algorithmE0EEENS0_14default_configENS1_37merge_sort_block_sort_config_selectorIalEENS1_38merge_sort_block_merge_config_selectorIalEEEEvv,@function
_ZN7rocprim17ROCPRIM_400000_NS6detail44device_merge_sort_compile_time_verifier_archINS1_11comp_targetILNS1_3genE8ELNS1_11target_archE1030ELNS1_3gpuE2ELNS1_3repE0EEES8_NS1_28merge_sort_block_sort_configILj256ELj4ELNS0_20block_sort_algorithmE0EEENS0_14default_configENS1_37merge_sort_block_sort_config_selectorIalEENS1_38merge_sort_block_merge_config_selectorIalEEEEvv: ; @_ZN7rocprim17ROCPRIM_400000_NS6detail44device_merge_sort_compile_time_verifier_archINS1_11comp_targetILNS1_3genE8ELNS1_11target_archE1030ELNS1_3gpuE2ELNS1_3repE0EEES8_NS1_28merge_sort_block_sort_configILj256ELj4ELNS0_20block_sort_algorithmE0EEENS0_14default_configENS1_37merge_sort_block_sort_config_selectorIalEENS1_38merge_sort_block_merge_config_selectorIalEEEEvv
; %bb.0:
	s_endpgm
	.section	.rodata,"a",@progbits
	.p2align	6, 0x0
	.amdhsa_kernel _ZN7rocprim17ROCPRIM_400000_NS6detail44device_merge_sort_compile_time_verifier_archINS1_11comp_targetILNS1_3genE8ELNS1_11target_archE1030ELNS1_3gpuE2ELNS1_3repE0EEES8_NS1_28merge_sort_block_sort_configILj256ELj4ELNS0_20block_sort_algorithmE0EEENS0_14default_configENS1_37merge_sort_block_sort_config_selectorIalEENS1_38merge_sort_block_merge_config_selectorIalEEEEvv
		.amdhsa_group_segment_fixed_size 0
		.amdhsa_private_segment_fixed_size 0
		.amdhsa_kernarg_size 0
		.amdhsa_user_sgpr_count 4
		.amdhsa_user_sgpr_private_segment_buffer 1
		.amdhsa_user_sgpr_dispatch_ptr 0
		.amdhsa_user_sgpr_queue_ptr 0
		.amdhsa_user_sgpr_kernarg_segment_ptr 0
		.amdhsa_user_sgpr_dispatch_id 0
		.amdhsa_user_sgpr_flat_scratch_init 0
		.amdhsa_user_sgpr_kernarg_preload_length 0
		.amdhsa_user_sgpr_kernarg_preload_offset 0
		.amdhsa_user_sgpr_private_segment_size 0
		.amdhsa_uses_dynamic_stack 0
		.amdhsa_system_sgpr_private_segment_wavefront_offset 0
		.amdhsa_system_sgpr_workgroup_id_x 1
		.amdhsa_system_sgpr_workgroup_id_y 0
		.amdhsa_system_sgpr_workgroup_id_z 0
		.amdhsa_system_sgpr_workgroup_info 0
		.amdhsa_system_vgpr_workitem_id 0
		.amdhsa_next_free_vgpr 1
		.amdhsa_next_free_sgpr 0
		.amdhsa_accum_offset 4
		.amdhsa_reserve_vcc 0
		.amdhsa_reserve_flat_scratch 0
		.amdhsa_float_round_mode_32 0
		.amdhsa_float_round_mode_16_64 0
		.amdhsa_float_denorm_mode_32 3
		.amdhsa_float_denorm_mode_16_64 3
		.amdhsa_dx10_clamp 1
		.amdhsa_ieee_mode 1
		.amdhsa_fp16_overflow 0
		.amdhsa_tg_split 0
		.amdhsa_exception_fp_ieee_invalid_op 0
		.amdhsa_exception_fp_denorm_src 0
		.amdhsa_exception_fp_ieee_div_zero 0
		.amdhsa_exception_fp_ieee_overflow 0
		.amdhsa_exception_fp_ieee_underflow 0
		.amdhsa_exception_fp_ieee_inexact 0
		.amdhsa_exception_int_div_zero 0
	.end_amdhsa_kernel
	.section	.text._ZN7rocprim17ROCPRIM_400000_NS6detail44device_merge_sort_compile_time_verifier_archINS1_11comp_targetILNS1_3genE8ELNS1_11target_archE1030ELNS1_3gpuE2ELNS1_3repE0EEES8_NS1_28merge_sort_block_sort_configILj256ELj4ELNS0_20block_sort_algorithmE0EEENS0_14default_configENS1_37merge_sort_block_sort_config_selectorIalEENS1_38merge_sort_block_merge_config_selectorIalEEEEvv,"axG",@progbits,_ZN7rocprim17ROCPRIM_400000_NS6detail44device_merge_sort_compile_time_verifier_archINS1_11comp_targetILNS1_3genE8ELNS1_11target_archE1030ELNS1_3gpuE2ELNS1_3repE0EEES8_NS1_28merge_sort_block_sort_configILj256ELj4ELNS0_20block_sort_algorithmE0EEENS0_14default_configENS1_37merge_sort_block_sort_config_selectorIalEENS1_38merge_sort_block_merge_config_selectorIalEEEEvv,comdat
.Lfunc_end477:
	.size	_ZN7rocprim17ROCPRIM_400000_NS6detail44device_merge_sort_compile_time_verifier_archINS1_11comp_targetILNS1_3genE8ELNS1_11target_archE1030ELNS1_3gpuE2ELNS1_3repE0EEES8_NS1_28merge_sort_block_sort_configILj256ELj4ELNS0_20block_sort_algorithmE0EEENS0_14default_configENS1_37merge_sort_block_sort_config_selectorIalEENS1_38merge_sort_block_merge_config_selectorIalEEEEvv, .Lfunc_end477-_ZN7rocprim17ROCPRIM_400000_NS6detail44device_merge_sort_compile_time_verifier_archINS1_11comp_targetILNS1_3genE8ELNS1_11target_archE1030ELNS1_3gpuE2ELNS1_3repE0EEES8_NS1_28merge_sort_block_sort_configILj256ELj4ELNS0_20block_sort_algorithmE0EEENS0_14default_configENS1_37merge_sort_block_sort_config_selectorIalEENS1_38merge_sort_block_merge_config_selectorIalEEEEvv
                                        ; -- End function
	.section	.AMDGPU.csdata,"",@progbits
; Kernel info:
; codeLenInByte = 4
; NumSgprs: 4
; NumVgprs: 0
; NumAgprs: 0
; TotalNumVgprs: 0
; ScratchSize: 0
; MemoryBound: 0
; FloatMode: 240
; IeeeMode: 1
; LDSByteSize: 0 bytes/workgroup (compile time only)
; SGPRBlocks: 0
; VGPRBlocks: 0
; NumSGPRsForWavesPerEU: 4
; NumVGPRsForWavesPerEU: 1
; AccumOffset: 4
; Occupancy: 8
; WaveLimiterHint : 0
; COMPUTE_PGM_RSRC2:SCRATCH_EN: 0
; COMPUTE_PGM_RSRC2:USER_SGPR: 4
; COMPUTE_PGM_RSRC2:TRAP_HANDLER: 0
; COMPUTE_PGM_RSRC2:TGID_X_EN: 1
; COMPUTE_PGM_RSRC2:TGID_Y_EN: 0
; COMPUTE_PGM_RSRC2:TGID_Z_EN: 0
; COMPUTE_PGM_RSRC2:TIDIG_COMP_CNT: 0
; COMPUTE_PGM_RSRC3_GFX90A:ACCUM_OFFSET: 0
; COMPUTE_PGM_RSRC3_GFX90A:TG_SPLIT: 0
	.section	.text._ZN7rocprim17ROCPRIM_400000_NS6detail17trampoline_kernelINS0_14default_configENS1_38merge_sort_block_merge_config_selectorIalEEZZNS1_27merge_sort_block_merge_implIS3_PaN6thrust23THRUST_200600_302600_NS10device_ptrIlEEjNS1_19radix_merge_compareILb0ELb0EaNS0_19identity_decomposerEEEEE10hipError_tT0_T1_T2_jT3_P12ihipStream_tbPNSt15iterator_traitsISG_E10value_typeEPNSM_ISH_E10value_typeEPSI_NS1_7vsmem_tEENKUlT_SG_SH_SI_E_clIS7_S7_PlSB_EESF_SV_SG_SH_SI_EUlSV_E_NS1_11comp_targetILNS1_3genE0ELNS1_11target_archE4294967295ELNS1_3gpuE0ELNS1_3repE0EEENS1_48merge_mergepath_partition_config_static_selectorELNS0_4arch9wavefront6targetE1EEEvSH_,"axG",@progbits,_ZN7rocprim17ROCPRIM_400000_NS6detail17trampoline_kernelINS0_14default_configENS1_38merge_sort_block_merge_config_selectorIalEEZZNS1_27merge_sort_block_merge_implIS3_PaN6thrust23THRUST_200600_302600_NS10device_ptrIlEEjNS1_19radix_merge_compareILb0ELb0EaNS0_19identity_decomposerEEEEE10hipError_tT0_T1_T2_jT3_P12ihipStream_tbPNSt15iterator_traitsISG_E10value_typeEPNSM_ISH_E10value_typeEPSI_NS1_7vsmem_tEENKUlT_SG_SH_SI_E_clIS7_S7_PlSB_EESF_SV_SG_SH_SI_EUlSV_E_NS1_11comp_targetILNS1_3genE0ELNS1_11target_archE4294967295ELNS1_3gpuE0ELNS1_3repE0EEENS1_48merge_mergepath_partition_config_static_selectorELNS0_4arch9wavefront6targetE1EEEvSH_,comdat
	.protected	_ZN7rocprim17ROCPRIM_400000_NS6detail17trampoline_kernelINS0_14default_configENS1_38merge_sort_block_merge_config_selectorIalEEZZNS1_27merge_sort_block_merge_implIS3_PaN6thrust23THRUST_200600_302600_NS10device_ptrIlEEjNS1_19radix_merge_compareILb0ELb0EaNS0_19identity_decomposerEEEEE10hipError_tT0_T1_T2_jT3_P12ihipStream_tbPNSt15iterator_traitsISG_E10value_typeEPNSM_ISH_E10value_typeEPSI_NS1_7vsmem_tEENKUlT_SG_SH_SI_E_clIS7_S7_PlSB_EESF_SV_SG_SH_SI_EUlSV_E_NS1_11comp_targetILNS1_3genE0ELNS1_11target_archE4294967295ELNS1_3gpuE0ELNS1_3repE0EEENS1_48merge_mergepath_partition_config_static_selectorELNS0_4arch9wavefront6targetE1EEEvSH_ ; -- Begin function _ZN7rocprim17ROCPRIM_400000_NS6detail17trampoline_kernelINS0_14default_configENS1_38merge_sort_block_merge_config_selectorIalEEZZNS1_27merge_sort_block_merge_implIS3_PaN6thrust23THRUST_200600_302600_NS10device_ptrIlEEjNS1_19radix_merge_compareILb0ELb0EaNS0_19identity_decomposerEEEEE10hipError_tT0_T1_T2_jT3_P12ihipStream_tbPNSt15iterator_traitsISG_E10value_typeEPNSM_ISH_E10value_typeEPSI_NS1_7vsmem_tEENKUlT_SG_SH_SI_E_clIS7_S7_PlSB_EESF_SV_SG_SH_SI_EUlSV_E_NS1_11comp_targetILNS1_3genE0ELNS1_11target_archE4294967295ELNS1_3gpuE0ELNS1_3repE0EEENS1_48merge_mergepath_partition_config_static_selectorELNS0_4arch9wavefront6targetE1EEEvSH_
	.globl	_ZN7rocprim17ROCPRIM_400000_NS6detail17trampoline_kernelINS0_14default_configENS1_38merge_sort_block_merge_config_selectorIalEEZZNS1_27merge_sort_block_merge_implIS3_PaN6thrust23THRUST_200600_302600_NS10device_ptrIlEEjNS1_19radix_merge_compareILb0ELb0EaNS0_19identity_decomposerEEEEE10hipError_tT0_T1_T2_jT3_P12ihipStream_tbPNSt15iterator_traitsISG_E10value_typeEPNSM_ISH_E10value_typeEPSI_NS1_7vsmem_tEENKUlT_SG_SH_SI_E_clIS7_S7_PlSB_EESF_SV_SG_SH_SI_EUlSV_E_NS1_11comp_targetILNS1_3genE0ELNS1_11target_archE4294967295ELNS1_3gpuE0ELNS1_3repE0EEENS1_48merge_mergepath_partition_config_static_selectorELNS0_4arch9wavefront6targetE1EEEvSH_
	.p2align	8
	.type	_ZN7rocprim17ROCPRIM_400000_NS6detail17trampoline_kernelINS0_14default_configENS1_38merge_sort_block_merge_config_selectorIalEEZZNS1_27merge_sort_block_merge_implIS3_PaN6thrust23THRUST_200600_302600_NS10device_ptrIlEEjNS1_19radix_merge_compareILb0ELb0EaNS0_19identity_decomposerEEEEE10hipError_tT0_T1_T2_jT3_P12ihipStream_tbPNSt15iterator_traitsISG_E10value_typeEPNSM_ISH_E10value_typeEPSI_NS1_7vsmem_tEENKUlT_SG_SH_SI_E_clIS7_S7_PlSB_EESF_SV_SG_SH_SI_EUlSV_E_NS1_11comp_targetILNS1_3genE0ELNS1_11target_archE4294967295ELNS1_3gpuE0ELNS1_3repE0EEENS1_48merge_mergepath_partition_config_static_selectorELNS0_4arch9wavefront6targetE1EEEvSH_,@function
_ZN7rocprim17ROCPRIM_400000_NS6detail17trampoline_kernelINS0_14default_configENS1_38merge_sort_block_merge_config_selectorIalEEZZNS1_27merge_sort_block_merge_implIS3_PaN6thrust23THRUST_200600_302600_NS10device_ptrIlEEjNS1_19radix_merge_compareILb0ELb0EaNS0_19identity_decomposerEEEEE10hipError_tT0_T1_T2_jT3_P12ihipStream_tbPNSt15iterator_traitsISG_E10value_typeEPNSM_ISH_E10value_typeEPSI_NS1_7vsmem_tEENKUlT_SG_SH_SI_E_clIS7_S7_PlSB_EESF_SV_SG_SH_SI_EUlSV_E_NS1_11comp_targetILNS1_3genE0ELNS1_11target_archE4294967295ELNS1_3gpuE0ELNS1_3repE0EEENS1_48merge_mergepath_partition_config_static_selectorELNS0_4arch9wavefront6targetE1EEEvSH_: ; @_ZN7rocprim17ROCPRIM_400000_NS6detail17trampoline_kernelINS0_14default_configENS1_38merge_sort_block_merge_config_selectorIalEEZZNS1_27merge_sort_block_merge_implIS3_PaN6thrust23THRUST_200600_302600_NS10device_ptrIlEEjNS1_19radix_merge_compareILb0ELb0EaNS0_19identity_decomposerEEEEE10hipError_tT0_T1_T2_jT3_P12ihipStream_tbPNSt15iterator_traitsISG_E10value_typeEPNSM_ISH_E10value_typeEPSI_NS1_7vsmem_tEENKUlT_SG_SH_SI_E_clIS7_S7_PlSB_EESF_SV_SG_SH_SI_EUlSV_E_NS1_11comp_targetILNS1_3genE0ELNS1_11target_archE4294967295ELNS1_3gpuE0ELNS1_3repE0EEENS1_48merge_mergepath_partition_config_static_selectorELNS0_4arch9wavefront6targetE1EEEvSH_
; %bb.0:
	.section	.rodata,"a",@progbits
	.p2align	6, 0x0
	.amdhsa_kernel _ZN7rocprim17ROCPRIM_400000_NS6detail17trampoline_kernelINS0_14default_configENS1_38merge_sort_block_merge_config_selectorIalEEZZNS1_27merge_sort_block_merge_implIS3_PaN6thrust23THRUST_200600_302600_NS10device_ptrIlEEjNS1_19radix_merge_compareILb0ELb0EaNS0_19identity_decomposerEEEEE10hipError_tT0_T1_T2_jT3_P12ihipStream_tbPNSt15iterator_traitsISG_E10value_typeEPNSM_ISH_E10value_typeEPSI_NS1_7vsmem_tEENKUlT_SG_SH_SI_E_clIS7_S7_PlSB_EESF_SV_SG_SH_SI_EUlSV_E_NS1_11comp_targetILNS1_3genE0ELNS1_11target_archE4294967295ELNS1_3gpuE0ELNS1_3repE0EEENS1_48merge_mergepath_partition_config_static_selectorELNS0_4arch9wavefront6targetE1EEEvSH_
		.amdhsa_group_segment_fixed_size 0
		.amdhsa_private_segment_fixed_size 0
		.amdhsa_kernarg_size 40
		.amdhsa_user_sgpr_count 6
		.amdhsa_user_sgpr_private_segment_buffer 1
		.amdhsa_user_sgpr_dispatch_ptr 0
		.amdhsa_user_sgpr_queue_ptr 0
		.amdhsa_user_sgpr_kernarg_segment_ptr 1
		.amdhsa_user_sgpr_dispatch_id 0
		.amdhsa_user_sgpr_flat_scratch_init 0
		.amdhsa_user_sgpr_kernarg_preload_length 0
		.amdhsa_user_sgpr_kernarg_preload_offset 0
		.amdhsa_user_sgpr_private_segment_size 0
		.amdhsa_uses_dynamic_stack 0
		.amdhsa_system_sgpr_private_segment_wavefront_offset 0
		.amdhsa_system_sgpr_workgroup_id_x 1
		.amdhsa_system_sgpr_workgroup_id_y 0
		.amdhsa_system_sgpr_workgroup_id_z 0
		.amdhsa_system_sgpr_workgroup_info 0
		.amdhsa_system_vgpr_workitem_id 0
		.amdhsa_next_free_vgpr 1
		.amdhsa_next_free_sgpr 0
		.amdhsa_accum_offset 4
		.amdhsa_reserve_vcc 0
		.amdhsa_reserve_flat_scratch 0
		.amdhsa_float_round_mode_32 0
		.amdhsa_float_round_mode_16_64 0
		.amdhsa_float_denorm_mode_32 3
		.amdhsa_float_denorm_mode_16_64 3
		.amdhsa_dx10_clamp 1
		.amdhsa_ieee_mode 1
		.amdhsa_fp16_overflow 0
		.amdhsa_tg_split 0
		.amdhsa_exception_fp_ieee_invalid_op 0
		.amdhsa_exception_fp_denorm_src 0
		.amdhsa_exception_fp_ieee_div_zero 0
		.amdhsa_exception_fp_ieee_overflow 0
		.amdhsa_exception_fp_ieee_underflow 0
		.amdhsa_exception_fp_ieee_inexact 0
		.amdhsa_exception_int_div_zero 0
	.end_amdhsa_kernel
	.section	.text._ZN7rocprim17ROCPRIM_400000_NS6detail17trampoline_kernelINS0_14default_configENS1_38merge_sort_block_merge_config_selectorIalEEZZNS1_27merge_sort_block_merge_implIS3_PaN6thrust23THRUST_200600_302600_NS10device_ptrIlEEjNS1_19radix_merge_compareILb0ELb0EaNS0_19identity_decomposerEEEEE10hipError_tT0_T1_T2_jT3_P12ihipStream_tbPNSt15iterator_traitsISG_E10value_typeEPNSM_ISH_E10value_typeEPSI_NS1_7vsmem_tEENKUlT_SG_SH_SI_E_clIS7_S7_PlSB_EESF_SV_SG_SH_SI_EUlSV_E_NS1_11comp_targetILNS1_3genE0ELNS1_11target_archE4294967295ELNS1_3gpuE0ELNS1_3repE0EEENS1_48merge_mergepath_partition_config_static_selectorELNS0_4arch9wavefront6targetE1EEEvSH_,"axG",@progbits,_ZN7rocprim17ROCPRIM_400000_NS6detail17trampoline_kernelINS0_14default_configENS1_38merge_sort_block_merge_config_selectorIalEEZZNS1_27merge_sort_block_merge_implIS3_PaN6thrust23THRUST_200600_302600_NS10device_ptrIlEEjNS1_19radix_merge_compareILb0ELb0EaNS0_19identity_decomposerEEEEE10hipError_tT0_T1_T2_jT3_P12ihipStream_tbPNSt15iterator_traitsISG_E10value_typeEPNSM_ISH_E10value_typeEPSI_NS1_7vsmem_tEENKUlT_SG_SH_SI_E_clIS7_S7_PlSB_EESF_SV_SG_SH_SI_EUlSV_E_NS1_11comp_targetILNS1_3genE0ELNS1_11target_archE4294967295ELNS1_3gpuE0ELNS1_3repE0EEENS1_48merge_mergepath_partition_config_static_selectorELNS0_4arch9wavefront6targetE1EEEvSH_,comdat
.Lfunc_end478:
	.size	_ZN7rocprim17ROCPRIM_400000_NS6detail17trampoline_kernelINS0_14default_configENS1_38merge_sort_block_merge_config_selectorIalEEZZNS1_27merge_sort_block_merge_implIS3_PaN6thrust23THRUST_200600_302600_NS10device_ptrIlEEjNS1_19radix_merge_compareILb0ELb0EaNS0_19identity_decomposerEEEEE10hipError_tT0_T1_T2_jT3_P12ihipStream_tbPNSt15iterator_traitsISG_E10value_typeEPNSM_ISH_E10value_typeEPSI_NS1_7vsmem_tEENKUlT_SG_SH_SI_E_clIS7_S7_PlSB_EESF_SV_SG_SH_SI_EUlSV_E_NS1_11comp_targetILNS1_3genE0ELNS1_11target_archE4294967295ELNS1_3gpuE0ELNS1_3repE0EEENS1_48merge_mergepath_partition_config_static_selectorELNS0_4arch9wavefront6targetE1EEEvSH_, .Lfunc_end478-_ZN7rocprim17ROCPRIM_400000_NS6detail17trampoline_kernelINS0_14default_configENS1_38merge_sort_block_merge_config_selectorIalEEZZNS1_27merge_sort_block_merge_implIS3_PaN6thrust23THRUST_200600_302600_NS10device_ptrIlEEjNS1_19radix_merge_compareILb0ELb0EaNS0_19identity_decomposerEEEEE10hipError_tT0_T1_T2_jT3_P12ihipStream_tbPNSt15iterator_traitsISG_E10value_typeEPNSM_ISH_E10value_typeEPSI_NS1_7vsmem_tEENKUlT_SG_SH_SI_E_clIS7_S7_PlSB_EESF_SV_SG_SH_SI_EUlSV_E_NS1_11comp_targetILNS1_3genE0ELNS1_11target_archE4294967295ELNS1_3gpuE0ELNS1_3repE0EEENS1_48merge_mergepath_partition_config_static_selectorELNS0_4arch9wavefront6targetE1EEEvSH_
                                        ; -- End function
	.section	.AMDGPU.csdata,"",@progbits
; Kernel info:
; codeLenInByte = 0
; NumSgprs: 4
; NumVgprs: 0
; NumAgprs: 0
; TotalNumVgprs: 0
; ScratchSize: 0
; MemoryBound: 0
; FloatMode: 240
; IeeeMode: 1
; LDSByteSize: 0 bytes/workgroup (compile time only)
; SGPRBlocks: 0
; VGPRBlocks: 0
; NumSGPRsForWavesPerEU: 4
; NumVGPRsForWavesPerEU: 1
; AccumOffset: 4
; Occupancy: 8
; WaveLimiterHint : 0
; COMPUTE_PGM_RSRC2:SCRATCH_EN: 0
; COMPUTE_PGM_RSRC2:USER_SGPR: 6
; COMPUTE_PGM_RSRC2:TRAP_HANDLER: 0
; COMPUTE_PGM_RSRC2:TGID_X_EN: 1
; COMPUTE_PGM_RSRC2:TGID_Y_EN: 0
; COMPUTE_PGM_RSRC2:TGID_Z_EN: 0
; COMPUTE_PGM_RSRC2:TIDIG_COMP_CNT: 0
; COMPUTE_PGM_RSRC3_GFX90A:ACCUM_OFFSET: 0
; COMPUTE_PGM_RSRC3_GFX90A:TG_SPLIT: 0
	.section	.text._ZN7rocprim17ROCPRIM_400000_NS6detail17trampoline_kernelINS0_14default_configENS1_38merge_sort_block_merge_config_selectorIalEEZZNS1_27merge_sort_block_merge_implIS3_PaN6thrust23THRUST_200600_302600_NS10device_ptrIlEEjNS1_19radix_merge_compareILb0ELb0EaNS0_19identity_decomposerEEEEE10hipError_tT0_T1_T2_jT3_P12ihipStream_tbPNSt15iterator_traitsISG_E10value_typeEPNSM_ISH_E10value_typeEPSI_NS1_7vsmem_tEENKUlT_SG_SH_SI_E_clIS7_S7_PlSB_EESF_SV_SG_SH_SI_EUlSV_E_NS1_11comp_targetILNS1_3genE10ELNS1_11target_archE1201ELNS1_3gpuE5ELNS1_3repE0EEENS1_48merge_mergepath_partition_config_static_selectorELNS0_4arch9wavefront6targetE1EEEvSH_,"axG",@progbits,_ZN7rocprim17ROCPRIM_400000_NS6detail17trampoline_kernelINS0_14default_configENS1_38merge_sort_block_merge_config_selectorIalEEZZNS1_27merge_sort_block_merge_implIS3_PaN6thrust23THRUST_200600_302600_NS10device_ptrIlEEjNS1_19radix_merge_compareILb0ELb0EaNS0_19identity_decomposerEEEEE10hipError_tT0_T1_T2_jT3_P12ihipStream_tbPNSt15iterator_traitsISG_E10value_typeEPNSM_ISH_E10value_typeEPSI_NS1_7vsmem_tEENKUlT_SG_SH_SI_E_clIS7_S7_PlSB_EESF_SV_SG_SH_SI_EUlSV_E_NS1_11comp_targetILNS1_3genE10ELNS1_11target_archE1201ELNS1_3gpuE5ELNS1_3repE0EEENS1_48merge_mergepath_partition_config_static_selectorELNS0_4arch9wavefront6targetE1EEEvSH_,comdat
	.protected	_ZN7rocprim17ROCPRIM_400000_NS6detail17trampoline_kernelINS0_14default_configENS1_38merge_sort_block_merge_config_selectorIalEEZZNS1_27merge_sort_block_merge_implIS3_PaN6thrust23THRUST_200600_302600_NS10device_ptrIlEEjNS1_19radix_merge_compareILb0ELb0EaNS0_19identity_decomposerEEEEE10hipError_tT0_T1_T2_jT3_P12ihipStream_tbPNSt15iterator_traitsISG_E10value_typeEPNSM_ISH_E10value_typeEPSI_NS1_7vsmem_tEENKUlT_SG_SH_SI_E_clIS7_S7_PlSB_EESF_SV_SG_SH_SI_EUlSV_E_NS1_11comp_targetILNS1_3genE10ELNS1_11target_archE1201ELNS1_3gpuE5ELNS1_3repE0EEENS1_48merge_mergepath_partition_config_static_selectorELNS0_4arch9wavefront6targetE1EEEvSH_ ; -- Begin function _ZN7rocprim17ROCPRIM_400000_NS6detail17trampoline_kernelINS0_14default_configENS1_38merge_sort_block_merge_config_selectorIalEEZZNS1_27merge_sort_block_merge_implIS3_PaN6thrust23THRUST_200600_302600_NS10device_ptrIlEEjNS1_19radix_merge_compareILb0ELb0EaNS0_19identity_decomposerEEEEE10hipError_tT0_T1_T2_jT3_P12ihipStream_tbPNSt15iterator_traitsISG_E10value_typeEPNSM_ISH_E10value_typeEPSI_NS1_7vsmem_tEENKUlT_SG_SH_SI_E_clIS7_S7_PlSB_EESF_SV_SG_SH_SI_EUlSV_E_NS1_11comp_targetILNS1_3genE10ELNS1_11target_archE1201ELNS1_3gpuE5ELNS1_3repE0EEENS1_48merge_mergepath_partition_config_static_selectorELNS0_4arch9wavefront6targetE1EEEvSH_
	.globl	_ZN7rocprim17ROCPRIM_400000_NS6detail17trampoline_kernelINS0_14default_configENS1_38merge_sort_block_merge_config_selectorIalEEZZNS1_27merge_sort_block_merge_implIS3_PaN6thrust23THRUST_200600_302600_NS10device_ptrIlEEjNS1_19radix_merge_compareILb0ELb0EaNS0_19identity_decomposerEEEEE10hipError_tT0_T1_T2_jT3_P12ihipStream_tbPNSt15iterator_traitsISG_E10value_typeEPNSM_ISH_E10value_typeEPSI_NS1_7vsmem_tEENKUlT_SG_SH_SI_E_clIS7_S7_PlSB_EESF_SV_SG_SH_SI_EUlSV_E_NS1_11comp_targetILNS1_3genE10ELNS1_11target_archE1201ELNS1_3gpuE5ELNS1_3repE0EEENS1_48merge_mergepath_partition_config_static_selectorELNS0_4arch9wavefront6targetE1EEEvSH_
	.p2align	8
	.type	_ZN7rocprim17ROCPRIM_400000_NS6detail17trampoline_kernelINS0_14default_configENS1_38merge_sort_block_merge_config_selectorIalEEZZNS1_27merge_sort_block_merge_implIS3_PaN6thrust23THRUST_200600_302600_NS10device_ptrIlEEjNS1_19radix_merge_compareILb0ELb0EaNS0_19identity_decomposerEEEEE10hipError_tT0_T1_T2_jT3_P12ihipStream_tbPNSt15iterator_traitsISG_E10value_typeEPNSM_ISH_E10value_typeEPSI_NS1_7vsmem_tEENKUlT_SG_SH_SI_E_clIS7_S7_PlSB_EESF_SV_SG_SH_SI_EUlSV_E_NS1_11comp_targetILNS1_3genE10ELNS1_11target_archE1201ELNS1_3gpuE5ELNS1_3repE0EEENS1_48merge_mergepath_partition_config_static_selectorELNS0_4arch9wavefront6targetE1EEEvSH_,@function
_ZN7rocprim17ROCPRIM_400000_NS6detail17trampoline_kernelINS0_14default_configENS1_38merge_sort_block_merge_config_selectorIalEEZZNS1_27merge_sort_block_merge_implIS3_PaN6thrust23THRUST_200600_302600_NS10device_ptrIlEEjNS1_19radix_merge_compareILb0ELb0EaNS0_19identity_decomposerEEEEE10hipError_tT0_T1_T2_jT3_P12ihipStream_tbPNSt15iterator_traitsISG_E10value_typeEPNSM_ISH_E10value_typeEPSI_NS1_7vsmem_tEENKUlT_SG_SH_SI_E_clIS7_S7_PlSB_EESF_SV_SG_SH_SI_EUlSV_E_NS1_11comp_targetILNS1_3genE10ELNS1_11target_archE1201ELNS1_3gpuE5ELNS1_3repE0EEENS1_48merge_mergepath_partition_config_static_selectorELNS0_4arch9wavefront6targetE1EEEvSH_: ; @_ZN7rocprim17ROCPRIM_400000_NS6detail17trampoline_kernelINS0_14default_configENS1_38merge_sort_block_merge_config_selectorIalEEZZNS1_27merge_sort_block_merge_implIS3_PaN6thrust23THRUST_200600_302600_NS10device_ptrIlEEjNS1_19radix_merge_compareILb0ELb0EaNS0_19identity_decomposerEEEEE10hipError_tT0_T1_T2_jT3_P12ihipStream_tbPNSt15iterator_traitsISG_E10value_typeEPNSM_ISH_E10value_typeEPSI_NS1_7vsmem_tEENKUlT_SG_SH_SI_E_clIS7_S7_PlSB_EESF_SV_SG_SH_SI_EUlSV_E_NS1_11comp_targetILNS1_3genE10ELNS1_11target_archE1201ELNS1_3gpuE5ELNS1_3repE0EEENS1_48merge_mergepath_partition_config_static_selectorELNS0_4arch9wavefront6targetE1EEEvSH_
; %bb.0:
	.section	.rodata,"a",@progbits
	.p2align	6, 0x0
	.amdhsa_kernel _ZN7rocprim17ROCPRIM_400000_NS6detail17trampoline_kernelINS0_14default_configENS1_38merge_sort_block_merge_config_selectorIalEEZZNS1_27merge_sort_block_merge_implIS3_PaN6thrust23THRUST_200600_302600_NS10device_ptrIlEEjNS1_19radix_merge_compareILb0ELb0EaNS0_19identity_decomposerEEEEE10hipError_tT0_T1_T2_jT3_P12ihipStream_tbPNSt15iterator_traitsISG_E10value_typeEPNSM_ISH_E10value_typeEPSI_NS1_7vsmem_tEENKUlT_SG_SH_SI_E_clIS7_S7_PlSB_EESF_SV_SG_SH_SI_EUlSV_E_NS1_11comp_targetILNS1_3genE10ELNS1_11target_archE1201ELNS1_3gpuE5ELNS1_3repE0EEENS1_48merge_mergepath_partition_config_static_selectorELNS0_4arch9wavefront6targetE1EEEvSH_
		.amdhsa_group_segment_fixed_size 0
		.amdhsa_private_segment_fixed_size 0
		.amdhsa_kernarg_size 40
		.amdhsa_user_sgpr_count 6
		.amdhsa_user_sgpr_private_segment_buffer 1
		.amdhsa_user_sgpr_dispatch_ptr 0
		.amdhsa_user_sgpr_queue_ptr 0
		.amdhsa_user_sgpr_kernarg_segment_ptr 1
		.amdhsa_user_sgpr_dispatch_id 0
		.amdhsa_user_sgpr_flat_scratch_init 0
		.amdhsa_user_sgpr_kernarg_preload_length 0
		.amdhsa_user_sgpr_kernarg_preload_offset 0
		.amdhsa_user_sgpr_private_segment_size 0
		.amdhsa_uses_dynamic_stack 0
		.amdhsa_system_sgpr_private_segment_wavefront_offset 0
		.amdhsa_system_sgpr_workgroup_id_x 1
		.amdhsa_system_sgpr_workgroup_id_y 0
		.amdhsa_system_sgpr_workgroup_id_z 0
		.amdhsa_system_sgpr_workgroup_info 0
		.amdhsa_system_vgpr_workitem_id 0
		.amdhsa_next_free_vgpr 1
		.amdhsa_next_free_sgpr 0
		.amdhsa_accum_offset 4
		.amdhsa_reserve_vcc 0
		.amdhsa_reserve_flat_scratch 0
		.amdhsa_float_round_mode_32 0
		.amdhsa_float_round_mode_16_64 0
		.amdhsa_float_denorm_mode_32 3
		.amdhsa_float_denorm_mode_16_64 3
		.amdhsa_dx10_clamp 1
		.amdhsa_ieee_mode 1
		.amdhsa_fp16_overflow 0
		.amdhsa_tg_split 0
		.amdhsa_exception_fp_ieee_invalid_op 0
		.amdhsa_exception_fp_denorm_src 0
		.amdhsa_exception_fp_ieee_div_zero 0
		.amdhsa_exception_fp_ieee_overflow 0
		.amdhsa_exception_fp_ieee_underflow 0
		.amdhsa_exception_fp_ieee_inexact 0
		.amdhsa_exception_int_div_zero 0
	.end_amdhsa_kernel
	.section	.text._ZN7rocprim17ROCPRIM_400000_NS6detail17trampoline_kernelINS0_14default_configENS1_38merge_sort_block_merge_config_selectorIalEEZZNS1_27merge_sort_block_merge_implIS3_PaN6thrust23THRUST_200600_302600_NS10device_ptrIlEEjNS1_19radix_merge_compareILb0ELb0EaNS0_19identity_decomposerEEEEE10hipError_tT0_T1_T2_jT3_P12ihipStream_tbPNSt15iterator_traitsISG_E10value_typeEPNSM_ISH_E10value_typeEPSI_NS1_7vsmem_tEENKUlT_SG_SH_SI_E_clIS7_S7_PlSB_EESF_SV_SG_SH_SI_EUlSV_E_NS1_11comp_targetILNS1_3genE10ELNS1_11target_archE1201ELNS1_3gpuE5ELNS1_3repE0EEENS1_48merge_mergepath_partition_config_static_selectorELNS0_4arch9wavefront6targetE1EEEvSH_,"axG",@progbits,_ZN7rocprim17ROCPRIM_400000_NS6detail17trampoline_kernelINS0_14default_configENS1_38merge_sort_block_merge_config_selectorIalEEZZNS1_27merge_sort_block_merge_implIS3_PaN6thrust23THRUST_200600_302600_NS10device_ptrIlEEjNS1_19radix_merge_compareILb0ELb0EaNS0_19identity_decomposerEEEEE10hipError_tT0_T1_T2_jT3_P12ihipStream_tbPNSt15iterator_traitsISG_E10value_typeEPNSM_ISH_E10value_typeEPSI_NS1_7vsmem_tEENKUlT_SG_SH_SI_E_clIS7_S7_PlSB_EESF_SV_SG_SH_SI_EUlSV_E_NS1_11comp_targetILNS1_3genE10ELNS1_11target_archE1201ELNS1_3gpuE5ELNS1_3repE0EEENS1_48merge_mergepath_partition_config_static_selectorELNS0_4arch9wavefront6targetE1EEEvSH_,comdat
.Lfunc_end479:
	.size	_ZN7rocprim17ROCPRIM_400000_NS6detail17trampoline_kernelINS0_14default_configENS1_38merge_sort_block_merge_config_selectorIalEEZZNS1_27merge_sort_block_merge_implIS3_PaN6thrust23THRUST_200600_302600_NS10device_ptrIlEEjNS1_19radix_merge_compareILb0ELb0EaNS0_19identity_decomposerEEEEE10hipError_tT0_T1_T2_jT3_P12ihipStream_tbPNSt15iterator_traitsISG_E10value_typeEPNSM_ISH_E10value_typeEPSI_NS1_7vsmem_tEENKUlT_SG_SH_SI_E_clIS7_S7_PlSB_EESF_SV_SG_SH_SI_EUlSV_E_NS1_11comp_targetILNS1_3genE10ELNS1_11target_archE1201ELNS1_3gpuE5ELNS1_3repE0EEENS1_48merge_mergepath_partition_config_static_selectorELNS0_4arch9wavefront6targetE1EEEvSH_, .Lfunc_end479-_ZN7rocprim17ROCPRIM_400000_NS6detail17trampoline_kernelINS0_14default_configENS1_38merge_sort_block_merge_config_selectorIalEEZZNS1_27merge_sort_block_merge_implIS3_PaN6thrust23THRUST_200600_302600_NS10device_ptrIlEEjNS1_19radix_merge_compareILb0ELb0EaNS0_19identity_decomposerEEEEE10hipError_tT0_T1_T2_jT3_P12ihipStream_tbPNSt15iterator_traitsISG_E10value_typeEPNSM_ISH_E10value_typeEPSI_NS1_7vsmem_tEENKUlT_SG_SH_SI_E_clIS7_S7_PlSB_EESF_SV_SG_SH_SI_EUlSV_E_NS1_11comp_targetILNS1_3genE10ELNS1_11target_archE1201ELNS1_3gpuE5ELNS1_3repE0EEENS1_48merge_mergepath_partition_config_static_selectorELNS0_4arch9wavefront6targetE1EEEvSH_
                                        ; -- End function
	.section	.AMDGPU.csdata,"",@progbits
; Kernel info:
; codeLenInByte = 0
; NumSgprs: 4
; NumVgprs: 0
; NumAgprs: 0
; TotalNumVgprs: 0
; ScratchSize: 0
; MemoryBound: 0
; FloatMode: 240
; IeeeMode: 1
; LDSByteSize: 0 bytes/workgroup (compile time only)
; SGPRBlocks: 0
; VGPRBlocks: 0
; NumSGPRsForWavesPerEU: 4
; NumVGPRsForWavesPerEU: 1
; AccumOffset: 4
; Occupancy: 8
; WaveLimiterHint : 0
; COMPUTE_PGM_RSRC2:SCRATCH_EN: 0
; COMPUTE_PGM_RSRC2:USER_SGPR: 6
; COMPUTE_PGM_RSRC2:TRAP_HANDLER: 0
; COMPUTE_PGM_RSRC2:TGID_X_EN: 1
; COMPUTE_PGM_RSRC2:TGID_Y_EN: 0
; COMPUTE_PGM_RSRC2:TGID_Z_EN: 0
; COMPUTE_PGM_RSRC2:TIDIG_COMP_CNT: 0
; COMPUTE_PGM_RSRC3_GFX90A:ACCUM_OFFSET: 0
; COMPUTE_PGM_RSRC3_GFX90A:TG_SPLIT: 0
	.section	.text._ZN7rocprim17ROCPRIM_400000_NS6detail17trampoline_kernelINS0_14default_configENS1_38merge_sort_block_merge_config_selectorIalEEZZNS1_27merge_sort_block_merge_implIS3_PaN6thrust23THRUST_200600_302600_NS10device_ptrIlEEjNS1_19radix_merge_compareILb0ELb0EaNS0_19identity_decomposerEEEEE10hipError_tT0_T1_T2_jT3_P12ihipStream_tbPNSt15iterator_traitsISG_E10value_typeEPNSM_ISH_E10value_typeEPSI_NS1_7vsmem_tEENKUlT_SG_SH_SI_E_clIS7_S7_PlSB_EESF_SV_SG_SH_SI_EUlSV_E_NS1_11comp_targetILNS1_3genE5ELNS1_11target_archE942ELNS1_3gpuE9ELNS1_3repE0EEENS1_48merge_mergepath_partition_config_static_selectorELNS0_4arch9wavefront6targetE1EEEvSH_,"axG",@progbits,_ZN7rocprim17ROCPRIM_400000_NS6detail17trampoline_kernelINS0_14default_configENS1_38merge_sort_block_merge_config_selectorIalEEZZNS1_27merge_sort_block_merge_implIS3_PaN6thrust23THRUST_200600_302600_NS10device_ptrIlEEjNS1_19radix_merge_compareILb0ELb0EaNS0_19identity_decomposerEEEEE10hipError_tT0_T1_T2_jT3_P12ihipStream_tbPNSt15iterator_traitsISG_E10value_typeEPNSM_ISH_E10value_typeEPSI_NS1_7vsmem_tEENKUlT_SG_SH_SI_E_clIS7_S7_PlSB_EESF_SV_SG_SH_SI_EUlSV_E_NS1_11comp_targetILNS1_3genE5ELNS1_11target_archE942ELNS1_3gpuE9ELNS1_3repE0EEENS1_48merge_mergepath_partition_config_static_selectorELNS0_4arch9wavefront6targetE1EEEvSH_,comdat
	.protected	_ZN7rocprim17ROCPRIM_400000_NS6detail17trampoline_kernelINS0_14default_configENS1_38merge_sort_block_merge_config_selectorIalEEZZNS1_27merge_sort_block_merge_implIS3_PaN6thrust23THRUST_200600_302600_NS10device_ptrIlEEjNS1_19radix_merge_compareILb0ELb0EaNS0_19identity_decomposerEEEEE10hipError_tT0_T1_T2_jT3_P12ihipStream_tbPNSt15iterator_traitsISG_E10value_typeEPNSM_ISH_E10value_typeEPSI_NS1_7vsmem_tEENKUlT_SG_SH_SI_E_clIS7_S7_PlSB_EESF_SV_SG_SH_SI_EUlSV_E_NS1_11comp_targetILNS1_3genE5ELNS1_11target_archE942ELNS1_3gpuE9ELNS1_3repE0EEENS1_48merge_mergepath_partition_config_static_selectorELNS0_4arch9wavefront6targetE1EEEvSH_ ; -- Begin function _ZN7rocprim17ROCPRIM_400000_NS6detail17trampoline_kernelINS0_14default_configENS1_38merge_sort_block_merge_config_selectorIalEEZZNS1_27merge_sort_block_merge_implIS3_PaN6thrust23THRUST_200600_302600_NS10device_ptrIlEEjNS1_19radix_merge_compareILb0ELb0EaNS0_19identity_decomposerEEEEE10hipError_tT0_T1_T2_jT3_P12ihipStream_tbPNSt15iterator_traitsISG_E10value_typeEPNSM_ISH_E10value_typeEPSI_NS1_7vsmem_tEENKUlT_SG_SH_SI_E_clIS7_S7_PlSB_EESF_SV_SG_SH_SI_EUlSV_E_NS1_11comp_targetILNS1_3genE5ELNS1_11target_archE942ELNS1_3gpuE9ELNS1_3repE0EEENS1_48merge_mergepath_partition_config_static_selectorELNS0_4arch9wavefront6targetE1EEEvSH_
	.globl	_ZN7rocprim17ROCPRIM_400000_NS6detail17trampoline_kernelINS0_14default_configENS1_38merge_sort_block_merge_config_selectorIalEEZZNS1_27merge_sort_block_merge_implIS3_PaN6thrust23THRUST_200600_302600_NS10device_ptrIlEEjNS1_19radix_merge_compareILb0ELb0EaNS0_19identity_decomposerEEEEE10hipError_tT0_T1_T2_jT3_P12ihipStream_tbPNSt15iterator_traitsISG_E10value_typeEPNSM_ISH_E10value_typeEPSI_NS1_7vsmem_tEENKUlT_SG_SH_SI_E_clIS7_S7_PlSB_EESF_SV_SG_SH_SI_EUlSV_E_NS1_11comp_targetILNS1_3genE5ELNS1_11target_archE942ELNS1_3gpuE9ELNS1_3repE0EEENS1_48merge_mergepath_partition_config_static_selectorELNS0_4arch9wavefront6targetE1EEEvSH_
	.p2align	8
	.type	_ZN7rocprim17ROCPRIM_400000_NS6detail17trampoline_kernelINS0_14default_configENS1_38merge_sort_block_merge_config_selectorIalEEZZNS1_27merge_sort_block_merge_implIS3_PaN6thrust23THRUST_200600_302600_NS10device_ptrIlEEjNS1_19radix_merge_compareILb0ELb0EaNS0_19identity_decomposerEEEEE10hipError_tT0_T1_T2_jT3_P12ihipStream_tbPNSt15iterator_traitsISG_E10value_typeEPNSM_ISH_E10value_typeEPSI_NS1_7vsmem_tEENKUlT_SG_SH_SI_E_clIS7_S7_PlSB_EESF_SV_SG_SH_SI_EUlSV_E_NS1_11comp_targetILNS1_3genE5ELNS1_11target_archE942ELNS1_3gpuE9ELNS1_3repE0EEENS1_48merge_mergepath_partition_config_static_selectorELNS0_4arch9wavefront6targetE1EEEvSH_,@function
_ZN7rocprim17ROCPRIM_400000_NS6detail17trampoline_kernelINS0_14default_configENS1_38merge_sort_block_merge_config_selectorIalEEZZNS1_27merge_sort_block_merge_implIS3_PaN6thrust23THRUST_200600_302600_NS10device_ptrIlEEjNS1_19radix_merge_compareILb0ELb0EaNS0_19identity_decomposerEEEEE10hipError_tT0_T1_T2_jT3_P12ihipStream_tbPNSt15iterator_traitsISG_E10value_typeEPNSM_ISH_E10value_typeEPSI_NS1_7vsmem_tEENKUlT_SG_SH_SI_E_clIS7_S7_PlSB_EESF_SV_SG_SH_SI_EUlSV_E_NS1_11comp_targetILNS1_3genE5ELNS1_11target_archE942ELNS1_3gpuE9ELNS1_3repE0EEENS1_48merge_mergepath_partition_config_static_selectorELNS0_4arch9wavefront6targetE1EEEvSH_: ; @_ZN7rocprim17ROCPRIM_400000_NS6detail17trampoline_kernelINS0_14default_configENS1_38merge_sort_block_merge_config_selectorIalEEZZNS1_27merge_sort_block_merge_implIS3_PaN6thrust23THRUST_200600_302600_NS10device_ptrIlEEjNS1_19radix_merge_compareILb0ELb0EaNS0_19identity_decomposerEEEEE10hipError_tT0_T1_T2_jT3_P12ihipStream_tbPNSt15iterator_traitsISG_E10value_typeEPNSM_ISH_E10value_typeEPSI_NS1_7vsmem_tEENKUlT_SG_SH_SI_E_clIS7_S7_PlSB_EESF_SV_SG_SH_SI_EUlSV_E_NS1_11comp_targetILNS1_3genE5ELNS1_11target_archE942ELNS1_3gpuE9ELNS1_3repE0EEENS1_48merge_mergepath_partition_config_static_selectorELNS0_4arch9wavefront6targetE1EEEvSH_
; %bb.0:
	.section	.rodata,"a",@progbits
	.p2align	6, 0x0
	.amdhsa_kernel _ZN7rocprim17ROCPRIM_400000_NS6detail17trampoline_kernelINS0_14default_configENS1_38merge_sort_block_merge_config_selectorIalEEZZNS1_27merge_sort_block_merge_implIS3_PaN6thrust23THRUST_200600_302600_NS10device_ptrIlEEjNS1_19radix_merge_compareILb0ELb0EaNS0_19identity_decomposerEEEEE10hipError_tT0_T1_T2_jT3_P12ihipStream_tbPNSt15iterator_traitsISG_E10value_typeEPNSM_ISH_E10value_typeEPSI_NS1_7vsmem_tEENKUlT_SG_SH_SI_E_clIS7_S7_PlSB_EESF_SV_SG_SH_SI_EUlSV_E_NS1_11comp_targetILNS1_3genE5ELNS1_11target_archE942ELNS1_3gpuE9ELNS1_3repE0EEENS1_48merge_mergepath_partition_config_static_selectorELNS0_4arch9wavefront6targetE1EEEvSH_
		.amdhsa_group_segment_fixed_size 0
		.amdhsa_private_segment_fixed_size 0
		.amdhsa_kernarg_size 40
		.amdhsa_user_sgpr_count 6
		.amdhsa_user_sgpr_private_segment_buffer 1
		.amdhsa_user_sgpr_dispatch_ptr 0
		.amdhsa_user_sgpr_queue_ptr 0
		.amdhsa_user_sgpr_kernarg_segment_ptr 1
		.amdhsa_user_sgpr_dispatch_id 0
		.amdhsa_user_sgpr_flat_scratch_init 0
		.amdhsa_user_sgpr_kernarg_preload_length 0
		.amdhsa_user_sgpr_kernarg_preload_offset 0
		.amdhsa_user_sgpr_private_segment_size 0
		.amdhsa_uses_dynamic_stack 0
		.amdhsa_system_sgpr_private_segment_wavefront_offset 0
		.amdhsa_system_sgpr_workgroup_id_x 1
		.amdhsa_system_sgpr_workgroup_id_y 0
		.amdhsa_system_sgpr_workgroup_id_z 0
		.amdhsa_system_sgpr_workgroup_info 0
		.amdhsa_system_vgpr_workitem_id 0
		.amdhsa_next_free_vgpr 1
		.amdhsa_next_free_sgpr 0
		.amdhsa_accum_offset 4
		.amdhsa_reserve_vcc 0
		.amdhsa_reserve_flat_scratch 0
		.amdhsa_float_round_mode_32 0
		.amdhsa_float_round_mode_16_64 0
		.amdhsa_float_denorm_mode_32 3
		.amdhsa_float_denorm_mode_16_64 3
		.amdhsa_dx10_clamp 1
		.amdhsa_ieee_mode 1
		.amdhsa_fp16_overflow 0
		.amdhsa_tg_split 0
		.amdhsa_exception_fp_ieee_invalid_op 0
		.amdhsa_exception_fp_denorm_src 0
		.amdhsa_exception_fp_ieee_div_zero 0
		.amdhsa_exception_fp_ieee_overflow 0
		.amdhsa_exception_fp_ieee_underflow 0
		.amdhsa_exception_fp_ieee_inexact 0
		.amdhsa_exception_int_div_zero 0
	.end_amdhsa_kernel
	.section	.text._ZN7rocprim17ROCPRIM_400000_NS6detail17trampoline_kernelINS0_14default_configENS1_38merge_sort_block_merge_config_selectorIalEEZZNS1_27merge_sort_block_merge_implIS3_PaN6thrust23THRUST_200600_302600_NS10device_ptrIlEEjNS1_19radix_merge_compareILb0ELb0EaNS0_19identity_decomposerEEEEE10hipError_tT0_T1_T2_jT3_P12ihipStream_tbPNSt15iterator_traitsISG_E10value_typeEPNSM_ISH_E10value_typeEPSI_NS1_7vsmem_tEENKUlT_SG_SH_SI_E_clIS7_S7_PlSB_EESF_SV_SG_SH_SI_EUlSV_E_NS1_11comp_targetILNS1_3genE5ELNS1_11target_archE942ELNS1_3gpuE9ELNS1_3repE0EEENS1_48merge_mergepath_partition_config_static_selectorELNS0_4arch9wavefront6targetE1EEEvSH_,"axG",@progbits,_ZN7rocprim17ROCPRIM_400000_NS6detail17trampoline_kernelINS0_14default_configENS1_38merge_sort_block_merge_config_selectorIalEEZZNS1_27merge_sort_block_merge_implIS3_PaN6thrust23THRUST_200600_302600_NS10device_ptrIlEEjNS1_19radix_merge_compareILb0ELb0EaNS0_19identity_decomposerEEEEE10hipError_tT0_T1_T2_jT3_P12ihipStream_tbPNSt15iterator_traitsISG_E10value_typeEPNSM_ISH_E10value_typeEPSI_NS1_7vsmem_tEENKUlT_SG_SH_SI_E_clIS7_S7_PlSB_EESF_SV_SG_SH_SI_EUlSV_E_NS1_11comp_targetILNS1_3genE5ELNS1_11target_archE942ELNS1_3gpuE9ELNS1_3repE0EEENS1_48merge_mergepath_partition_config_static_selectorELNS0_4arch9wavefront6targetE1EEEvSH_,comdat
.Lfunc_end480:
	.size	_ZN7rocprim17ROCPRIM_400000_NS6detail17trampoline_kernelINS0_14default_configENS1_38merge_sort_block_merge_config_selectorIalEEZZNS1_27merge_sort_block_merge_implIS3_PaN6thrust23THRUST_200600_302600_NS10device_ptrIlEEjNS1_19radix_merge_compareILb0ELb0EaNS0_19identity_decomposerEEEEE10hipError_tT0_T1_T2_jT3_P12ihipStream_tbPNSt15iterator_traitsISG_E10value_typeEPNSM_ISH_E10value_typeEPSI_NS1_7vsmem_tEENKUlT_SG_SH_SI_E_clIS7_S7_PlSB_EESF_SV_SG_SH_SI_EUlSV_E_NS1_11comp_targetILNS1_3genE5ELNS1_11target_archE942ELNS1_3gpuE9ELNS1_3repE0EEENS1_48merge_mergepath_partition_config_static_selectorELNS0_4arch9wavefront6targetE1EEEvSH_, .Lfunc_end480-_ZN7rocprim17ROCPRIM_400000_NS6detail17trampoline_kernelINS0_14default_configENS1_38merge_sort_block_merge_config_selectorIalEEZZNS1_27merge_sort_block_merge_implIS3_PaN6thrust23THRUST_200600_302600_NS10device_ptrIlEEjNS1_19radix_merge_compareILb0ELb0EaNS0_19identity_decomposerEEEEE10hipError_tT0_T1_T2_jT3_P12ihipStream_tbPNSt15iterator_traitsISG_E10value_typeEPNSM_ISH_E10value_typeEPSI_NS1_7vsmem_tEENKUlT_SG_SH_SI_E_clIS7_S7_PlSB_EESF_SV_SG_SH_SI_EUlSV_E_NS1_11comp_targetILNS1_3genE5ELNS1_11target_archE942ELNS1_3gpuE9ELNS1_3repE0EEENS1_48merge_mergepath_partition_config_static_selectorELNS0_4arch9wavefront6targetE1EEEvSH_
                                        ; -- End function
	.section	.AMDGPU.csdata,"",@progbits
; Kernel info:
; codeLenInByte = 0
; NumSgprs: 4
; NumVgprs: 0
; NumAgprs: 0
; TotalNumVgprs: 0
; ScratchSize: 0
; MemoryBound: 0
; FloatMode: 240
; IeeeMode: 1
; LDSByteSize: 0 bytes/workgroup (compile time only)
; SGPRBlocks: 0
; VGPRBlocks: 0
; NumSGPRsForWavesPerEU: 4
; NumVGPRsForWavesPerEU: 1
; AccumOffset: 4
; Occupancy: 8
; WaveLimiterHint : 0
; COMPUTE_PGM_RSRC2:SCRATCH_EN: 0
; COMPUTE_PGM_RSRC2:USER_SGPR: 6
; COMPUTE_PGM_RSRC2:TRAP_HANDLER: 0
; COMPUTE_PGM_RSRC2:TGID_X_EN: 1
; COMPUTE_PGM_RSRC2:TGID_Y_EN: 0
; COMPUTE_PGM_RSRC2:TGID_Z_EN: 0
; COMPUTE_PGM_RSRC2:TIDIG_COMP_CNT: 0
; COMPUTE_PGM_RSRC3_GFX90A:ACCUM_OFFSET: 0
; COMPUTE_PGM_RSRC3_GFX90A:TG_SPLIT: 0
	.section	.text._ZN7rocprim17ROCPRIM_400000_NS6detail17trampoline_kernelINS0_14default_configENS1_38merge_sort_block_merge_config_selectorIalEEZZNS1_27merge_sort_block_merge_implIS3_PaN6thrust23THRUST_200600_302600_NS10device_ptrIlEEjNS1_19radix_merge_compareILb0ELb0EaNS0_19identity_decomposerEEEEE10hipError_tT0_T1_T2_jT3_P12ihipStream_tbPNSt15iterator_traitsISG_E10value_typeEPNSM_ISH_E10value_typeEPSI_NS1_7vsmem_tEENKUlT_SG_SH_SI_E_clIS7_S7_PlSB_EESF_SV_SG_SH_SI_EUlSV_E_NS1_11comp_targetILNS1_3genE4ELNS1_11target_archE910ELNS1_3gpuE8ELNS1_3repE0EEENS1_48merge_mergepath_partition_config_static_selectorELNS0_4arch9wavefront6targetE1EEEvSH_,"axG",@progbits,_ZN7rocprim17ROCPRIM_400000_NS6detail17trampoline_kernelINS0_14default_configENS1_38merge_sort_block_merge_config_selectorIalEEZZNS1_27merge_sort_block_merge_implIS3_PaN6thrust23THRUST_200600_302600_NS10device_ptrIlEEjNS1_19radix_merge_compareILb0ELb0EaNS0_19identity_decomposerEEEEE10hipError_tT0_T1_T2_jT3_P12ihipStream_tbPNSt15iterator_traitsISG_E10value_typeEPNSM_ISH_E10value_typeEPSI_NS1_7vsmem_tEENKUlT_SG_SH_SI_E_clIS7_S7_PlSB_EESF_SV_SG_SH_SI_EUlSV_E_NS1_11comp_targetILNS1_3genE4ELNS1_11target_archE910ELNS1_3gpuE8ELNS1_3repE0EEENS1_48merge_mergepath_partition_config_static_selectorELNS0_4arch9wavefront6targetE1EEEvSH_,comdat
	.protected	_ZN7rocprim17ROCPRIM_400000_NS6detail17trampoline_kernelINS0_14default_configENS1_38merge_sort_block_merge_config_selectorIalEEZZNS1_27merge_sort_block_merge_implIS3_PaN6thrust23THRUST_200600_302600_NS10device_ptrIlEEjNS1_19radix_merge_compareILb0ELb0EaNS0_19identity_decomposerEEEEE10hipError_tT0_T1_T2_jT3_P12ihipStream_tbPNSt15iterator_traitsISG_E10value_typeEPNSM_ISH_E10value_typeEPSI_NS1_7vsmem_tEENKUlT_SG_SH_SI_E_clIS7_S7_PlSB_EESF_SV_SG_SH_SI_EUlSV_E_NS1_11comp_targetILNS1_3genE4ELNS1_11target_archE910ELNS1_3gpuE8ELNS1_3repE0EEENS1_48merge_mergepath_partition_config_static_selectorELNS0_4arch9wavefront6targetE1EEEvSH_ ; -- Begin function _ZN7rocprim17ROCPRIM_400000_NS6detail17trampoline_kernelINS0_14default_configENS1_38merge_sort_block_merge_config_selectorIalEEZZNS1_27merge_sort_block_merge_implIS3_PaN6thrust23THRUST_200600_302600_NS10device_ptrIlEEjNS1_19radix_merge_compareILb0ELb0EaNS0_19identity_decomposerEEEEE10hipError_tT0_T1_T2_jT3_P12ihipStream_tbPNSt15iterator_traitsISG_E10value_typeEPNSM_ISH_E10value_typeEPSI_NS1_7vsmem_tEENKUlT_SG_SH_SI_E_clIS7_S7_PlSB_EESF_SV_SG_SH_SI_EUlSV_E_NS1_11comp_targetILNS1_3genE4ELNS1_11target_archE910ELNS1_3gpuE8ELNS1_3repE0EEENS1_48merge_mergepath_partition_config_static_selectorELNS0_4arch9wavefront6targetE1EEEvSH_
	.globl	_ZN7rocprim17ROCPRIM_400000_NS6detail17trampoline_kernelINS0_14default_configENS1_38merge_sort_block_merge_config_selectorIalEEZZNS1_27merge_sort_block_merge_implIS3_PaN6thrust23THRUST_200600_302600_NS10device_ptrIlEEjNS1_19radix_merge_compareILb0ELb0EaNS0_19identity_decomposerEEEEE10hipError_tT0_T1_T2_jT3_P12ihipStream_tbPNSt15iterator_traitsISG_E10value_typeEPNSM_ISH_E10value_typeEPSI_NS1_7vsmem_tEENKUlT_SG_SH_SI_E_clIS7_S7_PlSB_EESF_SV_SG_SH_SI_EUlSV_E_NS1_11comp_targetILNS1_3genE4ELNS1_11target_archE910ELNS1_3gpuE8ELNS1_3repE0EEENS1_48merge_mergepath_partition_config_static_selectorELNS0_4arch9wavefront6targetE1EEEvSH_
	.p2align	8
	.type	_ZN7rocprim17ROCPRIM_400000_NS6detail17trampoline_kernelINS0_14default_configENS1_38merge_sort_block_merge_config_selectorIalEEZZNS1_27merge_sort_block_merge_implIS3_PaN6thrust23THRUST_200600_302600_NS10device_ptrIlEEjNS1_19radix_merge_compareILb0ELb0EaNS0_19identity_decomposerEEEEE10hipError_tT0_T1_T2_jT3_P12ihipStream_tbPNSt15iterator_traitsISG_E10value_typeEPNSM_ISH_E10value_typeEPSI_NS1_7vsmem_tEENKUlT_SG_SH_SI_E_clIS7_S7_PlSB_EESF_SV_SG_SH_SI_EUlSV_E_NS1_11comp_targetILNS1_3genE4ELNS1_11target_archE910ELNS1_3gpuE8ELNS1_3repE0EEENS1_48merge_mergepath_partition_config_static_selectorELNS0_4arch9wavefront6targetE1EEEvSH_,@function
_ZN7rocprim17ROCPRIM_400000_NS6detail17trampoline_kernelINS0_14default_configENS1_38merge_sort_block_merge_config_selectorIalEEZZNS1_27merge_sort_block_merge_implIS3_PaN6thrust23THRUST_200600_302600_NS10device_ptrIlEEjNS1_19radix_merge_compareILb0ELb0EaNS0_19identity_decomposerEEEEE10hipError_tT0_T1_T2_jT3_P12ihipStream_tbPNSt15iterator_traitsISG_E10value_typeEPNSM_ISH_E10value_typeEPSI_NS1_7vsmem_tEENKUlT_SG_SH_SI_E_clIS7_S7_PlSB_EESF_SV_SG_SH_SI_EUlSV_E_NS1_11comp_targetILNS1_3genE4ELNS1_11target_archE910ELNS1_3gpuE8ELNS1_3repE0EEENS1_48merge_mergepath_partition_config_static_selectorELNS0_4arch9wavefront6targetE1EEEvSH_: ; @_ZN7rocprim17ROCPRIM_400000_NS6detail17trampoline_kernelINS0_14default_configENS1_38merge_sort_block_merge_config_selectorIalEEZZNS1_27merge_sort_block_merge_implIS3_PaN6thrust23THRUST_200600_302600_NS10device_ptrIlEEjNS1_19radix_merge_compareILb0ELb0EaNS0_19identity_decomposerEEEEE10hipError_tT0_T1_T2_jT3_P12ihipStream_tbPNSt15iterator_traitsISG_E10value_typeEPNSM_ISH_E10value_typeEPSI_NS1_7vsmem_tEENKUlT_SG_SH_SI_E_clIS7_S7_PlSB_EESF_SV_SG_SH_SI_EUlSV_E_NS1_11comp_targetILNS1_3genE4ELNS1_11target_archE910ELNS1_3gpuE8ELNS1_3repE0EEENS1_48merge_mergepath_partition_config_static_selectorELNS0_4arch9wavefront6targetE1EEEvSH_
; %bb.0:
	s_load_dword s0, s[4:5], 0x0
	v_lshl_or_b32 v0, s6, 7, v0
	s_waitcnt lgkmcnt(0)
	v_cmp_gt_u32_e32 vcc, s0, v0
	s_and_saveexec_b64 s[0:1], vcc
	s_cbranch_execz .LBB481_6
; %bb.1:
	s_load_dwordx2 s[2:3], s[4:5], 0x4
	s_load_dwordx2 s[0:1], s[4:5], 0x20
	s_waitcnt lgkmcnt(0)
	s_lshr_b32 s6, s2, 9
	s_and_b32 s6, s6, 0x7ffffe
	s_add_i32 s7, s6, -1
	s_sub_i32 s6, 0, s6
	v_and_b32_e32 v1, s6, v0
	v_lshlrev_b32_e32 v3, 10, v1
	v_min_u32_e32 v1, s3, v3
	v_add_u32_e32 v3, s2, v3
	v_min_u32_e32 v7, s3, v3
	v_add_u32_e32 v3, s2, v7
	v_and_b32_e32 v2, s7, v0
	v_min_u32_e32 v4, s3, v3
	v_sub_u32_e32 v3, v4, v1
	v_lshlrev_b32_e32 v2, 10, v2
	v_min_u32_e32 v3, v3, v2
	v_sub_u32_e32 v5, v7, v1
	v_sub_u32_e32 v2, v4, v7
	v_sub_u32_e64 v2, v3, v2 clamp
	v_min_u32_e32 v4, v3, v5
	v_cmp_lt_u32_e32 vcc, v2, v4
	s_and_saveexec_b64 s[2:3], vcc
	s_cbranch_execz .LBB481_5
; %bb.2:
	s_load_dwordx2 s[4:5], s[4:5], 0x10
	s_waitcnt lgkmcnt(0)
	v_mov_b32_e32 v8, s5
	v_add_co_u32_e32 v5, vcc, s4, v1
	v_addc_co_u32_e32 v6, vcc, 0, v8, vcc
	v_add_co_u32_e32 v7, vcc, s4, v7
	v_addc_co_u32_e32 v8, vcc, 0, v8, vcc
	s_mov_b64 s[4:5], 0
.LBB481_3:                              ; =>This Inner Loop Header: Depth=1
	v_add_u32_e32 v9, v4, v2
	v_lshrrev_b32_e32 v9, 1, v9
	v_add_co_u32_e32 v10, vcc, v5, v9
	v_xad_u32 v12, v9, -1, v3
	v_addc_co_u32_e32 v11, vcc, 0, v6, vcc
	v_add_co_u32_e32 v12, vcc, v7, v12
	v_addc_co_u32_e32 v13, vcc, 0, v8, vcc
	global_load_sbyte v14, v[10:11], off
	global_load_sbyte v15, v[12:13], off
	v_add_u32_e32 v10, 1, v9
	s_waitcnt vmcnt(0)
	v_cmp_gt_i16_e32 vcc, v14, v15
	v_cndmask_b32_e32 v4, v4, v9, vcc
	v_cndmask_b32_e32 v2, v10, v2, vcc
	v_cmp_ge_u32_e32 vcc, v2, v4
	s_or_b64 s[4:5], vcc, s[4:5]
	s_andn2_b64 exec, exec, s[4:5]
	s_cbranch_execnz .LBB481_3
; %bb.4:
	s_or_b64 exec, exec, s[4:5]
.LBB481_5:
	s_or_b64 exec, exec, s[2:3]
	v_add_u32_e32 v2, v2, v1
	v_mov_b32_e32 v1, 0
	v_lshlrev_b64 v[0:1], 2, v[0:1]
	v_mov_b32_e32 v3, s1
	v_add_co_u32_e32 v0, vcc, s0, v0
	v_addc_co_u32_e32 v1, vcc, v3, v1, vcc
	global_store_dword v[0:1], v2, off
.LBB481_6:
	s_endpgm
	.section	.rodata,"a",@progbits
	.p2align	6, 0x0
	.amdhsa_kernel _ZN7rocprim17ROCPRIM_400000_NS6detail17trampoline_kernelINS0_14default_configENS1_38merge_sort_block_merge_config_selectorIalEEZZNS1_27merge_sort_block_merge_implIS3_PaN6thrust23THRUST_200600_302600_NS10device_ptrIlEEjNS1_19radix_merge_compareILb0ELb0EaNS0_19identity_decomposerEEEEE10hipError_tT0_T1_T2_jT3_P12ihipStream_tbPNSt15iterator_traitsISG_E10value_typeEPNSM_ISH_E10value_typeEPSI_NS1_7vsmem_tEENKUlT_SG_SH_SI_E_clIS7_S7_PlSB_EESF_SV_SG_SH_SI_EUlSV_E_NS1_11comp_targetILNS1_3genE4ELNS1_11target_archE910ELNS1_3gpuE8ELNS1_3repE0EEENS1_48merge_mergepath_partition_config_static_selectorELNS0_4arch9wavefront6targetE1EEEvSH_
		.amdhsa_group_segment_fixed_size 0
		.amdhsa_private_segment_fixed_size 0
		.amdhsa_kernarg_size 40
		.amdhsa_user_sgpr_count 6
		.amdhsa_user_sgpr_private_segment_buffer 1
		.amdhsa_user_sgpr_dispatch_ptr 0
		.amdhsa_user_sgpr_queue_ptr 0
		.amdhsa_user_sgpr_kernarg_segment_ptr 1
		.amdhsa_user_sgpr_dispatch_id 0
		.amdhsa_user_sgpr_flat_scratch_init 0
		.amdhsa_user_sgpr_kernarg_preload_length 0
		.amdhsa_user_sgpr_kernarg_preload_offset 0
		.amdhsa_user_sgpr_private_segment_size 0
		.amdhsa_uses_dynamic_stack 0
		.amdhsa_system_sgpr_private_segment_wavefront_offset 0
		.amdhsa_system_sgpr_workgroup_id_x 1
		.amdhsa_system_sgpr_workgroup_id_y 0
		.amdhsa_system_sgpr_workgroup_id_z 0
		.amdhsa_system_sgpr_workgroup_info 0
		.amdhsa_system_vgpr_workitem_id 0
		.amdhsa_next_free_vgpr 16
		.amdhsa_next_free_sgpr 8
		.amdhsa_accum_offset 16
		.amdhsa_reserve_vcc 1
		.amdhsa_reserve_flat_scratch 0
		.amdhsa_float_round_mode_32 0
		.amdhsa_float_round_mode_16_64 0
		.amdhsa_float_denorm_mode_32 3
		.amdhsa_float_denorm_mode_16_64 3
		.amdhsa_dx10_clamp 1
		.amdhsa_ieee_mode 1
		.amdhsa_fp16_overflow 0
		.amdhsa_tg_split 0
		.amdhsa_exception_fp_ieee_invalid_op 0
		.amdhsa_exception_fp_denorm_src 0
		.amdhsa_exception_fp_ieee_div_zero 0
		.amdhsa_exception_fp_ieee_overflow 0
		.amdhsa_exception_fp_ieee_underflow 0
		.amdhsa_exception_fp_ieee_inexact 0
		.amdhsa_exception_int_div_zero 0
	.end_amdhsa_kernel
	.section	.text._ZN7rocprim17ROCPRIM_400000_NS6detail17trampoline_kernelINS0_14default_configENS1_38merge_sort_block_merge_config_selectorIalEEZZNS1_27merge_sort_block_merge_implIS3_PaN6thrust23THRUST_200600_302600_NS10device_ptrIlEEjNS1_19radix_merge_compareILb0ELb0EaNS0_19identity_decomposerEEEEE10hipError_tT0_T1_T2_jT3_P12ihipStream_tbPNSt15iterator_traitsISG_E10value_typeEPNSM_ISH_E10value_typeEPSI_NS1_7vsmem_tEENKUlT_SG_SH_SI_E_clIS7_S7_PlSB_EESF_SV_SG_SH_SI_EUlSV_E_NS1_11comp_targetILNS1_3genE4ELNS1_11target_archE910ELNS1_3gpuE8ELNS1_3repE0EEENS1_48merge_mergepath_partition_config_static_selectorELNS0_4arch9wavefront6targetE1EEEvSH_,"axG",@progbits,_ZN7rocprim17ROCPRIM_400000_NS6detail17trampoline_kernelINS0_14default_configENS1_38merge_sort_block_merge_config_selectorIalEEZZNS1_27merge_sort_block_merge_implIS3_PaN6thrust23THRUST_200600_302600_NS10device_ptrIlEEjNS1_19radix_merge_compareILb0ELb0EaNS0_19identity_decomposerEEEEE10hipError_tT0_T1_T2_jT3_P12ihipStream_tbPNSt15iterator_traitsISG_E10value_typeEPNSM_ISH_E10value_typeEPSI_NS1_7vsmem_tEENKUlT_SG_SH_SI_E_clIS7_S7_PlSB_EESF_SV_SG_SH_SI_EUlSV_E_NS1_11comp_targetILNS1_3genE4ELNS1_11target_archE910ELNS1_3gpuE8ELNS1_3repE0EEENS1_48merge_mergepath_partition_config_static_selectorELNS0_4arch9wavefront6targetE1EEEvSH_,comdat
.Lfunc_end481:
	.size	_ZN7rocprim17ROCPRIM_400000_NS6detail17trampoline_kernelINS0_14default_configENS1_38merge_sort_block_merge_config_selectorIalEEZZNS1_27merge_sort_block_merge_implIS3_PaN6thrust23THRUST_200600_302600_NS10device_ptrIlEEjNS1_19radix_merge_compareILb0ELb0EaNS0_19identity_decomposerEEEEE10hipError_tT0_T1_T2_jT3_P12ihipStream_tbPNSt15iterator_traitsISG_E10value_typeEPNSM_ISH_E10value_typeEPSI_NS1_7vsmem_tEENKUlT_SG_SH_SI_E_clIS7_S7_PlSB_EESF_SV_SG_SH_SI_EUlSV_E_NS1_11comp_targetILNS1_3genE4ELNS1_11target_archE910ELNS1_3gpuE8ELNS1_3repE0EEENS1_48merge_mergepath_partition_config_static_selectorELNS0_4arch9wavefront6targetE1EEEvSH_, .Lfunc_end481-_ZN7rocprim17ROCPRIM_400000_NS6detail17trampoline_kernelINS0_14default_configENS1_38merge_sort_block_merge_config_selectorIalEEZZNS1_27merge_sort_block_merge_implIS3_PaN6thrust23THRUST_200600_302600_NS10device_ptrIlEEjNS1_19radix_merge_compareILb0ELb0EaNS0_19identity_decomposerEEEEE10hipError_tT0_T1_T2_jT3_P12ihipStream_tbPNSt15iterator_traitsISG_E10value_typeEPNSM_ISH_E10value_typeEPSI_NS1_7vsmem_tEENKUlT_SG_SH_SI_E_clIS7_S7_PlSB_EESF_SV_SG_SH_SI_EUlSV_E_NS1_11comp_targetILNS1_3genE4ELNS1_11target_archE910ELNS1_3gpuE8ELNS1_3repE0EEENS1_48merge_mergepath_partition_config_static_selectorELNS0_4arch9wavefront6targetE1EEEvSH_
                                        ; -- End function
	.section	.AMDGPU.csdata,"",@progbits
; Kernel info:
; codeLenInByte = 316
; NumSgprs: 12
; NumVgprs: 16
; NumAgprs: 0
; TotalNumVgprs: 16
; ScratchSize: 0
; MemoryBound: 0
; FloatMode: 240
; IeeeMode: 1
; LDSByteSize: 0 bytes/workgroup (compile time only)
; SGPRBlocks: 1
; VGPRBlocks: 1
; NumSGPRsForWavesPerEU: 12
; NumVGPRsForWavesPerEU: 16
; AccumOffset: 16
; Occupancy: 8
; WaveLimiterHint : 0
; COMPUTE_PGM_RSRC2:SCRATCH_EN: 0
; COMPUTE_PGM_RSRC2:USER_SGPR: 6
; COMPUTE_PGM_RSRC2:TRAP_HANDLER: 0
; COMPUTE_PGM_RSRC2:TGID_X_EN: 1
; COMPUTE_PGM_RSRC2:TGID_Y_EN: 0
; COMPUTE_PGM_RSRC2:TGID_Z_EN: 0
; COMPUTE_PGM_RSRC2:TIDIG_COMP_CNT: 0
; COMPUTE_PGM_RSRC3_GFX90A:ACCUM_OFFSET: 3
; COMPUTE_PGM_RSRC3_GFX90A:TG_SPLIT: 0
	.section	.text._ZN7rocprim17ROCPRIM_400000_NS6detail17trampoline_kernelINS0_14default_configENS1_38merge_sort_block_merge_config_selectorIalEEZZNS1_27merge_sort_block_merge_implIS3_PaN6thrust23THRUST_200600_302600_NS10device_ptrIlEEjNS1_19radix_merge_compareILb0ELb0EaNS0_19identity_decomposerEEEEE10hipError_tT0_T1_T2_jT3_P12ihipStream_tbPNSt15iterator_traitsISG_E10value_typeEPNSM_ISH_E10value_typeEPSI_NS1_7vsmem_tEENKUlT_SG_SH_SI_E_clIS7_S7_PlSB_EESF_SV_SG_SH_SI_EUlSV_E_NS1_11comp_targetILNS1_3genE3ELNS1_11target_archE908ELNS1_3gpuE7ELNS1_3repE0EEENS1_48merge_mergepath_partition_config_static_selectorELNS0_4arch9wavefront6targetE1EEEvSH_,"axG",@progbits,_ZN7rocprim17ROCPRIM_400000_NS6detail17trampoline_kernelINS0_14default_configENS1_38merge_sort_block_merge_config_selectorIalEEZZNS1_27merge_sort_block_merge_implIS3_PaN6thrust23THRUST_200600_302600_NS10device_ptrIlEEjNS1_19radix_merge_compareILb0ELb0EaNS0_19identity_decomposerEEEEE10hipError_tT0_T1_T2_jT3_P12ihipStream_tbPNSt15iterator_traitsISG_E10value_typeEPNSM_ISH_E10value_typeEPSI_NS1_7vsmem_tEENKUlT_SG_SH_SI_E_clIS7_S7_PlSB_EESF_SV_SG_SH_SI_EUlSV_E_NS1_11comp_targetILNS1_3genE3ELNS1_11target_archE908ELNS1_3gpuE7ELNS1_3repE0EEENS1_48merge_mergepath_partition_config_static_selectorELNS0_4arch9wavefront6targetE1EEEvSH_,comdat
	.protected	_ZN7rocprim17ROCPRIM_400000_NS6detail17trampoline_kernelINS0_14default_configENS1_38merge_sort_block_merge_config_selectorIalEEZZNS1_27merge_sort_block_merge_implIS3_PaN6thrust23THRUST_200600_302600_NS10device_ptrIlEEjNS1_19radix_merge_compareILb0ELb0EaNS0_19identity_decomposerEEEEE10hipError_tT0_T1_T2_jT3_P12ihipStream_tbPNSt15iterator_traitsISG_E10value_typeEPNSM_ISH_E10value_typeEPSI_NS1_7vsmem_tEENKUlT_SG_SH_SI_E_clIS7_S7_PlSB_EESF_SV_SG_SH_SI_EUlSV_E_NS1_11comp_targetILNS1_3genE3ELNS1_11target_archE908ELNS1_3gpuE7ELNS1_3repE0EEENS1_48merge_mergepath_partition_config_static_selectorELNS0_4arch9wavefront6targetE1EEEvSH_ ; -- Begin function _ZN7rocprim17ROCPRIM_400000_NS6detail17trampoline_kernelINS0_14default_configENS1_38merge_sort_block_merge_config_selectorIalEEZZNS1_27merge_sort_block_merge_implIS3_PaN6thrust23THRUST_200600_302600_NS10device_ptrIlEEjNS1_19radix_merge_compareILb0ELb0EaNS0_19identity_decomposerEEEEE10hipError_tT0_T1_T2_jT3_P12ihipStream_tbPNSt15iterator_traitsISG_E10value_typeEPNSM_ISH_E10value_typeEPSI_NS1_7vsmem_tEENKUlT_SG_SH_SI_E_clIS7_S7_PlSB_EESF_SV_SG_SH_SI_EUlSV_E_NS1_11comp_targetILNS1_3genE3ELNS1_11target_archE908ELNS1_3gpuE7ELNS1_3repE0EEENS1_48merge_mergepath_partition_config_static_selectorELNS0_4arch9wavefront6targetE1EEEvSH_
	.globl	_ZN7rocprim17ROCPRIM_400000_NS6detail17trampoline_kernelINS0_14default_configENS1_38merge_sort_block_merge_config_selectorIalEEZZNS1_27merge_sort_block_merge_implIS3_PaN6thrust23THRUST_200600_302600_NS10device_ptrIlEEjNS1_19radix_merge_compareILb0ELb0EaNS0_19identity_decomposerEEEEE10hipError_tT0_T1_T2_jT3_P12ihipStream_tbPNSt15iterator_traitsISG_E10value_typeEPNSM_ISH_E10value_typeEPSI_NS1_7vsmem_tEENKUlT_SG_SH_SI_E_clIS7_S7_PlSB_EESF_SV_SG_SH_SI_EUlSV_E_NS1_11comp_targetILNS1_3genE3ELNS1_11target_archE908ELNS1_3gpuE7ELNS1_3repE0EEENS1_48merge_mergepath_partition_config_static_selectorELNS0_4arch9wavefront6targetE1EEEvSH_
	.p2align	8
	.type	_ZN7rocprim17ROCPRIM_400000_NS6detail17trampoline_kernelINS0_14default_configENS1_38merge_sort_block_merge_config_selectorIalEEZZNS1_27merge_sort_block_merge_implIS3_PaN6thrust23THRUST_200600_302600_NS10device_ptrIlEEjNS1_19radix_merge_compareILb0ELb0EaNS0_19identity_decomposerEEEEE10hipError_tT0_T1_T2_jT3_P12ihipStream_tbPNSt15iterator_traitsISG_E10value_typeEPNSM_ISH_E10value_typeEPSI_NS1_7vsmem_tEENKUlT_SG_SH_SI_E_clIS7_S7_PlSB_EESF_SV_SG_SH_SI_EUlSV_E_NS1_11comp_targetILNS1_3genE3ELNS1_11target_archE908ELNS1_3gpuE7ELNS1_3repE0EEENS1_48merge_mergepath_partition_config_static_selectorELNS0_4arch9wavefront6targetE1EEEvSH_,@function
_ZN7rocprim17ROCPRIM_400000_NS6detail17trampoline_kernelINS0_14default_configENS1_38merge_sort_block_merge_config_selectorIalEEZZNS1_27merge_sort_block_merge_implIS3_PaN6thrust23THRUST_200600_302600_NS10device_ptrIlEEjNS1_19radix_merge_compareILb0ELb0EaNS0_19identity_decomposerEEEEE10hipError_tT0_T1_T2_jT3_P12ihipStream_tbPNSt15iterator_traitsISG_E10value_typeEPNSM_ISH_E10value_typeEPSI_NS1_7vsmem_tEENKUlT_SG_SH_SI_E_clIS7_S7_PlSB_EESF_SV_SG_SH_SI_EUlSV_E_NS1_11comp_targetILNS1_3genE3ELNS1_11target_archE908ELNS1_3gpuE7ELNS1_3repE0EEENS1_48merge_mergepath_partition_config_static_selectorELNS0_4arch9wavefront6targetE1EEEvSH_: ; @_ZN7rocprim17ROCPRIM_400000_NS6detail17trampoline_kernelINS0_14default_configENS1_38merge_sort_block_merge_config_selectorIalEEZZNS1_27merge_sort_block_merge_implIS3_PaN6thrust23THRUST_200600_302600_NS10device_ptrIlEEjNS1_19radix_merge_compareILb0ELb0EaNS0_19identity_decomposerEEEEE10hipError_tT0_T1_T2_jT3_P12ihipStream_tbPNSt15iterator_traitsISG_E10value_typeEPNSM_ISH_E10value_typeEPSI_NS1_7vsmem_tEENKUlT_SG_SH_SI_E_clIS7_S7_PlSB_EESF_SV_SG_SH_SI_EUlSV_E_NS1_11comp_targetILNS1_3genE3ELNS1_11target_archE908ELNS1_3gpuE7ELNS1_3repE0EEENS1_48merge_mergepath_partition_config_static_selectorELNS0_4arch9wavefront6targetE1EEEvSH_
; %bb.0:
	.section	.rodata,"a",@progbits
	.p2align	6, 0x0
	.amdhsa_kernel _ZN7rocprim17ROCPRIM_400000_NS6detail17trampoline_kernelINS0_14default_configENS1_38merge_sort_block_merge_config_selectorIalEEZZNS1_27merge_sort_block_merge_implIS3_PaN6thrust23THRUST_200600_302600_NS10device_ptrIlEEjNS1_19radix_merge_compareILb0ELb0EaNS0_19identity_decomposerEEEEE10hipError_tT0_T1_T2_jT3_P12ihipStream_tbPNSt15iterator_traitsISG_E10value_typeEPNSM_ISH_E10value_typeEPSI_NS1_7vsmem_tEENKUlT_SG_SH_SI_E_clIS7_S7_PlSB_EESF_SV_SG_SH_SI_EUlSV_E_NS1_11comp_targetILNS1_3genE3ELNS1_11target_archE908ELNS1_3gpuE7ELNS1_3repE0EEENS1_48merge_mergepath_partition_config_static_selectorELNS0_4arch9wavefront6targetE1EEEvSH_
		.amdhsa_group_segment_fixed_size 0
		.amdhsa_private_segment_fixed_size 0
		.amdhsa_kernarg_size 40
		.amdhsa_user_sgpr_count 6
		.amdhsa_user_sgpr_private_segment_buffer 1
		.amdhsa_user_sgpr_dispatch_ptr 0
		.amdhsa_user_sgpr_queue_ptr 0
		.amdhsa_user_sgpr_kernarg_segment_ptr 1
		.amdhsa_user_sgpr_dispatch_id 0
		.amdhsa_user_sgpr_flat_scratch_init 0
		.amdhsa_user_sgpr_kernarg_preload_length 0
		.amdhsa_user_sgpr_kernarg_preload_offset 0
		.amdhsa_user_sgpr_private_segment_size 0
		.amdhsa_uses_dynamic_stack 0
		.amdhsa_system_sgpr_private_segment_wavefront_offset 0
		.amdhsa_system_sgpr_workgroup_id_x 1
		.amdhsa_system_sgpr_workgroup_id_y 0
		.amdhsa_system_sgpr_workgroup_id_z 0
		.amdhsa_system_sgpr_workgroup_info 0
		.amdhsa_system_vgpr_workitem_id 0
		.amdhsa_next_free_vgpr 1
		.amdhsa_next_free_sgpr 0
		.amdhsa_accum_offset 4
		.amdhsa_reserve_vcc 0
		.amdhsa_reserve_flat_scratch 0
		.amdhsa_float_round_mode_32 0
		.amdhsa_float_round_mode_16_64 0
		.amdhsa_float_denorm_mode_32 3
		.amdhsa_float_denorm_mode_16_64 3
		.amdhsa_dx10_clamp 1
		.amdhsa_ieee_mode 1
		.amdhsa_fp16_overflow 0
		.amdhsa_tg_split 0
		.amdhsa_exception_fp_ieee_invalid_op 0
		.amdhsa_exception_fp_denorm_src 0
		.amdhsa_exception_fp_ieee_div_zero 0
		.amdhsa_exception_fp_ieee_overflow 0
		.amdhsa_exception_fp_ieee_underflow 0
		.amdhsa_exception_fp_ieee_inexact 0
		.amdhsa_exception_int_div_zero 0
	.end_amdhsa_kernel
	.section	.text._ZN7rocprim17ROCPRIM_400000_NS6detail17trampoline_kernelINS0_14default_configENS1_38merge_sort_block_merge_config_selectorIalEEZZNS1_27merge_sort_block_merge_implIS3_PaN6thrust23THRUST_200600_302600_NS10device_ptrIlEEjNS1_19radix_merge_compareILb0ELb0EaNS0_19identity_decomposerEEEEE10hipError_tT0_T1_T2_jT3_P12ihipStream_tbPNSt15iterator_traitsISG_E10value_typeEPNSM_ISH_E10value_typeEPSI_NS1_7vsmem_tEENKUlT_SG_SH_SI_E_clIS7_S7_PlSB_EESF_SV_SG_SH_SI_EUlSV_E_NS1_11comp_targetILNS1_3genE3ELNS1_11target_archE908ELNS1_3gpuE7ELNS1_3repE0EEENS1_48merge_mergepath_partition_config_static_selectorELNS0_4arch9wavefront6targetE1EEEvSH_,"axG",@progbits,_ZN7rocprim17ROCPRIM_400000_NS6detail17trampoline_kernelINS0_14default_configENS1_38merge_sort_block_merge_config_selectorIalEEZZNS1_27merge_sort_block_merge_implIS3_PaN6thrust23THRUST_200600_302600_NS10device_ptrIlEEjNS1_19radix_merge_compareILb0ELb0EaNS0_19identity_decomposerEEEEE10hipError_tT0_T1_T2_jT3_P12ihipStream_tbPNSt15iterator_traitsISG_E10value_typeEPNSM_ISH_E10value_typeEPSI_NS1_7vsmem_tEENKUlT_SG_SH_SI_E_clIS7_S7_PlSB_EESF_SV_SG_SH_SI_EUlSV_E_NS1_11comp_targetILNS1_3genE3ELNS1_11target_archE908ELNS1_3gpuE7ELNS1_3repE0EEENS1_48merge_mergepath_partition_config_static_selectorELNS0_4arch9wavefront6targetE1EEEvSH_,comdat
.Lfunc_end482:
	.size	_ZN7rocprim17ROCPRIM_400000_NS6detail17trampoline_kernelINS0_14default_configENS1_38merge_sort_block_merge_config_selectorIalEEZZNS1_27merge_sort_block_merge_implIS3_PaN6thrust23THRUST_200600_302600_NS10device_ptrIlEEjNS1_19radix_merge_compareILb0ELb0EaNS0_19identity_decomposerEEEEE10hipError_tT0_T1_T2_jT3_P12ihipStream_tbPNSt15iterator_traitsISG_E10value_typeEPNSM_ISH_E10value_typeEPSI_NS1_7vsmem_tEENKUlT_SG_SH_SI_E_clIS7_S7_PlSB_EESF_SV_SG_SH_SI_EUlSV_E_NS1_11comp_targetILNS1_3genE3ELNS1_11target_archE908ELNS1_3gpuE7ELNS1_3repE0EEENS1_48merge_mergepath_partition_config_static_selectorELNS0_4arch9wavefront6targetE1EEEvSH_, .Lfunc_end482-_ZN7rocprim17ROCPRIM_400000_NS6detail17trampoline_kernelINS0_14default_configENS1_38merge_sort_block_merge_config_selectorIalEEZZNS1_27merge_sort_block_merge_implIS3_PaN6thrust23THRUST_200600_302600_NS10device_ptrIlEEjNS1_19radix_merge_compareILb0ELb0EaNS0_19identity_decomposerEEEEE10hipError_tT0_T1_T2_jT3_P12ihipStream_tbPNSt15iterator_traitsISG_E10value_typeEPNSM_ISH_E10value_typeEPSI_NS1_7vsmem_tEENKUlT_SG_SH_SI_E_clIS7_S7_PlSB_EESF_SV_SG_SH_SI_EUlSV_E_NS1_11comp_targetILNS1_3genE3ELNS1_11target_archE908ELNS1_3gpuE7ELNS1_3repE0EEENS1_48merge_mergepath_partition_config_static_selectorELNS0_4arch9wavefront6targetE1EEEvSH_
                                        ; -- End function
	.section	.AMDGPU.csdata,"",@progbits
; Kernel info:
; codeLenInByte = 0
; NumSgprs: 4
; NumVgprs: 0
; NumAgprs: 0
; TotalNumVgprs: 0
; ScratchSize: 0
; MemoryBound: 0
; FloatMode: 240
; IeeeMode: 1
; LDSByteSize: 0 bytes/workgroup (compile time only)
; SGPRBlocks: 0
; VGPRBlocks: 0
; NumSGPRsForWavesPerEU: 4
; NumVGPRsForWavesPerEU: 1
; AccumOffset: 4
; Occupancy: 8
; WaveLimiterHint : 0
; COMPUTE_PGM_RSRC2:SCRATCH_EN: 0
; COMPUTE_PGM_RSRC2:USER_SGPR: 6
; COMPUTE_PGM_RSRC2:TRAP_HANDLER: 0
; COMPUTE_PGM_RSRC2:TGID_X_EN: 1
; COMPUTE_PGM_RSRC2:TGID_Y_EN: 0
; COMPUTE_PGM_RSRC2:TGID_Z_EN: 0
; COMPUTE_PGM_RSRC2:TIDIG_COMP_CNT: 0
; COMPUTE_PGM_RSRC3_GFX90A:ACCUM_OFFSET: 0
; COMPUTE_PGM_RSRC3_GFX90A:TG_SPLIT: 0
	.section	.text._ZN7rocprim17ROCPRIM_400000_NS6detail17trampoline_kernelINS0_14default_configENS1_38merge_sort_block_merge_config_selectorIalEEZZNS1_27merge_sort_block_merge_implIS3_PaN6thrust23THRUST_200600_302600_NS10device_ptrIlEEjNS1_19radix_merge_compareILb0ELb0EaNS0_19identity_decomposerEEEEE10hipError_tT0_T1_T2_jT3_P12ihipStream_tbPNSt15iterator_traitsISG_E10value_typeEPNSM_ISH_E10value_typeEPSI_NS1_7vsmem_tEENKUlT_SG_SH_SI_E_clIS7_S7_PlSB_EESF_SV_SG_SH_SI_EUlSV_E_NS1_11comp_targetILNS1_3genE2ELNS1_11target_archE906ELNS1_3gpuE6ELNS1_3repE0EEENS1_48merge_mergepath_partition_config_static_selectorELNS0_4arch9wavefront6targetE1EEEvSH_,"axG",@progbits,_ZN7rocprim17ROCPRIM_400000_NS6detail17trampoline_kernelINS0_14default_configENS1_38merge_sort_block_merge_config_selectorIalEEZZNS1_27merge_sort_block_merge_implIS3_PaN6thrust23THRUST_200600_302600_NS10device_ptrIlEEjNS1_19radix_merge_compareILb0ELb0EaNS0_19identity_decomposerEEEEE10hipError_tT0_T1_T2_jT3_P12ihipStream_tbPNSt15iterator_traitsISG_E10value_typeEPNSM_ISH_E10value_typeEPSI_NS1_7vsmem_tEENKUlT_SG_SH_SI_E_clIS7_S7_PlSB_EESF_SV_SG_SH_SI_EUlSV_E_NS1_11comp_targetILNS1_3genE2ELNS1_11target_archE906ELNS1_3gpuE6ELNS1_3repE0EEENS1_48merge_mergepath_partition_config_static_selectorELNS0_4arch9wavefront6targetE1EEEvSH_,comdat
	.protected	_ZN7rocprim17ROCPRIM_400000_NS6detail17trampoline_kernelINS0_14default_configENS1_38merge_sort_block_merge_config_selectorIalEEZZNS1_27merge_sort_block_merge_implIS3_PaN6thrust23THRUST_200600_302600_NS10device_ptrIlEEjNS1_19radix_merge_compareILb0ELb0EaNS0_19identity_decomposerEEEEE10hipError_tT0_T1_T2_jT3_P12ihipStream_tbPNSt15iterator_traitsISG_E10value_typeEPNSM_ISH_E10value_typeEPSI_NS1_7vsmem_tEENKUlT_SG_SH_SI_E_clIS7_S7_PlSB_EESF_SV_SG_SH_SI_EUlSV_E_NS1_11comp_targetILNS1_3genE2ELNS1_11target_archE906ELNS1_3gpuE6ELNS1_3repE0EEENS1_48merge_mergepath_partition_config_static_selectorELNS0_4arch9wavefront6targetE1EEEvSH_ ; -- Begin function _ZN7rocprim17ROCPRIM_400000_NS6detail17trampoline_kernelINS0_14default_configENS1_38merge_sort_block_merge_config_selectorIalEEZZNS1_27merge_sort_block_merge_implIS3_PaN6thrust23THRUST_200600_302600_NS10device_ptrIlEEjNS1_19radix_merge_compareILb0ELb0EaNS0_19identity_decomposerEEEEE10hipError_tT0_T1_T2_jT3_P12ihipStream_tbPNSt15iterator_traitsISG_E10value_typeEPNSM_ISH_E10value_typeEPSI_NS1_7vsmem_tEENKUlT_SG_SH_SI_E_clIS7_S7_PlSB_EESF_SV_SG_SH_SI_EUlSV_E_NS1_11comp_targetILNS1_3genE2ELNS1_11target_archE906ELNS1_3gpuE6ELNS1_3repE0EEENS1_48merge_mergepath_partition_config_static_selectorELNS0_4arch9wavefront6targetE1EEEvSH_
	.globl	_ZN7rocprim17ROCPRIM_400000_NS6detail17trampoline_kernelINS0_14default_configENS1_38merge_sort_block_merge_config_selectorIalEEZZNS1_27merge_sort_block_merge_implIS3_PaN6thrust23THRUST_200600_302600_NS10device_ptrIlEEjNS1_19radix_merge_compareILb0ELb0EaNS0_19identity_decomposerEEEEE10hipError_tT0_T1_T2_jT3_P12ihipStream_tbPNSt15iterator_traitsISG_E10value_typeEPNSM_ISH_E10value_typeEPSI_NS1_7vsmem_tEENKUlT_SG_SH_SI_E_clIS7_S7_PlSB_EESF_SV_SG_SH_SI_EUlSV_E_NS1_11comp_targetILNS1_3genE2ELNS1_11target_archE906ELNS1_3gpuE6ELNS1_3repE0EEENS1_48merge_mergepath_partition_config_static_selectorELNS0_4arch9wavefront6targetE1EEEvSH_
	.p2align	8
	.type	_ZN7rocprim17ROCPRIM_400000_NS6detail17trampoline_kernelINS0_14default_configENS1_38merge_sort_block_merge_config_selectorIalEEZZNS1_27merge_sort_block_merge_implIS3_PaN6thrust23THRUST_200600_302600_NS10device_ptrIlEEjNS1_19radix_merge_compareILb0ELb0EaNS0_19identity_decomposerEEEEE10hipError_tT0_T1_T2_jT3_P12ihipStream_tbPNSt15iterator_traitsISG_E10value_typeEPNSM_ISH_E10value_typeEPSI_NS1_7vsmem_tEENKUlT_SG_SH_SI_E_clIS7_S7_PlSB_EESF_SV_SG_SH_SI_EUlSV_E_NS1_11comp_targetILNS1_3genE2ELNS1_11target_archE906ELNS1_3gpuE6ELNS1_3repE0EEENS1_48merge_mergepath_partition_config_static_selectorELNS0_4arch9wavefront6targetE1EEEvSH_,@function
_ZN7rocprim17ROCPRIM_400000_NS6detail17trampoline_kernelINS0_14default_configENS1_38merge_sort_block_merge_config_selectorIalEEZZNS1_27merge_sort_block_merge_implIS3_PaN6thrust23THRUST_200600_302600_NS10device_ptrIlEEjNS1_19radix_merge_compareILb0ELb0EaNS0_19identity_decomposerEEEEE10hipError_tT0_T1_T2_jT3_P12ihipStream_tbPNSt15iterator_traitsISG_E10value_typeEPNSM_ISH_E10value_typeEPSI_NS1_7vsmem_tEENKUlT_SG_SH_SI_E_clIS7_S7_PlSB_EESF_SV_SG_SH_SI_EUlSV_E_NS1_11comp_targetILNS1_3genE2ELNS1_11target_archE906ELNS1_3gpuE6ELNS1_3repE0EEENS1_48merge_mergepath_partition_config_static_selectorELNS0_4arch9wavefront6targetE1EEEvSH_: ; @_ZN7rocprim17ROCPRIM_400000_NS6detail17trampoline_kernelINS0_14default_configENS1_38merge_sort_block_merge_config_selectorIalEEZZNS1_27merge_sort_block_merge_implIS3_PaN6thrust23THRUST_200600_302600_NS10device_ptrIlEEjNS1_19radix_merge_compareILb0ELb0EaNS0_19identity_decomposerEEEEE10hipError_tT0_T1_T2_jT3_P12ihipStream_tbPNSt15iterator_traitsISG_E10value_typeEPNSM_ISH_E10value_typeEPSI_NS1_7vsmem_tEENKUlT_SG_SH_SI_E_clIS7_S7_PlSB_EESF_SV_SG_SH_SI_EUlSV_E_NS1_11comp_targetILNS1_3genE2ELNS1_11target_archE906ELNS1_3gpuE6ELNS1_3repE0EEENS1_48merge_mergepath_partition_config_static_selectorELNS0_4arch9wavefront6targetE1EEEvSH_
; %bb.0:
	.section	.rodata,"a",@progbits
	.p2align	6, 0x0
	.amdhsa_kernel _ZN7rocprim17ROCPRIM_400000_NS6detail17trampoline_kernelINS0_14default_configENS1_38merge_sort_block_merge_config_selectorIalEEZZNS1_27merge_sort_block_merge_implIS3_PaN6thrust23THRUST_200600_302600_NS10device_ptrIlEEjNS1_19radix_merge_compareILb0ELb0EaNS0_19identity_decomposerEEEEE10hipError_tT0_T1_T2_jT3_P12ihipStream_tbPNSt15iterator_traitsISG_E10value_typeEPNSM_ISH_E10value_typeEPSI_NS1_7vsmem_tEENKUlT_SG_SH_SI_E_clIS7_S7_PlSB_EESF_SV_SG_SH_SI_EUlSV_E_NS1_11comp_targetILNS1_3genE2ELNS1_11target_archE906ELNS1_3gpuE6ELNS1_3repE0EEENS1_48merge_mergepath_partition_config_static_selectorELNS0_4arch9wavefront6targetE1EEEvSH_
		.amdhsa_group_segment_fixed_size 0
		.amdhsa_private_segment_fixed_size 0
		.amdhsa_kernarg_size 40
		.amdhsa_user_sgpr_count 6
		.amdhsa_user_sgpr_private_segment_buffer 1
		.amdhsa_user_sgpr_dispatch_ptr 0
		.amdhsa_user_sgpr_queue_ptr 0
		.amdhsa_user_sgpr_kernarg_segment_ptr 1
		.amdhsa_user_sgpr_dispatch_id 0
		.amdhsa_user_sgpr_flat_scratch_init 0
		.amdhsa_user_sgpr_kernarg_preload_length 0
		.amdhsa_user_sgpr_kernarg_preload_offset 0
		.amdhsa_user_sgpr_private_segment_size 0
		.amdhsa_uses_dynamic_stack 0
		.amdhsa_system_sgpr_private_segment_wavefront_offset 0
		.amdhsa_system_sgpr_workgroup_id_x 1
		.amdhsa_system_sgpr_workgroup_id_y 0
		.amdhsa_system_sgpr_workgroup_id_z 0
		.amdhsa_system_sgpr_workgroup_info 0
		.amdhsa_system_vgpr_workitem_id 0
		.amdhsa_next_free_vgpr 1
		.amdhsa_next_free_sgpr 0
		.amdhsa_accum_offset 4
		.amdhsa_reserve_vcc 0
		.amdhsa_reserve_flat_scratch 0
		.amdhsa_float_round_mode_32 0
		.amdhsa_float_round_mode_16_64 0
		.amdhsa_float_denorm_mode_32 3
		.amdhsa_float_denorm_mode_16_64 3
		.amdhsa_dx10_clamp 1
		.amdhsa_ieee_mode 1
		.amdhsa_fp16_overflow 0
		.amdhsa_tg_split 0
		.amdhsa_exception_fp_ieee_invalid_op 0
		.amdhsa_exception_fp_denorm_src 0
		.amdhsa_exception_fp_ieee_div_zero 0
		.amdhsa_exception_fp_ieee_overflow 0
		.amdhsa_exception_fp_ieee_underflow 0
		.amdhsa_exception_fp_ieee_inexact 0
		.amdhsa_exception_int_div_zero 0
	.end_amdhsa_kernel
	.section	.text._ZN7rocprim17ROCPRIM_400000_NS6detail17trampoline_kernelINS0_14default_configENS1_38merge_sort_block_merge_config_selectorIalEEZZNS1_27merge_sort_block_merge_implIS3_PaN6thrust23THRUST_200600_302600_NS10device_ptrIlEEjNS1_19radix_merge_compareILb0ELb0EaNS0_19identity_decomposerEEEEE10hipError_tT0_T1_T2_jT3_P12ihipStream_tbPNSt15iterator_traitsISG_E10value_typeEPNSM_ISH_E10value_typeEPSI_NS1_7vsmem_tEENKUlT_SG_SH_SI_E_clIS7_S7_PlSB_EESF_SV_SG_SH_SI_EUlSV_E_NS1_11comp_targetILNS1_3genE2ELNS1_11target_archE906ELNS1_3gpuE6ELNS1_3repE0EEENS1_48merge_mergepath_partition_config_static_selectorELNS0_4arch9wavefront6targetE1EEEvSH_,"axG",@progbits,_ZN7rocprim17ROCPRIM_400000_NS6detail17trampoline_kernelINS0_14default_configENS1_38merge_sort_block_merge_config_selectorIalEEZZNS1_27merge_sort_block_merge_implIS3_PaN6thrust23THRUST_200600_302600_NS10device_ptrIlEEjNS1_19radix_merge_compareILb0ELb0EaNS0_19identity_decomposerEEEEE10hipError_tT0_T1_T2_jT3_P12ihipStream_tbPNSt15iterator_traitsISG_E10value_typeEPNSM_ISH_E10value_typeEPSI_NS1_7vsmem_tEENKUlT_SG_SH_SI_E_clIS7_S7_PlSB_EESF_SV_SG_SH_SI_EUlSV_E_NS1_11comp_targetILNS1_3genE2ELNS1_11target_archE906ELNS1_3gpuE6ELNS1_3repE0EEENS1_48merge_mergepath_partition_config_static_selectorELNS0_4arch9wavefront6targetE1EEEvSH_,comdat
.Lfunc_end483:
	.size	_ZN7rocprim17ROCPRIM_400000_NS6detail17trampoline_kernelINS0_14default_configENS1_38merge_sort_block_merge_config_selectorIalEEZZNS1_27merge_sort_block_merge_implIS3_PaN6thrust23THRUST_200600_302600_NS10device_ptrIlEEjNS1_19radix_merge_compareILb0ELb0EaNS0_19identity_decomposerEEEEE10hipError_tT0_T1_T2_jT3_P12ihipStream_tbPNSt15iterator_traitsISG_E10value_typeEPNSM_ISH_E10value_typeEPSI_NS1_7vsmem_tEENKUlT_SG_SH_SI_E_clIS7_S7_PlSB_EESF_SV_SG_SH_SI_EUlSV_E_NS1_11comp_targetILNS1_3genE2ELNS1_11target_archE906ELNS1_3gpuE6ELNS1_3repE0EEENS1_48merge_mergepath_partition_config_static_selectorELNS0_4arch9wavefront6targetE1EEEvSH_, .Lfunc_end483-_ZN7rocprim17ROCPRIM_400000_NS6detail17trampoline_kernelINS0_14default_configENS1_38merge_sort_block_merge_config_selectorIalEEZZNS1_27merge_sort_block_merge_implIS3_PaN6thrust23THRUST_200600_302600_NS10device_ptrIlEEjNS1_19radix_merge_compareILb0ELb0EaNS0_19identity_decomposerEEEEE10hipError_tT0_T1_T2_jT3_P12ihipStream_tbPNSt15iterator_traitsISG_E10value_typeEPNSM_ISH_E10value_typeEPSI_NS1_7vsmem_tEENKUlT_SG_SH_SI_E_clIS7_S7_PlSB_EESF_SV_SG_SH_SI_EUlSV_E_NS1_11comp_targetILNS1_3genE2ELNS1_11target_archE906ELNS1_3gpuE6ELNS1_3repE0EEENS1_48merge_mergepath_partition_config_static_selectorELNS0_4arch9wavefront6targetE1EEEvSH_
                                        ; -- End function
	.section	.AMDGPU.csdata,"",@progbits
; Kernel info:
; codeLenInByte = 0
; NumSgprs: 4
; NumVgprs: 0
; NumAgprs: 0
; TotalNumVgprs: 0
; ScratchSize: 0
; MemoryBound: 0
; FloatMode: 240
; IeeeMode: 1
; LDSByteSize: 0 bytes/workgroup (compile time only)
; SGPRBlocks: 0
; VGPRBlocks: 0
; NumSGPRsForWavesPerEU: 4
; NumVGPRsForWavesPerEU: 1
; AccumOffset: 4
; Occupancy: 8
; WaveLimiterHint : 0
; COMPUTE_PGM_RSRC2:SCRATCH_EN: 0
; COMPUTE_PGM_RSRC2:USER_SGPR: 6
; COMPUTE_PGM_RSRC2:TRAP_HANDLER: 0
; COMPUTE_PGM_RSRC2:TGID_X_EN: 1
; COMPUTE_PGM_RSRC2:TGID_Y_EN: 0
; COMPUTE_PGM_RSRC2:TGID_Z_EN: 0
; COMPUTE_PGM_RSRC2:TIDIG_COMP_CNT: 0
; COMPUTE_PGM_RSRC3_GFX90A:ACCUM_OFFSET: 0
; COMPUTE_PGM_RSRC3_GFX90A:TG_SPLIT: 0
	.section	.text._ZN7rocprim17ROCPRIM_400000_NS6detail17trampoline_kernelINS0_14default_configENS1_38merge_sort_block_merge_config_selectorIalEEZZNS1_27merge_sort_block_merge_implIS3_PaN6thrust23THRUST_200600_302600_NS10device_ptrIlEEjNS1_19radix_merge_compareILb0ELb0EaNS0_19identity_decomposerEEEEE10hipError_tT0_T1_T2_jT3_P12ihipStream_tbPNSt15iterator_traitsISG_E10value_typeEPNSM_ISH_E10value_typeEPSI_NS1_7vsmem_tEENKUlT_SG_SH_SI_E_clIS7_S7_PlSB_EESF_SV_SG_SH_SI_EUlSV_E_NS1_11comp_targetILNS1_3genE9ELNS1_11target_archE1100ELNS1_3gpuE3ELNS1_3repE0EEENS1_48merge_mergepath_partition_config_static_selectorELNS0_4arch9wavefront6targetE1EEEvSH_,"axG",@progbits,_ZN7rocprim17ROCPRIM_400000_NS6detail17trampoline_kernelINS0_14default_configENS1_38merge_sort_block_merge_config_selectorIalEEZZNS1_27merge_sort_block_merge_implIS3_PaN6thrust23THRUST_200600_302600_NS10device_ptrIlEEjNS1_19radix_merge_compareILb0ELb0EaNS0_19identity_decomposerEEEEE10hipError_tT0_T1_T2_jT3_P12ihipStream_tbPNSt15iterator_traitsISG_E10value_typeEPNSM_ISH_E10value_typeEPSI_NS1_7vsmem_tEENKUlT_SG_SH_SI_E_clIS7_S7_PlSB_EESF_SV_SG_SH_SI_EUlSV_E_NS1_11comp_targetILNS1_3genE9ELNS1_11target_archE1100ELNS1_3gpuE3ELNS1_3repE0EEENS1_48merge_mergepath_partition_config_static_selectorELNS0_4arch9wavefront6targetE1EEEvSH_,comdat
	.protected	_ZN7rocprim17ROCPRIM_400000_NS6detail17trampoline_kernelINS0_14default_configENS1_38merge_sort_block_merge_config_selectorIalEEZZNS1_27merge_sort_block_merge_implIS3_PaN6thrust23THRUST_200600_302600_NS10device_ptrIlEEjNS1_19radix_merge_compareILb0ELb0EaNS0_19identity_decomposerEEEEE10hipError_tT0_T1_T2_jT3_P12ihipStream_tbPNSt15iterator_traitsISG_E10value_typeEPNSM_ISH_E10value_typeEPSI_NS1_7vsmem_tEENKUlT_SG_SH_SI_E_clIS7_S7_PlSB_EESF_SV_SG_SH_SI_EUlSV_E_NS1_11comp_targetILNS1_3genE9ELNS1_11target_archE1100ELNS1_3gpuE3ELNS1_3repE0EEENS1_48merge_mergepath_partition_config_static_selectorELNS0_4arch9wavefront6targetE1EEEvSH_ ; -- Begin function _ZN7rocprim17ROCPRIM_400000_NS6detail17trampoline_kernelINS0_14default_configENS1_38merge_sort_block_merge_config_selectorIalEEZZNS1_27merge_sort_block_merge_implIS3_PaN6thrust23THRUST_200600_302600_NS10device_ptrIlEEjNS1_19radix_merge_compareILb0ELb0EaNS0_19identity_decomposerEEEEE10hipError_tT0_T1_T2_jT3_P12ihipStream_tbPNSt15iterator_traitsISG_E10value_typeEPNSM_ISH_E10value_typeEPSI_NS1_7vsmem_tEENKUlT_SG_SH_SI_E_clIS7_S7_PlSB_EESF_SV_SG_SH_SI_EUlSV_E_NS1_11comp_targetILNS1_3genE9ELNS1_11target_archE1100ELNS1_3gpuE3ELNS1_3repE0EEENS1_48merge_mergepath_partition_config_static_selectorELNS0_4arch9wavefront6targetE1EEEvSH_
	.globl	_ZN7rocprim17ROCPRIM_400000_NS6detail17trampoline_kernelINS0_14default_configENS1_38merge_sort_block_merge_config_selectorIalEEZZNS1_27merge_sort_block_merge_implIS3_PaN6thrust23THRUST_200600_302600_NS10device_ptrIlEEjNS1_19radix_merge_compareILb0ELb0EaNS0_19identity_decomposerEEEEE10hipError_tT0_T1_T2_jT3_P12ihipStream_tbPNSt15iterator_traitsISG_E10value_typeEPNSM_ISH_E10value_typeEPSI_NS1_7vsmem_tEENKUlT_SG_SH_SI_E_clIS7_S7_PlSB_EESF_SV_SG_SH_SI_EUlSV_E_NS1_11comp_targetILNS1_3genE9ELNS1_11target_archE1100ELNS1_3gpuE3ELNS1_3repE0EEENS1_48merge_mergepath_partition_config_static_selectorELNS0_4arch9wavefront6targetE1EEEvSH_
	.p2align	8
	.type	_ZN7rocprim17ROCPRIM_400000_NS6detail17trampoline_kernelINS0_14default_configENS1_38merge_sort_block_merge_config_selectorIalEEZZNS1_27merge_sort_block_merge_implIS3_PaN6thrust23THRUST_200600_302600_NS10device_ptrIlEEjNS1_19radix_merge_compareILb0ELb0EaNS0_19identity_decomposerEEEEE10hipError_tT0_T1_T2_jT3_P12ihipStream_tbPNSt15iterator_traitsISG_E10value_typeEPNSM_ISH_E10value_typeEPSI_NS1_7vsmem_tEENKUlT_SG_SH_SI_E_clIS7_S7_PlSB_EESF_SV_SG_SH_SI_EUlSV_E_NS1_11comp_targetILNS1_3genE9ELNS1_11target_archE1100ELNS1_3gpuE3ELNS1_3repE0EEENS1_48merge_mergepath_partition_config_static_selectorELNS0_4arch9wavefront6targetE1EEEvSH_,@function
_ZN7rocprim17ROCPRIM_400000_NS6detail17trampoline_kernelINS0_14default_configENS1_38merge_sort_block_merge_config_selectorIalEEZZNS1_27merge_sort_block_merge_implIS3_PaN6thrust23THRUST_200600_302600_NS10device_ptrIlEEjNS1_19radix_merge_compareILb0ELb0EaNS0_19identity_decomposerEEEEE10hipError_tT0_T1_T2_jT3_P12ihipStream_tbPNSt15iterator_traitsISG_E10value_typeEPNSM_ISH_E10value_typeEPSI_NS1_7vsmem_tEENKUlT_SG_SH_SI_E_clIS7_S7_PlSB_EESF_SV_SG_SH_SI_EUlSV_E_NS1_11comp_targetILNS1_3genE9ELNS1_11target_archE1100ELNS1_3gpuE3ELNS1_3repE0EEENS1_48merge_mergepath_partition_config_static_selectorELNS0_4arch9wavefront6targetE1EEEvSH_: ; @_ZN7rocprim17ROCPRIM_400000_NS6detail17trampoline_kernelINS0_14default_configENS1_38merge_sort_block_merge_config_selectorIalEEZZNS1_27merge_sort_block_merge_implIS3_PaN6thrust23THRUST_200600_302600_NS10device_ptrIlEEjNS1_19radix_merge_compareILb0ELb0EaNS0_19identity_decomposerEEEEE10hipError_tT0_T1_T2_jT3_P12ihipStream_tbPNSt15iterator_traitsISG_E10value_typeEPNSM_ISH_E10value_typeEPSI_NS1_7vsmem_tEENKUlT_SG_SH_SI_E_clIS7_S7_PlSB_EESF_SV_SG_SH_SI_EUlSV_E_NS1_11comp_targetILNS1_3genE9ELNS1_11target_archE1100ELNS1_3gpuE3ELNS1_3repE0EEENS1_48merge_mergepath_partition_config_static_selectorELNS0_4arch9wavefront6targetE1EEEvSH_
; %bb.0:
	.section	.rodata,"a",@progbits
	.p2align	6, 0x0
	.amdhsa_kernel _ZN7rocprim17ROCPRIM_400000_NS6detail17trampoline_kernelINS0_14default_configENS1_38merge_sort_block_merge_config_selectorIalEEZZNS1_27merge_sort_block_merge_implIS3_PaN6thrust23THRUST_200600_302600_NS10device_ptrIlEEjNS1_19radix_merge_compareILb0ELb0EaNS0_19identity_decomposerEEEEE10hipError_tT0_T1_T2_jT3_P12ihipStream_tbPNSt15iterator_traitsISG_E10value_typeEPNSM_ISH_E10value_typeEPSI_NS1_7vsmem_tEENKUlT_SG_SH_SI_E_clIS7_S7_PlSB_EESF_SV_SG_SH_SI_EUlSV_E_NS1_11comp_targetILNS1_3genE9ELNS1_11target_archE1100ELNS1_3gpuE3ELNS1_3repE0EEENS1_48merge_mergepath_partition_config_static_selectorELNS0_4arch9wavefront6targetE1EEEvSH_
		.amdhsa_group_segment_fixed_size 0
		.amdhsa_private_segment_fixed_size 0
		.amdhsa_kernarg_size 40
		.amdhsa_user_sgpr_count 6
		.amdhsa_user_sgpr_private_segment_buffer 1
		.amdhsa_user_sgpr_dispatch_ptr 0
		.amdhsa_user_sgpr_queue_ptr 0
		.amdhsa_user_sgpr_kernarg_segment_ptr 1
		.amdhsa_user_sgpr_dispatch_id 0
		.amdhsa_user_sgpr_flat_scratch_init 0
		.amdhsa_user_sgpr_kernarg_preload_length 0
		.amdhsa_user_sgpr_kernarg_preload_offset 0
		.amdhsa_user_sgpr_private_segment_size 0
		.amdhsa_uses_dynamic_stack 0
		.amdhsa_system_sgpr_private_segment_wavefront_offset 0
		.amdhsa_system_sgpr_workgroup_id_x 1
		.amdhsa_system_sgpr_workgroup_id_y 0
		.amdhsa_system_sgpr_workgroup_id_z 0
		.amdhsa_system_sgpr_workgroup_info 0
		.amdhsa_system_vgpr_workitem_id 0
		.amdhsa_next_free_vgpr 1
		.amdhsa_next_free_sgpr 0
		.amdhsa_accum_offset 4
		.amdhsa_reserve_vcc 0
		.amdhsa_reserve_flat_scratch 0
		.amdhsa_float_round_mode_32 0
		.amdhsa_float_round_mode_16_64 0
		.amdhsa_float_denorm_mode_32 3
		.amdhsa_float_denorm_mode_16_64 3
		.amdhsa_dx10_clamp 1
		.amdhsa_ieee_mode 1
		.amdhsa_fp16_overflow 0
		.amdhsa_tg_split 0
		.amdhsa_exception_fp_ieee_invalid_op 0
		.amdhsa_exception_fp_denorm_src 0
		.amdhsa_exception_fp_ieee_div_zero 0
		.amdhsa_exception_fp_ieee_overflow 0
		.amdhsa_exception_fp_ieee_underflow 0
		.amdhsa_exception_fp_ieee_inexact 0
		.amdhsa_exception_int_div_zero 0
	.end_amdhsa_kernel
	.section	.text._ZN7rocprim17ROCPRIM_400000_NS6detail17trampoline_kernelINS0_14default_configENS1_38merge_sort_block_merge_config_selectorIalEEZZNS1_27merge_sort_block_merge_implIS3_PaN6thrust23THRUST_200600_302600_NS10device_ptrIlEEjNS1_19radix_merge_compareILb0ELb0EaNS0_19identity_decomposerEEEEE10hipError_tT0_T1_T2_jT3_P12ihipStream_tbPNSt15iterator_traitsISG_E10value_typeEPNSM_ISH_E10value_typeEPSI_NS1_7vsmem_tEENKUlT_SG_SH_SI_E_clIS7_S7_PlSB_EESF_SV_SG_SH_SI_EUlSV_E_NS1_11comp_targetILNS1_3genE9ELNS1_11target_archE1100ELNS1_3gpuE3ELNS1_3repE0EEENS1_48merge_mergepath_partition_config_static_selectorELNS0_4arch9wavefront6targetE1EEEvSH_,"axG",@progbits,_ZN7rocprim17ROCPRIM_400000_NS6detail17trampoline_kernelINS0_14default_configENS1_38merge_sort_block_merge_config_selectorIalEEZZNS1_27merge_sort_block_merge_implIS3_PaN6thrust23THRUST_200600_302600_NS10device_ptrIlEEjNS1_19radix_merge_compareILb0ELb0EaNS0_19identity_decomposerEEEEE10hipError_tT0_T1_T2_jT3_P12ihipStream_tbPNSt15iterator_traitsISG_E10value_typeEPNSM_ISH_E10value_typeEPSI_NS1_7vsmem_tEENKUlT_SG_SH_SI_E_clIS7_S7_PlSB_EESF_SV_SG_SH_SI_EUlSV_E_NS1_11comp_targetILNS1_3genE9ELNS1_11target_archE1100ELNS1_3gpuE3ELNS1_3repE0EEENS1_48merge_mergepath_partition_config_static_selectorELNS0_4arch9wavefront6targetE1EEEvSH_,comdat
.Lfunc_end484:
	.size	_ZN7rocprim17ROCPRIM_400000_NS6detail17trampoline_kernelINS0_14default_configENS1_38merge_sort_block_merge_config_selectorIalEEZZNS1_27merge_sort_block_merge_implIS3_PaN6thrust23THRUST_200600_302600_NS10device_ptrIlEEjNS1_19radix_merge_compareILb0ELb0EaNS0_19identity_decomposerEEEEE10hipError_tT0_T1_T2_jT3_P12ihipStream_tbPNSt15iterator_traitsISG_E10value_typeEPNSM_ISH_E10value_typeEPSI_NS1_7vsmem_tEENKUlT_SG_SH_SI_E_clIS7_S7_PlSB_EESF_SV_SG_SH_SI_EUlSV_E_NS1_11comp_targetILNS1_3genE9ELNS1_11target_archE1100ELNS1_3gpuE3ELNS1_3repE0EEENS1_48merge_mergepath_partition_config_static_selectorELNS0_4arch9wavefront6targetE1EEEvSH_, .Lfunc_end484-_ZN7rocprim17ROCPRIM_400000_NS6detail17trampoline_kernelINS0_14default_configENS1_38merge_sort_block_merge_config_selectorIalEEZZNS1_27merge_sort_block_merge_implIS3_PaN6thrust23THRUST_200600_302600_NS10device_ptrIlEEjNS1_19radix_merge_compareILb0ELb0EaNS0_19identity_decomposerEEEEE10hipError_tT0_T1_T2_jT3_P12ihipStream_tbPNSt15iterator_traitsISG_E10value_typeEPNSM_ISH_E10value_typeEPSI_NS1_7vsmem_tEENKUlT_SG_SH_SI_E_clIS7_S7_PlSB_EESF_SV_SG_SH_SI_EUlSV_E_NS1_11comp_targetILNS1_3genE9ELNS1_11target_archE1100ELNS1_3gpuE3ELNS1_3repE0EEENS1_48merge_mergepath_partition_config_static_selectorELNS0_4arch9wavefront6targetE1EEEvSH_
                                        ; -- End function
	.section	.AMDGPU.csdata,"",@progbits
; Kernel info:
; codeLenInByte = 0
; NumSgprs: 4
; NumVgprs: 0
; NumAgprs: 0
; TotalNumVgprs: 0
; ScratchSize: 0
; MemoryBound: 0
; FloatMode: 240
; IeeeMode: 1
; LDSByteSize: 0 bytes/workgroup (compile time only)
; SGPRBlocks: 0
; VGPRBlocks: 0
; NumSGPRsForWavesPerEU: 4
; NumVGPRsForWavesPerEU: 1
; AccumOffset: 4
; Occupancy: 8
; WaveLimiterHint : 0
; COMPUTE_PGM_RSRC2:SCRATCH_EN: 0
; COMPUTE_PGM_RSRC2:USER_SGPR: 6
; COMPUTE_PGM_RSRC2:TRAP_HANDLER: 0
; COMPUTE_PGM_RSRC2:TGID_X_EN: 1
; COMPUTE_PGM_RSRC2:TGID_Y_EN: 0
; COMPUTE_PGM_RSRC2:TGID_Z_EN: 0
; COMPUTE_PGM_RSRC2:TIDIG_COMP_CNT: 0
; COMPUTE_PGM_RSRC3_GFX90A:ACCUM_OFFSET: 0
; COMPUTE_PGM_RSRC3_GFX90A:TG_SPLIT: 0
	.section	.text._ZN7rocprim17ROCPRIM_400000_NS6detail17trampoline_kernelINS0_14default_configENS1_38merge_sort_block_merge_config_selectorIalEEZZNS1_27merge_sort_block_merge_implIS3_PaN6thrust23THRUST_200600_302600_NS10device_ptrIlEEjNS1_19radix_merge_compareILb0ELb0EaNS0_19identity_decomposerEEEEE10hipError_tT0_T1_T2_jT3_P12ihipStream_tbPNSt15iterator_traitsISG_E10value_typeEPNSM_ISH_E10value_typeEPSI_NS1_7vsmem_tEENKUlT_SG_SH_SI_E_clIS7_S7_PlSB_EESF_SV_SG_SH_SI_EUlSV_E_NS1_11comp_targetILNS1_3genE8ELNS1_11target_archE1030ELNS1_3gpuE2ELNS1_3repE0EEENS1_48merge_mergepath_partition_config_static_selectorELNS0_4arch9wavefront6targetE1EEEvSH_,"axG",@progbits,_ZN7rocprim17ROCPRIM_400000_NS6detail17trampoline_kernelINS0_14default_configENS1_38merge_sort_block_merge_config_selectorIalEEZZNS1_27merge_sort_block_merge_implIS3_PaN6thrust23THRUST_200600_302600_NS10device_ptrIlEEjNS1_19radix_merge_compareILb0ELb0EaNS0_19identity_decomposerEEEEE10hipError_tT0_T1_T2_jT3_P12ihipStream_tbPNSt15iterator_traitsISG_E10value_typeEPNSM_ISH_E10value_typeEPSI_NS1_7vsmem_tEENKUlT_SG_SH_SI_E_clIS7_S7_PlSB_EESF_SV_SG_SH_SI_EUlSV_E_NS1_11comp_targetILNS1_3genE8ELNS1_11target_archE1030ELNS1_3gpuE2ELNS1_3repE0EEENS1_48merge_mergepath_partition_config_static_selectorELNS0_4arch9wavefront6targetE1EEEvSH_,comdat
	.protected	_ZN7rocprim17ROCPRIM_400000_NS6detail17trampoline_kernelINS0_14default_configENS1_38merge_sort_block_merge_config_selectorIalEEZZNS1_27merge_sort_block_merge_implIS3_PaN6thrust23THRUST_200600_302600_NS10device_ptrIlEEjNS1_19radix_merge_compareILb0ELb0EaNS0_19identity_decomposerEEEEE10hipError_tT0_T1_T2_jT3_P12ihipStream_tbPNSt15iterator_traitsISG_E10value_typeEPNSM_ISH_E10value_typeEPSI_NS1_7vsmem_tEENKUlT_SG_SH_SI_E_clIS7_S7_PlSB_EESF_SV_SG_SH_SI_EUlSV_E_NS1_11comp_targetILNS1_3genE8ELNS1_11target_archE1030ELNS1_3gpuE2ELNS1_3repE0EEENS1_48merge_mergepath_partition_config_static_selectorELNS0_4arch9wavefront6targetE1EEEvSH_ ; -- Begin function _ZN7rocprim17ROCPRIM_400000_NS6detail17trampoline_kernelINS0_14default_configENS1_38merge_sort_block_merge_config_selectorIalEEZZNS1_27merge_sort_block_merge_implIS3_PaN6thrust23THRUST_200600_302600_NS10device_ptrIlEEjNS1_19radix_merge_compareILb0ELb0EaNS0_19identity_decomposerEEEEE10hipError_tT0_T1_T2_jT3_P12ihipStream_tbPNSt15iterator_traitsISG_E10value_typeEPNSM_ISH_E10value_typeEPSI_NS1_7vsmem_tEENKUlT_SG_SH_SI_E_clIS7_S7_PlSB_EESF_SV_SG_SH_SI_EUlSV_E_NS1_11comp_targetILNS1_3genE8ELNS1_11target_archE1030ELNS1_3gpuE2ELNS1_3repE0EEENS1_48merge_mergepath_partition_config_static_selectorELNS0_4arch9wavefront6targetE1EEEvSH_
	.globl	_ZN7rocprim17ROCPRIM_400000_NS6detail17trampoline_kernelINS0_14default_configENS1_38merge_sort_block_merge_config_selectorIalEEZZNS1_27merge_sort_block_merge_implIS3_PaN6thrust23THRUST_200600_302600_NS10device_ptrIlEEjNS1_19radix_merge_compareILb0ELb0EaNS0_19identity_decomposerEEEEE10hipError_tT0_T1_T2_jT3_P12ihipStream_tbPNSt15iterator_traitsISG_E10value_typeEPNSM_ISH_E10value_typeEPSI_NS1_7vsmem_tEENKUlT_SG_SH_SI_E_clIS7_S7_PlSB_EESF_SV_SG_SH_SI_EUlSV_E_NS1_11comp_targetILNS1_3genE8ELNS1_11target_archE1030ELNS1_3gpuE2ELNS1_3repE0EEENS1_48merge_mergepath_partition_config_static_selectorELNS0_4arch9wavefront6targetE1EEEvSH_
	.p2align	8
	.type	_ZN7rocprim17ROCPRIM_400000_NS6detail17trampoline_kernelINS0_14default_configENS1_38merge_sort_block_merge_config_selectorIalEEZZNS1_27merge_sort_block_merge_implIS3_PaN6thrust23THRUST_200600_302600_NS10device_ptrIlEEjNS1_19radix_merge_compareILb0ELb0EaNS0_19identity_decomposerEEEEE10hipError_tT0_T1_T2_jT3_P12ihipStream_tbPNSt15iterator_traitsISG_E10value_typeEPNSM_ISH_E10value_typeEPSI_NS1_7vsmem_tEENKUlT_SG_SH_SI_E_clIS7_S7_PlSB_EESF_SV_SG_SH_SI_EUlSV_E_NS1_11comp_targetILNS1_3genE8ELNS1_11target_archE1030ELNS1_3gpuE2ELNS1_3repE0EEENS1_48merge_mergepath_partition_config_static_selectorELNS0_4arch9wavefront6targetE1EEEvSH_,@function
_ZN7rocprim17ROCPRIM_400000_NS6detail17trampoline_kernelINS0_14default_configENS1_38merge_sort_block_merge_config_selectorIalEEZZNS1_27merge_sort_block_merge_implIS3_PaN6thrust23THRUST_200600_302600_NS10device_ptrIlEEjNS1_19radix_merge_compareILb0ELb0EaNS0_19identity_decomposerEEEEE10hipError_tT0_T1_T2_jT3_P12ihipStream_tbPNSt15iterator_traitsISG_E10value_typeEPNSM_ISH_E10value_typeEPSI_NS1_7vsmem_tEENKUlT_SG_SH_SI_E_clIS7_S7_PlSB_EESF_SV_SG_SH_SI_EUlSV_E_NS1_11comp_targetILNS1_3genE8ELNS1_11target_archE1030ELNS1_3gpuE2ELNS1_3repE0EEENS1_48merge_mergepath_partition_config_static_selectorELNS0_4arch9wavefront6targetE1EEEvSH_: ; @_ZN7rocprim17ROCPRIM_400000_NS6detail17trampoline_kernelINS0_14default_configENS1_38merge_sort_block_merge_config_selectorIalEEZZNS1_27merge_sort_block_merge_implIS3_PaN6thrust23THRUST_200600_302600_NS10device_ptrIlEEjNS1_19radix_merge_compareILb0ELb0EaNS0_19identity_decomposerEEEEE10hipError_tT0_T1_T2_jT3_P12ihipStream_tbPNSt15iterator_traitsISG_E10value_typeEPNSM_ISH_E10value_typeEPSI_NS1_7vsmem_tEENKUlT_SG_SH_SI_E_clIS7_S7_PlSB_EESF_SV_SG_SH_SI_EUlSV_E_NS1_11comp_targetILNS1_3genE8ELNS1_11target_archE1030ELNS1_3gpuE2ELNS1_3repE0EEENS1_48merge_mergepath_partition_config_static_selectorELNS0_4arch9wavefront6targetE1EEEvSH_
; %bb.0:
	.section	.rodata,"a",@progbits
	.p2align	6, 0x0
	.amdhsa_kernel _ZN7rocprim17ROCPRIM_400000_NS6detail17trampoline_kernelINS0_14default_configENS1_38merge_sort_block_merge_config_selectorIalEEZZNS1_27merge_sort_block_merge_implIS3_PaN6thrust23THRUST_200600_302600_NS10device_ptrIlEEjNS1_19radix_merge_compareILb0ELb0EaNS0_19identity_decomposerEEEEE10hipError_tT0_T1_T2_jT3_P12ihipStream_tbPNSt15iterator_traitsISG_E10value_typeEPNSM_ISH_E10value_typeEPSI_NS1_7vsmem_tEENKUlT_SG_SH_SI_E_clIS7_S7_PlSB_EESF_SV_SG_SH_SI_EUlSV_E_NS1_11comp_targetILNS1_3genE8ELNS1_11target_archE1030ELNS1_3gpuE2ELNS1_3repE0EEENS1_48merge_mergepath_partition_config_static_selectorELNS0_4arch9wavefront6targetE1EEEvSH_
		.amdhsa_group_segment_fixed_size 0
		.amdhsa_private_segment_fixed_size 0
		.amdhsa_kernarg_size 40
		.amdhsa_user_sgpr_count 6
		.amdhsa_user_sgpr_private_segment_buffer 1
		.amdhsa_user_sgpr_dispatch_ptr 0
		.amdhsa_user_sgpr_queue_ptr 0
		.amdhsa_user_sgpr_kernarg_segment_ptr 1
		.amdhsa_user_sgpr_dispatch_id 0
		.amdhsa_user_sgpr_flat_scratch_init 0
		.amdhsa_user_sgpr_kernarg_preload_length 0
		.amdhsa_user_sgpr_kernarg_preload_offset 0
		.amdhsa_user_sgpr_private_segment_size 0
		.amdhsa_uses_dynamic_stack 0
		.amdhsa_system_sgpr_private_segment_wavefront_offset 0
		.amdhsa_system_sgpr_workgroup_id_x 1
		.amdhsa_system_sgpr_workgroup_id_y 0
		.amdhsa_system_sgpr_workgroup_id_z 0
		.amdhsa_system_sgpr_workgroup_info 0
		.amdhsa_system_vgpr_workitem_id 0
		.amdhsa_next_free_vgpr 1
		.amdhsa_next_free_sgpr 0
		.amdhsa_accum_offset 4
		.amdhsa_reserve_vcc 0
		.amdhsa_reserve_flat_scratch 0
		.amdhsa_float_round_mode_32 0
		.amdhsa_float_round_mode_16_64 0
		.amdhsa_float_denorm_mode_32 3
		.amdhsa_float_denorm_mode_16_64 3
		.amdhsa_dx10_clamp 1
		.amdhsa_ieee_mode 1
		.amdhsa_fp16_overflow 0
		.amdhsa_tg_split 0
		.amdhsa_exception_fp_ieee_invalid_op 0
		.amdhsa_exception_fp_denorm_src 0
		.amdhsa_exception_fp_ieee_div_zero 0
		.amdhsa_exception_fp_ieee_overflow 0
		.amdhsa_exception_fp_ieee_underflow 0
		.amdhsa_exception_fp_ieee_inexact 0
		.amdhsa_exception_int_div_zero 0
	.end_amdhsa_kernel
	.section	.text._ZN7rocprim17ROCPRIM_400000_NS6detail17trampoline_kernelINS0_14default_configENS1_38merge_sort_block_merge_config_selectorIalEEZZNS1_27merge_sort_block_merge_implIS3_PaN6thrust23THRUST_200600_302600_NS10device_ptrIlEEjNS1_19radix_merge_compareILb0ELb0EaNS0_19identity_decomposerEEEEE10hipError_tT0_T1_T2_jT3_P12ihipStream_tbPNSt15iterator_traitsISG_E10value_typeEPNSM_ISH_E10value_typeEPSI_NS1_7vsmem_tEENKUlT_SG_SH_SI_E_clIS7_S7_PlSB_EESF_SV_SG_SH_SI_EUlSV_E_NS1_11comp_targetILNS1_3genE8ELNS1_11target_archE1030ELNS1_3gpuE2ELNS1_3repE0EEENS1_48merge_mergepath_partition_config_static_selectorELNS0_4arch9wavefront6targetE1EEEvSH_,"axG",@progbits,_ZN7rocprim17ROCPRIM_400000_NS6detail17trampoline_kernelINS0_14default_configENS1_38merge_sort_block_merge_config_selectorIalEEZZNS1_27merge_sort_block_merge_implIS3_PaN6thrust23THRUST_200600_302600_NS10device_ptrIlEEjNS1_19radix_merge_compareILb0ELb0EaNS0_19identity_decomposerEEEEE10hipError_tT0_T1_T2_jT3_P12ihipStream_tbPNSt15iterator_traitsISG_E10value_typeEPNSM_ISH_E10value_typeEPSI_NS1_7vsmem_tEENKUlT_SG_SH_SI_E_clIS7_S7_PlSB_EESF_SV_SG_SH_SI_EUlSV_E_NS1_11comp_targetILNS1_3genE8ELNS1_11target_archE1030ELNS1_3gpuE2ELNS1_3repE0EEENS1_48merge_mergepath_partition_config_static_selectorELNS0_4arch9wavefront6targetE1EEEvSH_,comdat
.Lfunc_end485:
	.size	_ZN7rocprim17ROCPRIM_400000_NS6detail17trampoline_kernelINS0_14default_configENS1_38merge_sort_block_merge_config_selectorIalEEZZNS1_27merge_sort_block_merge_implIS3_PaN6thrust23THRUST_200600_302600_NS10device_ptrIlEEjNS1_19radix_merge_compareILb0ELb0EaNS0_19identity_decomposerEEEEE10hipError_tT0_T1_T2_jT3_P12ihipStream_tbPNSt15iterator_traitsISG_E10value_typeEPNSM_ISH_E10value_typeEPSI_NS1_7vsmem_tEENKUlT_SG_SH_SI_E_clIS7_S7_PlSB_EESF_SV_SG_SH_SI_EUlSV_E_NS1_11comp_targetILNS1_3genE8ELNS1_11target_archE1030ELNS1_3gpuE2ELNS1_3repE0EEENS1_48merge_mergepath_partition_config_static_selectorELNS0_4arch9wavefront6targetE1EEEvSH_, .Lfunc_end485-_ZN7rocprim17ROCPRIM_400000_NS6detail17trampoline_kernelINS0_14default_configENS1_38merge_sort_block_merge_config_selectorIalEEZZNS1_27merge_sort_block_merge_implIS3_PaN6thrust23THRUST_200600_302600_NS10device_ptrIlEEjNS1_19radix_merge_compareILb0ELb0EaNS0_19identity_decomposerEEEEE10hipError_tT0_T1_T2_jT3_P12ihipStream_tbPNSt15iterator_traitsISG_E10value_typeEPNSM_ISH_E10value_typeEPSI_NS1_7vsmem_tEENKUlT_SG_SH_SI_E_clIS7_S7_PlSB_EESF_SV_SG_SH_SI_EUlSV_E_NS1_11comp_targetILNS1_3genE8ELNS1_11target_archE1030ELNS1_3gpuE2ELNS1_3repE0EEENS1_48merge_mergepath_partition_config_static_selectorELNS0_4arch9wavefront6targetE1EEEvSH_
                                        ; -- End function
	.section	.AMDGPU.csdata,"",@progbits
; Kernel info:
; codeLenInByte = 0
; NumSgprs: 4
; NumVgprs: 0
; NumAgprs: 0
; TotalNumVgprs: 0
; ScratchSize: 0
; MemoryBound: 0
; FloatMode: 240
; IeeeMode: 1
; LDSByteSize: 0 bytes/workgroup (compile time only)
; SGPRBlocks: 0
; VGPRBlocks: 0
; NumSGPRsForWavesPerEU: 4
; NumVGPRsForWavesPerEU: 1
; AccumOffset: 4
; Occupancy: 8
; WaveLimiterHint : 0
; COMPUTE_PGM_RSRC2:SCRATCH_EN: 0
; COMPUTE_PGM_RSRC2:USER_SGPR: 6
; COMPUTE_PGM_RSRC2:TRAP_HANDLER: 0
; COMPUTE_PGM_RSRC2:TGID_X_EN: 1
; COMPUTE_PGM_RSRC2:TGID_Y_EN: 0
; COMPUTE_PGM_RSRC2:TGID_Z_EN: 0
; COMPUTE_PGM_RSRC2:TIDIG_COMP_CNT: 0
; COMPUTE_PGM_RSRC3_GFX90A:ACCUM_OFFSET: 0
; COMPUTE_PGM_RSRC3_GFX90A:TG_SPLIT: 0
	.section	.text._ZN7rocprim17ROCPRIM_400000_NS6detail17trampoline_kernelINS0_14default_configENS1_38merge_sort_block_merge_config_selectorIalEEZZNS1_27merge_sort_block_merge_implIS3_PaN6thrust23THRUST_200600_302600_NS10device_ptrIlEEjNS1_19radix_merge_compareILb0ELb0EaNS0_19identity_decomposerEEEEE10hipError_tT0_T1_T2_jT3_P12ihipStream_tbPNSt15iterator_traitsISG_E10value_typeEPNSM_ISH_E10value_typeEPSI_NS1_7vsmem_tEENKUlT_SG_SH_SI_E_clIS7_S7_PlSB_EESF_SV_SG_SH_SI_EUlSV_E0_NS1_11comp_targetILNS1_3genE0ELNS1_11target_archE4294967295ELNS1_3gpuE0ELNS1_3repE0EEENS1_38merge_mergepath_config_static_selectorELNS0_4arch9wavefront6targetE1EEEvSH_,"axG",@progbits,_ZN7rocprim17ROCPRIM_400000_NS6detail17trampoline_kernelINS0_14default_configENS1_38merge_sort_block_merge_config_selectorIalEEZZNS1_27merge_sort_block_merge_implIS3_PaN6thrust23THRUST_200600_302600_NS10device_ptrIlEEjNS1_19radix_merge_compareILb0ELb0EaNS0_19identity_decomposerEEEEE10hipError_tT0_T1_T2_jT3_P12ihipStream_tbPNSt15iterator_traitsISG_E10value_typeEPNSM_ISH_E10value_typeEPSI_NS1_7vsmem_tEENKUlT_SG_SH_SI_E_clIS7_S7_PlSB_EESF_SV_SG_SH_SI_EUlSV_E0_NS1_11comp_targetILNS1_3genE0ELNS1_11target_archE4294967295ELNS1_3gpuE0ELNS1_3repE0EEENS1_38merge_mergepath_config_static_selectorELNS0_4arch9wavefront6targetE1EEEvSH_,comdat
	.protected	_ZN7rocprim17ROCPRIM_400000_NS6detail17trampoline_kernelINS0_14default_configENS1_38merge_sort_block_merge_config_selectorIalEEZZNS1_27merge_sort_block_merge_implIS3_PaN6thrust23THRUST_200600_302600_NS10device_ptrIlEEjNS1_19radix_merge_compareILb0ELb0EaNS0_19identity_decomposerEEEEE10hipError_tT0_T1_T2_jT3_P12ihipStream_tbPNSt15iterator_traitsISG_E10value_typeEPNSM_ISH_E10value_typeEPSI_NS1_7vsmem_tEENKUlT_SG_SH_SI_E_clIS7_S7_PlSB_EESF_SV_SG_SH_SI_EUlSV_E0_NS1_11comp_targetILNS1_3genE0ELNS1_11target_archE4294967295ELNS1_3gpuE0ELNS1_3repE0EEENS1_38merge_mergepath_config_static_selectorELNS0_4arch9wavefront6targetE1EEEvSH_ ; -- Begin function _ZN7rocprim17ROCPRIM_400000_NS6detail17trampoline_kernelINS0_14default_configENS1_38merge_sort_block_merge_config_selectorIalEEZZNS1_27merge_sort_block_merge_implIS3_PaN6thrust23THRUST_200600_302600_NS10device_ptrIlEEjNS1_19radix_merge_compareILb0ELb0EaNS0_19identity_decomposerEEEEE10hipError_tT0_T1_T2_jT3_P12ihipStream_tbPNSt15iterator_traitsISG_E10value_typeEPNSM_ISH_E10value_typeEPSI_NS1_7vsmem_tEENKUlT_SG_SH_SI_E_clIS7_S7_PlSB_EESF_SV_SG_SH_SI_EUlSV_E0_NS1_11comp_targetILNS1_3genE0ELNS1_11target_archE4294967295ELNS1_3gpuE0ELNS1_3repE0EEENS1_38merge_mergepath_config_static_selectorELNS0_4arch9wavefront6targetE1EEEvSH_
	.globl	_ZN7rocprim17ROCPRIM_400000_NS6detail17trampoline_kernelINS0_14default_configENS1_38merge_sort_block_merge_config_selectorIalEEZZNS1_27merge_sort_block_merge_implIS3_PaN6thrust23THRUST_200600_302600_NS10device_ptrIlEEjNS1_19radix_merge_compareILb0ELb0EaNS0_19identity_decomposerEEEEE10hipError_tT0_T1_T2_jT3_P12ihipStream_tbPNSt15iterator_traitsISG_E10value_typeEPNSM_ISH_E10value_typeEPSI_NS1_7vsmem_tEENKUlT_SG_SH_SI_E_clIS7_S7_PlSB_EESF_SV_SG_SH_SI_EUlSV_E0_NS1_11comp_targetILNS1_3genE0ELNS1_11target_archE4294967295ELNS1_3gpuE0ELNS1_3repE0EEENS1_38merge_mergepath_config_static_selectorELNS0_4arch9wavefront6targetE1EEEvSH_
	.p2align	8
	.type	_ZN7rocprim17ROCPRIM_400000_NS6detail17trampoline_kernelINS0_14default_configENS1_38merge_sort_block_merge_config_selectorIalEEZZNS1_27merge_sort_block_merge_implIS3_PaN6thrust23THRUST_200600_302600_NS10device_ptrIlEEjNS1_19radix_merge_compareILb0ELb0EaNS0_19identity_decomposerEEEEE10hipError_tT0_T1_T2_jT3_P12ihipStream_tbPNSt15iterator_traitsISG_E10value_typeEPNSM_ISH_E10value_typeEPSI_NS1_7vsmem_tEENKUlT_SG_SH_SI_E_clIS7_S7_PlSB_EESF_SV_SG_SH_SI_EUlSV_E0_NS1_11comp_targetILNS1_3genE0ELNS1_11target_archE4294967295ELNS1_3gpuE0ELNS1_3repE0EEENS1_38merge_mergepath_config_static_selectorELNS0_4arch9wavefront6targetE1EEEvSH_,@function
_ZN7rocprim17ROCPRIM_400000_NS6detail17trampoline_kernelINS0_14default_configENS1_38merge_sort_block_merge_config_selectorIalEEZZNS1_27merge_sort_block_merge_implIS3_PaN6thrust23THRUST_200600_302600_NS10device_ptrIlEEjNS1_19radix_merge_compareILb0ELb0EaNS0_19identity_decomposerEEEEE10hipError_tT0_T1_T2_jT3_P12ihipStream_tbPNSt15iterator_traitsISG_E10value_typeEPNSM_ISH_E10value_typeEPSI_NS1_7vsmem_tEENKUlT_SG_SH_SI_E_clIS7_S7_PlSB_EESF_SV_SG_SH_SI_EUlSV_E0_NS1_11comp_targetILNS1_3genE0ELNS1_11target_archE4294967295ELNS1_3gpuE0ELNS1_3repE0EEENS1_38merge_mergepath_config_static_selectorELNS0_4arch9wavefront6targetE1EEEvSH_: ; @_ZN7rocprim17ROCPRIM_400000_NS6detail17trampoline_kernelINS0_14default_configENS1_38merge_sort_block_merge_config_selectorIalEEZZNS1_27merge_sort_block_merge_implIS3_PaN6thrust23THRUST_200600_302600_NS10device_ptrIlEEjNS1_19radix_merge_compareILb0ELb0EaNS0_19identity_decomposerEEEEE10hipError_tT0_T1_T2_jT3_P12ihipStream_tbPNSt15iterator_traitsISG_E10value_typeEPNSM_ISH_E10value_typeEPSI_NS1_7vsmem_tEENKUlT_SG_SH_SI_E_clIS7_S7_PlSB_EESF_SV_SG_SH_SI_EUlSV_E0_NS1_11comp_targetILNS1_3genE0ELNS1_11target_archE4294967295ELNS1_3gpuE0ELNS1_3repE0EEENS1_38merge_mergepath_config_static_selectorELNS0_4arch9wavefront6targetE1EEEvSH_
; %bb.0:
	.section	.rodata,"a",@progbits
	.p2align	6, 0x0
	.amdhsa_kernel _ZN7rocprim17ROCPRIM_400000_NS6detail17trampoline_kernelINS0_14default_configENS1_38merge_sort_block_merge_config_selectorIalEEZZNS1_27merge_sort_block_merge_implIS3_PaN6thrust23THRUST_200600_302600_NS10device_ptrIlEEjNS1_19radix_merge_compareILb0ELb0EaNS0_19identity_decomposerEEEEE10hipError_tT0_T1_T2_jT3_P12ihipStream_tbPNSt15iterator_traitsISG_E10value_typeEPNSM_ISH_E10value_typeEPSI_NS1_7vsmem_tEENKUlT_SG_SH_SI_E_clIS7_S7_PlSB_EESF_SV_SG_SH_SI_EUlSV_E0_NS1_11comp_targetILNS1_3genE0ELNS1_11target_archE4294967295ELNS1_3gpuE0ELNS1_3repE0EEENS1_38merge_mergepath_config_static_selectorELNS0_4arch9wavefront6targetE1EEEvSH_
		.amdhsa_group_segment_fixed_size 0
		.amdhsa_private_segment_fixed_size 0
		.amdhsa_kernarg_size 64
		.amdhsa_user_sgpr_count 6
		.amdhsa_user_sgpr_private_segment_buffer 1
		.amdhsa_user_sgpr_dispatch_ptr 0
		.amdhsa_user_sgpr_queue_ptr 0
		.amdhsa_user_sgpr_kernarg_segment_ptr 1
		.amdhsa_user_sgpr_dispatch_id 0
		.amdhsa_user_sgpr_flat_scratch_init 0
		.amdhsa_user_sgpr_kernarg_preload_length 0
		.amdhsa_user_sgpr_kernarg_preload_offset 0
		.amdhsa_user_sgpr_private_segment_size 0
		.amdhsa_uses_dynamic_stack 0
		.amdhsa_system_sgpr_private_segment_wavefront_offset 0
		.amdhsa_system_sgpr_workgroup_id_x 1
		.amdhsa_system_sgpr_workgroup_id_y 0
		.amdhsa_system_sgpr_workgroup_id_z 0
		.amdhsa_system_sgpr_workgroup_info 0
		.amdhsa_system_vgpr_workitem_id 0
		.amdhsa_next_free_vgpr 1
		.amdhsa_next_free_sgpr 0
		.amdhsa_accum_offset 4
		.amdhsa_reserve_vcc 0
		.amdhsa_reserve_flat_scratch 0
		.amdhsa_float_round_mode_32 0
		.amdhsa_float_round_mode_16_64 0
		.amdhsa_float_denorm_mode_32 3
		.amdhsa_float_denorm_mode_16_64 3
		.amdhsa_dx10_clamp 1
		.amdhsa_ieee_mode 1
		.amdhsa_fp16_overflow 0
		.amdhsa_tg_split 0
		.amdhsa_exception_fp_ieee_invalid_op 0
		.amdhsa_exception_fp_denorm_src 0
		.amdhsa_exception_fp_ieee_div_zero 0
		.amdhsa_exception_fp_ieee_overflow 0
		.amdhsa_exception_fp_ieee_underflow 0
		.amdhsa_exception_fp_ieee_inexact 0
		.amdhsa_exception_int_div_zero 0
	.end_amdhsa_kernel
	.section	.text._ZN7rocprim17ROCPRIM_400000_NS6detail17trampoline_kernelINS0_14default_configENS1_38merge_sort_block_merge_config_selectorIalEEZZNS1_27merge_sort_block_merge_implIS3_PaN6thrust23THRUST_200600_302600_NS10device_ptrIlEEjNS1_19radix_merge_compareILb0ELb0EaNS0_19identity_decomposerEEEEE10hipError_tT0_T1_T2_jT3_P12ihipStream_tbPNSt15iterator_traitsISG_E10value_typeEPNSM_ISH_E10value_typeEPSI_NS1_7vsmem_tEENKUlT_SG_SH_SI_E_clIS7_S7_PlSB_EESF_SV_SG_SH_SI_EUlSV_E0_NS1_11comp_targetILNS1_3genE0ELNS1_11target_archE4294967295ELNS1_3gpuE0ELNS1_3repE0EEENS1_38merge_mergepath_config_static_selectorELNS0_4arch9wavefront6targetE1EEEvSH_,"axG",@progbits,_ZN7rocprim17ROCPRIM_400000_NS6detail17trampoline_kernelINS0_14default_configENS1_38merge_sort_block_merge_config_selectorIalEEZZNS1_27merge_sort_block_merge_implIS3_PaN6thrust23THRUST_200600_302600_NS10device_ptrIlEEjNS1_19radix_merge_compareILb0ELb0EaNS0_19identity_decomposerEEEEE10hipError_tT0_T1_T2_jT3_P12ihipStream_tbPNSt15iterator_traitsISG_E10value_typeEPNSM_ISH_E10value_typeEPSI_NS1_7vsmem_tEENKUlT_SG_SH_SI_E_clIS7_S7_PlSB_EESF_SV_SG_SH_SI_EUlSV_E0_NS1_11comp_targetILNS1_3genE0ELNS1_11target_archE4294967295ELNS1_3gpuE0ELNS1_3repE0EEENS1_38merge_mergepath_config_static_selectorELNS0_4arch9wavefront6targetE1EEEvSH_,comdat
.Lfunc_end486:
	.size	_ZN7rocprim17ROCPRIM_400000_NS6detail17trampoline_kernelINS0_14default_configENS1_38merge_sort_block_merge_config_selectorIalEEZZNS1_27merge_sort_block_merge_implIS3_PaN6thrust23THRUST_200600_302600_NS10device_ptrIlEEjNS1_19radix_merge_compareILb0ELb0EaNS0_19identity_decomposerEEEEE10hipError_tT0_T1_T2_jT3_P12ihipStream_tbPNSt15iterator_traitsISG_E10value_typeEPNSM_ISH_E10value_typeEPSI_NS1_7vsmem_tEENKUlT_SG_SH_SI_E_clIS7_S7_PlSB_EESF_SV_SG_SH_SI_EUlSV_E0_NS1_11comp_targetILNS1_3genE0ELNS1_11target_archE4294967295ELNS1_3gpuE0ELNS1_3repE0EEENS1_38merge_mergepath_config_static_selectorELNS0_4arch9wavefront6targetE1EEEvSH_, .Lfunc_end486-_ZN7rocprim17ROCPRIM_400000_NS6detail17trampoline_kernelINS0_14default_configENS1_38merge_sort_block_merge_config_selectorIalEEZZNS1_27merge_sort_block_merge_implIS3_PaN6thrust23THRUST_200600_302600_NS10device_ptrIlEEjNS1_19radix_merge_compareILb0ELb0EaNS0_19identity_decomposerEEEEE10hipError_tT0_T1_T2_jT3_P12ihipStream_tbPNSt15iterator_traitsISG_E10value_typeEPNSM_ISH_E10value_typeEPSI_NS1_7vsmem_tEENKUlT_SG_SH_SI_E_clIS7_S7_PlSB_EESF_SV_SG_SH_SI_EUlSV_E0_NS1_11comp_targetILNS1_3genE0ELNS1_11target_archE4294967295ELNS1_3gpuE0ELNS1_3repE0EEENS1_38merge_mergepath_config_static_selectorELNS0_4arch9wavefront6targetE1EEEvSH_
                                        ; -- End function
	.section	.AMDGPU.csdata,"",@progbits
; Kernel info:
; codeLenInByte = 0
; NumSgprs: 4
; NumVgprs: 0
; NumAgprs: 0
; TotalNumVgprs: 0
; ScratchSize: 0
; MemoryBound: 0
; FloatMode: 240
; IeeeMode: 1
; LDSByteSize: 0 bytes/workgroup (compile time only)
; SGPRBlocks: 0
; VGPRBlocks: 0
; NumSGPRsForWavesPerEU: 4
; NumVGPRsForWavesPerEU: 1
; AccumOffset: 4
; Occupancy: 8
; WaveLimiterHint : 0
; COMPUTE_PGM_RSRC2:SCRATCH_EN: 0
; COMPUTE_PGM_RSRC2:USER_SGPR: 6
; COMPUTE_PGM_RSRC2:TRAP_HANDLER: 0
; COMPUTE_PGM_RSRC2:TGID_X_EN: 1
; COMPUTE_PGM_RSRC2:TGID_Y_EN: 0
; COMPUTE_PGM_RSRC2:TGID_Z_EN: 0
; COMPUTE_PGM_RSRC2:TIDIG_COMP_CNT: 0
; COMPUTE_PGM_RSRC3_GFX90A:ACCUM_OFFSET: 0
; COMPUTE_PGM_RSRC3_GFX90A:TG_SPLIT: 0
	.section	.text._ZN7rocprim17ROCPRIM_400000_NS6detail17trampoline_kernelINS0_14default_configENS1_38merge_sort_block_merge_config_selectorIalEEZZNS1_27merge_sort_block_merge_implIS3_PaN6thrust23THRUST_200600_302600_NS10device_ptrIlEEjNS1_19radix_merge_compareILb0ELb0EaNS0_19identity_decomposerEEEEE10hipError_tT0_T1_T2_jT3_P12ihipStream_tbPNSt15iterator_traitsISG_E10value_typeEPNSM_ISH_E10value_typeEPSI_NS1_7vsmem_tEENKUlT_SG_SH_SI_E_clIS7_S7_PlSB_EESF_SV_SG_SH_SI_EUlSV_E0_NS1_11comp_targetILNS1_3genE10ELNS1_11target_archE1201ELNS1_3gpuE5ELNS1_3repE0EEENS1_38merge_mergepath_config_static_selectorELNS0_4arch9wavefront6targetE1EEEvSH_,"axG",@progbits,_ZN7rocprim17ROCPRIM_400000_NS6detail17trampoline_kernelINS0_14default_configENS1_38merge_sort_block_merge_config_selectorIalEEZZNS1_27merge_sort_block_merge_implIS3_PaN6thrust23THRUST_200600_302600_NS10device_ptrIlEEjNS1_19radix_merge_compareILb0ELb0EaNS0_19identity_decomposerEEEEE10hipError_tT0_T1_T2_jT3_P12ihipStream_tbPNSt15iterator_traitsISG_E10value_typeEPNSM_ISH_E10value_typeEPSI_NS1_7vsmem_tEENKUlT_SG_SH_SI_E_clIS7_S7_PlSB_EESF_SV_SG_SH_SI_EUlSV_E0_NS1_11comp_targetILNS1_3genE10ELNS1_11target_archE1201ELNS1_3gpuE5ELNS1_3repE0EEENS1_38merge_mergepath_config_static_selectorELNS0_4arch9wavefront6targetE1EEEvSH_,comdat
	.protected	_ZN7rocprim17ROCPRIM_400000_NS6detail17trampoline_kernelINS0_14default_configENS1_38merge_sort_block_merge_config_selectorIalEEZZNS1_27merge_sort_block_merge_implIS3_PaN6thrust23THRUST_200600_302600_NS10device_ptrIlEEjNS1_19radix_merge_compareILb0ELb0EaNS0_19identity_decomposerEEEEE10hipError_tT0_T1_T2_jT3_P12ihipStream_tbPNSt15iterator_traitsISG_E10value_typeEPNSM_ISH_E10value_typeEPSI_NS1_7vsmem_tEENKUlT_SG_SH_SI_E_clIS7_S7_PlSB_EESF_SV_SG_SH_SI_EUlSV_E0_NS1_11comp_targetILNS1_3genE10ELNS1_11target_archE1201ELNS1_3gpuE5ELNS1_3repE0EEENS1_38merge_mergepath_config_static_selectorELNS0_4arch9wavefront6targetE1EEEvSH_ ; -- Begin function _ZN7rocprim17ROCPRIM_400000_NS6detail17trampoline_kernelINS0_14default_configENS1_38merge_sort_block_merge_config_selectorIalEEZZNS1_27merge_sort_block_merge_implIS3_PaN6thrust23THRUST_200600_302600_NS10device_ptrIlEEjNS1_19radix_merge_compareILb0ELb0EaNS0_19identity_decomposerEEEEE10hipError_tT0_T1_T2_jT3_P12ihipStream_tbPNSt15iterator_traitsISG_E10value_typeEPNSM_ISH_E10value_typeEPSI_NS1_7vsmem_tEENKUlT_SG_SH_SI_E_clIS7_S7_PlSB_EESF_SV_SG_SH_SI_EUlSV_E0_NS1_11comp_targetILNS1_3genE10ELNS1_11target_archE1201ELNS1_3gpuE5ELNS1_3repE0EEENS1_38merge_mergepath_config_static_selectorELNS0_4arch9wavefront6targetE1EEEvSH_
	.globl	_ZN7rocprim17ROCPRIM_400000_NS6detail17trampoline_kernelINS0_14default_configENS1_38merge_sort_block_merge_config_selectorIalEEZZNS1_27merge_sort_block_merge_implIS3_PaN6thrust23THRUST_200600_302600_NS10device_ptrIlEEjNS1_19radix_merge_compareILb0ELb0EaNS0_19identity_decomposerEEEEE10hipError_tT0_T1_T2_jT3_P12ihipStream_tbPNSt15iterator_traitsISG_E10value_typeEPNSM_ISH_E10value_typeEPSI_NS1_7vsmem_tEENKUlT_SG_SH_SI_E_clIS7_S7_PlSB_EESF_SV_SG_SH_SI_EUlSV_E0_NS1_11comp_targetILNS1_3genE10ELNS1_11target_archE1201ELNS1_3gpuE5ELNS1_3repE0EEENS1_38merge_mergepath_config_static_selectorELNS0_4arch9wavefront6targetE1EEEvSH_
	.p2align	8
	.type	_ZN7rocprim17ROCPRIM_400000_NS6detail17trampoline_kernelINS0_14default_configENS1_38merge_sort_block_merge_config_selectorIalEEZZNS1_27merge_sort_block_merge_implIS3_PaN6thrust23THRUST_200600_302600_NS10device_ptrIlEEjNS1_19radix_merge_compareILb0ELb0EaNS0_19identity_decomposerEEEEE10hipError_tT0_T1_T2_jT3_P12ihipStream_tbPNSt15iterator_traitsISG_E10value_typeEPNSM_ISH_E10value_typeEPSI_NS1_7vsmem_tEENKUlT_SG_SH_SI_E_clIS7_S7_PlSB_EESF_SV_SG_SH_SI_EUlSV_E0_NS1_11comp_targetILNS1_3genE10ELNS1_11target_archE1201ELNS1_3gpuE5ELNS1_3repE0EEENS1_38merge_mergepath_config_static_selectorELNS0_4arch9wavefront6targetE1EEEvSH_,@function
_ZN7rocprim17ROCPRIM_400000_NS6detail17trampoline_kernelINS0_14default_configENS1_38merge_sort_block_merge_config_selectorIalEEZZNS1_27merge_sort_block_merge_implIS3_PaN6thrust23THRUST_200600_302600_NS10device_ptrIlEEjNS1_19radix_merge_compareILb0ELb0EaNS0_19identity_decomposerEEEEE10hipError_tT0_T1_T2_jT3_P12ihipStream_tbPNSt15iterator_traitsISG_E10value_typeEPNSM_ISH_E10value_typeEPSI_NS1_7vsmem_tEENKUlT_SG_SH_SI_E_clIS7_S7_PlSB_EESF_SV_SG_SH_SI_EUlSV_E0_NS1_11comp_targetILNS1_3genE10ELNS1_11target_archE1201ELNS1_3gpuE5ELNS1_3repE0EEENS1_38merge_mergepath_config_static_selectorELNS0_4arch9wavefront6targetE1EEEvSH_: ; @_ZN7rocprim17ROCPRIM_400000_NS6detail17trampoline_kernelINS0_14default_configENS1_38merge_sort_block_merge_config_selectorIalEEZZNS1_27merge_sort_block_merge_implIS3_PaN6thrust23THRUST_200600_302600_NS10device_ptrIlEEjNS1_19radix_merge_compareILb0ELb0EaNS0_19identity_decomposerEEEEE10hipError_tT0_T1_T2_jT3_P12ihipStream_tbPNSt15iterator_traitsISG_E10value_typeEPNSM_ISH_E10value_typeEPSI_NS1_7vsmem_tEENKUlT_SG_SH_SI_E_clIS7_S7_PlSB_EESF_SV_SG_SH_SI_EUlSV_E0_NS1_11comp_targetILNS1_3genE10ELNS1_11target_archE1201ELNS1_3gpuE5ELNS1_3repE0EEENS1_38merge_mergepath_config_static_selectorELNS0_4arch9wavefront6targetE1EEEvSH_
; %bb.0:
	.section	.rodata,"a",@progbits
	.p2align	6, 0x0
	.amdhsa_kernel _ZN7rocprim17ROCPRIM_400000_NS6detail17trampoline_kernelINS0_14default_configENS1_38merge_sort_block_merge_config_selectorIalEEZZNS1_27merge_sort_block_merge_implIS3_PaN6thrust23THRUST_200600_302600_NS10device_ptrIlEEjNS1_19radix_merge_compareILb0ELb0EaNS0_19identity_decomposerEEEEE10hipError_tT0_T1_T2_jT3_P12ihipStream_tbPNSt15iterator_traitsISG_E10value_typeEPNSM_ISH_E10value_typeEPSI_NS1_7vsmem_tEENKUlT_SG_SH_SI_E_clIS7_S7_PlSB_EESF_SV_SG_SH_SI_EUlSV_E0_NS1_11comp_targetILNS1_3genE10ELNS1_11target_archE1201ELNS1_3gpuE5ELNS1_3repE0EEENS1_38merge_mergepath_config_static_selectorELNS0_4arch9wavefront6targetE1EEEvSH_
		.amdhsa_group_segment_fixed_size 0
		.amdhsa_private_segment_fixed_size 0
		.amdhsa_kernarg_size 64
		.amdhsa_user_sgpr_count 6
		.amdhsa_user_sgpr_private_segment_buffer 1
		.amdhsa_user_sgpr_dispatch_ptr 0
		.amdhsa_user_sgpr_queue_ptr 0
		.amdhsa_user_sgpr_kernarg_segment_ptr 1
		.amdhsa_user_sgpr_dispatch_id 0
		.amdhsa_user_sgpr_flat_scratch_init 0
		.amdhsa_user_sgpr_kernarg_preload_length 0
		.amdhsa_user_sgpr_kernarg_preload_offset 0
		.amdhsa_user_sgpr_private_segment_size 0
		.amdhsa_uses_dynamic_stack 0
		.amdhsa_system_sgpr_private_segment_wavefront_offset 0
		.amdhsa_system_sgpr_workgroup_id_x 1
		.amdhsa_system_sgpr_workgroup_id_y 0
		.amdhsa_system_sgpr_workgroup_id_z 0
		.amdhsa_system_sgpr_workgroup_info 0
		.amdhsa_system_vgpr_workitem_id 0
		.amdhsa_next_free_vgpr 1
		.amdhsa_next_free_sgpr 0
		.amdhsa_accum_offset 4
		.amdhsa_reserve_vcc 0
		.amdhsa_reserve_flat_scratch 0
		.amdhsa_float_round_mode_32 0
		.amdhsa_float_round_mode_16_64 0
		.amdhsa_float_denorm_mode_32 3
		.amdhsa_float_denorm_mode_16_64 3
		.amdhsa_dx10_clamp 1
		.amdhsa_ieee_mode 1
		.amdhsa_fp16_overflow 0
		.amdhsa_tg_split 0
		.amdhsa_exception_fp_ieee_invalid_op 0
		.amdhsa_exception_fp_denorm_src 0
		.amdhsa_exception_fp_ieee_div_zero 0
		.amdhsa_exception_fp_ieee_overflow 0
		.amdhsa_exception_fp_ieee_underflow 0
		.amdhsa_exception_fp_ieee_inexact 0
		.amdhsa_exception_int_div_zero 0
	.end_amdhsa_kernel
	.section	.text._ZN7rocprim17ROCPRIM_400000_NS6detail17trampoline_kernelINS0_14default_configENS1_38merge_sort_block_merge_config_selectorIalEEZZNS1_27merge_sort_block_merge_implIS3_PaN6thrust23THRUST_200600_302600_NS10device_ptrIlEEjNS1_19radix_merge_compareILb0ELb0EaNS0_19identity_decomposerEEEEE10hipError_tT0_T1_T2_jT3_P12ihipStream_tbPNSt15iterator_traitsISG_E10value_typeEPNSM_ISH_E10value_typeEPSI_NS1_7vsmem_tEENKUlT_SG_SH_SI_E_clIS7_S7_PlSB_EESF_SV_SG_SH_SI_EUlSV_E0_NS1_11comp_targetILNS1_3genE10ELNS1_11target_archE1201ELNS1_3gpuE5ELNS1_3repE0EEENS1_38merge_mergepath_config_static_selectorELNS0_4arch9wavefront6targetE1EEEvSH_,"axG",@progbits,_ZN7rocprim17ROCPRIM_400000_NS6detail17trampoline_kernelINS0_14default_configENS1_38merge_sort_block_merge_config_selectorIalEEZZNS1_27merge_sort_block_merge_implIS3_PaN6thrust23THRUST_200600_302600_NS10device_ptrIlEEjNS1_19radix_merge_compareILb0ELb0EaNS0_19identity_decomposerEEEEE10hipError_tT0_T1_T2_jT3_P12ihipStream_tbPNSt15iterator_traitsISG_E10value_typeEPNSM_ISH_E10value_typeEPSI_NS1_7vsmem_tEENKUlT_SG_SH_SI_E_clIS7_S7_PlSB_EESF_SV_SG_SH_SI_EUlSV_E0_NS1_11comp_targetILNS1_3genE10ELNS1_11target_archE1201ELNS1_3gpuE5ELNS1_3repE0EEENS1_38merge_mergepath_config_static_selectorELNS0_4arch9wavefront6targetE1EEEvSH_,comdat
.Lfunc_end487:
	.size	_ZN7rocprim17ROCPRIM_400000_NS6detail17trampoline_kernelINS0_14default_configENS1_38merge_sort_block_merge_config_selectorIalEEZZNS1_27merge_sort_block_merge_implIS3_PaN6thrust23THRUST_200600_302600_NS10device_ptrIlEEjNS1_19radix_merge_compareILb0ELb0EaNS0_19identity_decomposerEEEEE10hipError_tT0_T1_T2_jT3_P12ihipStream_tbPNSt15iterator_traitsISG_E10value_typeEPNSM_ISH_E10value_typeEPSI_NS1_7vsmem_tEENKUlT_SG_SH_SI_E_clIS7_S7_PlSB_EESF_SV_SG_SH_SI_EUlSV_E0_NS1_11comp_targetILNS1_3genE10ELNS1_11target_archE1201ELNS1_3gpuE5ELNS1_3repE0EEENS1_38merge_mergepath_config_static_selectorELNS0_4arch9wavefront6targetE1EEEvSH_, .Lfunc_end487-_ZN7rocprim17ROCPRIM_400000_NS6detail17trampoline_kernelINS0_14default_configENS1_38merge_sort_block_merge_config_selectorIalEEZZNS1_27merge_sort_block_merge_implIS3_PaN6thrust23THRUST_200600_302600_NS10device_ptrIlEEjNS1_19radix_merge_compareILb0ELb0EaNS0_19identity_decomposerEEEEE10hipError_tT0_T1_T2_jT3_P12ihipStream_tbPNSt15iterator_traitsISG_E10value_typeEPNSM_ISH_E10value_typeEPSI_NS1_7vsmem_tEENKUlT_SG_SH_SI_E_clIS7_S7_PlSB_EESF_SV_SG_SH_SI_EUlSV_E0_NS1_11comp_targetILNS1_3genE10ELNS1_11target_archE1201ELNS1_3gpuE5ELNS1_3repE0EEENS1_38merge_mergepath_config_static_selectorELNS0_4arch9wavefront6targetE1EEEvSH_
                                        ; -- End function
	.section	.AMDGPU.csdata,"",@progbits
; Kernel info:
; codeLenInByte = 0
; NumSgprs: 4
; NumVgprs: 0
; NumAgprs: 0
; TotalNumVgprs: 0
; ScratchSize: 0
; MemoryBound: 0
; FloatMode: 240
; IeeeMode: 1
; LDSByteSize: 0 bytes/workgroup (compile time only)
; SGPRBlocks: 0
; VGPRBlocks: 0
; NumSGPRsForWavesPerEU: 4
; NumVGPRsForWavesPerEU: 1
; AccumOffset: 4
; Occupancy: 8
; WaveLimiterHint : 0
; COMPUTE_PGM_RSRC2:SCRATCH_EN: 0
; COMPUTE_PGM_RSRC2:USER_SGPR: 6
; COMPUTE_PGM_RSRC2:TRAP_HANDLER: 0
; COMPUTE_PGM_RSRC2:TGID_X_EN: 1
; COMPUTE_PGM_RSRC2:TGID_Y_EN: 0
; COMPUTE_PGM_RSRC2:TGID_Z_EN: 0
; COMPUTE_PGM_RSRC2:TIDIG_COMP_CNT: 0
; COMPUTE_PGM_RSRC3_GFX90A:ACCUM_OFFSET: 0
; COMPUTE_PGM_RSRC3_GFX90A:TG_SPLIT: 0
	.section	.text._ZN7rocprim17ROCPRIM_400000_NS6detail17trampoline_kernelINS0_14default_configENS1_38merge_sort_block_merge_config_selectorIalEEZZNS1_27merge_sort_block_merge_implIS3_PaN6thrust23THRUST_200600_302600_NS10device_ptrIlEEjNS1_19radix_merge_compareILb0ELb0EaNS0_19identity_decomposerEEEEE10hipError_tT0_T1_T2_jT3_P12ihipStream_tbPNSt15iterator_traitsISG_E10value_typeEPNSM_ISH_E10value_typeEPSI_NS1_7vsmem_tEENKUlT_SG_SH_SI_E_clIS7_S7_PlSB_EESF_SV_SG_SH_SI_EUlSV_E0_NS1_11comp_targetILNS1_3genE5ELNS1_11target_archE942ELNS1_3gpuE9ELNS1_3repE0EEENS1_38merge_mergepath_config_static_selectorELNS0_4arch9wavefront6targetE1EEEvSH_,"axG",@progbits,_ZN7rocprim17ROCPRIM_400000_NS6detail17trampoline_kernelINS0_14default_configENS1_38merge_sort_block_merge_config_selectorIalEEZZNS1_27merge_sort_block_merge_implIS3_PaN6thrust23THRUST_200600_302600_NS10device_ptrIlEEjNS1_19radix_merge_compareILb0ELb0EaNS0_19identity_decomposerEEEEE10hipError_tT0_T1_T2_jT3_P12ihipStream_tbPNSt15iterator_traitsISG_E10value_typeEPNSM_ISH_E10value_typeEPSI_NS1_7vsmem_tEENKUlT_SG_SH_SI_E_clIS7_S7_PlSB_EESF_SV_SG_SH_SI_EUlSV_E0_NS1_11comp_targetILNS1_3genE5ELNS1_11target_archE942ELNS1_3gpuE9ELNS1_3repE0EEENS1_38merge_mergepath_config_static_selectorELNS0_4arch9wavefront6targetE1EEEvSH_,comdat
	.protected	_ZN7rocprim17ROCPRIM_400000_NS6detail17trampoline_kernelINS0_14default_configENS1_38merge_sort_block_merge_config_selectorIalEEZZNS1_27merge_sort_block_merge_implIS3_PaN6thrust23THRUST_200600_302600_NS10device_ptrIlEEjNS1_19radix_merge_compareILb0ELb0EaNS0_19identity_decomposerEEEEE10hipError_tT0_T1_T2_jT3_P12ihipStream_tbPNSt15iterator_traitsISG_E10value_typeEPNSM_ISH_E10value_typeEPSI_NS1_7vsmem_tEENKUlT_SG_SH_SI_E_clIS7_S7_PlSB_EESF_SV_SG_SH_SI_EUlSV_E0_NS1_11comp_targetILNS1_3genE5ELNS1_11target_archE942ELNS1_3gpuE9ELNS1_3repE0EEENS1_38merge_mergepath_config_static_selectorELNS0_4arch9wavefront6targetE1EEEvSH_ ; -- Begin function _ZN7rocprim17ROCPRIM_400000_NS6detail17trampoline_kernelINS0_14default_configENS1_38merge_sort_block_merge_config_selectorIalEEZZNS1_27merge_sort_block_merge_implIS3_PaN6thrust23THRUST_200600_302600_NS10device_ptrIlEEjNS1_19radix_merge_compareILb0ELb0EaNS0_19identity_decomposerEEEEE10hipError_tT0_T1_T2_jT3_P12ihipStream_tbPNSt15iterator_traitsISG_E10value_typeEPNSM_ISH_E10value_typeEPSI_NS1_7vsmem_tEENKUlT_SG_SH_SI_E_clIS7_S7_PlSB_EESF_SV_SG_SH_SI_EUlSV_E0_NS1_11comp_targetILNS1_3genE5ELNS1_11target_archE942ELNS1_3gpuE9ELNS1_3repE0EEENS1_38merge_mergepath_config_static_selectorELNS0_4arch9wavefront6targetE1EEEvSH_
	.globl	_ZN7rocprim17ROCPRIM_400000_NS6detail17trampoline_kernelINS0_14default_configENS1_38merge_sort_block_merge_config_selectorIalEEZZNS1_27merge_sort_block_merge_implIS3_PaN6thrust23THRUST_200600_302600_NS10device_ptrIlEEjNS1_19radix_merge_compareILb0ELb0EaNS0_19identity_decomposerEEEEE10hipError_tT0_T1_T2_jT3_P12ihipStream_tbPNSt15iterator_traitsISG_E10value_typeEPNSM_ISH_E10value_typeEPSI_NS1_7vsmem_tEENKUlT_SG_SH_SI_E_clIS7_S7_PlSB_EESF_SV_SG_SH_SI_EUlSV_E0_NS1_11comp_targetILNS1_3genE5ELNS1_11target_archE942ELNS1_3gpuE9ELNS1_3repE0EEENS1_38merge_mergepath_config_static_selectorELNS0_4arch9wavefront6targetE1EEEvSH_
	.p2align	8
	.type	_ZN7rocprim17ROCPRIM_400000_NS6detail17trampoline_kernelINS0_14default_configENS1_38merge_sort_block_merge_config_selectorIalEEZZNS1_27merge_sort_block_merge_implIS3_PaN6thrust23THRUST_200600_302600_NS10device_ptrIlEEjNS1_19radix_merge_compareILb0ELb0EaNS0_19identity_decomposerEEEEE10hipError_tT0_T1_T2_jT3_P12ihipStream_tbPNSt15iterator_traitsISG_E10value_typeEPNSM_ISH_E10value_typeEPSI_NS1_7vsmem_tEENKUlT_SG_SH_SI_E_clIS7_S7_PlSB_EESF_SV_SG_SH_SI_EUlSV_E0_NS1_11comp_targetILNS1_3genE5ELNS1_11target_archE942ELNS1_3gpuE9ELNS1_3repE0EEENS1_38merge_mergepath_config_static_selectorELNS0_4arch9wavefront6targetE1EEEvSH_,@function
_ZN7rocprim17ROCPRIM_400000_NS6detail17trampoline_kernelINS0_14default_configENS1_38merge_sort_block_merge_config_selectorIalEEZZNS1_27merge_sort_block_merge_implIS3_PaN6thrust23THRUST_200600_302600_NS10device_ptrIlEEjNS1_19radix_merge_compareILb0ELb0EaNS0_19identity_decomposerEEEEE10hipError_tT0_T1_T2_jT3_P12ihipStream_tbPNSt15iterator_traitsISG_E10value_typeEPNSM_ISH_E10value_typeEPSI_NS1_7vsmem_tEENKUlT_SG_SH_SI_E_clIS7_S7_PlSB_EESF_SV_SG_SH_SI_EUlSV_E0_NS1_11comp_targetILNS1_3genE5ELNS1_11target_archE942ELNS1_3gpuE9ELNS1_3repE0EEENS1_38merge_mergepath_config_static_selectorELNS0_4arch9wavefront6targetE1EEEvSH_: ; @_ZN7rocprim17ROCPRIM_400000_NS6detail17trampoline_kernelINS0_14default_configENS1_38merge_sort_block_merge_config_selectorIalEEZZNS1_27merge_sort_block_merge_implIS3_PaN6thrust23THRUST_200600_302600_NS10device_ptrIlEEjNS1_19radix_merge_compareILb0ELb0EaNS0_19identity_decomposerEEEEE10hipError_tT0_T1_T2_jT3_P12ihipStream_tbPNSt15iterator_traitsISG_E10value_typeEPNSM_ISH_E10value_typeEPSI_NS1_7vsmem_tEENKUlT_SG_SH_SI_E_clIS7_S7_PlSB_EESF_SV_SG_SH_SI_EUlSV_E0_NS1_11comp_targetILNS1_3genE5ELNS1_11target_archE942ELNS1_3gpuE9ELNS1_3repE0EEENS1_38merge_mergepath_config_static_selectorELNS0_4arch9wavefront6targetE1EEEvSH_
; %bb.0:
	.section	.rodata,"a",@progbits
	.p2align	6, 0x0
	.amdhsa_kernel _ZN7rocprim17ROCPRIM_400000_NS6detail17trampoline_kernelINS0_14default_configENS1_38merge_sort_block_merge_config_selectorIalEEZZNS1_27merge_sort_block_merge_implIS3_PaN6thrust23THRUST_200600_302600_NS10device_ptrIlEEjNS1_19radix_merge_compareILb0ELb0EaNS0_19identity_decomposerEEEEE10hipError_tT0_T1_T2_jT3_P12ihipStream_tbPNSt15iterator_traitsISG_E10value_typeEPNSM_ISH_E10value_typeEPSI_NS1_7vsmem_tEENKUlT_SG_SH_SI_E_clIS7_S7_PlSB_EESF_SV_SG_SH_SI_EUlSV_E0_NS1_11comp_targetILNS1_3genE5ELNS1_11target_archE942ELNS1_3gpuE9ELNS1_3repE0EEENS1_38merge_mergepath_config_static_selectorELNS0_4arch9wavefront6targetE1EEEvSH_
		.amdhsa_group_segment_fixed_size 0
		.amdhsa_private_segment_fixed_size 0
		.amdhsa_kernarg_size 64
		.amdhsa_user_sgpr_count 6
		.amdhsa_user_sgpr_private_segment_buffer 1
		.amdhsa_user_sgpr_dispatch_ptr 0
		.amdhsa_user_sgpr_queue_ptr 0
		.amdhsa_user_sgpr_kernarg_segment_ptr 1
		.amdhsa_user_sgpr_dispatch_id 0
		.amdhsa_user_sgpr_flat_scratch_init 0
		.amdhsa_user_sgpr_kernarg_preload_length 0
		.amdhsa_user_sgpr_kernarg_preload_offset 0
		.amdhsa_user_sgpr_private_segment_size 0
		.amdhsa_uses_dynamic_stack 0
		.amdhsa_system_sgpr_private_segment_wavefront_offset 0
		.amdhsa_system_sgpr_workgroup_id_x 1
		.amdhsa_system_sgpr_workgroup_id_y 0
		.amdhsa_system_sgpr_workgroup_id_z 0
		.amdhsa_system_sgpr_workgroup_info 0
		.amdhsa_system_vgpr_workitem_id 0
		.amdhsa_next_free_vgpr 1
		.amdhsa_next_free_sgpr 0
		.amdhsa_accum_offset 4
		.amdhsa_reserve_vcc 0
		.amdhsa_reserve_flat_scratch 0
		.amdhsa_float_round_mode_32 0
		.amdhsa_float_round_mode_16_64 0
		.amdhsa_float_denorm_mode_32 3
		.amdhsa_float_denorm_mode_16_64 3
		.amdhsa_dx10_clamp 1
		.amdhsa_ieee_mode 1
		.amdhsa_fp16_overflow 0
		.amdhsa_tg_split 0
		.amdhsa_exception_fp_ieee_invalid_op 0
		.amdhsa_exception_fp_denorm_src 0
		.amdhsa_exception_fp_ieee_div_zero 0
		.amdhsa_exception_fp_ieee_overflow 0
		.amdhsa_exception_fp_ieee_underflow 0
		.amdhsa_exception_fp_ieee_inexact 0
		.amdhsa_exception_int_div_zero 0
	.end_amdhsa_kernel
	.section	.text._ZN7rocprim17ROCPRIM_400000_NS6detail17trampoline_kernelINS0_14default_configENS1_38merge_sort_block_merge_config_selectorIalEEZZNS1_27merge_sort_block_merge_implIS3_PaN6thrust23THRUST_200600_302600_NS10device_ptrIlEEjNS1_19radix_merge_compareILb0ELb0EaNS0_19identity_decomposerEEEEE10hipError_tT0_T1_T2_jT3_P12ihipStream_tbPNSt15iterator_traitsISG_E10value_typeEPNSM_ISH_E10value_typeEPSI_NS1_7vsmem_tEENKUlT_SG_SH_SI_E_clIS7_S7_PlSB_EESF_SV_SG_SH_SI_EUlSV_E0_NS1_11comp_targetILNS1_3genE5ELNS1_11target_archE942ELNS1_3gpuE9ELNS1_3repE0EEENS1_38merge_mergepath_config_static_selectorELNS0_4arch9wavefront6targetE1EEEvSH_,"axG",@progbits,_ZN7rocprim17ROCPRIM_400000_NS6detail17trampoline_kernelINS0_14default_configENS1_38merge_sort_block_merge_config_selectorIalEEZZNS1_27merge_sort_block_merge_implIS3_PaN6thrust23THRUST_200600_302600_NS10device_ptrIlEEjNS1_19radix_merge_compareILb0ELb0EaNS0_19identity_decomposerEEEEE10hipError_tT0_T1_T2_jT3_P12ihipStream_tbPNSt15iterator_traitsISG_E10value_typeEPNSM_ISH_E10value_typeEPSI_NS1_7vsmem_tEENKUlT_SG_SH_SI_E_clIS7_S7_PlSB_EESF_SV_SG_SH_SI_EUlSV_E0_NS1_11comp_targetILNS1_3genE5ELNS1_11target_archE942ELNS1_3gpuE9ELNS1_3repE0EEENS1_38merge_mergepath_config_static_selectorELNS0_4arch9wavefront6targetE1EEEvSH_,comdat
.Lfunc_end488:
	.size	_ZN7rocprim17ROCPRIM_400000_NS6detail17trampoline_kernelINS0_14default_configENS1_38merge_sort_block_merge_config_selectorIalEEZZNS1_27merge_sort_block_merge_implIS3_PaN6thrust23THRUST_200600_302600_NS10device_ptrIlEEjNS1_19radix_merge_compareILb0ELb0EaNS0_19identity_decomposerEEEEE10hipError_tT0_T1_T2_jT3_P12ihipStream_tbPNSt15iterator_traitsISG_E10value_typeEPNSM_ISH_E10value_typeEPSI_NS1_7vsmem_tEENKUlT_SG_SH_SI_E_clIS7_S7_PlSB_EESF_SV_SG_SH_SI_EUlSV_E0_NS1_11comp_targetILNS1_3genE5ELNS1_11target_archE942ELNS1_3gpuE9ELNS1_3repE0EEENS1_38merge_mergepath_config_static_selectorELNS0_4arch9wavefront6targetE1EEEvSH_, .Lfunc_end488-_ZN7rocprim17ROCPRIM_400000_NS6detail17trampoline_kernelINS0_14default_configENS1_38merge_sort_block_merge_config_selectorIalEEZZNS1_27merge_sort_block_merge_implIS3_PaN6thrust23THRUST_200600_302600_NS10device_ptrIlEEjNS1_19radix_merge_compareILb0ELb0EaNS0_19identity_decomposerEEEEE10hipError_tT0_T1_T2_jT3_P12ihipStream_tbPNSt15iterator_traitsISG_E10value_typeEPNSM_ISH_E10value_typeEPSI_NS1_7vsmem_tEENKUlT_SG_SH_SI_E_clIS7_S7_PlSB_EESF_SV_SG_SH_SI_EUlSV_E0_NS1_11comp_targetILNS1_3genE5ELNS1_11target_archE942ELNS1_3gpuE9ELNS1_3repE0EEENS1_38merge_mergepath_config_static_selectorELNS0_4arch9wavefront6targetE1EEEvSH_
                                        ; -- End function
	.section	.AMDGPU.csdata,"",@progbits
; Kernel info:
; codeLenInByte = 0
; NumSgprs: 4
; NumVgprs: 0
; NumAgprs: 0
; TotalNumVgprs: 0
; ScratchSize: 0
; MemoryBound: 0
; FloatMode: 240
; IeeeMode: 1
; LDSByteSize: 0 bytes/workgroup (compile time only)
; SGPRBlocks: 0
; VGPRBlocks: 0
; NumSGPRsForWavesPerEU: 4
; NumVGPRsForWavesPerEU: 1
; AccumOffset: 4
; Occupancy: 8
; WaveLimiterHint : 0
; COMPUTE_PGM_RSRC2:SCRATCH_EN: 0
; COMPUTE_PGM_RSRC2:USER_SGPR: 6
; COMPUTE_PGM_RSRC2:TRAP_HANDLER: 0
; COMPUTE_PGM_RSRC2:TGID_X_EN: 1
; COMPUTE_PGM_RSRC2:TGID_Y_EN: 0
; COMPUTE_PGM_RSRC2:TGID_Z_EN: 0
; COMPUTE_PGM_RSRC2:TIDIG_COMP_CNT: 0
; COMPUTE_PGM_RSRC3_GFX90A:ACCUM_OFFSET: 0
; COMPUTE_PGM_RSRC3_GFX90A:TG_SPLIT: 0
	.section	.text._ZN7rocprim17ROCPRIM_400000_NS6detail17trampoline_kernelINS0_14default_configENS1_38merge_sort_block_merge_config_selectorIalEEZZNS1_27merge_sort_block_merge_implIS3_PaN6thrust23THRUST_200600_302600_NS10device_ptrIlEEjNS1_19radix_merge_compareILb0ELb0EaNS0_19identity_decomposerEEEEE10hipError_tT0_T1_T2_jT3_P12ihipStream_tbPNSt15iterator_traitsISG_E10value_typeEPNSM_ISH_E10value_typeEPSI_NS1_7vsmem_tEENKUlT_SG_SH_SI_E_clIS7_S7_PlSB_EESF_SV_SG_SH_SI_EUlSV_E0_NS1_11comp_targetILNS1_3genE4ELNS1_11target_archE910ELNS1_3gpuE8ELNS1_3repE0EEENS1_38merge_mergepath_config_static_selectorELNS0_4arch9wavefront6targetE1EEEvSH_,"axG",@progbits,_ZN7rocprim17ROCPRIM_400000_NS6detail17trampoline_kernelINS0_14default_configENS1_38merge_sort_block_merge_config_selectorIalEEZZNS1_27merge_sort_block_merge_implIS3_PaN6thrust23THRUST_200600_302600_NS10device_ptrIlEEjNS1_19radix_merge_compareILb0ELb0EaNS0_19identity_decomposerEEEEE10hipError_tT0_T1_T2_jT3_P12ihipStream_tbPNSt15iterator_traitsISG_E10value_typeEPNSM_ISH_E10value_typeEPSI_NS1_7vsmem_tEENKUlT_SG_SH_SI_E_clIS7_S7_PlSB_EESF_SV_SG_SH_SI_EUlSV_E0_NS1_11comp_targetILNS1_3genE4ELNS1_11target_archE910ELNS1_3gpuE8ELNS1_3repE0EEENS1_38merge_mergepath_config_static_selectorELNS0_4arch9wavefront6targetE1EEEvSH_,comdat
	.protected	_ZN7rocprim17ROCPRIM_400000_NS6detail17trampoline_kernelINS0_14default_configENS1_38merge_sort_block_merge_config_selectorIalEEZZNS1_27merge_sort_block_merge_implIS3_PaN6thrust23THRUST_200600_302600_NS10device_ptrIlEEjNS1_19radix_merge_compareILb0ELb0EaNS0_19identity_decomposerEEEEE10hipError_tT0_T1_T2_jT3_P12ihipStream_tbPNSt15iterator_traitsISG_E10value_typeEPNSM_ISH_E10value_typeEPSI_NS1_7vsmem_tEENKUlT_SG_SH_SI_E_clIS7_S7_PlSB_EESF_SV_SG_SH_SI_EUlSV_E0_NS1_11comp_targetILNS1_3genE4ELNS1_11target_archE910ELNS1_3gpuE8ELNS1_3repE0EEENS1_38merge_mergepath_config_static_selectorELNS0_4arch9wavefront6targetE1EEEvSH_ ; -- Begin function _ZN7rocprim17ROCPRIM_400000_NS6detail17trampoline_kernelINS0_14default_configENS1_38merge_sort_block_merge_config_selectorIalEEZZNS1_27merge_sort_block_merge_implIS3_PaN6thrust23THRUST_200600_302600_NS10device_ptrIlEEjNS1_19radix_merge_compareILb0ELb0EaNS0_19identity_decomposerEEEEE10hipError_tT0_T1_T2_jT3_P12ihipStream_tbPNSt15iterator_traitsISG_E10value_typeEPNSM_ISH_E10value_typeEPSI_NS1_7vsmem_tEENKUlT_SG_SH_SI_E_clIS7_S7_PlSB_EESF_SV_SG_SH_SI_EUlSV_E0_NS1_11comp_targetILNS1_3genE4ELNS1_11target_archE910ELNS1_3gpuE8ELNS1_3repE0EEENS1_38merge_mergepath_config_static_selectorELNS0_4arch9wavefront6targetE1EEEvSH_
	.globl	_ZN7rocprim17ROCPRIM_400000_NS6detail17trampoline_kernelINS0_14default_configENS1_38merge_sort_block_merge_config_selectorIalEEZZNS1_27merge_sort_block_merge_implIS3_PaN6thrust23THRUST_200600_302600_NS10device_ptrIlEEjNS1_19radix_merge_compareILb0ELb0EaNS0_19identity_decomposerEEEEE10hipError_tT0_T1_T2_jT3_P12ihipStream_tbPNSt15iterator_traitsISG_E10value_typeEPNSM_ISH_E10value_typeEPSI_NS1_7vsmem_tEENKUlT_SG_SH_SI_E_clIS7_S7_PlSB_EESF_SV_SG_SH_SI_EUlSV_E0_NS1_11comp_targetILNS1_3genE4ELNS1_11target_archE910ELNS1_3gpuE8ELNS1_3repE0EEENS1_38merge_mergepath_config_static_selectorELNS0_4arch9wavefront6targetE1EEEvSH_
	.p2align	8
	.type	_ZN7rocprim17ROCPRIM_400000_NS6detail17trampoline_kernelINS0_14default_configENS1_38merge_sort_block_merge_config_selectorIalEEZZNS1_27merge_sort_block_merge_implIS3_PaN6thrust23THRUST_200600_302600_NS10device_ptrIlEEjNS1_19radix_merge_compareILb0ELb0EaNS0_19identity_decomposerEEEEE10hipError_tT0_T1_T2_jT3_P12ihipStream_tbPNSt15iterator_traitsISG_E10value_typeEPNSM_ISH_E10value_typeEPSI_NS1_7vsmem_tEENKUlT_SG_SH_SI_E_clIS7_S7_PlSB_EESF_SV_SG_SH_SI_EUlSV_E0_NS1_11comp_targetILNS1_3genE4ELNS1_11target_archE910ELNS1_3gpuE8ELNS1_3repE0EEENS1_38merge_mergepath_config_static_selectorELNS0_4arch9wavefront6targetE1EEEvSH_,@function
_ZN7rocprim17ROCPRIM_400000_NS6detail17trampoline_kernelINS0_14default_configENS1_38merge_sort_block_merge_config_selectorIalEEZZNS1_27merge_sort_block_merge_implIS3_PaN6thrust23THRUST_200600_302600_NS10device_ptrIlEEjNS1_19radix_merge_compareILb0ELb0EaNS0_19identity_decomposerEEEEE10hipError_tT0_T1_T2_jT3_P12ihipStream_tbPNSt15iterator_traitsISG_E10value_typeEPNSM_ISH_E10value_typeEPSI_NS1_7vsmem_tEENKUlT_SG_SH_SI_E_clIS7_S7_PlSB_EESF_SV_SG_SH_SI_EUlSV_E0_NS1_11comp_targetILNS1_3genE4ELNS1_11target_archE910ELNS1_3gpuE8ELNS1_3repE0EEENS1_38merge_mergepath_config_static_selectorELNS0_4arch9wavefront6targetE1EEEvSH_: ; @_ZN7rocprim17ROCPRIM_400000_NS6detail17trampoline_kernelINS0_14default_configENS1_38merge_sort_block_merge_config_selectorIalEEZZNS1_27merge_sort_block_merge_implIS3_PaN6thrust23THRUST_200600_302600_NS10device_ptrIlEEjNS1_19radix_merge_compareILb0ELb0EaNS0_19identity_decomposerEEEEE10hipError_tT0_T1_T2_jT3_P12ihipStream_tbPNSt15iterator_traitsISG_E10value_typeEPNSM_ISH_E10value_typeEPSI_NS1_7vsmem_tEENKUlT_SG_SH_SI_E_clIS7_S7_PlSB_EESF_SV_SG_SH_SI_EUlSV_E0_NS1_11comp_targetILNS1_3genE4ELNS1_11target_archE910ELNS1_3gpuE8ELNS1_3repE0EEENS1_38merge_mergepath_config_static_selectorELNS0_4arch9wavefront6targetE1EEEvSH_
; %bb.0:
	s_load_dwordx2 s[24:25], s[4:5], 0x40
	s_load_dword s0, s[4:5], 0x30
	s_add_u32 s22, s4, 64
	s_addc_u32 s23, s5, 0
	s_waitcnt lgkmcnt(0)
	s_mul_i32 s1, s25, s8
	s_add_i32 s1, s1, s7
	s_mul_i32 s1, s1, s24
	s_add_i32 s20, s1, s6
	s_cmp_ge_u32 s20, s0
	s_cbranch_scc1 .LBB489_53
; %bb.1:
	s_load_dwordx8 s[8:15], s[4:5], 0x10
	s_load_dwordx2 s[30:31], s[4:5], 0x8
	s_load_dwordx2 s[0:1], s[4:5], 0x38
	s_mov_b32 s21, 0
	v_mov_b32_e32 v1, 0
	s_waitcnt lgkmcnt(0)
	s_lshr_b32 s7, s14, 10
	s_cmp_lg_u32 s20, s7
	s_cselect_b64 s[18:19], -1, 0
	s_lshl_b64 s[2:3], s[20:21], 2
	s_add_u32 s0, s0, s2
	s_addc_u32 s1, s1, s3
	s_lshr_b32 s2, s15, 9
	s_and_b32 s2, s2, 0x7ffffe
	s_load_dwordx2 s[0:1], s[0:1], 0x0
	s_sub_i32 s3, 0, s2
	s_and_b32 s2, s20, s3
	s_lshl_b32 s4, s2, 10
	s_lshl_b32 s16, s20, 10
	;; [unrolled: 1-line block ×3, first 2 shown]
	s_sub_i32 s5, s16, s4
	s_add_i32 s17, s2, s15
	s_add_i32 s5, s17, s5
	s_waitcnt lgkmcnt(0)
	s_sub_i32 s2, s5, s0
	s_sub_i32 s5, s5, s1
	;; [unrolled: 1-line block ×3, first 2 shown]
	s_min_u32 s2, s14, s2
	s_addk_i32 s5, 0x400
	s_or_b32 s3, s20, s3
	s_min_u32 s17, s14, s4
	s_add_i32 s4, s4, s15
	s_cmp_eq_u32 s3, -1
	s_cselect_b32 s3, s4, s5
	s_cselect_b32 s1, s17, s1
	s_min_u32 s17, s3, s14
	s_sub_i32 s15, s1, s0
	s_add_u32 s26, s30, s0
	s_addc_u32 s28, s31, 0
	s_add_u32 s25, s30, s2
	s_addc_u32 s27, s31, 0
	s_cmp_lt_u32 s6, s24
	s_cselect_b32 s1, 12, 18
	global_load_dword v2, v1, s[22:23] offset:14
	s_add_u32 s4, s22, s1
	s_addc_u32 s5, s23, 0
	global_load_ushort v1, v1, s[4:5]
	s_mov_b32 s1, s21
	s_mov_b32 s3, s21
	s_cmp_eq_u32 s20, s7
	s_waitcnt vmcnt(1)
	v_lshrrev_b32_e32 v3, 16, v2
	v_and_b32_e32 v2, 0xffff, v2
	v_mul_lo_u32 v2, v2, v3
	s_waitcnt vmcnt(0)
	v_mul_lo_u32 v17, v2, v1
	v_add_u32_e32 v4, v17, v0
	v_add_u32_e32 v2, v4, v17
	s_cbranch_scc1 .LBB489_3
; %bb.2:
	v_mov_b32_e32 v1, s28
	v_add_co_u32_e32 v3, vcc, s26, v0
	v_addc_co_u32_e32 v1, vcc, 0, v1, vcc
	v_subrev_u32_e32 v5, s15, v0
	v_mov_b32_e32 v6, s27
	v_add_co_u32_e32 v5, vcc, s25, v5
	v_addc_co_u32_e32 v6, vcc, 0, v6, vcc
	v_cmp_gt_u32_e32 vcc, s15, v0
	v_cndmask_b32_e32 v7, v6, v1, vcc
	v_cndmask_b32_e32 v6, v5, v3, vcc
	v_mov_b32_e32 v1, s28
	v_add_co_u32_e32 v3, vcc, s26, v4
	v_addc_co_u32_e32 v1, vcc, 0, v1, vcc
	v_subrev_u32_e32 v5, s15, v4
	v_mov_b32_e32 v8, s27
	v_add_co_u32_e32 v5, vcc, s25, v5
	v_addc_co_u32_e32 v8, vcc, 0, v8, vcc
	v_cmp_gt_u32_e32 vcc, s15, v4
	v_cndmask_b32_e32 v9, v8, v1, vcc
	v_cndmask_b32_e32 v8, v5, v3, vcc
	;; [unrolled: 10-line block ×3, first 2 shown]
	global_load_ubyte v1, v[6:7], off
	global_load_ubyte v15, v[8:9], off
	;; [unrolled: 1-line block ×3, first 2 shown]
	v_add_u32_e32 v3, v2, v17
	s_mov_b64 s[4:5], -1
	s_sub_i32 s17, s17, s2
	s_cbranch_execz .LBB489_4
	s_branch .LBB489_11
.LBB489_3:
	s_mov_b64 s[4:5], 0
                                        ; implicit-def: $vgpr1
                                        ; implicit-def: $vgpr15
                                        ; implicit-def: $vgpr16
                                        ; implicit-def: $vgpr3
	s_sub_i32 s17, s17, s2
.LBB489_4:
	s_add_i32 s6, s17, s15
	v_cmp_gt_u32_e32 vcc, s6, v0
                                        ; implicit-def: $vgpr1
	s_and_saveexec_b64 s[4:5], vcc
	s_cbranch_execz .LBB489_6
; %bb.5:
	s_waitcnt vmcnt(2)
	v_mov_b32_e32 v1, s28
	v_add_co_u32_e32 v3, vcc, s26, v0
	v_addc_co_u32_e32 v1, vcc, 0, v1, vcc
	v_subrev_u32_e32 v5, s15, v0
	v_mov_b32_e32 v6, s27
	v_add_co_u32_e32 v5, vcc, s25, v5
	v_addc_co_u32_e32 v6, vcc, 0, v6, vcc
	v_cmp_gt_u32_e32 vcc, s15, v0
	v_cndmask_b32_e32 v7, v6, v1, vcc
	v_cndmask_b32_e32 v6, v5, v3, vcc
	global_load_ubyte v1, v[6:7], off
.LBB489_6:
	s_or_b64 exec, exec, s[4:5]
	v_cmp_gt_u32_e32 vcc, s6, v4
                                        ; implicit-def: $vgpr15
	s_and_saveexec_b64 s[4:5], vcc
	s_cbranch_execz .LBB489_8
; %bb.7:
	v_mov_b32_e32 v3, s28
	v_add_co_u32_e32 v5, vcc, s26, v4
	v_addc_co_u32_e32 v3, vcc, 0, v3, vcc
	v_subrev_u32_e32 v6, s15, v4
	v_mov_b32_e32 v7, s27
	v_add_co_u32_e32 v6, vcc, s25, v6
	v_addc_co_u32_e32 v7, vcc, 0, v7, vcc
	v_cmp_gt_u32_e32 vcc, s15, v4
	v_cndmask_b32_e32 v7, v7, v3, vcc
	v_cndmask_b32_e32 v6, v6, v5, vcc
	global_load_ubyte v15, v[6:7], off
.LBB489_8:
	s_or_b64 exec, exec, s[4:5]
	v_cmp_gt_u32_e32 vcc, s6, v2
                                        ; implicit-def: $vgpr16
	s_and_saveexec_b64 s[4:5], vcc
	s_cbranch_execz .LBB489_10
; %bb.9:
	v_mov_b32_e32 v3, s28
	v_add_co_u32_e32 v5, vcc, s26, v2
	v_addc_co_u32_e32 v3, vcc, 0, v3, vcc
	v_subrev_u32_e32 v6, s15, v2
	v_mov_b32_e32 v7, s27
	v_add_co_u32_e32 v6, vcc, s25, v6
	v_addc_co_u32_e32 v7, vcc, 0, v7, vcc
	v_cmp_gt_u32_e32 vcc, s15, v2
	v_cndmask_b32_e32 v7, v7, v3, vcc
	v_cndmask_b32_e32 v6, v6, v5, vcc
	global_load_ubyte v16, v[6:7], off
.LBB489_10:
	s_or_b64 exec, exec, s[4:5]
	v_add_u32_e32 v3, v2, v17
	v_cmp_gt_u32_e64 s[4:5], s6, v3
.LBB489_11:
                                        ; implicit-def: $vgpr18
	s_and_saveexec_b64 s[6:7], s[4:5]
	s_cbranch_execz .LBB489_13
; %bb.12:
	v_mov_b32_e32 v5, s28
	v_add_co_u32_e32 v6, vcc, s26, v3
	v_addc_co_u32_e32 v5, vcc, 0, v5, vcc
	v_subrev_u32_e32 v7, s15, v3
	v_mov_b32_e32 v8, s27
	v_add_co_u32_e32 v9, vcc, s25, v7
	v_addc_co_u32_e32 v7, vcc, 0, v8, vcc
	v_cmp_gt_u32_e32 vcc, s15, v3
	v_cndmask_b32_e32 v7, v7, v5, vcc
	v_cndmask_b32_e32 v6, v9, v6, vcc
	global_load_ubyte v18, v[6:7], off
.LBB489_13:
	s_or_b64 exec, exec, s[6:7]
	s_lshl_b64 s[0:1], s[0:1], 3
	s_add_u32 s6, s10, s0
	s_addc_u32 s7, s11, s1
	s_lshl_b64 s[0:1], s[2:3], 3
	s_add_u32 s4, s10, s0
	s_addc_u32 s5, s11, s1
	s_andn2_b64 vcc, exec, s[18:19]
	v_lshlrev_b32_e32 v14, 3, v0
	s_waitcnt vmcnt(0)
	ds_write_b8 v0, v1
	ds_write_b8 v0, v15 offset:256
	ds_write_b8 v0, v16 offset:512
	;; [unrolled: 1-line block ×3, first 2 shown]
	s_cbranch_vccnz .LBB489_15
; %bb.14:
	v_mov_b32_e32 v13, 0
	v_mov_b32_e32 v3, s7
	v_add_co_u32_e32 v5, vcc, s6, v14
	v_subrev_u32_e32 v12, s15, v0
	v_addc_co_u32_e32 v3, vcc, 0, v3, vcc
	v_lshlrev_b64 v[6:7], 3, v[12:13]
	v_mov_b32_e32 v8, s5
	v_add_co_u32_e32 v6, vcc, s4, v6
	v_addc_co_u32_e32 v7, vcc, v8, v7, vcc
	v_cmp_gt_u32_e32 vcc, s15, v0
	v_cndmask_b32_e32 v6, v6, v5, vcc
	v_mov_b32_e32 v5, v13
	v_lshlrev_b64 v[8:9], 3, v[4:5]
	v_cndmask_b32_e32 v7, v7, v3, vcc
	v_mov_b32_e32 v3, s7
	v_add_co_u32_e32 v5, vcc, s6, v8
	v_subrev_u32_e32 v12, s15, v4
	v_addc_co_u32_e32 v3, vcc, v3, v9, vcc
	v_lshlrev_b64 v[8:9], 3, v[12:13]
	v_mov_b32_e32 v10, s5
	v_add_co_u32_e32 v8, vcc, s4, v8
	v_addc_co_u32_e32 v9, vcc, v10, v9, vcc
	v_cmp_gt_u32_e32 vcc, s15, v4
	v_cndmask_b32_e32 v9, v9, v3, vcc
	v_mov_b32_e32 v3, v13
	v_lshlrev_b64 v[10:11], 3, v[2:3]
	v_cndmask_b32_e32 v8, v8, v5, vcc
	v_mov_b32_e32 v3, s7
	v_add_co_u32_e32 v5, vcc, s6, v10
	v_subrev_u32_e32 v12, s15, v2
	v_addc_co_u32_e32 v3, vcc, v3, v11, vcc
	v_lshlrev_b64 v[10:11], 3, v[12:13]
	v_mov_b32_e32 v12, s5
	v_add_co_u32_e32 v10, vcc, s4, v10
	v_addc_co_u32_e32 v11, vcc, v12, v11, vcc
	v_add_u32_e32 v12, v2, v17
	v_cmp_gt_u32_e32 vcc, s15, v2
	v_lshlrev_b64 v[20:21], 3, v[12:13]
	v_cndmask_b32_e32 v11, v11, v3, vcc
	v_cndmask_b32_e32 v10, v10, v5, vcc
	v_mov_b32_e32 v3, s7
	v_add_co_u32_e32 v5, vcc, s6, v20
	v_addc_co_u32_e32 v3, vcc, v3, v21, vcc
	v_cmp_gt_u32_e32 vcc, s15, v12
	v_subrev_u32_e32 v12, s15, v12
	v_lshlrev_b64 v[12:13], 3, v[12:13]
	v_mov_b32_e32 v19, s5
	v_add_co_u32_e64 v12, s[0:1], s4, v12
	v_addc_co_u32_e64 v13, s[0:1], v19, v13, s[0:1]
	v_cndmask_b32_e32 v13, v13, v3, vcc
	v_cndmask_b32_e32 v12, v12, v5, vcc
	global_load_dwordx2 v[6:7], v[6:7], off
	s_add_i32 s10, s17, s15
	global_load_dwordx2 v[8:9], v[8:9], off
	s_nop 0
	global_load_dwordx2 v[10:11], v[10:11], off
	s_nop 0
	global_load_dwordx2 v[12:13], v[12:13], off
	s_cbranch_execz .LBB489_16
	s_branch .LBB489_25
.LBB489_15:
                                        ; implicit-def: $vgpr6_vgpr7
                                        ; implicit-def: $vgpr8_vgpr9
                                        ; implicit-def: $vgpr10_vgpr11
                                        ; implicit-def: $vgpr12_vgpr13
                                        ; implicit-def: $sgpr10
.LBB489_16:
	s_add_i32 s10, s17, s15
	v_cmp_gt_u32_e32 vcc, s10, v0
                                        ; implicit-def: $vgpr6_vgpr7
	s_and_saveexec_b64 s[0:1], vcc
	s_cbranch_execz .LBB489_18
; %bb.17:
	s_waitcnt vmcnt(3)
	v_mov_b32_e32 v7, 0
	v_mov_b32_e32 v3, s7
	v_add_co_u32_e32 v5, vcc, s6, v14
	v_subrev_u32_e32 v6, s15, v0
	v_addc_co_u32_e32 v3, vcc, 0, v3, vcc
	v_lshlrev_b64 v[6:7], 3, v[6:7]
	s_waitcnt vmcnt(2)
	v_mov_b32_e32 v8, s5
	v_add_co_u32_e32 v6, vcc, s4, v6
	v_addc_co_u32_e32 v7, vcc, v8, v7, vcc
	v_cmp_gt_u32_e32 vcc, s15, v0
	v_cndmask_b32_e32 v7, v7, v3, vcc
	v_cndmask_b32_e32 v6, v6, v5, vcc
	global_load_dwordx2 v[6:7], v[6:7], off
.LBB489_18:
	s_or_b64 exec, exec, s[0:1]
	v_cmp_gt_u32_e32 vcc, s10, v4
                                        ; implicit-def: $vgpr8_vgpr9
	s_and_saveexec_b64 s[2:3], vcc
	s_cbranch_execz .LBB489_20
; %bb.19:
	v_mov_b32_e32 v5, 0
	s_waitcnt vmcnt(2)
	v_lshlrev_b64 v[8:9], 3, v[4:5]
	v_mov_b32_e32 v3, s7
	v_add_co_u32_e32 v8, vcc, s6, v8
	v_addc_co_u32_e32 v3, vcc, v3, v9, vcc
	v_cmp_gt_u32_e32 vcc, s15, v4
	v_subrev_u32_e32 v4, s15, v4
	v_lshlrev_b64 v[4:5], 3, v[4:5]
	v_mov_b32_e32 v9, s5
	v_add_co_u32_e64 v4, s[0:1], s4, v4
	v_addc_co_u32_e64 v5, s[0:1], v9, v5, s[0:1]
	v_cndmask_b32_e32 v5, v5, v3, vcc
	v_cndmask_b32_e32 v4, v4, v8, vcc
	global_load_dwordx2 v[8:9], v[4:5], off
.LBB489_20:
	s_or_b64 exec, exec, s[2:3]
	v_cmp_gt_u32_e32 vcc, s10, v2
                                        ; implicit-def: $vgpr10_vgpr11
	s_and_saveexec_b64 s[0:1], vcc
	s_cbranch_execz .LBB489_22
; %bb.21:
	v_mov_b32_e32 v3, 0
	v_lshlrev_b64 v[4:5], 3, v[2:3]
	s_waitcnt vmcnt(1)
	v_mov_b32_e32 v10, s7
	v_add_co_u32_e32 v11, vcc, s6, v4
	v_addc_co_u32_e32 v10, vcc, v10, v5, vcc
	v_subrev_u32_e32 v4, s15, v2
	v_mov_b32_e32 v5, v3
	v_lshlrev_b64 v[4:5], 3, v[4:5]
	v_mov_b32_e32 v3, s5
	v_add_co_u32_e32 v4, vcc, s4, v4
	v_addc_co_u32_e32 v3, vcc, v3, v5, vcc
	v_cmp_gt_u32_e32 vcc, s15, v2
	v_cndmask_b32_e32 v5, v3, v10, vcc
	v_cndmask_b32_e32 v4, v4, v11, vcc
	global_load_dwordx2 v[10:11], v[4:5], off
.LBB489_22:
	s_or_b64 exec, exec, s[0:1]
	v_add_u32_e32 v2, v2, v17
	v_cmp_gt_u32_e32 vcc, s10, v2
                                        ; implicit-def: $vgpr12_vgpr13
	s_and_saveexec_b64 s[2:3], vcc
	s_cbranch_execz .LBB489_24
; %bb.23:
	v_mov_b32_e32 v3, 0
	v_lshlrev_b64 v[4:5], 3, v[2:3]
	s_waitcnt vmcnt(0)
	v_mov_b32_e32 v12, s7
	v_add_co_u32_e32 v4, vcc, s6, v4
	v_addc_co_u32_e32 v5, vcc, v12, v5, vcc
	v_cmp_gt_u32_e32 vcc, s15, v2
	v_subrev_u32_e32 v2, s15, v2
	v_lshlrev_b64 v[2:3], 3, v[2:3]
	v_mov_b32_e32 v12, s5
	v_add_co_u32_e64 v2, s[0:1], s4, v2
	v_addc_co_u32_e64 v3, s[0:1], v12, v3, s[0:1]
	v_cndmask_b32_e32 v3, v3, v5, vcc
	v_cndmask_b32_e32 v2, v2, v4, vcc
	global_load_dwordx2 v[12:13], v[2:3], off
.LBB489_24:
	s_or_b64 exec, exec, s[2:3]
.LBB489_25:
	v_lshlrev_b32_e32 v19, 2, v0
	v_min_u32_e32 v3, s10, v19
	v_sub_u32_e64 v2, v3, s17 clamp
	v_min_u32_e32 v4, s15, v3
	v_cmp_lt_u32_e32 vcc, v2, v4
	s_waitcnt lgkmcnt(0)
	s_barrier
	s_and_saveexec_b64 s[0:1], vcc
	s_cbranch_execz .LBB489_29
; %bb.26:
	v_add_u32_e32 v5, s15, v3
	s_mov_b64 s[2:3], 0
.LBB489_27:                             ; =>This Inner Loop Header: Depth=1
	v_add_u32_e32 v17, v4, v2
	v_lshrrev_b32_e32 v17, 1, v17
	v_xad_u32 v20, v17, -1, v5
	ds_read_i8 v21, v17
	ds_read_i8 v20, v20
	v_add_u32_e32 v22, 1, v17
	s_waitcnt lgkmcnt(0)
	v_cmp_gt_i16_e32 vcc, v21, v20
	v_cndmask_b32_e32 v4, v4, v17, vcc
	v_cndmask_b32_e32 v2, v22, v2, vcc
	v_cmp_ge_u32_e32 vcc, v2, v4
	s_or_b64 s[2:3], vcc, s[2:3]
	s_andn2_b64 exec, exec, s[2:3]
	s_cbranch_execnz .LBB489_27
; %bb.28:
	s_or_b64 exec, exec, s[2:3]
.LBB489_29:
	s_or_b64 exec, exec, s[0:1]
	v_sub_u32_e32 v3, v3, v2
	v_add_u32_e32 v17, s15, v3
	v_cmp_ge_u32_e32 vcc, s15, v2
	v_cmp_ge_u32_e64 s[0:1], s10, v17
	s_or_b64 s[0:1], vcc, s[0:1]
                                        ; implicit-def: $vgpr20
                                        ; implicit-def: $vgpr5
                                        ; implicit-def: $vgpr4
                                        ; implicit-def: $vgpr3
	s_and_saveexec_b64 s[6:7], s[0:1]
	s_cbranch_execz .LBB489_35
; %bb.30:
	v_cmp_gt_u32_e32 vcc, s15, v2
                                        ; implicit-def: $vgpr1
	s_and_saveexec_b64 s[0:1], vcc
	s_cbranch_execz .LBB489_32
; %bb.31:
	ds_read_u8 v1, v2
.LBB489_32:
	s_or_b64 exec, exec, s[0:1]
	v_cmp_le_u32_e64 s[0:1], s10, v17
	v_cmp_gt_u32_e64 s[2:3], s10, v17
                                        ; implicit-def: $vgpr15
	s_and_saveexec_b64 s[4:5], s[2:3]
	s_cbranch_execz .LBB489_34
; %bb.33:
	ds_read_u8 v15, v17
.LBB489_34:
	s_or_b64 exec, exec, s[4:5]
	s_waitcnt lgkmcnt(0)
	v_cmp_le_i16_sdwa s[2:3], sext(v1), sext(v15) src0_sel:BYTE_0 src1_sel:BYTE_0
	s_and_b64 s[2:3], vcc, s[2:3]
	s_or_b64 vcc, s[0:1], s[2:3]
	v_mov_b32_e32 v16, s10
	v_mov_b32_e32 v18, s15
	v_cndmask_b32_e32 v3, v17, v2, vcc
	v_cndmask_b32_e32 v4, v16, v18, vcc
	v_add_u32_e32 v5, 1, v3
	v_add_u32_e32 v4, -1, v4
	v_min_u32_e32 v4, v5, v4
	ds_read_u8 v4, v4
	v_cndmask_b32_e32 v2, v2, v5, vcc
	v_cndmask_b32_e32 v17, v5, v17, vcc
	v_cmp_gt_u32_e64 s[2:3], s15, v2
	v_cmp_le_u32_e64 s[0:1], s10, v17
	s_waitcnt lgkmcnt(0)
	v_cndmask_b32_e32 v20, v4, v15, vcc
	v_cndmask_b32_e32 v21, v1, v4, vcc
	v_cmp_le_i16_sdwa s[4:5], sext(v21), sext(v20) src0_sel:BYTE_0 src1_sel:BYTE_0
	s_and_b64 s[2:3], s[2:3], s[4:5]
	s_or_b64 s[0:1], s[0:1], s[2:3]
	v_cndmask_b32_e64 v4, v17, v2, s[0:1]
	v_cndmask_b32_e64 v5, v16, v18, s[0:1]
	v_add_u32_e32 v22, 1, v4
	v_add_u32_e32 v5, -1, v5
	v_min_u32_e32 v5, v22, v5
	ds_read_u8 v5, v5
	v_cndmask_b32_e64 v2, v2, v22, s[0:1]
	v_cndmask_b32_e64 v17, v22, v17, s[0:1]
	v_cmp_gt_u32_e64 s[4:5], s15, v2
	v_cmp_le_u32_e64 s[2:3], s10, v17
	s_waitcnt lgkmcnt(0)
	v_cndmask_b32_e64 v23, v5, v20, s[0:1]
	v_cndmask_b32_e64 v24, v21, v5, s[0:1]
	v_cmp_le_i16_sdwa s[20:21], sext(v24), sext(v23) src0_sel:BYTE_0 src1_sel:BYTE_0
	s_and_b64 s[4:5], s[4:5], s[20:21]
	s_or_b64 s[2:3], s[2:3], s[4:5]
	v_cndmask_b32_e64 v5, v17, v2, s[2:3]
	v_cndmask_b32_e64 v16, v16, v18, s[2:3]
	v_add_u32_e32 v18, 1, v5
	v_add_u32_e32 v16, -1, v16
	v_min_u32_e32 v16, v18, v16
	ds_read_u8 v22, v16
	v_cndmask_b32_e32 v1, v15, v1, vcc
	v_cndmask_b32_e64 v15, v20, v21, s[0:1]
	v_cndmask_b32_e64 v2, v2, v18, s[2:3]
	;; [unrolled: 1-line block ×3, first 2 shown]
	s_waitcnt lgkmcnt(0)
	v_cndmask_b32_e64 v21, v22, v23, s[2:3]
	v_cndmask_b32_e64 v22, v24, v22, s[2:3]
	;; [unrolled: 1-line block ×3, first 2 shown]
	v_cmp_gt_u32_e64 s[0:1], s15, v2
	v_cmp_le_i16_sdwa s[2:3], sext(v22), sext(v21) src0_sel:BYTE_0 src1_sel:BYTE_0
	v_cmp_le_u32_e32 vcc, s10, v17
	s_and_b64 s[0:1], s[0:1], s[2:3]
	s_or_b64 vcc, vcc, s[0:1]
	v_cndmask_b32_e32 v20, v17, v2, vcc
	v_cndmask_b32_e32 v18, v21, v22, vcc
.LBB489_35:
	s_or_b64 exec, exec, s[6:7]
	v_mad_u32_u24 v17, v0, 7, v0
	v_lshlrev_b32_e32 v2, 3, v3
	v_lshlrev_b32_e32 v3, 3, v4
	;; [unrolled: 1-line block ×4, first 2 shown]
	s_barrier
	s_waitcnt vmcnt(0)
	ds_write2st64_b64 v17, v[6:7], v[8:9] offset1:4
	ds_write2st64_b64 v17, v[10:11], v[12:13] offset0:8 offset1:12
	s_waitcnt lgkmcnt(0)
	s_barrier
	ds_read_b64 v[6:7], v2
	ds_read_b64 v[8:9], v3
	;; [unrolled: 1-line block ×4, first 2 shown]
	v_lshlrev_b16_e32 v11, 8, v15
	v_lshrrev_b32_e32 v20, 3, v0
	v_or_b32_sdwa v1, v1, v11 dst_sel:DWORD dst_unused:UNUSED_PAD src0_sel:BYTE_0 src1_sel:DWORD
	v_lshlrev_b16_e32 v11, 8, v18
	s_add_u32 s0, s8, s16
	v_and_b32_e32 v10, 28, v20
	v_or_b32_sdwa v11, v16, v11 dst_sel:WORD_1 dst_unused:UNUSED_PAD src0_sel:BYTE_0 src1_sel:DWORD
	s_addc_u32 s1, s9, 0
	v_add_u32_e32 v10, v10, v19
	v_or_b32_sdwa v1, v1, v11 dst_sel:DWORD dst_unused:UNUSED_PAD src0_sel:WORD_0 src1_sel:DWORD
	v_or_b32_e32 v23, 0x100, v0
	v_or_b32_e32 v22, 0x200, v0
	;; [unrolled: 1-line block ×3, first 2 shown]
	s_waitcnt lgkmcnt(0)
	s_barrier
	s_barrier
	ds_write_b32 v10, v1
	v_lshrrev_b32_e32 v1, 5, v23
	v_lshrrev_b32_e32 v13, 5, v22
	v_lshrrev_b32_e32 v18, 5, v21
	v_mov_b32_e32 v11, s1
	v_add_co_u32_e32 v10, vcc, s0, v0
	v_lshrrev_b32_e32 v15, 5, v0
	v_and_b32_e32 v12, 12, v1
	v_and_b32_e32 v16, 20, v13
	;; [unrolled: 1-line block ×3, first 2 shown]
	v_addc_co_u32_e32 v11, vcc, 0, v11, vcc
	s_mov_b32 s17, 0
	v_and_b32_e32 v24, 4, v15
	s_and_b64 vcc, exec, s[18:19]
	v_add_u32_e32 v25, v0, v12
	v_add_u32_e32 v26, v0, v16
	;; [unrolled: 1-line block ×3, first 2 shown]
	v_lshlrev_b32_e32 v19, 3, v19
	v_lshl_add_u32 v1, v1, 3, v17
	v_lshl_add_u32 v16, v13, 3, v17
	;; [unrolled: 1-line block ×3, first 2 shown]
	s_waitcnt lgkmcnt(0)
	s_cbranch_vccz .LBB489_37
; %bb.36:
	v_add_u32_e32 v12, v0, v24
	s_barrier
	ds_read_u8 v12, v12
	ds_read_u8 v13, v25 offset:256
	ds_read_u8 v28, v26 offset:512
	;; [unrolled: 1-line block ×3, first 2 shown]
	s_lshl_b64 s[0:1], s[16:17], 3
	s_add_u32 s0, s12, s0
	s_waitcnt lgkmcnt(3)
	global_store_byte v[10:11], v12, off
	s_waitcnt lgkmcnt(2)
	global_store_byte v[10:11], v13, off offset:256
	s_waitcnt lgkmcnt(1)
	global_store_byte v[10:11], v28, off offset:512
	;; [unrolled: 2-line block ×3, first 2 shown]
	v_lshl_add_u32 v12, v20, 3, v19
	s_barrier
	ds_write2_b64 v12, v[6:7], v[8:9] offset1:1
	ds_write2_b64 v12, v[2:3], v[4:5] offset0:2 offset1:3
	v_lshl_add_u32 v12, v15, 3, v17
	s_addc_u32 s1, s13, s1
	s_waitcnt lgkmcnt(0)
	s_barrier
	ds_read_b64 v[28:29], v12
	ds_read_b64 v[30:31], v1 offset:2048
	ds_read_b64 v[32:33], v16 offset:4096
	;; [unrolled: 1-line block ×3, first 2 shown]
	v_mov_b32_e32 v34, s1
	v_add_co_u32_e32 v35, vcc, s0, v14
	v_addc_co_u32_e32 v34, vcc, 0, v34, vcc
	s_waitcnt lgkmcnt(3)
	global_store_dwordx2 v14, v[28:29], s[0:1]
	s_waitcnt lgkmcnt(2)
	global_store_dwordx2 v14, v[30:31], s[0:1] offset:2048
	v_add_co_u32_e32 v28, vcc, 0x1000, v35
	v_addc_co_u32_e32 v29, vcc, 0, v34, vcc
	s_waitcnt lgkmcnt(1)
	global_store_dwordx2 v[28:29], v[32:33], off
	s_mov_b64 s[6:7], -1
	s_cbranch_execz .LBB489_38
	s_branch .LBB489_51
.LBB489_37:
	s_mov_b64 s[6:7], 0
                                        ; implicit-def: $vgpr12_vgpr13
.LBB489_38:
	s_barrier
	s_waitcnt lgkmcnt(0)
	ds_read_u8 v25, v25 offset:256
	ds_read_u8 v13, v26 offset:512
	;; [unrolled: 1-line block ×3, first 2 shown]
	s_sub_i32 s6, s14, s16
	v_cmp_gt_u32_e32 vcc, s6, v0
	s_and_saveexec_b64 s[0:1], vcc
	s_cbranch_execz .LBB489_42
; %bb.39:
	v_add_u32_e32 v0, v0, v24
	ds_read_u8 v0, v0
	s_waitcnt lgkmcnt(0)
	global_store_byte v[10:11], v0, off
	s_or_b64 exec, exec, s[0:1]
	v_cmp_gt_u32_e64 s[0:1], s6, v23
	s_and_saveexec_b64 s[2:3], s[0:1]
	s_cbranch_execnz .LBB489_43
.LBB489_40:
	s_or_b64 exec, exec, s[2:3]
	v_cmp_gt_u32_e64 s[2:3], s6, v22
	s_and_saveexec_b64 s[4:5], s[2:3]
	s_cbranch_execz .LBB489_44
.LBB489_41:
	s_waitcnt lgkmcnt(1)
	global_store_byte v[10:11], v13, off offset:512
	s_or_b64 exec, exec, s[4:5]
	v_cmp_gt_u32_e64 s[6:7], s6, v21
	s_and_saveexec_b64 s[4:5], s[6:7]
	s_cbranch_execnz .LBB489_45
	s_branch .LBB489_46
.LBB489_42:
	s_or_b64 exec, exec, s[0:1]
	v_cmp_gt_u32_e64 s[0:1], s6, v23
	s_and_saveexec_b64 s[2:3], s[0:1]
	s_cbranch_execz .LBB489_40
.LBB489_43:
	s_waitcnt lgkmcnt(2)
	global_store_byte v[10:11], v25, off offset:256
	s_or_b64 exec, exec, s[2:3]
	v_cmp_gt_u32_e64 s[2:3], s6, v22
	s_and_saveexec_b64 s[4:5], s[2:3]
	s_cbranch_execnz .LBB489_41
.LBB489_44:
	s_or_b64 exec, exec, s[4:5]
	v_cmp_gt_u32_e64 s[6:7], s6, v21
	s_and_saveexec_b64 s[4:5], s[6:7]
	s_cbranch_execz .LBB489_46
.LBB489_45:
	s_waitcnt lgkmcnt(0)
	global_store_byte v[10:11], v12, off offset:768
.LBB489_46:
	s_or_b64 exec, exec, s[4:5]
	v_lshl_add_u32 v0, v20, 3, v19
	s_waitcnt lgkmcnt(0)
	s_barrier
	ds_write2_b64 v0, v[6:7], v[8:9] offset1:1
	ds_write2_b64 v0, v[2:3], v[4:5] offset0:2 offset1:3
	s_waitcnt lgkmcnt(0)
	s_barrier
	ds_read_b64 v[4:5], v1 offset:2048
	ds_read_b64 v[0:1], v16 offset:4096
	;; [unrolled: 1-line block ×3, first 2 shown]
	s_lshl_b64 s[4:5], s[16:17], 3
	s_add_u32 s4, s12, s4
	s_addc_u32 s5, s13, s5
	v_mov_b32_e32 v3, s5
	v_add_co_u32_e64 v2, s[4:5], s4, v14
	v_addc_co_u32_e64 v3, s[4:5], 0, v3, s[4:5]
	s_and_saveexec_b64 s[4:5], vcc
	s_cbranch_execz .LBB489_54
; %bb.47:
	v_lshl_add_u32 v6, v15, 3, v17
	ds_read_b64 v[6:7], v6
	s_waitcnt lgkmcnt(0)
	global_store_dwordx2 v[2:3], v[6:7], off
	s_or_b64 exec, exec, s[4:5]
	s_and_saveexec_b64 s[4:5], s[0:1]
	s_cbranch_execnz .LBB489_55
.LBB489_48:
	s_or_b64 exec, exec, s[4:5]
	s_and_saveexec_b64 s[0:1], s[2:3]
	s_cbranch_execz .LBB489_50
.LBB489_49:
	v_add_co_u32_e32 v2, vcc, 0x1000, v2
	v_addc_co_u32_e32 v3, vcc, 0, v3, vcc
	s_waitcnt lgkmcnt(1)
	global_store_dwordx2 v[2:3], v[0:1], off
.LBB489_50:
	s_or_b64 exec, exec, s[0:1]
.LBB489_51:
	s_and_saveexec_b64 s[0:1], s[6:7]
	s_cbranch_execz .LBB489_53
; %bb.52:
	s_lshl_b64 s[0:1], s[16:17], 3
	s_add_u32 s0, s12, s0
	s_addc_u32 s1, s13, s1
	s_waitcnt lgkmcnt(1)
	v_mov_b32_e32 v0, s1
	v_add_co_u32_e32 v1, vcc, s0, v14
	v_addc_co_u32_e32 v2, vcc, 0, v0, vcc
	v_add_co_u32_e32 v0, vcc, 0x1000, v1
	v_addc_co_u32_e32 v1, vcc, 0, v2, vcc
	s_waitcnt lgkmcnt(0)
	global_store_dwordx2 v[0:1], v[12:13], off offset:2048
.LBB489_53:
	s_endpgm
.LBB489_54:
	s_or_b64 exec, exec, s[4:5]
	s_and_saveexec_b64 s[4:5], s[0:1]
	s_cbranch_execz .LBB489_48
.LBB489_55:
	s_waitcnt lgkmcnt(2)
	global_store_dwordx2 v[2:3], v[4:5], off offset:2048
	s_or_b64 exec, exec, s[4:5]
	s_and_saveexec_b64 s[0:1], s[2:3]
	s_cbranch_execnz .LBB489_49
	s_branch .LBB489_50
	.section	.rodata,"a",@progbits
	.p2align	6, 0x0
	.amdhsa_kernel _ZN7rocprim17ROCPRIM_400000_NS6detail17trampoline_kernelINS0_14default_configENS1_38merge_sort_block_merge_config_selectorIalEEZZNS1_27merge_sort_block_merge_implIS3_PaN6thrust23THRUST_200600_302600_NS10device_ptrIlEEjNS1_19radix_merge_compareILb0ELb0EaNS0_19identity_decomposerEEEEE10hipError_tT0_T1_T2_jT3_P12ihipStream_tbPNSt15iterator_traitsISG_E10value_typeEPNSM_ISH_E10value_typeEPSI_NS1_7vsmem_tEENKUlT_SG_SH_SI_E_clIS7_S7_PlSB_EESF_SV_SG_SH_SI_EUlSV_E0_NS1_11comp_targetILNS1_3genE4ELNS1_11target_archE910ELNS1_3gpuE8ELNS1_3repE0EEENS1_38merge_mergepath_config_static_selectorELNS0_4arch9wavefront6targetE1EEEvSH_
		.amdhsa_group_segment_fixed_size 8448
		.amdhsa_private_segment_fixed_size 0
		.amdhsa_kernarg_size 320
		.amdhsa_user_sgpr_count 6
		.amdhsa_user_sgpr_private_segment_buffer 1
		.amdhsa_user_sgpr_dispatch_ptr 0
		.amdhsa_user_sgpr_queue_ptr 0
		.amdhsa_user_sgpr_kernarg_segment_ptr 1
		.amdhsa_user_sgpr_dispatch_id 0
		.amdhsa_user_sgpr_flat_scratch_init 0
		.amdhsa_user_sgpr_kernarg_preload_length 0
		.amdhsa_user_sgpr_kernarg_preload_offset 0
		.amdhsa_user_sgpr_private_segment_size 0
		.amdhsa_uses_dynamic_stack 0
		.amdhsa_system_sgpr_private_segment_wavefront_offset 0
		.amdhsa_system_sgpr_workgroup_id_x 1
		.amdhsa_system_sgpr_workgroup_id_y 1
		.amdhsa_system_sgpr_workgroup_id_z 1
		.amdhsa_system_sgpr_workgroup_info 0
		.amdhsa_system_vgpr_workitem_id 0
		.amdhsa_next_free_vgpr 36
		.amdhsa_next_free_sgpr 32
		.amdhsa_accum_offset 36
		.amdhsa_reserve_vcc 1
		.amdhsa_reserve_flat_scratch 0
		.amdhsa_float_round_mode_32 0
		.amdhsa_float_round_mode_16_64 0
		.amdhsa_float_denorm_mode_32 3
		.amdhsa_float_denorm_mode_16_64 3
		.amdhsa_dx10_clamp 1
		.amdhsa_ieee_mode 1
		.amdhsa_fp16_overflow 0
		.amdhsa_tg_split 0
		.amdhsa_exception_fp_ieee_invalid_op 0
		.amdhsa_exception_fp_denorm_src 0
		.amdhsa_exception_fp_ieee_div_zero 0
		.amdhsa_exception_fp_ieee_overflow 0
		.amdhsa_exception_fp_ieee_underflow 0
		.amdhsa_exception_fp_ieee_inexact 0
		.amdhsa_exception_int_div_zero 0
	.end_amdhsa_kernel
	.section	.text._ZN7rocprim17ROCPRIM_400000_NS6detail17trampoline_kernelINS0_14default_configENS1_38merge_sort_block_merge_config_selectorIalEEZZNS1_27merge_sort_block_merge_implIS3_PaN6thrust23THRUST_200600_302600_NS10device_ptrIlEEjNS1_19radix_merge_compareILb0ELb0EaNS0_19identity_decomposerEEEEE10hipError_tT0_T1_T2_jT3_P12ihipStream_tbPNSt15iterator_traitsISG_E10value_typeEPNSM_ISH_E10value_typeEPSI_NS1_7vsmem_tEENKUlT_SG_SH_SI_E_clIS7_S7_PlSB_EESF_SV_SG_SH_SI_EUlSV_E0_NS1_11comp_targetILNS1_3genE4ELNS1_11target_archE910ELNS1_3gpuE8ELNS1_3repE0EEENS1_38merge_mergepath_config_static_selectorELNS0_4arch9wavefront6targetE1EEEvSH_,"axG",@progbits,_ZN7rocprim17ROCPRIM_400000_NS6detail17trampoline_kernelINS0_14default_configENS1_38merge_sort_block_merge_config_selectorIalEEZZNS1_27merge_sort_block_merge_implIS3_PaN6thrust23THRUST_200600_302600_NS10device_ptrIlEEjNS1_19radix_merge_compareILb0ELb0EaNS0_19identity_decomposerEEEEE10hipError_tT0_T1_T2_jT3_P12ihipStream_tbPNSt15iterator_traitsISG_E10value_typeEPNSM_ISH_E10value_typeEPSI_NS1_7vsmem_tEENKUlT_SG_SH_SI_E_clIS7_S7_PlSB_EESF_SV_SG_SH_SI_EUlSV_E0_NS1_11comp_targetILNS1_3genE4ELNS1_11target_archE910ELNS1_3gpuE8ELNS1_3repE0EEENS1_38merge_mergepath_config_static_selectorELNS0_4arch9wavefront6targetE1EEEvSH_,comdat
.Lfunc_end489:
	.size	_ZN7rocprim17ROCPRIM_400000_NS6detail17trampoline_kernelINS0_14default_configENS1_38merge_sort_block_merge_config_selectorIalEEZZNS1_27merge_sort_block_merge_implIS3_PaN6thrust23THRUST_200600_302600_NS10device_ptrIlEEjNS1_19radix_merge_compareILb0ELb0EaNS0_19identity_decomposerEEEEE10hipError_tT0_T1_T2_jT3_P12ihipStream_tbPNSt15iterator_traitsISG_E10value_typeEPNSM_ISH_E10value_typeEPSI_NS1_7vsmem_tEENKUlT_SG_SH_SI_E_clIS7_S7_PlSB_EESF_SV_SG_SH_SI_EUlSV_E0_NS1_11comp_targetILNS1_3genE4ELNS1_11target_archE910ELNS1_3gpuE8ELNS1_3repE0EEENS1_38merge_mergepath_config_static_selectorELNS0_4arch9wavefront6targetE1EEEvSH_, .Lfunc_end489-_ZN7rocprim17ROCPRIM_400000_NS6detail17trampoline_kernelINS0_14default_configENS1_38merge_sort_block_merge_config_selectorIalEEZZNS1_27merge_sort_block_merge_implIS3_PaN6thrust23THRUST_200600_302600_NS10device_ptrIlEEjNS1_19radix_merge_compareILb0ELb0EaNS0_19identity_decomposerEEEEE10hipError_tT0_T1_T2_jT3_P12ihipStream_tbPNSt15iterator_traitsISG_E10value_typeEPNSM_ISH_E10value_typeEPSI_NS1_7vsmem_tEENKUlT_SG_SH_SI_E_clIS7_S7_PlSB_EESF_SV_SG_SH_SI_EUlSV_E0_NS1_11comp_targetILNS1_3genE4ELNS1_11target_archE910ELNS1_3gpuE8ELNS1_3repE0EEENS1_38merge_mergepath_config_static_selectorELNS0_4arch9wavefront6targetE1EEEvSH_
                                        ; -- End function
	.section	.AMDGPU.csdata,"",@progbits
; Kernel info:
; codeLenInByte = 3132
; NumSgprs: 36
; NumVgprs: 36
; NumAgprs: 0
; TotalNumVgprs: 36
; ScratchSize: 0
; MemoryBound: 0
; FloatMode: 240
; IeeeMode: 1
; LDSByteSize: 8448 bytes/workgroup (compile time only)
; SGPRBlocks: 4
; VGPRBlocks: 4
; NumSGPRsForWavesPerEU: 36
; NumVGPRsForWavesPerEU: 36
; AccumOffset: 36
; Occupancy: 7
; WaveLimiterHint : 1
; COMPUTE_PGM_RSRC2:SCRATCH_EN: 0
; COMPUTE_PGM_RSRC2:USER_SGPR: 6
; COMPUTE_PGM_RSRC2:TRAP_HANDLER: 0
; COMPUTE_PGM_RSRC2:TGID_X_EN: 1
; COMPUTE_PGM_RSRC2:TGID_Y_EN: 1
; COMPUTE_PGM_RSRC2:TGID_Z_EN: 1
; COMPUTE_PGM_RSRC2:TIDIG_COMP_CNT: 0
; COMPUTE_PGM_RSRC3_GFX90A:ACCUM_OFFSET: 8
; COMPUTE_PGM_RSRC3_GFX90A:TG_SPLIT: 0
	.section	.text._ZN7rocprim17ROCPRIM_400000_NS6detail17trampoline_kernelINS0_14default_configENS1_38merge_sort_block_merge_config_selectorIalEEZZNS1_27merge_sort_block_merge_implIS3_PaN6thrust23THRUST_200600_302600_NS10device_ptrIlEEjNS1_19radix_merge_compareILb0ELb0EaNS0_19identity_decomposerEEEEE10hipError_tT0_T1_T2_jT3_P12ihipStream_tbPNSt15iterator_traitsISG_E10value_typeEPNSM_ISH_E10value_typeEPSI_NS1_7vsmem_tEENKUlT_SG_SH_SI_E_clIS7_S7_PlSB_EESF_SV_SG_SH_SI_EUlSV_E0_NS1_11comp_targetILNS1_3genE3ELNS1_11target_archE908ELNS1_3gpuE7ELNS1_3repE0EEENS1_38merge_mergepath_config_static_selectorELNS0_4arch9wavefront6targetE1EEEvSH_,"axG",@progbits,_ZN7rocprim17ROCPRIM_400000_NS6detail17trampoline_kernelINS0_14default_configENS1_38merge_sort_block_merge_config_selectorIalEEZZNS1_27merge_sort_block_merge_implIS3_PaN6thrust23THRUST_200600_302600_NS10device_ptrIlEEjNS1_19radix_merge_compareILb0ELb0EaNS0_19identity_decomposerEEEEE10hipError_tT0_T1_T2_jT3_P12ihipStream_tbPNSt15iterator_traitsISG_E10value_typeEPNSM_ISH_E10value_typeEPSI_NS1_7vsmem_tEENKUlT_SG_SH_SI_E_clIS7_S7_PlSB_EESF_SV_SG_SH_SI_EUlSV_E0_NS1_11comp_targetILNS1_3genE3ELNS1_11target_archE908ELNS1_3gpuE7ELNS1_3repE0EEENS1_38merge_mergepath_config_static_selectorELNS0_4arch9wavefront6targetE1EEEvSH_,comdat
	.protected	_ZN7rocprim17ROCPRIM_400000_NS6detail17trampoline_kernelINS0_14default_configENS1_38merge_sort_block_merge_config_selectorIalEEZZNS1_27merge_sort_block_merge_implIS3_PaN6thrust23THRUST_200600_302600_NS10device_ptrIlEEjNS1_19radix_merge_compareILb0ELb0EaNS0_19identity_decomposerEEEEE10hipError_tT0_T1_T2_jT3_P12ihipStream_tbPNSt15iterator_traitsISG_E10value_typeEPNSM_ISH_E10value_typeEPSI_NS1_7vsmem_tEENKUlT_SG_SH_SI_E_clIS7_S7_PlSB_EESF_SV_SG_SH_SI_EUlSV_E0_NS1_11comp_targetILNS1_3genE3ELNS1_11target_archE908ELNS1_3gpuE7ELNS1_3repE0EEENS1_38merge_mergepath_config_static_selectorELNS0_4arch9wavefront6targetE1EEEvSH_ ; -- Begin function _ZN7rocprim17ROCPRIM_400000_NS6detail17trampoline_kernelINS0_14default_configENS1_38merge_sort_block_merge_config_selectorIalEEZZNS1_27merge_sort_block_merge_implIS3_PaN6thrust23THRUST_200600_302600_NS10device_ptrIlEEjNS1_19radix_merge_compareILb0ELb0EaNS0_19identity_decomposerEEEEE10hipError_tT0_T1_T2_jT3_P12ihipStream_tbPNSt15iterator_traitsISG_E10value_typeEPNSM_ISH_E10value_typeEPSI_NS1_7vsmem_tEENKUlT_SG_SH_SI_E_clIS7_S7_PlSB_EESF_SV_SG_SH_SI_EUlSV_E0_NS1_11comp_targetILNS1_3genE3ELNS1_11target_archE908ELNS1_3gpuE7ELNS1_3repE0EEENS1_38merge_mergepath_config_static_selectorELNS0_4arch9wavefront6targetE1EEEvSH_
	.globl	_ZN7rocprim17ROCPRIM_400000_NS6detail17trampoline_kernelINS0_14default_configENS1_38merge_sort_block_merge_config_selectorIalEEZZNS1_27merge_sort_block_merge_implIS3_PaN6thrust23THRUST_200600_302600_NS10device_ptrIlEEjNS1_19radix_merge_compareILb0ELb0EaNS0_19identity_decomposerEEEEE10hipError_tT0_T1_T2_jT3_P12ihipStream_tbPNSt15iterator_traitsISG_E10value_typeEPNSM_ISH_E10value_typeEPSI_NS1_7vsmem_tEENKUlT_SG_SH_SI_E_clIS7_S7_PlSB_EESF_SV_SG_SH_SI_EUlSV_E0_NS1_11comp_targetILNS1_3genE3ELNS1_11target_archE908ELNS1_3gpuE7ELNS1_3repE0EEENS1_38merge_mergepath_config_static_selectorELNS0_4arch9wavefront6targetE1EEEvSH_
	.p2align	8
	.type	_ZN7rocprim17ROCPRIM_400000_NS6detail17trampoline_kernelINS0_14default_configENS1_38merge_sort_block_merge_config_selectorIalEEZZNS1_27merge_sort_block_merge_implIS3_PaN6thrust23THRUST_200600_302600_NS10device_ptrIlEEjNS1_19radix_merge_compareILb0ELb0EaNS0_19identity_decomposerEEEEE10hipError_tT0_T1_T2_jT3_P12ihipStream_tbPNSt15iterator_traitsISG_E10value_typeEPNSM_ISH_E10value_typeEPSI_NS1_7vsmem_tEENKUlT_SG_SH_SI_E_clIS7_S7_PlSB_EESF_SV_SG_SH_SI_EUlSV_E0_NS1_11comp_targetILNS1_3genE3ELNS1_11target_archE908ELNS1_3gpuE7ELNS1_3repE0EEENS1_38merge_mergepath_config_static_selectorELNS0_4arch9wavefront6targetE1EEEvSH_,@function
_ZN7rocprim17ROCPRIM_400000_NS6detail17trampoline_kernelINS0_14default_configENS1_38merge_sort_block_merge_config_selectorIalEEZZNS1_27merge_sort_block_merge_implIS3_PaN6thrust23THRUST_200600_302600_NS10device_ptrIlEEjNS1_19radix_merge_compareILb0ELb0EaNS0_19identity_decomposerEEEEE10hipError_tT0_T1_T2_jT3_P12ihipStream_tbPNSt15iterator_traitsISG_E10value_typeEPNSM_ISH_E10value_typeEPSI_NS1_7vsmem_tEENKUlT_SG_SH_SI_E_clIS7_S7_PlSB_EESF_SV_SG_SH_SI_EUlSV_E0_NS1_11comp_targetILNS1_3genE3ELNS1_11target_archE908ELNS1_3gpuE7ELNS1_3repE0EEENS1_38merge_mergepath_config_static_selectorELNS0_4arch9wavefront6targetE1EEEvSH_: ; @_ZN7rocprim17ROCPRIM_400000_NS6detail17trampoline_kernelINS0_14default_configENS1_38merge_sort_block_merge_config_selectorIalEEZZNS1_27merge_sort_block_merge_implIS3_PaN6thrust23THRUST_200600_302600_NS10device_ptrIlEEjNS1_19radix_merge_compareILb0ELb0EaNS0_19identity_decomposerEEEEE10hipError_tT0_T1_T2_jT3_P12ihipStream_tbPNSt15iterator_traitsISG_E10value_typeEPNSM_ISH_E10value_typeEPSI_NS1_7vsmem_tEENKUlT_SG_SH_SI_E_clIS7_S7_PlSB_EESF_SV_SG_SH_SI_EUlSV_E0_NS1_11comp_targetILNS1_3genE3ELNS1_11target_archE908ELNS1_3gpuE7ELNS1_3repE0EEENS1_38merge_mergepath_config_static_selectorELNS0_4arch9wavefront6targetE1EEEvSH_
; %bb.0:
	.section	.rodata,"a",@progbits
	.p2align	6, 0x0
	.amdhsa_kernel _ZN7rocprim17ROCPRIM_400000_NS6detail17trampoline_kernelINS0_14default_configENS1_38merge_sort_block_merge_config_selectorIalEEZZNS1_27merge_sort_block_merge_implIS3_PaN6thrust23THRUST_200600_302600_NS10device_ptrIlEEjNS1_19radix_merge_compareILb0ELb0EaNS0_19identity_decomposerEEEEE10hipError_tT0_T1_T2_jT3_P12ihipStream_tbPNSt15iterator_traitsISG_E10value_typeEPNSM_ISH_E10value_typeEPSI_NS1_7vsmem_tEENKUlT_SG_SH_SI_E_clIS7_S7_PlSB_EESF_SV_SG_SH_SI_EUlSV_E0_NS1_11comp_targetILNS1_3genE3ELNS1_11target_archE908ELNS1_3gpuE7ELNS1_3repE0EEENS1_38merge_mergepath_config_static_selectorELNS0_4arch9wavefront6targetE1EEEvSH_
		.amdhsa_group_segment_fixed_size 0
		.amdhsa_private_segment_fixed_size 0
		.amdhsa_kernarg_size 64
		.amdhsa_user_sgpr_count 6
		.amdhsa_user_sgpr_private_segment_buffer 1
		.amdhsa_user_sgpr_dispatch_ptr 0
		.amdhsa_user_sgpr_queue_ptr 0
		.amdhsa_user_sgpr_kernarg_segment_ptr 1
		.amdhsa_user_sgpr_dispatch_id 0
		.amdhsa_user_sgpr_flat_scratch_init 0
		.amdhsa_user_sgpr_kernarg_preload_length 0
		.amdhsa_user_sgpr_kernarg_preload_offset 0
		.amdhsa_user_sgpr_private_segment_size 0
		.amdhsa_uses_dynamic_stack 0
		.amdhsa_system_sgpr_private_segment_wavefront_offset 0
		.amdhsa_system_sgpr_workgroup_id_x 1
		.amdhsa_system_sgpr_workgroup_id_y 0
		.amdhsa_system_sgpr_workgroup_id_z 0
		.amdhsa_system_sgpr_workgroup_info 0
		.amdhsa_system_vgpr_workitem_id 0
		.amdhsa_next_free_vgpr 1
		.amdhsa_next_free_sgpr 0
		.amdhsa_accum_offset 4
		.amdhsa_reserve_vcc 0
		.amdhsa_reserve_flat_scratch 0
		.amdhsa_float_round_mode_32 0
		.amdhsa_float_round_mode_16_64 0
		.amdhsa_float_denorm_mode_32 3
		.amdhsa_float_denorm_mode_16_64 3
		.amdhsa_dx10_clamp 1
		.amdhsa_ieee_mode 1
		.amdhsa_fp16_overflow 0
		.amdhsa_tg_split 0
		.amdhsa_exception_fp_ieee_invalid_op 0
		.amdhsa_exception_fp_denorm_src 0
		.amdhsa_exception_fp_ieee_div_zero 0
		.amdhsa_exception_fp_ieee_overflow 0
		.amdhsa_exception_fp_ieee_underflow 0
		.amdhsa_exception_fp_ieee_inexact 0
		.amdhsa_exception_int_div_zero 0
	.end_amdhsa_kernel
	.section	.text._ZN7rocprim17ROCPRIM_400000_NS6detail17trampoline_kernelINS0_14default_configENS1_38merge_sort_block_merge_config_selectorIalEEZZNS1_27merge_sort_block_merge_implIS3_PaN6thrust23THRUST_200600_302600_NS10device_ptrIlEEjNS1_19radix_merge_compareILb0ELb0EaNS0_19identity_decomposerEEEEE10hipError_tT0_T1_T2_jT3_P12ihipStream_tbPNSt15iterator_traitsISG_E10value_typeEPNSM_ISH_E10value_typeEPSI_NS1_7vsmem_tEENKUlT_SG_SH_SI_E_clIS7_S7_PlSB_EESF_SV_SG_SH_SI_EUlSV_E0_NS1_11comp_targetILNS1_3genE3ELNS1_11target_archE908ELNS1_3gpuE7ELNS1_3repE0EEENS1_38merge_mergepath_config_static_selectorELNS0_4arch9wavefront6targetE1EEEvSH_,"axG",@progbits,_ZN7rocprim17ROCPRIM_400000_NS6detail17trampoline_kernelINS0_14default_configENS1_38merge_sort_block_merge_config_selectorIalEEZZNS1_27merge_sort_block_merge_implIS3_PaN6thrust23THRUST_200600_302600_NS10device_ptrIlEEjNS1_19radix_merge_compareILb0ELb0EaNS0_19identity_decomposerEEEEE10hipError_tT0_T1_T2_jT3_P12ihipStream_tbPNSt15iterator_traitsISG_E10value_typeEPNSM_ISH_E10value_typeEPSI_NS1_7vsmem_tEENKUlT_SG_SH_SI_E_clIS7_S7_PlSB_EESF_SV_SG_SH_SI_EUlSV_E0_NS1_11comp_targetILNS1_3genE3ELNS1_11target_archE908ELNS1_3gpuE7ELNS1_3repE0EEENS1_38merge_mergepath_config_static_selectorELNS0_4arch9wavefront6targetE1EEEvSH_,comdat
.Lfunc_end490:
	.size	_ZN7rocprim17ROCPRIM_400000_NS6detail17trampoline_kernelINS0_14default_configENS1_38merge_sort_block_merge_config_selectorIalEEZZNS1_27merge_sort_block_merge_implIS3_PaN6thrust23THRUST_200600_302600_NS10device_ptrIlEEjNS1_19radix_merge_compareILb0ELb0EaNS0_19identity_decomposerEEEEE10hipError_tT0_T1_T2_jT3_P12ihipStream_tbPNSt15iterator_traitsISG_E10value_typeEPNSM_ISH_E10value_typeEPSI_NS1_7vsmem_tEENKUlT_SG_SH_SI_E_clIS7_S7_PlSB_EESF_SV_SG_SH_SI_EUlSV_E0_NS1_11comp_targetILNS1_3genE3ELNS1_11target_archE908ELNS1_3gpuE7ELNS1_3repE0EEENS1_38merge_mergepath_config_static_selectorELNS0_4arch9wavefront6targetE1EEEvSH_, .Lfunc_end490-_ZN7rocprim17ROCPRIM_400000_NS6detail17trampoline_kernelINS0_14default_configENS1_38merge_sort_block_merge_config_selectorIalEEZZNS1_27merge_sort_block_merge_implIS3_PaN6thrust23THRUST_200600_302600_NS10device_ptrIlEEjNS1_19radix_merge_compareILb0ELb0EaNS0_19identity_decomposerEEEEE10hipError_tT0_T1_T2_jT3_P12ihipStream_tbPNSt15iterator_traitsISG_E10value_typeEPNSM_ISH_E10value_typeEPSI_NS1_7vsmem_tEENKUlT_SG_SH_SI_E_clIS7_S7_PlSB_EESF_SV_SG_SH_SI_EUlSV_E0_NS1_11comp_targetILNS1_3genE3ELNS1_11target_archE908ELNS1_3gpuE7ELNS1_3repE0EEENS1_38merge_mergepath_config_static_selectorELNS0_4arch9wavefront6targetE1EEEvSH_
                                        ; -- End function
	.section	.AMDGPU.csdata,"",@progbits
; Kernel info:
; codeLenInByte = 0
; NumSgprs: 4
; NumVgprs: 0
; NumAgprs: 0
; TotalNumVgprs: 0
; ScratchSize: 0
; MemoryBound: 0
; FloatMode: 240
; IeeeMode: 1
; LDSByteSize: 0 bytes/workgroup (compile time only)
; SGPRBlocks: 0
; VGPRBlocks: 0
; NumSGPRsForWavesPerEU: 4
; NumVGPRsForWavesPerEU: 1
; AccumOffset: 4
; Occupancy: 8
; WaveLimiterHint : 0
; COMPUTE_PGM_RSRC2:SCRATCH_EN: 0
; COMPUTE_PGM_RSRC2:USER_SGPR: 6
; COMPUTE_PGM_RSRC2:TRAP_HANDLER: 0
; COMPUTE_PGM_RSRC2:TGID_X_EN: 1
; COMPUTE_PGM_RSRC2:TGID_Y_EN: 0
; COMPUTE_PGM_RSRC2:TGID_Z_EN: 0
; COMPUTE_PGM_RSRC2:TIDIG_COMP_CNT: 0
; COMPUTE_PGM_RSRC3_GFX90A:ACCUM_OFFSET: 0
; COMPUTE_PGM_RSRC3_GFX90A:TG_SPLIT: 0
	.section	.text._ZN7rocprim17ROCPRIM_400000_NS6detail17trampoline_kernelINS0_14default_configENS1_38merge_sort_block_merge_config_selectorIalEEZZNS1_27merge_sort_block_merge_implIS3_PaN6thrust23THRUST_200600_302600_NS10device_ptrIlEEjNS1_19radix_merge_compareILb0ELb0EaNS0_19identity_decomposerEEEEE10hipError_tT0_T1_T2_jT3_P12ihipStream_tbPNSt15iterator_traitsISG_E10value_typeEPNSM_ISH_E10value_typeEPSI_NS1_7vsmem_tEENKUlT_SG_SH_SI_E_clIS7_S7_PlSB_EESF_SV_SG_SH_SI_EUlSV_E0_NS1_11comp_targetILNS1_3genE2ELNS1_11target_archE906ELNS1_3gpuE6ELNS1_3repE0EEENS1_38merge_mergepath_config_static_selectorELNS0_4arch9wavefront6targetE1EEEvSH_,"axG",@progbits,_ZN7rocprim17ROCPRIM_400000_NS6detail17trampoline_kernelINS0_14default_configENS1_38merge_sort_block_merge_config_selectorIalEEZZNS1_27merge_sort_block_merge_implIS3_PaN6thrust23THRUST_200600_302600_NS10device_ptrIlEEjNS1_19radix_merge_compareILb0ELb0EaNS0_19identity_decomposerEEEEE10hipError_tT0_T1_T2_jT3_P12ihipStream_tbPNSt15iterator_traitsISG_E10value_typeEPNSM_ISH_E10value_typeEPSI_NS1_7vsmem_tEENKUlT_SG_SH_SI_E_clIS7_S7_PlSB_EESF_SV_SG_SH_SI_EUlSV_E0_NS1_11comp_targetILNS1_3genE2ELNS1_11target_archE906ELNS1_3gpuE6ELNS1_3repE0EEENS1_38merge_mergepath_config_static_selectorELNS0_4arch9wavefront6targetE1EEEvSH_,comdat
	.protected	_ZN7rocprim17ROCPRIM_400000_NS6detail17trampoline_kernelINS0_14default_configENS1_38merge_sort_block_merge_config_selectorIalEEZZNS1_27merge_sort_block_merge_implIS3_PaN6thrust23THRUST_200600_302600_NS10device_ptrIlEEjNS1_19radix_merge_compareILb0ELb0EaNS0_19identity_decomposerEEEEE10hipError_tT0_T1_T2_jT3_P12ihipStream_tbPNSt15iterator_traitsISG_E10value_typeEPNSM_ISH_E10value_typeEPSI_NS1_7vsmem_tEENKUlT_SG_SH_SI_E_clIS7_S7_PlSB_EESF_SV_SG_SH_SI_EUlSV_E0_NS1_11comp_targetILNS1_3genE2ELNS1_11target_archE906ELNS1_3gpuE6ELNS1_3repE0EEENS1_38merge_mergepath_config_static_selectorELNS0_4arch9wavefront6targetE1EEEvSH_ ; -- Begin function _ZN7rocprim17ROCPRIM_400000_NS6detail17trampoline_kernelINS0_14default_configENS1_38merge_sort_block_merge_config_selectorIalEEZZNS1_27merge_sort_block_merge_implIS3_PaN6thrust23THRUST_200600_302600_NS10device_ptrIlEEjNS1_19radix_merge_compareILb0ELb0EaNS0_19identity_decomposerEEEEE10hipError_tT0_T1_T2_jT3_P12ihipStream_tbPNSt15iterator_traitsISG_E10value_typeEPNSM_ISH_E10value_typeEPSI_NS1_7vsmem_tEENKUlT_SG_SH_SI_E_clIS7_S7_PlSB_EESF_SV_SG_SH_SI_EUlSV_E0_NS1_11comp_targetILNS1_3genE2ELNS1_11target_archE906ELNS1_3gpuE6ELNS1_3repE0EEENS1_38merge_mergepath_config_static_selectorELNS0_4arch9wavefront6targetE1EEEvSH_
	.globl	_ZN7rocprim17ROCPRIM_400000_NS6detail17trampoline_kernelINS0_14default_configENS1_38merge_sort_block_merge_config_selectorIalEEZZNS1_27merge_sort_block_merge_implIS3_PaN6thrust23THRUST_200600_302600_NS10device_ptrIlEEjNS1_19radix_merge_compareILb0ELb0EaNS0_19identity_decomposerEEEEE10hipError_tT0_T1_T2_jT3_P12ihipStream_tbPNSt15iterator_traitsISG_E10value_typeEPNSM_ISH_E10value_typeEPSI_NS1_7vsmem_tEENKUlT_SG_SH_SI_E_clIS7_S7_PlSB_EESF_SV_SG_SH_SI_EUlSV_E0_NS1_11comp_targetILNS1_3genE2ELNS1_11target_archE906ELNS1_3gpuE6ELNS1_3repE0EEENS1_38merge_mergepath_config_static_selectorELNS0_4arch9wavefront6targetE1EEEvSH_
	.p2align	8
	.type	_ZN7rocprim17ROCPRIM_400000_NS6detail17trampoline_kernelINS0_14default_configENS1_38merge_sort_block_merge_config_selectorIalEEZZNS1_27merge_sort_block_merge_implIS3_PaN6thrust23THRUST_200600_302600_NS10device_ptrIlEEjNS1_19radix_merge_compareILb0ELb0EaNS0_19identity_decomposerEEEEE10hipError_tT0_T1_T2_jT3_P12ihipStream_tbPNSt15iterator_traitsISG_E10value_typeEPNSM_ISH_E10value_typeEPSI_NS1_7vsmem_tEENKUlT_SG_SH_SI_E_clIS7_S7_PlSB_EESF_SV_SG_SH_SI_EUlSV_E0_NS1_11comp_targetILNS1_3genE2ELNS1_11target_archE906ELNS1_3gpuE6ELNS1_3repE0EEENS1_38merge_mergepath_config_static_selectorELNS0_4arch9wavefront6targetE1EEEvSH_,@function
_ZN7rocprim17ROCPRIM_400000_NS6detail17trampoline_kernelINS0_14default_configENS1_38merge_sort_block_merge_config_selectorIalEEZZNS1_27merge_sort_block_merge_implIS3_PaN6thrust23THRUST_200600_302600_NS10device_ptrIlEEjNS1_19radix_merge_compareILb0ELb0EaNS0_19identity_decomposerEEEEE10hipError_tT0_T1_T2_jT3_P12ihipStream_tbPNSt15iterator_traitsISG_E10value_typeEPNSM_ISH_E10value_typeEPSI_NS1_7vsmem_tEENKUlT_SG_SH_SI_E_clIS7_S7_PlSB_EESF_SV_SG_SH_SI_EUlSV_E0_NS1_11comp_targetILNS1_3genE2ELNS1_11target_archE906ELNS1_3gpuE6ELNS1_3repE0EEENS1_38merge_mergepath_config_static_selectorELNS0_4arch9wavefront6targetE1EEEvSH_: ; @_ZN7rocprim17ROCPRIM_400000_NS6detail17trampoline_kernelINS0_14default_configENS1_38merge_sort_block_merge_config_selectorIalEEZZNS1_27merge_sort_block_merge_implIS3_PaN6thrust23THRUST_200600_302600_NS10device_ptrIlEEjNS1_19radix_merge_compareILb0ELb0EaNS0_19identity_decomposerEEEEE10hipError_tT0_T1_T2_jT3_P12ihipStream_tbPNSt15iterator_traitsISG_E10value_typeEPNSM_ISH_E10value_typeEPSI_NS1_7vsmem_tEENKUlT_SG_SH_SI_E_clIS7_S7_PlSB_EESF_SV_SG_SH_SI_EUlSV_E0_NS1_11comp_targetILNS1_3genE2ELNS1_11target_archE906ELNS1_3gpuE6ELNS1_3repE0EEENS1_38merge_mergepath_config_static_selectorELNS0_4arch9wavefront6targetE1EEEvSH_
; %bb.0:
	.section	.rodata,"a",@progbits
	.p2align	6, 0x0
	.amdhsa_kernel _ZN7rocprim17ROCPRIM_400000_NS6detail17trampoline_kernelINS0_14default_configENS1_38merge_sort_block_merge_config_selectorIalEEZZNS1_27merge_sort_block_merge_implIS3_PaN6thrust23THRUST_200600_302600_NS10device_ptrIlEEjNS1_19radix_merge_compareILb0ELb0EaNS0_19identity_decomposerEEEEE10hipError_tT0_T1_T2_jT3_P12ihipStream_tbPNSt15iterator_traitsISG_E10value_typeEPNSM_ISH_E10value_typeEPSI_NS1_7vsmem_tEENKUlT_SG_SH_SI_E_clIS7_S7_PlSB_EESF_SV_SG_SH_SI_EUlSV_E0_NS1_11comp_targetILNS1_3genE2ELNS1_11target_archE906ELNS1_3gpuE6ELNS1_3repE0EEENS1_38merge_mergepath_config_static_selectorELNS0_4arch9wavefront6targetE1EEEvSH_
		.amdhsa_group_segment_fixed_size 0
		.amdhsa_private_segment_fixed_size 0
		.amdhsa_kernarg_size 64
		.amdhsa_user_sgpr_count 6
		.amdhsa_user_sgpr_private_segment_buffer 1
		.amdhsa_user_sgpr_dispatch_ptr 0
		.amdhsa_user_sgpr_queue_ptr 0
		.amdhsa_user_sgpr_kernarg_segment_ptr 1
		.amdhsa_user_sgpr_dispatch_id 0
		.amdhsa_user_sgpr_flat_scratch_init 0
		.amdhsa_user_sgpr_kernarg_preload_length 0
		.amdhsa_user_sgpr_kernarg_preload_offset 0
		.amdhsa_user_sgpr_private_segment_size 0
		.amdhsa_uses_dynamic_stack 0
		.amdhsa_system_sgpr_private_segment_wavefront_offset 0
		.amdhsa_system_sgpr_workgroup_id_x 1
		.amdhsa_system_sgpr_workgroup_id_y 0
		.amdhsa_system_sgpr_workgroup_id_z 0
		.amdhsa_system_sgpr_workgroup_info 0
		.amdhsa_system_vgpr_workitem_id 0
		.amdhsa_next_free_vgpr 1
		.amdhsa_next_free_sgpr 0
		.amdhsa_accum_offset 4
		.amdhsa_reserve_vcc 0
		.amdhsa_reserve_flat_scratch 0
		.amdhsa_float_round_mode_32 0
		.amdhsa_float_round_mode_16_64 0
		.amdhsa_float_denorm_mode_32 3
		.amdhsa_float_denorm_mode_16_64 3
		.amdhsa_dx10_clamp 1
		.amdhsa_ieee_mode 1
		.amdhsa_fp16_overflow 0
		.amdhsa_tg_split 0
		.amdhsa_exception_fp_ieee_invalid_op 0
		.amdhsa_exception_fp_denorm_src 0
		.amdhsa_exception_fp_ieee_div_zero 0
		.amdhsa_exception_fp_ieee_overflow 0
		.amdhsa_exception_fp_ieee_underflow 0
		.amdhsa_exception_fp_ieee_inexact 0
		.amdhsa_exception_int_div_zero 0
	.end_amdhsa_kernel
	.section	.text._ZN7rocprim17ROCPRIM_400000_NS6detail17trampoline_kernelINS0_14default_configENS1_38merge_sort_block_merge_config_selectorIalEEZZNS1_27merge_sort_block_merge_implIS3_PaN6thrust23THRUST_200600_302600_NS10device_ptrIlEEjNS1_19radix_merge_compareILb0ELb0EaNS0_19identity_decomposerEEEEE10hipError_tT0_T1_T2_jT3_P12ihipStream_tbPNSt15iterator_traitsISG_E10value_typeEPNSM_ISH_E10value_typeEPSI_NS1_7vsmem_tEENKUlT_SG_SH_SI_E_clIS7_S7_PlSB_EESF_SV_SG_SH_SI_EUlSV_E0_NS1_11comp_targetILNS1_3genE2ELNS1_11target_archE906ELNS1_3gpuE6ELNS1_3repE0EEENS1_38merge_mergepath_config_static_selectorELNS0_4arch9wavefront6targetE1EEEvSH_,"axG",@progbits,_ZN7rocprim17ROCPRIM_400000_NS6detail17trampoline_kernelINS0_14default_configENS1_38merge_sort_block_merge_config_selectorIalEEZZNS1_27merge_sort_block_merge_implIS3_PaN6thrust23THRUST_200600_302600_NS10device_ptrIlEEjNS1_19radix_merge_compareILb0ELb0EaNS0_19identity_decomposerEEEEE10hipError_tT0_T1_T2_jT3_P12ihipStream_tbPNSt15iterator_traitsISG_E10value_typeEPNSM_ISH_E10value_typeEPSI_NS1_7vsmem_tEENKUlT_SG_SH_SI_E_clIS7_S7_PlSB_EESF_SV_SG_SH_SI_EUlSV_E0_NS1_11comp_targetILNS1_3genE2ELNS1_11target_archE906ELNS1_3gpuE6ELNS1_3repE0EEENS1_38merge_mergepath_config_static_selectorELNS0_4arch9wavefront6targetE1EEEvSH_,comdat
.Lfunc_end491:
	.size	_ZN7rocprim17ROCPRIM_400000_NS6detail17trampoline_kernelINS0_14default_configENS1_38merge_sort_block_merge_config_selectorIalEEZZNS1_27merge_sort_block_merge_implIS3_PaN6thrust23THRUST_200600_302600_NS10device_ptrIlEEjNS1_19radix_merge_compareILb0ELb0EaNS0_19identity_decomposerEEEEE10hipError_tT0_T1_T2_jT3_P12ihipStream_tbPNSt15iterator_traitsISG_E10value_typeEPNSM_ISH_E10value_typeEPSI_NS1_7vsmem_tEENKUlT_SG_SH_SI_E_clIS7_S7_PlSB_EESF_SV_SG_SH_SI_EUlSV_E0_NS1_11comp_targetILNS1_3genE2ELNS1_11target_archE906ELNS1_3gpuE6ELNS1_3repE0EEENS1_38merge_mergepath_config_static_selectorELNS0_4arch9wavefront6targetE1EEEvSH_, .Lfunc_end491-_ZN7rocprim17ROCPRIM_400000_NS6detail17trampoline_kernelINS0_14default_configENS1_38merge_sort_block_merge_config_selectorIalEEZZNS1_27merge_sort_block_merge_implIS3_PaN6thrust23THRUST_200600_302600_NS10device_ptrIlEEjNS1_19radix_merge_compareILb0ELb0EaNS0_19identity_decomposerEEEEE10hipError_tT0_T1_T2_jT3_P12ihipStream_tbPNSt15iterator_traitsISG_E10value_typeEPNSM_ISH_E10value_typeEPSI_NS1_7vsmem_tEENKUlT_SG_SH_SI_E_clIS7_S7_PlSB_EESF_SV_SG_SH_SI_EUlSV_E0_NS1_11comp_targetILNS1_3genE2ELNS1_11target_archE906ELNS1_3gpuE6ELNS1_3repE0EEENS1_38merge_mergepath_config_static_selectorELNS0_4arch9wavefront6targetE1EEEvSH_
                                        ; -- End function
	.section	.AMDGPU.csdata,"",@progbits
; Kernel info:
; codeLenInByte = 0
; NumSgprs: 4
; NumVgprs: 0
; NumAgprs: 0
; TotalNumVgprs: 0
; ScratchSize: 0
; MemoryBound: 0
; FloatMode: 240
; IeeeMode: 1
; LDSByteSize: 0 bytes/workgroup (compile time only)
; SGPRBlocks: 0
; VGPRBlocks: 0
; NumSGPRsForWavesPerEU: 4
; NumVGPRsForWavesPerEU: 1
; AccumOffset: 4
; Occupancy: 8
; WaveLimiterHint : 0
; COMPUTE_PGM_RSRC2:SCRATCH_EN: 0
; COMPUTE_PGM_RSRC2:USER_SGPR: 6
; COMPUTE_PGM_RSRC2:TRAP_HANDLER: 0
; COMPUTE_PGM_RSRC2:TGID_X_EN: 1
; COMPUTE_PGM_RSRC2:TGID_Y_EN: 0
; COMPUTE_PGM_RSRC2:TGID_Z_EN: 0
; COMPUTE_PGM_RSRC2:TIDIG_COMP_CNT: 0
; COMPUTE_PGM_RSRC3_GFX90A:ACCUM_OFFSET: 0
; COMPUTE_PGM_RSRC3_GFX90A:TG_SPLIT: 0
	.section	.text._ZN7rocprim17ROCPRIM_400000_NS6detail17trampoline_kernelINS0_14default_configENS1_38merge_sort_block_merge_config_selectorIalEEZZNS1_27merge_sort_block_merge_implIS3_PaN6thrust23THRUST_200600_302600_NS10device_ptrIlEEjNS1_19radix_merge_compareILb0ELb0EaNS0_19identity_decomposerEEEEE10hipError_tT0_T1_T2_jT3_P12ihipStream_tbPNSt15iterator_traitsISG_E10value_typeEPNSM_ISH_E10value_typeEPSI_NS1_7vsmem_tEENKUlT_SG_SH_SI_E_clIS7_S7_PlSB_EESF_SV_SG_SH_SI_EUlSV_E0_NS1_11comp_targetILNS1_3genE9ELNS1_11target_archE1100ELNS1_3gpuE3ELNS1_3repE0EEENS1_38merge_mergepath_config_static_selectorELNS0_4arch9wavefront6targetE1EEEvSH_,"axG",@progbits,_ZN7rocprim17ROCPRIM_400000_NS6detail17trampoline_kernelINS0_14default_configENS1_38merge_sort_block_merge_config_selectorIalEEZZNS1_27merge_sort_block_merge_implIS3_PaN6thrust23THRUST_200600_302600_NS10device_ptrIlEEjNS1_19radix_merge_compareILb0ELb0EaNS0_19identity_decomposerEEEEE10hipError_tT0_T1_T2_jT3_P12ihipStream_tbPNSt15iterator_traitsISG_E10value_typeEPNSM_ISH_E10value_typeEPSI_NS1_7vsmem_tEENKUlT_SG_SH_SI_E_clIS7_S7_PlSB_EESF_SV_SG_SH_SI_EUlSV_E0_NS1_11comp_targetILNS1_3genE9ELNS1_11target_archE1100ELNS1_3gpuE3ELNS1_3repE0EEENS1_38merge_mergepath_config_static_selectorELNS0_4arch9wavefront6targetE1EEEvSH_,comdat
	.protected	_ZN7rocprim17ROCPRIM_400000_NS6detail17trampoline_kernelINS0_14default_configENS1_38merge_sort_block_merge_config_selectorIalEEZZNS1_27merge_sort_block_merge_implIS3_PaN6thrust23THRUST_200600_302600_NS10device_ptrIlEEjNS1_19radix_merge_compareILb0ELb0EaNS0_19identity_decomposerEEEEE10hipError_tT0_T1_T2_jT3_P12ihipStream_tbPNSt15iterator_traitsISG_E10value_typeEPNSM_ISH_E10value_typeEPSI_NS1_7vsmem_tEENKUlT_SG_SH_SI_E_clIS7_S7_PlSB_EESF_SV_SG_SH_SI_EUlSV_E0_NS1_11comp_targetILNS1_3genE9ELNS1_11target_archE1100ELNS1_3gpuE3ELNS1_3repE0EEENS1_38merge_mergepath_config_static_selectorELNS0_4arch9wavefront6targetE1EEEvSH_ ; -- Begin function _ZN7rocprim17ROCPRIM_400000_NS6detail17trampoline_kernelINS0_14default_configENS1_38merge_sort_block_merge_config_selectorIalEEZZNS1_27merge_sort_block_merge_implIS3_PaN6thrust23THRUST_200600_302600_NS10device_ptrIlEEjNS1_19radix_merge_compareILb0ELb0EaNS0_19identity_decomposerEEEEE10hipError_tT0_T1_T2_jT3_P12ihipStream_tbPNSt15iterator_traitsISG_E10value_typeEPNSM_ISH_E10value_typeEPSI_NS1_7vsmem_tEENKUlT_SG_SH_SI_E_clIS7_S7_PlSB_EESF_SV_SG_SH_SI_EUlSV_E0_NS1_11comp_targetILNS1_3genE9ELNS1_11target_archE1100ELNS1_3gpuE3ELNS1_3repE0EEENS1_38merge_mergepath_config_static_selectorELNS0_4arch9wavefront6targetE1EEEvSH_
	.globl	_ZN7rocprim17ROCPRIM_400000_NS6detail17trampoline_kernelINS0_14default_configENS1_38merge_sort_block_merge_config_selectorIalEEZZNS1_27merge_sort_block_merge_implIS3_PaN6thrust23THRUST_200600_302600_NS10device_ptrIlEEjNS1_19radix_merge_compareILb0ELb0EaNS0_19identity_decomposerEEEEE10hipError_tT0_T1_T2_jT3_P12ihipStream_tbPNSt15iterator_traitsISG_E10value_typeEPNSM_ISH_E10value_typeEPSI_NS1_7vsmem_tEENKUlT_SG_SH_SI_E_clIS7_S7_PlSB_EESF_SV_SG_SH_SI_EUlSV_E0_NS1_11comp_targetILNS1_3genE9ELNS1_11target_archE1100ELNS1_3gpuE3ELNS1_3repE0EEENS1_38merge_mergepath_config_static_selectorELNS0_4arch9wavefront6targetE1EEEvSH_
	.p2align	8
	.type	_ZN7rocprim17ROCPRIM_400000_NS6detail17trampoline_kernelINS0_14default_configENS1_38merge_sort_block_merge_config_selectorIalEEZZNS1_27merge_sort_block_merge_implIS3_PaN6thrust23THRUST_200600_302600_NS10device_ptrIlEEjNS1_19radix_merge_compareILb0ELb0EaNS0_19identity_decomposerEEEEE10hipError_tT0_T1_T2_jT3_P12ihipStream_tbPNSt15iterator_traitsISG_E10value_typeEPNSM_ISH_E10value_typeEPSI_NS1_7vsmem_tEENKUlT_SG_SH_SI_E_clIS7_S7_PlSB_EESF_SV_SG_SH_SI_EUlSV_E0_NS1_11comp_targetILNS1_3genE9ELNS1_11target_archE1100ELNS1_3gpuE3ELNS1_3repE0EEENS1_38merge_mergepath_config_static_selectorELNS0_4arch9wavefront6targetE1EEEvSH_,@function
_ZN7rocprim17ROCPRIM_400000_NS6detail17trampoline_kernelINS0_14default_configENS1_38merge_sort_block_merge_config_selectorIalEEZZNS1_27merge_sort_block_merge_implIS3_PaN6thrust23THRUST_200600_302600_NS10device_ptrIlEEjNS1_19radix_merge_compareILb0ELb0EaNS0_19identity_decomposerEEEEE10hipError_tT0_T1_T2_jT3_P12ihipStream_tbPNSt15iterator_traitsISG_E10value_typeEPNSM_ISH_E10value_typeEPSI_NS1_7vsmem_tEENKUlT_SG_SH_SI_E_clIS7_S7_PlSB_EESF_SV_SG_SH_SI_EUlSV_E0_NS1_11comp_targetILNS1_3genE9ELNS1_11target_archE1100ELNS1_3gpuE3ELNS1_3repE0EEENS1_38merge_mergepath_config_static_selectorELNS0_4arch9wavefront6targetE1EEEvSH_: ; @_ZN7rocprim17ROCPRIM_400000_NS6detail17trampoline_kernelINS0_14default_configENS1_38merge_sort_block_merge_config_selectorIalEEZZNS1_27merge_sort_block_merge_implIS3_PaN6thrust23THRUST_200600_302600_NS10device_ptrIlEEjNS1_19radix_merge_compareILb0ELb0EaNS0_19identity_decomposerEEEEE10hipError_tT0_T1_T2_jT3_P12ihipStream_tbPNSt15iterator_traitsISG_E10value_typeEPNSM_ISH_E10value_typeEPSI_NS1_7vsmem_tEENKUlT_SG_SH_SI_E_clIS7_S7_PlSB_EESF_SV_SG_SH_SI_EUlSV_E0_NS1_11comp_targetILNS1_3genE9ELNS1_11target_archE1100ELNS1_3gpuE3ELNS1_3repE0EEENS1_38merge_mergepath_config_static_selectorELNS0_4arch9wavefront6targetE1EEEvSH_
; %bb.0:
	.section	.rodata,"a",@progbits
	.p2align	6, 0x0
	.amdhsa_kernel _ZN7rocprim17ROCPRIM_400000_NS6detail17trampoline_kernelINS0_14default_configENS1_38merge_sort_block_merge_config_selectorIalEEZZNS1_27merge_sort_block_merge_implIS3_PaN6thrust23THRUST_200600_302600_NS10device_ptrIlEEjNS1_19radix_merge_compareILb0ELb0EaNS0_19identity_decomposerEEEEE10hipError_tT0_T1_T2_jT3_P12ihipStream_tbPNSt15iterator_traitsISG_E10value_typeEPNSM_ISH_E10value_typeEPSI_NS1_7vsmem_tEENKUlT_SG_SH_SI_E_clIS7_S7_PlSB_EESF_SV_SG_SH_SI_EUlSV_E0_NS1_11comp_targetILNS1_3genE9ELNS1_11target_archE1100ELNS1_3gpuE3ELNS1_3repE0EEENS1_38merge_mergepath_config_static_selectorELNS0_4arch9wavefront6targetE1EEEvSH_
		.amdhsa_group_segment_fixed_size 0
		.amdhsa_private_segment_fixed_size 0
		.amdhsa_kernarg_size 64
		.amdhsa_user_sgpr_count 6
		.amdhsa_user_sgpr_private_segment_buffer 1
		.amdhsa_user_sgpr_dispatch_ptr 0
		.amdhsa_user_sgpr_queue_ptr 0
		.amdhsa_user_sgpr_kernarg_segment_ptr 1
		.amdhsa_user_sgpr_dispatch_id 0
		.amdhsa_user_sgpr_flat_scratch_init 0
		.amdhsa_user_sgpr_kernarg_preload_length 0
		.amdhsa_user_sgpr_kernarg_preload_offset 0
		.amdhsa_user_sgpr_private_segment_size 0
		.amdhsa_uses_dynamic_stack 0
		.amdhsa_system_sgpr_private_segment_wavefront_offset 0
		.amdhsa_system_sgpr_workgroup_id_x 1
		.amdhsa_system_sgpr_workgroup_id_y 0
		.amdhsa_system_sgpr_workgroup_id_z 0
		.amdhsa_system_sgpr_workgroup_info 0
		.amdhsa_system_vgpr_workitem_id 0
		.amdhsa_next_free_vgpr 1
		.amdhsa_next_free_sgpr 0
		.amdhsa_accum_offset 4
		.amdhsa_reserve_vcc 0
		.amdhsa_reserve_flat_scratch 0
		.amdhsa_float_round_mode_32 0
		.amdhsa_float_round_mode_16_64 0
		.amdhsa_float_denorm_mode_32 3
		.amdhsa_float_denorm_mode_16_64 3
		.amdhsa_dx10_clamp 1
		.amdhsa_ieee_mode 1
		.amdhsa_fp16_overflow 0
		.amdhsa_tg_split 0
		.amdhsa_exception_fp_ieee_invalid_op 0
		.amdhsa_exception_fp_denorm_src 0
		.amdhsa_exception_fp_ieee_div_zero 0
		.amdhsa_exception_fp_ieee_overflow 0
		.amdhsa_exception_fp_ieee_underflow 0
		.amdhsa_exception_fp_ieee_inexact 0
		.amdhsa_exception_int_div_zero 0
	.end_amdhsa_kernel
	.section	.text._ZN7rocprim17ROCPRIM_400000_NS6detail17trampoline_kernelINS0_14default_configENS1_38merge_sort_block_merge_config_selectorIalEEZZNS1_27merge_sort_block_merge_implIS3_PaN6thrust23THRUST_200600_302600_NS10device_ptrIlEEjNS1_19radix_merge_compareILb0ELb0EaNS0_19identity_decomposerEEEEE10hipError_tT0_T1_T2_jT3_P12ihipStream_tbPNSt15iterator_traitsISG_E10value_typeEPNSM_ISH_E10value_typeEPSI_NS1_7vsmem_tEENKUlT_SG_SH_SI_E_clIS7_S7_PlSB_EESF_SV_SG_SH_SI_EUlSV_E0_NS1_11comp_targetILNS1_3genE9ELNS1_11target_archE1100ELNS1_3gpuE3ELNS1_3repE0EEENS1_38merge_mergepath_config_static_selectorELNS0_4arch9wavefront6targetE1EEEvSH_,"axG",@progbits,_ZN7rocprim17ROCPRIM_400000_NS6detail17trampoline_kernelINS0_14default_configENS1_38merge_sort_block_merge_config_selectorIalEEZZNS1_27merge_sort_block_merge_implIS3_PaN6thrust23THRUST_200600_302600_NS10device_ptrIlEEjNS1_19radix_merge_compareILb0ELb0EaNS0_19identity_decomposerEEEEE10hipError_tT0_T1_T2_jT3_P12ihipStream_tbPNSt15iterator_traitsISG_E10value_typeEPNSM_ISH_E10value_typeEPSI_NS1_7vsmem_tEENKUlT_SG_SH_SI_E_clIS7_S7_PlSB_EESF_SV_SG_SH_SI_EUlSV_E0_NS1_11comp_targetILNS1_3genE9ELNS1_11target_archE1100ELNS1_3gpuE3ELNS1_3repE0EEENS1_38merge_mergepath_config_static_selectorELNS0_4arch9wavefront6targetE1EEEvSH_,comdat
.Lfunc_end492:
	.size	_ZN7rocprim17ROCPRIM_400000_NS6detail17trampoline_kernelINS0_14default_configENS1_38merge_sort_block_merge_config_selectorIalEEZZNS1_27merge_sort_block_merge_implIS3_PaN6thrust23THRUST_200600_302600_NS10device_ptrIlEEjNS1_19radix_merge_compareILb0ELb0EaNS0_19identity_decomposerEEEEE10hipError_tT0_T1_T2_jT3_P12ihipStream_tbPNSt15iterator_traitsISG_E10value_typeEPNSM_ISH_E10value_typeEPSI_NS1_7vsmem_tEENKUlT_SG_SH_SI_E_clIS7_S7_PlSB_EESF_SV_SG_SH_SI_EUlSV_E0_NS1_11comp_targetILNS1_3genE9ELNS1_11target_archE1100ELNS1_3gpuE3ELNS1_3repE0EEENS1_38merge_mergepath_config_static_selectorELNS0_4arch9wavefront6targetE1EEEvSH_, .Lfunc_end492-_ZN7rocprim17ROCPRIM_400000_NS6detail17trampoline_kernelINS0_14default_configENS1_38merge_sort_block_merge_config_selectorIalEEZZNS1_27merge_sort_block_merge_implIS3_PaN6thrust23THRUST_200600_302600_NS10device_ptrIlEEjNS1_19radix_merge_compareILb0ELb0EaNS0_19identity_decomposerEEEEE10hipError_tT0_T1_T2_jT3_P12ihipStream_tbPNSt15iterator_traitsISG_E10value_typeEPNSM_ISH_E10value_typeEPSI_NS1_7vsmem_tEENKUlT_SG_SH_SI_E_clIS7_S7_PlSB_EESF_SV_SG_SH_SI_EUlSV_E0_NS1_11comp_targetILNS1_3genE9ELNS1_11target_archE1100ELNS1_3gpuE3ELNS1_3repE0EEENS1_38merge_mergepath_config_static_selectorELNS0_4arch9wavefront6targetE1EEEvSH_
                                        ; -- End function
	.section	.AMDGPU.csdata,"",@progbits
; Kernel info:
; codeLenInByte = 0
; NumSgprs: 4
; NumVgprs: 0
; NumAgprs: 0
; TotalNumVgprs: 0
; ScratchSize: 0
; MemoryBound: 0
; FloatMode: 240
; IeeeMode: 1
; LDSByteSize: 0 bytes/workgroup (compile time only)
; SGPRBlocks: 0
; VGPRBlocks: 0
; NumSGPRsForWavesPerEU: 4
; NumVGPRsForWavesPerEU: 1
; AccumOffset: 4
; Occupancy: 8
; WaveLimiterHint : 0
; COMPUTE_PGM_RSRC2:SCRATCH_EN: 0
; COMPUTE_PGM_RSRC2:USER_SGPR: 6
; COMPUTE_PGM_RSRC2:TRAP_HANDLER: 0
; COMPUTE_PGM_RSRC2:TGID_X_EN: 1
; COMPUTE_PGM_RSRC2:TGID_Y_EN: 0
; COMPUTE_PGM_RSRC2:TGID_Z_EN: 0
; COMPUTE_PGM_RSRC2:TIDIG_COMP_CNT: 0
; COMPUTE_PGM_RSRC3_GFX90A:ACCUM_OFFSET: 0
; COMPUTE_PGM_RSRC3_GFX90A:TG_SPLIT: 0
	.section	.text._ZN7rocprim17ROCPRIM_400000_NS6detail17trampoline_kernelINS0_14default_configENS1_38merge_sort_block_merge_config_selectorIalEEZZNS1_27merge_sort_block_merge_implIS3_PaN6thrust23THRUST_200600_302600_NS10device_ptrIlEEjNS1_19radix_merge_compareILb0ELb0EaNS0_19identity_decomposerEEEEE10hipError_tT0_T1_T2_jT3_P12ihipStream_tbPNSt15iterator_traitsISG_E10value_typeEPNSM_ISH_E10value_typeEPSI_NS1_7vsmem_tEENKUlT_SG_SH_SI_E_clIS7_S7_PlSB_EESF_SV_SG_SH_SI_EUlSV_E0_NS1_11comp_targetILNS1_3genE8ELNS1_11target_archE1030ELNS1_3gpuE2ELNS1_3repE0EEENS1_38merge_mergepath_config_static_selectorELNS0_4arch9wavefront6targetE1EEEvSH_,"axG",@progbits,_ZN7rocprim17ROCPRIM_400000_NS6detail17trampoline_kernelINS0_14default_configENS1_38merge_sort_block_merge_config_selectorIalEEZZNS1_27merge_sort_block_merge_implIS3_PaN6thrust23THRUST_200600_302600_NS10device_ptrIlEEjNS1_19radix_merge_compareILb0ELb0EaNS0_19identity_decomposerEEEEE10hipError_tT0_T1_T2_jT3_P12ihipStream_tbPNSt15iterator_traitsISG_E10value_typeEPNSM_ISH_E10value_typeEPSI_NS1_7vsmem_tEENKUlT_SG_SH_SI_E_clIS7_S7_PlSB_EESF_SV_SG_SH_SI_EUlSV_E0_NS1_11comp_targetILNS1_3genE8ELNS1_11target_archE1030ELNS1_3gpuE2ELNS1_3repE0EEENS1_38merge_mergepath_config_static_selectorELNS0_4arch9wavefront6targetE1EEEvSH_,comdat
	.protected	_ZN7rocprim17ROCPRIM_400000_NS6detail17trampoline_kernelINS0_14default_configENS1_38merge_sort_block_merge_config_selectorIalEEZZNS1_27merge_sort_block_merge_implIS3_PaN6thrust23THRUST_200600_302600_NS10device_ptrIlEEjNS1_19radix_merge_compareILb0ELb0EaNS0_19identity_decomposerEEEEE10hipError_tT0_T1_T2_jT3_P12ihipStream_tbPNSt15iterator_traitsISG_E10value_typeEPNSM_ISH_E10value_typeEPSI_NS1_7vsmem_tEENKUlT_SG_SH_SI_E_clIS7_S7_PlSB_EESF_SV_SG_SH_SI_EUlSV_E0_NS1_11comp_targetILNS1_3genE8ELNS1_11target_archE1030ELNS1_3gpuE2ELNS1_3repE0EEENS1_38merge_mergepath_config_static_selectorELNS0_4arch9wavefront6targetE1EEEvSH_ ; -- Begin function _ZN7rocprim17ROCPRIM_400000_NS6detail17trampoline_kernelINS0_14default_configENS1_38merge_sort_block_merge_config_selectorIalEEZZNS1_27merge_sort_block_merge_implIS3_PaN6thrust23THRUST_200600_302600_NS10device_ptrIlEEjNS1_19radix_merge_compareILb0ELb0EaNS0_19identity_decomposerEEEEE10hipError_tT0_T1_T2_jT3_P12ihipStream_tbPNSt15iterator_traitsISG_E10value_typeEPNSM_ISH_E10value_typeEPSI_NS1_7vsmem_tEENKUlT_SG_SH_SI_E_clIS7_S7_PlSB_EESF_SV_SG_SH_SI_EUlSV_E0_NS1_11comp_targetILNS1_3genE8ELNS1_11target_archE1030ELNS1_3gpuE2ELNS1_3repE0EEENS1_38merge_mergepath_config_static_selectorELNS0_4arch9wavefront6targetE1EEEvSH_
	.globl	_ZN7rocprim17ROCPRIM_400000_NS6detail17trampoline_kernelINS0_14default_configENS1_38merge_sort_block_merge_config_selectorIalEEZZNS1_27merge_sort_block_merge_implIS3_PaN6thrust23THRUST_200600_302600_NS10device_ptrIlEEjNS1_19radix_merge_compareILb0ELb0EaNS0_19identity_decomposerEEEEE10hipError_tT0_T1_T2_jT3_P12ihipStream_tbPNSt15iterator_traitsISG_E10value_typeEPNSM_ISH_E10value_typeEPSI_NS1_7vsmem_tEENKUlT_SG_SH_SI_E_clIS7_S7_PlSB_EESF_SV_SG_SH_SI_EUlSV_E0_NS1_11comp_targetILNS1_3genE8ELNS1_11target_archE1030ELNS1_3gpuE2ELNS1_3repE0EEENS1_38merge_mergepath_config_static_selectorELNS0_4arch9wavefront6targetE1EEEvSH_
	.p2align	8
	.type	_ZN7rocprim17ROCPRIM_400000_NS6detail17trampoline_kernelINS0_14default_configENS1_38merge_sort_block_merge_config_selectorIalEEZZNS1_27merge_sort_block_merge_implIS3_PaN6thrust23THRUST_200600_302600_NS10device_ptrIlEEjNS1_19radix_merge_compareILb0ELb0EaNS0_19identity_decomposerEEEEE10hipError_tT0_T1_T2_jT3_P12ihipStream_tbPNSt15iterator_traitsISG_E10value_typeEPNSM_ISH_E10value_typeEPSI_NS1_7vsmem_tEENKUlT_SG_SH_SI_E_clIS7_S7_PlSB_EESF_SV_SG_SH_SI_EUlSV_E0_NS1_11comp_targetILNS1_3genE8ELNS1_11target_archE1030ELNS1_3gpuE2ELNS1_3repE0EEENS1_38merge_mergepath_config_static_selectorELNS0_4arch9wavefront6targetE1EEEvSH_,@function
_ZN7rocprim17ROCPRIM_400000_NS6detail17trampoline_kernelINS0_14default_configENS1_38merge_sort_block_merge_config_selectorIalEEZZNS1_27merge_sort_block_merge_implIS3_PaN6thrust23THRUST_200600_302600_NS10device_ptrIlEEjNS1_19radix_merge_compareILb0ELb0EaNS0_19identity_decomposerEEEEE10hipError_tT0_T1_T2_jT3_P12ihipStream_tbPNSt15iterator_traitsISG_E10value_typeEPNSM_ISH_E10value_typeEPSI_NS1_7vsmem_tEENKUlT_SG_SH_SI_E_clIS7_S7_PlSB_EESF_SV_SG_SH_SI_EUlSV_E0_NS1_11comp_targetILNS1_3genE8ELNS1_11target_archE1030ELNS1_3gpuE2ELNS1_3repE0EEENS1_38merge_mergepath_config_static_selectorELNS0_4arch9wavefront6targetE1EEEvSH_: ; @_ZN7rocprim17ROCPRIM_400000_NS6detail17trampoline_kernelINS0_14default_configENS1_38merge_sort_block_merge_config_selectorIalEEZZNS1_27merge_sort_block_merge_implIS3_PaN6thrust23THRUST_200600_302600_NS10device_ptrIlEEjNS1_19radix_merge_compareILb0ELb0EaNS0_19identity_decomposerEEEEE10hipError_tT0_T1_T2_jT3_P12ihipStream_tbPNSt15iterator_traitsISG_E10value_typeEPNSM_ISH_E10value_typeEPSI_NS1_7vsmem_tEENKUlT_SG_SH_SI_E_clIS7_S7_PlSB_EESF_SV_SG_SH_SI_EUlSV_E0_NS1_11comp_targetILNS1_3genE8ELNS1_11target_archE1030ELNS1_3gpuE2ELNS1_3repE0EEENS1_38merge_mergepath_config_static_selectorELNS0_4arch9wavefront6targetE1EEEvSH_
; %bb.0:
	.section	.rodata,"a",@progbits
	.p2align	6, 0x0
	.amdhsa_kernel _ZN7rocprim17ROCPRIM_400000_NS6detail17trampoline_kernelINS0_14default_configENS1_38merge_sort_block_merge_config_selectorIalEEZZNS1_27merge_sort_block_merge_implIS3_PaN6thrust23THRUST_200600_302600_NS10device_ptrIlEEjNS1_19radix_merge_compareILb0ELb0EaNS0_19identity_decomposerEEEEE10hipError_tT0_T1_T2_jT3_P12ihipStream_tbPNSt15iterator_traitsISG_E10value_typeEPNSM_ISH_E10value_typeEPSI_NS1_7vsmem_tEENKUlT_SG_SH_SI_E_clIS7_S7_PlSB_EESF_SV_SG_SH_SI_EUlSV_E0_NS1_11comp_targetILNS1_3genE8ELNS1_11target_archE1030ELNS1_3gpuE2ELNS1_3repE0EEENS1_38merge_mergepath_config_static_selectorELNS0_4arch9wavefront6targetE1EEEvSH_
		.amdhsa_group_segment_fixed_size 0
		.amdhsa_private_segment_fixed_size 0
		.amdhsa_kernarg_size 64
		.amdhsa_user_sgpr_count 6
		.amdhsa_user_sgpr_private_segment_buffer 1
		.amdhsa_user_sgpr_dispatch_ptr 0
		.amdhsa_user_sgpr_queue_ptr 0
		.amdhsa_user_sgpr_kernarg_segment_ptr 1
		.amdhsa_user_sgpr_dispatch_id 0
		.amdhsa_user_sgpr_flat_scratch_init 0
		.amdhsa_user_sgpr_kernarg_preload_length 0
		.amdhsa_user_sgpr_kernarg_preload_offset 0
		.amdhsa_user_sgpr_private_segment_size 0
		.amdhsa_uses_dynamic_stack 0
		.amdhsa_system_sgpr_private_segment_wavefront_offset 0
		.amdhsa_system_sgpr_workgroup_id_x 1
		.amdhsa_system_sgpr_workgroup_id_y 0
		.amdhsa_system_sgpr_workgroup_id_z 0
		.amdhsa_system_sgpr_workgroup_info 0
		.amdhsa_system_vgpr_workitem_id 0
		.amdhsa_next_free_vgpr 1
		.amdhsa_next_free_sgpr 0
		.amdhsa_accum_offset 4
		.amdhsa_reserve_vcc 0
		.amdhsa_reserve_flat_scratch 0
		.amdhsa_float_round_mode_32 0
		.amdhsa_float_round_mode_16_64 0
		.amdhsa_float_denorm_mode_32 3
		.amdhsa_float_denorm_mode_16_64 3
		.amdhsa_dx10_clamp 1
		.amdhsa_ieee_mode 1
		.amdhsa_fp16_overflow 0
		.amdhsa_tg_split 0
		.amdhsa_exception_fp_ieee_invalid_op 0
		.amdhsa_exception_fp_denorm_src 0
		.amdhsa_exception_fp_ieee_div_zero 0
		.amdhsa_exception_fp_ieee_overflow 0
		.amdhsa_exception_fp_ieee_underflow 0
		.amdhsa_exception_fp_ieee_inexact 0
		.amdhsa_exception_int_div_zero 0
	.end_amdhsa_kernel
	.section	.text._ZN7rocprim17ROCPRIM_400000_NS6detail17trampoline_kernelINS0_14default_configENS1_38merge_sort_block_merge_config_selectorIalEEZZNS1_27merge_sort_block_merge_implIS3_PaN6thrust23THRUST_200600_302600_NS10device_ptrIlEEjNS1_19radix_merge_compareILb0ELb0EaNS0_19identity_decomposerEEEEE10hipError_tT0_T1_T2_jT3_P12ihipStream_tbPNSt15iterator_traitsISG_E10value_typeEPNSM_ISH_E10value_typeEPSI_NS1_7vsmem_tEENKUlT_SG_SH_SI_E_clIS7_S7_PlSB_EESF_SV_SG_SH_SI_EUlSV_E0_NS1_11comp_targetILNS1_3genE8ELNS1_11target_archE1030ELNS1_3gpuE2ELNS1_3repE0EEENS1_38merge_mergepath_config_static_selectorELNS0_4arch9wavefront6targetE1EEEvSH_,"axG",@progbits,_ZN7rocprim17ROCPRIM_400000_NS6detail17trampoline_kernelINS0_14default_configENS1_38merge_sort_block_merge_config_selectorIalEEZZNS1_27merge_sort_block_merge_implIS3_PaN6thrust23THRUST_200600_302600_NS10device_ptrIlEEjNS1_19radix_merge_compareILb0ELb0EaNS0_19identity_decomposerEEEEE10hipError_tT0_T1_T2_jT3_P12ihipStream_tbPNSt15iterator_traitsISG_E10value_typeEPNSM_ISH_E10value_typeEPSI_NS1_7vsmem_tEENKUlT_SG_SH_SI_E_clIS7_S7_PlSB_EESF_SV_SG_SH_SI_EUlSV_E0_NS1_11comp_targetILNS1_3genE8ELNS1_11target_archE1030ELNS1_3gpuE2ELNS1_3repE0EEENS1_38merge_mergepath_config_static_selectorELNS0_4arch9wavefront6targetE1EEEvSH_,comdat
.Lfunc_end493:
	.size	_ZN7rocprim17ROCPRIM_400000_NS6detail17trampoline_kernelINS0_14default_configENS1_38merge_sort_block_merge_config_selectorIalEEZZNS1_27merge_sort_block_merge_implIS3_PaN6thrust23THRUST_200600_302600_NS10device_ptrIlEEjNS1_19radix_merge_compareILb0ELb0EaNS0_19identity_decomposerEEEEE10hipError_tT0_T1_T2_jT3_P12ihipStream_tbPNSt15iterator_traitsISG_E10value_typeEPNSM_ISH_E10value_typeEPSI_NS1_7vsmem_tEENKUlT_SG_SH_SI_E_clIS7_S7_PlSB_EESF_SV_SG_SH_SI_EUlSV_E0_NS1_11comp_targetILNS1_3genE8ELNS1_11target_archE1030ELNS1_3gpuE2ELNS1_3repE0EEENS1_38merge_mergepath_config_static_selectorELNS0_4arch9wavefront6targetE1EEEvSH_, .Lfunc_end493-_ZN7rocprim17ROCPRIM_400000_NS6detail17trampoline_kernelINS0_14default_configENS1_38merge_sort_block_merge_config_selectorIalEEZZNS1_27merge_sort_block_merge_implIS3_PaN6thrust23THRUST_200600_302600_NS10device_ptrIlEEjNS1_19radix_merge_compareILb0ELb0EaNS0_19identity_decomposerEEEEE10hipError_tT0_T1_T2_jT3_P12ihipStream_tbPNSt15iterator_traitsISG_E10value_typeEPNSM_ISH_E10value_typeEPSI_NS1_7vsmem_tEENKUlT_SG_SH_SI_E_clIS7_S7_PlSB_EESF_SV_SG_SH_SI_EUlSV_E0_NS1_11comp_targetILNS1_3genE8ELNS1_11target_archE1030ELNS1_3gpuE2ELNS1_3repE0EEENS1_38merge_mergepath_config_static_selectorELNS0_4arch9wavefront6targetE1EEEvSH_
                                        ; -- End function
	.section	.AMDGPU.csdata,"",@progbits
; Kernel info:
; codeLenInByte = 0
; NumSgprs: 4
; NumVgprs: 0
; NumAgprs: 0
; TotalNumVgprs: 0
; ScratchSize: 0
; MemoryBound: 0
; FloatMode: 240
; IeeeMode: 1
; LDSByteSize: 0 bytes/workgroup (compile time only)
; SGPRBlocks: 0
; VGPRBlocks: 0
; NumSGPRsForWavesPerEU: 4
; NumVGPRsForWavesPerEU: 1
; AccumOffset: 4
; Occupancy: 8
; WaveLimiterHint : 0
; COMPUTE_PGM_RSRC2:SCRATCH_EN: 0
; COMPUTE_PGM_RSRC2:USER_SGPR: 6
; COMPUTE_PGM_RSRC2:TRAP_HANDLER: 0
; COMPUTE_PGM_RSRC2:TGID_X_EN: 1
; COMPUTE_PGM_RSRC2:TGID_Y_EN: 0
; COMPUTE_PGM_RSRC2:TGID_Z_EN: 0
; COMPUTE_PGM_RSRC2:TIDIG_COMP_CNT: 0
; COMPUTE_PGM_RSRC3_GFX90A:ACCUM_OFFSET: 0
; COMPUTE_PGM_RSRC3_GFX90A:TG_SPLIT: 0
	.section	.text._ZN7rocprim17ROCPRIM_400000_NS6detail17trampoline_kernelINS0_14default_configENS1_38merge_sort_block_merge_config_selectorIalEEZZNS1_27merge_sort_block_merge_implIS3_PaN6thrust23THRUST_200600_302600_NS10device_ptrIlEEjNS1_19radix_merge_compareILb0ELb0EaNS0_19identity_decomposerEEEEE10hipError_tT0_T1_T2_jT3_P12ihipStream_tbPNSt15iterator_traitsISG_E10value_typeEPNSM_ISH_E10value_typeEPSI_NS1_7vsmem_tEENKUlT_SG_SH_SI_E_clIS7_S7_PlSB_EESF_SV_SG_SH_SI_EUlSV_E1_NS1_11comp_targetILNS1_3genE0ELNS1_11target_archE4294967295ELNS1_3gpuE0ELNS1_3repE0EEENS1_36merge_oddeven_config_static_selectorELNS0_4arch9wavefront6targetE1EEEvSH_,"axG",@progbits,_ZN7rocprim17ROCPRIM_400000_NS6detail17trampoline_kernelINS0_14default_configENS1_38merge_sort_block_merge_config_selectorIalEEZZNS1_27merge_sort_block_merge_implIS3_PaN6thrust23THRUST_200600_302600_NS10device_ptrIlEEjNS1_19radix_merge_compareILb0ELb0EaNS0_19identity_decomposerEEEEE10hipError_tT0_T1_T2_jT3_P12ihipStream_tbPNSt15iterator_traitsISG_E10value_typeEPNSM_ISH_E10value_typeEPSI_NS1_7vsmem_tEENKUlT_SG_SH_SI_E_clIS7_S7_PlSB_EESF_SV_SG_SH_SI_EUlSV_E1_NS1_11comp_targetILNS1_3genE0ELNS1_11target_archE4294967295ELNS1_3gpuE0ELNS1_3repE0EEENS1_36merge_oddeven_config_static_selectorELNS0_4arch9wavefront6targetE1EEEvSH_,comdat
	.protected	_ZN7rocprim17ROCPRIM_400000_NS6detail17trampoline_kernelINS0_14default_configENS1_38merge_sort_block_merge_config_selectorIalEEZZNS1_27merge_sort_block_merge_implIS3_PaN6thrust23THRUST_200600_302600_NS10device_ptrIlEEjNS1_19radix_merge_compareILb0ELb0EaNS0_19identity_decomposerEEEEE10hipError_tT0_T1_T2_jT3_P12ihipStream_tbPNSt15iterator_traitsISG_E10value_typeEPNSM_ISH_E10value_typeEPSI_NS1_7vsmem_tEENKUlT_SG_SH_SI_E_clIS7_S7_PlSB_EESF_SV_SG_SH_SI_EUlSV_E1_NS1_11comp_targetILNS1_3genE0ELNS1_11target_archE4294967295ELNS1_3gpuE0ELNS1_3repE0EEENS1_36merge_oddeven_config_static_selectorELNS0_4arch9wavefront6targetE1EEEvSH_ ; -- Begin function _ZN7rocprim17ROCPRIM_400000_NS6detail17trampoline_kernelINS0_14default_configENS1_38merge_sort_block_merge_config_selectorIalEEZZNS1_27merge_sort_block_merge_implIS3_PaN6thrust23THRUST_200600_302600_NS10device_ptrIlEEjNS1_19radix_merge_compareILb0ELb0EaNS0_19identity_decomposerEEEEE10hipError_tT0_T1_T2_jT3_P12ihipStream_tbPNSt15iterator_traitsISG_E10value_typeEPNSM_ISH_E10value_typeEPSI_NS1_7vsmem_tEENKUlT_SG_SH_SI_E_clIS7_S7_PlSB_EESF_SV_SG_SH_SI_EUlSV_E1_NS1_11comp_targetILNS1_3genE0ELNS1_11target_archE4294967295ELNS1_3gpuE0ELNS1_3repE0EEENS1_36merge_oddeven_config_static_selectorELNS0_4arch9wavefront6targetE1EEEvSH_
	.globl	_ZN7rocprim17ROCPRIM_400000_NS6detail17trampoline_kernelINS0_14default_configENS1_38merge_sort_block_merge_config_selectorIalEEZZNS1_27merge_sort_block_merge_implIS3_PaN6thrust23THRUST_200600_302600_NS10device_ptrIlEEjNS1_19radix_merge_compareILb0ELb0EaNS0_19identity_decomposerEEEEE10hipError_tT0_T1_T2_jT3_P12ihipStream_tbPNSt15iterator_traitsISG_E10value_typeEPNSM_ISH_E10value_typeEPSI_NS1_7vsmem_tEENKUlT_SG_SH_SI_E_clIS7_S7_PlSB_EESF_SV_SG_SH_SI_EUlSV_E1_NS1_11comp_targetILNS1_3genE0ELNS1_11target_archE4294967295ELNS1_3gpuE0ELNS1_3repE0EEENS1_36merge_oddeven_config_static_selectorELNS0_4arch9wavefront6targetE1EEEvSH_
	.p2align	8
	.type	_ZN7rocprim17ROCPRIM_400000_NS6detail17trampoline_kernelINS0_14default_configENS1_38merge_sort_block_merge_config_selectorIalEEZZNS1_27merge_sort_block_merge_implIS3_PaN6thrust23THRUST_200600_302600_NS10device_ptrIlEEjNS1_19radix_merge_compareILb0ELb0EaNS0_19identity_decomposerEEEEE10hipError_tT0_T1_T2_jT3_P12ihipStream_tbPNSt15iterator_traitsISG_E10value_typeEPNSM_ISH_E10value_typeEPSI_NS1_7vsmem_tEENKUlT_SG_SH_SI_E_clIS7_S7_PlSB_EESF_SV_SG_SH_SI_EUlSV_E1_NS1_11comp_targetILNS1_3genE0ELNS1_11target_archE4294967295ELNS1_3gpuE0ELNS1_3repE0EEENS1_36merge_oddeven_config_static_selectorELNS0_4arch9wavefront6targetE1EEEvSH_,@function
_ZN7rocprim17ROCPRIM_400000_NS6detail17trampoline_kernelINS0_14default_configENS1_38merge_sort_block_merge_config_selectorIalEEZZNS1_27merge_sort_block_merge_implIS3_PaN6thrust23THRUST_200600_302600_NS10device_ptrIlEEjNS1_19radix_merge_compareILb0ELb0EaNS0_19identity_decomposerEEEEE10hipError_tT0_T1_T2_jT3_P12ihipStream_tbPNSt15iterator_traitsISG_E10value_typeEPNSM_ISH_E10value_typeEPSI_NS1_7vsmem_tEENKUlT_SG_SH_SI_E_clIS7_S7_PlSB_EESF_SV_SG_SH_SI_EUlSV_E1_NS1_11comp_targetILNS1_3genE0ELNS1_11target_archE4294967295ELNS1_3gpuE0ELNS1_3repE0EEENS1_36merge_oddeven_config_static_selectorELNS0_4arch9wavefront6targetE1EEEvSH_: ; @_ZN7rocprim17ROCPRIM_400000_NS6detail17trampoline_kernelINS0_14default_configENS1_38merge_sort_block_merge_config_selectorIalEEZZNS1_27merge_sort_block_merge_implIS3_PaN6thrust23THRUST_200600_302600_NS10device_ptrIlEEjNS1_19radix_merge_compareILb0ELb0EaNS0_19identity_decomposerEEEEE10hipError_tT0_T1_T2_jT3_P12ihipStream_tbPNSt15iterator_traitsISG_E10value_typeEPNSM_ISH_E10value_typeEPSI_NS1_7vsmem_tEENKUlT_SG_SH_SI_E_clIS7_S7_PlSB_EESF_SV_SG_SH_SI_EUlSV_E1_NS1_11comp_targetILNS1_3genE0ELNS1_11target_archE4294967295ELNS1_3gpuE0ELNS1_3repE0EEENS1_36merge_oddeven_config_static_selectorELNS0_4arch9wavefront6targetE1EEEvSH_
; %bb.0:
	.section	.rodata,"a",@progbits
	.p2align	6, 0x0
	.amdhsa_kernel _ZN7rocprim17ROCPRIM_400000_NS6detail17trampoline_kernelINS0_14default_configENS1_38merge_sort_block_merge_config_selectorIalEEZZNS1_27merge_sort_block_merge_implIS3_PaN6thrust23THRUST_200600_302600_NS10device_ptrIlEEjNS1_19radix_merge_compareILb0ELb0EaNS0_19identity_decomposerEEEEE10hipError_tT0_T1_T2_jT3_P12ihipStream_tbPNSt15iterator_traitsISG_E10value_typeEPNSM_ISH_E10value_typeEPSI_NS1_7vsmem_tEENKUlT_SG_SH_SI_E_clIS7_S7_PlSB_EESF_SV_SG_SH_SI_EUlSV_E1_NS1_11comp_targetILNS1_3genE0ELNS1_11target_archE4294967295ELNS1_3gpuE0ELNS1_3repE0EEENS1_36merge_oddeven_config_static_selectorELNS0_4arch9wavefront6targetE1EEEvSH_
		.amdhsa_group_segment_fixed_size 0
		.amdhsa_private_segment_fixed_size 0
		.amdhsa_kernarg_size 48
		.amdhsa_user_sgpr_count 6
		.amdhsa_user_sgpr_private_segment_buffer 1
		.amdhsa_user_sgpr_dispatch_ptr 0
		.amdhsa_user_sgpr_queue_ptr 0
		.amdhsa_user_sgpr_kernarg_segment_ptr 1
		.amdhsa_user_sgpr_dispatch_id 0
		.amdhsa_user_sgpr_flat_scratch_init 0
		.amdhsa_user_sgpr_kernarg_preload_length 0
		.amdhsa_user_sgpr_kernarg_preload_offset 0
		.amdhsa_user_sgpr_private_segment_size 0
		.amdhsa_uses_dynamic_stack 0
		.amdhsa_system_sgpr_private_segment_wavefront_offset 0
		.amdhsa_system_sgpr_workgroup_id_x 1
		.amdhsa_system_sgpr_workgroup_id_y 0
		.amdhsa_system_sgpr_workgroup_id_z 0
		.amdhsa_system_sgpr_workgroup_info 0
		.amdhsa_system_vgpr_workitem_id 0
		.amdhsa_next_free_vgpr 1
		.amdhsa_next_free_sgpr 0
		.amdhsa_accum_offset 4
		.amdhsa_reserve_vcc 0
		.amdhsa_reserve_flat_scratch 0
		.amdhsa_float_round_mode_32 0
		.amdhsa_float_round_mode_16_64 0
		.amdhsa_float_denorm_mode_32 3
		.amdhsa_float_denorm_mode_16_64 3
		.amdhsa_dx10_clamp 1
		.amdhsa_ieee_mode 1
		.amdhsa_fp16_overflow 0
		.amdhsa_tg_split 0
		.amdhsa_exception_fp_ieee_invalid_op 0
		.amdhsa_exception_fp_denorm_src 0
		.amdhsa_exception_fp_ieee_div_zero 0
		.amdhsa_exception_fp_ieee_overflow 0
		.amdhsa_exception_fp_ieee_underflow 0
		.amdhsa_exception_fp_ieee_inexact 0
		.amdhsa_exception_int_div_zero 0
	.end_amdhsa_kernel
	.section	.text._ZN7rocprim17ROCPRIM_400000_NS6detail17trampoline_kernelINS0_14default_configENS1_38merge_sort_block_merge_config_selectorIalEEZZNS1_27merge_sort_block_merge_implIS3_PaN6thrust23THRUST_200600_302600_NS10device_ptrIlEEjNS1_19radix_merge_compareILb0ELb0EaNS0_19identity_decomposerEEEEE10hipError_tT0_T1_T2_jT3_P12ihipStream_tbPNSt15iterator_traitsISG_E10value_typeEPNSM_ISH_E10value_typeEPSI_NS1_7vsmem_tEENKUlT_SG_SH_SI_E_clIS7_S7_PlSB_EESF_SV_SG_SH_SI_EUlSV_E1_NS1_11comp_targetILNS1_3genE0ELNS1_11target_archE4294967295ELNS1_3gpuE0ELNS1_3repE0EEENS1_36merge_oddeven_config_static_selectorELNS0_4arch9wavefront6targetE1EEEvSH_,"axG",@progbits,_ZN7rocprim17ROCPRIM_400000_NS6detail17trampoline_kernelINS0_14default_configENS1_38merge_sort_block_merge_config_selectorIalEEZZNS1_27merge_sort_block_merge_implIS3_PaN6thrust23THRUST_200600_302600_NS10device_ptrIlEEjNS1_19radix_merge_compareILb0ELb0EaNS0_19identity_decomposerEEEEE10hipError_tT0_T1_T2_jT3_P12ihipStream_tbPNSt15iterator_traitsISG_E10value_typeEPNSM_ISH_E10value_typeEPSI_NS1_7vsmem_tEENKUlT_SG_SH_SI_E_clIS7_S7_PlSB_EESF_SV_SG_SH_SI_EUlSV_E1_NS1_11comp_targetILNS1_3genE0ELNS1_11target_archE4294967295ELNS1_3gpuE0ELNS1_3repE0EEENS1_36merge_oddeven_config_static_selectorELNS0_4arch9wavefront6targetE1EEEvSH_,comdat
.Lfunc_end494:
	.size	_ZN7rocprim17ROCPRIM_400000_NS6detail17trampoline_kernelINS0_14default_configENS1_38merge_sort_block_merge_config_selectorIalEEZZNS1_27merge_sort_block_merge_implIS3_PaN6thrust23THRUST_200600_302600_NS10device_ptrIlEEjNS1_19radix_merge_compareILb0ELb0EaNS0_19identity_decomposerEEEEE10hipError_tT0_T1_T2_jT3_P12ihipStream_tbPNSt15iterator_traitsISG_E10value_typeEPNSM_ISH_E10value_typeEPSI_NS1_7vsmem_tEENKUlT_SG_SH_SI_E_clIS7_S7_PlSB_EESF_SV_SG_SH_SI_EUlSV_E1_NS1_11comp_targetILNS1_3genE0ELNS1_11target_archE4294967295ELNS1_3gpuE0ELNS1_3repE0EEENS1_36merge_oddeven_config_static_selectorELNS0_4arch9wavefront6targetE1EEEvSH_, .Lfunc_end494-_ZN7rocprim17ROCPRIM_400000_NS6detail17trampoline_kernelINS0_14default_configENS1_38merge_sort_block_merge_config_selectorIalEEZZNS1_27merge_sort_block_merge_implIS3_PaN6thrust23THRUST_200600_302600_NS10device_ptrIlEEjNS1_19radix_merge_compareILb0ELb0EaNS0_19identity_decomposerEEEEE10hipError_tT0_T1_T2_jT3_P12ihipStream_tbPNSt15iterator_traitsISG_E10value_typeEPNSM_ISH_E10value_typeEPSI_NS1_7vsmem_tEENKUlT_SG_SH_SI_E_clIS7_S7_PlSB_EESF_SV_SG_SH_SI_EUlSV_E1_NS1_11comp_targetILNS1_3genE0ELNS1_11target_archE4294967295ELNS1_3gpuE0ELNS1_3repE0EEENS1_36merge_oddeven_config_static_selectorELNS0_4arch9wavefront6targetE1EEEvSH_
                                        ; -- End function
	.section	.AMDGPU.csdata,"",@progbits
; Kernel info:
; codeLenInByte = 0
; NumSgprs: 4
; NumVgprs: 0
; NumAgprs: 0
; TotalNumVgprs: 0
; ScratchSize: 0
; MemoryBound: 0
; FloatMode: 240
; IeeeMode: 1
; LDSByteSize: 0 bytes/workgroup (compile time only)
; SGPRBlocks: 0
; VGPRBlocks: 0
; NumSGPRsForWavesPerEU: 4
; NumVGPRsForWavesPerEU: 1
; AccumOffset: 4
; Occupancy: 8
; WaveLimiterHint : 0
; COMPUTE_PGM_RSRC2:SCRATCH_EN: 0
; COMPUTE_PGM_RSRC2:USER_SGPR: 6
; COMPUTE_PGM_RSRC2:TRAP_HANDLER: 0
; COMPUTE_PGM_RSRC2:TGID_X_EN: 1
; COMPUTE_PGM_RSRC2:TGID_Y_EN: 0
; COMPUTE_PGM_RSRC2:TGID_Z_EN: 0
; COMPUTE_PGM_RSRC2:TIDIG_COMP_CNT: 0
; COMPUTE_PGM_RSRC3_GFX90A:ACCUM_OFFSET: 0
; COMPUTE_PGM_RSRC3_GFX90A:TG_SPLIT: 0
	.section	.text._ZN7rocprim17ROCPRIM_400000_NS6detail17trampoline_kernelINS0_14default_configENS1_38merge_sort_block_merge_config_selectorIalEEZZNS1_27merge_sort_block_merge_implIS3_PaN6thrust23THRUST_200600_302600_NS10device_ptrIlEEjNS1_19radix_merge_compareILb0ELb0EaNS0_19identity_decomposerEEEEE10hipError_tT0_T1_T2_jT3_P12ihipStream_tbPNSt15iterator_traitsISG_E10value_typeEPNSM_ISH_E10value_typeEPSI_NS1_7vsmem_tEENKUlT_SG_SH_SI_E_clIS7_S7_PlSB_EESF_SV_SG_SH_SI_EUlSV_E1_NS1_11comp_targetILNS1_3genE10ELNS1_11target_archE1201ELNS1_3gpuE5ELNS1_3repE0EEENS1_36merge_oddeven_config_static_selectorELNS0_4arch9wavefront6targetE1EEEvSH_,"axG",@progbits,_ZN7rocprim17ROCPRIM_400000_NS6detail17trampoline_kernelINS0_14default_configENS1_38merge_sort_block_merge_config_selectorIalEEZZNS1_27merge_sort_block_merge_implIS3_PaN6thrust23THRUST_200600_302600_NS10device_ptrIlEEjNS1_19radix_merge_compareILb0ELb0EaNS0_19identity_decomposerEEEEE10hipError_tT0_T1_T2_jT3_P12ihipStream_tbPNSt15iterator_traitsISG_E10value_typeEPNSM_ISH_E10value_typeEPSI_NS1_7vsmem_tEENKUlT_SG_SH_SI_E_clIS7_S7_PlSB_EESF_SV_SG_SH_SI_EUlSV_E1_NS1_11comp_targetILNS1_3genE10ELNS1_11target_archE1201ELNS1_3gpuE5ELNS1_3repE0EEENS1_36merge_oddeven_config_static_selectorELNS0_4arch9wavefront6targetE1EEEvSH_,comdat
	.protected	_ZN7rocprim17ROCPRIM_400000_NS6detail17trampoline_kernelINS0_14default_configENS1_38merge_sort_block_merge_config_selectorIalEEZZNS1_27merge_sort_block_merge_implIS3_PaN6thrust23THRUST_200600_302600_NS10device_ptrIlEEjNS1_19radix_merge_compareILb0ELb0EaNS0_19identity_decomposerEEEEE10hipError_tT0_T1_T2_jT3_P12ihipStream_tbPNSt15iterator_traitsISG_E10value_typeEPNSM_ISH_E10value_typeEPSI_NS1_7vsmem_tEENKUlT_SG_SH_SI_E_clIS7_S7_PlSB_EESF_SV_SG_SH_SI_EUlSV_E1_NS1_11comp_targetILNS1_3genE10ELNS1_11target_archE1201ELNS1_3gpuE5ELNS1_3repE0EEENS1_36merge_oddeven_config_static_selectorELNS0_4arch9wavefront6targetE1EEEvSH_ ; -- Begin function _ZN7rocprim17ROCPRIM_400000_NS6detail17trampoline_kernelINS0_14default_configENS1_38merge_sort_block_merge_config_selectorIalEEZZNS1_27merge_sort_block_merge_implIS3_PaN6thrust23THRUST_200600_302600_NS10device_ptrIlEEjNS1_19radix_merge_compareILb0ELb0EaNS0_19identity_decomposerEEEEE10hipError_tT0_T1_T2_jT3_P12ihipStream_tbPNSt15iterator_traitsISG_E10value_typeEPNSM_ISH_E10value_typeEPSI_NS1_7vsmem_tEENKUlT_SG_SH_SI_E_clIS7_S7_PlSB_EESF_SV_SG_SH_SI_EUlSV_E1_NS1_11comp_targetILNS1_3genE10ELNS1_11target_archE1201ELNS1_3gpuE5ELNS1_3repE0EEENS1_36merge_oddeven_config_static_selectorELNS0_4arch9wavefront6targetE1EEEvSH_
	.globl	_ZN7rocprim17ROCPRIM_400000_NS6detail17trampoline_kernelINS0_14default_configENS1_38merge_sort_block_merge_config_selectorIalEEZZNS1_27merge_sort_block_merge_implIS3_PaN6thrust23THRUST_200600_302600_NS10device_ptrIlEEjNS1_19radix_merge_compareILb0ELb0EaNS0_19identity_decomposerEEEEE10hipError_tT0_T1_T2_jT3_P12ihipStream_tbPNSt15iterator_traitsISG_E10value_typeEPNSM_ISH_E10value_typeEPSI_NS1_7vsmem_tEENKUlT_SG_SH_SI_E_clIS7_S7_PlSB_EESF_SV_SG_SH_SI_EUlSV_E1_NS1_11comp_targetILNS1_3genE10ELNS1_11target_archE1201ELNS1_3gpuE5ELNS1_3repE0EEENS1_36merge_oddeven_config_static_selectorELNS0_4arch9wavefront6targetE1EEEvSH_
	.p2align	8
	.type	_ZN7rocprim17ROCPRIM_400000_NS6detail17trampoline_kernelINS0_14default_configENS1_38merge_sort_block_merge_config_selectorIalEEZZNS1_27merge_sort_block_merge_implIS3_PaN6thrust23THRUST_200600_302600_NS10device_ptrIlEEjNS1_19radix_merge_compareILb0ELb0EaNS0_19identity_decomposerEEEEE10hipError_tT0_T1_T2_jT3_P12ihipStream_tbPNSt15iterator_traitsISG_E10value_typeEPNSM_ISH_E10value_typeEPSI_NS1_7vsmem_tEENKUlT_SG_SH_SI_E_clIS7_S7_PlSB_EESF_SV_SG_SH_SI_EUlSV_E1_NS1_11comp_targetILNS1_3genE10ELNS1_11target_archE1201ELNS1_3gpuE5ELNS1_3repE0EEENS1_36merge_oddeven_config_static_selectorELNS0_4arch9wavefront6targetE1EEEvSH_,@function
_ZN7rocprim17ROCPRIM_400000_NS6detail17trampoline_kernelINS0_14default_configENS1_38merge_sort_block_merge_config_selectorIalEEZZNS1_27merge_sort_block_merge_implIS3_PaN6thrust23THRUST_200600_302600_NS10device_ptrIlEEjNS1_19radix_merge_compareILb0ELb0EaNS0_19identity_decomposerEEEEE10hipError_tT0_T1_T2_jT3_P12ihipStream_tbPNSt15iterator_traitsISG_E10value_typeEPNSM_ISH_E10value_typeEPSI_NS1_7vsmem_tEENKUlT_SG_SH_SI_E_clIS7_S7_PlSB_EESF_SV_SG_SH_SI_EUlSV_E1_NS1_11comp_targetILNS1_3genE10ELNS1_11target_archE1201ELNS1_3gpuE5ELNS1_3repE0EEENS1_36merge_oddeven_config_static_selectorELNS0_4arch9wavefront6targetE1EEEvSH_: ; @_ZN7rocprim17ROCPRIM_400000_NS6detail17trampoline_kernelINS0_14default_configENS1_38merge_sort_block_merge_config_selectorIalEEZZNS1_27merge_sort_block_merge_implIS3_PaN6thrust23THRUST_200600_302600_NS10device_ptrIlEEjNS1_19radix_merge_compareILb0ELb0EaNS0_19identity_decomposerEEEEE10hipError_tT0_T1_T2_jT3_P12ihipStream_tbPNSt15iterator_traitsISG_E10value_typeEPNSM_ISH_E10value_typeEPSI_NS1_7vsmem_tEENKUlT_SG_SH_SI_E_clIS7_S7_PlSB_EESF_SV_SG_SH_SI_EUlSV_E1_NS1_11comp_targetILNS1_3genE10ELNS1_11target_archE1201ELNS1_3gpuE5ELNS1_3repE0EEENS1_36merge_oddeven_config_static_selectorELNS0_4arch9wavefront6targetE1EEEvSH_
; %bb.0:
	.section	.rodata,"a",@progbits
	.p2align	6, 0x0
	.amdhsa_kernel _ZN7rocprim17ROCPRIM_400000_NS6detail17trampoline_kernelINS0_14default_configENS1_38merge_sort_block_merge_config_selectorIalEEZZNS1_27merge_sort_block_merge_implIS3_PaN6thrust23THRUST_200600_302600_NS10device_ptrIlEEjNS1_19radix_merge_compareILb0ELb0EaNS0_19identity_decomposerEEEEE10hipError_tT0_T1_T2_jT3_P12ihipStream_tbPNSt15iterator_traitsISG_E10value_typeEPNSM_ISH_E10value_typeEPSI_NS1_7vsmem_tEENKUlT_SG_SH_SI_E_clIS7_S7_PlSB_EESF_SV_SG_SH_SI_EUlSV_E1_NS1_11comp_targetILNS1_3genE10ELNS1_11target_archE1201ELNS1_3gpuE5ELNS1_3repE0EEENS1_36merge_oddeven_config_static_selectorELNS0_4arch9wavefront6targetE1EEEvSH_
		.amdhsa_group_segment_fixed_size 0
		.amdhsa_private_segment_fixed_size 0
		.amdhsa_kernarg_size 48
		.amdhsa_user_sgpr_count 6
		.amdhsa_user_sgpr_private_segment_buffer 1
		.amdhsa_user_sgpr_dispatch_ptr 0
		.amdhsa_user_sgpr_queue_ptr 0
		.amdhsa_user_sgpr_kernarg_segment_ptr 1
		.amdhsa_user_sgpr_dispatch_id 0
		.amdhsa_user_sgpr_flat_scratch_init 0
		.amdhsa_user_sgpr_kernarg_preload_length 0
		.amdhsa_user_sgpr_kernarg_preload_offset 0
		.amdhsa_user_sgpr_private_segment_size 0
		.amdhsa_uses_dynamic_stack 0
		.amdhsa_system_sgpr_private_segment_wavefront_offset 0
		.amdhsa_system_sgpr_workgroup_id_x 1
		.amdhsa_system_sgpr_workgroup_id_y 0
		.amdhsa_system_sgpr_workgroup_id_z 0
		.amdhsa_system_sgpr_workgroup_info 0
		.amdhsa_system_vgpr_workitem_id 0
		.amdhsa_next_free_vgpr 1
		.amdhsa_next_free_sgpr 0
		.amdhsa_accum_offset 4
		.amdhsa_reserve_vcc 0
		.amdhsa_reserve_flat_scratch 0
		.amdhsa_float_round_mode_32 0
		.amdhsa_float_round_mode_16_64 0
		.amdhsa_float_denorm_mode_32 3
		.amdhsa_float_denorm_mode_16_64 3
		.amdhsa_dx10_clamp 1
		.amdhsa_ieee_mode 1
		.amdhsa_fp16_overflow 0
		.amdhsa_tg_split 0
		.amdhsa_exception_fp_ieee_invalid_op 0
		.amdhsa_exception_fp_denorm_src 0
		.amdhsa_exception_fp_ieee_div_zero 0
		.amdhsa_exception_fp_ieee_overflow 0
		.amdhsa_exception_fp_ieee_underflow 0
		.amdhsa_exception_fp_ieee_inexact 0
		.amdhsa_exception_int_div_zero 0
	.end_amdhsa_kernel
	.section	.text._ZN7rocprim17ROCPRIM_400000_NS6detail17trampoline_kernelINS0_14default_configENS1_38merge_sort_block_merge_config_selectorIalEEZZNS1_27merge_sort_block_merge_implIS3_PaN6thrust23THRUST_200600_302600_NS10device_ptrIlEEjNS1_19radix_merge_compareILb0ELb0EaNS0_19identity_decomposerEEEEE10hipError_tT0_T1_T2_jT3_P12ihipStream_tbPNSt15iterator_traitsISG_E10value_typeEPNSM_ISH_E10value_typeEPSI_NS1_7vsmem_tEENKUlT_SG_SH_SI_E_clIS7_S7_PlSB_EESF_SV_SG_SH_SI_EUlSV_E1_NS1_11comp_targetILNS1_3genE10ELNS1_11target_archE1201ELNS1_3gpuE5ELNS1_3repE0EEENS1_36merge_oddeven_config_static_selectorELNS0_4arch9wavefront6targetE1EEEvSH_,"axG",@progbits,_ZN7rocprim17ROCPRIM_400000_NS6detail17trampoline_kernelINS0_14default_configENS1_38merge_sort_block_merge_config_selectorIalEEZZNS1_27merge_sort_block_merge_implIS3_PaN6thrust23THRUST_200600_302600_NS10device_ptrIlEEjNS1_19radix_merge_compareILb0ELb0EaNS0_19identity_decomposerEEEEE10hipError_tT0_T1_T2_jT3_P12ihipStream_tbPNSt15iterator_traitsISG_E10value_typeEPNSM_ISH_E10value_typeEPSI_NS1_7vsmem_tEENKUlT_SG_SH_SI_E_clIS7_S7_PlSB_EESF_SV_SG_SH_SI_EUlSV_E1_NS1_11comp_targetILNS1_3genE10ELNS1_11target_archE1201ELNS1_3gpuE5ELNS1_3repE0EEENS1_36merge_oddeven_config_static_selectorELNS0_4arch9wavefront6targetE1EEEvSH_,comdat
.Lfunc_end495:
	.size	_ZN7rocprim17ROCPRIM_400000_NS6detail17trampoline_kernelINS0_14default_configENS1_38merge_sort_block_merge_config_selectorIalEEZZNS1_27merge_sort_block_merge_implIS3_PaN6thrust23THRUST_200600_302600_NS10device_ptrIlEEjNS1_19radix_merge_compareILb0ELb0EaNS0_19identity_decomposerEEEEE10hipError_tT0_T1_T2_jT3_P12ihipStream_tbPNSt15iterator_traitsISG_E10value_typeEPNSM_ISH_E10value_typeEPSI_NS1_7vsmem_tEENKUlT_SG_SH_SI_E_clIS7_S7_PlSB_EESF_SV_SG_SH_SI_EUlSV_E1_NS1_11comp_targetILNS1_3genE10ELNS1_11target_archE1201ELNS1_3gpuE5ELNS1_3repE0EEENS1_36merge_oddeven_config_static_selectorELNS0_4arch9wavefront6targetE1EEEvSH_, .Lfunc_end495-_ZN7rocprim17ROCPRIM_400000_NS6detail17trampoline_kernelINS0_14default_configENS1_38merge_sort_block_merge_config_selectorIalEEZZNS1_27merge_sort_block_merge_implIS3_PaN6thrust23THRUST_200600_302600_NS10device_ptrIlEEjNS1_19radix_merge_compareILb0ELb0EaNS0_19identity_decomposerEEEEE10hipError_tT0_T1_T2_jT3_P12ihipStream_tbPNSt15iterator_traitsISG_E10value_typeEPNSM_ISH_E10value_typeEPSI_NS1_7vsmem_tEENKUlT_SG_SH_SI_E_clIS7_S7_PlSB_EESF_SV_SG_SH_SI_EUlSV_E1_NS1_11comp_targetILNS1_3genE10ELNS1_11target_archE1201ELNS1_3gpuE5ELNS1_3repE0EEENS1_36merge_oddeven_config_static_selectorELNS0_4arch9wavefront6targetE1EEEvSH_
                                        ; -- End function
	.section	.AMDGPU.csdata,"",@progbits
; Kernel info:
; codeLenInByte = 0
; NumSgprs: 4
; NumVgprs: 0
; NumAgprs: 0
; TotalNumVgprs: 0
; ScratchSize: 0
; MemoryBound: 0
; FloatMode: 240
; IeeeMode: 1
; LDSByteSize: 0 bytes/workgroup (compile time only)
; SGPRBlocks: 0
; VGPRBlocks: 0
; NumSGPRsForWavesPerEU: 4
; NumVGPRsForWavesPerEU: 1
; AccumOffset: 4
; Occupancy: 8
; WaveLimiterHint : 0
; COMPUTE_PGM_RSRC2:SCRATCH_EN: 0
; COMPUTE_PGM_RSRC2:USER_SGPR: 6
; COMPUTE_PGM_RSRC2:TRAP_HANDLER: 0
; COMPUTE_PGM_RSRC2:TGID_X_EN: 1
; COMPUTE_PGM_RSRC2:TGID_Y_EN: 0
; COMPUTE_PGM_RSRC2:TGID_Z_EN: 0
; COMPUTE_PGM_RSRC2:TIDIG_COMP_CNT: 0
; COMPUTE_PGM_RSRC3_GFX90A:ACCUM_OFFSET: 0
; COMPUTE_PGM_RSRC3_GFX90A:TG_SPLIT: 0
	.section	.text._ZN7rocprim17ROCPRIM_400000_NS6detail17trampoline_kernelINS0_14default_configENS1_38merge_sort_block_merge_config_selectorIalEEZZNS1_27merge_sort_block_merge_implIS3_PaN6thrust23THRUST_200600_302600_NS10device_ptrIlEEjNS1_19radix_merge_compareILb0ELb0EaNS0_19identity_decomposerEEEEE10hipError_tT0_T1_T2_jT3_P12ihipStream_tbPNSt15iterator_traitsISG_E10value_typeEPNSM_ISH_E10value_typeEPSI_NS1_7vsmem_tEENKUlT_SG_SH_SI_E_clIS7_S7_PlSB_EESF_SV_SG_SH_SI_EUlSV_E1_NS1_11comp_targetILNS1_3genE5ELNS1_11target_archE942ELNS1_3gpuE9ELNS1_3repE0EEENS1_36merge_oddeven_config_static_selectorELNS0_4arch9wavefront6targetE1EEEvSH_,"axG",@progbits,_ZN7rocprim17ROCPRIM_400000_NS6detail17trampoline_kernelINS0_14default_configENS1_38merge_sort_block_merge_config_selectorIalEEZZNS1_27merge_sort_block_merge_implIS3_PaN6thrust23THRUST_200600_302600_NS10device_ptrIlEEjNS1_19radix_merge_compareILb0ELb0EaNS0_19identity_decomposerEEEEE10hipError_tT0_T1_T2_jT3_P12ihipStream_tbPNSt15iterator_traitsISG_E10value_typeEPNSM_ISH_E10value_typeEPSI_NS1_7vsmem_tEENKUlT_SG_SH_SI_E_clIS7_S7_PlSB_EESF_SV_SG_SH_SI_EUlSV_E1_NS1_11comp_targetILNS1_3genE5ELNS1_11target_archE942ELNS1_3gpuE9ELNS1_3repE0EEENS1_36merge_oddeven_config_static_selectorELNS0_4arch9wavefront6targetE1EEEvSH_,comdat
	.protected	_ZN7rocprim17ROCPRIM_400000_NS6detail17trampoline_kernelINS0_14default_configENS1_38merge_sort_block_merge_config_selectorIalEEZZNS1_27merge_sort_block_merge_implIS3_PaN6thrust23THRUST_200600_302600_NS10device_ptrIlEEjNS1_19radix_merge_compareILb0ELb0EaNS0_19identity_decomposerEEEEE10hipError_tT0_T1_T2_jT3_P12ihipStream_tbPNSt15iterator_traitsISG_E10value_typeEPNSM_ISH_E10value_typeEPSI_NS1_7vsmem_tEENKUlT_SG_SH_SI_E_clIS7_S7_PlSB_EESF_SV_SG_SH_SI_EUlSV_E1_NS1_11comp_targetILNS1_3genE5ELNS1_11target_archE942ELNS1_3gpuE9ELNS1_3repE0EEENS1_36merge_oddeven_config_static_selectorELNS0_4arch9wavefront6targetE1EEEvSH_ ; -- Begin function _ZN7rocprim17ROCPRIM_400000_NS6detail17trampoline_kernelINS0_14default_configENS1_38merge_sort_block_merge_config_selectorIalEEZZNS1_27merge_sort_block_merge_implIS3_PaN6thrust23THRUST_200600_302600_NS10device_ptrIlEEjNS1_19radix_merge_compareILb0ELb0EaNS0_19identity_decomposerEEEEE10hipError_tT0_T1_T2_jT3_P12ihipStream_tbPNSt15iterator_traitsISG_E10value_typeEPNSM_ISH_E10value_typeEPSI_NS1_7vsmem_tEENKUlT_SG_SH_SI_E_clIS7_S7_PlSB_EESF_SV_SG_SH_SI_EUlSV_E1_NS1_11comp_targetILNS1_3genE5ELNS1_11target_archE942ELNS1_3gpuE9ELNS1_3repE0EEENS1_36merge_oddeven_config_static_selectorELNS0_4arch9wavefront6targetE1EEEvSH_
	.globl	_ZN7rocprim17ROCPRIM_400000_NS6detail17trampoline_kernelINS0_14default_configENS1_38merge_sort_block_merge_config_selectorIalEEZZNS1_27merge_sort_block_merge_implIS3_PaN6thrust23THRUST_200600_302600_NS10device_ptrIlEEjNS1_19radix_merge_compareILb0ELb0EaNS0_19identity_decomposerEEEEE10hipError_tT0_T1_T2_jT3_P12ihipStream_tbPNSt15iterator_traitsISG_E10value_typeEPNSM_ISH_E10value_typeEPSI_NS1_7vsmem_tEENKUlT_SG_SH_SI_E_clIS7_S7_PlSB_EESF_SV_SG_SH_SI_EUlSV_E1_NS1_11comp_targetILNS1_3genE5ELNS1_11target_archE942ELNS1_3gpuE9ELNS1_3repE0EEENS1_36merge_oddeven_config_static_selectorELNS0_4arch9wavefront6targetE1EEEvSH_
	.p2align	8
	.type	_ZN7rocprim17ROCPRIM_400000_NS6detail17trampoline_kernelINS0_14default_configENS1_38merge_sort_block_merge_config_selectorIalEEZZNS1_27merge_sort_block_merge_implIS3_PaN6thrust23THRUST_200600_302600_NS10device_ptrIlEEjNS1_19radix_merge_compareILb0ELb0EaNS0_19identity_decomposerEEEEE10hipError_tT0_T1_T2_jT3_P12ihipStream_tbPNSt15iterator_traitsISG_E10value_typeEPNSM_ISH_E10value_typeEPSI_NS1_7vsmem_tEENKUlT_SG_SH_SI_E_clIS7_S7_PlSB_EESF_SV_SG_SH_SI_EUlSV_E1_NS1_11comp_targetILNS1_3genE5ELNS1_11target_archE942ELNS1_3gpuE9ELNS1_3repE0EEENS1_36merge_oddeven_config_static_selectorELNS0_4arch9wavefront6targetE1EEEvSH_,@function
_ZN7rocprim17ROCPRIM_400000_NS6detail17trampoline_kernelINS0_14default_configENS1_38merge_sort_block_merge_config_selectorIalEEZZNS1_27merge_sort_block_merge_implIS3_PaN6thrust23THRUST_200600_302600_NS10device_ptrIlEEjNS1_19radix_merge_compareILb0ELb0EaNS0_19identity_decomposerEEEEE10hipError_tT0_T1_T2_jT3_P12ihipStream_tbPNSt15iterator_traitsISG_E10value_typeEPNSM_ISH_E10value_typeEPSI_NS1_7vsmem_tEENKUlT_SG_SH_SI_E_clIS7_S7_PlSB_EESF_SV_SG_SH_SI_EUlSV_E1_NS1_11comp_targetILNS1_3genE5ELNS1_11target_archE942ELNS1_3gpuE9ELNS1_3repE0EEENS1_36merge_oddeven_config_static_selectorELNS0_4arch9wavefront6targetE1EEEvSH_: ; @_ZN7rocprim17ROCPRIM_400000_NS6detail17trampoline_kernelINS0_14default_configENS1_38merge_sort_block_merge_config_selectorIalEEZZNS1_27merge_sort_block_merge_implIS3_PaN6thrust23THRUST_200600_302600_NS10device_ptrIlEEjNS1_19radix_merge_compareILb0ELb0EaNS0_19identity_decomposerEEEEE10hipError_tT0_T1_T2_jT3_P12ihipStream_tbPNSt15iterator_traitsISG_E10value_typeEPNSM_ISH_E10value_typeEPSI_NS1_7vsmem_tEENKUlT_SG_SH_SI_E_clIS7_S7_PlSB_EESF_SV_SG_SH_SI_EUlSV_E1_NS1_11comp_targetILNS1_3genE5ELNS1_11target_archE942ELNS1_3gpuE9ELNS1_3repE0EEENS1_36merge_oddeven_config_static_selectorELNS0_4arch9wavefront6targetE1EEEvSH_
; %bb.0:
	.section	.rodata,"a",@progbits
	.p2align	6, 0x0
	.amdhsa_kernel _ZN7rocprim17ROCPRIM_400000_NS6detail17trampoline_kernelINS0_14default_configENS1_38merge_sort_block_merge_config_selectorIalEEZZNS1_27merge_sort_block_merge_implIS3_PaN6thrust23THRUST_200600_302600_NS10device_ptrIlEEjNS1_19radix_merge_compareILb0ELb0EaNS0_19identity_decomposerEEEEE10hipError_tT0_T1_T2_jT3_P12ihipStream_tbPNSt15iterator_traitsISG_E10value_typeEPNSM_ISH_E10value_typeEPSI_NS1_7vsmem_tEENKUlT_SG_SH_SI_E_clIS7_S7_PlSB_EESF_SV_SG_SH_SI_EUlSV_E1_NS1_11comp_targetILNS1_3genE5ELNS1_11target_archE942ELNS1_3gpuE9ELNS1_3repE0EEENS1_36merge_oddeven_config_static_selectorELNS0_4arch9wavefront6targetE1EEEvSH_
		.amdhsa_group_segment_fixed_size 0
		.amdhsa_private_segment_fixed_size 0
		.amdhsa_kernarg_size 48
		.amdhsa_user_sgpr_count 6
		.amdhsa_user_sgpr_private_segment_buffer 1
		.amdhsa_user_sgpr_dispatch_ptr 0
		.amdhsa_user_sgpr_queue_ptr 0
		.amdhsa_user_sgpr_kernarg_segment_ptr 1
		.amdhsa_user_sgpr_dispatch_id 0
		.amdhsa_user_sgpr_flat_scratch_init 0
		.amdhsa_user_sgpr_kernarg_preload_length 0
		.amdhsa_user_sgpr_kernarg_preload_offset 0
		.amdhsa_user_sgpr_private_segment_size 0
		.amdhsa_uses_dynamic_stack 0
		.amdhsa_system_sgpr_private_segment_wavefront_offset 0
		.amdhsa_system_sgpr_workgroup_id_x 1
		.amdhsa_system_sgpr_workgroup_id_y 0
		.amdhsa_system_sgpr_workgroup_id_z 0
		.amdhsa_system_sgpr_workgroup_info 0
		.amdhsa_system_vgpr_workitem_id 0
		.amdhsa_next_free_vgpr 1
		.amdhsa_next_free_sgpr 0
		.amdhsa_accum_offset 4
		.amdhsa_reserve_vcc 0
		.amdhsa_reserve_flat_scratch 0
		.amdhsa_float_round_mode_32 0
		.amdhsa_float_round_mode_16_64 0
		.amdhsa_float_denorm_mode_32 3
		.amdhsa_float_denorm_mode_16_64 3
		.amdhsa_dx10_clamp 1
		.amdhsa_ieee_mode 1
		.amdhsa_fp16_overflow 0
		.amdhsa_tg_split 0
		.amdhsa_exception_fp_ieee_invalid_op 0
		.amdhsa_exception_fp_denorm_src 0
		.amdhsa_exception_fp_ieee_div_zero 0
		.amdhsa_exception_fp_ieee_overflow 0
		.amdhsa_exception_fp_ieee_underflow 0
		.amdhsa_exception_fp_ieee_inexact 0
		.amdhsa_exception_int_div_zero 0
	.end_amdhsa_kernel
	.section	.text._ZN7rocprim17ROCPRIM_400000_NS6detail17trampoline_kernelINS0_14default_configENS1_38merge_sort_block_merge_config_selectorIalEEZZNS1_27merge_sort_block_merge_implIS3_PaN6thrust23THRUST_200600_302600_NS10device_ptrIlEEjNS1_19radix_merge_compareILb0ELb0EaNS0_19identity_decomposerEEEEE10hipError_tT0_T1_T2_jT3_P12ihipStream_tbPNSt15iterator_traitsISG_E10value_typeEPNSM_ISH_E10value_typeEPSI_NS1_7vsmem_tEENKUlT_SG_SH_SI_E_clIS7_S7_PlSB_EESF_SV_SG_SH_SI_EUlSV_E1_NS1_11comp_targetILNS1_3genE5ELNS1_11target_archE942ELNS1_3gpuE9ELNS1_3repE0EEENS1_36merge_oddeven_config_static_selectorELNS0_4arch9wavefront6targetE1EEEvSH_,"axG",@progbits,_ZN7rocprim17ROCPRIM_400000_NS6detail17trampoline_kernelINS0_14default_configENS1_38merge_sort_block_merge_config_selectorIalEEZZNS1_27merge_sort_block_merge_implIS3_PaN6thrust23THRUST_200600_302600_NS10device_ptrIlEEjNS1_19radix_merge_compareILb0ELb0EaNS0_19identity_decomposerEEEEE10hipError_tT0_T1_T2_jT3_P12ihipStream_tbPNSt15iterator_traitsISG_E10value_typeEPNSM_ISH_E10value_typeEPSI_NS1_7vsmem_tEENKUlT_SG_SH_SI_E_clIS7_S7_PlSB_EESF_SV_SG_SH_SI_EUlSV_E1_NS1_11comp_targetILNS1_3genE5ELNS1_11target_archE942ELNS1_3gpuE9ELNS1_3repE0EEENS1_36merge_oddeven_config_static_selectorELNS0_4arch9wavefront6targetE1EEEvSH_,comdat
.Lfunc_end496:
	.size	_ZN7rocprim17ROCPRIM_400000_NS6detail17trampoline_kernelINS0_14default_configENS1_38merge_sort_block_merge_config_selectorIalEEZZNS1_27merge_sort_block_merge_implIS3_PaN6thrust23THRUST_200600_302600_NS10device_ptrIlEEjNS1_19radix_merge_compareILb0ELb0EaNS0_19identity_decomposerEEEEE10hipError_tT0_T1_T2_jT3_P12ihipStream_tbPNSt15iterator_traitsISG_E10value_typeEPNSM_ISH_E10value_typeEPSI_NS1_7vsmem_tEENKUlT_SG_SH_SI_E_clIS7_S7_PlSB_EESF_SV_SG_SH_SI_EUlSV_E1_NS1_11comp_targetILNS1_3genE5ELNS1_11target_archE942ELNS1_3gpuE9ELNS1_3repE0EEENS1_36merge_oddeven_config_static_selectorELNS0_4arch9wavefront6targetE1EEEvSH_, .Lfunc_end496-_ZN7rocprim17ROCPRIM_400000_NS6detail17trampoline_kernelINS0_14default_configENS1_38merge_sort_block_merge_config_selectorIalEEZZNS1_27merge_sort_block_merge_implIS3_PaN6thrust23THRUST_200600_302600_NS10device_ptrIlEEjNS1_19radix_merge_compareILb0ELb0EaNS0_19identity_decomposerEEEEE10hipError_tT0_T1_T2_jT3_P12ihipStream_tbPNSt15iterator_traitsISG_E10value_typeEPNSM_ISH_E10value_typeEPSI_NS1_7vsmem_tEENKUlT_SG_SH_SI_E_clIS7_S7_PlSB_EESF_SV_SG_SH_SI_EUlSV_E1_NS1_11comp_targetILNS1_3genE5ELNS1_11target_archE942ELNS1_3gpuE9ELNS1_3repE0EEENS1_36merge_oddeven_config_static_selectorELNS0_4arch9wavefront6targetE1EEEvSH_
                                        ; -- End function
	.section	.AMDGPU.csdata,"",@progbits
; Kernel info:
; codeLenInByte = 0
; NumSgprs: 4
; NumVgprs: 0
; NumAgprs: 0
; TotalNumVgprs: 0
; ScratchSize: 0
; MemoryBound: 0
; FloatMode: 240
; IeeeMode: 1
; LDSByteSize: 0 bytes/workgroup (compile time only)
; SGPRBlocks: 0
; VGPRBlocks: 0
; NumSGPRsForWavesPerEU: 4
; NumVGPRsForWavesPerEU: 1
; AccumOffset: 4
; Occupancy: 8
; WaveLimiterHint : 0
; COMPUTE_PGM_RSRC2:SCRATCH_EN: 0
; COMPUTE_PGM_RSRC2:USER_SGPR: 6
; COMPUTE_PGM_RSRC2:TRAP_HANDLER: 0
; COMPUTE_PGM_RSRC2:TGID_X_EN: 1
; COMPUTE_PGM_RSRC2:TGID_Y_EN: 0
; COMPUTE_PGM_RSRC2:TGID_Z_EN: 0
; COMPUTE_PGM_RSRC2:TIDIG_COMP_CNT: 0
; COMPUTE_PGM_RSRC3_GFX90A:ACCUM_OFFSET: 0
; COMPUTE_PGM_RSRC3_GFX90A:TG_SPLIT: 0
	.section	.text._ZN7rocprim17ROCPRIM_400000_NS6detail17trampoline_kernelINS0_14default_configENS1_38merge_sort_block_merge_config_selectorIalEEZZNS1_27merge_sort_block_merge_implIS3_PaN6thrust23THRUST_200600_302600_NS10device_ptrIlEEjNS1_19radix_merge_compareILb0ELb0EaNS0_19identity_decomposerEEEEE10hipError_tT0_T1_T2_jT3_P12ihipStream_tbPNSt15iterator_traitsISG_E10value_typeEPNSM_ISH_E10value_typeEPSI_NS1_7vsmem_tEENKUlT_SG_SH_SI_E_clIS7_S7_PlSB_EESF_SV_SG_SH_SI_EUlSV_E1_NS1_11comp_targetILNS1_3genE4ELNS1_11target_archE910ELNS1_3gpuE8ELNS1_3repE0EEENS1_36merge_oddeven_config_static_selectorELNS0_4arch9wavefront6targetE1EEEvSH_,"axG",@progbits,_ZN7rocprim17ROCPRIM_400000_NS6detail17trampoline_kernelINS0_14default_configENS1_38merge_sort_block_merge_config_selectorIalEEZZNS1_27merge_sort_block_merge_implIS3_PaN6thrust23THRUST_200600_302600_NS10device_ptrIlEEjNS1_19radix_merge_compareILb0ELb0EaNS0_19identity_decomposerEEEEE10hipError_tT0_T1_T2_jT3_P12ihipStream_tbPNSt15iterator_traitsISG_E10value_typeEPNSM_ISH_E10value_typeEPSI_NS1_7vsmem_tEENKUlT_SG_SH_SI_E_clIS7_S7_PlSB_EESF_SV_SG_SH_SI_EUlSV_E1_NS1_11comp_targetILNS1_3genE4ELNS1_11target_archE910ELNS1_3gpuE8ELNS1_3repE0EEENS1_36merge_oddeven_config_static_selectorELNS0_4arch9wavefront6targetE1EEEvSH_,comdat
	.protected	_ZN7rocprim17ROCPRIM_400000_NS6detail17trampoline_kernelINS0_14default_configENS1_38merge_sort_block_merge_config_selectorIalEEZZNS1_27merge_sort_block_merge_implIS3_PaN6thrust23THRUST_200600_302600_NS10device_ptrIlEEjNS1_19radix_merge_compareILb0ELb0EaNS0_19identity_decomposerEEEEE10hipError_tT0_T1_T2_jT3_P12ihipStream_tbPNSt15iterator_traitsISG_E10value_typeEPNSM_ISH_E10value_typeEPSI_NS1_7vsmem_tEENKUlT_SG_SH_SI_E_clIS7_S7_PlSB_EESF_SV_SG_SH_SI_EUlSV_E1_NS1_11comp_targetILNS1_3genE4ELNS1_11target_archE910ELNS1_3gpuE8ELNS1_3repE0EEENS1_36merge_oddeven_config_static_selectorELNS0_4arch9wavefront6targetE1EEEvSH_ ; -- Begin function _ZN7rocprim17ROCPRIM_400000_NS6detail17trampoline_kernelINS0_14default_configENS1_38merge_sort_block_merge_config_selectorIalEEZZNS1_27merge_sort_block_merge_implIS3_PaN6thrust23THRUST_200600_302600_NS10device_ptrIlEEjNS1_19radix_merge_compareILb0ELb0EaNS0_19identity_decomposerEEEEE10hipError_tT0_T1_T2_jT3_P12ihipStream_tbPNSt15iterator_traitsISG_E10value_typeEPNSM_ISH_E10value_typeEPSI_NS1_7vsmem_tEENKUlT_SG_SH_SI_E_clIS7_S7_PlSB_EESF_SV_SG_SH_SI_EUlSV_E1_NS1_11comp_targetILNS1_3genE4ELNS1_11target_archE910ELNS1_3gpuE8ELNS1_3repE0EEENS1_36merge_oddeven_config_static_selectorELNS0_4arch9wavefront6targetE1EEEvSH_
	.globl	_ZN7rocprim17ROCPRIM_400000_NS6detail17trampoline_kernelINS0_14default_configENS1_38merge_sort_block_merge_config_selectorIalEEZZNS1_27merge_sort_block_merge_implIS3_PaN6thrust23THRUST_200600_302600_NS10device_ptrIlEEjNS1_19radix_merge_compareILb0ELb0EaNS0_19identity_decomposerEEEEE10hipError_tT0_T1_T2_jT3_P12ihipStream_tbPNSt15iterator_traitsISG_E10value_typeEPNSM_ISH_E10value_typeEPSI_NS1_7vsmem_tEENKUlT_SG_SH_SI_E_clIS7_S7_PlSB_EESF_SV_SG_SH_SI_EUlSV_E1_NS1_11comp_targetILNS1_3genE4ELNS1_11target_archE910ELNS1_3gpuE8ELNS1_3repE0EEENS1_36merge_oddeven_config_static_selectorELNS0_4arch9wavefront6targetE1EEEvSH_
	.p2align	8
	.type	_ZN7rocprim17ROCPRIM_400000_NS6detail17trampoline_kernelINS0_14default_configENS1_38merge_sort_block_merge_config_selectorIalEEZZNS1_27merge_sort_block_merge_implIS3_PaN6thrust23THRUST_200600_302600_NS10device_ptrIlEEjNS1_19radix_merge_compareILb0ELb0EaNS0_19identity_decomposerEEEEE10hipError_tT0_T1_T2_jT3_P12ihipStream_tbPNSt15iterator_traitsISG_E10value_typeEPNSM_ISH_E10value_typeEPSI_NS1_7vsmem_tEENKUlT_SG_SH_SI_E_clIS7_S7_PlSB_EESF_SV_SG_SH_SI_EUlSV_E1_NS1_11comp_targetILNS1_3genE4ELNS1_11target_archE910ELNS1_3gpuE8ELNS1_3repE0EEENS1_36merge_oddeven_config_static_selectorELNS0_4arch9wavefront6targetE1EEEvSH_,@function
_ZN7rocprim17ROCPRIM_400000_NS6detail17trampoline_kernelINS0_14default_configENS1_38merge_sort_block_merge_config_selectorIalEEZZNS1_27merge_sort_block_merge_implIS3_PaN6thrust23THRUST_200600_302600_NS10device_ptrIlEEjNS1_19radix_merge_compareILb0ELb0EaNS0_19identity_decomposerEEEEE10hipError_tT0_T1_T2_jT3_P12ihipStream_tbPNSt15iterator_traitsISG_E10value_typeEPNSM_ISH_E10value_typeEPSI_NS1_7vsmem_tEENKUlT_SG_SH_SI_E_clIS7_S7_PlSB_EESF_SV_SG_SH_SI_EUlSV_E1_NS1_11comp_targetILNS1_3genE4ELNS1_11target_archE910ELNS1_3gpuE8ELNS1_3repE0EEENS1_36merge_oddeven_config_static_selectorELNS0_4arch9wavefront6targetE1EEEvSH_: ; @_ZN7rocprim17ROCPRIM_400000_NS6detail17trampoline_kernelINS0_14default_configENS1_38merge_sort_block_merge_config_selectorIalEEZZNS1_27merge_sort_block_merge_implIS3_PaN6thrust23THRUST_200600_302600_NS10device_ptrIlEEjNS1_19radix_merge_compareILb0ELb0EaNS0_19identity_decomposerEEEEE10hipError_tT0_T1_T2_jT3_P12ihipStream_tbPNSt15iterator_traitsISG_E10value_typeEPNSM_ISH_E10value_typeEPSI_NS1_7vsmem_tEENKUlT_SG_SH_SI_E_clIS7_S7_PlSB_EESF_SV_SG_SH_SI_EUlSV_E1_NS1_11comp_targetILNS1_3genE4ELNS1_11target_archE910ELNS1_3gpuE8ELNS1_3repE0EEENS1_36merge_oddeven_config_static_selectorELNS0_4arch9wavefront6targetE1EEEvSH_
; %bb.0:
	s_load_dword s20, s[4:5], 0x20
	s_waitcnt lgkmcnt(0)
	s_lshr_b32 s2, s20, 8
	s_cmp_lg_u32 s6, s2
	s_cselect_b64 s[0:1], -1, 0
	s_cmp_eq_u32 s6, s2
	s_cselect_b64 s[16:17], -1, 0
	s_lshl_b32 s18, s6, 8
	s_sub_i32 s2, s20, s18
	v_cmp_gt_u32_e64 s[2:3], s2, v0
	s_or_b64 s[0:1], s[0:1], s[2:3]
	s_and_saveexec_b64 s[8:9], s[0:1]
	s_cbranch_execz .LBB497_26
; %bb.1:
	s_load_dwordx8 s[8:15], s[4:5], 0x0
	s_mov_b32 s19, 0
	v_lshlrev_b32_e32 v1, 3, v0
	s_load_dword s21, s[4:5], 0x24
	v_add_u32_e32 v4, s18, v0
	s_waitcnt lgkmcnt(0)
	s_add_u32 s0, s8, s18
	s_addc_u32 s1, s9, 0
	s_lshl_b64 s[22:23], s[18:19], 3
	s_add_u32 s12, s12, s22
	s_addc_u32 s13, s13, s23
	global_load_dwordx2 v[2:3], v1, s[12:13]
	global_load_sbyte v6, v0, s[0:1]
	s_lshr_b32 s0, s21, 8
	s_sub_i32 s1, 0, s0
	s_and_b32 s1, s6, s1
	s_and_b32 s0, s1, s0
	s_lshl_b32 s22, s1, 8
	s_sub_i32 s6, 0, s21
	s_cmp_eq_u32 s0, 0
	s_cselect_b64 s[0:1], -1, 0
	s_and_b64 s[4:5], s[0:1], exec
	s_cselect_b32 s19, s21, s6
	s_add_i32 s19, s19, s22
	s_cmp_lt_u32 s19, s20
	s_cbranch_scc1 .LBB497_6
; %bb.2:
	s_and_b64 vcc, exec, s[16:17]
	s_cbranch_vccz .LBB497_7
; %bb.3:
	v_cmp_gt_u32_e32 vcc, s20, v4
	s_mov_b64 s[6:7], 0
	s_mov_b64 s[4:5], 0
                                        ; implicit-def: $vgpr0_vgpr1
	s_and_saveexec_b64 s[12:13], vcc
	s_cbranch_execz .LBB497_5
; %bb.4:
	v_mov_b32_e32 v5, 0
	v_lshlrev_b64 v[0:1], 3, v[4:5]
	v_mov_b32_e32 v5, s15
	v_add_co_u32_e32 v0, vcc, s14, v0
	s_mov_b64 s[4:5], exec
	v_addc_co_u32_e32 v1, vcc, v5, v1, vcc
	s_waitcnt vmcnt(0)
	global_store_byte v4, v6, s[10:11]
.LBB497_5:
	s_or_b64 exec, exec, s[12:13]
	s_and_b64 vcc, exec, s[6:7]
	s_cbranch_vccnz .LBB497_8
	s_branch .LBB497_9
.LBB497_6:
	s_mov_b64 s[4:5], 0
                                        ; implicit-def: $vgpr0_vgpr1
	s_cbranch_execnz .LBB497_10
	s_branch .LBB497_24
.LBB497_7:
	s_mov_b64 s[4:5], 0
                                        ; implicit-def: $vgpr0_vgpr1
	s_cbranch_execz .LBB497_9
.LBB497_8:
	v_mov_b32_e32 v5, 0
	v_lshlrev_b64 v[0:1], 3, v[4:5]
	v_mov_b32_e32 v5, s15
	v_add_co_u32_e32 v0, vcc, s14, v0
	v_addc_co_u32_e32 v1, vcc, v5, v1, vcc
	s_or_b64 s[4:5], s[4:5], exec
	s_waitcnt vmcnt(0)
	global_store_byte v4, v6, s[10:11]
.LBB497_9:
	s_branch .LBB497_24
.LBB497_10:
	s_min_u32 s12, s19, s20
	s_add_i32 s6, s12, s21
	s_min_u32 s13, s6, s20
	s_min_u32 s6, s22, s12
	s_add_i32 s22, s22, s12
	v_subrev_u32_e32 v0, s22, v4
	v_add_u32_e32 v4, s6, v0
	s_and_b64 vcc, exec, s[16:17]
	s_cbranch_vccz .LBB497_18
; %bb.11:
                                        ; implicit-def: $vgpr0_vgpr1
	s_and_saveexec_b64 s[6:7], s[2:3]
	s_cbranch_execz .LBB497_17
; %bb.12:
	s_cmp_ge_u32 s19, s13
	v_mov_b32_e32 v0, s12
	s_cbranch_scc1 .LBB497_16
; %bb.13:
	s_mov_b64 s[2:3], 0
	v_mov_b32_e32 v1, s13
	v_mov_b32_e32 v0, s12
.LBB497_14:                             ; =>This Inner Loop Header: Depth=1
	v_add_u32_e32 v5, v0, v1
	v_lshrrev_b32_e32 v5, 1, v5
	global_load_sbyte v7, v5, s[8:9]
	v_add_u32_e32 v8, 1, v5
	s_waitcnt vmcnt(0)
	v_cmp_gt_i16_e32 vcc, v6, v7
	v_cndmask_b32_e64 v9, 0, 1, vcc
	v_cmp_le_i16_e32 vcc, v7, v6
	v_cndmask_b32_e64 v7, 0, 1, vcc
	v_cndmask_b32_e64 v7, v7, v9, s[0:1]
	v_and_b32_e32 v7, 1, v7
	v_cmp_eq_u32_e32 vcc, 1, v7
	v_cndmask_b32_e32 v1, v5, v1, vcc
	v_cndmask_b32_e32 v0, v0, v8, vcc
	v_cmp_ge_u32_e32 vcc, v0, v1
	s_or_b64 s[2:3], vcc, s[2:3]
	s_andn2_b64 exec, exec, s[2:3]
	s_cbranch_execnz .LBB497_14
; %bb.15:
	s_or_b64 exec, exec, s[2:3]
.LBB497_16:
	v_add_u32_e32 v0, v0, v4
	v_mov_b32_e32 v1, 0
	s_waitcnt vmcnt(0)
	global_store_byte v0, v6, s[10:11]
	v_lshlrev_b64 v[0:1], 3, v[0:1]
	v_mov_b32_e32 v5, s15
	v_add_co_u32_e32 v0, vcc, s14, v0
	v_addc_co_u32_e32 v1, vcc, v5, v1, vcc
	s_or_b64 s[4:5], s[4:5], exec
.LBB497_17:
	s_or_b64 exec, exec, s[6:7]
	s_branch .LBB497_24
.LBB497_18:
                                        ; implicit-def: $vgpr0_vgpr1
	s_cbranch_execz .LBB497_24
; %bb.19:
	s_cmp_ge_u32 s19, s13
	v_mov_b32_e32 v0, s12
	s_cbranch_scc1 .LBB497_23
; %bb.20:
	s_mov_b64 s[2:3], 0
	v_mov_b32_e32 v1, s13
	v_mov_b32_e32 v0, s12
.LBB497_21:                             ; =>This Inner Loop Header: Depth=1
	v_add_u32_e32 v5, v0, v1
	v_lshrrev_b32_e32 v5, 1, v5
	global_load_sbyte v7, v5, s[8:9]
	v_add_u32_e32 v8, 1, v5
	s_waitcnt vmcnt(0)
	v_cmp_gt_i16_e32 vcc, v6, v7
	v_cndmask_b32_e64 v9, 0, 1, vcc
	v_cmp_le_i16_e32 vcc, v7, v6
	v_cndmask_b32_e64 v7, 0, 1, vcc
	v_cndmask_b32_e64 v7, v7, v9, s[0:1]
	v_and_b32_e32 v7, 1, v7
	v_cmp_eq_u32_e32 vcc, 1, v7
	v_cndmask_b32_e32 v1, v5, v1, vcc
	v_cndmask_b32_e32 v0, v0, v8, vcc
	v_cmp_ge_u32_e32 vcc, v0, v1
	s_or_b64 s[2:3], vcc, s[2:3]
	s_andn2_b64 exec, exec, s[2:3]
	s_cbranch_execnz .LBB497_21
; %bb.22:
	s_or_b64 exec, exec, s[2:3]
.LBB497_23:
	v_add_u32_e32 v0, v0, v4
	v_mov_b32_e32 v1, 0
	s_waitcnt vmcnt(0)
	global_store_byte v0, v6, s[10:11]
	v_lshlrev_b64 v[0:1], 3, v[0:1]
	v_mov_b32_e32 v4, s15
	v_add_co_u32_e32 v0, vcc, s14, v0
	v_addc_co_u32_e32 v1, vcc, v4, v1, vcc
	s_mov_b64 s[4:5], -1
.LBB497_24:
	s_and_b64 exec, exec, s[4:5]
	s_cbranch_execz .LBB497_26
; %bb.25:
	s_waitcnt vmcnt(1)
	global_store_dwordx2 v[0:1], v[2:3], off
.LBB497_26:
	s_endpgm
	.section	.rodata,"a",@progbits
	.p2align	6, 0x0
	.amdhsa_kernel _ZN7rocprim17ROCPRIM_400000_NS6detail17trampoline_kernelINS0_14default_configENS1_38merge_sort_block_merge_config_selectorIalEEZZNS1_27merge_sort_block_merge_implIS3_PaN6thrust23THRUST_200600_302600_NS10device_ptrIlEEjNS1_19radix_merge_compareILb0ELb0EaNS0_19identity_decomposerEEEEE10hipError_tT0_T1_T2_jT3_P12ihipStream_tbPNSt15iterator_traitsISG_E10value_typeEPNSM_ISH_E10value_typeEPSI_NS1_7vsmem_tEENKUlT_SG_SH_SI_E_clIS7_S7_PlSB_EESF_SV_SG_SH_SI_EUlSV_E1_NS1_11comp_targetILNS1_3genE4ELNS1_11target_archE910ELNS1_3gpuE8ELNS1_3repE0EEENS1_36merge_oddeven_config_static_selectorELNS0_4arch9wavefront6targetE1EEEvSH_
		.amdhsa_group_segment_fixed_size 0
		.amdhsa_private_segment_fixed_size 0
		.amdhsa_kernarg_size 48
		.amdhsa_user_sgpr_count 6
		.amdhsa_user_sgpr_private_segment_buffer 1
		.amdhsa_user_sgpr_dispatch_ptr 0
		.amdhsa_user_sgpr_queue_ptr 0
		.amdhsa_user_sgpr_kernarg_segment_ptr 1
		.amdhsa_user_sgpr_dispatch_id 0
		.amdhsa_user_sgpr_flat_scratch_init 0
		.amdhsa_user_sgpr_kernarg_preload_length 0
		.amdhsa_user_sgpr_kernarg_preload_offset 0
		.amdhsa_user_sgpr_private_segment_size 0
		.amdhsa_uses_dynamic_stack 0
		.amdhsa_system_sgpr_private_segment_wavefront_offset 0
		.amdhsa_system_sgpr_workgroup_id_x 1
		.amdhsa_system_sgpr_workgroup_id_y 0
		.amdhsa_system_sgpr_workgroup_id_z 0
		.amdhsa_system_sgpr_workgroup_info 0
		.amdhsa_system_vgpr_workitem_id 0
		.amdhsa_next_free_vgpr 10
		.amdhsa_next_free_sgpr 24
		.amdhsa_accum_offset 12
		.amdhsa_reserve_vcc 1
		.amdhsa_reserve_flat_scratch 0
		.amdhsa_float_round_mode_32 0
		.amdhsa_float_round_mode_16_64 0
		.amdhsa_float_denorm_mode_32 3
		.amdhsa_float_denorm_mode_16_64 3
		.amdhsa_dx10_clamp 1
		.amdhsa_ieee_mode 1
		.amdhsa_fp16_overflow 0
		.amdhsa_tg_split 0
		.amdhsa_exception_fp_ieee_invalid_op 0
		.amdhsa_exception_fp_denorm_src 0
		.amdhsa_exception_fp_ieee_div_zero 0
		.amdhsa_exception_fp_ieee_overflow 0
		.amdhsa_exception_fp_ieee_underflow 0
		.amdhsa_exception_fp_ieee_inexact 0
		.amdhsa_exception_int_div_zero 0
	.end_amdhsa_kernel
	.section	.text._ZN7rocprim17ROCPRIM_400000_NS6detail17trampoline_kernelINS0_14default_configENS1_38merge_sort_block_merge_config_selectorIalEEZZNS1_27merge_sort_block_merge_implIS3_PaN6thrust23THRUST_200600_302600_NS10device_ptrIlEEjNS1_19radix_merge_compareILb0ELb0EaNS0_19identity_decomposerEEEEE10hipError_tT0_T1_T2_jT3_P12ihipStream_tbPNSt15iterator_traitsISG_E10value_typeEPNSM_ISH_E10value_typeEPSI_NS1_7vsmem_tEENKUlT_SG_SH_SI_E_clIS7_S7_PlSB_EESF_SV_SG_SH_SI_EUlSV_E1_NS1_11comp_targetILNS1_3genE4ELNS1_11target_archE910ELNS1_3gpuE8ELNS1_3repE0EEENS1_36merge_oddeven_config_static_selectorELNS0_4arch9wavefront6targetE1EEEvSH_,"axG",@progbits,_ZN7rocprim17ROCPRIM_400000_NS6detail17trampoline_kernelINS0_14default_configENS1_38merge_sort_block_merge_config_selectorIalEEZZNS1_27merge_sort_block_merge_implIS3_PaN6thrust23THRUST_200600_302600_NS10device_ptrIlEEjNS1_19radix_merge_compareILb0ELb0EaNS0_19identity_decomposerEEEEE10hipError_tT0_T1_T2_jT3_P12ihipStream_tbPNSt15iterator_traitsISG_E10value_typeEPNSM_ISH_E10value_typeEPSI_NS1_7vsmem_tEENKUlT_SG_SH_SI_E_clIS7_S7_PlSB_EESF_SV_SG_SH_SI_EUlSV_E1_NS1_11comp_targetILNS1_3genE4ELNS1_11target_archE910ELNS1_3gpuE8ELNS1_3repE0EEENS1_36merge_oddeven_config_static_selectorELNS0_4arch9wavefront6targetE1EEEvSH_,comdat
.Lfunc_end497:
	.size	_ZN7rocprim17ROCPRIM_400000_NS6detail17trampoline_kernelINS0_14default_configENS1_38merge_sort_block_merge_config_selectorIalEEZZNS1_27merge_sort_block_merge_implIS3_PaN6thrust23THRUST_200600_302600_NS10device_ptrIlEEjNS1_19radix_merge_compareILb0ELb0EaNS0_19identity_decomposerEEEEE10hipError_tT0_T1_T2_jT3_P12ihipStream_tbPNSt15iterator_traitsISG_E10value_typeEPNSM_ISH_E10value_typeEPSI_NS1_7vsmem_tEENKUlT_SG_SH_SI_E_clIS7_S7_PlSB_EESF_SV_SG_SH_SI_EUlSV_E1_NS1_11comp_targetILNS1_3genE4ELNS1_11target_archE910ELNS1_3gpuE8ELNS1_3repE0EEENS1_36merge_oddeven_config_static_selectorELNS0_4arch9wavefront6targetE1EEEvSH_, .Lfunc_end497-_ZN7rocprim17ROCPRIM_400000_NS6detail17trampoline_kernelINS0_14default_configENS1_38merge_sort_block_merge_config_selectorIalEEZZNS1_27merge_sort_block_merge_implIS3_PaN6thrust23THRUST_200600_302600_NS10device_ptrIlEEjNS1_19radix_merge_compareILb0ELb0EaNS0_19identity_decomposerEEEEE10hipError_tT0_T1_T2_jT3_P12ihipStream_tbPNSt15iterator_traitsISG_E10value_typeEPNSM_ISH_E10value_typeEPSI_NS1_7vsmem_tEENKUlT_SG_SH_SI_E_clIS7_S7_PlSB_EESF_SV_SG_SH_SI_EUlSV_E1_NS1_11comp_targetILNS1_3genE4ELNS1_11target_archE910ELNS1_3gpuE8ELNS1_3repE0EEENS1_36merge_oddeven_config_static_selectorELNS0_4arch9wavefront6targetE1EEEvSH_
                                        ; -- End function
	.section	.AMDGPU.csdata,"",@progbits
; Kernel info:
; codeLenInByte = 728
; NumSgprs: 28
; NumVgprs: 10
; NumAgprs: 0
; TotalNumVgprs: 10
; ScratchSize: 0
; MemoryBound: 0
; FloatMode: 240
; IeeeMode: 1
; LDSByteSize: 0 bytes/workgroup (compile time only)
; SGPRBlocks: 3
; VGPRBlocks: 1
; NumSGPRsForWavesPerEU: 28
; NumVGPRsForWavesPerEU: 10
; AccumOffset: 12
; Occupancy: 8
; WaveLimiterHint : 0
; COMPUTE_PGM_RSRC2:SCRATCH_EN: 0
; COMPUTE_PGM_RSRC2:USER_SGPR: 6
; COMPUTE_PGM_RSRC2:TRAP_HANDLER: 0
; COMPUTE_PGM_RSRC2:TGID_X_EN: 1
; COMPUTE_PGM_RSRC2:TGID_Y_EN: 0
; COMPUTE_PGM_RSRC2:TGID_Z_EN: 0
; COMPUTE_PGM_RSRC2:TIDIG_COMP_CNT: 0
; COMPUTE_PGM_RSRC3_GFX90A:ACCUM_OFFSET: 2
; COMPUTE_PGM_RSRC3_GFX90A:TG_SPLIT: 0
	.section	.text._ZN7rocprim17ROCPRIM_400000_NS6detail17trampoline_kernelINS0_14default_configENS1_38merge_sort_block_merge_config_selectorIalEEZZNS1_27merge_sort_block_merge_implIS3_PaN6thrust23THRUST_200600_302600_NS10device_ptrIlEEjNS1_19radix_merge_compareILb0ELb0EaNS0_19identity_decomposerEEEEE10hipError_tT0_T1_T2_jT3_P12ihipStream_tbPNSt15iterator_traitsISG_E10value_typeEPNSM_ISH_E10value_typeEPSI_NS1_7vsmem_tEENKUlT_SG_SH_SI_E_clIS7_S7_PlSB_EESF_SV_SG_SH_SI_EUlSV_E1_NS1_11comp_targetILNS1_3genE3ELNS1_11target_archE908ELNS1_3gpuE7ELNS1_3repE0EEENS1_36merge_oddeven_config_static_selectorELNS0_4arch9wavefront6targetE1EEEvSH_,"axG",@progbits,_ZN7rocprim17ROCPRIM_400000_NS6detail17trampoline_kernelINS0_14default_configENS1_38merge_sort_block_merge_config_selectorIalEEZZNS1_27merge_sort_block_merge_implIS3_PaN6thrust23THRUST_200600_302600_NS10device_ptrIlEEjNS1_19radix_merge_compareILb0ELb0EaNS0_19identity_decomposerEEEEE10hipError_tT0_T1_T2_jT3_P12ihipStream_tbPNSt15iterator_traitsISG_E10value_typeEPNSM_ISH_E10value_typeEPSI_NS1_7vsmem_tEENKUlT_SG_SH_SI_E_clIS7_S7_PlSB_EESF_SV_SG_SH_SI_EUlSV_E1_NS1_11comp_targetILNS1_3genE3ELNS1_11target_archE908ELNS1_3gpuE7ELNS1_3repE0EEENS1_36merge_oddeven_config_static_selectorELNS0_4arch9wavefront6targetE1EEEvSH_,comdat
	.protected	_ZN7rocprim17ROCPRIM_400000_NS6detail17trampoline_kernelINS0_14default_configENS1_38merge_sort_block_merge_config_selectorIalEEZZNS1_27merge_sort_block_merge_implIS3_PaN6thrust23THRUST_200600_302600_NS10device_ptrIlEEjNS1_19radix_merge_compareILb0ELb0EaNS0_19identity_decomposerEEEEE10hipError_tT0_T1_T2_jT3_P12ihipStream_tbPNSt15iterator_traitsISG_E10value_typeEPNSM_ISH_E10value_typeEPSI_NS1_7vsmem_tEENKUlT_SG_SH_SI_E_clIS7_S7_PlSB_EESF_SV_SG_SH_SI_EUlSV_E1_NS1_11comp_targetILNS1_3genE3ELNS1_11target_archE908ELNS1_3gpuE7ELNS1_3repE0EEENS1_36merge_oddeven_config_static_selectorELNS0_4arch9wavefront6targetE1EEEvSH_ ; -- Begin function _ZN7rocprim17ROCPRIM_400000_NS6detail17trampoline_kernelINS0_14default_configENS1_38merge_sort_block_merge_config_selectorIalEEZZNS1_27merge_sort_block_merge_implIS3_PaN6thrust23THRUST_200600_302600_NS10device_ptrIlEEjNS1_19radix_merge_compareILb0ELb0EaNS0_19identity_decomposerEEEEE10hipError_tT0_T1_T2_jT3_P12ihipStream_tbPNSt15iterator_traitsISG_E10value_typeEPNSM_ISH_E10value_typeEPSI_NS1_7vsmem_tEENKUlT_SG_SH_SI_E_clIS7_S7_PlSB_EESF_SV_SG_SH_SI_EUlSV_E1_NS1_11comp_targetILNS1_3genE3ELNS1_11target_archE908ELNS1_3gpuE7ELNS1_3repE0EEENS1_36merge_oddeven_config_static_selectorELNS0_4arch9wavefront6targetE1EEEvSH_
	.globl	_ZN7rocprim17ROCPRIM_400000_NS6detail17trampoline_kernelINS0_14default_configENS1_38merge_sort_block_merge_config_selectorIalEEZZNS1_27merge_sort_block_merge_implIS3_PaN6thrust23THRUST_200600_302600_NS10device_ptrIlEEjNS1_19radix_merge_compareILb0ELb0EaNS0_19identity_decomposerEEEEE10hipError_tT0_T1_T2_jT3_P12ihipStream_tbPNSt15iterator_traitsISG_E10value_typeEPNSM_ISH_E10value_typeEPSI_NS1_7vsmem_tEENKUlT_SG_SH_SI_E_clIS7_S7_PlSB_EESF_SV_SG_SH_SI_EUlSV_E1_NS1_11comp_targetILNS1_3genE3ELNS1_11target_archE908ELNS1_3gpuE7ELNS1_3repE0EEENS1_36merge_oddeven_config_static_selectorELNS0_4arch9wavefront6targetE1EEEvSH_
	.p2align	8
	.type	_ZN7rocprim17ROCPRIM_400000_NS6detail17trampoline_kernelINS0_14default_configENS1_38merge_sort_block_merge_config_selectorIalEEZZNS1_27merge_sort_block_merge_implIS3_PaN6thrust23THRUST_200600_302600_NS10device_ptrIlEEjNS1_19radix_merge_compareILb0ELb0EaNS0_19identity_decomposerEEEEE10hipError_tT0_T1_T2_jT3_P12ihipStream_tbPNSt15iterator_traitsISG_E10value_typeEPNSM_ISH_E10value_typeEPSI_NS1_7vsmem_tEENKUlT_SG_SH_SI_E_clIS7_S7_PlSB_EESF_SV_SG_SH_SI_EUlSV_E1_NS1_11comp_targetILNS1_3genE3ELNS1_11target_archE908ELNS1_3gpuE7ELNS1_3repE0EEENS1_36merge_oddeven_config_static_selectorELNS0_4arch9wavefront6targetE1EEEvSH_,@function
_ZN7rocprim17ROCPRIM_400000_NS6detail17trampoline_kernelINS0_14default_configENS1_38merge_sort_block_merge_config_selectorIalEEZZNS1_27merge_sort_block_merge_implIS3_PaN6thrust23THRUST_200600_302600_NS10device_ptrIlEEjNS1_19radix_merge_compareILb0ELb0EaNS0_19identity_decomposerEEEEE10hipError_tT0_T1_T2_jT3_P12ihipStream_tbPNSt15iterator_traitsISG_E10value_typeEPNSM_ISH_E10value_typeEPSI_NS1_7vsmem_tEENKUlT_SG_SH_SI_E_clIS7_S7_PlSB_EESF_SV_SG_SH_SI_EUlSV_E1_NS1_11comp_targetILNS1_3genE3ELNS1_11target_archE908ELNS1_3gpuE7ELNS1_3repE0EEENS1_36merge_oddeven_config_static_selectorELNS0_4arch9wavefront6targetE1EEEvSH_: ; @_ZN7rocprim17ROCPRIM_400000_NS6detail17trampoline_kernelINS0_14default_configENS1_38merge_sort_block_merge_config_selectorIalEEZZNS1_27merge_sort_block_merge_implIS3_PaN6thrust23THRUST_200600_302600_NS10device_ptrIlEEjNS1_19radix_merge_compareILb0ELb0EaNS0_19identity_decomposerEEEEE10hipError_tT0_T1_T2_jT3_P12ihipStream_tbPNSt15iterator_traitsISG_E10value_typeEPNSM_ISH_E10value_typeEPSI_NS1_7vsmem_tEENKUlT_SG_SH_SI_E_clIS7_S7_PlSB_EESF_SV_SG_SH_SI_EUlSV_E1_NS1_11comp_targetILNS1_3genE3ELNS1_11target_archE908ELNS1_3gpuE7ELNS1_3repE0EEENS1_36merge_oddeven_config_static_selectorELNS0_4arch9wavefront6targetE1EEEvSH_
; %bb.0:
	.section	.rodata,"a",@progbits
	.p2align	6, 0x0
	.amdhsa_kernel _ZN7rocprim17ROCPRIM_400000_NS6detail17trampoline_kernelINS0_14default_configENS1_38merge_sort_block_merge_config_selectorIalEEZZNS1_27merge_sort_block_merge_implIS3_PaN6thrust23THRUST_200600_302600_NS10device_ptrIlEEjNS1_19radix_merge_compareILb0ELb0EaNS0_19identity_decomposerEEEEE10hipError_tT0_T1_T2_jT3_P12ihipStream_tbPNSt15iterator_traitsISG_E10value_typeEPNSM_ISH_E10value_typeEPSI_NS1_7vsmem_tEENKUlT_SG_SH_SI_E_clIS7_S7_PlSB_EESF_SV_SG_SH_SI_EUlSV_E1_NS1_11comp_targetILNS1_3genE3ELNS1_11target_archE908ELNS1_3gpuE7ELNS1_3repE0EEENS1_36merge_oddeven_config_static_selectorELNS0_4arch9wavefront6targetE1EEEvSH_
		.amdhsa_group_segment_fixed_size 0
		.amdhsa_private_segment_fixed_size 0
		.amdhsa_kernarg_size 48
		.amdhsa_user_sgpr_count 6
		.amdhsa_user_sgpr_private_segment_buffer 1
		.amdhsa_user_sgpr_dispatch_ptr 0
		.amdhsa_user_sgpr_queue_ptr 0
		.amdhsa_user_sgpr_kernarg_segment_ptr 1
		.amdhsa_user_sgpr_dispatch_id 0
		.amdhsa_user_sgpr_flat_scratch_init 0
		.amdhsa_user_sgpr_kernarg_preload_length 0
		.amdhsa_user_sgpr_kernarg_preload_offset 0
		.amdhsa_user_sgpr_private_segment_size 0
		.amdhsa_uses_dynamic_stack 0
		.amdhsa_system_sgpr_private_segment_wavefront_offset 0
		.amdhsa_system_sgpr_workgroup_id_x 1
		.amdhsa_system_sgpr_workgroup_id_y 0
		.amdhsa_system_sgpr_workgroup_id_z 0
		.amdhsa_system_sgpr_workgroup_info 0
		.amdhsa_system_vgpr_workitem_id 0
		.amdhsa_next_free_vgpr 1
		.amdhsa_next_free_sgpr 0
		.amdhsa_accum_offset 4
		.amdhsa_reserve_vcc 0
		.amdhsa_reserve_flat_scratch 0
		.amdhsa_float_round_mode_32 0
		.amdhsa_float_round_mode_16_64 0
		.amdhsa_float_denorm_mode_32 3
		.amdhsa_float_denorm_mode_16_64 3
		.amdhsa_dx10_clamp 1
		.amdhsa_ieee_mode 1
		.amdhsa_fp16_overflow 0
		.amdhsa_tg_split 0
		.amdhsa_exception_fp_ieee_invalid_op 0
		.amdhsa_exception_fp_denorm_src 0
		.amdhsa_exception_fp_ieee_div_zero 0
		.amdhsa_exception_fp_ieee_overflow 0
		.amdhsa_exception_fp_ieee_underflow 0
		.amdhsa_exception_fp_ieee_inexact 0
		.amdhsa_exception_int_div_zero 0
	.end_amdhsa_kernel
	.section	.text._ZN7rocprim17ROCPRIM_400000_NS6detail17trampoline_kernelINS0_14default_configENS1_38merge_sort_block_merge_config_selectorIalEEZZNS1_27merge_sort_block_merge_implIS3_PaN6thrust23THRUST_200600_302600_NS10device_ptrIlEEjNS1_19radix_merge_compareILb0ELb0EaNS0_19identity_decomposerEEEEE10hipError_tT0_T1_T2_jT3_P12ihipStream_tbPNSt15iterator_traitsISG_E10value_typeEPNSM_ISH_E10value_typeEPSI_NS1_7vsmem_tEENKUlT_SG_SH_SI_E_clIS7_S7_PlSB_EESF_SV_SG_SH_SI_EUlSV_E1_NS1_11comp_targetILNS1_3genE3ELNS1_11target_archE908ELNS1_3gpuE7ELNS1_3repE0EEENS1_36merge_oddeven_config_static_selectorELNS0_4arch9wavefront6targetE1EEEvSH_,"axG",@progbits,_ZN7rocprim17ROCPRIM_400000_NS6detail17trampoline_kernelINS0_14default_configENS1_38merge_sort_block_merge_config_selectorIalEEZZNS1_27merge_sort_block_merge_implIS3_PaN6thrust23THRUST_200600_302600_NS10device_ptrIlEEjNS1_19radix_merge_compareILb0ELb0EaNS0_19identity_decomposerEEEEE10hipError_tT0_T1_T2_jT3_P12ihipStream_tbPNSt15iterator_traitsISG_E10value_typeEPNSM_ISH_E10value_typeEPSI_NS1_7vsmem_tEENKUlT_SG_SH_SI_E_clIS7_S7_PlSB_EESF_SV_SG_SH_SI_EUlSV_E1_NS1_11comp_targetILNS1_3genE3ELNS1_11target_archE908ELNS1_3gpuE7ELNS1_3repE0EEENS1_36merge_oddeven_config_static_selectorELNS0_4arch9wavefront6targetE1EEEvSH_,comdat
.Lfunc_end498:
	.size	_ZN7rocprim17ROCPRIM_400000_NS6detail17trampoline_kernelINS0_14default_configENS1_38merge_sort_block_merge_config_selectorIalEEZZNS1_27merge_sort_block_merge_implIS3_PaN6thrust23THRUST_200600_302600_NS10device_ptrIlEEjNS1_19radix_merge_compareILb0ELb0EaNS0_19identity_decomposerEEEEE10hipError_tT0_T1_T2_jT3_P12ihipStream_tbPNSt15iterator_traitsISG_E10value_typeEPNSM_ISH_E10value_typeEPSI_NS1_7vsmem_tEENKUlT_SG_SH_SI_E_clIS7_S7_PlSB_EESF_SV_SG_SH_SI_EUlSV_E1_NS1_11comp_targetILNS1_3genE3ELNS1_11target_archE908ELNS1_3gpuE7ELNS1_3repE0EEENS1_36merge_oddeven_config_static_selectorELNS0_4arch9wavefront6targetE1EEEvSH_, .Lfunc_end498-_ZN7rocprim17ROCPRIM_400000_NS6detail17trampoline_kernelINS0_14default_configENS1_38merge_sort_block_merge_config_selectorIalEEZZNS1_27merge_sort_block_merge_implIS3_PaN6thrust23THRUST_200600_302600_NS10device_ptrIlEEjNS1_19radix_merge_compareILb0ELb0EaNS0_19identity_decomposerEEEEE10hipError_tT0_T1_T2_jT3_P12ihipStream_tbPNSt15iterator_traitsISG_E10value_typeEPNSM_ISH_E10value_typeEPSI_NS1_7vsmem_tEENKUlT_SG_SH_SI_E_clIS7_S7_PlSB_EESF_SV_SG_SH_SI_EUlSV_E1_NS1_11comp_targetILNS1_3genE3ELNS1_11target_archE908ELNS1_3gpuE7ELNS1_3repE0EEENS1_36merge_oddeven_config_static_selectorELNS0_4arch9wavefront6targetE1EEEvSH_
                                        ; -- End function
	.section	.AMDGPU.csdata,"",@progbits
; Kernel info:
; codeLenInByte = 0
; NumSgprs: 4
; NumVgprs: 0
; NumAgprs: 0
; TotalNumVgprs: 0
; ScratchSize: 0
; MemoryBound: 0
; FloatMode: 240
; IeeeMode: 1
; LDSByteSize: 0 bytes/workgroup (compile time only)
; SGPRBlocks: 0
; VGPRBlocks: 0
; NumSGPRsForWavesPerEU: 4
; NumVGPRsForWavesPerEU: 1
; AccumOffset: 4
; Occupancy: 8
; WaveLimiterHint : 0
; COMPUTE_PGM_RSRC2:SCRATCH_EN: 0
; COMPUTE_PGM_RSRC2:USER_SGPR: 6
; COMPUTE_PGM_RSRC2:TRAP_HANDLER: 0
; COMPUTE_PGM_RSRC2:TGID_X_EN: 1
; COMPUTE_PGM_RSRC2:TGID_Y_EN: 0
; COMPUTE_PGM_RSRC2:TGID_Z_EN: 0
; COMPUTE_PGM_RSRC2:TIDIG_COMP_CNT: 0
; COMPUTE_PGM_RSRC3_GFX90A:ACCUM_OFFSET: 0
; COMPUTE_PGM_RSRC3_GFX90A:TG_SPLIT: 0
	.section	.text._ZN7rocprim17ROCPRIM_400000_NS6detail17trampoline_kernelINS0_14default_configENS1_38merge_sort_block_merge_config_selectorIalEEZZNS1_27merge_sort_block_merge_implIS3_PaN6thrust23THRUST_200600_302600_NS10device_ptrIlEEjNS1_19radix_merge_compareILb0ELb0EaNS0_19identity_decomposerEEEEE10hipError_tT0_T1_T2_jT3_P12ihipStream_tbPNSt15iterator_traitsISG_E10value_typeEPNSM_ISH_E10value_typeEPSI_NS1_7vsmem_tEENKUlT_SG_SH_SI_E_clIS7_S7_PlSB_EESF_SV_SG_SH_SI_EUlSV_E1_NS1_11comp_targetILNS1_3genE2ELNS1_11target_archE906ELNS1_3gpuE6ELNS1_3repE0EEENS1_36merge_oddeven_config_static_selectorELNS0_4arch9wavefront6targetE1EEEvSH_,"axG",@progbits,_ZN7rocprim17ROCPRIM_400000_NS6detail17trampoline_kernelINS0_14default_configENS1_38merge_sort_block_merge_config_selectorIalEEZZNS1_27merge_sort_block_merge_implIS3_PaN6thrust23THRUST_200600_302600_NS10device_ptrIlEEjNS1_19radix_merge_compareILb0ELb0EaNS0_19identity_decomposerEEEEE10hipError_tT0_T1_T2_jT3_P12ihipStream_tbPNSt15iterator_traitsISG_E10value_typeEPNSM_ISH_E10value_typeEPSI_NS1_7vsmem_tEENKUlT_SG_SH_SI_E_clIS7_S7_PlSB_EESF_SV_SG_SH_SI_EUlSV_E1_NS1_11comp_targetILNS1_3genE2ELNS1_11target_archE906ELNS1_3gpuE6ELNS1_3repE0EEENS1_36merge_oddeven_config_static_selectorELNS0_4arch9wavefront6targetE1EEEvSH_,comdat
	.protected	_ZN7rocprim17ROCPRIM_400000_NS6detail17trampoline_kernelINS0_14default_configENS1_38merge_sort_block_merge_config_selectorIalEEZZNS1_27merge_sort_block_merge_implIS3_PaN6thrust23THRUST_200600_302600_NS10device_ptrIlEEjNS1_19radix_merge_compareILb0ELb0EaNS0_19identity_decomposerEEEEE10hipError_tT0_T1_T2_jT3_P12ihipStream_tbPNSt15iterator_traitsISG_E10value_typeEPNSM_ISH_E10value_typeEPSI_NS1_7vsmem_tEENKUlT_SG_SH_SI_E_clIS7_S7_PlSB_EESF_SV_SG_SH_SI_EUlSV_E1_NS1_11comp_targetILNS1_3genE2ELNS1_11target_archE906ELNS1_3gpuE6ELNS1_3repE0EEENS1_36merge_oddeven_config_static_selectorELNS0_4arch9wavefront6targetE1EEEvSH_ ; -- Begin function _ZN7rocprim17ROCPRIM_400000_NS6detail17trampoline_kernelINS0_14default_configENS1_38merge_sort_block_merge_config_selectorIalEEZZNS1_27merge_sort_block_merge_implIS3_PaN6thrust23THRUST_200600_302600_NS10device_ptrIlEEjNS1_19radix_merge_compareILb0ELb0EaNS0_19identity_decomposerEEEEE10hipError_tT0_T1_T2_jT3_P12ihipStream_tbPNSt15iterator_traitsISG_E10value_typeEPNSM_ISH_E10value_typeEPSI_NS1_7vsmem_tEENKUlT_SG_SH_SI_E_clIS7_S7_PlSB_EESF_SV_SG_SH_SI_EUlSV_E1_NS1_11comp_targetILNS1_3genE2ELNS1_11target_archE906ELNS1_3gpuE6ELNS1_3repE0EEENS1_36merge_oddeven_config_static_selectorELNS0_4arch9wavefront6targetE1EEEvSH_
	.globl	_ZN7rocprim17ROCPRIM_400000_NS6detail17trampoline_kernelINS0_14default_configENS1_38merge_sort_block_merge_config_selectorIalEEZZNS1_27merge_sort_block_merge_implIS3_PaN6thrust23THRUST_200600_302600_NS10device_ptrIlEEjNS1_19radix_merge_compareILb0ELb0EaNS0_19identity_decomposerEEEEE10hipError_tT0_T1_T2_jT3_P12ihipStream_tbPNSt15iterator_traitsISG_E10value_typeEPNSM_ISH_E10value_typeEPSI_NS1_7vsmem_tEENKUlT_SG_SH_SI_E_clIS7_S7_PlSB_EESF_SV_SG_SH_SI_EUlSV_E1_NS1_11comp_targetILNS1_3genE2ELNS1_11target_archE906ELNS1_3gpuE6ELNS1_3repE0EEENS1_36merge_oddeven_config_static_selectorELNS0_4arch9wavefront6targetE1EEEvSH_
	.p2align	8
	.type	_ZN7rocprim17ROCPRIM_400000_NS6detail17trampoline_kernelINS0_14default_configENS1_38merge_sort_block_merge_config_selectorIalEEZZNS1_27merge_sort_block_merge_implIS3_PaN6thrust23THRUST_200600_302600_NS10device_ptrIlEEjNS1_19radix_merge_compareILb0ELb0EaNS0_19identity_decomposerEEEEE10hipError_tT0_T1_T2_jT3_P12ihipStream_tbPNSt15iterator_traitsISG_E10value_typeEPNSM_ISH_E10value_typeEPSI_NS1_7vsmem_tEENKUlT_SG_SH_SI_E_clIS7_S7_PlSB_EESF_SV_SG_SH_SI_EUlSV_E1_NS1_11comp_targetILNS1_3genE2ELNS1_11target_archE906ELNS1_3gpuE6ELNS1_3repE0EEENS1_36merge_oddeven_config_static_selectorELNS0_4arch9wavefront6targetE1EEEvSH_,@function
_ZN7rocprim17ROCPRIM_400000_NS6detail17trampoline_kernelINS0_14default_configENS1_38merge_sort_block_merge_config_selectorIalEEZZNS1_27merge_sort_block_merge_implIS3_PaN6thrust23THRUST_200600_302600_NS10device_ptrIlEEjNS1_19radix_merge_compareILb0ELb0EaNS0_19identity_decomposerEEEEE10hipError_tT0_T1_T2_jT3_P12ihipStream_tbPNSt15iterator_traitsISG_E10value_typeEPNSM_ISH_E10value_typeEPSI_NS1_7vsmem_tEENKUlT_SG_SH_SI_E_clIS7_S7_PlSB_EESF_SV_SG_SH_SI_EUlSV_E1_NS1_11comp_targetILNS1_3genE2ELNS1_11target_archE906ELNS1_3gpuE6ELNS1_3repE0EEENS1_36merge_oddeven_config_static_selectorELNS0_4arch9wavefront6targetE1EEEvSH_: ; @_ZN7rocprim17ROCPRIM_400000_NS6detail17trampoline_kernelINS0_14default_configENS1_38merge_sort_block_merge_config_selectorIalEEZZNS1_27merge_sort_block_merge_implIS3_PaN6thrust23THRUST_200600_302600_NS10device_ptrIlEEjNS1_19radix_merge_compareILb0ELb0EaNS0_19identity_decomposerEEEEE10hipError_tT0_T1_T2_jT3_P12ihipStream_tbPNSt15iterator_traitsISG_E10value_typeEPNSM_ISH_E10value_typeEPSI_NS1_7vsmem_tEENKUlT_SG_SH_SI_E_clIS7_S7_PlSB_EESF_SV_SG_SH_SI_EUlSV_E1_NS1_11comp_targetILNS1_3genE2ELNS1_11target_archE906ELNS1_3gpuE6ELNS1_3repE0EEENS1_36merge_oddeven_config_static_selectorELNS0_4arch9wavefront6targetE1EEEvSH_
; %bb.0:
	.section	.rodata,"a",@progbits
	.p2align	6, 0x0
	.amdhsa_kernel _ZN7rocprim17ROCPRIM_400000_NS6detail17trampoline_kernelINS0_14default_configENS1_38merge_sort_block_merge_config_selectorIalEEZZNS1_27merge_sort_block_merge_implIS3_PaN6thrust23THRUST_200600_302600_NS10device_ptrIlEEjNS1_19radix_merge_compareILb0ELb0EaNS0_19identity_decomposerEEEEE10hipError_tT0_T1_T2_jT3_P12ihipStream_tbPNSt15iterator_traitsISG_E10value_typeEPNSM_ISH_E10value_typeEPSI_NS1_7vsmem_tEENKUlT_SG_SH_SI_E_clIS7_S7_PlSB_EESF_SV_SG_SH_SI_EUlSV_E1_NS1_11comp_targetILNS1_3genE2ELNS1_11target_archE906ELNS1_3gpuE6ELNS1_3repE0EEENS1_36merge_oddeven_config_static_selectorELNS0_4arch9wavefront6targetE1EEEvSH_
		.amdhsa_group_segment_fixed_size 0
		.amdhsa_private_segment_fixed_size 0
		.amdhsa_kernarg_size 48
		.amdhsa_user_sgpr_count 6
		.amdhsa_user_sgpr_private_segment_buffer 1
		.amdhsa_user_sgpr_dispatch_ptr 0
		.amdhsa_user_sgpr_queue_ptr 0
		.amdhsa_user_sgpr_kernarg_segment_ptr 1
		.amdhsa_user_sgpr_dispatch_id 0
		.amdhsa_user_sgpr_flat_scratch_init 0
		.amdhsa_user_sgpr_kernarg_preload_length 0
		.amdhsa_user_sgpr_kernarg_preload_offset 0
		.amdhsa_user_sgpr_private_segment_size 0
		.amdhsa_uses_dynamic_stack 0
		.amdhsa_system_sgpr_private_segment_wavefront_offset 0
		.amdhsa_system_sgpr_workgroup_id_x 1
		.amdhsa_system_sgpr_workgroup_id_y 0
		.amdhsa_system_sgpr_workgroup_id_z 0
		.amdhsa_system_sgpr_workgroup_info 0
		.amdhsa_system_vgpr_workitem_id 0
		.amdhsa_next_free_vgpr 1
		.amdhsa_next_free_sgpr 0
		.amdhsa_accum_offset 4
		.amdhsa_reserve_vcc 0
		.amdhsa_reserve_flat_scratch 0
		.amdhsa_float_round_mode_32 0
		.amdhsa_float_round_mode_16_64 0
		.amdhsa_float_denorm_mode_32 3
		.amdhsa_float_denorm_mode_16_64 3
		.amdhsa_dx10_clamp 1
		.amdhsa_ieee_mode 1
		.amdhsa_fp16_overflow 0
		.amdhsa_tg_split 0
		.amdhsa_exception_fp_ieee_invalid_op 0
		.amdhsa_exception_fp_denorm_src 0
		.amdhsa_exception_fp_ieee_div_zero 0
		.amdhsa_exception_fp_ieee_overflow 0
		.amdhsa_exception_fp_ieee_underflow 0
		.amdhsa_exception_fp_ieee_inexact 0
		.amdhsa_exception_int_div_zero 0
	.end_amdhsa_kernel
	.section	.text._ZN7rocprim17ROCPRIM_400000_NS6detail17trampoline_kernelINS0_14default_configENS1_38merge_sort_block_merge_config_selectorIalEEZZNS1_27merge_sort_block_merge_implIS3_PaN6thrust23THRUST_200600_302600_NS10device_ptrIlEEjNS1_19radix_merge_compareILb0ELb0EaNS0_19identity_decomposerEEEEE10hipError_tT0_T1_T2_jT3_P12ihipStream_tbPNSt15iterator_traitsISG_E10value_typeEPNSM_ISH_E10value_typeEPSI_NS1_7vsmem_tEENKUlT_SG_SH_SI_E_clIS7_S7_PlSB_EESF_SV_SG_SH_SI_EUlSV_E1_NS1_11comp_targetILNS1_3genE2ELNS1_11target_archE906ELNS1_3gpuE6ELNS1_3repE0EEENS1_36merge_oddeven_config_static_selectorELNS0_4arch9wavefront6targetE1EEEvSH_,"axG",@progbits,_ZN7rocprim17ROCPRIM_400000_NS6detail17trampoline_kernelINS0_14default_configENS1_38merge_sort_block_merge_config_selectorIalEEZZNS1_27merge_sort_block_merge_implIS3_PaN6thrust23THRUST_200600_302600_NS10device_ptrIlEEjNS1_19radix_merge_compareILb0ELb0EaNS0_19identity_decomposerEEEEE10hipError_tT0_T1_T2_jT3_P12ihipStream_tbPNSt15iterator_traitsISG_E10value_typeEPNSM_ISH_E10value_typeEPSI_NS1_7vsmem_tEENKUlT_SG_SH_SI_E_clIS7_S7_PlSB_EESF_SV_SG_SH_SI_EUlSV_E1_NS1_11comp_targetILNS1_3genE2ELNS1_11target_archE906ELNS1_3gpuE6ELNS1_3repE0EEENS1_36merge_oddeven_config_static_selectorELNS0_4arch9wavefront6targetE1EEEvSH_,comdat
.Lfunc_end499:
	.size	_ZN7rocprim17ROCPRIM_400000_NS6detail17trampoline_kernelINS0_14default_configENS1_38merge_sort_block_merge_config_selectorIalEEZZNS1_27merge_sort_block_merge_implIS3_PaN6thrust23THRUST_200600_302600_NS10device_ptrIlEEjNS1_19radix_merge_compareILb0ELb0EaNS0_19identity_decomposerEEEEE10hipError_tT0_T1_T2_jT3_P12ihipStream_tbPNSt15iterator_traitsISG_E10value_typeEPNSM_ISH_E10value_typeEPSI_NS1_7vsmem_tEENKUlT_SG_SH_SI_E_clIS7_S7_PlSB_EESF_SV_SG_SH_SI_EUlSV_E1_NS1_11comp_targetILNS1_3genE2ELNS1_11target_archE906ELNS1_3gpuE6ELNS1_3repE0EEENS1_36merge_oddeven_config_static_selectorELNS0_4arch9wavefront6targetE1EEEvSH_, .Lfunc_end499-_ZN7rocprim17ROCPRIM_400000_NS6detail17trampoline_kernelINS0_14default_configENS1_38merge_sort_block_merge_config_selectorIalEEZZNS1_27merge_sort_block_merge_implIS3_PaN6thrust23THRUST_200600_302600_NS10device_ptrIlEEjNS1_19radix_merge_compareILb0ELb0EaNS0_19identity_decomposerEEEEE10hipError_tT0_T1_T2_jT3_P12ihipStream_tbPNSt15iterator_traitsISG_E10value_typeEPNSM_ISH_E10value_typeEPSI_NS1_7vsmem_tEENKUlT_SG_SH_SI_E_clIS7_S7_PlSB_EESF_SV_SG_SH_SI_EUlSV_E1_NS1_11comp_targetILNS1_3genE2ELNS1_11target_archE906ELNS1_3gpuE6ELNS1_3repE0EEENS1_36merge_oddeven_config_static_selectorELNS0_4arch9wavefront6targetE1EEEvSH_
                                        ; -- End function
	.section	.AMDGPU.csdata,"",@progbits
; Kernel info:
; codeLenInByte = 0
; NumSgprs: 4
; NumVgprs: 0
; NumAgprs: 0
; TotalNumVgprs: 0
; ScratchSize: 0
; MemoryBound: 0
; FloatMode: 240
; IeeeMode: 1
; LDSByteSize: 0 bytes/workgroup (compile time only)
; SGPRBlocks: 0
; VGPRBlocks: 0
; NumSGPRsForWavesPerEU: 4
; NumVGPRsForWavesPerEU: 1
; AccumOffset: 4
; Occupancy: 8
; WaveLimiterHint : 0
; COMPUTE_PGM_RSRC2:SCRATCH_EN: 0
; COMPUTE_PGM_RSRC2:USER_SGPR: 6
; COMPUTE_PGM_RSRC2:TRAP_HANDLER: 0
; COMPUTE_PGM_RSRC2:TGID_X_EN: 1
; COMPUTE_PGM_RSRC2:TGID_Y_EN: 0
; COMPUTE_PGM_RSRC2:TGID_Z_EN: 0
; COMPUTE_PGM_RSRC2:TIDIG_COMP_CNT: 0
; COMPUTE_PGM_RSRC3_GFX90A:ACCUM_OFFSET: 0
; COMPUTE_PGM_RSRC3_GFX90A:TG_SPLIT: 0
	.section	.text._ZN7rocprim17ROCPRIM_400000_NS6detail17trampoline_kernelINS0_14default_configENS1_38merge_sort_block_merge_config_selectorIalEEZZNS1_27merge_sort_block_merge_implIS3_PaN6thrust23THRUST_200600_302600_NS10device_ptrIlEEjNS1_19radix_merge_compareILb0ELb0EaNS0_19identity_decomposerEEEEE10hipError_tT0_T1_T2_jT3_P12ihipStream_tbPNSt15iterator_traitsISG_E10value_typeEPNSM_ISH_E10value_typeEPSI_NS1_7vsmem_tEENKUlT_SG_SH_SI_E_clIS7_S7_PlSB_EESF_SV_SG_SH_SI_EUlSV_E1_NS1_11comp_targetILNS1_3genE9ELNS1_11target_archE1100ELNS1_3gpuE3ELNS1_3repE0EEENS1_36merge_oddeven_config_static_selectorELNS0_4arch9wavefront6targetE1EEEvSH_,"axG",@progbits,_ZN7rocprim17ROCPRIM_400000_NS6detail17trampoline_kernelINS0_14default_configENS1_38merge_sort_block_merge_config_selectorIalEEZZNS1_27merge_sort_block_merge_implIS3_PaN6thrust23THRUST_200600_302600_NS10device_ptrIlEEjNS1_19radix_merge_compareILb0ELb0EaNS0_19identity_decomposerEEEEE10hipError_tT0_T1_T2_jT3_P12ihipStream_tbPNSt15iterator_traitsISG_E10value_typeEPNSM_ISH_E10value_typeEPSI_NS1_7vsmem_tEENKUlT_SG_SH_SI_E_clIS7_S7_PlSB_EESF_SV_SG_SH_SI_EUlSV_E1_NS1_11comp_targetILNS1_3genE9ELNS1_11target_archE1100ELNS1_3gpuE3ELNS1_3repE0EEENS1_36merge_oddeven_config_static_selectorELNS0_4arch9wavefront6targetE1EEEvSH_,comdat
	.protected	_ZN7rocprim17ROCPRIM_400000_NS6detail17trampoline_kernelINS0_14default_configENS1_38merge_sort_block_merge_config_selectorIalEEZZNS1_27merge_sort_block_merge_implIS3_PaN6thrust23THRUST_200600_302600_NS10device_ptrIlEEjNS1_19radix_merge_compareILb0ELb0EaNS0_19identity_decomposerEEEEE10hipError_tT0_T1_T2_jT3_P12ihipStream_tbPNSt15iterator_traitsISG_E10value_typeEPNSM_ISH_E10value_typeEPSI_NS1_7vsmem_tEENKUlT_SG_SH_SI_E_clIS7_S7_PlSB_EESF_SV_SG_SH_SI_EUlSV_E1_NS1_11comp_targetILNS1_3genE9ELNS1_11target_archE1100ELNS1_3gpuE3ELNS1_3repE0EEENS1_36merge_oddeven_config_static_selectorELNS0_4arch9wavefront6targetE1EEEvSH_ ; -- Begin function _ZN7rocprim17ROCPRIM_400000_NS6detail17trampoline_kernelINS0_14default_configENS1_38merge_sort_block_merge_config_selectorIalEEZZNS1_27merge_sort_block_merge_implIS3_PaN6thrust23THRUST_200600_302600_NS10device_ptrIlEEjNS1_19radix_merge_compareILb0ELb0EaNS0_19identity_decomposerEEEEE10hipError_tT0_T1_T2_jT3_P12ihipStream_tbPNSt15iterator_traitsISG_E10value_typeEPNSM_ISH_E10value_typeEPSI_NS1_7vsmem_tEENKUlT_SG_SH_SI_E_clIS7_S7_PlSB_EESF_SV_SG_SH_SI_EUlSV_E1_NS1_11comp_targetILNS1_3genE9ELNS1_11target_archE1100ELNS1_3gpuE3ELNS1_3repE0EEENS1_36merge_oddeven_config_static_selectorELNS0_4arch9wavefront6targetE1EEEvSH_
	.globl	_ZN7rocprim17ROCPRIM_400000_NS6detail17trampoline_kernelINS0_14default_configENS1_38merge_sort_block_merge_config_selectorIalEEZZNS1_27merge_sort_block_merge_implIS3_PaN6thrust23THRUST_200600_302600_NS10device_ptrIlEEjNS1_19radix_merge_compareILb0ELb0EaNS0_19identity_decomposerEEEEE10hipError_tT0_T1_T2_jT3_P12ihipStream_tbPNSt15iterator_traitsISG_E10value_typeEPNSM_ISH_E10value_typeEPSI_NS1_7vsmem_tEENKUlT_SG_SH_SI_E_clIS7_S7_PlSB_EESF_SV_SG_SH_SI_EUlSV_E1_NS1_11comp_targetILNS1_3genE9ELNS1_11target_archE1100ELNS1_3gpuE3ELNS1_3repE0EEENS1_36merge_oddeven_config_static_selectorELNS0_4arch9wavefront6targetE1EEEvSH_
	.p2align	8
	.type	_ZN7rocprim17ROCPRIM_400000_NS6detail17trampoline_kernelINS0_14default_configENS1_38merge_sort_block_merge_config_selectorIalEEZZNS1_27merge_sort_block_merge_implIS3_PaN6thrust23THRUST_200600_302600_NS10device_ptrIlEEjNS1_19radix_merge_compareILb0ELb0EaNS0_19identity_decomposerEEEEE10hipError_tT0_T1_T2_jT3_P12ihipStream_tbPNSt15iterator_traitsISG_E10value_typeEPNSM_ISH_E10value_typeEPSI_NS1_7vsmem_tEENKUlT_SG_SH_SI_E_clIS7_S7_PlSB_EESF_SV_SG_SH_SI_EUlSV_E1_NS1_11comp_targetILNS1_3genE9ELNS1_11target_archE1100ELNS1_3gpuE3ELNS1_3repE0EEENS1_36merge_oddeven_config_static_selectorELNS0_4arch9wavefront6targetE1EEEvSH_,@function
_ZN7rocprim17ROCPRIM_400000_NS6detail17trampoline_kernelINS0_14default_configENS1_38merge_sort_block_merge_config_selectorIalEEZZNS1_27merge_sort_block_merge_implIS3_PaN6thrust23THRUST_200600_302600_NS10device_ptrIlEEjNS1_19radix_merge_compareILb0ELb0EaNS0_19identity_decomposerEEEEE10hipError_tT0_T1_T2_jT3_P12ihipStream_tbPNSt15iterator_traitsISG_E10value_typeEPNSM_ISH_E10value_typeEPSI_NS1_7vsmem_tEENKUlT_SG_SH_SI_E_clIS7_S7_PlSB_EESF_SV_SG_SH_SI_EUlSV_E1_NS1_11comp_targetILNS1_3genE9ELNS1_11target_archE1100ELNS1_3gpuE3ELNS1_3repE0EEENS1_36merge_oddeven_config_static_selectorELNS0_4arch9wavefront6targetE1EEEvSH_: ; @_ZN7rocprim17ROCPRIM_400000_NS6detail17trampoline_kernelINS0_14default_configENS1_38merge_sort_block_merge_config_selectorIalEEZZNS1_27merge_sort_block_merge_implIS3_PaN6thrust23THRUST_200600_302600_NS10device_ptrIlEEjNS1_19radix_merge_compareILb0ELb0EaNS0_19identity_decomposerEEEEE10hipError_tT0_T1_T2_jT3_P12ihipStream_tbPNSt15iterator_traitsISG_E10value_typeEPNSM_ISH_E10value_typeEPSI_NS1_7vsmem_tEENKUlT_SG_SH_SI_E_clIS7_S7_PlSB_EESF_SV_SG_SH_SI_EUlSV_E1_NS1_11comp_targetILNS1_3genE9ELNS1_11target_archE1100ELNS1_3gpuE3ELNS1_3repE0EEENS1_36merge_oddeven_config_static_selectorELNS0_4arch9wavefront6targetE1EEEvSH_
; %bb.0:
	.section	.rodata,"a",@progbits
	.p2align	6, 0x0
	.amdhsa_kernel _ZN7rocprim17ROCPRIM_400000_NS6detail17trampoline_kernelINS0_14default_configENS1_38merge_sort_block_merge_config_selectorIalEEZZNS1_27merge_sort_block_merge_implIS3_PaN6thrust23THRUST_200600_302600_NS10device_ptrIlEEjNS1_19radix_merge_compareILb0ELb0EaNS0_19identity_decomposerEEEEE10hipError_tT0_T1_T2_jT3_P12ihipStream_tbPNSt15iterator_traitsISG_E10value_typeEPNSM_ISH_E10value_typeEPSI_NS1_7vsmem_tEENKUlT_SG_SH_SI_E_clIS7_S7_PlSB_EESF_SV_SG_SH_SI_EUlSV_E1_NS1_11comp_targetILNS1_3genE9ELNS1_11target_archE1100ELNS1_3gpuE3ELNS1_3repE0EEENS1_36merge_oddeven_config_static_selectorELNS0_4arch9wavefront6targetE1EEEvSH_
		.amdhsa_group_segment_fixed_size 0
		.amdhsa_private_segment_fixed_size 0
		.amdhsa_kernarg_size 48
		.amdhsa_user_sgpr_count 6
		.amdhsa_user_sgpr_private_segment_buffer 1
		.amdhsa_user_sgpr_dispatch_ptr 0
		.amdhsa_user_sgpr_queue_ptr 0
		.amdhsa_user_sgpr_kernarg_segment_ptr 1
		.amdhsa_user_sgpr_dispatch_id 0
		.amdhsa_user_sgpr_flat_scratch_init 0
		.amdhsa_user_sgpr_kernarg_preload_length 0
		.amdhsa_user_sgpr_kernarg_preload_offset 0
		.amdhsa_user_sgpr_private_segment_size 0
		.amdhsa_uses_dynamic_stack 0
		.amdhsa_system_sgpr_private_segment_wavefront_offset 0
		.amdhsa_system_sgpr_workgroup_id_x 1
		.amdhsa_system_sgpr_workgroup_id_y 0
		.amdhsa_system_sgpr_workgroup_id_z 0
		.amdhsa_system_sgpr_workgroup_info 0
		.amdhsa_system_vgpr_workitem_id 0
		.amdhsa_next_free_vgpr 1
		.amdhsa_next_free_sgpr 0
		.amdhsa_accum_offset 4
		.amdhsa_reserve_vcc 0
		.amdhsa_reserve_flat_scratch 0
		.amdhsa_float_round_mode_32 0
		.amdhsa_float_round_mode_16_64 0
		.amdhsa_float_denorm_mode_32 3
		.amdhsa_float_denorm_mode_16_64 3
		.amdhsa_dx10_clamp 1
		.amdhsa_ieee_mode 1
		.amdhsa_fp16_overflow 0
		.amdhsa_tg_split 0
		.amdhsa_exception_fp_ieee_invalid_op 0
		.amdhsa_exception_fp_denorm_src 0
		.amdhsa_exception_fp_ieee_div_zero 0
		.amdhsa_exception_fp_ieee_overflow 0
		.amdhsa_exception_fp_ieee_underflow 0
		.amdhsa_exception_fp_ieee_inexact 0
		.amdhsa_exception_int_div_zero 0
	.end_amdhsa_kernel
	.section	.text._ZN7rocprim17ROCPRIM_400000_NS6detail17trampoline_kernelINS0_14default_configENS1_38merge_sort_block_merge_config_selectorIalEEZZNS1_27merge_sort_block_merge_implIS3_PaN6thrust23THRUST_200600_302600_NS10device_ptrIlEEjNS1_19radix_merge_compareILb0ELb0EaNS0_19identity_decomposerEEEEE10hipError_tT0_T1_T2_jT3_P12ihipStream_tbPNSt15iterator_traitsISG_E10value_typeEPNSM_ISH_E10value_typeEPSI_NS1_7vsmem_tEENKUlT_SG_SH_SI_E_clIS7_S7_PlSB_EESF_SV_SG_SH_SI_EUlSV_E1_NS1_11comp_targetILNS1_3genE9ELNS1_11target_archE1100ELNS1_3gpuE3ELNS1_3repE0EEENS1_36merge_oddeven_config_static_selectorELNS0_4arch9wavefront6targetE1EEEvSH_,"axG",@progbits,_ZN7rocprim17ROCPRIM_400000_NS6detail17trampoline_kernelINS0_14default_configENS1_38merge_sort_block_merge_config_selectorIalEEZZNS1_27merge_sort_block_merge_implIS3_PaN6thrust23THRUST_200600_302600_NS10device_ptrIlEEjNS1_19radix_merge_compareILb0ELb0EaNS0_19identity_decomposerEEEEE10hipError_tT0_T1_T2_jT3_P12ihipStream_tbPNSt15iterator_traitsISG_E10value_typeEPNSM_ISH_E10value_typeEPSI_NS1_7vsmem_tEENKUlT_SG_SH_SI_E_clIS7_S7_PlSB_EESF_SV_SG_SH_SI_EUlSV_E1_NS1_11comp_targetILNS1_3genE9ELNS1_11target_archE1100ELNS1_3gpuE3ELNS1_3repE0EEENS1_36merge_oddeven_config_static_selectorELNS0_4arch9wavefront6targetE1EEEvSH_,comdat
.Lfunc_end500:
	.size	_ZN7rocprim17ROCPRIM_400000_NS6detail17trampoline_kernelINS0_14default_configENS1_38merge_sort_block_merge_config_selectorIalEEZZNS1_27merge_sort_block_merge_implIS3_PaN6thrust23THRUST_200600_302600_NS10device_ptrIlEEjNS1_19radix_merge_compareILb0ELb0EaNS0_19identity_decomposerEEEEE10hipError_tT0_T1_T2_jT3_P12ihipStream_tbPNSt15iterator_traitsISG_E10value_typeEPNSM_ISH_E10value_typeEPSI_NS1_7vsmem_tEENKUlT_SG_SH_SI_E_clIS7_S7_PlSB_EESF_SV_SG_SH_SI_EUlSV_E1_NS1_11comp_targetILNS1_3genE9ELNS1_11target_archE1100ELNS1_3gpuE3ELNS1_3repE0EEENS1_36merge_oddeven_config_static_selectorELNS0_4arch9wavefront6targetE1EEEvSH_, .Lfunc_end500-_ZN7rocprim17ROCPRIM_400000_NS6detail17trampoline_kernelINS0_14default_configENS1_38merge_sort_block_merge_config_selectorIalEEZZNS1_27merge_sort_block_merge_implIS3_PaN6thrust23THRUST_200600_302600_NS10device_ptrIlEEjNS1_19radix_merge_compareILb0ELb0EaNS0_19identity_decomposerEEEEE10hipError_tT0_T1_T2_jT3_P12ihipStream_tbPNSt15iterator_traitsISG_E10value_typeEPNSM_ISH_E10value_typeEPSI_NS1_7vsmem_tEENKUlT_SG_SH_SI_E_clIS7_S7_PlSB_EESF_SV_SG_SH_SI_EUlSV_E1_NS1_11comp_targetILNS1_3genE9ELNS1_11target_archE1100ELNS1_3gpuE3ELNS1_3repE0EEENS1_36merge_oddeven_config_static_selectorELNS0_4arch9wavefront6targetE1EEEvSH_
                                        ; -- End function
	.section	.AMDGPU.csdata,"",@progbits
; Kernel info:
; codeLenInByte = 0
; NumSgprs: 4
; NumVgprs: 0
; NumAgprs: 0
; TotalNumVgprs: 0
; ScratchSize: 0
; MemoryBound: 0
; FloatMode: 240
; IeeeMode: 1
; LDSByteSize: 0 bytes/workgroup (compile time only)
; SGPRBlocks: 0
; VGPRBlocks: 0
; NumSGPRsForWavesPerEU: 4
; NumVGPRsForWavesPerEU: 1
; AccumOffset: 4
; Occupancy: 8
; WaveLimiterHint : 0
; COMPUTE_PGM_RSRC2:SCRATCH_EN: 0
; COMPUTE_PGM_RSRC2:USER_SGPR: 6
; COMPUTE_PGM_RSRC2:TRAP_HANDLER: 0
; COMPUTE_PGM_RSRC2:TGID_X_EN: 1
; COMPUTE_PGM_RSRC2:TGID_Y_EN: 0
; COMPUTE_PGM_RSRC2:TGID_Z_EN: 0
; COMPUTE_PGM_RSRC2:TIDIG_COMP_CNT: 0
; COMPUTE_PGM_RSRC3_GFX90A:ACCUM_OFFSET: 0
; COMPUTE_PGM_RSRC3_GFX90A:TG_SPLIT: 0
	.section	.text._ZN7rocprim17ROCPRIM_400000_NS6detail17trampoline_kernelINS0_14default_configENS1_38merge_sort_block_merge_config_selectorIalEEZZNS1_27merge_sort_block_merge_implIS3_PaN6thrust23THRUST_200600_302600_NS10device_ptrIlEEjNS1_19radix_merge_compareILb0ELb0EaNS0_19identity_decomposerEEEEE10hipError_tT0_T1_T2_jT3_P12ihipStream_tbPNSt15iterator_traitsISG_E10value_typeEPNSM_ISH_E10value_typeEPSI_NS1_7vsmem_tEENKUlT_SG_SH_SI_E_clIS7_S7_PlSB_EESF_SV_SG_SH_SI_EUlSV_E1_NS1_11comp_targetILNS1_3genE8ELNS1_11target_archE1030ELNS1_3gpuE2ELNS1_3repE0EEENS1_36merge_oddeven_config_static_selectorELNS0_4arch9wavefront6targetE1EEEvSH_,"axG",@progbits,_ZN7rocprim17ROCPRIM_400000_NS6detail17trampoline_kernelINS0_14default_configENS1_38merge_sort_block_merge_config_selectorIalEEZZNS1_27merge_sort_block_merge_implIS3_PaN6thrust23THRUST_200600_302600_NS10device_ptrIlEEjNS1_19radix_merge_compareILb0ELb0EaNS0_19identity_decomposerEEEEE10hipError_tT0_T1_T2_jT3_P12ihipStream_tbPNSt15iterator_traitsISG_E10value_typeEPNSM_ISH_E10value_typeEPSI_NS1_7vsmem_tEENKUlT_SG_SH_SI_E_clIS7_S7_PlSB_EESF_SV_SG_SH_SI_EUlSV_E1_NS1_11comp_targetILNS1_3genE8ELNS1_11target_archE1030ELNS1_3gpuE2ELNS1_3repE0EEENS1_36merge_oddeven_config_static_selectorELNS0_4arch9wavefront6targetE1EEEvSH_,comdat
	.protected	_ZN7rocprim17ROCPRIM_400000_NS6detail17trampoline_kernelINS0_14default_configENS1_38merge_sort_block_merge_config_selectorIalEEZZNS1_27merge_sort_block_merge_implIS3_PaN6thrust23THRUST_200600_302600_NS10device_ptrIlEEjNS1_19radix_merge_compareILb0ELb0EaNS0_19identity_decomposerEEEEE10hipError_tT0_T1_T2_jT3_P12ihipStream_tbPNSt15iterator_traitsISG_E10value_typeEPNSM_ISH_E10value_typeEPSI_NS1_7vsmem_tEENKUlT_SG_SH_SI_E_clIS7_S7_PlSB_EESF_SV_SG_SH_SI_EUlSV_E1_NS1_11comp_targetILNS1_3genE8ELNS1_11target_archE1030ELNS1_3gpuE2ELNS1_3repE0EEENS1_36merge_oddeven_config_static_selectorELNS0_4arch9wavefront6targetE1EEEvSH_ ; -- Begin function _ZN7rocprim17ROCPRIM_400000_NS6detail17trampoline_kernelINS0_14default_configENS1_38merge_sort_block_merge_config_selectorIalEEZZNS1_27merge_sort_block_merge_implIS3_PaN6thrust23THRUST_200600_302600_NS10device_ptrIlEEjNS1_19radix_merge_compareILb0ELb0EaNS0_19identity_decomposerEEEEE10hipError_tT0_T1_T2_jT3_P12ihipStream_tbPNSt15iterator_traitsISG_E10value_typeEPNSM_ISH_E10value_typeEPSI_NS1_7vsmem_tEENKUlT_SG_SH_SI_E_clIS7_S7_PlSB_EESF_SV_SG_SH_SI_EUlSV_E1_NS1_11comp_targetILNS1_3genE8ELNS1_11target_archE1030ELNS1_3gpuE2ELNS1_3repE0EEENS1_36merge_oddeven_config_static_selectorELNS0_4arch9wavefront6targetE1EEEvSH_
	.globl	_ZN7rocprim17ROCPRIM_400000_NS6detail17trampoline_kernelINS0_14default_configENS1_38merge_sort_block_merge_config_selectorIalEEZZNS1_27merge_sort_block_merge_implIS3_PaN6thrust23THRUST_200600_302600_NS10device_ptrIlEEjNS1_19radix_merge_compareILb0ELb0EaNS0_19identity_decomposerEEEEE10hipError_tT0_T1_T2_jT3_P12ihipStream_tbPNSt15iterator_traitsISG_E10value_typeEPNSM_ISH_E10value_typeEPSI_NS1_7vsmem_tEENKUlT_SG_SH_SI_E_clIS7_S7_PlSB_EESF_SV_SG_SH_SI_EUlSV_E1_NS1_11comp_targetILNS1_3genE8ELNS1_11target_archE1030ELNS1_3gpuE2ELNS1_3repE0EEENS1_36merge_oddeven_config_static_selectorELNS0_4arch9wavefront6targetE1EEEvSH_
	.p2align	8
	.type	_ZN7rocprim17ROCPRIM_400000_NS6detail17trampoline_kernelINS0_14default_configENS1_38merge_sort_block_merge_config_selectorIalEEZZNS1_27merge_sort_block_merge_implIS3_PaN6thrust23THRUST_200600_302600_NS10device_ptrIlEEjNS1_19radix_merge_compareILb0ELb0EaNS0_19identity_decomposerEEEEE10hipError_tT0_T1_T2_jT3_P12ihipStream_tbPNSt15iterator_traitsISG_E10value_typeEPNSM_ISH_E10value_typeEPSI_NS1_7vsmem_tEENKUlT_SG_SH_SI_E_clIS7_S7_PlSB_EESF_SV_SG_SH_SI_EUlSV_E1_NS1_11comp_targetILNS1_3genE8ELNS1_11target_archE1030ELNS1_3gpuE2ELNS1_3repE0EEENS1_36merge_oddeven_config_static_selectorELNS0_4arch9wavefront6targetE1EEEvSH_,@function
_ZN7rocprim17ROCPRIM_400000_NS6detail17trampoline_kernelINS0_14default_configENS1_38merge_sort_block_merge_config_selectorIalEEZZNS1_27merge_sort_block_merge_implIS3_PaN6thrust23THRUST_200600_302600_NS10device_ptrIlEEjNS1_19radix_merge_compareILb0ELb0EaNS0_19identity_decomposerEEEEE10hipError_tT0_T1_T2_jT3_P12ihipStream_tbPNSt15iterator_traitsISG_E10value_typeEPNSM_ISH_E10value_typeEPSI_NS1_7vsmem_tEENKUlT_SG_SH_SI_E_clIS7_S7_PlSB_EESF_SV_SG_SH_SI_EUlSV_E1_NS1_11comp_targetILNS1_3genE8ELNS1_11target_archE1030ELNS1_3gpuE2ELNS1_3repE0EEENS1_36merge_oddeven_config_static_selectorELNS0_4arch9wavefront6targetE1EEEvSH_: ; @_ZN7rocprim17ROCPRIM_400000_NS6detail17trampoline_kernelINS0_14default_configENS1_38merge_sort_block_merge_config_selectorIalEEZZNS1_27merge_sort_block_merge_implIS3_PaN6thrust23THRUST_200600_302600_NS10device_ptrIlEEjNS1_19radix_merge_compareILb0ELb0EaNS0_19identity_decomposerEEEEE10hipError_tT0_T1_T2_jT3_P12ihipStream_tbPNSt15iterator_traitsISG_E10value_typeEPNSM_ISH_E10value_typeEPSI_NS1_7vsmem_tEENKUlT_SG_SH_SI_E_clIS7_S7_PlSB_EESF_SV_SG_SH_SI_EUlSV_E1_NS1_11comp_targetILNS1_3genE8ELNS1_11target_archE1030ELNS1_3gpuE2ELNS1_3repE0EEENS1_36merge_oddeven_config_static_selectorELNS0_4arch9wavefront6targetE1EEEvSH_
; %bb.0:
	.section	.rodata,"a",@progbits
	.p2align	6, 0x0
	.amdhsa_kernel _ZN7rocprim17ROCPRIM_400000_NS6detail17trampoline_kernelINS0_14default_configENS1_38merge_sort_block_merge_config_selectorIalEEZZNS1_27merge_sort_block_merge_implIS3_PaN6thrust23THRUST_200600_302600_NS10device_ptrIlEEjNS1_19radix_merge_compareILb0ELb0EaNS0_19identity_decomposerEEEEE10hipError_tT0_T1_T2_jT3_P12ihipStream_tbPNSt15iterator_traitsISG_E10value_typeEPNSM_ISH_E10value_typeEPSI_NS1_7vsmem_tEENKUlT_SG_SH_SI_E_clIS7_S7_PlSB_EESF_SV_SG_SH_SI_EUlSV_E1_NS1_11comp_targetILNS1_3genE8ELNS1_11target_archE1030ELNS1_3gpuE2ELNS1_3repE0EEENS1_36merge_oddeven_config_static_selectorELNS0_4arch9wavefront6targetE1EEEvSH_
		.amdhsa_group_segment_fixed_size 0
		.amdhsa_private_segment_fixed_size 0
		.amdhsa_kernarg_size 48
		.amdhsa_user_sgpr_count 6
		.amdhsa_user_sgpr_private_segment_buffer 1
		.amdhsa_user_sgpr_dispatch_ptr 0
		.amdhsa_user_sgpr_queue_ptr 0
		.amdhsa_user_sgpr_kernarg_segment_ptr 1
		.amdhsa_user_sgpr_dispatch_id 0
		.amdhsa_user_sgpr_flat_scratch_init 0
		.amdhsa_user_sgpr_kernarg_preload_length 0
		.amdhsa_user_sgpr_kernarg_preload_offset 0
		.amdhsa_user_sgpr_private_segment_size 0
		.amdhsa_uses_dynamic_stack 0
		.amdhsa_system_sgpr_private_segment_wavefront_offset 0
		.amdhsa_system_sgpr_workgroup_id_x 1
		.amdhsa_system_sgpr_workgroup_id_y 0
		.amdhsa_system_sgpr_workgroup_id_z 0
		.amdhsa_system_sgpr_workgroup_info 0
		.amdhsa_system_vgpr_workitem_id 0
		.amdhsa_next_free_vgpr 1
		.amdhsa_next_free_sgpr 0
		.amdhsa_accum_offset 4
		.amdhsa_reserve_vcc 0
		.amdhsa_reserve_flat_scratch 0
		.amdhsa_float_round_mode_32 0
		.amdhsa_float_round_mode_16_64 0
		.amdhsa_float_denorm_mode_32 3
		.amdhsa_float_denorm_mode_16_64 3
		.amdhsa_dx10_clamp 1
		.amdhsa_ieee_mode 1
		.amdhsa_fp16_overflow 0
		.amdhsa_tg_split 0
		.amdhsa_exception_fp_ieee_invalid_op 0
		.amdhsa_exception_fp_denorm_src 0
		.amdhsa_exception_fp_ieee_div_zero 0
		.amdhsa_exception_fp_ieee_overflow 0
		.amdhsa_exception_fp_ieee_underflow 0
		.amdhsa_exception_fp_ieee_inexact 0
		.amdhsa_exception_int_div_zero 0
	.end_amdhsa_kernel
	.section	.text._ZN7rocprim17ROCPRIM_400000_NS6detail17trampoline_kernelINS0_14default_configENS1_38merge_sort_block_merge_config_selectorIalEEZZNS1_27merge_sort_block_merge_implIS3_PaN6thrust23THRUST_200600_302600_NS10device_ptrIlEEjNS1_19radix_merge_compareILb0ELb0EaNS0_19identity_decomposerEEEEE10hipError_tT0_T1_T2_jT3_P12ihipStream_tbPNSt15iterator_traitsISG_E10value_typeEPNSM_ISH_E10value_typeEPSI_NS1_7vsmem_tEENKUlT_SG_SH_SI_E_clIS7_S7_PlSB_EESF_SV_SG_SH_SI_EUlSV_E1_NS1_11comp_targetILNS1_3genE8ELNS1_11target_archE1030ELNS1_3gpuE2ELNS1_3repE0EEENS1_36merge_oddeven_config_static_selectorELNS0_4arch9wavefront6targetE1EEEvSH_,"axG",@progbits,_ZN7rocprim17ROCPRIM_400000_NS6detail17trampoline_kernelINS0_14default_configENS1_38merge_sort_block_merge_config_selectorIalEEZZNS1_27merge_sort_block_merge_implIS3_PaN6thrust23THRUST_200600_302600_NS10device_ptrIlEEjNS1_19radix_merge_compareILb0ELb0EaNS0_19identity_decomposerEEEEE10hipError_tT0_T1_T2_jT3_P12ihipStream_tbPNSt15iterator_traitsISG_E10value_typeEPNSM_ISH_E10value_typeEPSI_NS1_7vsmem_tEENKUlT_SG_SH_SI_E_clIS7_S7_PlSB_EESF_SV_SG_SH_SI_EUlSV_E1_NS1_11comp_targetILNS1_3genE8ELNS1_11target_archE1030ELNS1_3gpuE2ELNS1_3repE0EEENS1_36merge_oddeven_config_static_selectorELNS0_4arch9wavefront6targetE1EEEvSH_,comdat
.Lfunc_end501:
	.size	_ZN7rocprim17ROCPRIM_400000_NS6detail17trampoline_kernelINS0_14default_configENS1_38merge_sort_block_merge_config_selectorIalEEZZNS1_27merge_sort_block_merge_implIS3_PaN6thrust23THRUST_200600_302600_NS10device_ptrIlEEjNS1_19radix_merge_compareILb0ELb0EaNS0_19identity_decomposerEEEEE10hipError_tT0_T1_T2_jT3_P12ihipStream_tbPNSt15iterator_traitsISG_E10value_typeEPNSM_ISH_E10value_typeEPSI_NS1_7vsmem_tEENKUlT_SG_SH_SI_E_clIS7_S7_PlSB_EESF_SV_SG_SH_SI_EUlSV_E1_NS1_11comp_targetILNS1_3genE8ELNS1_11target_archE1030ELNS1_3gpuE2ELNS1_3repE0EEENS1_36merge_oddeven_config_static_selectorELNS0_4arch9wavefront6targetE1EEEvSH_, .Lfunc_end501-_ZN7rocprim17ROCPRIM_400000_NS6detail17trampoline_kernelINS0_14default_configENS1_38merge_sort_block_merge_config_selectorIalEEZZNS1_27merge_sort_block_merge_implIS3_PaN6thrust23THRUST_200600_302600_NS10device_ptrIlEEjNS1_19radix_merge_compareILb0ELb0EaNS0_19identity_decomposerEEEEE10hipError_tT0_T1_T2_jT3_P12ihipStream_tbPNSt15iterator_traitsISG_E10value_typeEPNSM_ISH_E10value_typeEPSI_NS1_7vsmem_tEENKUlT_SG_SH_SI_E_clIS7_S7_PlSB_EESF_SV_SG_SH_SI_EUlSV_E1_NS1_11comp_targetILNS1_3genE8ELNS1_11target_archE1030ELNS1_3gpuE2ELNS1_3repE0EEENS1_36merge_oddeven_config_static_selectorELNS0_4arch9wavefront6targetE1EEEvSH_
                                        ; -- End function
	.section	.AMDGPU.csdata,"",@progbits
; Kernel info:
; codeLenInByte = 0
; NumSgprs: 4
; NumVgprs: 0
; NumAgprs: 0
; TotalNumVgprs: 0
; ScratchSize: 0
; MemoryBound: 0
; FloatMode: 240
; IeeeMode: 1
; LDSByteSize: 0 bytes/workgroup (compile time only)
; SGPRBlocks: 0
; VGPRBlocks: 0
; NumSGPRsForWavesPerEU: 4
; NumVGPRsForWavesPerEU: 1
; AccumOffset: 4
; Occupancy: 8
; WaveLimiterHint : 0
; COMPUTE_PGM_RSRC2:SCRATCH_EN: 0
; COMPUTE_PGM_RSRC2:USER_SGPR: 6
; COMPUTE_PGM_RSRC2:TRAP_HANDLER: 0
; COMPUTE_PGM_RSRC2:TGID_X_EN: 1
; COMPUTE_PGM_RSRC2:TGID_Y_EN: 0
; COMPUTE_PGM_RSRC2:TGID_Z_EN: 0
; COMPUTE_PGM_RSRC2:TIDIG_COMP_CNT: 0
; COMPUTE_PGM_RSRC3_GFX90A:ACCUM_OFFSET: 0
; COMPUTE_PGM_RSRC3_GFX90A:TG_SPLIT: 0
	.section	.text._ZN7rocprim17ROCPRIM_400000_NS6detail17trampoline_kernelINS0_14default_configENS1_38merge_sort_block_merge_config_selectorIalEEZZNS1_27merge_sort_block_merge_implIS3_PaN6thrust23THRUST_200600_302600_NS10device_ptrIlEEjNS1_19radix_merge_compareILb0ELb0EaNS0_19identity_decomposerEEEEE10hipError_tT0_T1_T2_jT3_P12ihipStream_tbPNSt15iterator_traitsISG_E10value_typeEPNSM_ISH_E10value_typeEPSI_NS1_7vsmem_tEENKUlT_SG_SH_SI_E_clIS7_S7_SB_PlEESF_SV_SG_SH_SI_EUlSV_E_NS1_11comp_targetILNS1_3genE0ELNS1_11target_archE4294967295ELNS1_3gpuE0ELNS1_3repE0EEENS1_48merge_mergepath_partition_config_static_selectorELNS0_4arch9wavefront6targetE1EEEvSH_,"axG",@progbits,_ZN7rocprim17ROCPRIM_400000_NS6detail17trampoline_kernelINS0_14default_configENS1_38merge_sort_block_merge_config_selectorIalEEZZNS1_27merge_sort_block_merge_implIS3_PaN6thrust23THRUST_200600_302600_NS10device_ptrIlEEjNS1_19radix_merge_compareILb0ELb0EaNS0_19identity_decomposerEEEEE10hipError_tT0_T1_T2_jT3_P12ihipStream_tbPNSt15iterator_traitsISG_E10value_typeEPNSM_ISH_E10value_typeEPSI_NS1_7vsmem_tEENKUlT_SG_SH_SI_E_clIS7_S7_SB_PlEESF_SV_SG_SH_SI_EUlSV_E_NS1_11comp_targetILNS1_3genE0ELNS1_11target_archE4294967295ELNS1_3gpuE0ELNS1_3repE0EEENS1_48merge_mergepath_partition_config_static_selectorELNS0_4arch9wavefront6targetE1EEEvSH_,comdat
	.protected	_ZN7rocprim17ROCPRIM_400000_NS6detail17trampoline_kernelINS0_14default_configENS1_38merge_sort_block_merge_config_selectorIalEEZZNS1_27merge_sort_block_merge_implIS3_PaN6thrust23THRUST_200600_302600_NS10device_ptrIlEEjNS1_19radix_merge_compareILb0ELb0EaNS0_19identity_decomposerEEEEE10hipError_tT0_T1_T2_jT3_P12ihipStream_tbPNSt15iterator_traitsISG_E10value_typeEPNSM_ISH_E10value_typeEPSI_NS1_7vsmem_tEENKUlT_SG_SH_SI_E_clIS7_S7_SB_PlEESF_SV_SG_SH_SI_EUlSV_E_NS1_11comp_targetILNS1_3genE0ELNS1_11target_archE4294967295ELNS1_3gpuE0ELNS1_3repE0EEENS1_48merge_mergepath_partition_config_static_selectorELNS0_4arch9wavefront6targetE1EEEvSH_ ; -- Begin function _ZN7rocprim17ROCPRIM_400000_NS6detail17trampoline_kernelINS0_14default_configENS1_38merge_sort_block_merge_config_selectorIalEEZZNS1_27merge_sort_block_merge_implIS3_PaN6thrust23THRUST_200600_302600_NS10device_ptrIlEEjNS1_19radix_merge_compareILb0ELb0EaNS0_19identity_decomposerEEEEE10hipError_tT0_T1_T2_jT3_P12ihipStream_tbPNSt15iterator_traitsISG_E10value_typeEPNSM_ISH_E10value_typeEPSI_NS1_7vsmem_tEENKUlT_SG_SH_SI_E_clIS7_S7_SB_PlEESF_SV_SG_SH_SI_EUlSV_E_NS1_11comp_targetILNS1_3genE0ELNS1_11target_archE4294967295ELNS1_3gpuE0ELNS1_3repE0EEENS1_48merge_mergepath_partition_config_static_selectorELNS0_4arch9wavefront6targetE1EEEvSH_
	.globl	_ZN7rocprim17ROCPRIM_400000_NS6detail17trampoline_kernelINS0_14default_configENS1_38merge_sort_block_merge_config_selectorIalEEZZNS1_27merge_sort_block_merge_implIS3_PaN6thrust23THRUST_200600_302600_NS10device_ptrIlEEjNS1_19radix_merge_compareILb0ELb0EaNS0_19identity_decomposerEEEEE10hipError_tT0_T1_T2_jT3_P12ihipStream_tbPNSt15iterator_traitsISG_E10value_typeEPNSM_ISH_E10value_typeEPSI_NS1_7vsmem_tEENKUlT_SG_SH_SI_E_clIS7_S7_SB_PlEESF_SV_SG_SH_SI_EUlSV_E_NS1_11comp_targetILNS1_3genE0ELNS1_11target_archE4294967295ELNS1_3gpuE0ELNS1_3repE0EEENS1_48merge_mergepath_partition_config_static_selectorELNS0_4arch9wavefront6targetE1EEEvSH_
	.p2align	8
	.type	_ZN7rocprim17ROCPRIM_400000_NS6detail17trampoline_kernelINS0_14default_configENS1_38merge_sort_block_merge_config_selectorIalEEZZNS1_27merge_sort_block_merge_implIS3_PaN6thrust23THRUST_200600_302600_NS10device_ptrIlEEjNS1_19radix_merge_compareILb0ELb0EaNS0_19identity_decomposerEEEEE10hipError_tT0_T1_T2_jT3_P12ihipStream_tbPNSt15iterator_traitsISG_E10value_typeEPNSM_ISH_E10value_typeEPSI_NS1_7vsmem_tEENKUlT_SG_SH_SI_E_clIS7_S7_SB_PlEESF_SV_SG_SH_SI_EUlSV_E_NS1_11comp_targetILNS1_3genE0ELNS1_11target_archE4294967295ELNS1_3gpuE0ELNS1_3repE0EEENS1_48merge_mergepath_partition_config_static_selectorELNS0_4arch9wavefront6targetE1EEEvSH_,@function
_ZN7rocprim17ROCPRIM_400000_NS6detail17trampoline_kernelINS0_14default_configENS1_38merge_sort_block_merge_config_selectorIalEEZZNS1_27merge_sort_block_merge_implIS3_PaN6thrust23THRUST_200600_302600_NS10device_ptrIlEEjNS1_19radix_merge_compareILb0ELb0EaNS0_19identity_decomposerEEEEE10hipError_tT0_T1_T2_jT3_P12ihipStream_tbPNSt15iterator_traitsISG_E10value_typeEPNSM_ISH_E10value_typeEPSI_NS1_7vsmem_tEENKUlT_SG_SH_SI_E_clIS7_S7_SB_PlEESF_SV_SG_SH_SI_EUlSV_E_NS1_11comp_targetILNS1_3genE0ELNS1_11target_archE4294967295ELNS1_3gpuE0ELNS1_3repE0EEENS1_48merge_mergepath_partition_config_static_selectorELNS0_4arch9wavefront6targetE1EEEvSH_: ; @_ZN7rocprim17ROCPRIM_400000_NS6detail17trampoline_kernelINS0_14default_configENS1_38merge_sort_block_merge_config_selectorIalEEZZNS1_27merge_sort_block_merge_implIS3_PaN6thrust23THRUST_200600_302600_NS10device_ptrIlEEjNS1_19radix_merge_compareILb0ELb0EaNS0_19identity_decomposerEEEEE10hipError_tT0_T1_T2_jT3_P12ihipStream_tbPNSt15iterator_traitsISG_E10value_typeEPNSM_ISH_E10value_typeEPSI_NS1_7vsmem_tEENKUlT_SG_SH_SI_E_clIS7_S7_SB_PlEESF_SV_SG_SH_SI_EUlSV_E_NS1_11comp_targetILNS1_3genE0ELNS1_11target_archE4294967295ELNS1_3gpuE0ELNS1_3repE0EEENS1_48merge_mergepath_partition_config_static_selectorELNS0_4arch9wavefront6targetE1EEEvSH_
; %bb.0:
	.section	.rodata,"a",@progbits
	.p2align	6, 0x0
	.amdhsa_kernel _ZN7rocprim17ROCPRIM_400000_NS6detail17trampoline_kernelINS0_14default_configENS1_38merge_sort_block_merge_config_selectorIalEEZZNS1_27merge_sort_block_merge_implIS3_PaN6thrust23THRUST_200600_302600_NS10device_ptrIlEEjNS1_19radix_merge_compareILb0ELb0EaNS0_19identity_decomposerEEEEE10hipError_tT0_T1_T2_jT3_P12ihipStream_tbPNSt15iterator_traitsISG_E10value_typeEPNSM_ISH_E10value_typeEPSI_NS1_7vsmem_tEENKUlT_SG_SH_SI_E_clIS7_S7_SB_PlEESF_SV_SG_SH_SI_EUlSV_E_NS1_11comp_targetILNS1_3genE0ELNS1_11target_archE4294967295ELNS1_3gpuE0ELNS1_3repE0EEENS1_48merge_mergepath_partition_config_static_selectorELNS0_4arch9wavefront6targetE1EEEvSH_
		.amdhsa_group_segment_fixed_size 0
		.amdhsa_private_segment_fixed_size 0
		.amdhsa_kernarg_size 40
		.amdhsa_user_sgpr_count 6
		.amdhsa_user_sgpr_private_segment_buffer 1
		.amdhsa_user_sgpr_dispatch_ptr 0
		.amdhsa_user_sgpr_queue_ptr 0
		.amdhsa_user_sgpr_kernarg_segment_ptr 1
		.amdhsa_user_sgpr_dispatch_id 0
		.amdhsa_user_sgpr_flat_scratch_init 0
		.amdhsa_user_sgpr_kernarg_preload_length 0
		.amdhsa_user_sgpr_kernarg_preload_offset 0
		.amdhsa_user_sgpr_private_segment_size 0
		.amdhsa_uses_dynamic_stack 0
		.amdhsa_system_sgpr_private_segment_wavefront_offset 0
		.amdhsa_system_sgpr_workgroup_id_x 1
		.amdhsa_system_sgpr_workgroup_id_y 0
		.amdhsa_system_sgpr_workgroup_id_z 0
		.amdhsa_system_sgpr_workgroup_info 0
		.amdhsa_system_vgpr_workitem_id 0
		.amdhsa_next_free_vgpr 1
		.amdhsa_next_free_sgpr 0
		.amdhsa_accum_offset 4
		.amdhsa_reserve_vcc 0
		.amdhsa_reserve_flat_scratch 0
		.amdhsa_float_round_mode_32 0
		.amdhsa_float_round_mode_16_64 0
		.amdhsa_float_denorm_mode_32 3
		.amdhsa_float_denorm_mode_16_64 3
		.amdhsa_dx10_clamp 1
		.amdhsa_ieee_mode 1
		.amdhsa_fp16_overflow 0
		.amdhsa_tg_split 0
		.amdhsa_exception_fp_ieee_invalid_op 0
		.amdhsa_exception_fp_denorm_src 0
		.amdhsa_exception_fp_ieee_div_zero 0
		.amdhsa_exception_fp_ieee_overflow 0
		.amdhsa_exception_fp_ieee_underflow 0
		.amdhsa_exception_fp_ieee_inexact 0
		.amdhsa_exception_int_div_zero 0
	.end_amdhsa_kernel
	.section	.text._ZN7rocprim17ROCPRIM_400000_NS6detail17trampoline_kernelINS0_14default_configENS1_38merge_sort_block_merge_config_selectorIalEEZZNS1_27merge_sort_block_merge_implIS3_PaN6thrust23THRUST_200600_302600_NS10device_ptrIlEEjNS1_19radix_merge_compareILb0ELb0EaNS0_19identity_decomposerEEEEE10hipError_tT0_T1_T2_jT3_P12ihipStream_tbPNSt15iterator_traitsISG_E10value_typeEPNSM_ISH_E10value_typeEPSI_NS1_7vsmem_tEENKUlT_SG_SH_SI_E_clIS7_S7_SB_PlEESF_SV_SG_SH_SI_EUlSV_E_NS1_11comp_targetILNS1_3genE0ELNS1_11target_archE4294967295ELNS1_3gpuE0ELNS1_3repE0EEENS1_48merge_mergepath_partition_config_static_selectorELNS0_4arch9wavefront6targetE1EEEvSH_,"axG",@progbits,_ZN7rocprim17ROCPRIM_400000_NS6detail17trampoline_kernelINS0_14default_configENS1_38merge_sort_block_merge_config_selectorIalEEZZNS1_27merge_sort_block_merge_implIS3_PaN6thrust23THRUST_200600_302600_NS10device_ptrIlEEjNS1_19radix_merge_compareILb0ELb0EaNS0_19identity_decomposerEEEEE10hipError_tT0_T1_T2_jT3_P12ihipStream_tbPNSt15iterator_traitsISG_E10value_typeEPNSM_ISH_E10value_typeEPSI_NS1_7vsmem_tEENKUlT_SG_SH_SI_E_clIS7_S7_SB_PlEESF_SV_SG_SH_SI_EUlSV_E_NS1_11comp_targetILNS1_3genE0ELNS1_11target_archE4294967295ELNS1_3gpuE0ELNS1_3repE0EEENS1_48merge_mergepath_partition_config_static_selectorELNS0_4arch9wavefront6targetE1EEEvSH_,comdat
.Lfunc_end502:
	.size	_ZN7rocprim17ROCPRIM_400000_NS6detail17trampoline_kernelINS0_14default_configENS1_38merge_sort_block_merge_config_selectorIalEEZZNS1_27merge_sort_block_merge_implIS3_PaN6thrust23THRUST_200600_302600_NS10device_ptrIlEEjNS1_19radix_merge_compareILb0ELb0EaNS0_19identity_decomposerEEEEE10hipError_tT0_T1_T2_jT3_P12ihipStream_tbPNSt15iterator_traitsISG_E10value_typeEPNSM_ISH_E10value_typeEPSI_NS1_7vsmem_tEENKUlT_SG_SH_SI_E_clIS7_S7_SB_PlEESF_SV_SG_SH_SI_EUlSV_E_NS1_11comp_targetILNS1_3genE0ELNS1_11target_archE4294967295ELNS1_3gpuE0ELNS1_3repE0EEENS1_48merge_mergepath_partition_config_static_selectorELNS0_4arch9wavefront6targetE1EEEvSH_, .Lfunc_end502-_ZN7rocprim17ROCPRIM_400000_NS6detail17trampoline_kernelINS0_14default_configENS1_38merge_sort_block_merge_config_selectorIalEEZZNS1_27merge_sort_block_merge_implIS3_PaN6thrust23THRUST_200600_302600_NS10device_ptrIlEEjNS1_19radix_merge_compareILb0ELb0EaNS0_19identity_decomposerEEEEE10hipError_tT0_T1_T2_jT3_P12ihipStream_tbPNSt15iterator_traitsISG_E10value_typeEPNSM_ISH_E10value_typeEPSI_NS1_7vsmem_tEENKUlT_SG_SH_SI_E_clIS7_S7_SB_PlEESF_SV_SG_SH_SI_EUlSV_E_NS1_11comp_targetILNS1_3genE0ELNS1_11target_archE4294967295ELNS1_3gpuE0ELNS1_3repE0EEENS1_48merge_mergepath_partition_config_static_selectorELNS0_4arch9wavefront6targetE1EEEvSH_
                                        ; -- End function
	.section	.AMDGPU.csdata,"",@progbits
; Kernel info:
; codeLenInByte = 0
; NumSgprs: 4
; NumVgprs: 0
; NumAgprs: 0
; TotalNumVgprs: 0
; ScratchSize: 0
; MemoryBound: 0
; FloatMode: 240
; IeeeMode: 1
; LDSByteSize: 0 bytes/workgroup (compile time only)
; SGPRBlocks: 0
; VGPRBlocks: 0
; NumSGPRsForWavesPerEU: 4
; NumVGPRsForWavesPerEU: 1
; AccumOffset: 4
; Occupancy: 8
; WaveLimiterHint : 0
; COMPUTE_PGM_RSRC2:SCRATCH_EN: 0
; COMPUTE_PGM_RSRC2:USER_SGPR: 6
; COMPUTE_PGM_RSRC2:TRAP_HANDLER: 0
; COMPUTE_PGM_RSRC2:TGID_X_EN: 1
; COMPUTE_PGM_RSRC2:TGID_Y_EN: 0
; COMPUTE_PGM_RSRC2:TGID_Z_EN: 0
; COMPUTE_PGM_RSRC2:TIDIG_COMP_CNT: 0
; COMPUTE_PGM_RSRC3_GFX90A:ACCUM_OFFSET: 0
; COMPUTE_PGM_RSRC3_GFX90A:TG_SPLIT: 0
	.section	.text._ZN7rocprim17ROCPRIM_400000_NS6detail17trampoline_kernelINS0_14default_configENS1_38merge_sort_block_merge_config_selectorIalEEZZNS1_27merge_sort_block_merge_implIS3_PaN6thrust23THRUST_200600_302600_NS10device_ptrIlEEjNS1_19radix_merge_compareILb0ELb0EaNS0_19identity_decomposerEEEEE10hipError_tT0_T1_T2_jT3_P12ihipStream_tbPNSt15iterator_traitsISG_E10value_typeEPNSM_ISH_E10value_typeEPSI_NS1_7vsmem_tEENKUlT_SG_SH_SI_E_clIS7_S7_SB_PlEESF_SV_SG_SH_SI_EUlSV_E_NS1_11comp_targetILNS1_3genE10ELNS1_11target_archE1201ELNS1_3gpuE5ELNS1_3repE0EEENS1_48merge_mergepath_partition_config_static_selectorELNS0_4arch9wavefront6targetE1EEEvSH_,"axG",@progbits,_ZN7rocprim17ROCPRIM_400000_NS6detail17trampoline_kernelINS0_14default_configENS1_38merge_sort_block_merge_config_selectorIalEEZZNS1_27merge_sort_block_merge_implIS3_PaN6thrust23THRUST_200600_302600_NS10device_ptrIlEEjNS1_19radix_merge_compareILb0ELb0EaNS0_19identity_decomposerEEEEE10hipError_tT0_T1_T2_jT3_P12ihipStream_tbPNSt15iterator_traitsISG_E10value_typeEPNSM_ISH_E10value_typeEPSI_NS1_7vsmem_tEENKUlT_SG_SH_SI_E_clIS7_S7_SB_PlEESF_SV_SG_SH_SI_EUlSV_E_NS1_11comp_targetILNS1_3genE10ELNS1_11target_archE1201ELNS1_3gpuE5ELNS1_3repE0EEENS1_48merge_mergepath_partition_config_static_selectorELNS0_4arch9wavefront6targetE1EEEvSH_,comdat
	.protected	_ZN7rocprim17ROCPRIM_400000_NS6detail17trampoline_kernelINS0_14default_configENS1_38merge_sort_block_merge_config_selectorIalEEZZNS1_27merge_sort_block_merge_implIS3_PaN6thrust23THRUST_200600_302600_NS10device_ptrIlEEjNS1_19radix_merge_compareILb0ELb0EaNS0_19identity_decomposerEEEEE10hipError_tT0_T1_T2_jT3_P12ihipStream_tbPNSt15iterator_traitsISG_E10value_typeEPNSM_ISH_E10value_typeEPSI_NS1_7vsmem_tEENKUlT_SG_SH_SI_E_clIS7_S7_SB_PlEESF_SV_SG_SH_SI_EUlSV_E_NS1_11comp_targetILNS1_3genE10ELNS1_11target_archE1201ELNS1_3gpuE5ELNS1_3repE0EEENS1_48merge_mergepath_partition_config_static_selectorELNS0_4arch9wavefront6targetE1EEEvSH_ ; -- Begin function _ZN7rocprim17ROCPRIM_400000_NS6detail17trampoline_kernelINS0_14default_configENS1_38merge_sort_block_merge_config_selectorIalEEZZNS1_27merge_sort_block_merge_implIS3_PaN6thrust23THRUST_200600_302600_NS10device_ptrIlEEjNS1_19radix_merge_compareILb0ELb0EaNS0_19identity_decomposerEEEEE10hipError_tT0_T1_T2_jT3_P12ihipStream_tbPNSt15iterator_traitsISG_E10value_typeEPNSM_ISH_E10value_typeEPSI_NS1_7vsmem_tEENKUlT_SG_SH_SI_E_clIS7_S7_SB_PlEESF_SV_SG_SH_SI_EUlSV_E_NS1_11comp_targetILNS1_3genE10ELNS1_11target_archE1201ELNS1_3gpuE5ELNS1_3repE0EEENS1_48merge_mergepath_partition_config_static_selectorELNS0_4arch9wavefront6targetE1EEEvSH_
	.globl	_ZN7rocprim17ROCPRIM_400000_NS6detail17trampoline_kernelINS0_14default_configENS1_38merge_sort_block_merge_config_selectorIalEEZZNS1_27merge_sort_block_merge_implIS3_PaN6thrust23THRUST_200600_302600_NS10device_ptrIlEEjNS1_19radix_merge_compareILb0ELb0EaNS0_19identity_decomposerEEEEE10hipError_tT0_T1_T2_jT3_P12ihipStream_tbPNSt15iterator_traitsISG_E10value_typeEPNSM_ISH_E10value_typeEPSI_NS1_7vsmem_tEENKUlT_SG_SH_SI_E_clIS7_S7_SB_PlEESF_SV_SG_SH_SI_EUlSV_E_NS1_11comp_targetILNS1_3genE10ELNS1_11target_archE1201ELNS1_3gpuE5ELNS1_3repE0EEENS1_48merge_mergepath_partition_config_static_selectorELNS0_4arch9wavefront6targetE1EEEvSH_
	.p2align	8
	.type	_ZN7rocprim17ROCPRIM_400000_NS6detail17trampoline_kernelINS0_14default_configENS1_38merge_sort_block_merge_config_selectorIalEEZZNS1_27merge_sort_block_merge_implIS3_PaN6thrust23THRUST_200600_302600_NS10device_ptrIlEEjNS1_19radix_merge_compareILb0ELb0EaNS0_19identity_decomposerEEEEE10hipError_tT0_T1_T2_jT3_P12ihipStream_tbPNSt15iterator_traitsISG_E10value_typeEPNSM_ISH_E10value_typeEPSI_NS1_7vsmem_tEENKUlT_SG_SH_SI_E_clIS7_S7_SB_PlEESF_SV_SG_SH_SI_EUlSV_E_NS1_11comp_targetILNS1_3genE10ELNS1_11target_archE1201ELNS1_3gpuE5ELNS1_3repE0EEENS1_48merge_mergepath_partition_config_static_selectorELNS0_4arch9wavefront6targetE1EEEvSH_,@function
_ZN7rocprim17ROCPRIM_400000_NS6detail17trampoline_kernelINS0_14default_configENS1_38merge_sort_block_merge_config_selectorIalEEZZNS1_27merge_sort_block_merge_implIS3_PaN6thrust23THRUST_200600_302600_NS10device_ptrIlEEjNS1_19radix_merge_compareILb0ELb0EaNS0_19identity_decomposerEEEEE10hipError_tT0_T1_T2_jT3_P12ihipStream_tbPNSt15iterator_traitsISG_E10value_typeEPNSM_ISH_E10value_typeEPSI_NS1_7vsmem_tEENKUlT_SG_SH_SI_E_clIS7_S7_SB_PlEESF_SV_SG_SH_SI_EUlSV_E_NS1_11comp_targetILNS1_3genE10ELNS1_11target_archE1201ELNS1_3gpuE5ELNS1_3repE0EEENS1_48merge_mergepath_partition_config_static_selectorELNS0_4arch9wavefront6targetE1EEEvSH_: ; @_ZN7rocprim17ROCPRIM_400000_NS6detail17trampoline_kernelINS0_14default_configENS1_38merge_sort_block_merge_config_selectorIalEEZZNS1_27merge_sort_block_merge_implIS3_PaN6thrust23THRUST_200600_302600_NS10device_ptrIlEEjNS1_19radix_merge_compareILb0ELb0EaNS0_19identity_decomposerEEEEE10hipError_tT0_T1_T2_jT3_P12ihipStream_tbPNSt15iterator_traitsISG_E10value_typeEPNSM_ISH_E10value_typeEPSI_NS1_7vsmem_tEENKUlT_SG_SH_SI_E_clIS7_S7_SB_PlEESF_SV_SG_SH_SI_EUlSV_E_NS1_11comp_targetILNS1_3genE10ELNS1_11target_archE1201ELNS1_3gpuE5ELNS1_3repE0EEENS1_48merge_mergepath_partition_config_static_selectorELNS0_4arch9wavefront6targetE1EEEvSH_
; %bb.0:
	.section	.rodata,"a",@progbits
	.p2align	6, 0x0
	.amdhsa_kernel _ZN7rocprim17ROCPRIM_400000_NS6detail17trampoline_kernelINS0_14default_configENS1_38merge_sort_block_merge_config_selectorIalEEZZNS1_27merge_sort_block_merge_implIS3_PaN6thrust23THRUST_200600_302600_NS10device_ptrIlEEjNS1_19radix_merge_compareILb0ELb0EaNS0_19identity_decomposerEEEEE10hipError_tT0_T1_T2_jT3_P12ihipStream_tbPNSt15iterator_traitsISG_E10value_typeEPNSM_ISH_E10value_typeEPSI_NS1_7vsmem_tEENKUlT_SG_SH_SI_E_clIS7_S7_SB_PlEESF_SV_SG_SH_SI_EUlSV_E_NS1_11comp_targetILNS1_3genE10ELNS1_11target_archE1201ELNS1_3gpuE5ELNS1_3repE0EEENS1_48merge_mergepath_partition_config_static_selectorELNS0_4arch9wavefront6targetE1EEEvSH_
		.amdhsa_group_segment_fixed_size 0
		.amdhsa_private_segment_fixed_size 0
		.amdhsa_kernarg_size 40
		.amdhsa_user_sgpr_count 6
		.amdhsa_user_sgpr_private_segment_buffer 1
		.amdhsa_user_sgpr_dispatch_ptr 0
		.amdhsa_user_sgpr_queue_ptr 0
		.amdhsa_user_sgpr_kernarg_segment_ptr 1
		.amdhsa_user_sgpr_dispatch_id 0
		.amdhsa_user_sgpr_flat_scratch_init 0
		.amdhsa_user_sgpr_kernarg_preload_length 0
		.amdhsa_user_sgpr_kernarg_preload_offset 0
		.amdhsa_user_sgpr_private_segment_size 0
		.amdhsa_uses_dynamic_stack 0
		.amdhsa_system_sgpr_private_segment_wavefront_offset 0
		.amdhsa_system_sgpr_workgroup_id_x 1
		.amdhsa_system_sgpr_workgroup_id_y 0
		.amdhsa_system_sgpr_workgroup_id_z 0
		.amdhsa_system_sgpr_workgroup_info 0
		.amdhsa_system_vgpr_workitem_id 0
		.amdhsa_next_free_vgpr 1
		.amdhsa_next_free_sgpr 0
		.amdhsa_accum_offset 4
		.amdhsa_reserve_vcc 0
		.amdhsa_reserve_flat_scratch 0
		.amdhsa_float_round_mode_32 0
		.amdhsa_float_round_mode_16_64 0
		.amdhsa_float_denorm_mode_32 3
		.amdhsa_float_denorm_mode_16_64 3
		.amdhsa_dx10_clamp 1
		.amdhsa_ieee_mode 1
		.amdhsa_fp16_overflow 0
		.amdhsa_tg_split 0
		.amdhsa_exception_fp_ieee_invalid_op 0
		.amdhsa_exception_fp_denorm_src 0
		.amdhsa_exception_fp_ieee_div_zero 0
		.amdhsa_exception_fp_ieee_overflow 0
		.amdhsa_exception_fp_ieee_underflow 0
		.amdhsa_exception_fp_ieee_inexact 0
		.amdhsa_exception_int_div_zero 0
	.end_amdhsa_kernel
	.section	.text._ZN7rocprim17ROCPRIM_400000_NS6detail17trampoline_kernelINS0_14default_configENS1_38merge_sort_block_merge_config_selectorIalEEZZNS1_27merge_sort_block_merge_implIS3_PaN6thrust23THRUST_200600_302600_NS10device_ptrIlEEjNS1_19radix_merge_compareILb0ELb0EaNS0_19identity_decomposerEEEEE10hipError_tT0_T1_T2_jT3_P12ihipStream_tbPNSt15iterator_traitsISG_E10value_typeEPNSM_ISH_E10value_typeEPSI_NS1_7vsmem_tEENKUlT_SG_SH_SI_E_clIS7_S7_SB_PlEESF_SV_SG_SH_SI_EUlSV_E_NS1_11comp_targetILNS1_3genE10ELNS1_11target_archE1201ELNS1_3gpuE5ELNS1_3repE0EEENS1_48merge_mergepath_partition_config_static_selectorELNS0_4arch9wavefront6targetE1EEEvSH_,"axG",@progbits,_ZN7rocprim17ROCPRIM_400000_NS6detail17trampoline_kernelINS0_14default_configENS1_38merge_sort_block_merge_config_selectorIalEEZZNS1_27merge_sort_block_merge_implIS3_PaN6thrust23THRUST_200600_302600_NS10device_ptrIlEEjNS1_19radix_merge_compareILb0ELb0EaNS0_19identity_decomposerEEEEE10hipError_tT0_T1_T2_jT3_P12ihipStream_tbPNSt15iterator_traitsISG_E10value_typeEPNSM_ISH_E10value_typeEPSI_NS1_7vsmem_tEENKUlT_SG_SH_SI_E_clIS7_S7_SB_PlEESF_SV_SG_SH_SI_EUlSV_E_NS1_11comp_targetILNS1_3genE10ELNS1_11target_archE1201ELNS1_3gpuE5ELNS1_3repE0EEENS1_48merge_mergepath_partition_config_static_selectorELNS0_4arch9wavefront6targetE1EEEvSH_,comdat
.Lfunc_end503:
	.size	_ZN7rocprim17ROCPRIM_400000_NS6detail17trampoline_kernelINS0_14default_configENS1_38merge_sort_block_merge_config_selectorIalEEZZNS1_27merge_sort_block_merge_implIS3_PaN6thrust23THRUST_200600_302600_NS10device_ptrIlEEjNS1_19radix_merge_compareILb0ELb0EaNS0_19identity_decomposerEEEEE10hipError_tT0_T1_T2_jT3_P12ihipStream_tbPNSt15iterator_traitsISG_E10value_typeEPNSM_ISH_E10value_typeEPSI_NS1_7vsmem_tEENKUlT_SG_SH_SI_E_clIS7_S7_SB_PlEESF_SV_SG_SH_SI_EUlSV_E_NS1_11comp_targetILNS1_3genE10ELNS1_11target_archE1201ELNS1_3gpuE5ELNS1_3repE0EEENS1_48merge_mergepath_partition_config_static_selectorELNS0_4arch9wavefront6targetE1EEEvSH_, .Lfunc_end503-_ZN7rocprim17ROCPRIM_400000_NS6detail17trampoline_kernelINS0_14default_configENS1_38merge_sort_block_merge_config_selectorIalEEZZNS1_27merge_sort_block_merge_implIS3_PaN6thrust23THRUST_200600_302600_NS10device_ptrIlEEjNS1_19radix_merge_compareILb0ELb0EaNS0_19identity_decomposerEEEEE10hipError_tT0_T1_T2_jT3_P12ihipStream_tbPNSt15iterator_traitsISG_E10value_typeEPNSM_ISH_E10value_typeEPSI_NS1_7vsmem_tEENKUlT_SG_SH_SI_E_clIS7_S7_SB_PlEESF_SV_SG_SH_SI_EUlSV_E_NS1_11comp_targetILNS1_3genE10ELNS1_11target_archE1201ELNS1_3gpuE5ELNS1_3repE0EEENS1_48merge_mergepath_partition_config_static_selectorELNS0_4arch9wavefront6targetE1EEEvSH_
                                        ; -- End function
	.section	.AMDGPU.csdata,"",@progbits
; Kernel info:
; codeLenInByte = 0
; NumSgprs: 4
; NumVgprs: 0
; NumAgprs: 0
; TotalNumVgprs: 0
; ScratchSize: 0
; MemoryBound: 0
; FloatMode: 240
; IeeeMode: 1
; LDSByteSize: 0 bytes/workgroup (compile time only)
; SGPRBlocks: 0
; VGPRBlocks: 0
; NumSGPRsForWavesPerEU: 4
; NumVGPRsForWavesPerEU: 1
; AccumOffset: 4
; Occupancy: 8
; WaveLimiterHint : 0
; COMPUTE_PGM_RSRC2:SCRATCH_EN: 0
; COMPUTE_PGM_RSRC2:USER_SGPR: 6
; COMPUTE_PGM_RSRC2:TRAP_HANDLER: 0
; COMPUTE_PGM_RSRC2:TGID_X_EN: 1
; COMPUTE_PGM_RSRC2:TGID_Y_EN: 0
; COMPUTE_PGM_RSRC2:TGID_Z_EN: 0
; COMPUTE_PGM_RSRC2:TIDIG_COMP_CNT: 0
; COMPUTE_PGM_RSRC3_GFX90A:ACCUM_OFFSET: 0
; COMPUTE_PGM_RSRC3_GFX90A:TG_SPLIT: 0
	.section	.text._ZN7rocprim17ROCPRIM_400000_NS6detail17trampoline_kernelINS0_14default_configENS1_38merge_sort_block_merge_config_selectorIalEEZZNS1_27merge_sort_block_merge_implIS3_PaN6thrust23THRUST_200600_302600_NS10device_ptrIlEEjNS1_19radix_merge_compareILb0ELb0EaNS0_19identity_decomposerEEEEE10hipError_tT0_T1_T2_jT3_P12ihipStream_tbPNSt15iterator_traitsISG_E10value_typeEPNSM_ISH_E10value_typeEPSI_NS1_7vsmem_tEENKUlT_SG_SH_SI_E_clIS7_S7_SB_PlEESF_SV_SG_SH_SI_EUlSV_E_NS1_11comp_targetILNS1_3genE5ELNS1_11target_archE942ELNS1_3gpuE9ELNS1_3repE0EEENS1_48merge_mergepath_partition_config_static_selectorELNS0_4arch9wavefront6targetE1EEEvSH_,"axG",@progbits,_ZN7rocprim17ROCPRIM_400000_NS6detail17trampoline_kernelINS0_14default_configENS1_38merge_sort_block_merge_config_selectorIalEEZZNS1_27merge_sort_block_merge_implIS3_PaN6thrust23THRUST_200600_302600_NS10device_ptrIlEEjNS1_19radix_merge_compareILb0ELb0EaNS0_19identity_decomposerEEEEE10hipError_tT0_T1_T2_jT3_P12ihipStream_tbPNSt15iterator_traitsISG_E10value_typeEPNSM_ISH_E10value_typeEPSI_NS1_7vsmem_tEENKUlT_SG_SH_SI_E_clIS7_S7_SB_PlEESF_SV_SG_SH_SI_EUlSV_E_NS1_11comp_targetILNS1_3genE5ELNS1_11target_archE942ELNS1_3gpuE9ELNS1_3repE0EEENS1_48merge_mergepath_partition_config_static_selectorELNS0_4arch9wavefront6targetE1EEEvSH_,comdat
	.protected	_ZN7rocprim17ROCPRIM_400000_NS6detail17trampoline_kernelINS0_14default_configENS1_38merge_sort_block_merge_config_selectorIalEEZZNS1_27merge_sort_block_merge_implIS3_PaN6thrust23THRUST_200600_302600_NS10device_ptrIlEEjNS1_19radix_merge_compareILb0ELb0EaNS0_19identity_decomposerEEEEE10hipError_tT0_T1_T2_jT3_P12ihipStream_tbPNSt15iterator_traitsISG_E10value_typeEPNSM_ISH_E10value_typeEPSI_NS1_7vsmem_tEENKUlT_SG_SH_SI_E_clIS7_S7_SB_PlEESF_SV_SG_SH_SI_EUlSV_E_NS1_11comp_targetILNS1_3genE5ELNS1_11target_archE942ELNS1_3gpuE9ELNS1_3repE0EEENS1_48merge_mergepath_partition_config_static_selectorELNS0_4arch9wavefront6targetE1EEEvSH_ ; -- Begin function _ZN7rocprim17ROCPRIM_400000_NS6detail17trampoline_kernelINS0_14default_configENS1_38merge_sort_block_merge_config_selectorIalEEZZNS1_27merge_sort_block_merge_implIS3_PaN6thrust23THRUST_200600_302600_NS10device_ptrIlEEjNS1_19radix_merge_compareILb0ELb0EaNS0_19identity_decomposerEEEEE10hipError_tT0_T1_T2_jT3_P12ihipStream_tbPNSt15iterator_traitsISG_E10value_typeEPNSM_ISH_E10value_typeEPSI_NS1_7vsmem_tEENKUlT_SG_SH_SI_E_clIS7_S7_SB_PlEESF_SV_SG_SH_SI_EUlSV_E_NS1_11comp_targetILNS1_3genE5ELNS1_11target_archE942ELNS1_3gpuE9ELNS1_3repE0EEENS1_48merge_mergepath_partition_config_static_selectorELNS0_4arch9wavefront6targetE1EEEvSH_
	.globl	_ZN7rocprim17ROCPRIM_400000_NS6detail17trampoline_kernelINS0_14default_configENS1_38merge_sort_block_merge_config_selectorIalEEZZNS1_27merge_sort_block_merge_implIS3_PaN6thrust23THRUST_200600_302600_NS10device_ptrIlEEjNS1_19radix_merge_compareILb0ELb0EaNS0_19identity_decomposerEEEEE10hipError_tT0_T1_T2_jT3_P12ihipStream_tbPNSt15iterator_traitsISG_E10value_typeEPNSM_ISH_E10value_typeEPSI_NS1_7vsmem_tEENKUlT_SG_SH_SI_E_clIS7_S7_SB_PlEESF_SV_SG_SH_SI_EUlSV_E_NS1_11comp_targetILNS1_3genE5ELNS1_11target_archE942ELNS1_3gpuE9ELNS1_3repE0EEENS1_48merge_mergepath_partition_config_static_selectorELNS0_4arch9wavefront6targetE1EEEvSH_
	.p2align	8
	.type	_ZN7rocprim17ROCPRIM_400000_NS6detail17trampoline_kernelINS0_14default_configENS1_38merge_sort_block_merge_config_selectorIalEEZZNS1_27merge_sort_block_merge_implIS3_PaN6thrust23THRUST_200600_302600_NS10device_ptrIlEEjNS1_19radix_merge_compareILb0ELb0EaNS0_19identity_decomposerEEEEE10hipError_tT0_T1_T2_jT3_P12ihipStream_tbPNSt15iterator_traitsISG_E10value_typeEPNSM_ISH_E10value_typeEPSI_NS1_7vsmem_tEENKUlT_SG_SH_SI_E_clIS7_S7_SB_PlEESF_SV_SG_SH_SI_EUlSV_E_NS1_11comp_targetILNS1_3genE5ELNS1_11target_archE942ELNS1_3gpuE9ELNS1_3repE0EEENS1_48merge_mergepath_partition_config_static_selectorELNS0_4arch9wavefront6targetE1EEEvSH_,@function
_ZN7rocprim17ROCPRIM_400000_NS6detail17trampoline_kernelINS0_14default_configENS1_38merge_sort_block_merge_config_selectorIalEEZZNS1_27merge_sort_block_merge_implIS3_PaN6thrust23THRUST_200600_302600_NS10device_ptrIlEEjNS1_19radix_merge_compareILb0ELb0EaNS0_19identity_decomposerEEEEE10hipError_tT0_T1_T2_jT3_P12ihipStream_tbPNSt15iterator_traitsISG_E10value_typeEPNSM_ISH_E10value_typeEPSI_NS1_7vsmem_tEENKUlT_SG_SH_SI_E_clIS7_S7_SB_PlEESF_SV_SG_SH_SI_EUlSV_E_NS1_11comp_targetILNS1_3genE5ELNS1_11target_archE942ELNS1_3gpuE9ELNS1_3repE0EEENS1_48merge_mergepath_partition_config_static_selectorELNS0_4arch9wavefront6targetE1EEEvSH_: ; @_ZN7rocprim17ROCPRIM_400000_NS6detail17trampoline_kernelINS0_14default_configENS1_38merge_sort_block_merge_config_selectorIalEEZZNS1_27merge_sort_block_merge_implIS3_PaN6thrust23THRUST_200600_302600_NS10device_ptrIlEEjNS1_19radix_merge_compareILb0ELb0EaNS0_19identity_decomposerEEEEE10hipError_tT0_T1_T2_jT3_P12ihipStream_tbPNSt15iterator_traitsISG_E10value_typeEPNSM_ISH_E10value_typeEPSI_NS1_7vsmem_tEENKUlT_SG_SH_SI_E_clIS7_S7_SB_PlEESF_SV_SG_SH_SI_EUlSV_E_NS1_11comp_targetILNS1_3genE5ELNS1_11target_archE942ELNS1_3gpuE9ELNS1_3repE0EEENS1_48merge_mergepath_partition_config_static_selectorELNS0_4arch9wavefront6targetE1EEEvSH_
; %bb.0:
	.section	.rodata,"a",@progbits
	.p2align	6, 0x0
	.amdhsa_kernel _ZN7rocprim17ROCPRIM_400000_NS6detail17trampoline_kernelINS0_14default_configENS1_38merge_sort_block_merge_config_selectorIalEEZZNS1_27merge_sort_block_merge_implIS3_PaN6thrust23THRUST_200600_302600_NS10device_ptrIlEEjNS1_19radix_merge_compareILb0ELb0EaNS0_19identity_decomposerEEEEE10hipError_tT0_T1_T2_jT3_P12ihipStream_tbPNSt15iterator_traitsISG_E10value_typeEPNSM_ISH_E10value_typeEPSI_NS1_7vsmem_tEENKUlT_SG_SH_SI_E_clIS7_S7_SB_PlEESF_SV_SG_SH_SI_EUlSV_E_NS1_11comp_targetILNS1_3genE5ELNS1_11target_archE942ELNS1_3gpuE9ELNS1_3repE0EEENS1_48merge_mergepath_partition_config_static_selectorELNS0_4arch9wavefront6targetE1EEEvSH_
		.amdhsa_group_segment_fixed_size 0
		.amdhsa_private_segment_fixed_size 0
		.amdhsa_kernarg_size 40
		.amdhsa_user_sgpr_count 6
		.amdhsa_user_sgpr_private_segment_buffer 1
		.amdhsa_user_sgpr_dispatch_ptr 0
		.amdhsa_user_sgpr_queue_ptr 0
		.amdhsa_user_sgpr_kernarg_segment_ptr 1
		.amdhsa_user_sgpr_dispatch_id 0
		.amdhsa_user_sgpr_flat_scratch_init 0
		.amdhsa_user_sgpr_kernarg_preload_length 0
		.amdhsa_user_sgpr_kernarg_preload_offset 0
		.amdhsa_user_sgpr_private_segment_size 0
		.amdhsa_uses_dynamic_stack 0
		.amdhsa_system_sgpr_private_segment_wavefront_offset 0
		.amdhsa_system_sgpr_workgroup_id_x 1
		.amdhsa_system_sgpr_workgroup_id_y 0
		.amdhsa_system_sgpr_workgroup_id_z 0
		.amdhsa_system_sgpr_workgroup_info 0
		.amdhsa_system_vgpr_workitem_id 0
		.amdhsa_next_free_vgpr 1
		.amdhsa_next_free_sgpr 0
		.amdhsa_accum_offset 4
		.amdhsa_reserve_vcc 0
		.amdhsa_reserve_flat_scratch 0
		.amdhsa_float_round_mode_32 0
		.amdhsa_float_round_mode_16_64 0
		.amdhsa_float_denorm_mode_32 3
		.amdhsa_float_denorm_mode_16_64 3
		.amdhsa_dx10_clamp 1
		.amdhsa_ieee_mode 1
		.amdhsa_fp16_overflow 0
		.amdhsa_tg_split 0
		.amdhsa_exception_fp_ieee_invalid_op 0
		.amdhsa_exception_fp_denorm_src 0
		.amdhsa_exception_fp_ieee_div_zero 0
		.amdhsa_exception_fp_ieee_overflow 0
		.amdhsa_exception_fp_ieee_underflow 0
		.amdhsa_exception_fp_ieee_inexact 0
		.amdhsa_exception_int_div_zero 0
	.end_amdhsa_kernel
	.section	.text._ZN7rocprim17ROCPRIM_400000_NS6detail17trampoline_kernelINS0_14default_configENS1_38merge_sort_block_merge_config_selectorIalEEZZNS1_27merge_sort_block_merge_implIS3_PaN6thrust23THRUST_200600_302600_NS10device_ptrIlEEjNS1_19radix_merge_compareILb0ELb0EaNS0_19identity_decomposerEEEEE10hipError_tT0_T1_T2_jT3_P12ihipStream_tbPNSt15iterator_traitsISG_E10value_typeEPNSM_ISH_E10value_typeEPSI_NS1_7vsmem_tEENKUlT_SG_SH_SI_E_clIS7_S7_SB_PlEESF_SV_SG_SH_SI_EUlSV_E_NS1_11comp_targetILNS1_3genE5ELNS1_11target_archE942ELNS1_3gpuE9ELNS1_3repE0EEENS1_48merge_mergepath_partition_config_static_selectorELNS0_4arch9wavefront6targetE1EEEvSH_,"axG",@progbits,_ZN7rocprim17ROCPRIM_400000_NS6detail17trampoline_kernelINS0_14default_configENS1_38merge_sort_block_merge_config_selectorIalEEZZNS1_27merge_sort_block_merge_implIS3_PaN6thrust23THRUST_200600_302600_NS10device_ptrIlEEjNS1_19radix_merge_compareILb0ELb0EaNS0_19identity_decomposerEEEEE10hipError_tT0_T1_T2_jT3_P12ihipStream_tbPNSt15iterator_traitsISG_E10value_typeEPNSM_ISH_E10value_typeEPSI_NS1_7vsmem_tEENKUlT_SG_SH_SI_E_clIS7_S7_SB_PlEESF_SV_SG_SH_SI_EUlSV_E_NS1_11comp_targetILNS1_3genE5ELNS1_11target_archE942ELNS1_3gpuE9ELNS1_3repE0EEENS1_48merge_mergepath_partition_config_static_selectorELNS0_4arch9wavefront6targetE1EEEvSH_,comdat
.Lfunc_end504:
	.size	_ZN7rocprim17ROCPRIM_400000_NS6detail17trampoline_kernelINS0_14default_configENS1_38merge_sort_block_merge_config_selectorIalEEZZNS1_27merge_sort_block_merge_implIS3_PaN6thrust23THRUST_200600_302600_NS10device_ptrIlEEjNS1_19radix_merge_compareILb0ELb0EaNS0_19identity_decomposerEEEEE10hipError_tT0_T1_T2_jT3_P12ihipStream_tbPNSt15iterator_traitsISG_E10value_typeEPNSM_ISH_E10value_typeEPSI_NS1_7vsmem_tEENKUlT_SG_SH_SI_E_clIS7_S7_SB_PlEESF_SV_SG_SH_SI_EUlSV_E_NS1_11comp_targetILNS1_3genE5ELNS1_11target_archE942ELNS1_3gpuE9ELNS1_3repE0EEENS1_48merge_mergepath_partition_config_static_selectorELNS0_4arch9wavefront6targetE1EEEvSH_, .Lfunc_end504-_ZN7rocprim17ROCPRIM_400000_NS6detail17trampoline_kernelINS0_14default_configENS1_38merge_sort_block_merge_config_selectorIalEEZZNS1_27merge_sort_block_merge_implIS3_PaN6thrust23THRUST_200600_302600_NS10device_ptrIlEEjNS1_19radix_merge_compareILb0ELb0EaNS0_19identity_decomposerEEEEE10hipError_tT0_T1_T2_jT3_P12ihipStream_tbPNSt15iterator_traitsISG_E10value_typeEPNSM_ISH_E10value_typeEPSI_NS1_7vsmem_tEENKUlT_SG_SH_SI_E_clIS7_S7_SB_PlEESF_SV_SG_SH_SI_EUlSV_E_NS1_11comp_targetILNS1_3genE5ELNS1_11target_archE942ELNS1_3gpuE9ELNS1_3repE0EEENS1_48merge_mergepath_partition_config_static_selectorELNS0_4arch9wavefront6targetE1EEEvSH_
                                        ; -- End function
	.section	.AMDGPU.csdata,"",@progbits
; Kernel info:
; codeLenInByte = 0
; NumSgprs: 4
; NumVgprs: 0
; NumAgprs: 0
; TotalNumVgprs: 0
; ScratchSize: 0
; MemoryBound: 0
; FloatMode: 240
; IeeeMode: 1
; LDSByteSize: 0 bytes/workgroup (compile time only)
; SGPRBlocks: 0
; VGPRBlocks: 0
; NumSGPRsForWavesPerEU: 4
; NumVGPRsForWavesPerEU: 1
; AccumOffset: 4
; Occupancy: 8
; WaveLimiterHint : 0
; COMPUTE_PGM_RSRC2:SCRATCH_EN: 0
; COMPUTE_PGM_RSRC2:USER_SGPR: 6
; COMPUTE_PGM_RSRC2:TRAP_HANDLER: 0
; COMPUTE_PGM_RSRC2:TGID_X_EN: 1
; COMPUTE_PGM_RSRC2:TGID_Y_EN: 0
; COMPUTE_PGM_RSRC2:TGID_Z_EN: 0
; COMPUTE_PGM_RSRC2:TIDIG_COMP_CNT: 0
; COMPUTE_PGM_RSRC3_GFX90A:ACCUM_OFFSET: 0
; COMPUTE_PGM_RSRC3_GFX90A:TG_SPLIT: 0
	.section	.text._ZN7rocprim17ROCPRIM_400000_NS6detail17trampoline_kernelINS0_14default_configENS1_38merge_sort_block_merge_config_selectorIalEEZZNS1_27merge_sort_block_merge_implIS3_PaN6thrust23THRUST_200600_302600_NS10device_ptrIlEEjNS1_19radix_merge_compareILb0ELb0EaNS0_19identity_decomposerEEEEE10hipError_tT0_T1_T2_jT3_P12ihipStream_tbPNSt15iterator_traitsISG_E10value_typeEPNSM_ISH_E10value_typeEPSI_NS1_7vsmem_tEENKUlT_SG_SH_SI_E_clIS7_S7_SB_PlEESF_SV_SG_SH_SI_EUlSV_E_NS1_11comp_targetILNS1_3genE4ELNS1_11target_archE910ELNS1_3gpuE8ELNS1_3repE0EEENS1_48merge_mergepath_partition_config_static_selectorELNS0_4arch9wavefront6targetE1EEEvSH_,"axG",@progbits,_ZN7rocprim17ROCPRIM_400000_NS6detail17trampoline_kernelINS0_14default_configENS1_38merge_sort_block_merge_config_selectorIalEEZZNS1_27merge_sort_block_merge_implIS3_PaN6thrust23THRUST_200600_302600_NS10device_ptrIlEEjNS1_19radix_merge_compareILb0ELb0EaNS0_19identity_decomposerEEEEE10hipError_tT0_T1_T2_jT3_P12ihipStream_tbPNSt15iterator_traitsISG_E10value_typeEPNSM_ISH_E10value_typeEPSI_NS1_7vsmem_tEENKUlT_SG_SH_SI_E_clIS7_S7_SB_PlEESF_SV_SG_SH_SI_EUlSV_E_NS1_11comp_targetILNS1_3genE4ELNS1_11target_archE910ELNS1_3gpuE8ELNS1_3repE0EEENS1_48merge_mergepath_partition_config_static_selectorELNS0_4arch9wavefront6targetE1EEEvSH_,comdat
	.protected	_ZN7rocprim17ROCPRIM_400000_NS6detail17trampoline_kernelINS0_14default_configENS1_38merge_sort_block_merge_config_selectorIalEEZZNS1_27merge_sort_block_merge_implIS3_PaN6thrust23THRUST_200600_302600_NS10device_ptrIlEEjNS1_19radix_merge_compareILb0ELb0EaNS0_19identity_decomposerEEEEE10hipError_tT0_T1_T2_jT3_P12ihipStream_tbPNSt15iterator_traitsISG_E10value_typeEPNSM_ISH_E10value_typeEPSI_NS1_7vsmem_tEENKUlT_SG_SH_SI_E_clIS7_S7_SB_PlEESF_SV_SG_SH_SI_EUlSV_E_NS1_11comp_targetILNS1_3genE4ELNS1_11target_archE910ELNS1_3gpuE8ELNS1_3repE0EEENS1_48merge_mergepath_partition_config_static_selectorELNS0_4arch9wavefront6targetE1EEEvSH_ ; -- Begin function _ZN7rocprim17ROCPRIM_400000_NS6detail17trampoline_kernelINS0_14default_configENS1_38merge_sort_block_merge_config_selectorIalEEZZNS1_27merge_sort_block_merge_implIS3_PaN6thrust23THRUST_200600_302600_NS10device_ptrIlEEjNS1_19radix_merge_compareILb0ELb0EaNS0_19identity_decomposerEEEEE10hipError_tT0_T1_T2_jT3_P12ihipStream_tbPNSt15iterator_traitsISG_E10value_typeEPNSM_ISH_E10value_typeEPSI_NS1_7vsmem_tEENKUlT_SG_SH_SI_E_clIS7_S7_SB_PlEESF_SV_SG_SH_SI_EUlSV_E_NS1_11comp_targetILNS1_3genE4ELNS1_11target_archE910ELNS1_3gpuE8ELNS1_3repE0EEENS1_48merge_mergepath_partition_config_static_selectorELNS0_4arch9wavefront6targetE1EEEvSH_
	.globl	_ZN7rocprim17ROCPRIM_400000_NS6detail17trampoline_kernelINS0_14default_configENS1_38merge_sort_block_merge_config_selectorIalEEZZNS1_27merge_sort_block_merge_implIS3_PaN6thrust23THRUST_200600_302600_NS10device_ptrIlEEjNS1_19radix_merge_compareILb0ELb0EaNS0_19identity_decomposerEEEEE10hipError_tT0_T1_T2_jT3_P12ihipStream_tbPNSt15iterator_traitsISG_E10value_typeEPNSM_ISH_E10value_typeEPSI_NS1_7vsmem_tEENKUlT_SG_SH_SI_E_clIS7_S7_SB_PlEESF_SV_SG_SH_SI_EUlSV_E_NS1_11comp_targetILNS1_3genE4ELNS1_11target_archE910ELNS1_3gpuE8ELNS1_3repE0EEENS1_48merge_mergepath_partition_config_static_selectorELNS0_4arch9wavefront6targetE1EEEvSH_
	.p2align	8
	.type	_ZN7rocprim17ROCPRIM_400000_NS6detail17trampoline_kernelINS0_14default_configENS1_38merge_sort_block_merge_config_selectorIalEEZZNS1_27merge_sort_block_merge_implIS3_PaN6thrust23THRUST_200600_302600_NS10device_ptrIlEEjNS1_19radix_merge_compareILb0ELb0EaNS0_19identity_decomposerEEEEE10hipError_tT0_T1_T2_jT3_P12ihipStream_tbPNSt15iterator_traitsISG_E10value_typeEPNSM_ISH_E10value_typeEPSI_NS1_7vsmem_tEENKUlT_SG_SH_SI_E_clIS7_S7_SB_PlEESF_SV_SG_SH_SI_EUlSV_E_NS1_11comp_targetILNS1_3genE4ELNS1_11target_archE910ELNS1_3gpuE8ELNS1_3repE0EEENS1_48merge_mergepath_partition_config_static_selectorELNS0_4arch9wavefront6targetE1EEEvSH_,@function
_ZN7rocprim17ROCPRIM_400000_NS6detail17trampoline_kernelINS0_14default_configENS1_38merge_sort_block_merge_config_selectorIalEEZZNS1_27merge_sort_block_merge_implIS3_PaN6thrust23THRUST_200600_302600_NS10device_ptrIlEEjNS1_19radix_merge_compareILb0ELb0EaNS0_19identity_decomposerEEEEE10hipError_tT0_T1_T2_jT3_P12ihipStream_tbPNSt15iterator_traitsISG_E10value_typeEPNSM_ISH_E10value_typeEPSI_NS1_7vsmem_tEENKUlT_SG_SH_SI_E_clIS7_S7_SB_PlEESF_SV_SG_SH_SI_EUlSV_E_NS1_11comp_targetILNS1_3genE4ELNS1_11target_archE910ELNS1_3gpuE8ELNS1_3repE0EEENS1_48merge_mergepath_partition_config_static_selectorELNS0_4arch9wavefront6targetE1EEEvSH_: ; @_ZN7rocprim17ROCPRIM_400000_NS6detail17trampoline_kernelINS0_14default_configENS1_38merge_sort_block_merge_config_selectorIalEEZZNS1_27merge_sort_block_merge_implIS3_PaN6thrust23THRUST_200600_302600_NS10device_ptrIlEEjNS1_19radix_merge_compareILb0ELb0EaNS0_19identity_decomposerEEEEE10hipError_tT0_T1_T2_jT3_P12ihipStream_tbPNSt15iterator_traitsISG_E10value_typeEPNSM_ISH_E10value_typeEPSI_NS1_7vsmem_tEENKUlT_SG_SH_SI_E_clIS7_S7_SB_PlEESF_SV_SG_SH_SI_EUlSV_E_NS1_11comp_targetILNS1_3genE4ELNS1_11target_archE910ELNS1_3gpuE8ELNS1_3repE0EEENS1_48merge_mergepath_partition_config_static_selectorELNS0_4arch9wavefront6targetE1EEEvSH_
; %bb.0:
	s_load_dword s0, s[4:5], 0x0
	v_lshl_or_b32 v0, s6, 7, v0
	s_waitcnt lgkmcnt(0)
	v_cmp_gt_u32_e32 vcc, s0, v0
	s_and_saveexec_b64 s[0:1], vcc
	s_cbranch_execz .LBB505_6
; %bb.1:
	s_load_dwordx2 s[2:3], s[4:5], 0x4
	s_load_dwordx2 s[0:1], s[4:5], 0x20
	s_waitcnt lgkmcnt(0)
	s_lshr_b32 s6, s2, 9
	s_and_b32 s6, s6, 0x7ffffe
	s_add_i32 s7, s6, -1
	s_sub_i32 s6, 0, s6
	v_and_b32_e32 v1, s6, v0
	v_lshlrev_b32_e32 v3, 10, v1
	v_min_u32_e32 v1, s3, v3
	v_add_u32_e32 v3, s2, v3
	v_min_u32_e32 v7, s3, v3
	v_add_u32_e32 v3, s2, v7
	v_and_b32_e32 v2, s7, v0
	v_min_u32_e32 v4, s3, v3
	v_sub_u32_e32 v3, v4, v1
	v_lshlrev_b32_e32 v2, 10, v2
	v_min_u32_e32 v3, v3, v2
	v_sub_u32_e32 v5, v7, v1
	v_sub_u32_e32 v2, v4, v7
	v_sub_u32_e64 v2, v3, v2 clamp
	v_min_u32_e32 v4, v3, v5
	v_cmp_lt_u32_e32 vcc, v2, v4
	s_and_saveexec_b64 s[2:3], vcc
	s_cbranch_execz .LBB505_5
; %bb.2:
	s_load_dwordx2 s[4:5], s[4:5], 0x10
	s_waitcnt lgkmcnt(0)
	v_mov_b32_e32 v8, s5
	v_add_co_u32_e32 v5, vcc, s4, v1
	v_addc_co_u32_e32 v6, vcc, 0, v8, vcc
	v_add_co_u32_e32 v7, vcc, s4, v7
	v_addc_co_u32_e32 v8, vcc, 0, v8, vcc
	s_mov_b64 s[4:5], 0
.LBB505_3:                              ; =>This Inner Loop Header: Depth=1
	v_add_u32_e32 v9, v4, v2
	v_lshrrev_b32_e32 v9, 1, v9
	v_add_co_u32_e32 v10, vcc, v5, v9
	v_xad_u32 v12, v9, -1, v3
	v_addc_co_u32_e32 v11, vcc, 0, v6, vcc
	v_add_co_u32_e32 v12, vcc, v7, v12
	v_addc_co_u32_e32 v13, vcc, 0, v8, vcc
	global_load_sbyte v14, v[10:11], off
	global_load_sbyte v15, v[12:13], off
	v_add_u32_e32 v10, 1, v9
	s_waitcnt vmcnt(0)
	v_cmp_gt_i16_e32 vcc, v14, v15
	v_cndmask_b32_e32 v4, v4, v9, vcc
	v_cndmask_b32_e32 v2, v10, v2, vcc
	v_cmp_ge_u32_e32 vcc, v2, v4
	s_or_b64 s[4:5], vcc, s[4:5]
	s_andn2_b64 exec, exec, s[4:5]
	s_cbranch_execnz .LBB505_3
; %bb.4:
	s_or_b64 exec, exec, s[4:5]
.LBB505_5:
	s_or_b64 exec, exec, s[2:3]
	v_add_u32_e32 v2, v2, v1
	v_mov_b32_e32 v1, 0
	v_lshlrev_b64 v[0:1], 2, v[0:1]
	v_mov_b32_e32 v3, s1
	v_add_co_u32_e32 v0, vcc, s0, v0
	v_addc_co_u32_e32 v1, vcc, v3, v1, vcc
	global_store_dword v[0:1], v2, off
.LBB505_6:
	s_endpgm
	.section	.rodata,"a",@progbits
	.p2align	6, 0x0
	.amdhsa_kernel _ZN7rocprim17ROCPRIM_400000_NS6detail17trampoline_kernelINS0_14default_configENS1_38merge_sort_block_merge_config_selectorIalEEZZNS1_27merge_sort_block_merge_implIS3_PaN6thrust23THRUST_200600_302600_NS10device_ptrIlEEjNS1_19radix_merge_compareILb0ELb0EaNS0_19identity_decomposerEEEEE10hipError_tT0_T1_T2_jT3_P12ihipStream_tbPNSt15iterator_traitsISG_E10value_typeEPNSM_ISH_E10value_typeEPSI_NS1_7vsmem_tEENKUlT_SG_SH_SI_E_clIS7_S7_SB_PlEESF_SV_SG_SH_SI_EUlSV_E_NS1_11comp_targetILNS1_3genE4ELNS1_11target_archE910ELNS1_3gpuE8ELNS1_3repE0EEENS1_48merge_mergepath_partition_config_static_selectorELNS0_4arch9wavefront6targetE1EEEvSH_
		.amdhsa_group_segment_fixed_size 0
		.amdhsa_private_segment_fixed_size 0
		.amdhsa_kernarg_size 40
		.amdhsa_user_sgpr_count 6
		.amdhsa_user_sgpr_private_segment_buffer 1
		.amdhsa_user_sgpr_dispatch_ptr 0
		.amdhsa_user_sgpr_queue_ptr 0
		.amdhsa_user_sgpr_kernarg_segment_ptr 1
		.amdhsa_user_sgpr_dispatch_id 0
		.amdhsa_user_sgpr_flat_scratch_init 0
		.amdhsa_user_sgpr_kernarg_preload_length 0
		.amdhsa_user_sgpr_kernarg_preload_offset 0
		.amdhsa_user_sgpr_private_segment_size 0
		.amdhsa_uses_dynamic_stack 0
		.amdhsa_system_sgpr_private_segment_wavefront_offset 0
		.amdhsa_system_sgpr_workgroup_id_x 1
		.amdhsa_system_sgpr_workgroup_id_y 0
		.amdhsa_system_sgpr_workgroup_id_z 0
		.amdhsa_system_sgpr_workgroup_info 0
		.amdhsa_system_vgpr_workitem_id 0
		.amdhsa_next_free_vgpr 16
		.amdhsa_next_free_sgpr 8
		.amdhsa_accum_offset 16
		.amdhsa_reserve_vcc 1
		.amdhsa_reserve_flat_scratch 0
		.amdhsa_float_round_mode_32 0
		.amdhsa_float_round_mode_16_64 0
		.amdhsa_float_denorm_mode_32 3
		.amdhsa_float_denorm_mode_16_64 3
		.amdhsa_dx10_clamp 1
		.amdhsa_ieee_mode 1
		.amdhsa_fp16_overflow 0
		.amdhsa_tg_split 0
		.amdhsa_exception_fp_ieee_invalid_op 0
		.amdhsa_exception_fp_denorm_src 0
		.amdhsa_exception_fp_ieee_div_zero 0
		.amdhsa_exception_fp_ieee_overflow 0
		.amdhsa_exception_fp_ieee_underflow 0
		.amdhsa_exception_fp_ieee_inexact 0
		.amdhsa_exception_int_div_zero 0
	.end_amdhsa_kernel
	.section	.text._ZN7rocprim17ROCPRIM_400000_NS6detail17trampoline_kernelINS0_14default_configENS1_38merge_sort_block_merge_config_selectorIalEEZZNS1_27merge_sort_block_merge_implIS3_PaN6thrust23THRUST_200600_302600_NS10device_ptrIlEEjNS1_19radix_merge_compareILb0ELb0EaNS0_19identity_decomposerEEEEE10hipError_tT0_T1_T2_jT3_P12ihipStream_tbPNSt15iterator_traitsISG_E10value_typeEPNSM_ISH_E10value_typeEPSI_NS1_7vsmem_tEENKUlT_SG_SH_SI_E_clIS7_S7_SB_PlEESF_SV_SG_SH_SI_EUlSV_E_NS1_11comp_targetILNS1_3genE4ELNS1_11target_archE910ELNS1_3gpuE8ELNS1_3repE0EEENS1_48merge_mergepath_partition_config_static_selectorELNS0_4arch9wavefront6targetE1EEEvSH_,"axG",@progbits,_ZN7rocprim17ROCPRIM_400000_NS6detail17trampoline_kernelINS0_14default_configENS1_38merge_sort_block_merge_config_selectorIalEEZZNS1_27merge_sort_block_merge_implIS3_PaN6thrust23THRUST_200600_302600_NS10device_ptrIlEEjNS1_19radix_merge_compareILb0ELb0EaNS0_19identity_decomposerEEEEE10hipError_tT0_T1_T2_jT3_P12ihipStream_tbPNSt15iterator_traitsISG_E10value_typeEPNSM_ISH_E10value_typeEPSI_NS1_7vsmem_tEENKUlT_SG_SH_SI_E_clIS7_S7_SB_PlEESF_SV_SG_SH_SI_EUlSV_E_NS1_11comp_targetILNS1_3genE4ELNS1_11target_archE910ELNS1_3gpuE8ELNS1_3repE0EEENS1_48merge_mergepath_partition_config_static_selectorELNS0_4arch9wavefront6targetE1EEEvSH_,comdat
.Lfunc_end505:
	.size	_ZN7rocprim17ROCPRIM_400000_NS6detail17trampoline_kernelINS0_14default_configENS1_38merge_sort_block_merge_config_selectorIalEEZZNS1_27merge_sort_block_merge_implIS3_PaN6thrust23THRUST_200600_302600_NS10device_ptrIlEEjNS1_19radix_merge_compareILb0ELb0EaNS0_19identity_decomposerEEEEE10hipError_tT0_T1_T2_jT3_P12ihipStream_tbPNSt15iterator_traitsISG_E10value_typeEPNSM_ISH_E10value_typeEPSI_NS1_7vsmem_tEENKUlT_SG_SH_SI_E_clIS7_S7_SB_PlEESF_SV_SG_SH_SI_EUlSV_E_NS1_11comp_targetILNS1_3genE4ELNS1_11target_archE910ELNS1_3gpuE8ELNS1_3repE0EEENS1_48merge_mergepath_partition_config_static_selectorELNS0_4arch9wavefront6targetE1EEEvSH_, .Lfunc_end505-_ZN7rocprim17ROCPRIM_400000_NS6detail17trampoline_kernelINS0_14default_configENS1_38merge_sort_block_merge_config_selectorIalEEZZNS1_27merge_sort_block_merge_implIS3_PaN6thrust23THRUST_200600_302600_NS10device_ptrIlEEjNS1_19radix_merge_compareILb0ELb0EaNS0_19identity_decomposerEEEEE10hipError_tT0_T1_T2_jT3_P12ihipStream_tbPNSt15iterator_traitsISG_E10value_typeEPNSM_ISH_E10value_typeEPSI_NS1_7vsmem_tEENKUlT_SG_SH_SI_E_clIS7_S7_SB_PlEESF_SV_SG_SH_SI_EUlSV_E_NS1_11comp_targetILNS1_3genE4ELNS1_11target_archE910ELNS1_3gpuE8ELNS1_3repE0EEENS1_48merge_mergepath_partition_config_static_selectorELNS0_4arch9wavefront6targetE1EEEvSH_
                                        ; -- End function
	.section	.AMDGPU.csdata,"",@progbits
; Kernel info:
; codeLenInByte = 316
; NumSgprs: 12
; NumVgprs: 16
; NumAgprs: 0
; TotalNumVgprs: 16
; ScratchSize: 0
; MemoryBound: 0
; FloatMode: 240
; IeeeMode: 1
; LDSByteSize: 0 bytes/workgroup (compile time only)
; SGPRBlocks: 1
; VGPRBlocks: 1
; NumSGPRsForWavesPerEU: 12
; NumVGPRsForWavesPerEU: 16
; AccumOffset: 16
; Occupancy: 8
; WaveLimiterHint : 0
; COMPUTE_PGM_RSRC2:SCRATCH_EN: 0
; COMPUTE_PGM_RSRC2:USER_SGPR: 6
; COMPUTE_PGM_RSRC2:TRAP_HANDLER: 0
; COMPUTE_PGM_RSRC2:TGID_X_EN: 1
; COMPUTE_PGM_RSRC2:TGID_Y_EN: 0
; COMPUTE_PGM_RSRC2:TGID_Z_EN: 0
; COMPUTE_PGM_RSRC2:TIDIG_COMP_CNT: 0
; COMPUTE_PGM_RSRC3_GFX90A:ACCUM_OFFSET: 3
; COMPUTE_PGM_RSRC3_GFX90A:TG_SPLIT: 0
	.section	.text._ZN7rocprim17ROCPRIM_400000_NS6detail17trampoline_kernelINS0_14default_configENS1_38merge_sort_block_merge_config_selectorIalEEZZNS1_27merge_sort_block_merge_implIS3_PaN6thrust23THRUST_200600_302600_NS10device_ptrIlEEjNS1_19radix_merge_compareILb0ELb0EaNS0_19identity_decomposerEEEEE10hipError_tT0_T1_T2_jT3_P12ihipStream_tbPNSt15iterator_traitsISG_E10value_typeEPNSM_ISH_E10value_typeEPSI_NS1_7vsmem_tEENKUlT_SG_SH_SI_E_clIS7_S7_SB_PlEESF_SV_SG_SH_SI_EUlSV_E_NS1_11comp_targetILNS1_3genE3ELNS1_11target_archE908ELNS1_3gpuE7ELNS1_3repE0EEENS1_48merge_mergepath_partition_config_static_selectorELNS0_4arch9wavefront6targetE1EEEvSH_,"axG",@progbits,_ZN7rocprim17ROCPRIM_400000_NS6detail17trampoline_kernelINS0_14default_configENS1_38merge_sort_block_merge_config_selectorIalEEZZNS1_27merge_sort_block_merge_implIS3_PaN6thrust23THRUST_200600_302600_NS10device_ptrIlEEjNS1_19radix_merge_compareILb0ELb0EaNS0_19identity_decomposerEEEEE10hipError_tT0_T1_T2_jT3_P12ihipStream_tbPNSt15iterator_traitsISG_E10value_typeEPNSM_ISH_E10value_typeEPSI_NS1_7vsmem_tEENKUlT_SG_SH_SI_E_clIS7_S7_SB_PlEESF_SV_SG_SH_SI_EUlSV_E_NS1_11comp_targetILNS1_3genE3ELNS1_11target_archE908ELNS1_3gpuE7ELNS1_3repE0EEENS1_48merge_mergepath_partition_config_static_selectorELNS0_4arch9wavefront6targetE1EEEvSH_,comdat
	.protected	_ZN7rocprim17ROCPRIM_400000_NS6detail17trampoline_kernelINS0_14default_configENS1_38merge_sort_block_merge_config_selectorIalEEZZNS1_27merge_sort_block_merge_implIS3_PaN6thrust23THRUST_200600_302600_NS10device_ptrIlEEjNS1_19radix_merge_compareILb0ELb0EaNS0_19identity_decomposerEEEEE10hipError_tT0_T1_T2_jT3_P12ihipStream_tbPNSt15iterator_traitsISG_E10value_typeEPNSM_ISH_E10value_typeEPSI_NS1_7vsmem_tEENKUlT_SG_SH_SI_E_clIS7_S7_SB_PlEESF_SV_SG_SH_SI_EUlSV_E_NS1_11comp_targetILNS1_3genE3ELNS1_11target_archE908ELNS1_3gpuE7ELNS1_3repE0EEENS1_48merge_mergepath_partition_config_static_selectorELNS0_4arch9wavefront6targetE1EEEvSH_ ; -- Begin function _ZN7rocprim17ROCPRIM_400000_NS6detail17trampoline_kernelINS0_14default_configENS1_38merge_sort_block_merge_config_selectorIalEEZZNS1_27merge_sort_block_merge_implIS3_PaN6thrust23THRUST_200600_302600_NS10device_ptrIlEEjNS1_19radix_merge_compareILb0ELb0EaNS0_19identity_decomposerEEEEE10hipError_tT0_T1_T2_jT3_P12ihipStream_tbPNSt15iterator_traitsISG_E10value_typeEPNSM_ISH_E10value_typeEPSI_NS1_7vsmem_tEENKUlT_SG_SH_SI_E_clIS7_S7_SB_PlEESF_SV_SG_SH_SI_EUlSV_E_NS1_11comp_targetILNS1_3genE3ELNS1_11target_archE908ELNS1_3gpuE7ELNS1_3repE0EEENS1_48merge_mergepath_partition_config_static_selectorELNS0_4arch9wavefront6targetE1EEEvSH_
	.globl	_ZN7rocprim17ROCPRIM_400000_NS6detail17trampoline_kernelINS0_14default_configENS1_38merge_sort_block_merge_config_selectorIalEEZZNS1_27merge_sort_block_merge_implIS3_PaN6thrust23THRUST_200600_302600_NS10device_ptrIlEEjNS1_19radix_merge_compareILb0ELb0EaNS0_19identity_decomposerEEEEE10hipError_tT0_T1_T2_jT3_P12ihipStream_tbPNSt15iterator_traitsISG_E10value_typeEPNSM_ISH_E10value_typeEPSI_NS1_7vsmem_tEENKUlT_SG_SH_SI_E_clIS7_S7_SB_PlEESF_SV_SG_SH_SI_EUlSV_E_NS1_11comp_targetILNS1_3genE3ELNS1_11target_archE908ELNS1_3gpuE7ELNS1_3repE0EEENS1_48merge_mergepath_partition_config_static_selectorELNS0_4arch9wavefront6targetE1EEEvSH_
	.p2align	8
	.type	_ZN7rocprim17ROCPRIM_400000_NS6detail17trampoline_kernelINS0_14default_configENS1_38merge_sort_block_merge_config_selectorIalEEZZNS1_27merge_sort_block_merge_implIS3_PaN6thrust23THRUST_200600_302600_NS10device_ptrIlEEjNS1_19radix_merge_compareILb0ELb0EaNS0_19identity_decomposerEEEEE10hipError_tT0_T1_T2_jT3_P12ihipStream_tbPNSt15iterator_traitsISG_E10value_typeEPNSM_ISH_E10value_typeEPSI_NS1_7vsmem_tEENKUlT_SG_SH_SI_E_clIS7_S7_SB_PlEESF_SV_SG_SH_SI_EUlSV_E_NS1_11comp_targetILNS1_3genE3ELNS1_11target_archE908ELNS1_3gpuE7ELNS1_3repE0EEENS1_48merge_mergepath_partition_config_static_selectorELNS0_4arch9wavefront6targetE1EEEvSH_,@function
_ZN7rocprim17ROCPRIM_400000_NS6detail17trampoline_kernelINS0_14default_configENS1_38merge_sort_block_merge_config_selectorIalEEZZNS1_27merge_sort_block_merge_implIS3_PaN6thrust23THRUST_200600_302600_NS10device_ptrIlEEjNS1_19radix_merge_compareILb0ELb0EaNS0_19identity_decomposerEEEEE10hipError_tT0_T1_T2_jT3_P12ihipStream_tbPNSt15iterator_traitsISG_E10value_typeEPNSM_ISH_E10value_typeEPSI_NS1_7vsmem_tEENKUlT_SG_SH_SI_E_clIS7_S7_SB_PlEESF_SV_SG_SH_SI_EUlSV_E_NS1_11comp_targetILNS1_3genE3ELNS1_11target_archE908ELNS1_3gpuE7ELNS1_3repE0EEENS1_48merge_mergepath_partition_config_static_selectorELNS0_4arch9wavefront6targetE1EEEvSH_: ; @_ZN7rocprim17ROCPRIM_400000_NS6detail17trampoline_kernelINS0_14default_configENS1_38merge_sort_block_merge_config_selectorIalEEZZNS1_27merge_sort_block_merge_implIS3_PaN6thrust23THRUST_200600_302600_NS10device_ptrIlEEjNS1_19radix_merge_compareILb0ELb0EaNS0_19identity_decomposerEEEEE10hipError_tT0_T1_T2_jT3_P12ihipStream_tbPNSt15iterator_traitsISG_E10value_typeEPNSM_ISH_E10value_typeEPSI_NS1_7vsmem_tEENKUlT_SG_SH_SI_E_clIS7_S7_SB_PlEESF_SV_SG_SH_SI_EUlSV_E_NS1_11comp_targetILNS1_3genE3ELNS1_11target_archE908ELNS1_3gpuE7ELNS1_3repE0EEENS1_48merge_mergepath_partition_config_static_selectorELNS0_4arch9wavefront6targetE1EEEvSH_
; %bb.0:
	.section	.rodata,"a",@progbits
	.p2align	6, 0x0
	.amdhsa_kernel _ZN7rocprim17ROCPRIM_400000_NS6detail17trampoline_kernelINS0_14default_configENS1_38merge_sort_block_merge_config_selectorIalEEZZNS1_27merge_sort_block_merge_implIS3_PaN6thrust23THRUST_200600_302600_NS10device_ptrIlEEjNS1_19radix_merge_compareILb0ELb0EaNS0_19identity_decomposerEEEEE10hipError_tT0_T1_T2_jT3_P12ihipStream_tbPNSt15iterator_traitsISG_E10value_typeEPNSM_ISH_E10value_typeEPSI_NS1_7vsmem_tEENKUlT_SG_SH_SI_E_clIS7_S7_SB_PlEESF_SV_SG_SH_SI_EUlSV_E_NS1_11comp_targetILNS1_3genE3ELNS1_11target_archE908ELNS1_3gpuE7ELNS1_3repE0EEENS1_48merge_mergepath_partition_config_static_selectorELNS0_4arch9wavefront6targetE1EEEvSH_
		.amdhsa_group_segment_fixed_size 0
		.amdhsa_private_segment_fixed_size 0
		.amdhsa_kernarg_size 40
		.amdhsa_user_sgpr_count 6
		.amdhsa_user_sgpr_private_segment_buffer 1
		.amdhsa_user_sgpr_dispatch_ptr 0
		.amdhsa_user_sgpr_queue_ptr 0
		.amdhsa_user_sgpr_kernarg_segment_ptr 1
		.amdhsa_user_sgpr_dispatch_id 0
		.amdhsa_user_sgpr_flat_scratch_init 0
		.amdhsa_user_sgpr_kernarg_preload_length 0
		.amdhsa_user_sgpr_kernarg_preload_offset 0
		.amdhsa_user_sgpr_private_segment_size 0
		.amdhsa_uses_dynamic_stack 0
		.amdhsa_system_sgpr_private_segment_wavefront_offset 0
		.amdhsa_system_sgpr_workgroup_id_x 1
		.amdhsa_system_sgpr_workgroup_id_y 0
		.amdhsa_system_sgpr_workgroup_id_z 0
		.amdhsa_system_sgpr_workgroup_info 0
		.amdhsa_system_vgpr_workitem_id 0
		.amdhsa_next_free_vgpr 1
		.amdhsa_next_free_sgpr 0
		.amdhsa_accum_offset 4
		.amdhsa_reserve_vcc 0
		.amdhsa_reserve_flat_scratch 0
		.amdhsa_float_round_mode_32 0
		.amdhsa_float_round_mode_16_64 0
		.amdhsa_float_denorm_mode_32 3
		.amdhsa_float_denorm_mode_16_64 3
		.amdhsa_dx10_clamp 1
		.amdhsa_ieee_mode 1
		.amdhsa_fp16_overflow 0
		.amdhsa_tg_split 0
		.amdhsa_exception_fp_ieee_invalid_op 0
		.amdhsa_exception_fp_denorm_src 0
		.amdhsa_exception_fp_ieee_div_zero 0
		.amdhsa_exception_fp_ieee_overflow 0
		.amdhsa_exception_fp_ieee_underflow 0
		.amdhsa_exception_fp_ieee_inexact 0
		.amdhsa_exception_int_div_zero 0
	.end_amdhsa_kernel
	.section	.text._ZN7rocprim17ROCPRIM_400000_NS6detail17trampoline_kernelINS0_14default_configENS1_38merge_sort_block_merge_config_selectorIalEEZZNS1_27merge_sort_block_merge_implIS3_PaN6thrust23THRUST_200600_302600_NS10device_ptrIlEEjNS1_19radix_merge_compareILb0ELb0EaNS0_19identity_decomposerEEEEE10hipError_tT0_T1_T2_jT3_P12ihipStream_tbPNSt15iterator_traitsISG_E10value_typeEPNSM_ISH_E10value_typeEPSI_NS1_7vsmem_tEENKUlT_SG_SH_SI_E_clIS7_S7_SB_PlEESF_SV_SG_SH_SI_EUlSV_E_NS1_11comp_targetILNS1_3genE3ELNS1_11target_archE908ELNS1_3gpuE7ELNS1_3repE0EEENS1_48merge_mergepath_partition_config_static_selectorELNS0_4arch9wavefront6targetE1EEEvSH_,"axG",@progbits,_ZN7rocprim17ROCPRIM_400000_NS6detail17trampoline_kernelINS0_14default_configENS1_38merge_sort_block_merge_config_selectorIalEEZZNS1_27merge_sort_block_merge_implIS3_PaN6thrust23THRUST_200600_302600_NS10device_ptrIlEEjNS1_19radix_merge_compareILb0ELb0EaNS0_19identity_decomposerEEEEE10hipError_tT0_T1_T2_jT3_P12ihipStream_tbPNSt15iterator_traitsISG_E10value_typeEPNSM_ISH_E10value_typeEPSI_NS1_7vsmem_tEENKUlT_SG_SH_SI_E_clIS7_S7_SB_PlEESF_SV_SG_SH_SI_EUlSV_E_NS1_11comp_targetILNS1_3genE3ELNS1_11target_archE908ELNS1_3gpuE7ELNS1_3repE0EEENS1_48merge_mergepath_partition_config_static_selectorELNS0_4arch9wavefront6targetE1EEEvSH_,comdat
.Lfunc_end506:
	.size	_ZN7rocprim17ROCPRIM_400000_NS6detail17trampoline_kernelINS0_14default_configENS1_38merge_sort_block_merge_config_selectorIalEEZZNS1_27merge_sort_block_merge_implIS3_PaN6thrust23THRUST_200600_302600_NS10device_ptrIlEEjNS1_19radix_merge_compareILb0ELb0EaNS0_19identity_decomposerEEEEE10hipError_tT0_T1_T2_jT3_P12ihipStream_tbPNSt15iterator_traitsISG_E10value_typeEPNSM_ISH_E10value_typeEPSI_NS1_7vsmem_tEENKUlT_SG_SH_SI_E_clIS7_S7_SB_PlEESF_SV_SG_SH_SI_EUlSV_E_NS1_11comp_targetILNS1_3genE3ELNS1_11target_archE908ELNS1_3gpuE7ELNS1_3repE0EEENS1_48merge_mergepath_partition_config_static_selectorELNS0_4arch9wavefront6targetE1EEEvSH_, .Lfunc_end506-_ZN7rocprim17ROCPRIM_400000_NS6detail17trampoline_kernelINS0_14default_configENS1_38merge_sort_block_merge_config_selectorIalEEZZNS1_27merge_sort_block_merge_implIS3_PaN6thrust23THRUST_200600_302600_NS10device_ptrIlEEjNS1_19radix_merge_compareILb0ELb0EaNS0_19identity_decomposerEEEEE10hipError_tT0_T1_T2_jT3_P12ihipStream_tbPNSt15iterator_traitsISG_E10value_typeEPNSM_ISH_E10value_typeEPSI_NS1_7vsmem_tEENKUlT_SG_SH_SI_E_clIS7_S7_SB_PlEESF_SV_SG_SH_SI_EUlSV_E_NS1_11comp_targetILNS1_3genE3ELNS1_11target_archE908ELNS1_3gpuE7ELNS1_3repE0EEENS1_48merge_mergepath_partition_config_static_selectorELNS0_4arch9wavefront6targetE1EEEvSH_
                                        ; -- End function
	.section	.AMDGPU.csdata,"",@progbits
; Kernel info:
; codeLenInByte = 0
; NumSgprs: 4
; NumVgprs: 0
; NumAgprs: 0
; TotalNumVgprs: 0
; ScratchSize: 0
; MemoryBound: 0
; FloatMode: 240
; IeeeMode: 1
; LDSByteSize: 0 bytes/workgroup (compile time only)
; SGPRBlocks: 0
; VGPRBlocks: 0
; NumSGPRsForWavesPerEU: 4
; NumVGPRsForWavesPerEU: 1
; AccumOffset: 4
; Occupancy: 8
; WaveLimiterHint : 0
; COMPUTE_PGM_RSRC2:SCRATCH_EN: 0
; COMPUTE_PGM_RSRC2:USER_SGPR: 6
; COMPUTE_PGM_RSRC2:TRAP_HANDLER: 0
; COMPUTE_PGM_RSRC2:TGID_X_EN: 1
; COMPUTE_PGM_RSRC2:TGID_Y_EN: 0
; COMPUTE_PGM_RSRC2:TGID_Z_EN: 0
; COMPUTE_PGM_RSRC2:TIDIG_COMP_CNT: 0
; COMPUTE_PGM_RSRC3_GFX90A:ACCUM_OFFSET: 0
; COMPUTE_PGM_RSRC3_GFX90A:TG_SPLIT: 0
	.section	.text._ZN7rocprim17ROCPRIM_400000_NS6detail17trampoline_kernelINS0_14default_configENS1_38merge_sort_block_merge_config_selectorIalEEZZNS1_27merge_sort_block_merge_implIS3_PaN6thrust23THRUST_200600_302600_NS10device_ptrIlEEjNS1_19radix_merge_compareILb0ELb0EaNS0_19identity_decomposerEEEEE10hipError_tT0_T1_T2_jT3_P12ihipStream_tbPNSt15iterator_traitsISG_E10value_typeEPNSM_ISH_E10value_typeEPSI_NS1_7vsmem_tEENKUlT_SG_SH_SI_E_clIS7_S7_SB_PlEESF_SV_SG_SH_SI_EUlSV_E_NS1_11comp_targetILNS1_3genE2ELNS1_11target_archE906ELNS1_3gpuE6ELNS1_3repE0EEENS1_48merge_mergepath_partition_config_static_selectorELNS0_4arch9wavefront6targetE1EEEvSH_,"axG",@progbits,_ZN7rocprim17ROCPRIM_400000_NS6detail17trampoline_kernelINS0_14default_configENS1_38merge_sort_block_merge_config_selectorIalEEZZNS1_27merge_sort_block_merge_implIS3_PaN6thrust23THRUST_200600_302600_NS10device_ptrIlEEjNS1_19radix_merge_compareILb0ELb0EaNS0_19identity_decomposerEEEEE10hipError_tT0_T1_T2_jT3_P12ihipStream_tbPNSt15iterator_traitsISG_E10value_typeEPNSM_ISH_E10value_typeEPSI_NS1_7vsmem_tEENKUlT_SG_SH_SI_E_clIS7_S7_SB_PlEESF_SV_SG_SH_SI_EUlSV_E_NS1_11comp_targetILNS1_3genE2ELNS1_11target_archE906ELNS1_3gpuE6ELNS1_3repE0EEENS1_48merge_mergepath_partition_config_static_selectorELNS0_4arch9wavefront6targetE1EEEvSH_,comdat
	.protected	_ZN7rocprim17ROCPRIM_400000_NS6detail17trampoline_kernelINS0_14default_configENS1_38merge_sort_block_merge_config_selectorIalEEZZNS1_27merge_sort_block_merge_implIS3_PaN6thrust23THRUST_200600_302600_NS10device_ptrIlEEjNS1_19radix_merge_compareILb0ELb0EaNS0_19identity_decomposerEEEEE10hipError_tT0_T1_T2_jT3_P12ihipStream_tbPNSt15iterator_traitsISG_E10value_typeEPNSM_ISH_E10value_typeEPSI_NS1_7vsmem_tEENKUlT_SG_SH_SI_E_clIS7_S7_SB_PlEESF_SV_SG_SH_SI_EUlSV_E_NS1_11comp_targetILNS1_3genE2ELNS1_11target_archE906ELNS1_3gpuE6ELNS1_3repE0EEENS1_48merge_mergepath_partition_config_static_selectorELNS0_4arch9wavefront6targetE1EEEvSH_ ; -- Begin function _ZN7rocprim17ROCPRIM_400000_NS6detail17trampoline_kernelINS0_14default_configENS1_38merge_sort_block_merge_config_selectorIalEEZZNS1_27merge_sort_block_merge_implIS3_PaN6thrust23THRUST_200600_302600_NS10device_ptrIlEEjNS1_19radix_merge_compareILb0ELb0EaNS0_19identity_decomposerEEEEE10hipError_tT0_T1_T2_jT3_P12ihipStream_tbPNSt15iterator_traitsISG_E10value_typeEPNSM_ISH_E10value_typeEPSI_NS1_7vsmem_tEENKUlT_SG_SH_SI_E_clIS7_S7_SB_PlEESF_SV_SG_SH_SI_EUlSV_E_NS1_11comp_targetILNS1_3genE2ELNS1_11target_archE906ELNS1_3gpuE6ELNS1_3repE0EEENS1_48merge_mergepath_partition_config_static_selectorELNS0_4arch9wavefront6targetE1EEEvSH_
	.globl	_ZN7rocprim17ROCPRIM_400000_NS6detail17trampoline_kernelINS0_14default_configENS1_38merge_sort_block_merge_config_selectorIalEEZZNS1_27merge_sort_block_merge_implIS3_PaN6thrust23THRUST_200600_302600_NS10device_ptrIlEEjNS1_19radix_merge_compareILb0ELb0EaNS0_19identity_decomposerEEEEE10hipError_tT0_T1_T2_jT3_P12ihipStream_tbPNSt15iterator_traitsISG_E10value_typeEPNSM_ISH_E10value_typeEPSI_NS1_7vsmem_tEENKUlT_SG_SH_SI_E_clIS7_S7_SB_PlEESF_SV_SG_SH_SI_EUlSV_E_NS1_11comp_targetILNS1_3genE2ELNS1_11target_archE906ELNS1_3gpuE6ELNS1_3repE0EEENS1_48merge_mergepath_partition_config_static_selectorELNS0_4arch9wavefront6targetE1EEEvSH_
	.p2align	8
	.type	_ZN7rocprim17ROCPRIM_400000_NS6detail17trampoline_kernelINS0_14default_configENS1_38merge_sort_block_merge_config_selectorIalEEZZNS1_27merge_sort_block_merge_implIS3_PaN6thrust23THRUST_200600_302600_NS10device_ptrIlEEjNS1_19radix_merge_compareILb0ELb0EaNS0_19identity_decomposerEEEEE10hipError_tT0_T1_T2_jT3_P12ihipStream_tbPNSt15iterator_traitsISG_E10value_typeEPNSM_ISH_E10value_typeEPSI_NS1_7vsmem_tEENKUlT_SG_SH_SI_E_clIS7_S7_SB_PlEESF_SV_SG_SH_SI_EUlSV_E_NS1_11comp_targetILNS1_3genE2ELNS1_11target_archE906ELNS1_3gpuE6ELNS1_3repE0EEENS1_48merge_mergepath_partition_config_static_selectorELNS0_4arch9wavefront6targetE1EEEvSH_,@function
_ZN7rocprim17ROCPRIM_400000_NS6detail17trampoline_kernelINS0_14default_configENS1_38merge_sort_block_merge_config_selectorIalEEZZNS1_27merge_sort_block_merge_implIS3_PaN6thrust23THRUST_200600_302600_NS10device_ptrIlEEjNS1_19radix_merge_compareILb0ELb0EaNS0_19identity_decomposerEEEEE10hipError_tT0_T1_T2_jT3_P12ihipStream_tbPNSt15iterator_traitsISG_E10value_typeEPNSM_ISH_E10value_typeEPSI_NS1_7vsmem_tEENKUlT_SG_SH_SI_E_clIS7_S7_SB_PlEESF_SV_SG_SH_SI_EUlSV_E_NS1_11comp_targetILNS1_3genE2ELNS1_11target_archE906ELNS1_3gpuE6ELNS1_3repE0EEENS1_48merge_mergepath_partition_config_static_selectorELNS0_4arch9wavefront6targetE1EEEvSH_: ; @_ZN7rocprim17ROCPRIM_400000_NS6detail17trampoline_kernelINS0_14default_configENS1_38merge_sort_block_merge_config_selectorIalEEZZNS1_27merge_sort_block_merge_implIS3_PaN6thrust23THRUST_200600_302600_NS10device_ptrIlEEjNS1_19radix_merge_compareILb0ELb0EaNS0_19identity_decomposerEEEEE10hipError_tT0_T1_T2_jT3_P12ihipStream_tbPNSt15iterator_traitsISG_E10value_typeEPNSM_ISH_E10value_typeEPSI_NS1_7vsmem_tEENKUlT_SG_SH_SI_E_clIS7_S7_SB_PlEESF_SV_SG_SH_SI_EUlSV_E_NS1_11comp_targetILNS1_3genE2ELNS1_11target_archE906ELNS1_3gpuE6ELNS1_3repE0EEENS1_48merge_mergepath_partition_config_static_selectorELNS0_4arch9wavefront6targetE1EEEvSH_
; %bb.0:
	.section	.rodata,"a",@progbits
	.p2align	6, 0x0
	.amdhsa_kernel _ZN7rocprim17ROCPRIM_400000_NS6detail17trampoline_kernelINS0_14default_configENS1_38merge_sort_block_merge_config_selectorIalEEZZNS1_27merge_sort_block_merge_implIS3_PaN6thrust23THRUST_200600_302600_NS10device_ptrIlEEjNS1_19radix_merge_compareILb0ELb0EaNS0_19identity_decomposerEEEEE10hipError_tT0_T1_T2_jT3_P12ihipStream_tbPNSt15iterator_traitsISG_E10value_typeEPNSM_ISH_E10value_typeEPSI_NS1_7vsmem_tEENKUlT_SG_SH_SI_E_clIS7_S7_SB_PlEESF_SV_SG_SH_SI_EUlSV_E_NS1_11comp_targetILNS1_3genE2ELNS1_11target_archE906ELNS1_3gpuE6ELNS1_3repE0EEENS1_48merge_mergepath_partition_config_static_selectorELNS0_4arch9wavefront6targetE1EEEvSH_
		.amdhsa_group_segment_fixed_size 0
		.amdhsa_private_segment_fixed_size 0
		.amdhsa_kernarg_size 40
		.amdhsa_user_sgpr_count 6
		.amdhsa_user_sgpr_private_segment_buffer 1
		.amdhsa_user_sgpr_dispatch_ptr 0
		.amdhsa_user_sgpr_queue_ptr 0
		.amdhsa_user_sgpr_kernarg_segment_ptr 1
		.amdhsa_user_sgpr_dispatch_id 0
		.amdhsa_user_sgpr_flat_scratch_init 0
		.amdhsa_user_sgpr_kernarg_preload_length 0
		.amdhsa_user_sgpr_kernarg_preload_offset 0
		.amdhsa_user_sgpr_private_segment_size 0
		.amdhsa_uses_dynamic_stack 0
		.amdhsa_system_sgpr_private_segment_wavefront_offset 0
		.amdhsa_system_sgpr_workgroup_id_x 1
		.amdhsa_system_sgpr_workgroup_id_y 0
		.amdhsa_system_sgpr_workgroup_id_z 0
		.amdhsa_system_sgpr_workgroup_info 0
		.amdhsa_system_vgpr_workitem_id 0
		.amdhsa_next_free_vgpr 1
		.amdhsa_next_free_sgpr 0
		.amdhsa_accum_offset 4
		.amdhsa_reserve_vcc 0
		.amdhsa_reserve_flat_scratch 0
		.amdhsa_float_round_mode_32 0
		.amdhsa_float_round_mode_16_64 0
		.amdhsa_float_denorm_mode_32 3
		.amdhsa_float_denorm_mode_16_64 3
		.amdhsa_dx10_clamp 1
		.amdhsa_ieee_mode 1
		.amdhsa_fp16_overflow 0
		.amdhsa_tg_split 0
		.amdhsa_exception_fp_ieee_invalid_op 0
		.amdhsa_exception_fp_denorm_src 0
		.amdhsa_exception_fp_ieee_div_zero 0
		.amdhsa_exception_fp_ieee_overflow 0
		.amdhsa_exception_fp_ieee_underflow 0
		.amdhsa_exception_fp_ieee_inexact 0
		.amdhsa_exception_int_div_zero 0
	.end_amdhsa_kernel
	.section	.text._ZN7rocprim17ROCPRIM_400000_NS6detail17trampoline_kernelINS0_14default_configENS1_38merge_sort_block_merge_config_selectorIalEEZZNS1_27merge_sort_block_merge_implIS3_PaN6thrust23THRUST_200600_302600_NS10device_ptrIlEEjNS1_19radix_merge_compareILb0ELb0EaNS0_19identity_decomposerEEEEE10hipError_tT0_T1_T2_jT3_P12ihipStream_tbPNSt15iterator_traitsISG_E10value_typeEPNSM_ISH_E10value_typeEPSI_NS1_7vsmem_tEENKUlT_SG_SH_SI_E_clIS7_S7_SB_PlEESF_SV_SG_SH_SI_EUlSV_E_NS1_11comp_targetILNS1_3genE2ELNS1_11target_archE906ELNS1_3gpuE6ELNS1_3repE0EEENS1_48merge_mergepath_partition_config_static_selectorELNS0_4arch9wavefront6targetE1EEEvSH_,"axG",@progbits,_ZN7rocprim17ROCPRIM_400000_NS6detail17trampoline_kernelINS0_14default_configENS1_38merge_sort_block_merge_config_selectorIalEEZZNS1_27merge_sort_block_merge_implIS3_PaN6thrust23THRUST_200600_302600_NS10device_ptrIlEEjNS1_19radix_merge_compareILb0ELb0EaNS0_19identity_decomposerEEEEE10hipError_tT0_T1_T2_jT3_P12ihipStream_tbPNSt15iterator_traitsISG_E10value_typeEPNSM_ISH_E10value_typeEPSI_NS1_7vsmem_tEENKUlT_SG_SH_SI_E_clIS7_S7_SB_PlEESF_SV_SG_SH_SI_EUlSV_E_NS1_11comp_targetILNS1_3genE2ELNS1_11target_archE906ELNS1_3gpuE6ELNS1_3repE0EEENS1_48merge_mergepath_partition_config_static_selectorELNS0_4arch9wavefront6targetE1EEEvSH_,comdat
.Lfunc_end507:
	.size	_ZN7rocprim17ROCPRIM_400000_NS6detail17trampoline_kernelINS0_14default_configENS1_38merge_sort_block_merge_config_selectorIalEEZZNS1_27merge_sort_block_merge_implIS3_PaN6thrust23THRUST_200600_302600_NS10device_ptrIlEEjNS1_19radix_merge_compareILb0ELb0EaNS0_19identity_decomposerEEEEE10hipError_tT0_T1_T2_jT3_P12ihipStream_tbPNSt15iterator_traitsISG_E10value_typeEPNSM_ISH_E10value_typeEPSI_NS1_7vsmem_tEENKUlT_SG_SH_SI_E_clIS7_S7_SB_PlEESF_SV_SG_SH_SI_EUlSV_E_NS1_11comp_targetILNS1_3genE2ELNS1_11target_archE906ELNS1_3gpuE6ELNS1_3repE0EEENS1_48merge_mergepath_partition_config_static_selectorELNS0_4arch9wavefront6targetE1EEEvSH_, .Lfunc_end507-_ZN7rocprim17ROCPRIM_400000_NS6detail17trampoline_kernelINS0_14default_configENS1_38merge_sort_block_merge_config_selectorIalEEZZNS1_27merge_sort_block_merge_implIS3_PaN6thrust23THRUST_200600_302600_NS10device_ptrIlEEjNS1_19radix_merge_compareILb0ELb0EaNS0_19identity_decomposerEEEEE10hipError_tT0_T1_T2_jT3_P12ihipStream_tbPNSt15iterator_traitsISG_E10value_typeEPNSM_ISH_E10value_typeEPSI_NS1_7vsmem_tEENKUlT_SG_SH_SI_E_clIS7_S7_SB_PlEESF_SV_SG_SH_SI_EUlSV_E_NS1_11comp_targetILNS1_3genE2ELNS1_11target_archE906ELNS1_3gpuE6ELNS1_3repE0EEENS1_48merge_mergepath_partition_config_static_selectorELNS0_4arch9wavefront6targetE1EEEvSH_
                                        ; -- End function
	.section	.AMDGPU.csdata,"",@progbits
; Kernel info:
; codeLenInByte = 0
; NumSgprs: 4
; NumVgprs: 0
; NumAgprs: 0
; TotalNumVgprs: 0
; ScratchSize: 0
; MemoryBound: 0
; FloatMode: 240
; IeeeMode: 1
; LDSByteSize: 0 bytes/workgroup (compile time only)
; SGPRBlocks: 0
; VGPRBlocks: 0
; NumSGPRsForWavesPerEU: 4
; NumVGPRsForWavesPerEU: 1
; AccumOffset: 4
; Occupancy: 8
; WaveLimiterHint : 0
; COMPUTE_PGM_RSRC2:SCRATCH_EN: 0
; COMPUTE_PGM_RSRC2:USER_SGPR: 6
; COMPUTE_PGM_RSRC2:TRAP_HANDLER: 0
; COMPUTE_PGM_RSRC2:TGID_X_EN: 1
; COMPUTE_PGM_RSRC2:TGID_Y_EN: 0
; COMPUTE_PGM_RSRC2:TGID_Z_EN: 0
; COMPUTE_PGM_RSRC2:TIDIG_COMP_CNT: 0
; COMPUTE_PGM_RSRC3_GFX90A:ACCUM_OFFSET: 0
; COMPUTE_PGM_RSRC3_GFX90A:TG_SPLIT: 0
	.section	.text._ZN7rocprim17ROCPRIM_400000_NS6detail17trampoline_kernelINS0_14default_configENS1_38merge_sort_block_merge_config_selectorIalEEZZNS1_27merge_sort_block_merge_implIS3_PaN6thrust23THRUST_200600_302600_NS10device_ptrIlEEjNS1_19radix_merge_compareILb0ELb0EaNS0_19identity_decomposerEEEEE10hipError_tT0_T1_T2_jT3_P12ihipStream_tbPNSt15iterator_traitsISG_E10value_typeEPNSM_ISH_E10value_typeEPSI_NS1_7vsmem_tEENKUlT_SG_SH_SI_E_clIS7_S7_SB_PlEESF_SV_SG_SH_SI_EUlSV_E_NS1_11comp_targetILNS1_3genE9ELNS1_11target_archE1100ELNS1_3gpuE3ELNS1_3repE0EEENS1_48merge_mergepath_partition_config_static_selectorELNS0_4arch9wavefront6targetE1EEEvSH_,"axG",@progbits,_ZN7rocprim17ROCPRIM_400000_NS6detail17trampoline_kernelINS0_14default_configENS1_38merge_sort_block_merge_config_selectorIalEEZZNS1_27merge_sort_block_merge_implIS3_PaN6thrust23THRUST_200600_302600_NS10device_ptrIlEEjNS1_19radix_merge_compareILb0ELb0EaNS0_19identity_decomposerEEEEE10hipError_tT0_T1_T2_jT3_P12ihipStream_tbPNSt15iterator_traitsISG_E10value_typeEPNSM_ISH_E10value_typeEPSI_NS1_7vsmem_tEENKUlT_SG_SH_SI_E_clIS7_S7_SB_PlEESF_SV_SG_SH_SI_EUlSV_E_NS1_11comp_targetILNS1_3genE9ELNS1_11target_archE1100ELNS1_3gpuE3ELNS1_3repE0EEENS1_48merge_mergepath_partition_config_static_selectorELNS0_4arch9wavefront6targetE1EEEvSH_,comdat
	.protected	_ZN7rocprim17ROCPRIM_400000_NS6detail17trampoline_kernelINS0_14default_configENS1_38merge_sort_block_merge_config_selectorIalEEZZNS1_27merge_sort_block_merge_implIS3_PaN6thrust23THRUST_200600_302600_NS10device_ptrIlEEjNS1_19radix_merge_compareILb0ELb0EaNS0_19identity_decomposerEEEEE10hipError_tT0_T1_T2_jT3_P12ihipStream_tbPNSt15iterator_traitsISG_E10value_typeEPNSM_ISH_E10value_typeEPSI_NS1_7vsmem_tEENKUlT_SG_SH_SI_E_clIS7_S7_SB_PlEESF_SV_SG_SH_SI_EUlSV_E_NS1_11comp_targetILNS1_3genE9ELNS1_11target_archE1100ELNS1_3gpuE3ELNS1_3repE0EEENS1_48merge_mergepath_partition_config_static_selectorELNS0_4arch9wavefront6targetE1EEEvSH_ ; -- Begin function _ZN7rocprim17ROCPRIM_400000_NS6detail17trampoline_kernelINS0_14default_configENS1_38merge_sort_block_merge_config_selectorIalEEZZNS1_27merge_sort_block_merge_implIS3_PaN6thrust23THRUST_200600_302600_NS10device_ptrIlEEjNS1_19radix_merge_compareILb0ELb0EaNS0_19identity_decomposerEEEEE10hipError_tT0_T1_T2_jT3_P12ihipStream_tbPNSt15iterator_traitsISG_E10value_typeEPNSM_ISH_E10value_typeEPSI_NS1_7vsmem_tEENKUlT_SG_SH_SI_E_clIS7_S7_SB_PlEESF_SV_SG_SH_SI_EUlSV_E_NS1_11comp_targetILNS1_3genE9ELNS1_11target_archE1100ELNS1_3gpuE3ELNS1_3repE0EEENS1_48merge_mergepath_partition_config_static_selectorELNS0_4arch9wavefront6targetE1EEEvSH_
	.globl	_ZN7rocprim17ROCPRIM_400000_NS6detail17trampoline_kernelINS0_14default_configENS1_38merge_sort_block_merge_config_selectorIalEEZZNS1_27merge_sort_block_merge_implIS3_PaN6thrust23THRUST_200600_302600_NS10device_ptrIlEEjNS1_19radix_merge_compareILb0ELb0EaNS0_19identity_decomposerEEEEE10hipError_tT0_T1_T2_jT3_P12ihipStream_tbPNSt15iterator_traitsISG_E10value_typeEPNSM_ISH_E10value_typeEPSI_NS1_7vsmem_tEENKUlT_SG_SH_SI_E_clIS7_S7_SB_PlEESF_SV_SG_SH_SI_EUlSV_E_NS1_11comp_targetILNS1_3genE9ELNS1_11target_archE1100ELNS1_3gpuE3ELNS1_3repE0EEENS1_48merge_mergepath_partition_config_static_selectorELNS0_4arch9wavefront6targetE1EEEvSH_
	.p2align	8
	.type	_ZN7rocprim17ROCPRIM_400000_NS6detail17trampoline_kernelINS0_14default_configENS1_38merge_sort_block_merge_config_selectorIalEEZZNS1_27merge_sort_block_merge_implIS3_PaN6thrust23THRUST_200600_302600_NS10device_ptrIlEEjNS1_19radix_merge_compareILb0ELb0EaNS0_19identity_decomposerEEEEE10hipError_tT0_T1_T2_jT3_P12ihipStream_tbPNSt15iterator_traitsISG_E10value_typeEPNSM_ISH_E10value_typeEPSI_NS1_7vsmem_tEENKUlT_SG_SH_SI_E_clIS7_S7_SB_PlEESF_SV_SG_SH_SI_EUlSV_E_NS1_11comp_targetILNS1_3genE9ELNS1_11target_archE1100ELNS1_3gpuE3ELNS1_3repE0EEENS1_48merge_mergepath_partition_config_static_selectorELNS0_4arch9wavefront6targetE1EEEvSH_,@function
_ZN7rocprim17ROCPRIM_400000_NS6detail17trampoline_kernelINS0_14default_configENS1_38merge_sort_block_merge_config_selectorIalEEZZNS1_27merge_sort_block_merge_implIS3_PaN6thrust23THRUST_200600_302600_NS10device_ptrIlEEjNS1_19radix_merge_compareILb0ELb0EaNS0_19identity_decomposerEEEEE10hipError_tT0_T1_T2_jT3_P12ihipStream_tbPNSt15iterator_traitsISG_E10value_typeEPNSM_ISH_E10value_typeEPSI_NS1_7vsmem_tEENKUlT_SG_SH_SI_E_clIS7_S7_SB_PlEESF_SV_SG_SH_SI_EUlSV_E_NS1_11comp_targetILNS1_3genE9ELNS1_11target_archE1100ELNS1_3gpuE3ELNS1_3repE0EEENS1_48merge_mergepath_partition_config_static_selectorELNS0_4arch9wavefront6targetE1EEEvSH_: ; @_ZN7rocprim17ROCPRIM_400000_NS6detail17trampoline_kernelINS0_14default_configENS1_38merge_sort_block_merge_config_selectorIalEEZZNS1_27merge_sort_block_merge_implIS3_PaN6thrust23THRUST_200600_302600_NS10device_ptrIlEEjNS1_19radix_merge_compareILb0ELb0EaNS0_19identity_decomposerEEEEE10hipError_tT0_T1_T2_jT3_P12ihipStream_tbPNSt15iterator_traitsISG_E10value_typeEPNSM_ISH_E10value_typeEPSI_NS1_7vsmem_tEENKUlT_SG_SH_SI_E_clIS7_S7_SB_PlEESF_SV_SG_SH_SI_EUlSV_E_NS1_11comp_targetILNS1_3genE9ELNS1_11target_archE1100ELNS1_3gpuE3ELNS1_3repE0EEENS1_48merge_mergepath_partition_config_static_selectorELNS0_4arch9wavefront6targetE1EEEvSH_
; %bb.0:
	.section	.rodata,"a",@progbits
	.p2align	6, 0x0
	.amdhsa_kernel _ZN7rocprim17ROCPRIM_400000_NS6detail17trampoline_kernelINS0_14default_configENS1_38merge_sort_block_merge_config_selectorIalEEZZNS1_27merge_sort_block_merge_implIS3_PaN6thrust23THRUST_200600_302600_NS10device_ptrIlEEjNS1_19radix_merge_compareILb0ELb0EaNS0_19identity_decomposerEEEEE10hipError_tT0_T1_T2_jT3_P12ihipStream_tbPNSt15iterator_traitsISG_E10value_typeEPNSM_ISH_E10value_typeEPSI_NS1_7vsmem_tEENKUlT_SG_SH_SI_E_clIS7_S7_SB_PlEESF_SV_SG_SH_SI_EUlSV_E_NS1_11comp_targetILNS1_3genE9ELNS1_11target_archE1100ELNS1_3gpuE3ELNS1_3repE0EEENS1_48merge_mergepath_partition_config_static_selectorELNS0_4arch9wavefront6targetE1EEEvSH_
		.amdhsa_group_segment_fixed_size 0
		.amdhsa_private_segment_fixed_size 0
		.amdhsa_kernarg_size 40
		.amdhsa_user_sgpr_count 6
		.amdhsa_user_sgpr_private_segment_buffer 1
		.amdhsa_user_sgpr_dispatch_ptr 0
		.amdhsa_user_sgpr_queue_ptr 0
		.amdhsa_user_sgpr_kernarg_segment_ptr 1
		.amdhsa_user_sgpr_dispatch_id 0
		.amdhsa_user_sgpr_flat_scratch_init 0
		.amdhsa_user_sgpr_kernarg_preload_length 0
		.amdhsa_user_sgpr_kernarg_preload_offset 0
		.amdhsa_user_sgpr_private_segment_size 0
		.amdhsa_uses_dynamic_stack 0
		.amdhsa_system_sgpr_private_segment_wavefront_offset 0
		.amdhsa_system_sgpr_workgroup_id_x 1
		.amdhsa_system_sgpr_workgroup_id_y 0
		.amdhsa_system_sgpr_workgroup_id_z 0
		.amdhsa_system_sgpr_workgroup_info 0
		.amdhsa_system_vgpr_workitem_id 0
		.amdhsa_next_free_vgpr 1
		.amdhsa_next_free_sgpr 0
		.amdhsa_accum_offset 4
		.amdhsa_reserve_vcc 0
		.amdhsa_reserve_flat_scratch 0
		.amdhsa_float_round_mode_32 0
		.amdhsa_float_round_mode_16_64 0
		.amdhsa_float_denorm_mode_32 3
		.amdhsa_float_denorm_mode_16_64 3
		.amdhsa_dx10_clamp 1
		.amdhsa_ieee_mode 1
		.amdhsa_fp16_overflow 0
		.amdhsa_tg_split 0
		.amdhsa_exception_fp_ieee_invalid_op 0
		.amdhsa_exception_fp_denorm_src 0
		.amdhsa_exception_fp_ieee_div_zero 0
		.amdhsa_exception_fp_ieee_overflow 0
		.amdhsa_exception_fp_ieee_underflow 0
		.amdhsa_exception_fp_ieee_inexact 0
		.amdhsa_exception_int_div_zero 0
	.end_amdhsa_kernel
	.section	.text._ZN7rocprim17ROCPRIM_400000_NS6detail17trampoline_kernelINS0_14default_configENS1_38merge_sort_block_merge_config_selectorIalEEZZNS1_27merge_sort_block_merge_implIS3_PaN6thrust23THRUST_200600_302600_NS10device_ptrIlEEjNS1_19radix_merge_compareILb0ELb0EaNS0_19identity_decomposerEEEEE10hipError_tT0_T1_T2_jT3_P12ihipStream_tbPNSt15iterator_traitsISG_E10value_typeEPNSM_ISH_E10value_typeEPSI_NS1_7vsmem_tEENKUlT_SG_SH_SI_E_clIS7_S7_SB_PlEESF_SV_SG_SH_SI_EUlSV_E_NS1_11comp_targetILNS1_3genE9ELNS1_11target_archE1100ELNS1_3gpuE3ELNS1_3repE0EEENS1_48merge_mergepath_partition_config_static_selectorELNS0_4arch9wavefront6targetE1EEEvSH_,"axG",@progbits,_ZN7rocprim17ROCPRIM_400000_NS6detail17trampoline_kernelINS0_14default_configENS1_38merge_sort_block_merge_config_selectorIalEEZZNS1_27merge_sort_block_merge_implIS3_PaN6thrust23THRUST_200600_302600_NS10device_ptrIlEEjNS1_19radix_merge_compareILb0ELb0EaNS0_19identity_decomposerEEEEE10hipError_tT0_T1_T2_jT3_P12ihipStream_tbPNSt15iterator_traitsISG_E10value_typeEPNSM_ISH_E10value_typeEPSI_NS1_7vsmem_tEENKUlT_SG_SH_SI_E_clIS7_S7_SB_PlEESF_SV_SG_SH_SI_EUlSV_E_NS1_11comp_targetILNS1_3genE9ELNS1_11target_archE1100ELNS1_3gpuE3ELNS1_3repE0EEENS1_48merge_mergepath_partition_config_static_selectorELNS0_4arch9wavefront6targetE1EEEvSH_,comdat
.Lfunc_end508:
	.size	_ZN7rocprim17ROCPRIM_400000_NS6detail17trampoline_kernelINS0_14default_configENS1_38merge_sort_block_merge_config_selectorIalEEZZNS1_27merge_sort_block_merge_implIS3_PaN6thrust23THRUST_200600_302600_NS10device_ptrIlEEjNS1_19radix_merge_compareILb0ELb0EaNS0_19identity_decomposerEEEEE10hipError_tT0_T1_T2_jT3_P12ihipStream_tbPNSt15iterator_traitsISG_E10value_typeEPNSM_ISH_E10value_typeEPSI_NS1_7vsmem_tEENKUlT_SG_SH_SI_E_clIS7_S7_SB_PlEESF_SV_SG_SH_SI_EUlSV_E_NS1_11comp_targetILNS1_3genE9ELNS1_11target_archE1100ELNS1_3gpuE3ELNS1_3repE0EEENS1_48merge_mergepath_partition_config_static_selectorELNS0_4arch9wavefront6targetE1EEEvSH_, .Lfunc_end508-_ZN7rocprim17ROCPRIM_400000_NS6detail17trampoline_kernelINS0_14default_configENS1_38merge_sort_block_merge_config_selectorIalEEZZNS1_27merge_sort_block_merge_implIS3_PaN6thrust23THRUST_200600_302600_NS10device_ptrIlEEjNS1_19radix_merge_compareILb0ELb0EaNS0_19identity_decomposerEEEEE10hipError_tT0_T1_T2_jT3_P12ihipStream_tbPNSt15iterator_traitsISG_E10value_typeEPNSM_ISH_E10value_typeEPSI_NS1_7vsmem_tEENKUlT_SG_SH_SI_E_clIS7_S7_SB_PlEESF_SV_SG_SH_SI_EUlSV_E_NS1_11comp_targetILNS1_3genE9ELNS1_11target_archE1100ELNS1_3gpuE3ELNS1_3repE0EEENS1_48merge_mergepath_partition_config_static_selectorELNS0_4arch9wavefront6targetE1EEEvSH_
                                        ; -- End function
	.section	.AMDGPU.csdata,"",@progbits
; Kernel info:
; codeLenInByte = 0
; NumSgprs: 4
; NumVgprs: 0
; NumAgprs: 0
; TotalNumVgprs: 0
; ScratchSize: 0
; MemoryBound: 0
; FloatMode: 240
; IeeeMode: 1
; LDSByteSize: 0 bytes/workgroup (compile time only)
; SGPRBlocks: 0
; VGPRBlocks: 0
; NumSGPRsForWavesPerEU: 4
; NumVGPRsForWavesPerEU: 1
; AccumOffset: 4
; Occupancy: 8
; WaveLimiterHint : 0
; COMPUTE_PGM_RSRC2:SCRATCH_EN: 0
; COMPUTE_PGM_RSRC2:USER_SGPR: 6
; COMPUTE_PGM_RSRC2:TRAP_HANDLER: 0
; COMPUTE_PGM_RSRC2:TGID_X_EN: 1
; COMPUTE_PGM_RSRC2:TGID_Y_EN: 0
; COMPUTE_PGM_RSRC2:TGID_Z_EN: 0
; COMPUTE_PGM_RSRC2:TIDIG_COMP_CNT: 0
; COMPUTE_PGM_RSRC3_GFX90A:ACCUM_OFFSET: 0
; COMPUTE_PGM_RSRC3_GFX90A:TG_SPLIT: 0
	.section	.text._ZN7rocprim17ROCPRIM_400000_NS6detail17trampoline_kernelINS0_14default_configENS1_38merge_sort_block_merge_config_selectorIalEEZZNS1_27merge_sort_block_merge_implIS3_PaN6thrust23THRUST_200600_302600_NS10device_ptrIlEEjNS1_19radix_merge_compareILb0ELb0EaNS0_19identity_decomposerEEEEE10hipError_tT0_T1_T2_jT3_P12ihipStream_tbPNSt15iterator_traitsISG_E10value_typeEPNSM_ISH_E10value_typeEPSI_NS1_7vsmem_tEENKUlT_SG_SH_SI_E_clIS7_S7_SB_PlEESF_SV_SG_SH_SI_EUlSV_E_NS1_11comp_targetILNS1_3genE8ELNS1_11target_archE1030ELNS1_3gpuE2ELNS1_3repE0EEENS1_48merge_mergepath_partition_config_static_selectorELNS0_4arch9wavefront6targetE1EEEvSH_,"axG",@progbits,_ZN7rocprim17ROCPRIM_400000_NS6detail17trampoline_kernelINS0_14default_configENS1_38merge_sort_block_merge_config_selectorIalEEZZNS1_27merge_sort_block_merge_implIS3_PaN6thrust23THRUST_200600_302600_NS10device_ptrIlEEjNS1_19radix_merge_compareILb0ELb0EaNS0_19identity_decomposerEEEEE10hipError_tT0_T1_T2_jT3_P12ihipStream_tbPNSt15iterator_traitsISG_E10value_typeEPNSM_ISH_E10value_typeEPSI_NS1_7vsmem_tEENKUlT_SG_SH_SI_E_clIS7_S7_SB_PlEESF_SV_SG_SH_SI_EUlSV_E_NS1_11comp_targetILNS1_3genE8ELNS1_11target_archE1030ELNS1_3gpuE2ELNS1_3repE0EEENS1_48merge_mergepath_partition_config_static_selectorELNS0_4arch9wavefront6targetE1EEEvSH_,comdat
	.protected	_ZN7rocprim17ROCPRIM_400000_NS6detail17trampoline_kernelINS0_14default_configENS1_38merge_sort_block_merge_config_selectorIalEEZZNS1_27merge_sort_block_merge_implIS3_PaN6thrust23THRUST_200600_302600_NS10device_ptrIlEEjNS1_19radix_merge_compareILb0ELb0EaNS0_19identity_decomposerEEEEE10hipError_tT0_T1_T2_jT3_P12ihipStream_tbPNSt15iterator_traitsISG_E10value_typeEPNSM_ISH_E10value_typeEPSI_NS1_7vsmem_tEENKUlT_SG_SH_SI_E_clIS7_S7_SB_PlEESF_SV_SG_SH_SI_EUlSV_E_NS1_11comp_targetILNS1_3genE8ELNS1_11target_archE1030ELNS1_3gpuE2ELNS1_3repE0EEENS1_48merge_mergepath_partition_config_static_selectorELNS0_4arch9wavefront6targetE1EEEvSH_ ; -- Begin function _ZN7rocprim17ROCPRIM_400000_NS6detail17trampoline_kernelINS0_14default_configENS1_38merge_sort_block_merge_config_selectorIalEEZZNS1_27merge_sort_block_merge_implIS3_PaN6thrust23THRUST_200600_302600_NS10device_ptrIlEEjNS1_19radix_merge_compareILb0ELb0EaNS0_19identity_decomposerEEEEE10hipError_tT0_T1_T2_jT3_P12ihipStream_tbPNSt15iterator_traitsISG_E10value_typeEPNSM_ISH_E10value_typeEPSI_NS1_7vsmem_tEENKUlT_SG_SH_SI_E_clIS7_S7_SB_PlEESF_SV_SG_SH_SI_EUlSV_E_NS1_11comp_targetILNS1_3genE8ELNS1_11target_archE1030ELNS1_3gpuE2ELNS1_3repE0EEENS1_48merge_mergepath_partition_config_static_selectorELNS0_4arch9wavefront6targetE1EEEvSH_
	.globl	_ZN7rocprim17ROCPRIM_400000_NS6detail17trampoline_kernelINS0_14default_configENS1_38merge_sort_block_merge_config_selectorIalEEZZNS1_27merge_sort_block_merge_implIS3_PaN6thrust23THRUST_200600_302600_NS10device_ptrIlEEjNS1_19radix_merge_compareILb0ELb0EaNS0_19identity_decomposerEEEEE10hipError_tT0_T1_T2_jT3_P12ihipStream_tbPNSt15iterator_traitsISG_E10value_typeEPNSM_ISH_E10value_typeEPSI_NS1_7vsmem_tEENKUlT_SG_SH_SI_E_clIS7_S7_SB_PlEESF_SV_SG_SH_SI_EUlSV_E_NS1_11comp_targetILNS1_3genE8ELNS1_11target_archE1030ELNS1_3gpuE2ELNS1_3repE0EEENS1_48merge_mergepath_partition_config_static_selectorELNS0_4arch9wavefront6targetE1EEEvSH_
	.p2align	8
	.type	_ZN7rocprim17ROCPRIM_400000_NS6detail17trampoline_kernelINS0_14default_configENS1_38merge_sort_block_merge_config_selectorIalEEZZNS1_27merge_sort_block_merge_implIS3_PaN6thrust23THRUST_200600_302600_NS10device_ptrIlEEjNS1_19radix_merge_compareILb0ELb0EaNS0_19identity_decomposerEEEEE10hipError_tT0_T1_T2_jT3_P12ihipStream_tbPNSt15iterator_traitsISG_E10value_typeEPNSM_ISH_E10value_typeEPSI_NS1_7vsmem_tEENKUlT_SG_SH_SI_E_clIS7_S7_SB_PlEESF_SV_SG_SH_SI_EUlSV_E_NS1_11comp_targetILNS1_3genE8ELNS1_11target_archE1030ELNS1_3gpuE2ELNS1_3repE0EEENS1_48merge_mergepath_partition_config_static_selectorELNS0_4arch9wavefront6targetE1EEEvSH_,@function
_ZN7rocprim17ROCPRIM_400000_NS6detail17trampoline_kernelINS0_14default_configENS1_38merge_sort_block_merge_config_selectorIalEEZZNS1_27merge_sort_block_merge_implIS3_PaN6thrust23THRUST_200600_302600_NS10device_ptrIlEEjNS1_19radix_merge_compareILb0ELb0EaNS0_19identity_decomposerEEEEE10hipError_tT0_T1_T2_jT3_P12ihipStream_tbPNSt15iterator_traitsISG_E10value_typeEPNSM_ISH_E10value_typeEPSI_NS1_7vsmem_tEENKUlT_SG_SH_SI_E_clIS7_S7_SB_PlEESF_SV_SG_SH_SI_EUlSV_E_NS1_11comp_targetILNS1_3genE8ELNS1_11target_archE1030ELNS1_3gpuE2ELNS1_3repE0EEENS1_48merge_mergepath_partition_config_static_selectorELNS0_4arch9wavefront6targetE1EEEvSH_: ; @_ZN7rocprim17ROCPRIM_400000_NS6detail17trampoline_kernelINS0_14default_configENS1_38merge_sort_block_merge_config_selectorIalEEZZNS1_27merge_sort_block_merge_implIS3_PaN6thrust23THRUST_200600_302600_NS10device_ptrIlEEjNS1_19radix_merge_compareILb0ELb0EaNS0_19identity_decomposerEEEEE10hipError_tT0_T1_T2_jT3_P12ihipStream_tbPNSt15iterator_traitsISG_E10value_typeEPNSM_ISH_E10value_typeEPSI_NS1_7vsmem_tEENKUlT_SG_SH_SI_E_clIS7_S7_SB_PlEESF_SV_SG_SH_SI_EUlSV_E_NS1_11comp_targetILNS1_3genE8ELNS1_11target_archE1030ELNS1_3gpuE2ELNS1_3repE0EEENS1_48merge_mergepath_partition_config_static_selectorELNS0_4arch9wavefront6targetE1EEEvSH_
; %bb.0:
	.section	.rodata,"a",@progbits
	.p2align	6, 0x0
	.amdhsa_kernel _ZN7rocprim17ROCPRIM_400000_NS6detail17trampoline_kernelINS0_14default_configENS1_38merge_sort_block_merge_config_selectorIalEEZZNS1_27merge_sort_block_merge_implIS3_PaN6thrust23THRUST_200600_302600_NS10device_ptrIlEEjNS1_19radix_merge_compareILb0ELb0EaNS0_19identity_decomposerEEEEE10hipError_tT0_T1_T2_jT3_P12ihipStream_tbPNSt15iterator_traitsISG_E10value_typeEPNSM_ISH_E10value_typeEPSI_NS1_7vsmem_tEENKUlT_SG_SH_SI_E_clIS7_S7_SB_PlEESF_SV_SG_SH_SI_EUlSV_E_NS1_11comp_targetILNS1_3genE8ELNS1_11target_archE1030ELNS1_3gpuE2ELNS1_3repE0EEENS1_48merge_mergepath_partition_config_static_selectorELNS0_4arch9wavefront6targetE1EEEvSH_
		.amdhsa_group_segment_fixed_size 0
		.amdhsa_private_segment_fixed_size 0
		.amdhsa_kernarg_size 40
		.amdhsa_user_sgpr_count 6
		.amdhsa_user_sgpr_private_segment_buffer 1
		.amdhsa_user_sgpr_dispatch_ptr 0
		.amdhsa_user_sgpr_queue_ptr 0
		.amdhsa_user_sgpr_kernarg_segment_ptr 1
		.amdhsa_user_sgpr_dispatch_id 0
		.amdhsa_user_sgpr_flat_scratch_init 0
		.amdhsa_user_sgpr_kernarg_preload_length 0
		.amdhsa_user_sgpr_kernarg_preload_offset 0
		.amdhsa_user_sgpr_private_segment_size 0
		.amdhsa_uses_dynamic_stack 0
		.amdhsa_system_sgpr_private_segment_wavefront_offset 0
		.amdhsa_system_sgpr_workgroup_id_x 1
		.amdhsa_system_sgpr_workgroup_id_y 0
		.amdhsa_system_sgpr_workgroup_id_z 0
		.amdhsa_system_sgpr_workgroup_info 0
		.amdhsa_system_vgpr_workitem_id 0
		.amdhsa_next_free_vgpr 1
		.amdhsa_next_free_sgpr 0
		.amdhsa_accum_offset 4
		.amdhsa_reserve_vcc 0
		.amdhsa_reserve_flat_scratch 0
		.amdhsa_float_round_mode_32 0
		.amdhsa_float_round_mode_16_64 0
		.amdhsa_float_denorm_mode_32 3
		.amdhsa_float_denorm_mode_16_64 3
		.amdhsa_dx10_clamp 1
		.amdhsa_ieee_mode 1
		.amdhsa_fp16_overflow 0
		.amdhsa_tg_split 0
		.amdhsa_exception_fp_ieee_invalid_op 0
		.amdhsa_exception_fp_denorm_src 0
		.amdhsa_exception_fp_ieee_div_zero 0
		.amdhsa_exception_fp_ieee_overflow 0
		.amdhsa_exception_fp_ieee_underflow 0
		.amdhsa_exception_fp_ieee_inexact 0
		.amdhsa_exception_int_div_zero 0
	.end_amdhsa_kernel
	.section	.text._ZN7rocprim17ROCPRIM_400000_NS6detail17trampoline_kernelINS0_14default_configENS1_38merge_sort_block_merge_config_selectorIalEEZZNS1_27merge_sort_block_merge_implIS3_PaN6thrust23THRUST_200600_302600_NS10device_ptrIlEEjNS1_19radix_merge_compareILb0ELb0EaNS0_19identity_decomposerEEEEE10hipError_tT0_T1_T2_jT3_P12ihipStream_tbPNSt15iterator_traitsISG_E10value_typeEPNSM_ISH_E10value_typeEPSI_NS1_7vsmem_tEENKUlT_SG_SH_SI_E_clIS7_S7_SB_PlEESF_SV_SG_SH_SI_EUlSV_E_NS1_11comp_targetILNS1_3genE8ELNS1_11target_archE1030ELNS1_3gpuE2ELNS1_3repE0EEENS1_48merge_mergepath_partition_config_static_selectorELNS0_4arch9wavefront6targetE1EEEvSH_,"axG",@progbits,_ZN7rocprim17ROCPRIM_400000_NS6detail17trampoline_kernelINS0_14default_configENS1_38merge_sort_block_merge_config_selectorIalEEZZNS1_27merge_sort_block_merge_implIS3_PaN6thrust23THRUST_200600_302600_NS10device_ptrIlEEjNS1_19radix_merge_compareILb0ELb0EaNS0_19identity_decomposerEEEEE10hipError_tT0_T1_T2_jT3_P12ihipStream_tbPNSt15iterator_traitsISG_E10value_typeEPNSM_ISH_E10value_typeEPSI_NS1_7vsmem_tEENKUlT_SG_SH_SI_E_clIS7_S7_SB_PlEESF_SV_SG_SH_SI_EUlSV_E_NS1_11comp_targetILNS1_3genE8ELNS1_11target_archE1030ELNS1_3gpuE2ELNS1_3repE0EEENS1_48merge_mergepath_partition_config_static_selectorELNS0_4arch9wavefront6targetE1EEEvSH_,comdat
.Lfunc_end509:
	.size	_ZN7rocprim17ROCPRIM_400000_NS6detail17trampoline_kernelINS0_14default_configENS1_38merge_sort_block_merge_config_selectorIalEEZZNS1_27merge_sort_block_merge_implIS3_PaN6thrust23THRUST_200600_302600_NS10device_ptrIlEEjNS1_19radix_merge_compareILb0ELb0EaNS0_19identity_decomposerEEEEE10hipError_tT0_T1_T2_jT3_P12ihipStream_tbPNSt15iterator_traitsISG_E10value_typeEPNSM_ISH_E10value_typeEPSI_NS1_7vsmem_tEENKUlT_SG_SH_SI_E_clIS7_S7_SB_PlEESF_SV_SG_SH_SI_EUlSV_E_NS1_11comp_targetILNS1_3genE8ELNS1_11target_archE1030ELNS1_3gpuE2ELNS1_3repE0EEENS1_48merge_mergepath_partition_config_static_selectorELNS0_4arch9wavefront6targetE1EEEvSH_, .Lfunc_end509-_ZN7rocprim17ROCPRIM_400000_NS6detail17trampoline_kernelINS0_14default_configENS1_38merge_sort_block_merge_config_selectorIalEEZZNS1_27merge_sort_block_merge_implIS3_PaN6thrust23THRUST_200600_302600_NS10device_ptrIlEEjNS1_19radix_merge_compareILb0ELb0EaNS0_19identity_decomposerEEEEE10hipError_tT0_T1_T2_jT3_P12ihipStream_tbPNSt15iterator_traitsISG_E10value_typeEPNSM_ISH_E10value_typeEPSI_NS1_7vsmem_tEENKUlT_SG_SH_SI_E_clIS7_S7_SB_PlEESF_SV_SG_SH_SI_EUlSV_E_NS1_11comp_targetILNS1_3genE8ELNS1_11target_archE1030ELNS1_3gpuE2ELNS1_3repE0EEENS1_48merge_mergepath_partition_config_static_selectorELNS0_4arch9wavefront6targetE1EEEvSH_
                                        ; -- End function
	.section	.AMDGPU.csdata,"",@progbits
; Kernel info:
; codeLenInByte = 0
; NumSgprs: 4
; NumVgprs: 0
; NumAgprs: 0
; TotalNumVgprs: 0
; ScratchSize: 0
; MemoryBound: 0
; FloatMode: 240
; IeeeMode: 1
; LDSByteSize: 0 bytes/workgroup (compile time only)
; SGPRBlocks: 0
; VGPRBlocks: 0
; NumSGPRsForWavesPerEU: 4
; NumVGPRsForWavesPerEU: 1
; AccumOffset: 4
; Occupancy: 8
; WaveLimiterHint : 0
; COMPUTE_PGM_RSRC2:SCRATCH_EN: 0
; COMPUTE_PGM_RSRC2:USER_SGPR: 6
; COMPUTE_PGM_RSRC2:TRAP_HANDLER: 0
; COMPUTE_PGM_RSRC2:TGID_X_EN: 1
; COMPUTE_PGM_RSRC2:TGID_Y_EN: 0
; COMPUTE_PGM_RSRC2:TGID_Z_EN: 0
; COMPUTE_PGM_RSRC2:TIDIG_COMP_CNT: 0
; COMPUTE_PGM_RSRC3_GFX90A:ACCUM_OFFSET: 0
; COMPUTE_PGM_RSRC3_GFX90A:TG_SPLIT: 0
	.section	.text._ZN7rocprim17ROCPRIM_400000_NS6detail17trampoline_kernelINS0_14default_configENS1_38merge_sort_block_merge_config_selectorIalEEZZNS1_27merge_sort_block_merge_implIS3_PaN6thrust23THRUST_200600_302600_NS10device_ptrIlEEjNS1_19radix_merge_compareILb0ELb0EaNS0_19identity_decomposerEEEEE10hipError_tT0_T1_T2_jT3_P12ihipStream_tbPNSt15iterator_traitsISG_E10value_typeEPNSM_ISH_E10value_typeEPSI_NS1_7vsmem_tEENKUlT_SG_SH_SI_E_clIS7_S7_SB_PlEESF_SV_SG_SH_SI_EUlSV_E0_NS1_11comp_targetILNS1_3genE0ELNS1_11target_archE4294967295ELNS1_3gpuE0ELNS1_3repE0EEENS1_38merge_mergepath_config_static_selectorELNS0_4arch9wavefront6targetE1EEEvSH_,"axG",@progbits,_ZN7rocprim17ROCPRIM_400000_NS6detail17trampoline_kernelINS0_14default_configENS1_38merge_sort_block_merge_config_selectorIalEEZZNS1_27merge_sort_block_merge_implIS3_PaN6thrust23THRUST_200600_302600_NS10device_ptrIlEEjNS1_19radix_merge_compareILb0ELb0EaNS0_19identity_decomposerEEEEE10hipError_tT0_T1_T2_jT3_P12ihipStream_tbPNSt15iterator_traitsISG_E10value_typeEPNSM_ISH_E10value_typeEPSI_NS1_7vsmem_tEENKUlT_SG_SH_SI_E_clIS7_S7_SB_PlEESF_SV_SG_SH_SI_EUlSV_E0_NS1_11comp_targetILNS1_3genE0ELNS1_11target_archE4294967295ELNS1_3gpuE0ELNS1_3repE0EEENS1_38merge_mergepath_config_static_selectorELNS0_4arch9wavefront6targetE1EEEvSH_,comdat
	.protected	_ZN7rocprim17ROCPRIM_400000_NS6detail17trampoline_kernelINS0_14default_configENS1_38merge_sort_block_merge_config_selectorIalEEZZNS1_27merge_sort_block_merge_implIS3_PaN6thrust23THRUST_200600_302600_NS10device_ptrIlEEjNS1_19radix_merge_compareILb0ELb0EaNS0_19identity_decomposerEEEEE10hipError_tT0_T1_T2_jT3_P12ihipStream_tbPNSt15iterator_traitsISG_E10value_typeEPNSM_ISH_E10value_typeEPSI_NS1_7vsmem_tEENKUlT_SG_SH_SI_E_clIS7_S7_SB_PlEESF_SV_SG_SH_SI_EUlSV_E0_NS1_11comp_targetILNS1_3genE0ELNS1_11target_archE4294967295ELNS1_3gpuE0ELNS1_3repE0EEENS1_38merge_mergepath_config_static_selectorELNS0_4arch9wavefront6targetE1EEEvSH_ ; -- Begin function _ZN7rocprim17ROCPRIM_400000_NS6detail17trampoline_kernelINS0_14default_configENS1_38merge_sort_block_merge_config_selectorIalEEZZNS1_27merge_sort_block_merge_implIS3_PaN6thrust23THRUST_200600_302600_NS10device_ptrIlEEjNS1_19radix_merge_compareILb0ELb0EaNS0_19identity_decomposerEEEEE10hipError_tT0_T1_T2_jT3_P12ihipStream_tbPNSt15iterator_traitsISG_E10value_typeEPNSM_ISH_E10value_typeEPSI_NS1_7vsmem_tEENKUlT_SG_SH_SI_E_clIS7_S7_SB_PlEESF_SV_SG_SH_SI_EUlSV_E0_NS1_11comp_targetILNS1_3genE0ELNS1_11target_archE4294967295ELNS1_3gpuE0ELNS1_3repE0EEENS1_38merge_mergepath_config_static_selectorELNS0_4arch9wavefront6targetE1EEEvSH_
	.globl	_ZN7rocprim17ROCPRIM_400000_NS6detail17trampoline_kernelINS0_14default_configENS1_38merge_sort_block_merge_config_selectorIalEEZZNS1_27merge_sort_block_merge_implIS3_PaN6thrust23THRUST_200600_302600_NS10device_ptrIlEEjNS1_19radix_merge_compareILb0ELb0EaNS0_19identity_decomposerEEEEE10hipError_tT0_T1_T2_jT3_P12ihipStream_tbPNSt15iterator_traitsISG_E10value_typeEPNSM_ISH_E10value_typeEPSI_NS1_7vsmem_tEENKUlT_SG_SH_SI_E_clIS7_S7_SB_PlEESF_SV_SG_SH_SI_EUlSV_E0_NS1_11comp_targetILNS1_3genE0ELNS1_11target_archE4294967295ELNS1_3gpuE0ELNS1_3repE0EEENS1_38merge_mergepath_config_static_selectorELNS0_4arch9wavefront6targetE1EEEvSH_
	.p2align	8
	.type	_ZN7rocprim17ROCPRIM_400000_NS6detail17trampoline_kernelINS0_14default_configENS1_38merge_sort_block_merge_config_selectorIalEEZZNS1_27merge_sort_block_merge_implIS3_PaN6thrust23THRUST_200600_302600_NS10device_ptrIlEEjNS1_19radix_merge_compareILb0ELb0EaNS0_19identity_decomposerEEEEE10hipError_tT0_T1_T2_jT3_P12ihipStream_tbPNSt15iterator_traitsISG_E10value_typeEPNSM_ISH_E10value_typeEPSI_NS1_7vsmem_tEENKUlT_SG_SH_SI_E_clIS7_S7_SB_PlEESF_SV_SG_SH_SI_EUlSV_E0_NS1_11comp_targetILNS1_3genE0ELNS1_11target_archE4294967295ELNS1_3gpuE0ELNS1_3repE0EEENS1_38merge_mergepath_config_static_selectorELNS0_4arch9wavefront6targetE1EEEvSH_,@function
_ZN7rocprim17ROCPRIM_400000_NS6detail17trampoline_kernelINS0_14default_configENS1_38merge_sort_block_merge_config_selectorIalEEZZNS1_27merge_sort_block_merge_implIS3_PaN6thrust23THRUST_200600_302600_NS10device_ptrIlEEjNS1_19radix_merge_compareILb0ELb0EaNS0_19identity_decomposerEEEEE10hipError_tT0_T1_T2_jT3_P12ihipStream_tbPNSt15iterator_traitsISG_E10value_typeEPNSM_ISH_E10value_typeEPSI_NS1_7vsmem_tEENKUlT_SG_SH_SI_E_clIS7_S7_SB_PlEESF_SV_SG_SH_SI_EUlSV_E0_NS1_11comp_targetILNS1_3genE0ELNS1_11target_archE4294967295ELNS1_3gpuE0ELNS1_3repE0EEENS1_38merge_mergepath_config_static_selectorELNS0_4arch9wavefront6targetE1EEEvSH_: ; @_ZN7rocprim17ROCPRIM_400000_NS6detail17trampoline_kernelINS0_14default_configENS1_38merge_sort_block_merge_config_selectorIalEEZZNS1_27merge_sort_block_merge_implIS3_PaN6thrust23THRUST_200600_302600_NS10device_ptrIlEEjNS1_19radix_merge_compareILb0ELb0EaNS0_19identity_decomposerEEEEE10hipError_tT0_T1_T2_jT3_P12ihipStream_tbPNSt15iterator_traitsISG_E10value_typeEPNSM_ISH_E10value_typeEPSI_NS1_7vsmem_tEENKUlT_SG_SH_SI_E_clIS7_S7_SB_PlEESF_SV_SG_SH_SI_EUlSV_E0_NS1_11comp_targetILNS1_3genE0ELNS1_11target_archE4294967295ELNS1_3gpuE0ELNS1_3repE0EEENS1_38merge_mergepath_config_static_selectorELNS0_4arch9wavefront6targetE1EEEvSH_
; %bb.0:
	.section	.rodata,"a",@progbits
	.p2align	6, 0x0
	.amdhsa_kernel _ZN7rocprim17ROCPRIM_400000_NS6detail17trampoline_kernelINS0_14default_configENS1_38merge_sort_block_merge_config_selectorIalEEZZNS1_27merge_sort_block_merge_implIS3_PaN6thrust23THRUST_200600_302600_NS10device_ptrIlEEjNS1_19radix_merge_compareILb0ELb0EaNS0_19identity_decomposerEEEEE10hipError_tT0_T1_T2_jT3_P12ihipStream_tbPNSt15iterator_traitsISG_E10value_typeEPNSM_ISH_E10value_typeEPSI_NS1_7vsmem_tEENKUlT_SG_SH_SI_E_clIS7_S7_SB_PlEESF_SV_SG_SH_SI_EUlSV_E0_NS1_11comp_targetILNS1_3genE0ELNS1_11target_archE4294967295ELNS1_3gpuE0ELNS1_3repE0EEENS1_38merge_mergepath_config_static_selectorELNS0_4arch9wavefront6targetE1EEEvSH_
		.amdhsa_group_segment_fixed_size 0
		.amdhsa_private_segment_fixed_size 0
		.amdhsa_kernarg_size 64
		.amdhsa_user_sgpr_count 6
		.amdhsa_user_sgpr_private_segment_buffer 1
		.amdhsa_user_sgpr_dispatch_ptr 0
		.amdhsa_user_sgpr_queue_ptr 0
		.amdhsa_user_sgpr_kernarg_segment_ptr 1
		.amdhsa_user_sgpr_dispatch_id 0
		.amdhsa_user_sgpr_flat_scratch_init 0
		.amdhsa_user_sgpr_kernarg_preload_length 0
		.amdhsa_user_sgpr_kernarg_preload_offset 0
		.amdhsa_user_sgpr_private_segment_size 0
		.amdhsa_uses_dynamic_stack 0
		.amdhsa_system_sgpr_private_segment_wavefront_offset 0
		.amdhsa_system_sgpr_workgroup_id_x 1
		.amdhsa_system_sgpr_workgroup_id_y 0
		.amdhsa_system_sgpr_workgroup_id_z 0
		.amdhsa_system_sgpr_workgroup_info 0
		.amdhsa_system_vgpr_workitem_id 0
		.amdhsa_next_free_vgpr 1
		.amdhsa_next_free_sgpr 0
		.amdhsa_accum_offset 4
		.amdhsa_reserve_vcc 0
		.amdhsa_reserve_flat_scratch 0
		.amdhsa_float_round_mode_32 0
		.amdhsa_float_round_mode_16_64 0
		.amdhsa_float_denorm_mode_32 3
		.amdhsa_float_denorm_mode_16_64 3
		.amdhsa_dx10_clamp 1
		.amdhsa_ieee_mode 1
		.amdhsa_fp16_overflow 0
		.amdhsa_tg_split 0
		.amdhsa_exception_fp_ieee_invalid_op 0
		.amdhsa_exception_fp_denorm_src 0
		.amdhsa_exception_fp_ieee_div_zero 0
		.amdhsa_exception_fp_ieee_overflow 0
		.amdhsa_exception_fp_ieee_underflow 0
		.amdhsa_exception_fp_ieee_inexact 0
		.amdhsa_exception_int_div_zero 0
	.end_amdhsa_kernel
	.section	.text._ZN7rocprim17ROCPRIM_400000_NS6detail17trampoline_kernelINS0_14default_configENS1_38merge_sort_block_merge_config_selectorIalEEZZNS1_27merge_sort_block_merge_implIS3_PaN6thrust23THRUST_200600_302600_NS10device_ptrIlEEjNS1_19radix_merge_compareILb0ELb0EaNS0_19identity_decomposerEEEEE10hipError_tT0_T1_T2_jT3_P12ihipStream_tbPNSt15iterator_traitsISG_E10value_typeEPNSM_ISH_E10value_typeEPSI_NS1_7vsmem_tEENKUlT_SG_SH_SI_E_clIS7_S7_SB_PlEESF_SV_SG_SH_SI_EUlSV_E0_NS1_11comp_targetILNS1_3genE0ELNS1_11target_archE4294967295ELNS1_3gpuE0ELNS1_3repE0EEENS1_38merge_mergepath_config_static_selectorELNS0_4arch9wavefront6targetE1EEEvSH_,"axG",@progbits,_ZN7rocprim17ROCPRIM_400000_NS6detail17trampoline_kernelINS0_14default_configENS1_38merge_sort_block_merge_config_selectorIalEEZZNS1_27merge_sort_block_merge_implIS3_PaN6thrust23THRUST_200600_302600_NS10device_ptrIlEEjNS1_19radix_merge_compareILb0ELb0EaNS0_19identity_decomposerEEEEE10hipError_tT0_T1_T2_jT3_P12ihipStream_tbPNSt15iterator_traitsISG_E10value_typeEPNSM_ISH_E10value_typeEPSI_NS1_7vsmem_tEENKUlT_SG_SH_SI_E_clIS7_S7_SB_PlEESF_SV_SG_SH_SI_EUlSV_E0_NS1_11comp_targetILNS1_3genE0ELNS1_11target_archE4294967295ELNS1_3gpuE0ELNS1_3repE0EEENS1_38merge_mergepath_config_static_selectorELNS0_4arch9wavefront6targetE1EEEvSH_,comdat
.Lfunc_end510:
	.size	_ZN7rocprim17ROCPRIM_400000_NS6detail17trampoline_kernelINS0_14default_configENS1_38merge_sort_block_merge_config_selectorIalEEZZNS1_27merge_sort_block_merge_implIS3_PaN6thrust23THRUST_200600_302600_NS10device_ptrIlEEjNS1_19radix_merge_compareILb0ELb0EaNS0_19identity_decomposerEEEEE10hipError_tT0_T1_T2_jT3_P12ihipStream_tbPNSt15iterator_traitsISG_E10value_typeEPNSM_ISH_E10value_typeEPSI_NS1_7vsmem_tEENKUlT_SG_SH_SI_E_clIS7_S7_SB_PlEESF_SV_SG_SH_SI_EUlSV_E0_NS1_11comp_targetILNS1_3genE0ELNS1_11target_archE4294967295ELNS1_3gpuE0ELNS1_3repE0EEENS1_38merge_mergepath_config_static_selectorELNS0_4arch9wavefront6targetE1EEEvSH_, .Lfunc_end510-_ZN7rocprim17ROCPRIM_400000_NS6detail17trampoline_kernelINS0_14default_configENS1_38merge_sort_block_merge_config_selectorIalEEZZNS1_27merge_sort_block_merge_implIS3_PaN6thrust23THRUST_200600_302600_NS10device_ptrIlEEjNS1_19radix_merge_compareILb0ELb0EaNS0_19identity_decomposerEEEEE10hipError_tT0_T1_T2_jT3_P12ihipStream_tbPNSt15iterator_traitsISG_E10value_typeEPNSM_ISH_E10value_typeEPSI_NS1_7vsmem_tEENKUlT_SG_SH_SI_E_clIS7_S7_SB_PlEESF_SV_SG_SH_SI_EUlSV_E0_NS1_11comp_targetILNS1_3genE0ELNS1_11target_archE4294967295ELNS1_3gpuE0ELNS1_3repE0EEENS1_38merge_mergepath_config_static_selectorELNS0_4arch9wavefront6targetE1EEEvSH_
                                        ; -- End function
	.section	.AMDGPU.csdata,"",@progbits
; Kernel info:
; codeLenInByte = 0
; NumSgprs: 4
; NumVgprs: 0
; NumAgprs: 0
; TotalNumVgprs: 0
; ScratchSize: 0
; MemoryBound: 0
; FloatMode: 240
; IeeeMode: 1
; LDSByteSize: 0 bytes/workgroup (compile time only)
; SGPRBlocks: 0
; VGPRBlocks: 0
; NumSGPRsForWavesPerEU: 4
; NumVGPRsForWavesPerEU: 1
; AccumOffset: 4
; Occupancy: 8
; WaveLimiterHint : 0
; COMPUTE_PGM_RSRC2:SCRATCH_EN: 0
; COMPUTE_PGM_RSRC2:USER_SGPR: 6
; COMPUTE_PGM_RSRC2:TRAP_HANDLER: 0
; COMPUTE_PGM_RSRC2:TGID_X_EN: 1
; COMPUTE_PGM_RSRC2:TGID_Y_EN: 0
; COMPUTE_PGM_RSRC2:TGID_Z_EN: 0
; COMPUTE_PGM_RSRC2:TIDIG_COMP_CNT: 0
; COMPUTE_PGM_RSRC3_GFX90A:ACCUM_OFFSET: 0
; COMPUTE_PGM_RSRC3_GFX90A:TG_SPLIT: 0
	.section	.text._ZN7rocprim17ROCPRIM_400000_NS6detail17trampoline_kernelINS0_14default_configENS1_38merge_sort_block_merge_config_selectorIalEEZZNS1_27merge_sort_block_merge_implIS3_PaN6thrust23THRUST_200600_302600_NS10device_ptrIlEEjNS1_19radix_merge_compareILb0ELb0EaNS0_19identity_decomposerEEEEE10hipError_tT0_T1_T2_jT3_P12ihipStream_tbPNSt15iterator_traitsISG_E10value_typeEPNSM_ISH_E10value_typeEPSI_NS1_7vsmem_tEENKUlT_SG_SH_SI_E_clIS7_S7_SB_PlEESF_SV_SG_SH_SI_EUlSV_E0_NS1_11comp_targetILNS1_3genE10ELNS1_11target_archE1201ELNS1_3gpuE5ELNS1_3repE0EEENS1_38merge_mergepath_config_static_selectorELNS0_4arch9wavefront6targetE1EEEvSH_,"axG",@progbits,_ZN7rocprim17ROCPRIM_400000_NS6detail17trampoline_kernelINS0_14default_configENS1_38merge_sort_block_merge_config_selectorIalEEZZNS1_27merge_sort_block_merge_implIS3_PaN6thrust23THRUST_200600_302600_NS10device_ptrIlEEjNS1_19radix_merge_compareILb0ELb0EaNS0_19identity_decomposerEEEEE10hipError_tT0_T1_T2_jT3_P12ihipStream_tbPNSt15iterator_traitsISG_E10value_typeEPNSM_ISH_E10value_typeEPSI_NS1_7vsmem_tEENKUlT_SG_SH_SI_E_clIS7_S7_SB_PlEESF_SV_SG_SH_SI_EUlSV_E0_NS1_11comp_targetILNS1_3genE10ELNS1_11target_archE1201ELNS1_3gpuE5ELNS1_3repE0EEENS1_38merge_mergepath_config_static_selectorELNS0_4arch9wavefront6targetE1EEEvSH_,comdat
	.protected	_ZN7rocprim17ROCPRIM_400000_NS6detail17trampoline_kernelINS0_14default_configENS1_38merge_sort_block_merge_config_selectorIalEEZZNS1_27merge_sort_block_merge_implIS3_PaN6thrust23THRUST_200600_302600_NS10device_ptrIlEEjNS1_19radix_merge_compareILb0ELb0EaNS0_19identity_decomposerEEEEE10hipError_tT0_T1_T2_jT3_P12ihipStream_tbPNSt15iterator_traitsISG_E10value_typeEPNSM_ISH_E10value_typeEPSI_NS1_7vsmem_tEENKUlT_SG_SH_SI_E_clIS7_S7_SB_PlEESF_SV_SG_SH_SI_EUlSV_E0_NS1_11comp_targetILNS1_3genE10ELNS1_11target_archE1201ELNS1_3gpuE5ELNS1_3repE0EEENS1_38merge_mergepath_config_static_selectorELNS0_4arch9wavefront6targetE1EEEvSH_ ; -- Begin function _ZN7rocprim17ROCPRIM_400000_NS6detail17trampoline_kernelINS0_14default_configENS1_38merge_sort_block_merge_config_selectorIalEEZZNS1_27merge_sort_block_merge_implIS3_PaN6thrust23THRUST_200600_302600_NS10device_ptrIlEEjNS1_19radix_merge_compareILb0ELb0EaNS0_19identity_decomposerEEEEE10hipError_tT0_T1_T2_jT3_P12ihipStream_tbPNSt15iterator_traitsISG_E10value_typeEPNSM_ISH_E10value_typeEPSI_NS1_7vsmem_tEENKUlT_SG_SH_SI_E_clIS7_S7_SB_PlEESF_SV_SG_SH_SI_EUlSV_E0_NS1_11comp_targetILNS1_3genE10ELNS1_11target_archE1201ELNS1_3gpuE5ELNS1_3repE0EEENS1_38merge_mergepath_config_static_selectorELNS0_4arch9wavefront6targetE1EEEvSH_
	.globl	_ZN7rocprim17ROCPRIM_400000_NS6detail17trampoline_kernelINS0_14default_configENS1_38merge_sort_block_merge_config_selectorIalEEZZNS1_27merge_sort_block_merge_implIS3_PaN6thrust23THRUST_200600_302600_NS10device_ptrIlEEjNS1_19radix_merge_compareILb0ELb0EaNS0_19identity_decomposerEEEEE10hipError_tT0_T1_T2_jT3_P12ihipStream_tbPNSt15iterator_traitsISG_E10value_typeEPNSM_ISH_E10value_typeEPSI_NS1_7vsmem_tEENKUlT_SG_SH_SI_E_clIS7_S7_SB_PlEESF_SV_SG_SH_SI_EUlSV_E0_NS1_11comp_targetILNS1_3genE10ELNS1_11target_archE1201ELNS1_3gpuE5ELNS1_3repE0EEENS1_38merge_mergepath_config_static_selectorELNS0_4arch9wavefront6targetE1EEEvSH_
	.p2align	8
	.type	_ZN7rocprim17ROCPRIM_400000_NS6detail17trampoline_kernelINS0_14default_configENS1_38merge_sort_block_merge_config_selectorIalEEZZNS1_27merge_sort_block_merge_implIS3_PaN6thrust23THRUST_200600_302600_NS10device_ptrIlEEjNS1_19radix_merge_compareILb0ELb0EaNS0_19identity_decomposerEEEEE10hipError_tT0_T1_T2_jT3_P12ihipStream_tbPNSt15iterator_traitsISG_E10value_typeEPNSM_ISH_E10value_typeEPSI_NS1_7vsmem_tEENKUlT_SG_SH_SI_E_clIS7_S7_SB_PlEESF_SV_SG_SH_SI_EUlSV_E0_NS1_11comp_targetILNS1_3genE10ELNS1_11target_archE1201ELNS1_3gpuE5ELNS1_3repE0EEENS1_38merge_mergepath_config_static_selectorELNS0_4arch9wavefront6targetE1EEEvSH_,@function
_ZN7rocprim17ROCPRIM_400000_NS6detail17trampoline_kernelINS0_14default_configENS1_38merge_sort_block_merge_config_selectorIalEEZZNS1_27merge_sort_block_merge_implIS3_PaN6thrust23THRUST_200600_302600_NS10device_ptrIlEEjNS1_19radix_merge_compareILb0ELb0EaNS0_19identity_decomposerEEEEE10hipError_tT0_T1_T2_jT3_P12ihipStream_tbPNSt15iterator_traitsISG_E10value_typeEPNSM_ISH_E10value_typeEPSI_NS1_7vsmem_tEENKUlT_SG_SH_SI_E_clIS7_S7_SB_PlEESF_SV_SG_SH_SI_EUlSV_E0_NS1_11comp_targetILNS1_3genE10ELNS1_11target_archE1201ELNS1_3gpuE5ELNS1_3repE0EEENS1_38merge_mergepath_config_static_selectorELNS0_4arch9wavefront6targetE1EEEvSH_: ; @_ZN7rocprim17ROCPRIM_400000_NS6detail17trampoline_kernelINS0_14default_configENS1_38merge_sort_block_merge_config_selectorIalEEZZNS1_27merge_sort_block_merge_implIS3_PaN6thrust23THRUST_200600_302600_NS10device_ptrIlEEjNS1_19radix_merge_compareILb0ELb0EaNS0_19identity_decomposerEEEEE10hipError_tT0_T1_T2_jT3_P12ihipStream_tbPNSt15iterator_traitsISG_E10value_typeEPNSM_ISH_E10value_typeEPSI_NS1_7vsmem_tEENKUlT_SG_SH_SI_E_clIS7_S7_SB_PlEESF_SV_SG_SH_SI_EUlSV_E0_NS1_11comp_targetILNS1_3genE10ELNS1_11target_archE1201ELNS1_3gpuE5ELNS1_3repE0EEENS1_38merge_mergepath_config_static_selectorELNS0_4arch9wavefront6targetE1EEEvSH_
; %bb.0:
	.section	.rodata,"a",@progbits
	.p2align	6, 0x0
	.amdhsa_kernel _ZN7rocprim17ROCPRIM_400000_NS6detail17trampoline_kernelINS0_14default_configENS1_38merge_sort_block_merge_config_selectorIalEEZZNS1_27merge_sort_block_merge_implIS3_PaN6thrust23THRUST_200600_302600_NS10device_ptrIlEEjNS1_19radix_merge_compareILb0ELb0EaNS0_19identity_decomposerEEEEE10hipError_tT0_T1_T2_jT3_P12ihipStream_tbPNSt15iterator_traitsISG_E10value_typeEPNSM_ISH_E10value_typeEPSI_NS1_7vsmem_tEENKUlT_SG_SH_SI_E_clIS7_S7_SB_PlEESF_SV_SG_SH_SI_EUlSV_E0_NS1_11comp_targetILNS1_3genE10ELNS1_11target_archE1201ELNS1_3gpuE5ELNS1_3repE0EEENS1_38merge_mergepath_config_static_selectorELNS0_4arch9wavefront6targetE1EEEvSH_
		.amdhsa_group_segment_fixed_size 0
		.amdhsa_private_segment_fixed_size 0
		.amdhsa_kernarg_size 64
		.amdhsa_user_sgpr_count 6
		.amdhsa_user_sgpr_private_segment_buffer 1
		.amdhsa_user_sgpr_dispatch_ptr 0
		.amdhsa_user_sgpr_queue_ptr 0
		.amdhsa_user_sgpr_kernarg_segment_ptr 1
		.amdhsa_user_sgpr_dispatch_id 0
		.amdhsa_user_sgpr_flat_scratch_init 0
		.amdhsa_user_sgpr_kernarg_preload_length 0
		.amdhsa_user_sgpr_kernarg_preload_offset 0
		.amdhsa_user_sgpr_private_segment_size 0
		.amdhsa_uses_dynamic_stack 0
		.amdhsa_system_sgpr_private_segment_wavefront_offset 0
		.amdhsa_system_sgpr_workgroup_id_x 1
		.amdhsa_system_sgpr_workgroup_id_y 0
		.amdhsa_system_sgpr_workgroup_id_z 0
		.amdhsa_system_sgpr_workgroup_info 0
		.amdhsa_system_vgpr_workitem_id 0
		.amdhsa_next_free_vgpr 1
		.amdhsa_next_free_sgpr 0
		.amdhsa_accum_offset 4
		.amdhsa_reserve_vcc 0
		.amdhsa_reserve_flat_scratch 0
		.amdhsa_float_round_mode_32 0
		.amdhsa_float_round_mode_16_64 0
		.amdhsa_float_denorm_mode_32 3
		.amdhsa_float_denorm_mode_16_64 3
		.amdhsa_dx10_clamp 1
		.amdhsa_ieee_mode 1
		.amdhsa_fp16_overflow 0
		.amdhsa_tg_split 0
		.amdhsa_exception_fp_ieee_invalid_op 0
		.amdhsa_exception_fp_denorm_src 0
		.amdhsa_exception_fp_ieee_div_zero 0
		.amdhsa_exception_fp_ieee_overflow 0
		.amdhsa_exception_fp_ieee_underflow 0
		.amdhsa_exception_fp_ieee_inexact 0
		.amdhsa_exception_int_div_zero 0
	.end_amdhsa_kernel
	.section	.text._ZN7rocprim17ROCPRIM_400000_NS6detail17trampoline_kernelINS0_14default_configENS1_38merge_sort_block_merge_config_selectorIalEEZZNS1_27merge_sort_block_merge_implIS3_PaN6thrust23THRUST_200600_302600_NS10device_ptrIlEEjNS1_19radix_merge_compareILb0ELb0EaNS0_19identity_decomposerEEEEE10hipError_tT0_T1_T2_jT3_P12ihipStream_tbPNSt15iterator_traitsISG_E10value_typeEPNSM_ISH_E10value_typeEPSI_NS1_7vsmem_tEENKUlT_SG_SH_SI_E_clIS7_S7_SB_PlEESF_SV_SG_SH_SI_EUlSV_E0_NS1_11comp_targetILNS1_3genE10ELNS1_11target_archE1201ELNS1_3gpuE5ELNS1_3repE0EEENS1_38merge_mergepath_config_static_selectorELNS0_4arch9wavefront6targetE1EEEvSH_,"axG",@progbits,_ZN7rocprim17ROCPRIM_400000_NS6detail17trampoline_kernelINS0_14default_configENS1_38merge_sort_block_merge_config_selectorIalEEZZNS1_27merge_sort_block_merge_implIS3_PaN6thrust23THRUST_200600_302600_NS10device_ptrIlEEjNS1_19radix_merge_compareILb0ELb0EaNS0_19identity_decomposerEEEEE10hipError_tT0_T1_T2_jT3_P12ihipStream_tbPNSt15iterator_traitsISG_E10value_typeEPNSM_ISH_E10value_typeEPSI_NS1_7vsmem_tEENKUlT_SG_SH_SI_E_clIS7_S7_SB_PlEESF_SV_SG_SH_SI_EUlSV_E0_NS1_11comp_targetILNS1_3genE10ELNS1_11target_archE1201ELNS1_3gpuE5ELNS1_3repE0EEENS1_38merge_mergepath_config_static_selectorELNS0_4arch9wavefront6targetE1EEEvSH_,comdat
.Lfunc_end511:
	.size	_ZN7rocprim17ROCPRIM_400000_NS6detail17trampoline_kernelINS0_14default_configENS1_38merge_sort_block_merge_config_selectorIalEEZZNS1_27merge_sort_block_merge_implIS3_PaN6thrust23THRUST_200600_302600_NS10device_ptrIlEEjNS1_19radix_merge_compareILb0ELb0EaNS0_19identity_decomposerEEEEE10hipError_tT0_T1_T2_jT3_P12ihipStream_tbPNSt15iterator_traitsISG_E10value_typeEPNSM_ISH_E10value_typeEPSI_NS1_7vsmem_tEENKUlT_SG_SH_SI_E_clIS7_S7_SB_PlEESF_SV_SG_SH_SI_EUlSV_E0_NS1_11comp_targetILNS1_3genE10ELNS1_11target_archE1201ELNS1_3gpuE5ELNS1_3repE0EEENS1_38merge_mergepath_config_static_selectorELNS0_4arch9wavefront6targetE1EEEvSH_, .Lfunc_end511-_ZN7rocprim17ROCPRIM_400000_NS6detail17trampoline_kernelINS0_14default_configENS1_38merge_sort_block_merge_config_selectorIalEEZZNS1_27merge_sort_block_merge_implIS3_PaN6thrust23THRUST_200600_302600_NS10device_ptrIlEEjNS1_19radix_merge_compareILb0ELb0EaNS0_19identity_decomposerEEEEE10hipError_tT0_T1_T2_jT3_P12ihipStream_tbPNSt15iterator_traitsISG_E10value_typeEPNSM_ISH_E10value_typeEPSI_NS1_7vsmem_tEENKUlT_SG_SH_SI_E_clIS7_S7_SB_PlEESF_SV_SG_SH_SI_EUlSV_E0_NS1_11comp_targetILNS1_3genE10ELNS1_11target_archE1201ELNS1_3gpuE5ELNS1_3repE0EEENS1_38merge_mergepath_config_static_selectorELNS0_4arch9wavefront6targetE1EEEvSH_
                                        ; -- End function
	.section	.AMDGPU.csdata,"",@progbits
; Kernel info:
; codeLenInByte = 0
; NumSgprs: 4
; NumVgprs: 0
; NumAgprs: 0
; TotalNumVgprs: 0
; ScratchSize: 0
; MemoryBound: 0
; FloatMode: 240
; IeeeMode: 1
; LDSByteSize: 0 bytes/workgroup (compile time only)
; SGPRBlocks: 0
; VGPRBlocks: 0
; NumSGPRsForWavesPerEU: 4
; NumVGPRsForWavesPerEU: 1
; AccumOffset: 4
; Occupancy: 8
; WaveLimiterHint : 0
; COMPUTE_PGM_RSRC2:SCRATCH_EN: 0
; COMPUTE_PGM_RSRC2:USER_SGPR: 6
; COMPUTE_PGM_RSRC2:TRAP_HANDLER: 0
; COMPUTE_PGM_RSRC2:TGID_X_EN: 1
; COMPUTE_PGM_RSRC2:TGID_Y_EN: 0
; COMPUTE_PGM_RSRC2:TGID_Z_EN: 0
; COMPUTE_PGM_RSRC2:TIDIG_COMP_CNT: 0
; COMPUTE_PGM_RSRC3_GFX90A:ACCUM_OFFSET: 0
; COMPUTE_PGM_RSRC3_GFX90A:TG_SPLIT: 0
	.section	.text._ZN7rocprim17ROCPRIM_400000_NS6detail17trampoline_kernelINS0_14default_configENS1_38merge_sort_block_merge_config_selectorIalEEZZNS1_27merge_sort_block_merge_implIS3_PaN6thrust23THRUST_200600_302600_NS10device_ptrIlEEjNS1_19radix_merge_compareILb0ELb0EaNS0_19identity_decomposerEEEEE10hipError_tT0_T1_T2_jT3_P12ihipStream_tbPNSt15iterator_traitsISG_E10value_typeEPNSM_ISH_E10value_typeEPSI_NS1_7vsmem_tEENKUlT_SG_SH_SI_E_clIS7_S7_SB_PlEESF_SV_SG_SH_SI_EUlSV_E0_NS1_11comp_targetILNS1_3genE5ELNS1_11target_archE942ELNS1_3gpuE9ELNS1_3repE0EEENS1_38merge_mergepath_config_static_selectorELNS0_4arch9wavefront6targetE1EEEvSH_,"axG",@progbits,_ZN7rocprim17ROCPRIM_400000_NS6detail17trampoline_kernelINS0_14default_configENS1_38merge_sort_block_merge_config_selectorIalEEZZNS1_27merge_sort_block_merge_implIS3_PaN6thrust23THRUST_200600_302600_NS10device_ptrIlEEjNS1_19radix_merge_compareILb0ELb0EaNS0_19identity_decomposerEEEEE10hipError_tT0_T1_T2_jT3_P12ihipStream_tbPNSt15iterator_traitsISG_E10value_typeEPNSM_ISH_E10value_typeEPSI_NS1_7vsmem_tEENKUlT_SG_SH_SI_E_clIS7_S7_SB_PlEESF_SV_SG_SH_SI_EUlSV_E0_NS1_11comp_targetILNS1_3genE5ELNS1_11target_archE942ELNS1_3gpuE9ELNS1_3repE0EEENS1_38merge_mergepath_config_static_selectorELNS0_4arch9wavefront6targetE1EEEvSH_,comdat
	.protected	_ZN7rocprim17ROCPRIM_400000_NS6detail17trampoline_kernelINS0_14default_configENS1_38merge_sort_block_merge_config_selectorIalEEZZNS1_27merge_sort_block_merge_implIS3_PaN6thrust23THRUST_200600_302600_NS10device_ptrIlEEjNS1_19radix_merge_compareILb0ELb0EaNS0_19identity_decomposerEEEEE10hipError_tT0_T1_T2_jT3_P12ihipStream_tbPNSt15iterator_traitsISG_E10value_typeEPNSM_ISH_E10value_typeEPSI_NS1_7vsmem_tEENKUlT_SG_SH_SI_E_clIS7_S7_SB_PlEESF_SV_SG_SH_SI_EUlSV_E0_NS1_11comp_targetILNS1_3genE5ELNS1_11target_archE942ELNS1_3gpuE9ELNS1_3repE0EEENS1_38merge_mergepath_config_static_selectorELNS0_4arch9wavefront6targetE1EEEvSH_ ; -- Begin function _ZN7rocprim17ROCPRIM_400000_NS6detail17trampoline_kernelINS0_14default_configENS1_38merge_sort_block_merge_config_selectorIalEEZZNS1_27merge_sort_block_merge_implIS3_PaN6thrust23THRUST_200600_302600_NS10device_ptrIlEEjNS1_19radix_merge_compareILb0ELb0EaNS0_19identity_decomposerEEEEE10hipError_tT0_T1_T2_jT3_P12ihipStream_tbPNSt15iterator_traitsISG_E10value_typeEPNSM_ISH_E10value_typeEPSI_NS1_7vsmem_tEENKUlT_SG_SH_SI_E_clIS7_S7_SB_PlEESF_SV_SG_SH_SI_EUlSV_E0_NS1_11comp_targetILNS1_3genE5ELNS1_11target_archE942ELNS1_3gpuE9ELNS1_3repE0EEENS1_38merge_mergepath_config_static_selectorELNS0_4arch9wavefront6targetE1EEEvSH_
	.globl	_ZN7rocprim17ROCPRIM_400000_NS6detail17trampoline_kernelINS0_14default_configENS1_38merge_sort_block_merge_config_selectorIalEEZZNS1_27merge_sort_block_merge_implIS3_PaN6thrust23THRUST_200600_302600_NS10device_ptrIlEEjNS1_19radix_merge_compareILb0ELb0EaNS0_19identity_decomposerEEEEE10hipError_tT0_T1_T2_jT3_P12ihipStream_tbPNSt15iterator_traitsISG_E10value_typeEPNSM_ISH_E10value_typeEPSI_NS1_7vsmem_tEENKUlT_SG_SH_SI_E_clIS7_S7_SB_PlEESF_SV_SG_SH_SI_EUlSV_E0_NS1_11comp_targetILNS1_3genE5ELNS1_11target_archE942ELNS1_3gpuE9ELNS1_3repE0EEENS1_38merge_mergepath_config_static_selectorELNS0_4arch9wavefront6targetE1EEEvSH_
	.p2align	8
	.type	_ZN7rocprim17ROCPRIM_400000_NS6detail17trampoline_kernelINS0_14default_configENS1_38merge_sort_block_merge_config_selectorIalEEZZNS1_27merge_sort_block_merge_implIS3_PaN6thrust23THRUST_200600_302600_NS10device_ptrIlEEjNS1_19radix_merge_compareILb0ELb0EaNS0_19identity_decomposerEEEEE10hipError_tT0_T1_T2_jT3_P12ihipStream_tbPNSt15iterator_traitsISG_E10value_typeEPNSM_ISH_E10value_typeEPSI_NS1_7vsmem_tEENKUlT_SG_SH_SI_E_clIS7_S7_SB_PlEESF_SV_SG_SH_SI_EUlSV_E0_NS1_11comp_targetILNS1_3genE5ELNS1_11target_archE942ELNS1_3gpuE9ELNS1_3repE0EEENS1_38merge_mergepath_config_static_selectorELNS0_4arch9wavefront6targetE1EEEvSH_,@function
_ZN7rocprim17ROCPRIM_400000_NS6detail17trampoline_kernelINS0_14default_configENS1_38merge_sort_block_merge_config_selectorIalEEZZNS1_27merge_sort_block_merge_implIS3_PaN6thrust23THRUST_200600_302600_NS10device_ptrIlEEjNS1_19radix_merge_compareILb0ELb0EaNS0_19identity_decomposerEEEEE10hipError_tT0_T1_T2_jT3_P12ihipStream_tbPNSt15iterator_traitsISG_E10value_typeEPNSM_ISH_E10value_typeEPSI_NS1_7vsmem_tEENKUlT_SG_SH_SI_E_clIS7_S7_SB_PlEESF_SV_SG_SH_SI_EUlSV_E0_NS1_11comp_targetILNS1_3genE5ELNS1_11target_archE942ELNS1_3gpuE9ELNS1_3repE0EEENS1_38merge_mergepath_config_static_selectorELNS0_4arch9wavefront6targetE1EEEvSH_: ; @_ZN7rocprim17ROCPRIM_400000_NS6detail17trampoline_kernelINS0_14default_configENS1_38merge_sort_block_merge_config_selectorIalEEZZNS1_27merge_sort_block_merge_implIS3_PaN6thrust23THRUST_200600_302600_NS10device_ptrIlEEjNS1_19radix_merge_compareILb0ELb0EaNS0_19identity_decomposerEEEEE10hipError_tT0_T1_T2_jT3_P12ihipStream_tbPNSt15iterator_traitsISG_E10value_typeEPNSM_ISH_E10value_typeEPSI_NS1_7vsmem_tEENKUlT_SG_SH_SI_E_clIS7_S7_SB_PlEESF_SV_SG_SH_SI_EUlSV_E0_NS1_11comp_targetILNS1_3genE5ELNS1_11target_archE942ELNS1_3gpuE9ELNS1_3repE0EEENS1_38merge_mergepath_config_static_selectorELNS0_4arch9wavefront6targetE1EEEvSH_
; %bb.0:
	.section	.rodata,"a",@progbits
	.p2align	6, 0x0
	.amdhsa_kernel _ZN7rocprim17ROCPRIM_400000_NS6detail17trampoline_kernelINS0_14default_configENS1_38merge_sort_block_merge_config_selectorIalEEZZNS1_27merge_sort_block_merge_implIS3_PaN6thrust23THRUST_200600_302600_NS10device_ptrIlEEjNS1_19radix_merge_compareILb0ELb0EaNS0_19identity_decomposerEEEEE10hipError_tT0_T1_T2_jT3_P12ihipStream_tbPNSt15iterator_traitsISG_E10value_typeEPNSM_ISH_E10value_typeEPSI_NS1_7vsmem_tEENKUlT_SG_SH_SI_E_clIS7_S7_SB_PlEESF_SV_SG_SH_SI_EUlSV_E0_NS1_11comp_targetILNS1_3genE5ELNS1_11target_archE942ELNS1_3gpuE9ELNS1_3repE0EEENS1_38merge_mergepath_config_static_selectorELNS0_4arch9wavefront6targetE1EEEvSH_
		.amdhsa_group_segment_fixed_size 0
		.amdhsa_private_segment_fixed_size 0
		.amdhsa_kernarg_size 64
		.amdhsa_user_sgpr_count 6
		.amdhsa_user_sgpr_private_segment_buffer 1
		.amdhsa_user_sgpr_dispatch_ptr 0
		.amdhsa_user_sgpr_queue_ptr 0
		.amdhsa_user_sgpr_kernarg_segment_ptr 1
		.amdhsa_user_sgpr_dispatch_id 0
		.amdhsa_user_sgpr_flat_scratch_init 0
		.amdhsa_user_sgpr_kernarg_preload_length 0
		.amdhsa_user_sgpr_kernarg_preload_offset 0
		.amdhsa_user_sgpr_private_segment_size 0
		.amdhsa_uses_dynamic_stack 0
		.amdhsa_system_sgpr_private_segment_wavefront_offset 0
		.amdhsa_system_sgpr_workgroup_id_x 1
		.amdhsa_system_sgpr_workgroup_id_y 0
		.amdhsa_system_sgpr_workgroup_id_z 0
		.amdhsa_system_sgpr_workgroup_info 0
		.amdhsa_system_vgpr_workitem_id 0
		.amdhsa_next_free_vgpr 1
		.amdhsa_next_free_sgpr 0
		.amdhsa_accum_offset 4
		.amdhsa_reserve_vcc 0
		.amdhsa_reserve_flat_scratch 0
		.amdhsa_float_round_mode_32 0
		.amdhsa_float_round_mode_16_64 0
		.amdhsa_float_denorm_mode_32 3
		.amdhsa_float_denorm_mode_16_64 3
		.amdhsa_dx10_clamp 1
		.amdhsa_ieee_mode 1
		.amdhsa_fp16_overflow 0
		.amdhsa_tg_split 0
		.amdhsa_exception_fp_ieee_invalid_op 0
		.amdhsa_exception_fp_denorm_src 0
		.amdhsa_exception_fp_ieee_div_zero 0
		.amdhsa_exception_fp_ieee_overflow 0
		.amdhsa_exception_fp_ieee_underflow 0
		.amdhsa_exception_fp_ieee_inexact 0
		.amdhsa_exception_int_div_zero 0
	.end_amdhsa_kernel
	.section	.text._ZN7rocprim17ROCPRIM_400000_NS6detail17trampoline_kernelINS0_14default_configENS1_38merge_sort_block_merge_config_selectorIalEEZZNS1_27merge_sort_block_merge_implIS3_PaN6thrust23THRUST_200600_302600_NS10device_ptrIlEEjNS1_19radix_merge_compareILb0ELb0EaNS0_19identity_decomposerEEEEE10hipError_tT0_T1_T2_jT3_P12ihipStream_tbPNSt15iterator_traitsISG_E10value_typeEPNSM_ISH_E10value_typeEPSI_NS1_7vsmem_tEENKUlT_SG_SH_SI_E_clIS7_S7_SB_PlEESF_SV_SG_SH_SI_EUlSV_E0_NS1_11comp_targetILNS1_3genE5ELNS1_11target_archE942ELNS1_3gpuE9ELNS1_3repE0EEENS1_38merge_mergepath_config_static_selectorELNS0_4arch9wavefront6targetE1EEEvSH_,"axG",@progbits,_ZN7rocprim17ROCPRIM_400000_NS6detail17trampoline_kernelINS0_14default_configENS1_38merge_sort_block_merge_config_selectorIalEEZZNS1_27merge_sort_block_merge_implIS3_PaN6thrust23THRUST_200600_302600_NS10device_ptrIlEEjNS1_19radix_merge_compareILb0ELb0EaNS0_19identity_decomposerEEEEE10hipError_tT0_T1_T2_jT3_P12ihipStream_tbPNSt15iterator_traitsISG_E10value_typeEPNSM_ISH_E10value_typeEPSI_NS1_7vsmem_tEENKUlT_SG_SH_SI_E_clIS7_S7_SB_PlEESF_SV_SG_SH_SI_EUlSV_E0_NS1_11comp_targetILNS1_3genE5ELNS1_11target_archE942ELNS1_3gpuE9ELNS1_3repE0EEENS1_38merge_mergepath_config_static_selectorELNS0_4arch9wavefront6targetE1EEEvSH_,comdat
.Lfunc_end512:
	.size	_ZN7rocprim17ROCPRIM_400000_NS6detail17trampoline_kernelINS0_14default_configENS1_38merge_sort_block_merge_config_selectorIalEEZZNS1_27merge_sort_block_merge_implIS3_PaN6thrust23THRUST_200600_302600_NS10device_ptrIlEEjNS1_19radix_merge_compareILb0ELb0EaNS0_19identity_decomposerEEEEE10hipError_tT0_T1_T2_jT3_P12ihipStream_tbPNSt15iterator_traitsISG_E10value_typeEPNSM_ISH_E10value_typeEPSI_NS1_7vsmem_tEENKUlT_SG_SH_SI_E_clIS7_S7_SB_PlEESF_SV_SG_SH_SI_EUlSV_E0_NS1_11comp_targetILNS1_3genE5ELNS1_11target_archE942ELNS1_3gpuE9ELNS1_3repE0EEENS1_38merge_mergepath_config_static_selectorELNS0_4arch9wavefront6targetE1EEEvSH_, .Lfunc_end512-_ZN7rocprim17ROCPRIM_400000_NS6detail17trampoline_kernelINS0_14default_configENS1_38merge_sort_block_merge_config_selectorIalEEZZNS1_27merge_sort_block_merge_implIS3_PaN6thrust23THRUST_200600_302600_NS10device_ptrIlEEjNS1_19radix_merge_compareILb0ELb0EaNS0_19identity_decomposerEEEEE10hipError_tT0_T1_T2_jT3_P12ihipStream_tbPNSt15iterator_traitsISG_E10value_typeEPNSM_ISH_E10value_typeEPSI_NS1_7vsmem_tEENKUlT_SG_SH_SI_E_clIS7_S7_SB_PlEESF_SV_SG_SH_SI_EUlSV_E0_NS1_11comp_targetILNS1_3genE5ELNS1_11target_archE942ELNS1_3gpuE9ELNS1_3repE0EEENS1_38merge_mergepath_config_static_selectorELNS0_4arch9wavefront6targetE1EEEvSH_
                                        ; -- End function
	.section	.AMDGPU.csdata,"",@progbits
; Kernel info:
; codeLenInByte = 0
; NumSgprs: 4
; NumVgprs: 0
; NumAgprs: 0
; TotalNumVgprs: 0
; ScratchSize: 0
; MemoryBound: 0
; FloatMode: 240
; IeeeMode: 1
; LDSByteSize: 0 bytes/workgroup (compile time only)
; SGPRBlocks: 0
; VGPRBlocks: 0
; NumSGPRsForWavesPerEU: 4
; NumVGPRsForWavesPerEU: 1
; AccumOffset: 4
; Occupancy: 8
; WaveLimiterHint : 0
; COMPUTE_PGM_RSRC2:SCRATCH_EN: 0
; COMPUTE_PGM_RSRC2:USER_SGPR: 6
; COMPUTE_PGM_RSRC2:TRAP_HANDLER: 0
; COMPUTE_PGM_RSRC2:TGID_X_EN: 1
; COMPUTE_PGM_RSRC2:TGID_Y_EN: 0
; COMPUTE_PGM_RSRC2:TGID_Z_EN: 0
; COMPUTE_PGM_RSRC2:TIDIG_COMP_CNT: 0
; COMPUTE_PGM_RSRC3_GFX90A:ACCUM_OFFSET: 0
; COMPUTE_PGM_RSRC3_GFX90A:TG_SPLIT: 0
	.section	.text._ZN7rocprim17ROCPRIM_400000_NS6detail17trampoline_kernelINS0_14default_configENS1_38merge_sort_block_merge_config_selectorIalEEZZNS1_27merge_sort_block_merge_implIS3_PaN6thrust23THRUST_200600_302600_NS10device_ptrIlEEjNS1_19radix_merge_compareILb0ELb0EaNS0_19identity_decomposerEEEEE10hipError_tT0_T1_T2_jT3_P12ihipStream_tbPNSt15iterator_traitsISG_E10value_typeEPNSM_ISH_E10value_typeEPSI_NS1_7vsmem_tEENKUlT_SG_SH_SI_E_clIS7_S7_SB_PlEESF_SV_SG_SH_SI_EUlSV_E0_NS1_11comp_targetILNS1_3genE4ELNS1_11target_archE910ELNS1_3gpuE8ELNS1_3repE0EEENS1_38merge_mergepath_config_static_selectorELNS0_4arch9wavefront6targetE1EEEvSH_,"axG",@progbits,_ZN7rocprim17ROCPRIM_400000_NS6detail17trampoline_kernelINS0_14default_configENS1_38merge_sort_block_merge_config_selectorIalEEZZNS1_27merge_sort_block_merge_implIS3_PaN6thrust23THRUST_200600_302600_NS10device_ptrIlEEjNS1_19radix_merge_compareILb0ELb0EaNS0_19identity_decomposerEEEEE10hipError_tT0_T1_T2_jT3_P12ihipStream_tbPNSt15iterator_traitsISG_E10value_typeEPNSM_ISH_E10value_typeEPSI_NS1_7vsmem_tEENKUlT_SG_SH_SI_E_clIS7_S7_SB_PlEESF_SV_SG_SH_SI_EUlSV_E0_NS1_11comp_targetILNS1_3genE4ELNS1_11target_archE910ELNS1_3gpuE8ELNS1_3repE0EEENS1_38merge_mergepath_config_static_selectorELNS0_4arch9wavefront6targetE1EEEvSH_,comdat
	.protected	_ZN7rocprim17ROCPRIM_400000_NS6detail17trampoline_kernelINS0_14default_configENS1_38merge_sort_block_merge_config_selectorIalEEZZNS1_27merge_sort_block_merge_implIS3_PaN6thrust23THRUST_200600_302600_NS10device_ptrIlEEjNS1_19radix_merge_compareILb0ELb0EaNS0_19identity_decomposerEEEEE10hipError_tT0_T1_T2_jT3_P12ihipStream_tbPNSt15iterator_traitsISG_E10value_typeEPNSM_ISH_E10value_typeEPSI_NS1_7vsmem_tEENKUlT_SG_SH_SI_E_clIS7_S7_SB_PlEESF_SV_SG_SH_SI_EUlSV_E0_NS1_11comp_targetILNS1_3genE4ELNS1_11target_archE910ELNS1_3gpuE8ELNS1_3repE0EEENS1_38merge_mergepath_config_static_selectorELNS0_4arch9wavefront6targetE1EEEvSH_ ; -- Begin function _ZN7rocprim17ROCPRIM_400000_NS6detail17trampoline_kernelINS0_14default_configENS1_38merge_sort_block_merge_config_selectorIalEEZZNS1_27merge_sort_block_merge_implIS3_PaN6thrust23THRUST_200600_302600_NS10device_ptrIlEEjNS1_19radix_merge_compareILb0ELb0EaNS0_19identity_decomposerEEEEE10hipError_tT0_T1_T2_jT3_P12ihipStream_tbPNSt15iterator_traitsISG_E10value_typeEPNSM_ISH_E10value_typeEPSI_NS1_7vsmem_tEENKUlT_SG_SH_SI_E_clIS7_S7_SB_PlEESF_SV_SG_SH_SI_EUlSV_E0_NS1_11comp_targetILNS1_3genE4ELNS1_11target_archE910ELNS1_3gpuE8ELNS1_3repE0EEENS1_38merge_mergepath_config_static_selectorELNS0_4arch9wavefront6targetE1EEEvSH_
	.globl	_ZN7rocprim17ROCPRIM_400000_NS6detail17trampoline_kernelINS0_14default_configENS1_38merge_sort_block_merge_config_selectorIalEEZZNS1_27merge_sort_block_merge_implIS3_PaN6thrust23THRUST_200600_302600_NS10device_ptrIlEEjNS1_19radix_merge_compareILb0ELb0EaNS0_19identity_decomposerEEEEE10hipError_tT0_T1_T2_jT3_P12ihipStream_tbPNSt15iterator_traitsISG_E10value_typeEPNSM_ISH_E10value_typeEPSI_NS1_7vsmem_tEENKUlT_SG_SH_SI_E_clIS7_S7_SB_PlEESF_SV_SG_SH_SI_EUlSV_E0_NS1_11comp_targetILNS1_3genE4ELNS1_11target_archE910ELNS1_3gpuE8ELNS1_3repE0EEENS1_38merge_mergepath_config_static_selectorELNS0_4arch9wavefront6targetE1EEEvSH_
	.p2align	8
	.type	_ZN7rocprim17ROCPRIM_400000_NS6detail17trampoline_kernelINS0_14default_configENS1_38merge_sort_block_merge_config_selectorIalEEZZNS1_27merge_sort_block_merge_implIS3_PaN6thrust23THRUST_200600_302600_NS10device_ptrIlEEjNS1_19radix_merge_compareILb0ELb0EaNS0_19identity_decomposerEEEEE10hipError_tT0_T1_T2_jT3_P12ihipStream_tbPNSt15iterator_traitsISG_E10value_typeEPNSM_ISH_E10value_typeEPSI_NS1_7vsmem_tEENKUlT_SG_SH_SI_E_clIS7_S7_SB_PlEESF_SV_SG_SH_SI_EUlSV_E0_NS1_11comp_targetILNS1_3genE4ELNS1_11target_archE910ELNS1_3gpuE8ELNS1_3repE0EEENS1_38merge_mergepath_config_static_selectorELNS0_4arch9wavefront6targetE1EEEvSH_,@function
_ZN7rocprim17ROCPRIM_400000_NS6detail17trampoline_kernelINS0_14default_configENS1_38merge_sort_block_merge_config_selectorIalEEZZNS1_27merge_sort_block_merge_implIS3_PaN6thrust23THRUST_200600_302600_NS10device_ptrIlEEjNS1_19radix_merge_compareILb0ELb0EaNS0_19identity_decomposerEEEEE10hipError_tT0_T1_T2_jT3_P12ihipStream_tbPNSt15iterator_traitsISG_E10value_typeEPNSM_ISH_E10value_typeEPSI_NS1_7vsmem_tEENKUlT_SG_SH_SI_E_clIS7_S7_SB_PlEESF_SV_SG_SH_SI_EUlSV_E0_NS1_11comp_targetILNS1_3genE4ELNS1_11target_archE910ELNS1_3gpuE8ELNS1_3repE0EEENS1_38merge_mergepath_config_static_selectorELNS0_4arch9wavefront6targetE1EEEvSH_: ; @_ZN7rocprim17ROCPRIM_400000_NS6detail17trampoline_kernelINS0_14default_configENS1_38merge_sort_block_merge_config_selectorIalEEZZNS1_27merge_sort_block_merge_implIS3_PaN6thrust23THRUST_200600_302600_NS10device_ptrIlEEjNS1_19radix_merge_compareILb0ELb0EaNS0_19identity_decomposerEEEEE10hipError_tT0_T1_T2_jT3_P12ihipStream_tbPNSt15iterator_traitsISG_E10value_typeEPNSM_ISH_E10value_typeEPSI_NS1_7vsmem_tEENKUlT_SG_SH_SI_E_clIS7_S7_SB_PlEESF_SV_SG_SH_SI_EUlSV_E0_NS1_11comp_targetILNS1_3genE4ELNS1_11target_archE910ELNS1_3gpuE8ELNS1_3repE0EEENS1_38merge_mergepath_config_static_selectorELNS0_4arch9wavefront6targetE1EEEvSH_
; %bb.0:
	s_load_dwordx2 s[24:25], s[4:5], 0x40
	s_load_dword s0, s[4:5], 0x30
	s_add_u32 s22, s4, 64
	s_addc_u32 s23, s5, 0
	s_waitcnt lgkmcnt(0)
	s_mul_i32 s1, s25, s8
	s_add_i32 s1, s1, s7
	s_mul_i32 s1, s1, s24
	s_add_i32 s20, s1, s6
	s_cmp_ge_u32 s20, s0
	s_cbranch_scc1 .LBB513_53
; %bb.1:
	s_load_dwordx8 s[8:15], s[4:5], 0x10
	s_load_dwordx2 s[30:31], s[4:5], 0x8
	s_load_dwordx2 s[0:1], s[4:5], 0x38
	s_mov_b32 s21, 0
	v_mov_b32_e32 v1, 0
	s_waitcnt lgkmcnt(0)
	s_lshr_b32 s7, s14, 10
	s_cmp_lg_u32 s20, s7
	s_cselect_b64 s[18:19], -1, 0
	s_lshl_b64 s[2:3], s[20:21], 2
	s_add_u32 s0, s0, s2
	s_addc_u32 s1, s1, s3
	s_lshr_b32 s2, s15, 9
	s_and_b32 s2, s2, 0x7ffffe
	s_load_dwordx2 s[0:1], s[0:1], 0x0
	s_sub_i32 s3, 0, s2
	s_and_b32 s2, s20, s3
	s_lshl_b32 s4, s2, 10
	s_lshl_b32 s16, s20, 10
	;; [unrolled: 1-line block ×3, first 2 shown]
	s_sub_i32 s5, s16, s4
	s_add_i32 s17, s2, s15
	s_add_i32 s5, s17, s5
	s_waitcnt lgkmcnt(0)
	s_sub_i32 s2, s5, s0
	s_sub_i32 s5, s5, s1
	;; [unrolled: 1-line block ×3, first 2 shown]
	s_min_u32 s2, s14, s2
	s_addk_i32 s5, 0x400
	s_or_b32 s3, s20, s3
	s_min_u32 s17, s14, s4
	s_add_i32 s4, s4, s15
	s_cmp_eq_u32 s3, -1
	s_cselect_b32 s3, s4, s5
	s_cselect_b32 s1, s17, s1
	s_min_u32 s17, s3, s14
	s_sub_i32 s15, s1, s0
	s_add_u32 s26, s30, s0
	s_addc_u32 s28, s31, 0
	s_add_u32 s25, s30, s2
	s_addc_u32 s27, s31, 0
	s_cmp_lt_u32 s6, s24
	s_cselect_b32 s1, 12, 18
	global_load_dword v2, v1, s[22:23] offset:14
	s_add_u32 s4, s22, s1
	s_addc_u32 s5, s23, 0
	global_load_ushort v1, v1, s[4:5]
	s_mov_b32 s1, s21
	s_mov_b32 s3, s21
	s_cmp_eq_u32 s20, s7
	s_waitcnt vmcnt(1)
	v_lshrrev_b32_e32 v3, 16, v2
	v_and_b32_e32 v2, 0xffff, v2
	v_mul_lo_u32 v2, v2, v3
	s_waitcnt vmcnt(0)
	v_mul_lo_u32 v15, v2, v1
	v_add_u32_e32 v12, v15, v0
	v_add_u32_e32 v10, v12, v15
	s_cbranch_scc1 .LBB513_3
; %bb.2:
	v_mov_b32_e32 v1, s28
	v_add_co_u32_e32 v2, vcc, s26, v0
	v_addc_co_u32_e32 v1, vcc, 0, v1, vcc
	v_subrev_u32_e32 v3, s15, v0
	v_mov_b32_e32 v4, s27
	v_add_co_u32_e32 v5, vcc, s25, v3
	v_addc_co_u32_e32 v3, vcc, 0, v4, vcc
	v_cmp_gt_u32_e32 vcc, s15, v0
	v_cndmask_b32_e32 v3, v3, v1, vcc
	v_cndmask_b32_e32 v2, v5, v2, vcc
	v_mov_b32_e32 v1, s28
	v_add_co_u32_e32 v4, vcc, s26, v12
	v_addc_co_u32_e32 v1, vcc, 0, v1, vcc
	v_subrev_u32_e32 v5, s15, v12
	v_mov_b32_e32 v6, s27
	v_add_co_u32_e32 v7, vcc, s25, v5
	v_addc_co_u32_e32 v5, vcc, 0, v6, vcc
	v_cmp_gt_u32_e32 vcc, s15, v12
	v_cndmask_b32_e32 v5, v5, v1, vcc
	v_cndmask_b32_e32 v4, v7, v4, vcc
	;; [unrolled: 10-line block ×3, first 2 shown]
	global_load_ubyte v1, v[2:3], off
	global_load_ubyte v17, v[4:5], off
	;; [unrolled: 1-line block ×3, first 2 shown]
	v_add_u32_e32 v2, v10, v15
	s_mov_b64 s[4:5], -1
	s_sub_i32 s17, s17, s2
	s_cbranch_execz .LBB513_4
	s_branch .LBB513_11
.LBB513_3:
	s_mov_b64 s[4:5], 0
                                        ; implicit-def: $vgpr1
                                        ; implicit-def: $vgpr17
                                        ; implicit-def: $vgpr18
                                        ; implicit-def: $vgpr2
	s_sub_i32 s17, s17, s2
.LBB513_4:
	s_add_i32 s6, s17, s15
	v_cmp_gt_u32_e32 vcc, s6, v0
                                        ; implicit-def: $vgpr1
	s_and_saveexec_b64 s[4:5], vcc
	s_cbranch_execz .LBB513_6
; %bb.5:
	s_waitcnt vmcnt(2)
	v_mov_b32_e32 v1, s28
	v_add_co_u32_e32 v2, vcc, s26, v0
	v_addc_co_u32_e32 v1, vcc, 0, v1, vcc
	v_subrev_u32_e32 v3, s15, v0
	v_mov_b32_e32 v4, s27
	v_add_co_u32_e32 v5, vcc, s25, v3
	v_addc_co_u32_e32 v3, vcc, 0, v4, vcc
	v_cmp_gt_u32_e32 vcc, s15, v0
	v_cndmask_b32_e32 v3, v3, v1, vcc
	v_cndmask_b32_e32 v2, v5, v2, vcc
	global_load_ubyte v1, v[2:3], off
.LBB513_6:
	s_or_b64 exec, exec, s[4:5]
	v_cmp_gt_u32_e32 vcc, s6, v12
                                        ; implicit-def: $vgpr17
	s_and_saveexec_b64 s[4:5], vcc
	s_cbranch_execz .LBB513_8
; %bb.7:
	v_mov_b32_e32 v2, s28
	v_add_co_u32_e32 v4, vcc, s26, v12
	v_addc_co_u32_e32 v2, vcc, 0, v2, vcc
	v_subrev_u32_e32 v3, s15, v12
	v_mov_b32_e32 v5, s27
	v_add_co_u32_e32 v6, vcc, s25, v3
	v_addc_co_u32_e32 v3, vcc, 0, v5, vcc
	v_cmp_gt_u32_e32 vcc, s15, v12
	v_cndmask_b32_e32 v3, v3, v2, vcc
	v_cndmask_b32_e32 v2, v6, v4, vcc
	global_load_ubyte v17, v[2:3], off
.LBB513_8:
	s_or_b64 exec, exec, s[4:5]
	v_cmp_gt_u32_e32 vcc, s6, v10
                                        ; implicit-def: $vgpr18
	s_and_saveexec_b64 s[4:5], vcc
	s_cbranch_execz .LBB513_10
; %bb.9:
	v_mov_b32_e32 v2, s28
	v_add_co_u32_e32 v4, vcc, s26, v10
	v_addc_co_u32_e32 v2, vcc, 0, v2, vcc
	v_subrev_u32_e32 v3, s15, v10
	v_mov_b32_e32 v5, s27
	v_add_co_u32_e32 v6, vcc, s25, v3
	v_addc_co_u32_e32 v3, vcc, 0, v5, vcc
	v_cmp_gt_u32_e32 vcc, s15, v10
	v_cndmask_b32_e32 v3, v3, v2, vcc
	v_cndmask_b32_e32 v2, v6, v4, vcc
	global_load_ubyte v18, v[2:3], off
.LBB513_10:
	s_or_b64 exec, exec, s[4:5]
	v_add_u32_e32 v2, v10, v15
	v_cmp_gt_u32_e64 s[4:5], s6, v2
.LBB513_11:
                                        ; implicit-def: $vgpr19
	s_and_saveexec_b64 s[6:7], s[4:5]
	s_cbranch_execz .LBB513_13
; %bb.12:
	v_mov_b32_e32 v3, s28
	v_add_co_u32_e32 v4, vcc, s26, v2
	v_addc_co_u32_e32 v3, vcc, 0, v3, vcc
	v_subrev_u32_e32 v5, s15, v2
	v_mov_b32_e32 v6, s27
	v_add_co_u32_e32 v5, vcc, s25, v5
	v_addc_co_u32_e32 v6, vcc, 0, v6, vcc
	v_cmp_gt_u32_e32 vcc, s15, v2
	v_cndmask_b32_e32 v3, v6, v3, vcc
	v_cndmask_b32_e32 v2, v5, v4, vcc
	global_load_ubyte v19, v[2:3], off
.LBB513_13:
	s_or_b64 exec, exec, s[6:7]
	s_lshl_b64 s[0:1], s[0:1], 3
	s_add_u32 s4, s10, s0
	s_addc_u32 s5, s11, s1
	s_lshl_b64 s[0:1], s[2:3], 3
	s_add_u32 s6, s10, s0
	s_addc_u32 s7, s11, s1
	s_andn2_b64 vcc, exec, s[18:19]
	v_lshlrev_b32_e32 v16, 3, v0
	s_waitcnt vmcnt(0)
	ds_write_b8 v0, v1
	ds_write_b8 v0, v17 offset:256
	ds_write_b8 v0, v18 offset:512
	ds_write_b8 v0, v19 offset:768
	s_cbranch_vccnz .LBB513_15
; %bb.14:
	v_subrev_u32_e32 v6, s15, v0
	v_mov_b32_e32 v7, 0
	v_lshlrev_b64 v[2:3], 3, v[6:7]
	v_mov_b32_e32 v4, s7
	v_add_co_u32_e32 v2, vcc, s6, v2
	v_addc_co_u32_e32 v3, vcc, v4, v3, vcc
	v_mov_b32_e32 v4, s5
	v_add_co_u32_e32 v5, vcc, s4, v16
	v_addc_co_u32_e32 v4, vcc, 0, v4, vcc
	v_cmp_gt_u32_e32 vcc, s15, v0
	v_subrev_u32_e32 v6, s15, v12
	v_cndmask_b32_e32 v3, v3, v4, vcc
	v_cndmask_b32_e32 v2, v2, v5, vcc
	v_lshlrev_b64 v[4:5], 3, v[6:7]
	v_mov_b32_e32 v6, s7
	v_add_co_u32_e32 v8, vcc, s6, v4
	v_mov_b32_e32 v13, v7
	v_addc_co_u32_e32 v6, vcc, v6, v5, vcc
	v_lshlrev_b64 v[4:5], 3, v[12:13]
	v_mov_b32_e32 v9, s5
	v_add_co_u32_e32 v4, vcc, s4, v4
	v_addc_co_u32_e32 v5, vcc, v9, v5, vcc
	v_cmp_gt_u32_e32 vcc, s15, v12
	v_cndmask_b32_e32 v5, v6, v5, vcc
	v_subrev_u32_e32 v6, s15, v10
	v_cndmask_b32_e32 v4, v8, v4, vcc
	v_lshlrev_b64 v[8:9], 3, v[6:7]
	v_mov_b32_e32 v6, s7
	v_add_co_u32_e32 v8, vcc, s6, v8
	v_mov_b32_e32 v11, v7
	v_addc_co_u32_e32 v9, vcc, v6, v9, vcc
	v_lshlrev_b64 v[6:7], 3, v[10:11]
	v_mov_b32_e32 v11, s5
	v_add_co_u32_e32 v6, vcc, s4, v6
	v_addc_co_u32_e32 v7, vcc, v11, v7, vcc
	v_cmp_gt_u32_e32 vcc, s15, v10
	v_cndmask_b32_e32 v7, v9, v7, vcc
	v_cndmask_b32_e32 v6, v8, v6, vcc
	global_load_dwordx2 v[2:3], v[2:3], off
	v_add_u32_e32 v14, v10, v15
	global_load_dwordx2 v[4:5], v[4:5], off
	s_add_i32 s10, s17, s15
	global_load_dwordx2 v[6:7], v[6:7], off
	s_mov_b64 s[0:1], -1
	s_cbranch_execz .LBB513_16
	s_branch .LBB513_21
.LBB513_15:
	s_mov_b64 s[0:1], 0
                                        ; implicit-def: $vgpr14
                                        ; implicit-def: $vgpr2_vgpr3_vgpr4_vgpr5_vgpr6_vgpr7_vgpr8_vgpr9
                                        ; implicit-def: $sgpr10
.LBB513_16:
	s_add_i32 s10, s17, s15
	v_cmp_gt_u32_e32 vcc, s10, v0
                                        ; implicit-def: $vgpr2_vgpr3_vgpr4_vgpr5_vgpr6_vgpr7_vgpr8_vgpr9
	s_and_saveexec_b64 s[0:1], vcc
	s_cbranch_execz .LBB513_35
; %bb.17:
	s_waitcnt vmcnt(2)
	v_mov_b32_e32 v2, s5
	s_waitcnt vmcnt(1)
	v_add_co_u32_e32 v4, vcc, s4, v16
	v_mov_b32_e32 v3, 0
	v_addc_co_u32_e32 v5, vcc, 0, v2, vcc
	v_subrev_u32_e32 v2, s15, v0
	v_lshlrev_b64 v[2:3], 3, v[2:3]
	s_waitcnt vmcnt(0)
	v_mov_b32_e32 v6, s7
	v_add_co_u32_e32 v2, vcc, s6, v2
	v_addc_co_u32_e32 v3, vcc, v6, v3, vcc
	v_cmp_gt_u32_e32 vcc, s15, v0
	v_cndmask_b32_e32 v3, v3, v5, vcc
	v_cndmask_b32_e32 v2, v2, v4, vcc
	global_load_dwordx2 v[2:3], v[2:3], off
	s_or_b64 exec, exec, s[0:1]
	v_cmp_gt_u32_e32 vcc, s10, v12
	s_and_saveexec_b64 s[2:3], vcc
	s_cbranch_execnz .LBB513_36
.LBB513_18:
	s_or_b64 exec, exec, s[2:3]
	v_cmp_gt_u32_e32 vcc, s10, v10
	s_and_saveexec_b64 s[0:1], vcc
	s_cbranch_execz .LBB513_20
.LBB513_19:
	v_mov_b32_e32 v11, 0
	s_waitcnt vmcnt(0)
	v_lshlrev_b64 v[6:7], 3, v[10:11]
	v_mov_b32_e32 v12, s5
	v_add_co_u32_e32 v13, vcc, s4, v6
	v_addc_co_u32_e32 v12, vcc, v12, v7, vcc
	v_subrev_u32_e32 v6, s15, v10
	v_mov_b32_e32 v7, v11
	v_lshlrev_b64 v[6:7], 3, v[6:7]
	v_mov_b32_e32 v11, s7
	v_add_co_u32_e32 v6, vcc, s6, v6
	v_addc_co_u32_e32 v7, vcc, v11, v7, vcc
	v_cmp_gt_u32_e32 vcc, s15, v10
	v_cndmask_b32_e32 v7, v7, v12, vcc
	v_cndmask_b32_e32 v6, v6, v13, vcc
	global_load_dwordx2 v[6:7], v[6:7], off
.LBB513_20:
	s_or_b64 exec, exec, s[0:1]
	v_add_u32_e32 v14, v10, v15
	v_cmp_gt_u32_e64 s[0:1], s10, v14
.LBB513_21:
	v_mov_b32_e32 v10, s10
	s_and_saveexec_b64 s[2:3], s[0:1]
	s_cbranch_execz .LBB513_23
; %bb.22:
	v_subrev_u32_e32 v8, s15, v14
	v_mov_b32_e32 v9, 0
	v_lshlrev_b64 v[10:11], 3, v[8:9]
	v_mov_b32_e32 v8, s7
	v_add_co_u32_e32 v10, vcc, s6, v10
	v_mov_b32_e32 v15, v9
	v_addc_co_u32_e32 v11, vcc, v8, v11, vcc
	v_lshlrev_b64 v[8:9], 3, v[14:15]
	v_mov_b32_e32 v12, s5
	v_add_co_u32_e32 v8, vcc, s4, v8
	v_addc_co_u32_e32 v9, vcc, v12, v9, vcc
	v_cmp_gt_u32_e32 vcc, s15, v14
	v_cndmask_b32_e32 v9, v11, v9, vcc
	v_cndmask_b32_e32 v8, v10, v8, vcc
	global_load_dwordx2 v[8:9], v[8:9], off
	v_mov_b32_e32 v10, s10
.LBB513_23:
	s_or_b64 exec, exec, s[2:3]
	v_lshlrev_b32_e32 v12, 2, v0
	v_min_u32_e32 v13, v10, v12
	v_sub_u32_e64 v11, v13, s17 clamp
	v_min_u32_e32 v14, s15, v13
	v_cmp_lt_u32_e32 vcc, v11, v14
	s_waitcnt lgkmcnt(0)
	s_barrier
	s_and_saveexec_b64 s[0:1], vcc
	s_cbranch_execz .LBB513_27
; %bb.24:
	v_add_u32_e32 v15, s15, v13
	s_mov_b64 s[2:3], 0
.LBB513_25:                             ; =>This Inner Loop Header: Depth=1
	v_add_u32_e32 v20, v14, v11
	v_lshrrev_b32_e32 v20, 1, v20
	v_xad_u32 v21, v20, -1, v15
	ds_read_i8 v22, v20
	ds_read_i8 v21, v21
	v_add_u32_e32 v23, 1, v20
	s_waitcnt lgkmcnt(0)
	v_cmp_gt_i16_e32 vcc, v22, v21
	v_cndmask_b32_e32 v14, v14, v20, vcc
	v_cndmask_b32_e32 v11, v23, v11, vcc
	v_cmp_ge_u32_e32 vcc, v11, v14
	s_or_b64 s[2:3], vcc, s[2:3]
	s_andn2_b64 exec, exec, s[2:3]
	s_cbranch_execnz .LBB513_25
; %bb.26:
	s_or_b64 exec, exec, s[2:3]
.LBB513_27:
	s_or_b64 exec, exec, s[0:1]
	v_sub_u32_e32 v13, v13, v11
	v_add_u32_e32 v14, s15, v13
	v_cmp_ge_u32_e32 vcc, s15, v11
	v_cmp_le_u32_e64 s[0:1], v14, v10
	s_or_b64 s[0:1], vcc, s[0:1]
                                        ; implicit-def: $vgpr21
                                        ; implicit-def: $vgpr20
                                        ; implicit-def: $vgpr15
                                        ; implicit-def: $vgpr13
	s_and_saveexec_b64 s[6:7], s[0:1]
	s_cbranch_execz .LBB513_33
; %bb.28:
	v_cmp_gt_u32_e32 vcc, s15, v11
                                        ; implicit-def: $vgpr1
	s_and_saveexec_b64 s[0:1], vcc
	s_cbranch_execz .LBB513_30
; %bb.29:
	ds_read_u8 v1, v11
.LBB513_30:
	s_or_b64 exec, exec, s[0:1]
	v_cmp_ge_u32_e64 s[0:1], v14, v10
	v_cmp_lt_u32_e64 s[2:3], v14, v10
                                        ; implicit-def: $vgpr17
	s_and_saveexec_b64 s[4:5], s[2:3]
	s_cbranch_execz .LBB513_32
; %bb.31:
	ds_read_u8 v17, v14
.LBB513_32:
	s_or_b64 exec, exec, s[4:5]
	s_waitcnt lgkmcnt(0)
	v_cmp_le_i16_sdwa s[2:3], sext(v1), sext(v17) src0_sel:BYTE_0 src1_sel:BYTE_0
	s_and_b64 s[2:3], vcc, s[2:3]
	s_or_b64 vcc, s[0:1], s[2:3]
	v_mov_b32_e32 v18, s15
	v_cndmask_b32_e32 v13, v14, v11, vcc
	v_cndmask_b32_e32 v15, v10, v18, vcc
	v_add_u32_e32 v19, 1, v13
	v_add_u32_e32 v15, -1, v15
	v_min_u32_e32 v15, v19, v15
	ds_read_u8 v15, v15
	v_cndmask_b32_e32 v11, v11, v19, vcc
	v_cndmask_b32_e32 v14, v19, v14, vcc
	v_cmp_gt_u32_e64 s[2:3], s15, v11
	v_cmp_ge_u32_e64 s[0:1], v14, v10
	s_waitcnt lgkmcnt(0)
	v_cndmask_b32_e32 v21, v15, v17, vcc
	v_cndmask_b32_e32 v22, v1, v15, vcc
	v_cmp_le_i16_sdwa s[4:5], sext(v22), sext(v21) src0_sel:BYTE_0 src1_sel:BYTE_0
	s_and_b64 s[2:3], s[2:3], s[4:5]
	s_or_b64 s[0:1], s[0:1], s[2:3]
	v_cndmask_b32_e64 v15, v14, v11, s[0:1]
	v_cndmask_b32_e64 v19, v10, v18, s[0:1]
	v_add_u32_e32 v20, 1, v15
	v_add_u32_e32 v19, -1, v19
	v_min_u32_e32 v19, v20, v19
	ds_read_u8 v19, v19
	v_cndmask_b32_e64 v11, v11, v20, s[0:1]
	v_cndmask_b32_e64 v14, v20, v14, s[0:1]
	v_cmp_gt_u32_e64 s[4:5], s15, v11
	v_cmp_ge_u32_e64 s[2:3], v14, v10
	s_waitcnt lgkmcnt(0)
	v_cndmask_b32_e64 v23, v19, v21, s[0:1]
	v_cndmask_b32_e64 v19, v22, v19, s[0:1]
	v_cmp_le_i16_sdwa s[10:11], sext(v19), sext(v23) src0_sel:BYTE_0 src1_sel:BYTE_0
	s_and_b64 s[4:5], s[4:5], s[10:11]
	s_or_b64 s[2:3], s[2:3], s[4:5]
	v_cndmask_b32_e64 v20, v14, v11, s[2:3]
	v_cndmask_b32_e64 v18, v10, v18, s[2:3]
	v_add_u32_e32 v24, 1, v20
	v_add_u32_e32 v18, -1, v18
	v_min_u32_e32 v18, v24, v18
	ds_read_u8 v25, v18
	v_cndmask_b32_e32 v1, v17, v1, vcc
	v_cndmask_b32_e64 v17, v21, v22, s[0:1]
	v_cndmask_b32_e64 v18, v23, v19, s[2:3]
	;; [unrolled: 1-line block ×3, first 2 shown]
	s_waitcnt lgkmcnt(0)
	v_cndmask_b32_e64 v22, v25, v23, s[2:3]
	v_cndmask_b32_e64 v19, v19, v25, s[2:3]
	;; [unrolled: 1-line block ×3, first 2 shown]
	v_cmp_gt_u32_e64 s[0:1], s15, v11
	v_cmp_le_i16_sdwa s[2:3], sext(v19), sext(v22) src0_sel:BYTE_0 src1_sel:BYTE_0
	v_cmp_ge_u32_e32 vcc, v14, v10
	s_and_b64 s[0:1], s[0:1], s[2:3]
	s_or_b64 vcc, vcc, s[0:1]
	v_cndmask_b32_e32 v21, v14, v11, vcc
	v_cndmask_b32_e32 v19, v22, v19, vcc
.LBB513_33:
	s_or_b64 exec, exec, s[6:7]
	v_mad_u32_u24 v14, v0, 7, v0
	s_barrier
	s_waitcnt vmcnt(0)
	ds_write2st64_b64 v14, v[2:3], v[4:5] offset1:4
	ds_write2st64_b64 v14, v[6:7], v[8:9] offset0:8 offset1:12
	v_lshlrev_b32_e32 v2, 3, v13
	v_lshlrev_b32_e32 v3, 3, v15
	;; [unrolled: 1-line block ×4, first 2 shown]
	s_waitcnt lgkmcnt(0)
	s_barrier
	ds_read_b64 v[6:7], v2
	ds_read_b64 v[8:9], v3
	;; [unrolled: 1-line block ×4, first 2 shown]
	v_lshlrev_b16_e32 v11, 8, v17
	v_lshrrev_b32_e32 v20, 3, v0
	v_or_b32_sdwa v1, v1, v11 dst_sel:DWORD dst_unused:UNUSED_PAD src0_sel:BYTE_0 src1_sel:DWORD
	v_lshlrev_b16_e32 v11, 8, v19
	s_add_u32 s0, s8, s16
	v_and_b32_e32 v10, 28, v20
	v_or_b32_sdwa v11, v18, v11 dst_sel:WORD_1 dst_unused:UNUSED_PAD src0_sel:BYTE_0 src1_sel:DWORD
	s_addc_u32 s1, s9, 0
	v_add_u32_e32 v10, v10, v12
	v_or_b32_sdwa v1, v1, v11 dst_sel:DWORD dst_unused:UNUSED_PAD src0_sel:WORD_0 src1_sel:DWORD
	v_or_b32_e32 v23, 0x100, v0
	v_or_b32_e32 v22, 0x200, v0
	;; [unrolled: 1-line block ×3, first 2 shown]
	s_waitcnt lgkmcnt(0)
	s_barrier
	s_barrier
	ds_write_b32 v10, v1
	v_lshrrev_b32_e32 v1, 5, v23
	v_lshrrev_b32_e32 v17, 5, v22
	;; [unrolled: 1-line block ×3, first 2 shown]
	v_mov_b32_e32 v11, s1
	v_add_co_u32_e32 v10, vcc, s0, v0
	v_lshrrev_b32_e32 v15, 5, v0
	v_and_b32_e32 v13, 12, v1
	v_and_b32_e32 v18, 20, v17
	;; [unrolled: 1-line block ×3, first 2 shown]
	v_addc_co_u32_e32 v11, vcc, 0, v11, vcc
	s_mov_b32 s17, 0
	v_and_b32_e32 v24, 4, v15
	s_and_b64 vcc, exec, s[18:19]
	v_add_u32_e32 v25, v0, v13
	v_add_u32_e32 v26, v0, v18
	v_add_u32_e32 v27, v0, v19
	v_lshlrev_b32_e32 v19, 3, v12
	v_lshl_add_u32 v1, v1, 3, v14
	v_lshl_add_u32 v17, v17, 3, v14
	;; [unrolled: 1-line block ×3, first 2 shown]
	s_waitcnt lgkmcnt(0)
	s_cbranch_vccz .LBB513_37
; %bb.34:
	v_add_u32_e32 v12, v0, v24
	s_barrier
	ds_read_u8 v12, v12
	ds_read_u8 v13, v25 offset:256
	ds_read_u8 v28, v26 offset:512
	;; [unrolled: 1-line block ×3, first 2 shown]
	s_lshl_b64 s[0:1], s[16:17], 3
	s_add_u32 s0, s12, s0
	s_waitcnt lgkmcnt(3)
	global_store_byte v[10:11], v12, off
	s_waitcnt lgkmcnt(2)
	global_store_byte v[10:11], v13, off offset:256
	s_waitcnt lgkmcnt(1)
	global_store_byte v[10:11], v28, off offset:512
	s_waitcnt lgkmcnt(0)
	global_store_byte v[10:11], v29, off offset:768
	v_lshl_add_u32 v12, v20, 3, v19
	s_barrier
	ds_write2_b64 v12, v[6:7], v[8:9] offset1:1
	ds_write2_b64 v12, v[2:3], v[4:5] offset0:2 offset1:3
	v_lshl_add_u32 v12, v15, 3, v14
	s_addc_u32 s1, s13, s1
	s_waitcnt lgkmcnt(0)
	s_barrier
	ds_read_b64 v[28:29], v12
	ds_read_b64 v[30:31], v1 offset:2048
	ds_read_b64 v[32:33], v17 offset:4096
	;; [unrolled: 1-line block ×3, first 2 shown]
	v_mov_b32_e32 v34, s1
	v_add_co_u32_e32 v35, vcc, s0, v16
	v_addc_co_u32_e32 v34, vcc, 0, v34, vcc
	s_waitcnt lgkmcnt(3)
	global_store_dwordx2 v16, v[28:29], s[0:1]
	s_waitcnt lgkmcnt(2)
	global_store_dwordx2 v16, v[30:31], s[0:1] offset:2048
	v_add_co_u32_e32 v28, vcc, 0x1000, v35
	v_addc_co_u32_e32 v29, vcc, 0, v34, vcc
	s_waitcnt lgkmcnt(1)
	global_store_dwordx2 v[28:29], v[32:33], off
	s_mov_b64 s[6:7], -1
	s_cbranch_execz .LBB513_38
	s_branch .LBB513_51
.LBB513_35:
	s_or_b64 exec, exec, s[0:1]
	v_cmp_gt_u32_e32 vcc, s10, v12
	s_and_saveexec_b64 s[2:3], vcc
	s_cbranch_execz .LBB513_18
.LBB513_36:
	v_mov_b32_e32 v13, 0
	s_waitcnt vmcnt(1)
	v_lshlrev_b64 v[4:5], 3, v[12:13]
	v_mov_b32_e32 v11, s5
	v_add_co_u32_e32 v14, vcc, s4, v4
	v_addc_co_u32_e32 v11, vcc, v11, v5, vcc
	v_cmp_gt_u32_e32 vcc, s15, v12
	v_subrev_u32_e32 v12, s15, v12
	v_lshlrev_b64 v[4:5], 3, v[12:13]
	v_mov_b32_e32 v12, s7
	v_add_co_u32_e64 v4, s[0:1], s6, v4
	v_addc_co_u32_e64 v5, s[0:1], v12, v5, s[0:1]
	v_cndmask_b32_e32 v5, v5, v11, vcc
	v_cndmask_b32_e32 v4, v4, v14, vcc
	global_load_dwordx2 v[4:5], v[4:5], off
	s_or_b64 exec, exec, s[2:3]
	v_cmp_gt_u32_e32 vcc, s10, v10
	s_and_saveexec_b64 s[0:1], vcc
	s_cbranch_execnz .LBB513_19
	s_branch .LBB513_20
.LBB513_37:
	s_mov_b64 s[6:7], 0
                                        ; implicit-def: $vgpr12_vgpr13
.LBB513_38:
	s_barrier
	s_waitcnt lgkmcnt(0)
	ds_read_u8 v25, v25 offset:256
	ds_read_u8 v13, v26 offset:512
	ds_read_u8 v12, v27 offset:768
	s_sub_i32 s6, s14, s16
	v_cmp_gt_u32_e32 vcc, s6, v0
	s_and_saveexec_b64 s[0:1], vcc
	s_cbranch_execz .LBB513_42
; %bb.39:
	v_add_u32_e32 v0, v0, v24
	ds_read_u8 v0, v0
	s_waitcnt lgkmcnt(0)
	global_store_byte v[10:11], v0, off
	s_or_b64 exec, exec, s[0:1]
	v_cmp_gt_u32_e64 s[0:1], s6, v23
	s_and_saveexec_b64 s[2:3], s[0:1]
	s_cbranch_execnz .LBB513_43
.LBB513_40:
	s_or_b64 exec, exec, s[2:3]
	v_cmp_gt_u32_e64 s[2:3], s6, v22
	s_and_saveexec_b64 s[4:5], s[2:3]
	s_cbranch_execz .LBB513_44
.LBB513_41:
	s_waitcnt lgkmcnt(1)
	global_store_byte v[10:11], v13, off offset:512
	s_or_b64 exec, exec, s[4:5]
	v_cmp_gt_u32_e64 s[6:7], s6, v21
	s_and_saveexec_b64 s[4:5], s[6:7]
	s_cbranch_execnz .LBB513_45
	s_branch .LBB513_46
.LBB513_42:
	s_or_b64 exec, exec, s[0:1]
	v_cmp_gt_u32_e64 s[0:1], s6, v23
	s_and_saveexec_b64 s[2:3], s[0:1]
	s_cbranch_execz .LBB513_40
.LBB513_43:
	s_waitcnt lgkmcnt(2)
	global_store_byte v[10:11], v25, off offset:256
	s_or_b64 exec, exec, s[2:3]
	v_cmp_gt_u32_e64 s[2:3], s6, v22
	s_and_saveexec_b64 s[4:5], s[2:3]
	s_cbranch_execnz .LBB513_41
.LBB513_44:
	s_or_b64 exec, exec, s[4:5]
	v_cmp_gt_u32_e64 s[6:7], s6, v21
	s_and_saveexec_b64 s[4:5], s[6:7]
	s_cbranch_execz .LBB513_46
.LBB513_45:
	s_waitcnt lgkmcnt(0)
	global_store_byte v[10:11], v12, off offset:768
.LBB513_46:
	s_or_b64 exec, exec, s[4:5]
	v_lshl_add_u32 v0, v20, 3, v19
	s_waitcnt lgkmcnt(0)
	s_barrier
	ds_write2_b64 v0, v[6:7], v[8:9] offset1:1
	ds_write2_b64 v0, v[2:3], v[4:5] offset0:2 offset1:3
	s_waitcnt lgkmcnt(0)
	s_barrier
	ds_read_b64 v[4:5], v1 offset:2048
	ds_read_b64 v[0:1], v17 offset:4096
	;; [unrolled: 1-line block ×3, first 2 shown]
	s_lshl_b64 s[4:5], s[16:17], 3
	s_add_u32 s4, s12, s4
	s_addc_u32 s5, s13, s5
	v_mov_b32_e32 v3, s5
	v_add_co_u32_e64 v2, s[4:5], s4, v16
	v_addc_co_u32_e64 v3, s[4:5], 0, v3, s[4:5]
	s_and_saveexec_b64 s[4:5], vcc
	s_cbranch_execz .LBB513_54
; %bb.47:
	v_lshl_add_u32 v6, v15, 3, v14
	ds_read_b64 v[6:7], v6
	s_waitcnt lgkmcnt(0)
	global_store_dwordx2 v[2:3], v[6:7], off
	s_or_b64 exec, exec, s[4:5]
	s_and_saveexec_b64 s[4:5], s[0:1]
	s_cbranch_execnz .LBB513_55
.LBB513_48:
	s_or_b64 exec, exec, s[4:5]
	s_and_saveexec_b64 s[0:1], s[2:3]
	s_cbranch_execz .LBB513_50
.LBB513_49:
	v_add_co_u32_e32 v2, vcc, 0x1000, v2
	v_addc_co_u32_e32 v3, vcc, 0, v3, vcc
	s_waitcnt lgkmcnt(1)
	global_store_dwordx2 v[2:3], v[0:1], off
.LBB513_50:
	s_or_b64 exec, exec, s[0:1]
.LBB513_51:
	s_and_saveexec_b64 s[0:1], s[6:7]
	s_cbranch_execz .LBB513_53
; %bb.52:
	s_lshl_b64 s[0:1], s[16:17], 3
	s_add_u32 s0, s12, s0
	s_addc_u32 s1, s13, s1
	s_waitcnt lgkmcnt(1)
	v_mov_b32_e32 v0, s1
	v_add_co_u32_e32 v1, vcc, s0, v16
	v_addc_co_u32_e32 v2, vcc, 0, v0, vcc
	v_add_co_u32_e32 v0, vcc, 0x1000, v1
	v_addc_co_u32_e32 v1, vcc, 0, v2, vcc
	s_waitcnt lgkmcnt(0)
	global_store_dwordx2 v[0:1], v[12:13], off offset:2048
.LBB513_53:
	s_endpgm
.LBB513_54:
	s_or_b64 exec, exec, s[4:5]
	s_and_saveexec_b64 s[4:5], s[0:1]
	s_cbranch_execz .LBB513_48
.LBB513_55:
	s_waitcnt lgkmcnt(2)
	global_store_dwordx2 v[2:3], v[4:5], off offset:2048
	s_or_b64 exec, exec, s[4:5]
	s_and_saveexec_b64 s[0:1], s[2:3]
	s_cbranch_execnz .LBB513_49
	s_branch .LBB513_50
	.section	.rodata,"a",@progbits
	.p2align	6, 0x0
	.amdhsa_kernel _ZN7rocprim17ROCPRIM_400000_NS6detail17trampoline_kernelINS0_14default_configENS1_38merge_sort_block_merge_config_selectorIalEEZZNS1_27merge_sort_block_merge_implIS3_PaN6thrust23THRUST_200600_302600_NS10device_ptrIlEEjNS1_19radix_merge_compareILb0ELb0EaNS0_19identity_decomposerEEEEE10hipError_tT0_T1_T2_jT3_P12ihipStream_tbPNSt15iterator_traitsISG_E10value_typeEPNSM_ISH_E10value_typeEPSI_NS1_7vsmem_tEENKUlT_SG_SH_SI_E_clIS7_S7_SB_PlEESF_SV_SG_SH_SI_EUlSV_E0_NS1_11comp_targetILNS1_3genE4ELNS1_11target_archE910ELNS1_3gpuE8ELNS1_3repE0EEENS1_38merge_mergepath_config_static_selectorELNS0_4arch9wavefront6targetE1EEEvSH_
		.amdhsa_group_segment_fixed_size 8448
		.amdhsa_private_segment_fixed_size 0
		.amdhsa_kernarg_size 320
		.amdhsa_user_sgpr_count 6
		.amdhsa_user_sgpr_private_segment_buffer 1
		.amdhsa_user_sgpr_dispatch_ptr 0
		.amdhsa_user_sgpr_queue_ptr 0
		.amdhsa_user_sgpr_kernarg_segment_ptr 1
		.amdhsa_user_sgpr_dispatch_id 0
		.amdhsa_user_sgpr_flat_scratch_init 0
		.amdhsa_user_sgpr_kernarg_preload_length 0
		.amdhsa_user_sgpr_kernarg_preload_offset 0
		.amdhsa_user_sgpr_private_segment_size 0
		.amdhsa_uses_dynamic_stack 0
		.amdhsa_system_sgpr_private_segment_wavefront_offset 0
		.amdhsa_system_sgpr_workgroup_id_x 1
		.amdhsa_system_sgpr_workgroup_id_y 1
		.amdhsa_system_sgpr_workgroup_id_z 1
		.amdhsa_system_sgpr_workgroup_info 0
		.amdhsa_system_vgpr_workitem_id 0
		.amdhsa_next_free_vgpr 36
		.amdhsa_next_free_sgpr 32
		.amdhsa_accum_offset 36
		.amdhsa_reserve_vcc 1
		.amdhsa_reserve_flat_scratch 0
		.amdhsa_float_round_mode_32 0
		.amdhsa_float_round_mode_16_64 0
		.amdhsa_float_denorm_mode_32 3
		.amdhsa_float_denorm_mode_16_64 3
		.amdhsa_dx10_clamp 1
		.amdhsa_ieee_mode 1
		.amdhsa_fp16_overflow 0
		.amdhsa_tg_split 0
		.amdhsa_exception_fp_ieee_invalid_op 0
		.amdhsa_exception_fp_denorm_src 0
		.amdhsa_exception_fp_ieee_div_zero 0
		.amdhsa_exception_fp_ieee_overflow 0
		.amdhsa_exception_fp_ieee_underflow 0
		.amdhsa_exception_fp_ieee_inexact 0
		.amdhsa_exception_int_div_zero 0
	.end_amdhsa_kernel
	.section	.text._ZN7rocprim17ROCPRIM_400000_NS6detail17trampoline_kernelINS0_14default_configENS1_38merge_sort_block_merge_config_selectorIalEEZZNS1_27merge_sort_block_merge_implIS3_PaN6thrust23THRUST_200600_302600_NS10device_ptrIlEEjNS1_19radix_merge_compareILb0ELb0EaNS0_19identity_decomposerEEEEE10hipError_tT0_T1_T2_jT3_P12ihipStream_tbPNSt15iterator_traitsISG_E10value_typeEPNSM_ISH_E10value_typeEPSI_NS1_7vsmem_tEENKUlT_SG_SH_SI_E_clIS7_S7_SB_PlEESF_SV_SG_SH_SI_EUlSV_E0_NS1_11comp_targetILNS1_3genE4ELNS1_11target_archE910ELNS1_3gpuE8ELNS1_3repE0EEENS1_38merge_mergepath_config_static_selectorELNS0_4arch9wavefront6targetE1EEEvSH_,"axG",@progbits,_ZN7rocprim17ROCPRIM_400000_NS6detail17trampoline_kernelINS0_14default_configENS1_38merge_sort_block_merge_config_selectorIalEEZZNS1_27merge_sort_block_merge_implIS3_PaN6thrust23THRUST_200600_302600_NS10device_ptrIlEEjNS1_19radix_merge_compareILb0ELb0EaNS0_19identity_decomposerEEEEE10hipError_tT0_T1_T2_jT3_P12ihipStream_tbPNSt15iterator_traitsISG_E10value_typeEPNSM_ISH_E10value_typeEPSI_NS1_7vsmem_tEENKUlT_SG_SH_SI_E_clIS7_S7_SB_PlEESF_SV_SG_SH_SI_EUlSV_E0_NS1_11comp_targetILNS1_3genE4ELNS1_11target_archE910ELNS1_3gpuE8ELNS1_3repE0EEENS1_38merge_mergepath_config_static_selectorELNS0_4arch9wavefront6targetE1EEEvSH_,comdat
.Lfunc_end513:
	.size	_ZN7rocprim17ROCPRIM_400000_NS6detail17trampoline_kernelINS0_14default_configENS1_38merge_sort_block_merge_config_selectorIalEEZZNS1_27merge_sort_block_merge_implIS3_PaN6thrust23THRUST_200600_302600_NS10device_ptrIlEEjNS1_19radix_merge_compareILb0ELb0EaNS0_19identity_decomposerEEEEE10hipError_tT0_T1_T2_jT3_P12ihipStream_tbPNSt15iterator_traitsISG_E10value_typeEPNSM_ISH_E10value_typeEPSI_NS1_7vsmem_tEENKUlT_SG_SH_SI_E_clIS7_S7_SB_PlEESF_SV_SG_SH_SI_EUlSV_E0_NS1_11comp_targetILNS1_3genE4ELNS1_11target_archE910ELNS1_3gpuE8ELNS1_3repE0EEENS1_38merge_mergepath_config_static_selectorELNS0_4arch9wavefront6targetE1EEEvSH_, .Lfunc_end513-_ZN7rocprim17ROCPRIM_400000_NS6detail17trampoline_kernelINS0_14default_configENS1_38merge_sort_block_merge_config_selectorIalEEZZNS1_27merge_sort_block_merge_implIS3_PaN6thrust23THRUST_200600_302600_NS10device_ptrIlEEjNS1_19radix_merge_compareILb0ELb0EaNS0_19identity_decomposerEEEEE10hipError_tT0_T1_T2_jT3_P12ihipStream_tbPNSt15iterator_traitsISG_E10value_typeEPNSM_ISH_E10value_typeEPSI_NS1_7vsmem_tEENKUlT_SG_SH_SI_E_clIS7_S7_SB_PlEESF_SV_SG_SH_SI_EUlSV_E0_NS1_11comp_targetILNS1_3genE4ELNS1_11target_archE910ELNS1_3gpuE8ELNS1_3repE0EEENS1_38merge_mergepath_config_static_selectorELNS0_4arch9wavefront6targetE1EEEvSH_
                                        ; -- End function
	.section	.AMDGPU.csdata,"",@progbits
; Kernel info:
; codeLenInByte = 3100
; NumSgprs: 36
; NumVgprs: 36
; NumAgprs: 0
; TotalNumVgprs: 36
; ScratchSize: 0
; MemoryBound: 0
; FloatMode: 240
; IeeeMode: 1
; LDSByteSize: 8448 bytes/workgroup (compile time only)
; SGPRBlocks: 4
; VGPRBlocks: 4
; NumSGPRsForWavesPerEU: 36
; NumVGPRsForWavesPerEU: 36
; AccumOffset: 36
; Occupancy: 7
; WaveLimiterHint : 1
; COMPUTE_PGM_RSRC2:SCRATCH_EN: 0
; COMPUTE_PGM_RSRC2:USER_SGPR: 6
; COMPUTE_PGM_RSRC2:TRAP_HANDLER: 0
; COMPUTE_PGM_RSRC2:TGID_X_EN: 1
; COMPUTE_PGM_RSRC2:TGID_Y_EN: 1
; COMPUTE_PGM_RSRC2:TGID_Z_EN: 1
; COMPUTE_PGM_RSRC2:TIDIG_COMP_CNT: 0
; COMPUTE_PGM_RSRC3_GFX90A:ACCUM_OFFSET: 8
; COMPUTE_PGM_RSRC3_GFX90A:TG_SPLIT: 0
	.section	.text._ZN7rocprim17ROCPRIM_400000_NS6detail17trampoline_kernelINS0_14default_configENS1_38merge_sort_block_merge_config_selectorIalEEZZNS1_27merge_sort_block_merge_implIS3_PaN6thrust23THRUST_200600_302600_NS10device_ptrIlEEjNS1_19radix_merge_compareILb0ELb0EaNS0_19identity_decomposerEEEEE10hipError_tT0_T1_T2_jT3_P12ihipStream_tbPNSt15iterator_traitsISG_E10value_typeEPNSM_ISH_E10value_typeEPSI_NS1_7vsmem_tEENKUlT_SG_SH_SI_E_clIS7_S7_SB_PlEESF_SV_SG_SH_SI_EUlSV_E0_NS1_11comp_targetILNS1_3genE3ELNS1_11target_archE908ELNS1_3gpuE7ELNS1_3repE0EEENS1_38merge_mergepath_config_static_selectorELNS0_4arch9wavefront6targetE1EEEvSH_,"axG",@progbits,_ZN7rocprim17ROCPRIM_400000_NS6detail17trampoline_kernelINS0_14default_configENS1_38merge_sort_block_merge_config_selectorIalEEZZNS1_27merge_sort_block_merge_implIS3_PaN6thrust23THRUST_200600_302600_NS10device_ptrIlEEjNS1_19radix_merge_compareILb0ELb0EaNS0_19identity_decomposerEEEEE10hipError_tT0_T1_T2_jT3_P12ihipStream_tbPNSt15iterator_traitsISG_E10value_typeEPNSM_ISH_E10value_typeEPSI_NS1_7vsmem_tEENKUlT_SG_SH_SI_E_clIS7_S7_SB_PlEESF_SV_SG_SH_SI_EUlSV_E0_NS1_11comp_targetILNS1_3genE3ELNS1_11target_archE908ELNS1_3gpuE7ELNS1_3repE0EEENS1_38merge_mergepath_config_static_selectorELNS0_4arch9wavefront6targetE1EEEvSH_,comdat
	.protected	_ZN7rocprim17ROCPRIM_400000_NS6detail17trampoline_kernelINS0_14default_configENS1_38merge_sort_block_merge_config_selectorIalEEZZNS1_27merge_sort_block_merge_implIS3_PaN6thrust23THRUST_200600_302600_NS10device_ptrIlEEjNS1_19radix_merge_compareILb0ELb0EaNS0_19identity_decomposerEEEEE10hipError_tT0_T1_T2_jT3_P12ihipStream_tbPNSt15iterator_traitsISG_E10value_typeEPNSM_ISH_E10value_typeEPSI_NS1_7vsmem_tEENKUlT_SG_SH_SI_E_clIS7_S7_SB_PlEESF_SV_SG_SH_SI_EUlSV_E0_NS1_11comp_targetILNS1_3genE3ELNS1_11target_archE908ELNS1_3gpuE7ELNS1_3repE0EEENS1_38merge_mergepath_config_static_selectorELNS0_4arch9wavefront6targetE1EEEvSH_ ; -- Begin function _ZN7rocprim17ROCPRIM_400000_NS6detail17trampoline_kernelINS0_14default_configENS1_38merge_sort_block_merge_config_selectorIalEEZZNS1_27merge_sort_block_merge_implIS3_PaN6thrust23THRUST_200600_302600_NS10device_ptrIlEEjNS1_19radix_merge_compareILb0ELb0EaNS0_19identity_decomposerEEEEE10hipError_tT0_T1_T2_jT3_P12ihipStream_tbPNSt15iterator_traitsISG_E10value_typeEPNSM_ISH_E10value_typeEPSI_NS1_7vsmem_tEENKUlT_SG_SH_SI_E_clIS7_S7_SB_PlEESF_SV_SG_SH_SI_EUlSV_E0_NS1_11comp_targetILNS1_3genE3ELNS1_11target_archE908ELNS1_3gpuE7ELNS1_3repE0EEENS1_38merge_mergepath_config_static_selectorELNS0_4arch9wavefront6targetE1EEEvSH_
	.globl	_ZN7rocprim17ROCPRIM_400000_NS6detail17trampoline_kernelINS0_14default_configENS1_38merge_sort_block_merge_config_selectorIalEEZZNS1_27merge_sort_block_merge_implIS3_PaN6thrust23THRUST_200600_302600_NS10device_ptrIlEEjNS1_19radix_merge_compareILb0ELb0EaNS0_19identity_decomposerEEEEE10hipError_tT0_T1_T2_jT3_P12ihipStream_tbPNSt15iterator_traitsISG_E10value_typeEPNSM_ISH_E10value_typeEPSI_NS1_7vsmem_tEENKUlT_SG_SH_SI_E_clIS7_S7_SB_PlEESF_SV_SG_SH_SI_EUlSV_E0_NS1_11comp_targetILNS1_3genE3ELNS1_11target_archE908ELNS1_3gpuE7ELNS1_3repE0EEENS1_38merge_mergepath_config_static_selectorELNS0_4arch9wavefront6targetE1EEEvSH_
	.p2align	8
	.type	_ZN7rocprim17ROCPRIM_400000_NS6detail17trampoline_kernelINS0_14default_configENS1_38merge_sort_block_merge_config_selectorIalEEZZNS1_27merge_sort_block_merge_implIS3_PaN6thrust23THRUST_200600_302600_NS10device_ptrIlEEjNS1_19radix_merge_compareILb0ELb0EaNS0_19identity_decomposerEEEEE10hipError_tT0_T1_T2_jT3_P12ihipStream_tbPNSt15iterator_traitsISG_E10value_typeEPNSM_ISH_E10value_typeEPSI_NS1_7vsmem_tEENKUlT_SG_SH_SI_E_clIS7_S7_SB_PlEESF_SV_SG_SH_SI_EUlSV_E0_NS1_11comp_targetILNS1_3genE3ELNS1_11target_archE908ELNS1_3gpuE7ELNS1_3repE0EEENS1_38merge_mergepath_config_static_selectorELNS0_4arch9wavefront6targetE1EEEvSH_,@function
_ZN7rocprim17ROCPRIM_400000_NS6detail17trampoline_kernelINS0_14default_configENS1_38merge_sort_block_merge_config_selectorIalEEZZNS1_27merge_sort_block_merge_implIS3_PaN6thrust23THRUST_200600_302600_NS10device_ptrIlEEjNS1_19radix_merge_compareILb0ELb0EaNS0_19identity_decomposerEEEEE10hipError_tT0_T1_T2_jT3_P12ihipStream_tbPNSt15iterator_traitsISG_E10value_typeEPNSM_ISH_E10value_typeEPSI_NS1_7vsmem_tEENKUlT_SG_SH_SI_E_clIS7_S7_SB_PlEESF_SV_SG_SH_SI_EUlSV_E0_NS1_11comp_targetILNS1_3genE3ELNS1_11target_archE908ELNS1_3gpuE7ELNS1_3repE0EEENS1_38merge_mergepath_config_static_selectorELNS0_4arch9wavefront6targetE1EEEvSH_: ; @_ZN7rocprim17ROCPRIM_400000_NS6detail17trampoline_kernelINS0_14default_configENS1_38merge_sort_block_merge_config_selectorIalEEZZNS1_27merge_sort_block_merge_implIS3_PaN6thrust23THRUST_200600_302600_NS10device_ptrIlEEjNS1_19radix_merge_compareILb0ELb0EaNS0_19identity_decomposerEEEEE10hipError_tT0_T1_T2_jT3_P12ihipStream_tbPNSt15iterator_traitsISG_E10value_typeEPNSM_ISH_E10value_typeEPSI_NS1_7vsmem_tEENKUlT_SG_SH_SI_E_clIS7_S7_SB_PlEESF_SV_SG_SH_SI_EUlSV_E0_NS1_11comp_targetILNS1_3genE3ELNS1_11target_archE908ELNS1_3gpuE7ELNS1_3repE0EEENS1_38merge_mergepath_config_static_selectorELNS0_4arch9wavefront6targetE1EEEvSH_
; %bb.0:
	.section	.rodata,"a",@progbits
	.p2align	6, 0x0
	.amdhsa_kernel _ZN7rocprim17ROCPRIM_400000_NS6detail17trampoline_kernelINS0_14default_configENS1_38merge_sort_block_merge_config_selectorIalEEZZNS1_27merge_sort_block_merge_implIS3_PaN6thrust23THRUST_200600_302600_NS10device_ptrIlEEjNS1_19radix_merge_compareILb0ELb0EaNS0_19identity_decomposerEEEEE10hipError_tT0_T1_T2_jT3_P12ihipStream_tbPNSt15iterator_traitsISG_E10value_typeEPNSM_ISH_E10value_typeEPSI_NS1_7vsmem_tEENKUlT_SG_SH_SI_E_clIS7_S7_SB_PlEESF_SV_SG_SH_SI_EUlSV_E0_NS1_11comp_targetILNS1_3genE3ELNS1_11target_archE908ELNS1_3gpuE7ELNS1_3repE0EEENS1_38merge_mergepath_config_static_selectorELNS0_4arch9wavefront6targetE1EEEvSH_
		.amdhsa_group_segment_fixed_size 0
		.amdhsa_private_segment_fixed_size 0
		.amdhsa_kernarg_size 64
		.amdhsa_user_sgpr_count 6
		.amdhsa_user_sgpr_private_segment_buffer 1
		.amdhsa_user_sgpr_dispatch_ptr 0
		.amdhsa_user_sgpr_queue_ptr 0
		.amdhsa_user_sgpr_kernarg_segment_ptr 1
		.amdhsa_user_sgpr_dispatch_id 0
		.amdhsa_user_sgpr_flat_scratch_init 0
		.amdhsa_user_sgpr_kernarg_preload_length 0
		.amdhsa_user_sgpr_kernarg_preload_offset 0
		.amdhsa_user_sgpr_private_segment_size 0
		.amdhsa_uses_dynamic_stack 0
		.amdhsa_system_sgpr_private_segment_wavefront_offset 0
		.amdhsa_system_sgpr_workgroup_id_x 1
		.amdhsa_system_sgpr_workgroup_id_y 0
		.amdhsa_system_sgpr_workgroup_id_z 0
		.amdhsa_system_sgpr_workgroup_info 0
		.amdhsa_system_vgpr_workitem_id 0
		.amdhsa_next_free_vgpr 1
		.amdhsa_next_free_sgpr 0
		.amdhsa_accum_offset 4
		.amdhsa_reserve_vcc 0
		.amdhsa_reserve_flat_scratch 0
		.amdhsa_float_round_mode_32 0
		.amdhsa_float_round_mode_16_64 0
		.amdhsa_float_denorm_mode_32 3
		.amdhsa_float_denorm_mode_16_64 3
		.amdhsa_dx10_clamp 1
		.amdhsa_ieee_mode 1
		.amdhsa_fp16_overflow 0
		.amdhsa_tg_split 0
		.amdhsa_exception_fp_ieee_invalid_op 0
		.amdhsa_exception_fp_denorm_src 0
		.amdhsa_exception_fp_ieee_div_zero 0
		.amdhsa_exception_fp_ieee_overflow 0
		.amdhsa_exception_fp_ieee_underflow 0
		.amdhsa_exception_fp_ieee_inexact 0
		.amdhsa_exception_int_div_zero 0
	.end_amdhsa_kernel
	.section	.text._ZN7rocprim17ROCPRIM_400000_NS6detail17trampoline_kernelINS0_14default_configENS1_38merge_sort_block_merge_config_selectorIalEEZZNS1_27merge_sort_block_merge_implIS3_PaN6thrust23THRUST_200600_302600_NS10device_ptrIlEEjNS1_19radix_merge_compareILb0ELb0EaNS0_19identity_decomposerEEEEE10hipError_tT0_T1_T2_jT3_P12ihipStream_tbPNSt15iterator_traitsISG_E10value_typeEPNSM_ISH_E10value_typeEPSI_NS1_7vsmem_tEENKUlT_SG_SH_SI_E_clIS7_S7_SB_PlEESF_SV_SG_SH_SI_EUlSV_E0_NS1_11comp_targetILNS1_3genE3ELNS1_11target_archE908ELNS1_3gpuE7ELNS1_3repE0EEENS1_38merge_mergepath_config_static_selectorELNS0_4arch9wavefront6targetE1EEEvSH_,"axG",@progbits,_ZN7rocprim17ROCPRIM_400000_NS6detail17trampoline_kernelINS0_14default_configENS1_38merge_sort_block_merge_config_selectorIalEEZZNS1_27merge_sort_block_merge_implIS3_PaN6thrust23THRUST_200600_302600_NS10device_ptrIlEEjNS1_19radix_merge_compareILb0ELb0EaNS0_19identity_decomposerEEEEE10hipError_tT0_T1_T2_jT3_P12ihipStream_tbPNSt15iterator_traitsISG_E10value_typeEPNSM_ISH_E10value_typeEPSI_NS1_7vsmem_tEENKUlT_SG_SH_SI_E_clIS7_S7_SB_PlEESF_SV_SG_SH_SI_EUlSV_E0_NS1_11comp_targetILNS1_3genE3ELNS1_11target_archE908ELNS1_3gpuE7ELNS1_3repE0EEENS1_38merge_mergepath_config_static_selectorELNS0_4arch9wavefront6targetE1EEEvSH_,comdat
.Lfunc_end514:
	.size	_ZN7rocprim17ROCPRIM_400000_NS6detail17trampoline_kernelINS0_14default_configENS1_38merge_sort_block_merge_config_selectorIalEEZZNS1_27merge_sort_block_merge_implIS3_PaN6thrust23THRUST_200600_302600_NS10device_ptrIlEEjNS1_19radix_merge_compareILb0ELb0EaNS0_19identity_decomposerEEEEE10hipError_tT0_T1_T2_jT3_P12ihipStream_tbPNSt15iterator_traitsISG_E10value_typeEPNSM_ISH_E10value_typeEPSI_NS1_7vsmem_tEENKUlT_SG_SH_SI_E_clIS7_S7_SB_PlEESF_SV_SG_SH_SI_EUlSV_E0_NS1_11comp_targetILNS1_3genE3ELNS1_11target_archE908ELNS1_3gpuE7ELNS1_3repE0EEENS1_38merge_mergepath_config_static_selectorELNS0_4arch9wavefront6targetE1EEEvSH_, .Lfunc_end514-_ZN7rocprim17ROCPRIM_400000_NS6detail17trampoline_kernelINS0_14default_configENS1_38merge_sort_block_merge_config_selectorIalEEZZNS1_27merge_sort_block_merge_implIS3_PaN6thrust23THRUST_200600_302600_NS10device_ptrIlEEjNS1_19radix_merge_compareILb0ELb0EaNS0_19identity_decomposerEEEEE10hipError_tT0_T1_T2_jT3_P12ihipStream_tbPNSt15iterator_traitsISG_E10value_typeEPNSM_ISH_E10value_typeEPSI_NS1_7vsmem_tEENKUlT_SG_SH_SI_E_clIS7_S7_SB_PlEESF_SV_SG_SH_SI_EUlSV_E0_NS1_11comp_targetILNS1_3genE3ELNS1_11target_archE908ELNS1_3gpuE7ELNS1_3repE0EEENS1_38merge_mergepath_config_static_selectorELNS0_4arch9wavefront6targetE1EEEvSH_
                                        ; -- End function
	.section	.AMDGPU.csdata,"",@progbits
; Kernel info:
; codeLenInByte = 0
; NumSgprs: 4
; NumVgprs: 0
; NumAgprs: 0
; TotalNumVgprs: 0
; ScratchSize: 0
; MemoryBound: 0
; FloatMode: 240
; IeeeMode: 1
; LDSByteSize: 0 bytes/workgroup (compile time only)
; SGPRBlocks: 0
; VGPRBlocks: 0
; NumSGPRsForWavesPerEU: 4
; NumVGPRsForWavesPerEU: 1
; AccumOffset: 4
; Occupancy: 8
; WaveLimiterHint : 0
; COMPUTE_PGM_RSRC2:SCRATCH_EN: 0
; COMPUTE_PGM_RSRC2:USER_SGPR: 6
; COMPUTE_PGM_RSRC2:TRAP_HANDLER: 0
; COMPUTE_PGM_RSRC2:TGID_X_EN: 1
; COMPUTE_PGM_RSRC2:TGID_Y_EN: 0
; COMPUTE_PGM_RSRC2:TGID_Z_EN: 0
; COMPUTE_PGM_RSRC2:TIDIG_COMP_CNT: 0
; COMPUTE_PGM_RSRC3_GFX90A:ACCUM_OFFSET: 0
; COMPUTE_PGM_RSRC3_GFX90A:TG_SPLIT: 0
	.section	.text._ZN7rocprim17ROCPRIM_400000_NS6detail17trampoline_kernelINS0_14default_configENS1_38merge_sort_block_merge_config_selectorIalEEZZNS1_27merge_sort_block_merge_implIS3_PaN6thrust23THRUST_200600_302600_NS10device_ptrIlEEjNS1_19radix_merge_compareILb0ELb0EaNS0_19identity_decomposerEEEEE10hipError_tT0_T1_T2_jT3_P12ihipStream_tbPNSt15iterator_traitsISG_E10value_typeEPNSM_ISH_E10value_typeEPSI_NS1_7vsmem_tEENKUlT_SG_SH_SI_E_clIS7_S7_SB_PlEESF_SV_SG_SH_SI_EUlSV_E0_NS1_11comp_targetILNS1_3genE2ELNS1_11target_archE906ELNS1_3gpuE6ELNS1_3repE0EEENS1_38merge_mergepath_config_static_selectorELNS0_4arch9wavefront6targetE1EEEvSH_,"axG",@progbits,_ZN7rocprim17ROCPRIM_400000_NS6detail17trampoline_kernelINS0_14default_configENS1_38merge_sort_block_merge_config_selectorIalEEZZNS1_27merge_sort_block_merge_implIS3_PaN6thrust23THRUST_200600_302600_NS10device_ptrIlEEjNS1_19radix_merge_compareILb0ELb0EaNS0_19identity_decomposerEEEEE10hipError_tT0_T1_T2_jT3_P12ihipStream_tbPNSt15iterator_traitsISG_E10value_typeEPNSM_ISH_E10value_typeEPSI_NS1_7vsmem_tEENKUlT_SG_SH_SI_E_clIS7_S7_SB_PlEESF_SV_SG_SH_SI_EUlSV_E0_NS1_11comp_targetILNS1_3genE2ELNS1_11target_archE906ELNS1_3gpuE6ELNS1_3repE0EEENS1_38merge_mergepath_config_static_selectorELNS0_4arch9wavefront6targetE1EEEvSH_,comdat
	.protected	_ZN7rocprim17ROCPRIM_400000_NS6detail17trampoline_kernelINS0_14default_configENS1_38merge_sort_block_merge_config_selectorIalEEZZNS1_27merge_sort_block_merge_implIS3_PaN6thrust23THRUST_200600_302600_NS10device_ptrIlEEjNS1_19radix_merge_compareILb0ELb0EaNS0_19identity_decomposerEEEEE10hipError_tT0_T1_T2_jT3_P12ihipStream_tbPNSt15iterator_traitsISG_E10value_typeEPNSM_ISH_E10value_typeEPSI_NS1_7vsmem_tEENKUlT_SG_SH_SI_E_clIS7_S7_SB_PlEESF_SV_SG_SH_SI_EUlSV_E0_NS1_11comp_targetILNS1_3genE2ELNS1_11target_archE906ELNS1_3gpuE6ELNS1_3repE0EEENS1_38merge_mergepath_config_static_selectorELNS0_4arch9wavefront6targetE1EEEvSH_ ; -- Begin function _ZN7rocprim17ROCPRIM_400000_NS6detail17trampoline_kernelINS0_14default_configENS1_38merge_sort_block_merge_config_selectorIalEEZZNS1_27merge_sort_block_merge_implIS3_PaN6thrust23THRUST_200600_302600_NS10device_ptrIlEEjNS1_19radix_merge_compareILb0ELb0EaNS0_19identity_decomposerEEEEE10hipError_tT0_T1_T2_jT3_P12ihipStream_tbPNSt15iterator_traitsISG_E10value_typeEPNSM_ISH_E10value_typeEPSI_NS1_7vsmem_tEENKUlT_SG_SH_SI_E_clIS7_S7_SB_PlEESF_SV_SG_SH_SI_EUlSV_E0_NS1_11comp_targetILNS1_3genE2ELNS1_11target_archE906ELNS1_3gpuE6ELNS1_3repE0EEENS1_38merge_mergepath_config_static_selectorELNS0_4arch9wavefront6targetE1EEEvSH_
	.globl	_ZN7rocprim17ROCPRIM_400000_NS6detail17trampoline_kernelINS0_14default_configENS1_38merge_sort_block_merge_config_selectorIalEEZZNS1_27merge_sort_block_merge_implIS3_PaN6thrust23THRUST_200600_302600_NS10device_ptrIlEEjNS1_19radix_merge_compareILb0ELb0EaNS0_19identity_decomposerEEEEE10hipError_tT0_T1_T2_jT3_P12ihipStream_tbPNSt15iterator_traitsISG_E10value_typeEPNSM_ISH_E10value_typeEPSI_NS1_7vsmem_tEENKUlT_SG_SH_SI_E_clIS7_S7_SB_PlEESF_SV_SG_SH_SI_EUlSV_E0_NS1_11comp_targetILNS1_3genE2ELNS1_11target_archE906ELNS1_3gpuE6ELNS1_3repE0EEENS1_38merge_mergepath_config_static_selectorELNS0_4arch9wavefront6targetE1EEEvSH_
	.p2align	8
	.type	_ZN7rocprim17ROCPRIM_400000_NS6detail17trampoline_kernelINS0_14default_configENS1_38merge_sort_block_merge_config_selectorIalEEZZNS1_27merge_sort_block_merge_implIS3_PaN6thrust23THRUST_200600_302600_NS10device_ptrIlEEjNS1_19radix_merge_compareILb0ELb0EaNS0_19identity_decomposerEEEEE10hipError_tT0_T1_T2_jT3_P12ihipStream_tbPNSt15iterator_traitsISG_E10value_typeEPNSM_ISH_E10value_typeEPSI_NS1_7vsmem_tEENKUlT_SG_SH_SI_E_clIS7_S7_SB_PlEESF_SV_SG_SH_SI_EUlSV_E0_NS1_11comp_targetILNS1_3genE2ELNS1_11target_archE906ELNS1_3gpuE6ELNS1_3repE0EEENS1_38merge_mergepath_config_static_selectorELNS0_4arch9wavefront6targetE1EEEvSH_,@function
_ZN7rocprim17ROCPRIM_400000_NS6detail17trampoline_kernelINS0_14default_configENS1_38merge_sort_block_merge_config_selectorIalEEZZNS1_27merge_sort_block_merge_implIS3_PaN6thrust23THRUST_200600_302600_NS10device_ptrIlEEjNS1_19radix_merge_compareILb0ELb0EaNS0_19identity_decomposerEEEEE10hipError_tT0_T1_T2_jT3_P12ihipStream_tbPNSt15iterator_traitsISG_E10value_typeEPNSM_ISH_E10value_typeEPSI_NS1_7vsmem_tEENKUlT_SG_SH_SI_E_clIS7_S7_SB_PlEESF_SV_SG_SH_SI_EUlSV_E0_NS1_11comp_targetILNS1_3genE2ELNS1_11target_archE906ELNS1_3gpuE6ELNS1_3repE0EEENS1_38merge_mergepath_config_static_selectorELNS0_4arch9wavefront6targetE1EEEvSH_: ; @_ZN7rocprim17ROCPRIM_400000_NS6detail17trampoline_kernelINS0_14default_configENS1_38merge_sort_block_merge_config_selectorIalEEZZNS1_27merge_sort_block_merge_implIS3_PaN6thrust23THRUST_200600_302600_NS10device_ptrIlEEjNS1_19radix_merge_compareILb0ELb0EaNS0_19identity_decomposerEEEEE10hipError_tT0_T1_T2_jT3_P12ihipStream_tbPNSt15iterator_traitsISG_E10value_typeEPNSM_ISH_E10value_typeEPSI_NS1_7vsmem_tEENKUlT_SG_SH_SI_E_clIS7_S7_SB_PlEESF_SV_SG_SH_SI_EUlSV_E0_NS1_11comp_targetILNS1_3genE2ELNS1_11target_archE906ELNS1_3gpuE6ELNS1_3repE0EEENS1_38merge_mergepath_config_static_selectorELNS0_4arch9wavefront6targetE1EEEvSH_
; %bb.0:
	.section	.rodata,"a",@progbits
	.p2align	6, 0x0
	.amdhsa_kernel _ZN7rocprim17ROCPRIM_400000_NS6detail17trampoline_kernelINS0_14default_configENS1_38merge_sort_block_merge_config_selectorIalEEZZNS1_27merge_sort_block_merge_implIS3_PaN6thrust23THRUST_200600_302600_NS10device_ptrIlEEjNS1_19radix_merge_compareILb0ELb0EaNS0_19identity_decomposerEEEEE10hipError_tT0_T1_T2_jT3_P12ihipStream_tbPNSt15iterator_traitsISG_E10value_typeEPNSM_ISH_E10value_typeEPSI_NS1_7vsmem_tEENKUlT_SG_SH_SI_E_clIS7_S7_SB_PlEESF_SV_SG_SH_SI_EUlSV_E0_NS1_11comp_targetILNS1_3genE2ELNS1_11target_archE906ELNS1_3gpuE6ELNS1_3repE0EEENS1_38merge_mergepath_config_static_selectorELNS0_4arch9wavefront6targetE1EEEvSH_
		.amdhsa_group_segment_fixed_size 0
		.amdhsa_private_segment_fixed_size 0
		.amdhsa_kernarg_size 64
		.amdhsa_user_sgpr_count 6
		.amdhsa_user_sgpr_private_segment_buffer 1
		.amdhsa_user_sgpr_dispatch_ptr 0
		.amdhsa_user_sgpr_queue_ptr 0
		.amdhsa_user_sgpr_kernarg_segment_ptr 1
		.amdhsa_user_sgpr_dispatch_id 0
		.amdhsa_user_sgpr_flat_scratch_init 0
		.amdhsa_user_sgpr_kernarg_preload_length 0
		.amdhsa_user_sgpr_kernarg_preload_offset 0
		.amdhsa_user_sgpr_private_segment_size 0
		.amdhsa_uses_dynamic_stack 0
		.amdhsa_system_sgpr_private_segment_wavefront_offset 0
		.amdhsa_system_sgpr_workgroup_id_x 1
		.amdhsa_system_sgpr_workgroup_id_y 0
		.amdhsa_system_sgpr_workgroup_id_z 0
		.amdhsa_system_sgpr_workgroup_info 0
		.amdhsa_system_vgpr_workitem_id 0
		.amdhsa_next_free_vgpr 1
		.amdhsa_next_free_sgpr 0
		.amdhsa_accum_offset 4
		.amdhsa_reserve_vcc 0
		.amdhsa_reserve_flat_scratch 0
		.amdhsa_float_round_mode_32 0
		.amdhsa_float_round_mode_16_64 0
		.amdhsa_float_denorm_mode_32 3
		.amdhsa_float_denorm_mode_16_64 3
		.amdhsa_dx10_clamp 1
		.amdhsa_ieee_mode 1
		.amdhsa_fp16_overflow 0
		.amdhsa_tg_split 0
		.amdhsa_exception_fp_ieee_invalid_op 0
		.amdhsa_exception_fp_denorm_src 0
		.amdhsa_exception_fp_ieee_div_zero 0
		.amdhsa_exception_fp_ieee_overflow 0
		.amdhsa_exception_fp_ieee_underflow 0
		.amdhsa_exception_fp_ieee_inexact 0
		.amdhsa_exception_int_div_zero 0
	.end_amdhsa_kernel
	.section	.text._ZN7rocprim17ROCPRIM_400000_NS6detail17trampoline_kernelINS0_14default_configENS1_38merge_sort_block_merge_config_selectorIalEEZZNS1_27merge_sort_block_merge_implIS3_PaN6thrust23THRUST_200600_302600_NS10device_ptrIlEEjNS1_19radix_merge_compareILb0ELb0EaNS0_19identity_decomposerEEEEE10hipError_tT0_T1_T2_jT3_P12ihipStream_tbPNSt15iterator_traitsISG_E10value_typeEPNSM_ISH_E10value_typeEPSI_NS1_7vsmem_tEENKUlT_SG_SH_SI_E_clIS7_S7_SB_PlEESF_SV_SG_SH_SI_EUlSV_E0_NS1_11comp_targetILNS1_3genE2ELNS1_11target_archE906ELNS1_3gpuE6ELNS1_3repE0EEENS1_38merge_mergepath_config_static_selectorELNS0_4arch9wavefront6targetE1EEEvSH_,"axG",@progbits,_ZN7rocprim17ROCPRIM_400000_NS6detail17trampoline_kernelINS0_14default_configENS1_38merge_sort_block_merge_config_selectorIalEEZZNS1_27merge_sort_block_merge_implIS3_PaN6thrust23THRUST_200600_302600_NS10device_ptrIlEEjNS1_19radix_merge_compareILb0ELb0EaNS0_19identity_decomposerEEEEE10hipError_tT0_T1_T2_jT3_P12ihipStream_tbPNSt15iterator_traitsISG_E10value_typeEPNSM_ISH_E10value_typeEPSI_NS1_7vsmem_tEENKUlT_SG_SH_SI_E_clIS7_S7_SB_PlEESF_SV_SG_SH_SI_EUlSV_E0_NS1_11comp_targetILNS1_3genE2ELNS1_11target_archE906ELNS1_3gpuE6ELNS1_3repE0EEENS1_38merge_mergepath_config_static_selectorELNS0_4arch9wavefront6targetE1EEEvSH_,comdat
.Lfunc_end515:
	.size	_ZN7rocprim17ROCPRIM_400000_NS6detail17trampoline_kernelINS0_14default_configENS1_38merge_sort_block_merge_config_selectorIalEEZZNS1_27merge_sort_block_merge_implIS3_PaN6thrust23THRUST_200600_302600_NS10device_ptrIlEEjNS1_19radix_merge_compareILb0ELb0EaNS0_19identity_decomposerEEEEE10hipError_tT0_T1_T2_jT3_P12ihipStream_tbPNSt15iterator_traitsISG_E10value_typeEPNSM_ISH_E10value_typeEPSI_NS1_7vsmem_tEENKUlT_SG_SH_SI_E_clIS7_S7_SB_PlEESF_SV_SG_SH_SI_EUlSV_E0_NS1_11comp_targetILNS1_3genE2ELNS1_11target_archE906ELNS1_3gpuE6ELNS1_3repE0EEENS1_38merge_mergepath_config_static_selectorELNS0_4arch9wavefront6targetE1EEEvSH_, .Lfunc_end515-_ZN7rocprim17ROCPRIM_400000_NS6detail17trampoline_kernelINS0_14default_configENS1_38merge_sort_block_merge_config_selectorIalEEZZNS1_27merge_sort_block_merge_implIS3_PaN6thrust23THRUST_200600_302600_NS10device_ptrIlEEjNS1_19radix_merge_compareILb0ELb0EaNS0_19identity_decomposerEEEEE10hipError_tT0_T1_T2_jT3_P12ihipStream_tbPNSt15iterator_traitsISG_E10value_typeEPNSM_ISH_E10value_typeEPSI_NS1_7vsmem_tEENKUlT_SG_SH_SI_E_clIS7_S7_SB_PlEESF_SV_SG_SH_SI_EUlSV_E0_NS1_11comp_targetILNS1_3genE2ELNS1_11target_archE906ELNS1_3gpuE6ELNS1_3repE0EEENS1_38merge_mergepath_config_static_selectorELNS0_4arch9wavefront6targetE1EEEvSH_
                                        ; -- End function
	.section	.AMDGPU.csdata,"",@progbits
; Kernel info:
; codeLenInByte = 0
; NumSgprs: 4
; NumVgprs: 0
; NumAgprs: 0
; TotalNumVgprs: 0
; ScratchSize: 0
; MemoryBound: 0
; FloatMode: 240
; IeeeMode: 1
; LDSByteSize: 0 bytes/workgroup (compile time only)
; SGPRBlocks: 0
; VGPRBlocks: 0
; NumSGPRsForWavesPerEU: 4
; NumVGPRsForWavesPerEU: 1
; AccumOffset: 4
; Occupancy: 8
; WaveLimiterHint : 0
; COMPUTE_PGM_RSRC2:SCRATCH_EN: 0
; COMPUTE_PGM_RSRC2:USER_SGPR: 6
; COMPUTE_PGM_RSRC2:TRAP_HANDLER: 0
; COMPUTE_PGM_RSRC2:TGID_X_EN: 1
; COMPUTE_PGM_RSRC2:TGID_Y_EN: 0
; COMPUTE_PGM_RSRC2:TGID_Z_EN: 0
; COMPUTE_PGM_RSRC2:TIDIG_COMP_CNT: 0
; COMPUTE_PGM_RSRC3_GFX90A:ACCUM_OFFSET: 0
; COMPUTE_PGM_RSRC3_GFX90A:TG_SPLIT: 0
	.section	.text._ZN7rocprim17ROCPRIM_400000_NS6detail17trampoline_kernelINS0_14default_configENS1_38merge_sort_block_merge_config_selectorIalEEZZNS1_27merge_sort_block_merge_implIS3_PaN6thrust23THRUST_200600_302600_NS10device_ptrIlEEjNS1_19radix_merge_compareILb0ELb0EaNS0_19identity_decomposerEEEEE10hipError_tT0_T1_T2_jT3_P12ihipStream_tbPNSt15iterator_traitsISG_E10value_typeEPNSM_ISH_E10value_typeEPSI_NS1_7vsmem_tEENKUlT_SG_SH_SI_E_clIS7_S7_SB_PlEESF_SV_SG_SH_SI_EUlSV_E0_NS1_11comp_targetILNS1_3genE9ELNS1_11target_archE1100ELNS1_3gpuE3ELNS1_3repE0EEENS1_38merge_mergepath_config_static_selectorELNS0_4arch9wavefront6targetE1EEEvSH_,"axG",@progbits,_ZN7rocprim17ROCPRIM_400000_NS6detail17trampoline_kernelINS0_14default_configENS1_38merge_sort_block_merge_config_selectorIalEEZZNS1_27merge_sort_block_merge_implIS3_PaN6thrust23THRUST_200600_302600_NS10device_ptrIlEEjNS1_19radix_merge_compareILb0ELb0EaNS0_19identity_decomposerEEEEE10hipError_tT0_T1_T2_jT3_P12ihipStream_tbPNSt15iterator_traitsISG_E10value_typeEPNSM_ISH_E10value_typeEPSI_NS1_7vsmem_tEENKUlT_SG_SH_SI_E_clIS7_S7_SB_PlEESF_SV_SG_SH_SI_EUlSV_E0_NS1_11comp_targetILNS1_3genE9ELNS1_11target_archE1100ELNS1_3gpuE3ELNS1_3repE0EEENS1_38merge_mergepath_config_static_selectorELNS0_4arch9wavefront6targetE1EEEvSH_,comdat
	.protected	_ZN7rocprim17ROCPRIM_400000_NS6detail17trampoline_kernelINS0_14default_configENS1_38merge_sort_block_merge_config_selectorIalEEZZNS1_27merge_sort_block_merge_implIS3_PaN6thrust23THRUST_200600_302600_NS10device_ptrIlEEjNS1_19radix_merge_compareILb0ELb0EaNS0_19identity_decomposerEEEEE10hipError_tT0_T1_T2_jT3_P12ihipStream_tbPNSt15iterator_traitsISG_E10value_typeEPNSM_ISH_E10value_typeEPSI_NS1_7vsmem_tEENKUlT_SG_SH_SI_E_clIS7_S7_SB_PlEESF_SV_SG_SH_SI_EUlSV_E0_NS1_11comp_targetILNS1_3genE9ELNS1_11target_archE1100ELNS1_3gpuE3ELNS1_3repE0EEENS1_38merge_mergepath_config_static_selectorELNS0_4arch9wavefront6targetE1EEEvSH_ ; -- Begin function _ZN7rocprim17ROCPRIM_400000_NS6detail17trampoline_kernelINS0_14default_configENS1_38merge_sort_block_merge_config_selectorIalEEZZNS1_27merge_sort_block_merge_implIS3_PaN6thrust23THRUST_200600_302600_NS10device_ptrIlEEjNS1_19radix_merge_compareILb0ELb0EaNS0_19identity_decomposerEEEEE10hipError_tT0_T1_T2_jT3_P12ihipStream_tbPNSt15iterator_traitsISG_E10value_typeEPNSM_ISH_E10value_typeEPSI_NS1_7vsmem_tEENKUlT_SG_SH_SI_E_clIS7_S7_SB_PlEESF_SV_SG_SH_SI_EUlSV_E0_NS1_11comp_targetILNS1_3genE9ELNS1_11target_archE1100ELNS1_3gpuE3ELNS1_3repE0EEENS1_38merge_mergepath_config_static_selectorELNS0_4arch9wavefront6targetE1EEEvSH_
	.globl	_ZN7rocprim17ROCPRIM_400000_NS6detail17trampoline_kernelINS0_14default_configENS1_38merge_sort_block_merge_config_selectorIalEEZZNS1_27merge_sort_block_merge_implIS3_PaN6thrust23THRUST_200600_302600_NS10device_ptrIlEEjNS1_19radix_merge_compareILb0ELb0EaNS0_19identity_decomposerEEEEE10hipError_tT0_T1_T2_jT3_P12ihipStream_tbPNSt15iterator_traitsISG_E10value_typeEPNSM_ISH_E10value_typeEPSI_NS1_7vsmem_tEENKUlT_SG_SH_SI_E_clIS7_S7_SB_PlEESF_SV_SG_SH_SI_EUlSV_E0_NS1_11comp_targetILNS1_3genE9ELNS1_11target_archE1100ELNS1_3gpuE3ELNS1_3repE0EEENS1_38merge_mergepath_config_static_selectorELNS0_4arch9wavefront6targetE1EEEvSH_
	.p2align	8
	.type	_ZN7rocprim17ROCPRIM_400000_NS6detail17trampoline_kernelINS0_14default_configENS1_38merge_sort_block_merge_config_selectorIalEEZZNS1_27merge_sort_block_merge_implIS3_PaN6thrust23THRUST_200600_302600_NS10device_ptrIlEEjNS1_19radix_merge_compareILb0ELb0EaNS0_19identity_decomposerEEEEE10hipError_tT0_T1_T2_jT3_P12ihipStream_tbPNSt15iterator_traitsISG_E10value_typeEPNSM_ISH_E10value_typeEPSI_NS1_7vsmem_tEENKUlT_SG_SH_SI_E_clIS7_S7_SB_PlEESF_SV_SG_SH_SI_EUlSV_E0_NS1_11comp_targetILNS1_3genE9ELNS1_11target_archE1100ELNS1_3gpuE3ELNS1_3repE0EEENS1_38merge_mergepath_config_static_selectorELNS0_4arch9wavefront6targetE1EEEvSH_,@function
_ZN7rocprim17ROCPRIM_400000_NS6detail17trampoline_kernelINS0_14default_configENS1_38merge_sort_block_merge_config_selectorIalEEZZNS1_27merge_sort_block_merge_implIS3_PaN6thrust23THRUST_200600_302600_NS10device_ptrIlEEjNS1_19radix_merge_compareILb0ELb0EaNS0_19identity_decomposerEEEEE10hipError_tT0_T1_T2_jT3_P12ihipStream_tbPNSt15iterator_traitsISG_E10value_typeEPNSM_ISH_E10value_typeEPSI_NS1_7vsmem_tEENKUlT_SG_SH_SI_E_clIS7_S7_SB_PlEESF_SV_SG_SH_SI_EUlSV_E0_NS1_11comp_targetILNS1_3genE9ELNS1_11target_archE1100ELNS1_3gpuE3ELNS1_3repE0EEENS1_38merge_mergepath_config_static_selectorELNS0_4arch9wavefront6targetE1EEEvSH_: ; @_ZN7rocprim17ROCPRIM_400000_NS6detail17trampoline_kernelINS0_14default_configENS1_38merge_sort_block_merge_config_selectorIalEEZZNS1_27merge_sort_block_merge_implIS3_PaN6thrust23THRUST_200600_302600_NS10device_ptrIlEEjNS1_19radix_merge_compareILb0ELb0EaNS0_19identity_decomposerEEEEE10hipError_tT0_T1_T2_jT3_P12ihipStream_tbPNSt15iterator_traitsISG_E10value_typeEPNSM_ISH_E10value_typeEPSI_NS1_7vsmem_tEENKUlT_SG_SH_SI_E_clIS7_S7_SB_PlEESF_SV_SG_SH_SI_EUlSV_E0_NS1_11comp_targetILNS1_3genE9ELNS1_11target_archE1100ELNS1_3gpuE3ELNS1_3repE0EEENS1_38merge_mergepath_config_static_selectorELNS0_4arch9wavefront6targetE1EEEvSH_
; %bb.0:
	.section	.rodata,"a",@progbits
	.p2align	6, 0x0
	.amdhsa_kernel _ZN7rocprim17ROCPRIM_400000_NS6detail17trampoline_kernelINS0_14default_configENS1_38merge_sort_block_merge_config_selectorIalEEZZNS1_27merge_sort_block_merge_implIS3_PaN6thrust23THRUST_200600_302600_NS10device_ptrIlEEjNS1_19radix_merge_compareILb0ELb0EaNS0_19identity_decomposerEEEEE10hipError_tT0_T1_T2_jT3_P12ihipStream_tbPNSt15iterator_traitsISG_E10value_typeEPNSM_ISH_E10value_typeEPSI_NS1_7vsmem_tEENKUlT_SG_SH_SI_E_clIS7_S7_SB_PlEESF_SV_SG_SH_SI_EUlSV_E0_NS1_11comp_targetILNS1_3genE9ELNS1_11target_archE1100ELNS1_3gpuE3ELNS1_3repE0EEENS1_38merge_mergepath_config_static_selectorELNS0_4arch9wavefront6targetE1EEEvSH_
		.amdhsa_group_segment_fixed_size 0
		.amdhsa_private_segment_fixed_size 0
		.amdhsa_kernarg_size 64
		.amdhsa_user_sgpr_count 6
		.amdhsa_user_sgpr_private_segment_buffer 1
		.amdhsa_user_sgpr_dispatch_ptr 0
		.amdhsa_user_sgpr_queue_ptr 0
		.amdhsa_user_sgpr_kernarg_segment_ptr 1
		.amdhsa_user_sgpr_dispatch_id 0
		.amdhsa_user_sgpr_flat_scratch_init 0
		.amdhsa_user_sgpr_kernarg_preload_length 0
		.amdhsa_user_sgpr_kernarg_preload_offset 0
		.amdhsa_user_sgpr_private_segment_size 0
		.amdhsa_uses_dynamic_stack 0
		.amdhsa_system_sgpr_private_segment_wavefront_offset 0
		.amdhsa_system_sgpr_workgroup_id_x 1
		.amdhsa_system_sgpr_workgroup_id_y 0
		.amdhsa_system_sgpr_workgroup_id_z 0
		.amdhsa_system_sgpr_workgroup_info 0
		.amdhsa_system_vgpr_workitem_id 0
		.amdhsa_next_free_vgpr 1
		.amdhsa_next_free_sgpr 0
		.amdhsa_accum_offset 4
		.amdhsa_reserve_vcc 0
		.amdhsa_reserve_flat_scratch 0
		.amdhsa_float_round_mode_32 0
		.amdhsa_float_round_mode_16_64 0
		.amdhsa_float_denorm_mode_32 3
		.amdhsa_float_denorm_mode_16_64 3
		.amdhsa_dx10_clamp 1
		.amdhsa_ieee_mode 1
		.amdhsa_fp16_overflow 0
		.amdhsa_tg_split 0
		.amdhsa_exception_fp_ieee_invalid_op 0
		.amdhsa_exception_fp_denorm_src 0
		.amdhsa_exception_fp_ieee_div_zero 0
		.amdhsa_exception_fp_ieee_overflow 0
		.amdhsa_exception_fp_ieee_underflow 0
		.amdhsa_exception_fp_ieee_inexact 0
		.amdhsa_exception_int_div_zero 0
	.end_amdhsa_kernel
	.section	.text._ZN7rocprim17ROCPRIM_400000_NS6detail17trampoline_kernelINS0_14default_configENS1_38merge_sort_block_merge_config_selectorIalEEZZNS1_27merge_sort_block_merge_implIS3_PaN6thrust23THRUST_200600_302600_NS10device_ptrIlEEjNS1_19radix_merge_compareILb0ELb0EaNS0_19identity_decomposerEEEEE10hipError_tT0_T1_T2_jT3_P12ihipStream_tbPNSt15iterator_traitsISG_E10value_typeEPNSM_ISH_E10value_typeEPSI_NS1_7vsmem_tEENKUlT_SG_SH_SI_E_clIS7_S7_SB_PlEESF_SV_SG_SH_SI_EUlSV_E0_NS1_11comp_targetILNS1_3genE9ELNS1_11target_archE1100ELNS1_3gpuE3ELNS1_3repE0EEENS1_38merge_mergepath_config_static_selectorELNS0_4arch9wavefront6targetE1EEEvSH_,"axG",@progbits,_ZN7rocprim17ROCPRIM_400000_NS6detail17trampoline_kernelINS0_14default_configENS1_38merge_sort_block_merge_config_selectorIalEEZZNS1_27merge_sort_block_merge_implIS3_PaN6thrust23THRUST_200600_302600_NS10device_ptrIlEEjNS1_19radix_merge_compareILb0ELb0EaNS0_19identity_decomposerEEEEE10hipError_tT0_T1_T2_jT3_P12ihipStream_tbPNSt15iterator_traitsISG_E10value_typeEPNSM_ISH_E10value_typeEPSI_NS1_7vsmem_tEENKUlT_SG_SH_SI_E_clIS7_S7_SB_PlEESF_SV_SG_SH_SI_EUlSV_E0_NS1_11comp_targetILNS1_3genE9ELNS1_11target_archE1100ELNS1_3gpuE3ELNS1_3repE0EEENS1_38merge_mergepath_config_static_selectorELNS0_4arch9wavefront6targetE1EEEvSH_,comdat
.Lfunc_end516:
	.size	_ZN7rocprim17ROCPRIM_400000_NS6detail17trampoline_kernelINS0_14default_configENS1_38merge_sort_block_merge_config_selectorIalEEZZNS1_27merge_sort_block_merge_implIS3_PaN6thrust23THRUST_200600_302600_NS10device_ptrIlEEjNS1_19radix_merge_compareILb0ELb0EaNS0_19identity_decomposerEEEEE10hipError_tT0_T1_T2_jT3_P12ihipStream_tbPNSt15iterator_traitsISG_E10value_typeEPNSM_ISH_E10value_typeEPSI_NS1_7vsmem_tEENKUlT_SG_SH_SI_E_clIS7_S7_SB_PlEESF_SV_SG_SH_SI_EUlSV_E0_NS1_11comp_targetILNS1_3genE9ELNS1_11target_archE1100ELNS1_3gpuE3ELNS1_3repE0EEENS1_38merge_mergepath_config_static_selectorELNS0_4arch9wavefront6targetE1EEEvSH_, .Lfunc_end516-_ZN7rocprim17ROCPRIM_400000_NS6detail17trampoline_kernelINS0_14default_configENS1_38merge_sort_block_merge_config_selectorIalEEZZNS1_27merge_sort_block_merge_implIS3_PaN6thrust23THRUST_200600_302600_NS10device_ptrIlEEjNS1_19radix_merge_compareILb0ELb0EaNS0_19identity_decomposerEEEEE10hipError_tT0_T1_T2_jT3_P12ihipStream_tbPNSt15iterator_traitsISG_E10value_typeEPNSM_ISH_E10value_typeEPSI_NS1_7vsmem_tEENKUlT_SG_SH_SI_E_clIS7_S7_SB_PlEESF_SV_SG_SH_SI_EUlSV_E0_NS1_11comp_targetILNS1_3genE9ELNS1_11target_archE1100ELNS1_3gpuE3ELNS1_3repE0EEENS1_38merge_mergepath_config_static_selectorELNS0_4arch9wavefront6targetE1EEEvSH_
                                        ; -- End function
	.section	.AMDGPU.csdata,"",@progbits
; Kernel info:
; codeLenInByte = 0
; NumSgprs: 4
; NumVgprs: 0
; NumAgprs: 0
; TotalNumVgprs: 0
; ScratchSize: 0
; MemoryBound: 0
; FloatMode: 240
; IeeeMode: 1
; LDSByteSize: 0 bytes/workgroup (compile time only)
; SGPRBlocks: 0
; VGPRBlocks: 0
; NumSGPRsForWavesPerEU: 4
; NumVGPRsForWavesPerEU: 1
; AccumOffset: 4
; Occupancy: 8
; WaveLimiterHint : 0
; COMPUTE_PGM_RSRC2:SCRATCH_EN: 0
; COMPUTE_PGM_RSRC2:USER_SGPR: 6
; COMPUTE_PGM_RSRC2:TRAP_HANDLER: 0
; COMPUTE_PGM_RSRC2:TGID_X_EN: 1
; COMPUTE_PGM_RSRC2:TGID_Y_EN: 0
; COMPUTE_PGM_RSRC2:TGID_Z_EN: 0
; COMPUTE_PGM_RSRC2:TIDIG_COMP_CNT: 0
; COMPUTE_PGM_RSRC3_GFX90A:ACCUM_OFFSET: 0
; COMPUTE_PGM_RSRC3_GFX90A:TG_SPLIT: 0
	.section	.text._ZN7rocprim17ROCPRIM_400000_NS6detail17trampoline_kernelINS0_14default_configENS1_38merge_sort_block_merge_config_selectorIalEEZZNS1_27merge_sort_block_merge_implIS3_PaN6thrust23THRUST_200600_302600_NS10device_ptrIlEEjNS1_19radix_merge_compareILb0ELb0EaNS0_19identity_decomposerEEEEE10hipError_tT0_T1_T2_jT3_P12ihipStream_tbPNSt15iterator_traitsISG_E10value_typeEPNSM_ISH_E10value_typeEPSI_NS1_7vsmem_tEENKUlT_SG_SH_SI_E_clIS7_S7_SB_PlEESF_SV_SG_SH_SI_EUlSV_E0_NS1_11comp_targetILNS1_3genE8ELNS1_11target_archE1030ELNS1_3gpuE2ELNS1_3repE0EEENS1_38merge_mergepath_config_static_selectorELNS0_4arch9wavefront6targetE1EEEvSH_,"axG",@progbits,_ZN7rocprim17ROCPRIM_400000_NS6detail17trampoline_kernelINS0_14default_configENS1_38merge_sort_block_merge_config_selectorIalEEZZNS1_27merge_sort_block_merge_implIS3_PaN6thrust23THRUST_200600_302600_NS10device_ptrIlEEjNS1_19radix_merge_compareILb0ELb0EaNS0_19identity_decomposerEEEEE10hipError_tT0_T1_T2_jT3_P12ihipStream_tbPNSt15iterator_traitsISG_E10value_typeEPNSM_ISH_E10value_typeEPSI_NS1_7vsmem_tEENKUlT_SG_SH_SI_E_clIS7_S7_SB_PlEESF_SV_SG_SH_SI_EUlSV_E0_NS1_11comp_targetILNS1_3genE8ELNS1_11target_archE1030ELNS1_3gpuE2ELNS1_3repE0EEENS1_38merge_mergepath_config_static_selectorELNS0_4arch9wavefront6targetE1EEEvSH_,comdat
	.protected	_ZN7rocprim17ROCPRIM_400000_NS6detail17trampoline_kernelINS0_14default_configENS1_38merge_sort_block_merge_config_selectorIalEEZZNS1_27merge_sort_block_merge_implIS3_PaN6thrust23THRUST_200600_302600_NS10device_ptrIlEEjNS1_19radix_merge_compareILb0ELb0EaNS0_19identity_decomposerEEEEE10hipError_tT0_T1_T2_jT3_P12ihipStream_tbPNSt15iterator_traitsISG_E10value_typeEPNSM_ISH_E10value_typeEPSI_NS1_7vsmem_tEENKUlT_SG_SH_SI_E_clIS7_S7_SB_PlEESF_SV_SG_SH_SI_EUlSV_E0_NS1_11comp_targetILNS1_3genE8ELNS1_11target_archE1030ELNS1_3gpuE2ELNS1_3repE0EEENS1_38merge_mergepath_config_static_selectorELNS0_4arch9wavefront6targetE1EEEvSH_ ; -- Begin function _ZN7rocprim17ROCPRIM_400000_NS6detail17trampoline_kernelINS0_14default_configENS1_38merge_sort_block_merge_config_selectorIalEEZZNS1_27merge_sort_block_merge_implIS3_PaN6thrust23THRUST_200600_302600_NS10device_ptrIlEEjNS1_19radix_merge_compareILb0ELb0EaNS0_19identity_decomposerEEEEE10hipError_tT0_T1_T2_jT3_P12ihipStream_tbPNSt15iterator_traitsISG_E10value_typeEPNSM_ISH_E10value_typeEPSI_NS1_7vsmem_tEENKUlT_SG_SH_SI_E_clIS7_S7_SB_PlEESF_SV_SG_SH_SI_EUlSV_E0_NS1_11comp_targetILNS1_3genE8ELNS1_11target_archE1030ELNS1_3gpuE2ELNS1_3repE0EEENS1_38merge_mergepath_config_static_selectorELNS0_4arch9wavefront6targetE1EEEvSH_
	.globl	_ZN7rocprim17ROCPRIM_400000_NS6detail17trampoline_kernelINS0_14default_configENS1_38merge_sort_block_merge_config_selectorIalEEZZNS1_27merge_sort_block_merge_implIS3_PaN6thrust23THRUST_200600_302600_NS10device_ptrIlEEjNS1_19radix_merge_compareILb0ELb0EaNS0_19identity_decomposerEEEEE10hipError_tT0_T1_T2_jT3_P12ihipStream_tbPNSt15iterator_traitsISG_E10value_typeEPNSM_ISH_E10value_typeEPSI_NS1_7vsmem_tEENKUlT_SG_SH_SI_E_clIS7_S7_SB_PlEESF_SV_SG_SH_SI_EUlSV_E0_NS1_11comp_targetILNS1_3genE8ELNS1_11target_archE1030ELNS1_3gpuE2ELNS1_3repE0EEENS1_38merge_mergepath_config_static_selectorELNS0_4arch9wavefront6targetE1EEEvSH_
	.p2align	8
	.type	_ZN7rocprim17ROCPRIM_400000_NS6detail17trampoline_kernelINS0_14default_configENS1_38merge_sort_block_merge_config_selectorIalEEZZNS1_27merge_sort_block_merge_implIS3_PaN6thrust23THRUST_200600_302600_NS10device_ptrIlEEjNS1_19radix_merge_compareILb0ELb0EaNS0_19identity_decomposerEEEEE10hipError_tT0_T1_T2_jT3_P12ihipStream_tbPNSt15iterator_traitsISG_E10value_typeEPNSM_ISH_E10value_typeEPSI_NS1_7vsmem_tEENKUlT_SG_SH_SI_E_clIS7_S7_SB_PlEESF_SV_SG_SH_SI_EUlSV_E0_NS1_11comp_targetILNS1_3genE8ELNS1_11target_archE1030ELNS1_3gpuE2ELNS1_3repE0EEENS1_38merge_mergepath_config_static_selectorELNS0_4arch9wavefront6targetE1EEEvSH_,@function
_ZN7rocprim17ROCPRIM_400000_NS6detail17trampoline_kernelINS0_14default_configENS1_38merge_sort_block_merge_config_selectorIalEEZZNS1_27merge_sort_block_merge_implIS3_PaN6thrust23THRUST_200600_302600_NS10device_ptrIlEEjNS1_19radix_merge_compareILb0ELb0EaNS0_19identity_decomposerEEEEE10hipError_tT0_T1_T2_jT3_P12ihipStream_tbPNSt15iterator_traitsISG_E10value_typeEPNSM_ISH_E10value_typeEPSI_NS1_7vsmem_tEENKUlT_SG_SH_SI_E_clIS7_S7_SB_PlEESF_SV_SG_SH_SI_EUlSV_E0_NS1_11comp_targetILNS1_3genE8ELNS1_11target_archE1030ELNS1_3gpuE2ELNS1_3repE0EEENS1_38merge_mergepath_config_static_selectorELNS0_4arch9wavefront6targetE1EEEvSH_: ; @_ZN7rocprim17ROCPRIM_400000_NS6detail17trampoline_kernelINS0_14default_configENS1_38merge_sort_block_merge_config_selectorIalEEZZNS1_27merge_sort_block_merge_implIS3_PaN6thrust23THRUST_200600_302600_NS10device_ptrIlEEjNS1_19radix_merge_compareILb0ELb0EaNS0_19identity_decomposerEEEEE10hipError_tT0_T1_T2_jT3_P12ihipStream_tbPNSt15iterator_traitsISG_E10value_typeEPNSM_ISH_E10value_typeEPSI_NS1_7vsmem_tEENKUlT_SG_SH_SI_E_clIS7_S7_SB_PlEESF_SV_SG_SH_SI_EUlSV_E0_NS1_11comp_targetILNS1_3genE8ELNS1_11target_archE1030ELNS1_3gpuE2ELNS1_3repE0EEENS1_38merge_mergepath_config_static_selectorELNS0_4arch9wavefront6targetE1EEEvSH_
; %bb.0:
	.section	.rodata,"a",@progbits
	.p2align	6, 0x0
	.amdhsa_kernel _ZN7rocprim17ROCPRIM_400000_NS6detail17trampoline_kernelINS0_14default_configENS1_38merge_sort_block_merge_config_selectorIalEEZZNS1_27merge_sort_block_merge_implIS3_PaN6thrust23THRUST_200600_302600_NS10device_ptrIlEEjNS1_19radix_merge_compareILb0ELb0EaNS0_19identity_decomposerEEEEE10hipError_tT0_T1_T2_jT3_P12ihipStream_tbPNSt15iterator_traitsISG_E10value_typeEPNSM_ISH_E10value_typeEPSI_NS1_7vsmem_tEENKUlT_SG_SH_SI_E_clIS7_S7_SB_PlEESF_SV_SG_SH_SI_EUlSV_E0_NS1_11comp_targetILNS1_3genE8ELNS1_11target_archE1030ELNS1_3gpuE2ELNS1_3repE0EEENS1_38merge_mergepath_config_static_selectorELNS0_4arch9wavefront6targetE1EEEvSH_
		.amdhsa_group_segment_fixed_size 0
		.amdhsa_private_segment_fixed_size 0
		.amdhsa_kernarg_size 64
		.amdhsa_user_sgpr_count 6
		.amdhsa_user_sgpr_private_segment_buffer 1
		.amdhsa_user_sgpr_dispatch_ptr 0
		.amdhsa_user_sgpr_queue_ptr 0
		.amdhsa_user_sgpr_kernarg_segment_ptr 1
		.amdhsa_user_sgpr_dispatch_id 0
		.amdhsa_user_sgpr_flat_scratch_init 0
		.amdhsa_user_sgpr_kernarg_preload_length 0
		.amdhsa_user_sgpr_kernarg_preload_offset 0
		.amdhsa_user_sgpr_private_segment_size 0
		.amdhsa_uses_dynamic_stack 0
		.amdhsa_system_sgpr_private_segment_wavefront_offset 0
		.amdhsa_system_sgpr_workgroup_id_x 1
		.amdhsa_system_sgpr_workgroup_id_y 0
		.amdhsa_system_sgpr_workgroup_id_z 0
		.amdhsa_system_sgpr_workgroup_info 0
		.amdhsa_system_vgpr_workitem_id 0
		.amdhsa_next_free_vgpr 1
		.amdhsa_next_free_sgpr 0
		.amdhsa_accum_offset 4
		.amdhsa_reserve_vcc 0
		.amdhsa_reserve_flat_scratch 0
		.amdhsa_float_round_mode_32 0
		.amdhsa_float_round_mode_16_64 0
		.amdhsa_float_denorm_mode_32 3
		.amdhsa_float_denorm_mode_16_64 3
		.amdhsa_dx10_clamp 1
		.amdhsa_ieee_mode 1
		.amdhsa_fp16_overflow 0
		.amdhsa_tg_split 0
		.amdhsa_exception_fp_ieee_invalid_op 0
		.amdhsa_exception_fp_denorm_src 0
		.amdhsa_exception_fp_ieee_div_zero 0
		.amdhsa_exception_fp_ieee_overflow 0
		.amdhsa_exception_fp_ieee_underflow 0
		.amdhsa_exception_fp_ieee_inexact 0
		.amdhsa_exception_int_div_zero 0
	.end_amdhsa_kernel
	.section	.text._ZN7rocprim17ROCPRIM_400000_NS6detail17trampoline_kernelINS0_14default_configENS1_38merge_sort_block_merge_config_selectorIalEEZZNS1_27merge_sort_block_merge_implIS3_PaN6thrust23THRUST_200600_302600_NS10device_ptrIlEEjNS1_19radix_merge_compareILb0ELb0EaNS0_19identity_decomposerEEEEE10hipError_tT0_T1_T2_jT3_P12ihipStream_tbPNSt15iterator_traitsISG_E10value_typeEPNSM_ISH_E10value_typeEPSI_NS1_7vsmem_tEENKUlT_SG_SH_SI_E_clIS7_S7_SB_PlEESF_SV_SG_SH_SI_EUlSV_E0_NS1_11comp_targetILNS1_3genE8ELNS1_11target_archE1030ELNS1_3gpuE2ELNS1_3repE0EEENS1_38merge_mergepath_config_static_selectorELNS0_4arch9wavefront6targetE1EEEvSH_,"axG",@progbits,_ZN7rocprim17ROCPRIM_400000_NS6detail17trampoline_kernelINS0_14default_configENS1_38merge_sort_block_merge_config_selectorIalEEZZNS1_27merge_sort_block_merge_implIS3_PaN6thrust23THRUST_200600_302600_NS10device_ptrIlEEjNS1_19radix_merge_compareILb0ELb0EaNS0_19identity_decomposerEEEEE10hipError_tT0_T1_T2_jT3_P12ihipStream_tbPNSt15iterator_traitsISG_E10value_typeEPNSM_ISH_E10value_typeEPSI_NS1_7vsmem_tEENKUlT_SG_SH_SI_E_clIS7_S7_SB_PlEESF_SV_SG_SH_SI_EUlSV_E0_NS1_11comp_targetILNS1_3genE8ELNS1_11target_archE1030ELNS1_3gpuE2ELNS1_3repE0EEENS1_38merge_mergepath_config_static_selectorELNS0_4arch9wavefront6targetE1EEEvSH_,comdat
.Lfunc_end517:
	.size	_ZN7rocprim17ROCPRIM_400000_NS6detail17trampoline_kernelINS0_14default_configENS1_38merge_sort_block_merge_config_selectorIalEEZZNS1_27merge_sort_block_merge_implIS3_PaN6thrust23THRUST_200600_302600_NS10device_ptrIlEEjNS1_19radix_merge_compareILb0ELb0EaNS0_19identity_decomposerEEEEE10hipError_tT0_T1_T2_jT3_P12ihipStream_tbPNSt15iterator_traitsISG_E10value_typeEPNSM_ISH_E10value_typeEPSI_NS1_7vsmem_tEENKUlT_SG_SH_SI_E_clIS7_S7_SB_PlEESF_SV_SG_SH_SI_EUlSV_E0_NS1_11comp_targetILNS1_3genE8ELNS1_11target_archE1030ELNS1_3gpuE2ELNS1_3repE0EEENS1_38merge_mergepath_config_static_selectorELNS0_4arch9wavefront6targetE1EEEvSH_, .Lfunc_end517-_ZN7rocprim17ROCPRIM_400000_NS6detail17trampoline_kernelINS0_14default_configENS1_38merge_sort_block_merge_config_selectorIalEEZZNS1_27merge_sort_block_merge_implIS3_PaN6thrust23THRUST_200600_302600_NS10device_ptrIlEEjNS1_19radix_merge_compareILb0ELb0EaNS0_19identity_decomposerEEEEE10hipError_tT0_T1_T2_jT3_P12ihipStream_tbPNSt15iterator_traitsISG_E10value_typeEPNSM_ISH_E10value_typeEPSI_NS1_7vsmem_tEENKUlT_SG_SH_SI_E_clIS7_S7_SB_PlEESF_SV_SG_SH_SI_EUlSV_E0_NS1_11comp_targetILNS1_3genE8ELNS1_11target_archE1030ELNS1_3gpuE2ELNS1_3repE0EEENS1_38merge_mergepath_config_static_selectorELNS0_4arch9wavefront6targetE1EEEvSH_
                                        ; -- End function
	.section	.AMDGPU.csdata,"",@progbits
; Kernel info:
; codeLenInByte = 0
; NumSgprs: 4
; NumVgprs: 0
; NumAgprs: 0
; TotalNumVgprs: 0
; ScratchSize: 0
; MemoryBound: 0
; FloatMode: 240
; IeeeMode: 1
; LDSByteSize: 0 bytes/workgroup (compile time only)
; SGPRBlocks: 0
; VGPRBlocks: 0
; NumSGPRsForWavesPerEU: 4
; NumVGPRsForWavesPerEU: 1
; AccumOffset: 4
; Occupancy: 8
; WaveLimiterHint : 0
; COMPUTE_PGM_RSRC2:SCRATCH_EN: 0
; COMPUTE_PGM_RSRC2:USER_SGPR: 6
; COMPUTE_PGM_RSRC2:TRAP_HANDLER: 0
; COMPUTE_PGM_RSRC2:TGID_X_EN: 1
; COMPUTE_PGM_RSRC2:TGID_Y_EN: 0
; COMPUTE_PGM_RSRC2:TGID_Z_EN: 0
; COMPUTE_PGM_RSRC2:TIDIG_COMP_CNT: 0
; COMPUTE_PGM_RSRC3_GFX90A:ACCUM_OFFSET: 0
; COMPUTE_PGM_RSRC3_GFX90A:TG_SPLIT: 0
	.section	.text._ZN7rocprim17ROCPRIM_400000_NS6detail17trampoline_kernelINS0_14default_configENS1_38merge_sort_block_merge_config_selectorIalEEZZNS1_27merge_sort_block_merge_implIS3_PaN6thrust23THRUST_200600_302600_NS10device_ptrIlEEjNS1_19radix_merge_compareILb0ELb0EaNS0_19identity_decomposerEEEEE10hipError_tT0_T1_T2_jT3_P12ihipStream_tbPNSt15iterator_traitsISG_E10value_typeEPNSM_ISH_E10value_typeEPSI_NS1_7vsmem_tEENKUlT_SG_SH_SI_E_clIS7_S7_SB_PlEESF_SV_SG_SH_SI_EUlSV_E1_NS1_11comp_targetILNS1_3genE0ELNS1_11target_archE4294967295ELNS1_3gpuE0ELNS1_3repE0EEENS1_36merge_oddeven_config_static_selectorELNS0_4arch9wavefront6targetE1EEEvSH_,"axG",@progbits,_ZN7rocprim17ROCPRIM_400000_NS6detail17trampoline_kernelINS0_14default_configENS1_38merge_sort_block_merge_config_selectorIalEEZZNS1_27merge_sort_block_merge_implIS3_PaN6thrust23THRUST_200600_302600_NS10device_ptrIlEEjNS1_19radix_merge_compareILb0ELb0EaNS0_19identity_decomposerEEEEE10hipError_tT0_T1_T2_jT3_P12ihipStream_tbPNSt15iterator_traitsISG_E10value_typeEPNSM_ISH_E10value_typeEPSI_NS1_7vsmem_tEENKUlT_SG_SH_SI_E_clIS7_S7_SB_PlEESF_SV_SG_SH_SI_EUlSV_E1_NS1_11comp_targetILNS1_3genE0ELNS1_11target_archE4294967295ELNS1_3gpuE0ELNS1_3repE0EEENS1_36merge_oddeven_config_static_selectorELNS0_4arch9wavefront6targetE1EEEvSH_,comdat
	.protected	_ZN7rocprim17ROCPRIM_400000_NS6detail17trampoline_kernelINS0_14default_configENS1_38merge_sort_block_merge_config_selectorIalEEZZNS1_27merge_sort_block_merge_implIS3_PaN6thrust23THRUST_200600_302600_NS10device_ptrIlEEjNS1_19radix_merge_compareILb0ELb0EaNS0_19identity_decomposerEEEEE10hipError_tT0_T1_T2_jT3_P12ihipStream_tbPNSt15iterator_traitsISG_E10value_typeEPNSM_ISH_E10value_typeEPSI_NS1_7vsmem_tEENKUlT_SG_SH_SI_E_clIS7_S7_SB_PlEESF_SV_SG_SH_SI_EUlSV_E1_NS1_11comp_targetILNS1_3genE0ELNS1_11target_archE4294967295ELNS1_3gpuE0ELNS1_3repE0EEENS1_36merge_oddeven_config_static_selectorELNS0_4arch9wavefront6targetE1EEEvSH_ ; -- Begin function _ZN7rocprim17ROCPRIM_400000_NS6detail17trampoline_kernelINS0_14default_configENS1_38merge_sort_block_merge_config_selectorIalEEZZNS1_27merge_sort_block_merge_implIS3_PaN6thrust23THRUST_200600_302600_NS10device_ptrIlEEjNS1_19radix_merge_compareILb0ELb0EaNS0_19identity_decomposerEEEEE10hipError_tT0_T1_T2_jT3_P12ihipStream_tbPNSt15iterator_traitsISG_E10value_typeEPNSM_ISH_E10value_typeEPSI_NS1_7vsmem_tEENKUlT_SG_SH_SI_E_clIS7_S7_SB_PlEESF_SV_SG_SH_SI_EUlSV_E1_NS1_11comp_targetILNS1_3genE0ELNS1_11target_archE4294967295ELNS1_3gpuE0ELNS1_3repE0EEENS1_36merge_oddeven_config_static_selectorELNS0_4arch9wavefront6targetE1EEEvSH_
	.globl	_ZN7rocprim17ROCPRIM_400000_NS6detail17trampoline_kernelINS0_14default_configENS1_38merge_sort_block_merge_config_selectorIalEEZZNS1_27merge_sort_block_merge_implIS3_PaN6thrust23THRUST_200600_302600_NS10device_ptrIlEEjNS1_19radix_merge_compareILb0ELb0EaNS0_19identity_decomposerEEEEE10hipError_tT0_T1_T2_jT3_P12ihipStream_tbPNSt15iterator_traitsISG_E10value_typeEPNSM_ISH_E10value_typeEPSI_NS1_7vsmem_tEENKUlT_SG_SH_SI_E_clIS7_S7_SB_PlEESF_SV_SG_SH_SI_EUlSV_E1_NS1_11comp_targetILNS1_3genE0ELNS1_11target_archE4294967295ELNS1_3gpuE0ELNS1_3repE0EEENS1_36merge_oddeven_config_static_selectorELNS0_4arch9wavefront6targetE1EEEvSH_
	.p2align	8
	.type	_ZN7rocprim17ROCPRIM_400000_NS6detail17trampoline_kernelINS0_14default_configENS1_38merge_sort_block_merge_config_selectorIalEEZZNS1_27merge_sort_block_merge_implIS3_PaN6thrust23THRUST_200600_302600_NS10device_ptrIlEEjNS1_19radix_merge_compareILb0ELb0EaNS0_19identity_decomposerEEEEE10hipError_tT0_T1_T2_jT3_P12ihipStream_tbPNSt15iterator_traitsISG_E10value_typeEPNSM_ISH_E10value_typeEPSI_NS1_7vsmem_tEENKUlT_SG_SH_SI_E_clIS7_S7_SB_PlEESF_SV_SG_SH_SI_EUlSV_E1_NS1_11comp_targetILNS1_3genE0ELNS1_11target_archE4294967295ELNS1_3gpuE0ELNS1_3repE0EEENS1_36merge_oddeven_config_static_selectorELNS0_4arch9wavefront6targetE1EEEvSH_,@function
_ZN7rocprim17ROCPRIM_400000_NS6detail17trampoline_kernelINS0_14default_configENS1_38merge_sort_block_merge_config_selectorIalEEZZNS1_27merge_sort_block_merge_implIS3_PaN6thrust23THRUST_200600_302600_NS10device_ptrIlEEjNS1_19radix_merge_compareILb0ELb0EaNS0_19identity_decomposerEEEEE10hipError_tT0_T1_T2_jT3_P12ihipStream_tbPNSt15iterator_traitsISG_E10value_typeEPNSM_ISH_E10value_typeEPSI_NS1_7vsmem_tEENKUlT_SG_SH_SI_E_clIS7_S7_SB_PlEESF_SV_SG_SH_SI_EUlSV_E1_NS1_11comp_targetILNS1_3genE0ELNS1_11target_archE4294967295ELNS1_3gpuE0ELNS1_3repE0EEENS1_36merge_oddeven_config_static_selectorELNS0_4arch9wavefront6targetE1EEEvSH_: ; @_ZN7rocprim17ROCPRIM_400000_NS6detail17trampoline_kernelINS0_14default_configENS1_38merge_sort_block_merge_config_selectorIalEEZZNS1_27merge_sort_block_merge_implIS3_PaN6thrust23THRUST_200600_302600_NS10device_ptrIlEEjNS1_19radix_merge_compareILb0ELb0EaNS0_19identity_decomposerEEEEE10hipError_tT0_T1_T2_jT3_P12ihipStream_tbPNSt15iterator_traitsISG_E10value_typeEPNSM_ISH_E10value_typeEPSI_NS1_7vsmem_tEENKUlT_SG_SH_SI_E_clIS7_S7_SB_PlEESF_SV_SG_SH_SI_EUlSV_E1_NS1_11comp_targetILNS1_3genE0ELNS1_11target_archE4294967295ELNS1_3gpuE0ELNS1_3repE0EEENS1_36merge_oddeven_config_static_selectorELNS0_4arch9wavefront6targetE1EEEvSH_
; %bb.0:
	.section	.rodata,"a",@progbits
	.p2align	6, 0x0
	.amdhsa_kernel _ZN7rocprim17ROCPRIM_400000_NS6detail17trampoline_kernelINS0_14default_configENS1_38merge_sort_block_merge_config_selectorIalEEZZNS1_27merge_sort_block_merge_implIS3_PaN6thrust23THRUST_200600_302600_NS10device_ptrIlEEjNS1_19radix_merge_compareILb0ELb0EaNS0_19identity_decomposerEEEEE10hipError_tT0_T1_T2_jT3_P12ihipStream_tbPNSt15iterator_traitsISG_E10value_typeEPNSM_ISH_E10value_typeEPSI_NS1_7vsmem_tEENKUlT_SG_SH_SI_E_clIS7_S7_SB_PlEESF_SV_SG_SH_SI_EUlSV_E1_NS1_11comp_targetILNS1_3genE0ELNS1_11target_archE4294967295ELNS1_3gpuE0ELNS1_3repE0EEENS1_36merge_oddeven_config_static_selectorELNS0_4arch9wavefront6targetE1EEEvSH_
		.amdhsa_group_segment_fixed_size 0
		.amdhsa_private_segment_fixed_size 0
		.amdhsa_kernarg_size 48
		.amdhsa_user_sgpr_count 6
		.amdhsa_user_sgpr_private_segment_buffer 1
		.amdhsa_user_sgpr_dispatch_ptr 0
		.amdhsa_user_sgpr_queue_ptr 0
		.amdhsa_user_sgpr_kernarg_segment_ptr 1
		.amdhsa_user_sgpr_dispatch_id 0
		.amdhsa_user_sgpr_flat_scratch_init 0
		.amdhsa_user_sgpr_kernarg_preload_length 0
		.amdhsa_user_sgpr_kernarg_preload_offset 0
		.amdhsa_user_sgpr_private_segment_size 0
		.amdhsa_uses_dynamic_stack 0
		.amdhsa_system_sgpr_private_segment_wavefront_offset 0
		.amdhsa_system_sgpr_workgroup_id_x 1
		.amdhsa_system_sgpr_workgroup_id_y 0
		.amdhsa_system_sgpr_workgroup_id_z 0
		.amdhsa_system_sgpr_workgroup_info 0
		.amdhsa_system_vgpr_workitem_id 0
		.amdhsa_next_free_vgpr 1
		.amdhsa_next_free_sgpr 0
		.amdhsa_accum_offset 4
		.amdhsa_reserve_vcc 0
		.amdhsa_reserve_flat_scratch 0
		.amdhsa_float_round_mode_32 0
		.amdhsa_float_round_mode_16_64 0
		.amdhsa_float_denorm_mode_32 3
		.amdhsa_float_denorm_mode_16_64 3
		.amdhsa_dx10_clamp 1
		.amdhsa_ieee_mode 1
		.amdhsa_fp16_overflow 0
		.amdhsa_tg_split 0
		.amdhsa_exception_fp_ieee_invalid_op 0
		.amdhsa_exception_fp_denorm_src 0
		.amdhsa_exception_fp_ieee_div_zero 0
		.amdhsa_exception_fp_ieee_overflow 0
		.amdhsa_exception_fp_ieee_underflow 0
		.amdhsa_exception_fp_ieee_inexact 0
		.amdhsa_exception_int_div_zero 0
	.end_amdhsa_kernel
	.section	.text._ZN7rocprim17ROCPRIM_400000_NS6detail17trampoline_kernelINS0_14default_configENS1_38merge_sort_block_merge_config_selectorIalEEZZNS1_27merge_sort_block_merge_implIS3_PaN6thrust23THRUST_200600_302600_NS10device_ptrIlEEjNS1_19radix_merge_compareILb0ELb0EaNS0_19identity_decomposerEEEEE10hipError_tT0_T1_T2_jT3_P12ihipStream_tbPNSt15iterator_traitsISG_E10value_typeEPNSM_ISH_E10value_typeEPSI_NS1_7vsmem_tEENKUlT_SG_SH_SI_E_clIS7_S7_SB_PlEESF_SV_SG_SH_SI_EUlSV_E1_NS1_11comp_targetILNS1_3genE0ELNS1_11target_archE4294967295ELNS1_3gpuE0ELNS1_3repE0EEENS1_36merge_oddeven_config_static_selectorELNS0_4arch9wavefront6targetE1EEEvSH_,"axG",@progbits,_ZN7rocprim17ROCPRIM_400000_NS6detail17trampoline_kernelINS0_14default_configENS1_38merge_sort_block_merge_config_selectorIalEEZZNS1_27merge_sort_block_merge_implIS3_PaN6thrust23THRUST_200600_302600_NS10device_ptrIlEEjNS1_19radix_merge_compareILb0ELb0EaNS0_19identity_decomposerEEEEE10hipError_tT0_T1_T2_jT3_P12ihipStream_tbPNSt15iterator_traitsISG_E10value_typeEPNSM_ISH_E10value_typeEPSI_NS1_7vsmem_tEENKUlT_SG_SH_SI_E_clIS7_S7_SB_PlEESF_SV_SG_SH_SI_EUlSV_E1_NS1_11comp_targetILNS1_3genE0ELNS1_11target_archE4294967295ELNS1_3gpuE0ELNS1_3repE0EEENS1_36merge_oddeven_config_static_selectorELNS0_4arch9wavefront6targetE1EEEvSH_,comdat
.Lfunc_end518:
	.size	_ZN7rocprim17ROCPRIM_400000_NS6detail17trampoline_kernelINS0_14default_configENS1_38merge_sort_block_merge_config_selectorIalEEZZNS1_27merge_sort_block_merge_implIS3_PaN6thrust23THRUST_200600_302600_NS10device_ptrIlEEjNS1_19radix_merge_compareILb0ELb0EaNS0_19identity_decomposerEEEEE10hipError_tT0_T1_T2_jT3_P12ihipStream_tbPNSt15iterator_traitsISG_E10value_typeEPNSM_ISH_E10value_typeEPSI_NS1_7vsmem_tEENKUlT_SG_SH_SI_E_clIS7_S7_SB_PlEESF_SV_SG_SH_SI_EUlSV_E1_NS1_11comp_targetILNS1_3genE0ELNS1_11target_archE4294967295ELNS1_3gpuE0ELNS1_3repE0EEENS1_36merge_oddeven_config_static_selectorELNS0_4arch9wavefront6targetE1EEEvSH_, .Lfunc_end518-_ZN7rocprim17ROCPRIM_400000_NS6detail17trampoline_kernelINS0_14default_configENS1_38merge_sort_block_merge_config_selectorIalEEZZNS1_27merge_sort_block_merge_implIS3_PaN6thrust23THRUST_200600_302600_NS10device_ptrIlEEjNS1_19radix_merge_compareILb0ELb0EaNS0_19identity_decomposerEEEEE10hipError_tT0_T1_T2_jT3_P12ihipStream_tbPNSt15iterator_traitsISG_E10value_typeEPNSM_ISH_E10value_typeEPSI_NS1_7vsmem_tEENKUlT_SG_SH_SI_E_clIS7_S7_SB_PlEESF_SV_SG_SH_SI_EUlSV_E1_NS1_11comp_targetILNS1_3genE0ELNS1_11target_archE4294967295ELNS1_3gpuE0ELNS1_3repE0EEENS1_36merge_oddeven_config_static_selectorELNS0_4arch9wavefront6targetE1EEEvSH_
                                        ; -- End function
	.section	.AMDGPU.csdata,"",@progbits
; Kernel info:
; codeLenInByte = 0
; NumSgprs: 4
; NumVgprs: 0
; NumAgprs: 0
; TotalNumVgprs: 0
; ScratchSize: 0
; MemoryBound: 0
; FloatMode: 240
; IeeeMode: 1
; LDSByteSize: 0 bytes/workgroup (compile time only)
; SGPRBlocks: 0
; VGPRBlocks: 0
; NumSGPRsForWavesPerEU: 4
; NumVGPRsForWavesPerEU: 1
; AccumOffset: 4
; Occupancy: 8
; WaveLimiterHint : 0
; COMPUTE_PGM_RSRC2:SCRATCH_EN: 0
; COMPUTE_PGM_RSRC2:USER_SGPR: 6
; COMPUTE_PGM_RSRC2:TRAP_HANDLER: 0
; COMPUTE_PGM_RSRC2:TGID_X_EN: 1
; COMPUTE_PGM_RSRC2:TGID_Y_EN: 0
; COMPUTE_PGM_RSRC2:TGID_Z_EN: 0
; COMPUTE_PGM_RSRC2:TIDIG_COMP_CNT: 0
; COMPUTE_PGM_RSRC3_GFX90A:ACCUM_OFFSET: 0
; COMPUTE_PGM_RSRC3_GFX90A:TG_SPLIT: 0
	.section	.text._ZN7rocprim17ROCPRIM_400000_NS6detail17trampoline_kernelINS0_14default_configENS1_38merge_sort_block_merge_config_selectorIalEEZZNS1_27merge_sort_block_merge_implIS3_PaN6thrust23THRUST_200600_302600_NS10device_ptrIlEEjNS1_19radix_merge_compareILb0ELb0EaNS0_19identity_decomposerEEEEE10hipError_tT0_T1_T2_jT3_P12ihipStream_tbPNSt15iterator_traitsISG_E10value_typeEPNSM_ISH_E10value_typeEPSI_NS1_7vsmem_tEENKUlT_SG_SH_SI_E_clIS7_S7_SB_PlEESF_SV_SG_SH_SI_EUlSV_E1_NS1_11comp_targetILNS1_3genE10ELNS1_11target_archE1201ELNS1_3gpuE5ELNS1_3repE0EEENS1_36merge_oddeven_config_static_selectorELNS0_4arch9wavefront6targetE1EEEvSH_,"axG",@progbits,_ZN7rocprim17ROCPRIM_400000_NS6detail17trampoline_kernelINS0_14default_configENS1_38merge_sort_block_merge_config_selectorIalEEZZNS1_27merge_sort_block_merge_implIS3_PaN6thrust23THRUST_200600_302600_NS10device_ptrIlEEjNS1_19radix_merge_compareILb0ELb0EaNS0_19identity_decomposerEEEEE10hipError_tT0_T1_T2_jT3_P12ihipStream_tbPNSt15iterator_traitsISG_E10value_typeEPNSM_ISH_E10value_typeEPSI_NS1_7vsmem_tEENKUlT_SG_SH_SI_E_clIS7_S7_SB_PlEESF_SV_SG_SH_SI_EUlSV_E1_NS1_11comp_targetILNS1_3genE10ELNS1_11target_archE1201ELNS1_3gpuE5ELNS1_3repE0EEENS1_36merge_oddeven_config_static_selectorELNS0_4arch9wavefront6targetE1EEEvSH_,comdat
	.protected	_ZN7rocprim17ROCPRIM_400000_NS6detail17trampoline_kernelINS0_14default_configENS1_38merge_sort_block_merge_config_selectorIalEEZZNS1_27merge_sort_block_merge_implIS3_PaN6thrust23THRUST_200600_302600_NS10device_ptrIlEEjNS1_19radix_merge_compareILb0ELb0EaNS0_19identity_decomposerEEEEE10hipError_tT0_T1_T2_jT3_P12ihipStream_tbPNSt15iterator_traitsISG_E10value_typeEPNSM_ISH_E10value_typeEPSI_NS1_7vsmem_tEENKUlT_SG_SH_SI_E_clIS7_S7_SB_PlEESF_SV_SG_SH_SI_EUlSV_E1_NS1_11comp_targetILNS1_3genE10ELNS1_11target_archE1201ELNS1_3gpuE5ELNS1_3repE0EEENS1_36merge_oddeven_config_static_selectorELNS0_4arch9wavefront6targetE1EEEvSH_ ; -- Begin function _ZN7rocprim17ROCPRIM_400000_NS6detail17trampoline_kernelINS0_14default_configENS1_38merge_sort_block_merge_config_selectorIalEEZZNS1_27merge_sort_block_merge_implIS3_PaN6thrust23THRUST_200600_302600_NS10device_ptrIlEEjNS1_19radix_merge_compareILb0ELb0EaNS0_19identity_decomposerEEEEE10hipError_tT0_T1_T2_jT3_P12ihipStream_tbPNSt15iterator_traitsISG_E10value_typeEPNSM_ISH_E10value_typeEPSI_NS1_7vsmem_tEENKUlT_SG_SH_SI_E_clIS7_S7_SB_PlEESF_SV_SG_SH_SI_EUlSV_E1_NS1_11comp_targetILNS1_3genE10ELNS1_11target_archE1201ELNS1_3gpuE5ELNS1_3repE0EEENS1_36merge_oddeven_config_static_selectorELNS0_4arch9wavefront6targetE1EEEvSH_
	.globl	_ZN7rocprim17ROCPRIM_400000_NS6detail17trampoline_kernelINS0_14default_configENS1_38merge_sort_block_merge_config_selectorIalEEZZNS1_27merge_sort_block_merge_implIS3_PaN6thrust23THRUST_200600_302600_NS10device_ptrIlEEjNS1_19radix_merge_compareILb0ELb0EaNS0_19identity_decomposerEEEEE10hipError_tT0_T1_T2_jT3_P12ihipStream_tbPNSt15iterator_traitsISG_E10value_typeEPNSM_ISH_E10value_typeEPSI_NS1_7vsmem_tEENKUlT_SG_SH_SI_E_clIS7_S7_SB_PlEESF_SV_SG_SH_SI_EUlSV_E1_NS1_11comp_targetILNS1_3genE10ELNS1_11target_archE1201ELNS1_3gpuE5ELNS1_3repE0EEENS1_36merge_oddeven_config_static_selectorELNS0_4arch9wavefront6targetE1EEEvSH_
	.p2align	8
	.type	_ZN7rocprim17ROCPRIM_400000_NS6detail17trampoline_kernelINS0_14default_configENS1_38merge_sort_block_merge_config_selectorIalEEZZNS1_27merge_sort_block_merge_implIS3_PaN6thrust23THRUST_200600_302600_NS10device_ptrIlEEjNS1_19radix_merge_compareILb0ELb0EaNS0_19identity_decomposerEEEEE10hipError_tT0_T1_T2_jT3_P12ihipStream_tbPNSt15iterator_traitsISG_E10value_typeEPNSM_ISH_E10value_typeEPSI_NS1_7vsmem_tEENKUlT_SG_SH_SI_E_clIS7_S7_SB_PlEESF_SV_SG_SH_SI_EUlSV_E1_NS1_11comp_targetILNS1_3genE10ELNS1_11target_archE1201ELNS1_3gpuE5ELNS1_3repE0EEENS1_36merge_oddeven_config_static_selectorELNS0_4arch9wavefront6targetE1EEEvSH_,@function
_ZN7rocprim17ROCPRIM_400000_NS6detail17trampoline_kernelINS0_14default_configENS1_38merge_sort_block_merge_config_selectorIalEEZZNS1_27merge_sort_block_merge_implIS3_PaN6thrust23THRUST_200600_302600_NS10device_ptrIlEEjNS1_19radix_merge_compareILb0ELb0EaNS0_19identity_decomposerEEEEE10hipError_tT0_T1_T2_jT3_P12ihipStream_tbPNSt15iterator_traitsISG_E10value_typeEPNSM_ISH_E10value_typeEPSI_NS1_7vsmem_tEENKUlT_SG_SH_SI_E_clIS7_S7_SB_PlEESF_SV_SG_SH_SI_EUlSV_E1_NS1_11comp_targetILNS1_3genE10ELNS1_11target_archE1201ELNS1_3gpuE5ELNS1_3repE0EEENS1_36merge_oddeven_config_static_selectorELNS0_4arch9wavefront6targetE1EEEvSH_: ; @_ZN7rocprim17ROCPRIM_400000_NS6detail17trampoline_kernelINS0_14default_configENS1_38merge_sort_block_merge_config_selectorIalEEZZNS1_27merge_sort_block_merge_implIS3_PaN6thrust23THRUST_200600_302600_NS10device_ptrIlEEjNS1_19radix_merge_compareILb0ELb0EaNS0_19identity_decomposerEEEEE10hipError_tT0_T1_T2_jT3_P12ihipStream_tbPNSt15iterator_traitsISG_E10value_typeEPNSM_ISH_E10value_typeEPSI_NS1_7vsmem_tEENKUlT_SG_SH_SI_E_clIS7_S7_SB_PlEESF_SV_SG_SH_SI_EUlSV_E1_NS1_11comp_targetILNS1_3genE10ELNS1_11target_archE1201ELNS1_3gpuE5ELNS1_3repE0EEENS1_36merge_oddeven_config_static_selectorELNS0_4arch9wavefront6targetE1EEEvSH_
; %bb.0:
	.section	.rodata,"a",@progbits
	.p2align	6, 0x0
	.amdhsa_kernel _ZN7rocprim17ROCPRIM_400000_NS6detail17trampoline_kernelINS0_14default_configENS1_38merge_sort_block_merge_config_selectorIalEEZZNS1_27merge_sort_block_merge_implIS3_PaN6thrust23THRUST_200600_302600_NS10device_ptrIlEEjNS1_19radix_merge_compareILb0ELb0EaNS0_19identity_decomposerEEEEE10hipError_tT0_T1_T2_jT3_P12ihipStream_tbPNSt15iterator_traitsISG_E10value_typeEPNSM_ISH_E10value_typeEPSI_NS1_7vsmem_tEENKUlT_SG_SH_SI_E_clIS7_S7_SB_PlEESF_SV_SG_SH_SI_EUlSV_E1_NS1_11comp_targetILNS1_3genE10ELNS1_11target_archE1201ELNS1_3gpuE5ELNS1_3repE0EEENS1_36merge_oddeven_config_static_selectorELNS0_4arch9wavefront6targetE1EEEvSH_
		.amdhsa_group_segment_fixed_size 0
		.amdhsa_private_segment_fixed_size 0
		.amdhsa_kernarg_size 48
		.amdhsa_user_sgpr_count 6
		.amdhsa_user_sgpr_private_segment_buffer 1
		.amdhsa_user_sgpr_dispatch_ptr 0
		.amdhsa_user_sgpr_queue_ptr 0
		.amdhsa_user_sgpr_kernarg_segment_ptr 1
		.amdhsa_user_sgpr_dispatch_id 0
		.amdhsa_user_sgpr_flat_scratch_init 0
		.amdhsa_user_sgpr_kernarg_preload_length 0
		.amdhsa_user_sgpr_kernarg_preload_offset 0
		.amdhsa_user_sgpr_private_segment_size 0
		.amdhsa_uses_dynamic_stack 0
		.amdhsa_system_sgpr_private_segment_wavefront_offset 0
		.amdhsa_system_sgpr_workgroup_id_x 1
		.amdhsa_system_sgpr_workgroup_id_y 0
		.amdhsa_system_sgpr_workgroup_id_z 0
		.amdhsa_system_sgpr_workgroup_info 0
		.amdhsa_system_vgpr_workitem_id 0
		.amdhsa_next_free_vgpr 1
		.amdhsa_next_free_sgpr 0
		.amdhsa_accum_offset 4
		.amdhsa_reserve_vcc 0
		.amdhsa_reserve_flat_scratch 0
		.amdhsa_float_round_mode_32 0
		.amdhsa_float_round_mode_16_64 0
		.amdhsa_float_denorm_mode_32 3
		.amdhsa_float_denorm_mode_16_64 3
		.amdhsa_dx10_clamp 1
		.amdhsa_ieee_mode 1
		.amdhsa_fp16_overflow 0
		.amdhsa_tg_split 0
		.amdhsa_exception_fp_ieee_invalid_op 0
		.amdhsa_exception_fp_denorm_src 0
		.amdhsa_exception_fp_ieee_div_zero 0
		.amdhsa_exception_fp_ieee_overflow 0
		.amdhsa_exception_fp_ieee_underflow 0
		.amdhsa_exception_fp_ieee_inexact 0
		.amdhsa_exception_int_div_zero 0
	.end_amdhsa_kernel
	.section	.text._ZN7rocprim17ROCPRIM_400000_NS6detail17trampoline_kernelINS0_14default_configENS1_38merge_sort_block_merge_config_selectorIalEEZZNS1_27merge_sort_block_merge_implIS3_PaN6thrust23THRUST_200600_302600_NS10device_ptrIlEEjNS1_19radix_merge_compareILb0ELb0EaNS0_19identity_decomposerEEEEE10hipError_tT0_T1_T2_jT3_P12ihipStream_tbPNSt15iterator_traitsISG_E10value_typeEPNSM_ISH_E10value_typeEPSI_NS1_7vsmem_tEENKUlT_SG_SH_SI_E_clIS7_S7_SB_PlEESF_SV_SG_SH_SI_EUlSV_E1_NS1_11comp_targetILNS1_3genE10ELNS1_11target_archE1201ELNS1_3gpuE5ELNS1_3repE0EEENS1_36merge_oddeven_config_static_selectorELNS0_4arch9wavefront6targetE1EEEvSH_,"axG",@progbits,_ZN7rocprim17ROCPRIM_400000_NS6detail17trampoline_kernelINS0_14default_configENS1_38merge_sort_block_merge_config_selectorIalEEZZNS1_27merge_sort_block_merge_implIS3_PaN6thrust23THRUST_200600_302600_NS10device_ptrIlEEjNS1_19radix_merge_compareILb0ELb0EaNS0_19identity_decomposerEEEEE10hipError_tT0_T1_T2_jT3_P12ihipStream_tbPNSt15iterator_traitsISG_E10value_typeEPNSM_ISH_E10value_typeEPSI_NS1_7vsmem_tEENKUlT_SG_SH_SI_E_clIS7_S7_SB_PlEESF_SV_SG_SH_SI_EUlSV_E1_NS1_11comp_targetILNS1_3genE10ELNS1_11target_archE1201ELNS1_3gpuE5ELNS1_3repE0EEENS1_36merge_oddeven_config_static_selectorELNS0_4arch9wavefront6targetE1EEEvSH_,comdat
.Lfunc_end519:
	.size	_ZN7rocprim17ROCPRIM_400000_NS6detail17trampoline_kernelINS0_14default_configENS1_38merge_sort_block_merge_config_selectorIalEEZZNS1_27merge_sort_block_merge_implIS3_PaN6thrust23THRUST_200600_302600_NS10device_ptrIlEEjNS1_19radix_merge_compareILb0ELb0EaNS0_19identity_decomposerEEEEE10hipError_tT0_T1_T2_jT3_P12ihipStream_tbPNSt15iterator_traitsISG_E10value_typeEPNSM_ISH_E10value_typeEPSI_NS1_7vsmem_tEENKUlT_SG_SH_SI_E_clIS7_S7_SB_PlEESF_SV_SG_SH_SI_EUlSV_E1_NS1_11comp_targetILNS1_3genE10ELNS1_11target_archE1201ELNS1_3gpuE5ELNS1_3repE0EEENS1_36merge_oddeven_config_static_selectorELNS0_4arch9wavefront6targetE1EEEvSH_, .Lfunc_end519-_ZN7rocprim17ROCPRIM_400000_NS6detail17trampoline_kernelINS0_14default_configENS1_38merge_sort_block_merge_config_selectorIalEEZZNS1_27merge_sort_block_merge_implIS3_PaN6thrust23THRUST_200600_302600_NS10device_ptrIlEEjNS1_19radix_merge_compareILb0ELb0EaNS0_19identity_decomposerEEEEE10hipError_tT0_T1_T2_jT3_P12ihipStream_tbPNSt15iterator_traitsISG_E10value_typeEPNSM_ISH_E10value_typeEPSI_NS1_7vsmem_tEENKUlT_SG_SH_SI_E_clIS7_S7_SB_PlEESF_SV_SG_SH_SI_EUlSV_E1_NS1_11comp_targetILNS1_3genE10ELNS1_11target_archE1201ELNS1_3gpuE5ELNS1_3repE0EEENS1_36merge_oddeven_config_static_selectorELNS0_4arch9wavefront6targetE1EEEvSH_
                                        ; -- End function
	.section	.AMDGPU.csdata,"",@progbits
; Kernel info:
; codeLenInByte = 0
; NumSgprs: 4
; NumVgprs: 0
; NumAgprs: 0
; TotalNumVgprs: 0
; ScratchSize: 0
; MemoryBound: 0
; FloatMode: 240
; IeeeMode: 1
; LDSByteSize: 0 bytes/workgroup (compile time only)
; SGPRBlocks: 0
; VGPRBlocks: 0
; NumSGPRsForWavesPerEU: 4
; NumVGPRsForWavesPerEU: 1
; AccumOffset: 4
; Occupancy: 8
; WaveLimiterHint : 0
; COMPUTE_PGM_RSRC2:SCRATCH_EN: 0
; COMPUTE_PGM_RSRC2:USER_SGPR: 6
; COMPUTE_PGM_RSRC2:TRAP_HANDLER: 0
; COMPUTE_PGM_RSRC2:TGID_X_EN: 1
; COMPUTE_PGM_RSRC2:TGID_Y_EN: 0
; COMPUTE_PGM_RSRC2:TGID_Z_EN: 0
; COMPUTE_PGM_RSRC2:TIDIG_COMP_CNT: 0
; COMPUTE_PGM_RSRC3_GFX90A:ACCUM_OFFSET: 0
; COMPUTE_PGM_RSRC3_GFX90A:TG_SPLIT: 0
	.section	.text._ZN7rocprim17ROCPRIM_400000_NS6detail17trampoline_kernelINS0_14default_configENS1_38merge_sort_block_merge_config_selectorIalEEZZNS1_27merge_sort_block_merge_implIS3_PaN6thrust23THRUST_200600_302600_NS10device_ptrIlEEjNS1_19radix_merge_compareILb0ELb0EaNS0_19identity_decomposerEEEEE10hipError_tT0_T1_T2_jT3_P12ihipStream_tbPNSt15iterator_traitsISG_E10value_typeEPNSM_ISH_E10value_typeEPSI_NS1_7vsmem_tEENKUlT_SG_SH_SI_E_clIS7_S7_SB_PlEESF_SV_SG_SH_SI_EUlSV_E1_NS1_11comp_targetILNS1_3genE5ELNS1_11target_archE942ELNS1_3gpuE9ELNS1_3repE0EEENS1_36merge_oddeven_config_static_selectorELNS0_4arch9wavefront6targetE1EEEvSH_,"axG",@progbits,_ZN7rocprim17ROCPRIM_400000_NS6detail17trampoline_kernelINS0_14default_configENS1_38merge_sort_block_merge_config_selectorIalEEZZNS1_27merge_sort_block_merge_implIS3_PaN6thrust23THRUST_200600_302600_NS10device_ptrIlEEjNS1_19radix_merge_compareILb0ELb0EaNS0_19identity_decomposerEEEEE10hipError_tT0_T1_T2_jT3_P12ihipStream_tbPNSt15iterator_traitsISG_E10value_typeEPNSM_ISH_E10value_typeEPSI_NS1_7vsmem_tEENKUlT_SG_SH_SI_E_clIS7_S7_SB_PlEESF_SV_SG_SH_SI_EUlSV_E1_NS1_11comp_targetILNS1_3genE5ELNS1_11target_archE942ELNS1_3gpuE9ELNS1_3repE0EEENS1_36merge_oddeven_config_static_selectorELNS0_4arch9wavefront6targetE1EEEvSH_,comdat
	.protected	_ZN7rocprim17ROCPRIM_400000_NS6detail17trampoline_kernelINS0_14default_configENS1_38merge_sort_block_merge_config_selectorIalEEZZNS1_27merge_sort_block_merge_implIS3_PaN6thrust23THRUST_200600_302600_NS10device_ptrIlEEjNS1_19radix_merge_compareILb0ELb0EaNS0_19identity_decomposerEEEEE10hipError_tT0_T1_T2_jT3_P12ihipStream_tbPNSt15iterator_traitsISG_E10value_typeEPNSM_ISH_E10value_typeEPSI_NS1_7vsmem_tEENKUlT_SG_SH_SI_E_clIS7_S7_SB_PlEESF_SV_SG_SH_SI_EUlSV_E1_NS1_11comp_targetILNS1_3genE5ELNS1_11target_archE942ELNS1_3gpuE9ELNS1_3repE0EEENS1_36merge_oddeven_config_static_selectorELNS0_4arch9wavefront6targetE1EEEvSH_ ; -- Begin function _ZN7rocprim17ROCPRIM_400000_NS6detail17trampoline_kernelINS0_14default_configENS1_38merge_sort_block_merge_config_selectorIalEEZZNS1_27merge_sort_block_merge_implIS3_PaN6thrust23THRUST_200600_302600_NS10device_ptrIlEEjNS1_19radix_merge_compareILb0ELb0EaNS0_19identity_decomposerEEEEE10hipError_tT0_T1_T2_jT3_P12ihipStream_tbPNSt15iterator_traitsISG_E10value_typeEPNSM_ISH_E10value_typeEPSI_NS1_7vsmem_tEENKUlT_SG_SH_SI_E_clIS7_S7_SB_PlEESF_SV_SG_SH_SI_EUlSV_E1_NS1_11comp_targetILNS1_3genE5ELNS1_11target_archE942ELNS1_3gpuE9ELNS1_3repE0EEENS1_36merge_oddeven_config_static_selectorELNS0_4arch9wavefront6targetE1EEEvSH_
	.globl	_ZN7rocprim17ROCPRIM_400000_NS6detail17trampoline_kernelINS0_14default_configENS1_38merge_sort_block_merge_config_selectorIalEEZZNS1_27merge_sort_block_merge_implIS3_PaN6thrust23THRUST_200600_302600_NS10device_ptrIlEEjNS1_19radix_merge_compareILb0ELb0EaNS0_19identity_decomposerEEEEE10hipError_tT0_T1_T2_jT3_P12ihipStream_tbPNSt15iterator_traitsISG_E10value_typeEPNSM_ISH_E10value_typeEPSI_NS1_7vsmem_tEENKUlT_SG_SH_SI_E_clIS7_S7_SB_PlEESF_SV_SG_SH_SI_EUlSV_E1_NS1_11comp_targetILNS1_3genE5ELNS1_11target_archE942ELNS1_3gpuE9ELNS1_3repE0EEENS1_36merge_oddeven_config_static_selectorELNS0_4arch9wavefront6targetE1EEEvSH_
	.p2align	8
	.type	_ZN7rocprim17ROCPRIM_400000_NS6detail17trampoline_kernelINS0_14default_configENS1_38merge_sort_block_merge_config_selectorIalEEZZNS1_27merge_sort_block_merge_implIS3_PaN6thrust23THRUST_200600_302600_NS10device_ptrIlEEjNS1_19radix_merge_compareILb0ELb0EaNS0_19identity_decomposerEEEEE10hipError_tT0_T1_T2_jT3_P12ihipStream_tbPNSt15iterator_traitsISG_E10value_typeEPNSM_ISH_E10value_typeEPSI_NS1_7vsmem_tEENKUlT_SG_SH_SI_E_clIS7_S7_SB_PlEESF_SV_SG_SH_SI_EUlSV_E1_NS1_11comp_targetILNS1_3genE5ELNS1_11target_archE942ELNS1_3gpuE9ELNS1_3repE0EEENS1_36merge_oddeven_config_static_selectorELNS0_4arch9wavefront6targetE1EEEvSH_,@function
_ZN7rocprim17ROCPRIM_400000_NS6detail17trampoline_kernelINS0_14default_configENS1_38merge_sort_block_merge_config_selectorIalEEZZNS1_27merge_sort_block_merge_implIS3_PaN6thrust23THRUST_200600_302600_NS10device_ptrIlEEjNS1_19radix_merge_compareILb0ELb0EaNS0_19identity_decomposerEEEEE10hipError_tT0_T1_T2_jT3_P12ihipStream_tbPNSt15iterator_traitsISG_E10value_typeEPNSM_ISH_E10value_typeEPSI_NS1_7vsmem_tEENKUlT_SG_SH_SI_E_clIS7_S7_SB_PlEESF_SV_SG_SH_SI_EUlSV_E1_NS1_11comp_targetILNS1_3genE5ELNS1_11target_archE942ELNS1_3gpuE9ELNS1_3repE0EEENS1_36merge_oddeven_config_static_selectorELNS0_4arch9wavefront6targetE1EEEvSH_: ; @_ZN7rocprim17ROCPRIM_400000_NS6detail17trampoline_kernelINS0_14default_configENS1_38merge_sort_block_merge_config_selectorIalEEZZNS1_27merge_sort_block_merge_implIS3_PaN6thrust23THRUST_200600_302600_NS10device_ptrIlEEjNS1_19radix_merge_compareILb0ELb0EaNS0_19identity_decomposerEEEEE10hipError_tT0_T1_T2_jT3_P12ihipStream_tbPNSt15iterator_traitsISG_E10value_typeEPNSM_ISH_E10value_typeEPSI_NS1_7vsmem_tEENKUlT_SG_SH_SI_E_clIS7_S7_SB_PlEESF_SV_SG_SH_SI_EUlSV_E1_NS1_11comp_targetILNS1_3genE5ELNS1_11target_archE942ELNS1_3gpuE9ELNS1_3repE0EEENS1_36merge_oddeven_config_static_selectorELNS0_4arch9wavefront6targetE1EEEvSH_
; %bb.0:
	.section	.rodata,"a",@progbits
	.p2align	6, 0x0
	.amdhsa_kernel _ZN7rocprim17ROCPRIM_400000_NS6detail17trampoline_kernelINS0_14default_configENS1_38merge_sort_block_merge_config_selectorIalEEZZNS1_27merge_sort_block_merge_implIS3_PaN6thrust23THRUST_200600_302600_NS10device_ptrIlEEjNS1_19radix_merge_compareILb0ELb0EaNS0_19identity_decomposerEEEEE10hipError_tT0_T1_T2_jT3_P12ihipStream_tbPNSt15iterator_traitsISG_E10value_typeEPNSM_ISH_E10value_typeEPSI_NS1_7vsmem_tEENKUlT_SG_SH_SI_E_clIS7_S7_SB_PlEESF_SV_SG_SH_SI_EUlSV_E1_NS1_11comp_targetILNS1_3genE5ELNS1_11target_archE942ELNS1_3gpuE9ELNS1_3repE0EEENS1_36merge_oddeven_config_static_selectorELNS0_4arch9wavefront6targetE1EEEvSH_
		.amdhsa_group_segment_fixed_size 0
		.amdhsa_private_segment_fixed_size 0
		.amdhsa_kernarg_size 48
		.amdhsa_user_sgpr_count 6
		.amdhsa_user_sgpr_private_segment_buffer 1
		.amdhsa_user_sgpr_dispatch_ptr 0
		.amdhsa_user_sgpr_queue_ptr 0
		.amdhsa_user_sgpr_kernarg_segment_ptr 1
		.amdhsa_user_sgpr_dispatch_id 0
		.amdhsa_user_sgpr_flat_scratch_init 0
		.amdhsa_user_sgpr_kernarg_preload_length 0
		.amdhsa_user_sgpr_kernarg_preload_offset 0
		.amdhsa_user_sgpr_private_segment_size 0
		.amdhsa_uses_dynamic_stack 0
		.amdhsa_system_sgpr_private_segment_wavefront_offset 0
		.amdhsa_system_sgpr_workgroup_id_x 1
		.amdhsa_system_sgpr_workgroup_id_y 0
		.amdhsa_system_sgpr_workgroup_id_z 0
		.amdhsa_system_sgpr_workgroup_info 0
		.amdhsa_system_vgpr_workitem_id 0
		.amdhsa_next_free_vgpr 1
		.amdhsa_next_free_sgpr 0
		.amdhsa_accum_offset 4
		.amdhsa_reserve_vcc 0
		.amdhsa_reserve_flat_scratch 0
		.amdhsa_float_round_mode_32 0
		.amdhsa_float_round_mode_16_64 0
		.amdhsa_float_denorm_mode_32 3
		.amdhsa_float_denorm_mode_16_64 3
		.amdhsa_dx10_clamp 1
		.amdhsa_ieee_mode 1
		.amdhsa_fp16_overflow 0
		.amdhsa_tg_split 0
		.amdhsa_exception_fp_ieee_invalid_op 0
		.amdhsa_exception_fp_denorm_src 0
		.amdhsa_exception_fp_ieee_div_zero 0
		.amdhsa_exception_fp_ieee_overflow 0
		.amdhsa_exception_fp_ieee_underflow 0
		.amdhsa_exception_fp_ieee_inexact 0
		.amdhsa_exception_int_div_zero 0
	.end_amdhsa_kernel
	.section	.text._ZN7rocprim17ROCPRIM_400000_NS6detail17trampoline_kernelINS0_14default_configENS1_38merge_sort_block_merge_config_selectorIalEEZZNS1_27merge_sort_block_merge_implIS3_PaN6thrust23THRUST_200600_302600_NS10device_ptrIlEEjNS1_19radix_merge_compareILb0ELb0EaNS0_19identity_decomposerEEEEE10hipError_tT0_T1_T2_jT3_P12ihipStream_tbPNSt15iterator_traitsISG_E10value_typeEPNSM_ISH_E10value_typeEPSI_NS1_7vsmem_tEENKUlT_SG_SH_SI_E_clIS7_S7_SB_PlEESF_SV_SG_SH_SI_EUlSV_E1_NS1_11comp_targetILNS1_3genE5ELNS1_11target_archE942ELNS1_3gpuE9ELNS1_3repE0EEENS1_36merge_oddeven_config_static_selectorELNS0_4arch9wavefront6targetE1EEEvSH_,"axG",@progbits,_ZN7rocprim17ROCPRIM_400000_NS6detail17trampoline_kernelINS0_14default_configENS1_38merge_sort_block_merge_config_selectorIalEEZZNS1_27merge_sort_block_merge_implIS3_PaN6thrust23THRUST_200600_302600_NS10device_ptrIlEEjNS1_19radix_merge_compareILb0ELb0EaNS0_19identity_decomposerEEEEE10hipError_tT0_T1_T2_jT3_P12ihipStream_tbPNSt15iterator_traitsISG_E10value_typeEPNSM_ISH_E10value_typeEPSI_NS1_7vsmem_tEENKUlT_SG_SH_SI_E_clIS7_S7_SB_PlEESF_SV_SG_SH_SI_EUlSV_E1_NS1_11comp_targetILNS1_3genE5ELNS1_11target_archE942ELNS1_3gpuE9ELNS1_3repE0EEENS1_36merge_oddeven_config_static_selectorELNS0_4arch9wavefront6targetE1EEEvSH_,comdat
.Lfunc_end520:
	.size	_ZN7rocprim17ROCPRIM_400000_NS6detail17trampoline_kernelINS0_14default_configENS1_38merge_sort_block_merge_config_selectorIalEEZZNS1_27merge_sort_block_merge_implIS3_PaN6thrust23THRUST_200600_302600_NS10device_ptrIlEEjNS1_19radix_merge_compareILb0ELb0EaNS0_19identity_decomposerEEEEE10hipError_tT0_T1_T2_jT3_P12ihipStream_tbPNSt15iterator_traitsISG_E10value_typeEPNSM_ISH_E10value_typeEPSI_NS1_7vsmem_tEENKUlT_SG_SH_SI_E_clIS7_S7_SB_PlEESF_SV_SG_SH_SI_EUlSV_E1_NS1_11comp_targetILNS1_3genE5ELNS1_11target_archE942ELNS1_3gpuE9ELNS1_3repE0EEENS1_36merge_oddeven_config_static_selectorELNS0_4arch9wavefront6targetE1EEEvSH_, .Lfunc_end520-_ZN7rocprim17ROCPRIM_400000_NS6detail17trampoline_kernelINS0_14default_configENS1_38merge_sort_block_merge_config_selectorIalEEZZNS1_27merge_sort_block_merge_implIS3_PaN6thrust23THRUST_200600_302600_NS10device_ptrIlEEjNS1_19radix_merge_compareILb0ELb0EaNS0_19identity_decomposerEEEEE10hipError_tT0_T1_T2_jT3_P12ihipStream_tbPNSt15iterator_traitsISG_E10value_typeEPNSM_ISH_E10value_typeEPSI_NS1_7vsmem_tEENKUlT_SG_SH_SI_E_clIS7_S7_SB_PlEESF_SV_SG_SH_SI_EUlSV_E1_NS1_11comp_targetILNS1_3genE5ELNS1_11target_archE942ELNS1_3gpuE9ELNS1_3repE0EEENS1_36merge_oddeven_config_static_selectorELNS0_4arch9wavefront6targetE1EEEvSH_
                                        ; -- End function
	.section	.AMDGPU.csdata,"",@progbits
; Kernel info:
; codeLenInByte = 0
; NumSgprs: 4
; NumVgprs: 0
; NumAgprs: 0
; TotalNumVgprs: 0
; ScratchSize: 0
; MemoryBound: 0
; FloatMode: 240
; IeeeMode: 1
; LDSByteSize: 0 bytes/workgroup (compile time only)
; SGPRBlocks: 0
; VGPRBlocks: 0
; NumSGPRsForWavesPerEU: 4
; NumVGPRsForWavesPerEU: 1
; AccumOffset: 4
; Occupancy: 8
; WaveLimiterHint : 0
; COMPUTE_PGM_RSRC2:SCRATCH_EN: 0
; COMPUTE_PGM_RSRC2:USER_SGPR: 6
; COMPUTE_PGM_RSRC2:TRAP_HANDLER: 0
; COMPUTE_PGM_RSRC2:TGID_X_EN: 1
; COMPUTE_PGM_RSRC2:TGID_Y_EN: 0
; COMPUTE_PGM_RSRC2:TGID_Z_EN: 0
; COMPUTE_PGM_RSRC2:TIDIG_COMP_CNT: 0
; COMPUTE_PGM_RSRC3_GFX90A:ACCUM_OFFSET: 0
; COMPUTE_PGM_RSRC3_GFX90A:TG_SPLIT: 0
	.section	.text._ZN7rocprim17ROCPRIM_400000_NS6detail17trampoline_kernelINS0_14default_configENS1_38merge_sort_block_merge_config_selectorIalEEZZNS1_27merge_sort_block_merge_implIS3_PaN6thrust23THRUST_200600_302600_NS10device_ptrIlEEjNS1_19radix_merge_compareILb0ELb0EaNS0_19identity_decomposerEEEEE10hipError_tT0_T1_T2_jT3_P12ihipStream_tbPNSt15iterator_traitsISG_E10value_typeEPNSM_ISH_E10value_typeEPSI_NS1_7vsmem_tEENKUlT_SG_SH_SI_E_clIS7_S7_SB_PlEESF_SV_SG_SH_SI_EUlSV_E1_NS1_11comp_targetILNS1_3genE4ELNS1_11target_archE910ELNS1_3gpuE8ELNS1_3repE0EEENS1_36merge_oddeven_config_static_selectorELNS0_4arch9wavefront6targetE1EEEvSH_,"axG",@progbits,_ZN7rocprim17ROCPRIM_400000_NS6detail17trampoline_kernelINS0_14default_configENS1_38merge_sort_block_merge_config_selectorIalEEZZNS1_27merge_sort_block_merge_implIS3_PaN6thrust23THRUST_200600_302600_NS10device_ptrIlEEjNS1_19radix_merge_compareILb0ELb0EaNS0_19identity_decomposerEEEEE10hipError_tT0_T1_T2_jT3_P12ihipStream_tbPNSt15iterator_traitsISG_E10value_typeEPNSM_ISH_E10value_typeEPSI_NS1_7vsmem_tEENKUlT_SG_SH_SI_E_clIS7_S7_SB_PlEESF_SV_SG_SH_SI_EUlSV_E1_NS1_11comp_targetILNS1_3genE4ELNS1_11target_archE910ELNS1_3gpuE8ELNS1_3repE0EEENS1_36merge_oddeven_config_static_selectorELNS0_4arch9wavefront6targetE1EEEvSH_,comdat
	.protected	_ZN7rocprim17ROCPRIM_400000_NS6detail17trampoline_kernelINS0_14default_configENS1_38merge_sort_block_merge_config_selectorIalEEZZNS1_27merge_sort_block_merge_implIS3_PaN6thrust23THRUST_200600_302600_NS10device_ptrIlEEjNS1_19radix_merge_compareILb0ELb0EaNS0_19identity_decomposerEEEEE10hipError_tT0_T1_T2_jT3_P12ihipStream_tbPNSt15iterator_traitsISG_E10value_typeEPNSM_ISH_E10value_typeEPSI_NS1_7vsmem_tEENKUlT_SG_SH_SI_E_clIS7_S7_SB_PlEESF_SV_SG_SH_SI_EUlSV_E1_NS1_11comp_targetILNS1_3genE4ELNS1_11target_archE910ELNS1_3gpuE8ELNS1_3repE0EEENS1_36merge_oddeven_config_static_selectorELNS0_4arch9wavefront6targetE1EEEvSH_ ; -- Begin function _ZN7rocprim17ROCPRIM_400000_NS6detail17trampoline_kernelINS0_14default_configENS1_38merge_sort_block_merge_config_selectorIalEEZZNS1_27merge_sort_block_merge_implIS3_PaN6thrust23THRUST_200600_302600_NS10device_ptrIlEEjNS1_19radix_merge_compareILb0ELb0EaNS0_19identity_decomposerEEEEE10hipError_tT0_T1_T2_jT3_P12ihipStream_tbPNSt15iterator_traitsISG_E10value_typeEPNSM_ISH_E10value_typeEPSI_NS1_7vsmem_tEENKUlT_SG_SH_SI_E_clIS7_S7_SB_PlEESF_SV_SG_SH_SI_EUlSV_E1_NS1_11comp_targetILNS1_3genE4ELNS1_11target_archE910ELNS1_3gpuE8ELNS1_3repE0EEENS1_36merge_oddeven_config_static_selectorELNS0_4arch9wavefront6targetE1EEEvSH_
	.globl	_ZN7rocprim17ROCPRIM_400000_NS6detail17trampoline_kernelINS0_14default_configENS1_38merge_sort_block_merge_config_selectorIalEEZZNS1_27merge_sort_block_merge_implIS3_PaN6thrust23THRUST_200600_302600_NS10device_ptrIlEEjNS1_19radix_merge_compareILb0ELb0EaNS0_19identity_decomposerEEEEE10hipError_tT0_T1_T2_jT3_P12ihipStream_tbPNSt15iterator_traitsISG_E10value_typeEPNSM_ISH_E10value_typeEPSI_NS1_7vsmem_tEENKUlT_SG_SH_SI_E_clIS7_S7_SB_PlEESF_SV_SG_SH_SI_EUlSV_E1_NS1_11comp_targetILNS1_3genE4ELNS1_11target_archE910ELNS1_3gpuE8ELNS1_3repE0EEENS1_36merge_oddeven_config_static_selectorELNS0_4arch9wavefront6targetE1EEEvSH_
	.p2align	8
	.type	_ZN7rocprim17ROCPRIM_400000_NS6detail17trampoline_kernelINS0_14default_configENS1_38merge_sort_block_merge_config_selectorIalEEZZNS1_27merge_sort_block_merge_implIS3_PaN6thrust23THRUST_200600_302600_NS10device_ptrIlEEjNS1_19radix_merge_compareILb0ELb0EaNS0_19identity_decomposerEEEEE10hipError_tT0_T1_T2_jT3_P12ihipStream_tbPNSt15iterator_traitsISG_E10value_typeEPNSM_ISH_E10value_typeEPSI_NS1_7vsmem_tEENKUlT_SG_SH_SI_E_clIS7_S7_SB_PlEESF_SV_SG_SH_SI_EUlSV_E1_NS1_11comp_targetILNS1_3genE4ELNS1_11target_archE910ELNS1_3gpuE8ELNS1_3repE0EEENS1_36merge_oddeven_config_static_selectorELNS0_4arch9wavefront6targetE1EEEvSH_,@function
_ZN7rocprim17ROCPRIM_400000_NS6detail17trampoline_kernelINS0_14default_configENS1_38merge_sort_block_merge_config_selectorIalEEZZNS1_27merge_sort_block_merge_implIS3_PaN6thrust23THRUST_200600_302600_NS10device_ptrIlEEjNS1_19radix_merge_compareILb0ELb0EaNS0_19identity_decomposerEEEEE10hipError_tT0_T1_T2_jT3_P12ihipStream_tbPNSt15iterator_traitsISG_E10value_typeEPNSM_ISH_E10value_typeEPSI_NS1_7vsmem_tEENKUlT_SG_SH_SI_E_clIS7_S7_SB_PlEESF_SV_SG_SH_SI_EUlSV_E1_NS1_11comp_targetILNS1_3genE4ELNS1_11target_archE910ELNS1_3gpuE8ELNS1_3repE0EEENS1_36merge_oddeven_config_static_selectorELNS0_4arch9wavefront6targetE1EEEvSH_: ; @_ZN7rocprim17ROCPRIM_400000_NS6detail17trampoline_kernelINS0_14default_configENS1_38merge_sort_block_merge_config_selectorIalEEZZNS1_27merge_sort_block_merge_implIS3_PaN6thrust23THRUST_200600_302600_NS10device_ptrIlEEjNS1_19radix_merge_compareILb0ELb0EaNS0_19identity_decomposerEEEEE10hipError_tT0_T1_T2_jT3_P12ihipStream_tbPNSt15iterator_traitsISG_E10value_typeEPNSM_ISH_E10value_typeEPSI_NS1_7vsmem_tEENKUlT_SG_SH_SI_E_clIS7_S7_SB_PlEESF_SV_SG_SH_SI_EUlSV_E1_NS1_11comp_targetILNS1_3genE4ELNS1_11target_archE910ELNS1_3gpuE8ELNS1_3repE0EEENS1_36merge_oddeven_config_static_selectorELNS0_4arch9wavefront6targetE1EEEvSH_
; %bb.0:
	s_load_dword s20, s[4:5], 0x20
	s_waitcnt lgkmcnt(0)
	s_lshr_b32 s2, s20, 8
	s_cmp_lg_u32 s6, s2
	s_cselect_b64 s[0:1], -1, 0
	s_cmp_eq_u32 s6, s2
	s_cselect_b64 s[16:17], -1, 0
	s_lshl_b32 s18, s6, 8
	s_sub_i32 s2, s20, s18
	v_cmp_gt_u32_e64 s[2:3], s2, v0
	s_or_b64 s[0:1], s[0:1], s[2:3]
	s_and_saveexec_b64 s[8:9], s[0:1]
	s_cbranch_execz .LBB521_26
; %bb.1:
	s_load_dwordx8 s[8:15], s[4:5], 0x0
	s_mov_b32 s19, 0
	v_lshlrev_b32_e32 v1, 3, v0
	s_load_dword s21, s[4:5], 0x24
	v_add_u32_e32 v4, s18, v0
	s_waitcnt lgkmcnt(0)
	s_add_u32 s0, s8, s18
	s_addc_u32 s1, s9, 0
	s_lshl_b64 s[22:23], s[18:19], 3
	s_add_u32 s12, s12, s22
	s_addc_u32 s13, s13, s23
	global_load_dwordx2 v[2:3], v1, s[12:13]
	global_load_sbyte v6, v0, s[0:1]
	s_lshr_b32 s0, s21, 8
	s_sub_i32 s1, 0, s0
	s_and_b32 s1, s6, s1
	s_and_b32 s0, s1, s0
	s_lshl_b32 s22, s1, 8
	s_sub_i32 s6, 0, s21
	s_cmp_eq_u32 s0, 0
	s_cselect_b64 s[0:1], -1, 0
	s_and_b64 s[4:5], s[0:1], exec
	s_cselect_b32 s19, s21, s6
	s_add_i32 s19, s19, s22
	s_cmp_lt_u32 s19, s20
	s_cbranch_scc1 .LBB521_6
; %bb.2:
	s_and_b64 vcc, exec, s[16:17]
	s_cbranch_vccz .LBB521_7
; %bb.3:
	v_cmp_gt_u32_e32 vcc, s20, v4
	s_mov_b64 s[6:7], 0
	s_mov_b64 s[4:5], 0
                                        ; implicit-def: $vgpr0_vgpr1
	s_and_saveexec_b64 s[12:13], vcc
	s_cbranch_execz .LBB521_5
; %bb.4:
	v_mov_b32_e32 v5, 0
	v_lshlrev_b64 v[0:1], 3, v[4:5]
	v_mov_b32_e32 v5, s15
	v_add_co_u32_e32 v0, vcc, s14, v0
	s_mov_b64 s[4:5], exec
	v_addc_co_u32_e32 v1, vcc, v5, v1, vcc
	s_waitcnt vmcnt(0)
	global_store_byte v4, v6, s[10:11]
.LBB521_5:
	s_or_b64 exec, exec, s[12:13]
	s_and_b64 vcc, exec, s[6:7]
	s_cbranch_vccnz .LBB521_8
	s_branch .LBB521_9
.LBB521_6:
	s_mov_b64 s[4:5], 0
                                        ; implicit-def: $vgpr0_vgpr1
	s_cbranch_execnz .LBB521_10
	s_branch .LBB521_24
.LBB521_7:
	s_mov_b64 s[4:5], 0
                                        ; implicit-def: $vgpr0_vgpr1
	s_cbranch_execz .LBB521_9
.LBB521_8:
	v_mov_b32_e32 v5, 0
	v_lshlrev_b64 v[0:1], 3, v[4:5]
	v_mov_b32_e32 v5, s15
	v_add_co_u32_e32 v0, vcc, s14, v0
	v_addc_co_u32_e32 v1, vcc, v5, v1, vcc
	s_or_b64 s[4:5], s[4:5], exec
	s_waitcnt vmcnt(0)
	global_store_byte v4, v6, s[10:11]
.LBB521_9:
	s_branch .LBB521_24
.LBB521_10:
	s_min_u32 s12, s19, s20
	s_add_i32 s6, s12, s21
	s_min_u32 s13, s6, s20
	s_min_u32 s6, s22, s12
	s_add_i32 s22, s22, s12
	v_subrev_u32_e32 v0, s22, v4
	v_add_u32_e32 v4, s6, v0
	s_and_b64 vcc, exec, s[16:17]
	s_cbranch_vccz .LBB521_18
; %bb.11:
                                        ; implicit-def: $vgpr0_vgpr1
	s_and_saveexec_b64 s[6:7], s[2:3]
	s_cbranch_execz .LBB521_17
; %bb.12:
	s_cmp_ge_u32 s19, s13
	v_mov_b32_e32 v0, s12
	s_cbranch_scc1 .LBB521_16
; %bb.13:
	s_mov_b64 s[2:3], 0
	v_mov_b32_e32 v1, s13
	v_mov_b32_e32 v0, s12
.LBB521_14:                             ; =>This Inner Loop Header: Depth=1
	v_add_u32_e32 v5, v0, v1
	v_lshrrev_b32_e32 v5, 1, v5
	global_load_sbyte v7, v5, s[8:9]
	v_add_u32_e32 v8, 1, v5
	s_waitcnt vmcnt(0)
	v_cmp_gt_i16_e32 vcc, v6, v7
	v_cndmask_b32_e64 v9, 0, 1, vcc
	v_cmp_le_i16_e32 vcc, v7, v6
	v_cndmask_b32_e64 v7, 0, 1, vcc
	v_cndmask_b32_e64 v7, v7, v9, s[0:1]
	v_and_b32_e32 v7, 1, v7
	v_cmp_eq_u32_e32 vcc, 1, v7
	v_cndmask_b32_e32 v1, v5, v1, vcc
	v_cndmask_b32_e32 v0, v0, v8, vcc
	v_cmp_ge_u32_e32 vcc, v0, v1
	s_or_b64 s[2:3], vcc, s[2:3]
	s_andn2_b64 exec, exec, s[2:3]
	s_cbranch_execnz .LBB521_14
; %bb.15:
	s_or_b64 exec, exec, s[2:3]
.LBB521_16:
	v_add_u32_e32 v0, v0, v4
	v_mov_b32_e32 v1, 0
	s_waitcnt vmcnt(0)
	global_store_byte v0, v6, s[10:11]
	v_lshlrev_b64 v[0:1], 3, v[0:1]
	v_mov_b32_e32 v5, s15
	v_add_co_u32_e32 v0, vcc, s14, v0
	v_addc_co_u32_e32 v1, vcc, v5, v1, vcc
	s_or_b64 s[4:5], s[4:5], exec
.LBB521_17:
	s_or_b64 exec, exec, s[6:7]
	s_branch .LBB521_24
.LBB521_18:
                                        ; implicit-def: $vgpr0_vgpr1
	s_cbranch_execz .LBB521_24
; %bb.19:
	s_cmp_ge_u32 s19, s13
	v_mov_b32_e32 v0, s12
	s_cbranch_scc1 .LBB521_23
; %bb.20:
	s_mov_b64 s[2:3], 0
	v_mov_b32_e32 v1, s13
	v_mov_b32_e32 v0, s12
.LBB521_21:                             ; =>This Inner Loop Header: Depth=1
	v_add_u32_e32 v5, v0, v1
	v_lshrrev_b32_e32 v5, 1, v5
	global_load_sbyte v7, v5, s[8:9]
	v_add_u32_e32 v8, 1, v5
	s_waitcnt vmcnt(0)
	v_cmp_gt_i16_e32 vcc, v6, v7
	v_cndmask_b32_e64 v9, 0, 1, vcc
	v_cmp_le_i16_e32 vcc, v7, v6
	v_cndmask_b32_e64 v7, 0, 1, vcc
	v_cndmask_b32_e64 v7, v7, v9, s[0:1]
	v_and_b32_e32 v7, 1, v7
	v_cmp_eq_u32_e32 vcc, 1, v7
	v_cndmask_b32_e32 v1, v5, v1, vcc
	v_cndmask_b32_e32 v0, v0, v8, vcc
	v_cmp_ge_u32_e32 vcc, v0, v1
	s_or_b64 s[2:3], vcc, s[2:3]
	s_andn2_b64 exec, exec, s[2:3]
	s_cbranch_execnz .LBB521_21
; %bb.22:
	s_or_b64 exec, exec, s[2:3]
.LBB521_23:
	v_add_u32_e32 v0, v0, v4
	v_mov_b32_e32 v1, 0
	s_waitcnt vmcnt(0)
	global_store_byte v0, v6, s[10:11]
	v_lshlrev_b64 v[0:1], 3, v[0:1]
	v_mov_b32_e32 v4, s15
	v_add_co_u32_e32 v0, vcc, s14, v0
	v_addc_co_u32_e32 v1, vcc, v4, v1, vcc
	s_mov_b64 s[4:5], -1
.LBB521_24:
	s_and_b64 exec, exec, s[4:5]
	s_cbranch_execz .LBB521_26
; %bb.25:
	s_waitcnt vmcnt(1)
	global_store_dwordx2 v[0:1], v[2:3], off
.LBB521_26:
	s_endpgm
	.section	.rodata,"a",@progbits
	.p2align	6, 0x0
	.amdhsa_kernel _ZN7rocprim17ROCPRIM_400000_NS6detail17trampoline_kernelINS0_14default_configENS1_38merge_sort_block_merge_config_selectorIalEEZZNS1_27merge_sort_block_merge_implIS3_PaN6thrust23THRUST_200600_302600_NS10device_ptrIlEEjNS1_19radix_merge_compareILb0ELb0EaNS0_19identity_decomposerEEEEE10hipError_tT0_T1_T2_jT3_P12ihipStream_tbPNSt15iterator_traitsISG_E10value_typeEPNSM_ISH_E10value_typeEPSI_NS1_7vsmem_tEENKUlT_SG_SH_SI_E_clIS7_S7_SB_PlEESF_SV_SG_SH_SI_EUlSV_E1_NS1_11comp_targetILNS1_3genE4ELNS1_11target_archE910ELNS1_3gpuE8ELNS1_3repE0EEENS1_36merge_oddeven_config_static_selectorELNS0_4arch9wavefront6targetE1EEEvSH_
		.amdhsa_group_segment_fixed_size 0
		.amdhsa_private_segment_fixed_size 0
		.amdhsa_kernarg_size 48
		.amdhsa_user_sgpr_count 6
		.amdhsa_user_sgpr_private_segment_buffer 1
		.amdhsa_user_sgpr_dispatch_ptr 0
		.amdhsa_user_sgpr_queue_ptr 0
		.amdhsa_user_sgpr_kernarg_segment_ptr 1
		.amdhsa_user_sgpr_dispatch_id 0
		.amdhsa_user_sgpr_flat_scratch_init 0
		.amdhsa_user_sgpr_kernarg_preload_length 0
		.amdhsa_user_sgpr_kernarg_preload_offset 0
		.amdhsa_user_sgpr_private_segment_size 0
		.amdhsa_uses_dynamic_stack 0
		.amdhsa_system_sgpr_private_segment_wavefront_offset 0
		.amdhsa_system_sgpr_workgroup_id_x 1
		.amdhsa_system_sgpr_workgroup_id_y 0
		.amdhsa_system_sgpr_workgroup_id_z 0
		.amdhsa_system_sgpr_workgroup_info 0
		.amdhsa_system_vgpr_workitem_id 0
		.amdhsa_next_free_vgpr 10
		.amdhsa_next_free_sgpr 24
		.amdhsa_accum_offset 12
		.amdhsa_reserve_vcc 1
		.amdhsa_reserve_flat_scratch 0
		.amdhsa_float_round_mode_32 0
		.amdhsa_float_round_mode_16_64 0
		.amdhsa_float_denorm_mode_32 3
		.amdhsa_float_denorm_mode_16_64 3
		.amdhsa_dx10_clamp 1
		.amdhsa_ieee_mode 1
		.amdhsa_fp16_overflow 0
		.amdhsa_tg_split 0
		.amdhsa_exception_fp_ieee_invalid_op 0
		.amdhsa_exception_fp_denorm_src 0
		.amdhsa_exception_fp_ieee_div_zero 0
		.amdhsa_exception_fp_ieee_overflow 0
		.amdhsa_exception_fp_ieee_underflow 0
		.amdhsa_exception_fp_ieee_inexact 0
		.amdhsa_exception_int_div_zero 0
	.end_amdhsa_kernel
	.section	.text._ZN7rocprim17ROCPRIM_400000_NS6detail17trampoline_kernelINS0_14default_configENS1_38merge_sort_block_merge_config_selectorIalEEZZNS1_27merge_sort_block_merge_implIS3_PaN6thrust23THRUST_200600_302600_NS10device_ptrIlEEjNS1_19radix_merge_compareILb0ELb0EaNS0_19identity_decomposerEEEEE10hipError_tT0_T1_T2_jT3_P12ihipStream_tbPNSt15iterator_traitsISG_E10value_typeEPNSM_ISH_E10value_typeEPSI_NS1_7vsmem_tEENKUlT_SG_SH_SI_E_clIS7_S7_SB_PlEESF_SV_SG_SH_SI_EUlSV_E1_NS1_11comp_targetILNS1_3genE4ELNS1_11target_archE910ELNS1_3gpuE8ELNS1_3repE0EEENS1_36merge_oddeven_config_static_selectorELNS0_4arch9wavefront6targetE1EEEvSH_,"axG",@progbits,_ZN7rocprim17ROCPRIM_400000_NS6detail17trampoline_kernelINS0_14default_configENS1_38merge_sort_block_merge_config_selectorIalEEZZNS1_27merge_sort_block_merge_implIS3_PaN6thrust23THRUST_200600_302600_NS10device_ptrIlEEjNS1_19radix_merge_compareILb0ELb0EaNS0_19identity_decomposerEEEEE10hipError_tT0_T1_T2_jT3_P12ihipStream_tbPNSt15iterator_traitsISG_E10value_typeEPNSM_ISH_E10value_typeEPSI_NS1_7vsmem_tEENKUlT_SG_SH_SI_E_clIS7_S7_SB_PlEESF_SV_SG_SH_SI_EUlSV_E1_NS1_11comp_targetILNS1_3genE4ELNS1_11target_archE910ELNS1_3gpuE8ELNS1_3repE0EEENS1_36merge_oddeven_config_static_selectorELNS0_4arch9wavefront6targetE1EEEvSH_,comdat
.Lfunc_end521:
	.size	_ZN7rocprim17ROCPRIM_400000_NS6detail17trampoline_kernelINS0_14default_configENS1_38merge_sort_block_merge_config_selectorIalEEZZNS1_27merge_sort_block_merge_implIS3_PaN6thrust23THRUST_200600_302600_NS10device_ptrIlEEjNS1_19radix_merge_compareILb0ELb0EaNS0_19identity_decomposerEEEEE10hipError_tT0_T1_T2_jT3_P12ihipStream_tbPNSt15iterator_traitsISG_E10value_typeEPNSM_ISH_E10value_typeEPSI_NS1_7vsmem_tEENKUlT_SG_SH_SI_E_clIS7_S7_SB_PlEESF_SV_SG_SH_SI_EUlSV_E1_NS1_11comp_targetILNS1_3genE4ELNS1_11target_archE910ELNS1_3gpuE8ELNS1_3repE0EEENS1_36merge_oddeven_config_static_selectorELNS0_4arch9wavefront6targetE1EEEvSH_, .Lfunc_end521-_ZN7rocprim17ROCPRIM_400000_NS6detail17trampoline_kernelINS0_14default_configENS1_38merge_sort_block_merge_config_selectorIalEEZZNS1_27merge_sort_block_merge_implIS3_PaN6thrust23THRUST_200600_302600_NS10device_ptrIlEEjNS1_19radix_merge_compareILb0ELb0EaNS0_19identity_decomposerEEEEE10hipError_tT0_T1_T2_jT3_P12ihipStream_tbPNSt15iterator_traitsISG_E10value_typeEPNSM_ISH_E10value_typeEPSI_NS1_7vsmem_tEENKUlT_SG_SH_SI_E_clIS7_S7_SB_PlEESF_SV_SG_SH_SI_EUlSV_E1_NS1_11comp_targetILNS1_3genE4ELNS1_11target_archE910ELNS1_3gpuE8ELNS1_3repE0EEENS1_36merge_oddeven_config_static_selectorELNS0_4arch9wavefront6targetE1EEEvSH_
                                        ; -- End function
	.section	.AMDGPU.csdata,"",@progbits
; Kernel info:
; codeLenInByte = 728
; NumSgprs: 28
; NumVgprs: 10
; NumAgprs: 0
; TotalNumVgprs: 10
; ScratchSize: 0
; MemoryBound: 0
; FloatMode: 240
; IeeeMode: 1
; LDSByteSize: 0 bytes/workgroup (compile time only)
; SGPRBlocks: 3
; VGPRBlocks: 1
; NumSGPRsForWavesPerEU: 28
; NumVGPRsForWavesPerEU: 10
; AccumOffset: 12
; Occupancy: 8
; WaveLimiterHint : 0
; COMPUTE_PGM_RSRC2:SCRATCH_EN: 0
; COMPUTE_PGM_RSRC2:USER_SGPR: 6
; COMPUTE_PGM_RSRC2:TRAP_HANDLER: 0
; COMPUTE_PGM_RSRC2:TGID_X_EN: 1
; COMPUTE_PGM_RSRC2:TGID_Y_EN: 0
; COMPUTE_PGM_RSRC2:TGID_Z_EN: 0
; COMPUTE_PGM_RSRC2:TIDIG_COMP_CNT: 0
; COMPUTE_PGM_RSRC3_GFX90A:ACCUM_OFFSET: 2
; COMPUTE_PGM_RSRC3_GFX90A:TG_SPLIT: 0
	.section	.text._ZN7rocprim17ROCPRIM_400000_NS6detail17trampoline_kernelINS0_14default_configENS1_38merge_sort_block_merge_config_selectorIalEEZZNS1_27merge_sort_block_merge_implIS3_PaN6thrust23THRUST_200600_302600_NS10device_ptrIlEEjNS1_19radix_merge_compareILb0ELb0EaNS0_19identity_decomposerEEEEE10hipError_tT0_T1_T2_jT3_P12ihipStream_tbPNSt15iterator_traitsISG_E10value_typeEPNSM_ISH_E10value_typeEPSI_NS1_7vsmem_tEENKUlT_SG_SH_SI_E_clIS7_S7_SB_PlEESF_SV_SG_SH_SI_EUlSV_E1_NS1_11comp_targetILNS1_3genE3ELNS1_11target_archE908ELNS1_3gpuE7ELNS1_3repE0EEENS1_36merge_oddeven_config_static_selectorELNS0_4arch9wavefront6targetE1EEEvSH_,"axG",@progbits,_ZN7rocprim17ROCPRIM_400000_NS6detail17trampoline_kernelINS0_14default_configENS1_38merge_sort_block_merge_config_selectorIalEEZZNS1_27merge_sort_block_merge_implIS3_PaN6thrust23THRUST_200600_302600_NS10device_ptrIlEEjNS1_19radix_merge_compareILb0ELb0EaNS0_19identity_decomposerEEEEE10hipError_tT0_T1_T2_jT3_P12ihipStream_tbPNSt15iterator_traitsISG_E10value_typeEPNSM_ISH_E10value_typeEPSI_NS1_7vsmem_tEENKUlT_SG_SH_SI_E_clIS7_S7_SB_PlEESF_SV_SG_SH_SI_EUlSV_E1_NS1_11comp_targetILNS1_3genE3ELNS1_11target_archE908ELNS1_3gpuE7ELNS1_3repE0EEENS1_36merge_oddeven_config_static_selectorELNS0_4arch9wavefront6targetE1EEEvSH_,comdat
	.protected	_ZN7rocprim17ROCPRIM_400000_NS6detail17trampoline_kernelINS0_14default_configENS1_38merge_sort_block_merge_config_selectorIalEEZZNS1_27merge_sort_block_merge_implIS3_PaN6thrust23THRUST_200600_302600_NS10device_ptrIlEEjNS1_19radix_merge_compareILb0ELb0EaNS0_19identity_decomposerEEEEE10hipError_tT0_T1_T2_jT3_P12ihipStream_tbPNSt15iterator_traitsISG_E10value_typeEPNSM_ISH_E10value_typeEPSI_NS1_7vsmem_tEENKUlT_SG_SH_SI_E_clIS7_S7_SB_PlEESF_SV_SG_SH_SI_EUlSV_E1_NS1_11comp_targetILNS1_3genE3ELNS1_11target_archE908ELNS1_3gpuE7ELNS1_3repE0EEENS1_36merge_oddeven_config_static_selectorELNS0_4arch9wavefront6targetE1EEEvSH_ ; -- Begin function _ZN7rocprim17ROCPRIM_400000_NS6detail17trampoline_kernelINS0_14default_configENS1_38merge_sort_block_merge_config_selectorIalEEZZNS1_27merge_sort_block_merge_implIS3_PaN6thrust23THRUST_200600_302600_NS10device_ptrIlEEjNS1_19radix_merge_compareILb0ELb0EaNS0_19identity_decomposerEEEEE10hipError_tT0_T1_T2_jT3_P12ihipStream_tbPNSt15iterator_traitsISG_E10value_typeEPNSM_ISH_E10value_typeEPSI_NS1_7vsmem_tEENKUlT_SG_SH_SI_E_clIS7_S7_SB_PlEESF_SV_SG_SH_SI_EUlSV_E1_NS1_11comp_targetILNS1_3genE3ELNS1_11target_archE908ELNS1_3gpuE7ELNS1_3repE0EEENS1_36merge_oddeven_config_static_selectorELNS0_4arch9wavefront6targetE1EEEvSH_
	.globl	_ZN7rocprim17ROCPRIM_400000_NS6detail17trampoline_kernelINS0_14default_configENS1_38merge_sort_block_merge_config_selectorIalEEZZNS1_27merge_sort_block_merge_implIS3_PaN6thrust23THRUST_200600_302600_NS10device_ptrIlEEjNS1_19radix_merge_compareILb0ELb0EaNS0_19identity_decomposerEEEEE10hipError_tT0_T1_T2_jT3_P12ihipStream_tbPNSt15iterator_traitsISG_E10value_typeEPNSM_ISH_E10value_typeEPSI_NS1_7vsmem_tEENKUlT_SG_SH_SI_E_clIS7_S7_SB_PlEESF_SV_SG_SH_SI_EUlSV_E1_NS1_11comp_targetILNS1_3genE3ELNS1_11target_archE908ELNS1_3gpuE7ELNS1_3repE0EEENS1_36merge_oddeven_config_static_selectorELNS0_4arch9wavefront6targetE1EEEvSH_
	.p2align	8
	.type	_ZN7rocprim17ROCPRIM_400000_NS6detail17trampoline_kernelINS0_14default_configENS1_38merge_sort_block_merge_config_selectorIalEEZZNS1_27merge_sort_block_merge_implIS3_PaN6thrust23THRUST_200600_302600_NS10device_ptrIlEEjNS1_19radix_merge_compareILb0ELb0EaNS0_19identity_decomposerEEEEE10hipError_tT0_T1_T2_jT3_P12ihipStream_tbPNSt15iterator_traitsISG_E10value_typeEPNSM_ISH_E10value_typeEPSI_NS1_7vsmem_tEENKUlT_SG_SH_SI_E_clIS7_S7_SB_PlEESF_SV_SG_SH_SI_EUlSV_E1_NS1_11comp_targetILNS1_3genE3ELNS1_11target_archE908ELNS1_3gpuE7ELNS1_3repE0EEENS1_36merge_oddeven_config_static_selectorELNS0_4arch9wavefront6targetE1EEEvSH_,@function
_ZN7rocprim17ROCPRIM_400000_NS6detail17trampoline_kernelINS0_14default_configENS1_38merge_sort_block_merge_config_selectorIalEEZZNS1_27merge_sort_block_merge_implIS3_PaN6thrust23THRUST_200600_302600_NS10device_ptrIlEEjNS1_19radix_merge_compareILb0ELb0EaNS0_19identity_decomposerEEEEE10hipError_tT0_T1_T2_jT3_P12ihipStream_tbPNSt15iterator_traitsISG_E10value_typeEPNSM_ISH_E10value_typeEPSI_NS1_7vsmem_tEENKUlT_SG_SH_SI_E_clIS7_S7_SB_PlEESF_SV_SG_SH_SI_EUlSV_E1_NS1_11comp_targetILNS1_3genE3ELNS1_11target_archE908ELNS1_3gpuE7ELNS1_3repE0EEENS1_36merge_oddeven_config_static_selectorELNS0_4arch9wavefront6targetE1EEEvSH_: ; @_ZN7rocprim17ROCPRIM_400000_NS6detail17trampoline_kernelINS0_14default_configENS1_38merge_sort_block_merge_config_selectorIalEEZZNS1_27merge_sort_block_merge_implIS3_PaN6thrust23THRUST_200600_302600_NS10device_ptrIlEEjNS1_19radix_merge_compareILb0ELb0EaNS0_19identity_decomposerEEEEE10hipError_tT0_T1_T2_jT3_P12ihipStream_tbPNSt15iterator_traitsISG_E10value_typeEPNSM_ISH_E10value_typeEPSI_NS1_7vsmem_tEENKUlT_SG_SH_SI_E_clIS7_S7_SB_PlEESF_SV_SG_SH_SI_EUlSV_E1_NS1_11comp_targetILNS1_3genE3ELNS1_11target_archE908ELNS1_3gpuE7ELNS1_3repE0EEENS1_36merge_oddeven_config_static_selectorELNS0_4arch9wavefront6targetE1EEEvSH_
; %bb.0:
	.section	.rodata,"a",@progbits
	.p2align	6, 0x0
	.amdhsa_kernel _ZN7rocprim17ROCPRIM_400000_NS6detail17trampoline_kernelINS0_14default_configENS1_38merge_sort_block_merge_config_selectorIalEEZZNS1_27merge_sort_block_merge_implIS3_PaN6thrust23THRUST_200600_302600_NS10device_ptrIlEEjNS1_19radix_merge_compareILb0ELb0EaNS0_19identity_decomposerEEEEE10hipError_tT0_T1_T2_jT3_P12ihipStream_tbPNSt15iterator_traitsISG_E10value_typeEPNSM_ISH_E10value_typeEPSI_NS1_7vsmem_tEENKUlT_SG_SH_SI_E_clIS7_S7_SB_PlEESF_SV_SG_SH_SI_EUlSV_E1_NS1_11comp_targetILNS1_3genE3ELNS1_11target_archE908ELNS1_3gpuE7ELNS1_3repE0EEENS1_36merge_oddeven_config_static_selectorELNS0_4arch9wavefront6targetE1EEEvSH_
		.amdhsa_group_segment_fixed_size 0
		.amdhsa_private_segment_fixed_size 0
		.amdhsa_kernarg_size 48
		.amdhsa_user_sgpr_count 6
		.amdhsa_user_sgpr_private_segment_buffer 1
		.amdhsa_user_sgpr_dispatch_ptr 0
		.amdhsa_user_sgpr_queue_ptr 0
		.amdhsa_user_sgpr_kernarg_segment_ptr 1
		.amdhsa_user_sgpr_dispatch_id 0
		.amdhsa_user_sgpr_flat_scratch_init 0
		.amdhsa_user_sgpr_kernarg_preload_length 0
		.amdhsa_user_sgpr_kernarg_preload_offset 0
		.amdhsa_user_sgpr_private_segment_size 0
		.amdhsa_uses_dynamic_stack 0
		.amdhsa_system_sgpr_private_segment_wavefront_offset 0
		.amdhsa_system_sgpr_workgroup_id_x 1
		.amdhsa_system_sgpr_workgroup_id_y 0
		.amdhsa_system_sgpr_workgroup_id_z 0
		.amdhsa_system_sgpr_workgroup_info 0
		.amdhsa_system_vgpr_workitem_id 0
		.amdhsa_next_free_vgpr 1
		.amdhsa_next_free_sgpr 0
		.amdhsa_accum_offset 4
		.amdhsa_reserve_vcc 0
		.amdhsa_reserve_flat_scratch 0
		.amdhsa_float_round_mode_32 0
		.amdhsa_float_round_mode_16_64 0
		.amdhsa_float_denorm_mode_32 3
		.amdhsa_float_denorm_mode_16_64 3
		.amdhsa_dx10_clamp 1
		.amdhsa_ieee_mode 1
		.amdhsa_fp16_overflow 0
		.amdhsa_tg_split 0
		.amdhsa_exception_fp_ieee_invalid_op 0
		.amdhsa_exception_fp_denorm_src 0
		.amdhsa_exception_fp_ieee_div_zero 0
		.amdhsa_exception_fp_ieee_overflow 0
		.amdhsa_exception_fp_ieee_underflow 0
		.amdhsa_exception_fp_ieee_inexact 0
		.amdhsa_exception_int_div_zero 0
	.end_amdhsa_kernel
	.section	.text._ZN7rocprim17ROCPRIM_400000_NS6detail17trampoline_kernelINS0_14default_configENS1_38merge_sort_block_merge_config_selectorIalEEZZNS1_27merge_sort_block_merge_implIS3_PaN6thrust23THRUST_200600_302600_NS10device_ptrIlEEjNS1_19radix_merge_compareILb0ELb0EaNS0_19identity_decomposerEEEEE10hipError_tT0_T1_T2_jT3_P12ihipStream_tbPNSt15iterator_traitsISG_E10value_typeEPNSM_ISH_E10value_typeEPSI_NS1_7vsmem_tEENKUlT_SG_SH_SI_E_clIS7_S7_SB_PlEESF_SV_SG_SH_SI_EUlSV_E1_NS1_11comp_targetILNS1_3genE3ELNS1_11target_archE908ELNS1_3gpuE7ELNS1_3repE0EEENS1_36merge_oddeven_config_static_selectorELNS0_4arch9wavefront6targetE1EEEvSH_,"axG",@progbits,_ZN7rocprim17ROCPRIM_400000_NS6detail17trampoline_kernelINS0_14default_configENS1_38merge_sort_block_merge_config_selectorIalEEZZNS1_27merge_sort_block_merge_implIS3_PaN6thrust23THRUST_200600_302600_NS10device_ptrIlEEjNS1_19radix_merge_compareILb0ELb0EaNS0_19identity_decomposerEEEEE10hipError_tT0_T1_T2_jT3_P12ihipStream_tbPNSt15iterator_traitsISG_E10value_typeEPNSM_ISH_E10value_typeEPSI_NS1_7vsmem_tEENKUlT_SG_SH_SI_E_clIS7_S7_SB_PlEESF_SV_SG_SH_SI_EUlSV_E1_NS1_11comp_targetILNS1_3genE3ELNS1_11target_archE908ELNS1_3gpuE7ELNS1_3repE0EEENS1_36merge_oddeven_config_static_selectorELNS0_4arch9wavefront6targetE1EEEvSH_,comdat
.Lfunc_end522:
	.size	_ZN7rocprim17ROCPRIM_400000_NS6detail17trampoline_kernelINS0_14default_configENS1_38merge_sort_block_merge_config_selectorIalEEZZNS1_27merge_sort_block_merge_implIS3_PaN6thrust23THRUST_200600_302600_NS10device_ptrIlEEjNS1_19radix_merge_compareILb0ELb0EaNS0_19identity_decomposerEEEEE10hipError_tT0_T1_T2_jT3_P12ihipStream_tbPNSt15iterator_traitsISG_E10value_typeEPNSM_ISH_E10value_typeEPSI_NS1_7vsmem_tEENKUlT_SG_SH_SI_E_clIS7_S7_SB_PlEESF_SV_SG_SH_SI_EUlSV_E1_NS1_11comp_targetILNS1_3genE3ELNS1_11target_archE908ELNS1_3gpuE7ELNS1_3repE0EEENS1_36merge_oddeven_config_static_selectorELNS0_4arch9wavefront6targetE1EEEvSH_, .Lfunc_end522-_ZN7rocprim17ROCPRIM_400000_NS6detail17trampoline_kernelINS0_14default_configENS1_38merge_sort_block_merge_config_selectorIalEEZZNS1_27merge_sort_block_merge_implIS3_PaN6thrust23THRUST_200600_302600_NS10device_ptrIlEEjNS1_19radix_merge_compareILb0ELb0EaNS0_19identity_decomposerEEEEE10hipError_tT0_T1_T2_jT3_P12ihipStream_tbPNSt15iterator_traitsISG_E10value_typeEPNSM_ISH_E10value_typeEPSI_NS1_7vsmem_tEENKUlT_SG_SH_SI_E_clIS7_S7_SB_PlEESF_SV_SG_SH_SI_EUlSV_E1_NS1_11comp_targetILNS1_3genE3ELNS1_11target_archE908ELNS1_3gpuE7ELNS1_3repE0EEENS1_36merge_oddeven_config_static_selectorELNS0_4arch9wavefront6targetE1EEEvSH_
                                        ; -- End function
	.section	.AMDGPU.csdata,"",@progbits
; Kernel info:
; codeLenInByte = 0
; NumSgprs: 4
; NumVgprs: 0
; NumAgprs: 0
; TotalNumVgprs: 0
; ScratchSize: 0
; MemoryBound: 0
; FloatMode: 240
; IeeeMode: 1
; LDSByteSize: 0 bytes/workgroup (compile time only)
; SGPRBlocks: 0
; VGPRBlocks: 0
; NumSGPRsForWavesPerEU: 4
; NumVGPRsForWavesPerEU: 1
; AccumOffset: 4
; Occupancy: 8
; WaveLimiterHint : 0
; COMPUTE_PGM_RSRC2:SCRATCH_EN: 0
; COMPUTE_PGM_RSRC2:USER_SGPR: 6
; COMPUTE_PGM_RSRC2:TRAP_HANDLER: 0
; COMPUTE_PGM_RSRC2:TGID_X_EN: 1
; COMPUTE_PGM_RSRC2:TGID_Y_EN: 0
; COMPUTE_PGM_RSRC2:TGID_Z_EN: 0
; COMPUTE_PGM_RSRC2:TIDIG_COMP_CNT: 0
; COMPUTE_PGM_RSRC3_GFX90A:ACCUM_OFFSET: 0
; COMPUTE_PGM_RSRC3_GFX90A:TG_SPLIT: 0
	.section	.text._ZN7rocprim17ROCPRIM_400000_NS6detail17trampoline_kernelINS0_14default_configENS1_38merge_sort_block_merge_config_selectorIalEEZZNS1_27merge_sort_block_merge_implIS3_PaN6thrust23THRUST_200600_302600_NS10device_ptrIlEEjNS1_19radix_merge_compareILb0ELb0EaNS0_19identity_decomposerEEEEE10hipError_tT0_T1_T2_jT3_P12ihipStream_tbPNSt15iterator_traitsISG_E10value_typeEPNSM_ISH_E10value_typeEPSI_NS1_7vsmem_tEENKUlT_SG_SH_SI_E_clIS7_S7_SB_PlEESF_SV_SG_SH_SI_EUlSV_E1_NS1_11comp_targetILNS1_3genE2ELNS1_11target_archE906ELNS1_3gpuE6ELNS1_3repE0EEENS1_36merge_oddeven_config_static_selectorELNS0_4arch9wavefront6targetE1EEEvSH_,"axG",@progbits,_ZN7rocprim17ROCPRIM_400000_NS6detail17trampoline_kernelINS0_14default_configENS1_38merge_sort_block_merge_config_selectorIalEEZZNS1_27merge_sort_block_merge_implIS3_PaN6thrust23THRUST_200600_302600_NS10device_ptrIlEEjNS1_19radix_merge_compareILb0ELb0EaNS0_19identity_decomposerEEEEE10hipError_tT0_T1_T2_jT3_P12ihipStream_tbPNSt15iterator_traitsISG_E10value_typeEPNSM_ISH_E10value_typeEPSI_NS1_7vsmem_tEENKUlT_SG_SH_SI_E_clIS7_S7_SB_PlEESF_SV_SG_SH_SI_EUlSV_E1_NS1_11comp_targetILNS1_3genE2ELNS1_11target_archE906ELNS1_3gpuE6ELNS1_3repE0EEENS1_36merge_oddeven_config_static_selectorELNS0_4arch9wavefront6targetE1EEEvSH_,comdat
	.protected	_ZN7rocprim17ROCPRIM_400000_NS6detail17trampoline_kernelINS0_14default_configENS1_38merge_sort_block_merge_config_selectorIalEEZZNS1_27merge_sort_block_merge_implIS3_PaN6thrust23THRUST_200600_302600_NS10device_ptrIlEEjNS1_19radix_merge_compareILb0ELb0EaNS0_19identity_decomposerEEEEE10hipError_tT0_T1_T2_jT3_P12ihipStream_tbPNSt15iterator_traitsISG_E10value_typeEPNSM_ISH_E10value_typeEPSI_NS1_7vsmem_tEENKUlT_SG_SH_SI_E_clIS7_S7_SB_PlEESF_SV_SG_SH_SI_EUlSV_E1_NS1_11comp_targetILNS1_3genE2ELNS1_11target_archE906ELNS1_3gpuE6ELNS1_3repE0EEENS1_36merge_oddeven_config_static_selectorELNS0_4arch9wavefront6targetE1EEEvSH_ ; -- Begin function _ZN7rocprim17ROCPRIM_400000_NS6detail17trampoline_kernelINS0_14default_configENS1_38merge_sort_block_merge_config_selectorIalEEZZNS1_27merge_sort_block_merge_implIS3_PaN6thrust23THRUST_200600_302600_NS10device_ptrIlEEjNS1_19radix_merge_compareILb0ELb0EaNS0_19identity_decomposerEEEEE10hipError_tT0_T1_T2_jT3_P12ihipStream_tbPNSt15iterator_traitsISG_E10value_typeEPNSM_ISH_E10value_typeEPSI_NS1_7vsmem_tEENKUlT_SG_SH_SI_E_clIS7_S7_SB_PlEESF_SV_SG_SH_SI_EUlSV_E1_NS1_11comp_targetILNS1_3genE2ELNS1_11target_archE906ELNS1_3gpuE6ELNS1_3repE0EEENS1_36merge_oddeven_config_static_selectorELNS0_4arch9wavefront6targetE1EEEvSH_
	.globl	_ZN7rocprim17ROCPRIM_400000_NS6detail17trampoline_kernelINS0_14default_configENS1_38merge_sort_block_merge_config_selectorIalEEZZNS1_27merge_sort_block_merge_implIS3_PaN6thrust23THRUST_200600_302600_NS10device_ptrIlEEjNS1_19radix_merge_compareILb0ELb0EaNS0_19identity_decomposerEEEEE10hipError_tT0_T1_T2_jT3_P12ihipStream_tbPNSt15iterator_traitsISG_E10value_typeEPNSM_ISH_E10value_typeEPSI_NS1_7vsmem_tEENKUlT_SG_SH_SI_E_clIS7_S7_SB_PlEESF_SV_SG_SH_SI_EUlSV_E1_NS1_11comp_targetILNS1_3genE2ELNS1_11target_archE906ELNS1_3gpuE6ELNS1_3repE0EEENS1_36merge_oddeven_config_static_selectorELNS0_4arch9wavefront6targetE1EEEvSH_
	.p2align	8
	.type	_ZN7rocprim17ROCPRIM_400000_NS6detail17trampoline_kernelINS0_14default_configENS1_38merge_sort_block_merge_config_selectorIalEEZZNS1_27merge_sort_block_merge_implIS3_PaN6thrust23THRUST_200600_302600_NS10device_ptrIlEEjNS1_19radix_merge_compareILb0ELb0EaNS0_19identity_decomposerEEEEE10hipError_tT0_T1_T2_jT3_P12ihipStream_tbPNSt15iterator_traitsISG_E10value_typeEPNSM_ISH_E10value_typeEPSI_NS1_7vsmem_tEENKUlT_SG_SH_SI_E_clIS7_S7_SB_PlEESF_SV_SG_SH_SI_EUlSV_E1_NS1_11comp_targetILNS1_3genE2ELNS1_11target_archE906ELNS1_3gpuE6ELNS1_3repE0EEENS1_36merge_oddeven_config_static_selectorELNS0_4arch9wavefront6targetE1EEEvSH_,@function
_ZN7rocprim17ROCPRIM_400000_NS6detail17trampoline_kernelINS0_14default_configENS1_38merge_sort_block_merge_config_selectorIalEEZZNS1_27merge_sort_block_merge_implIS3_PaN6thrust23THRUST_200600_302600_NS10device_ptrIlEEjNS1_19radix_merge_compareILb0ELb0EaNS0_19identity_decomposerEEEEE10hipError_tT0_T1_T2_jT3_P12ihipStream_tbPNSt15iterator_traitsISG_E10value_typeEPNSM_ISH_E10value_typeEPSI_NS1_7vsmem_tEENKUlT_SG_SH_SI_E_clIS7_S7_SB_PlEESF_SV_SG_SH_SI_EUlSV_E1_NS1_11comp_targetILNS1_3genE2ELNS1_11target_archE906ELNS1_3gpuE6ELNS1_3repE0EEENS1_36merge_oddeven_config_static_selectorELNS0_4arch9wavefront6targetE1EEEvSH_: ; @_ZN7rocprim17ROCPRIM_400000_NS6detail17trampoline_kernelINS0_14default_configENS1_38merge_sort_block_merge_config_selectorIalEEZZNS1_27merge_sort_block_merge_implIS3_PaN6thrust23THRUST_200600_302600_NS10device_ptrIlEEjNS1_19radix_merge_compareILb0ELb0EaNS0_19identity_decomposerEEEEE10hipError_tT0_T1_T2_jT3_P12ihipStream_tbPNSt15iterator_traitsISG_E10value_typeEPNSM_ISH_E10value_typeEPSI_NS1_7vsmem_tEENKUlT_SG_SH_SI_E_clIS7_S7_SB_PlEESF_SV_SG_SH_SI_EUlSV_E1_NS1_11comp_targetILNS1_3genE2ELNS1_11target_archE906ELNS1_3gpuE6ELNS1_3repE0EEENS1_36merge_oddeven_config_static_selectorELNS0_4arch9wavefront6targetE1EEEvSH_
; %bb.0:
	.section	.rodata,"a",@progbits
	.p2align	6, 0x0
	.amdhsa_kernel _ZN7rocprim17ROCPRIM_400000_NS6detail17trampoline_kernelINS0_14default_configENS1_38merge_sort_block_merge_config_selectorIalEEZZNS1_27merge_sort_block_merge_implIS3_PaN6thrust23THRUST_200600_302600_NS10device_ptrIlEEjNS1_19radix_merge_compareILb0ELb0EaNS0_19identity_decomposerEEEEE10hipError_tT0_T1_T2_jT3_P12ihipStream_tbPNSt15iterator_traitsISG_E10value_typeEPNSM_ISH_E10value_typeEPSI_NS1_7vsmem_tEENKUlT_SG_SH_SI_E_clIS7_S7_SB_PlEESF_SV_SG_SH_SI_EUlSV_E1_NS1_11comp_targetILNS1_3genE2ELNS1_11target_archE906ELNS1_3gpuE6ELNS1_3repE0EEENS1_36merge_oddeven_config_static_selectorELNS0_4arch9wavefront6targetE1EEEvSH_
		.amdhsa_group_segment_fixed_size 0
		.amdhsa_private_segment_fixed_size 0
		.amdhsa_kernarg_size 48
		.amdhsa_user_sgpr_count 6
		.amdhsa_user_sgpr_private_segment_buffer 1
		.amdhsa_user_sgpr_dispatch_ptr 0
		.amdhsa_user_sgpr_queue_ptr 0
		.amdhsa_user_sgpr_kernarg_segment_ptr 1
		.amdhsa_user_sgpr_dispatch_id 0
		.amdhsa_user_sgpr_flat_scratch_init 0
		.amdhsa_user_sgpr_kernarg_preload_length 0
		.amdhsa_user_sgpr_kernarg_preload_offset 0
		.amdhsa_user_sgpr_private_segment_size 0
		.amdhsa_uses_dynamic_stack 0
		.amdhsa_system_sgpr_private_segment_wavefront_offset 0
		.amdhsa_system_sgpr_workgroup_id_x 1
		.amdhsa_system_sgpr_workgroup_id_y 0
		.amdhsa_system_sgpr_workgroup_id_z 0
		.amdhsa_system_sgpr_workgroup_info 0
		.amdhsa_system_vgpr_workitem_id 0
		.amdhsa_next_free_vgpr 1
		.amdhsa_next_free_sgpr 0
		.amdhsa_accum_offset 4
		.amdhsa_reserve_vcc 0
		.amdhsa_reserve_flat_scratch 0
		.amdhsa_float_round_mode_32 0
		.amdhsa_float_round_mode_16_64 0
		.amdhsa_float_denorm_mode_32 3
		.amdhsa_float_denorm_mode_16_64 3
		.amdhsa_dx10_clamp 1
		.amdhsa_ieee_mode 1
		.amdhsa_fp16_overflow 0
		.amdhsa_tg_split 0
		.amdhsa_exception_fp_ieee_invalid_op 0
		.amdhsa_exception_fp_denorm_src 0
		.amdhsa_exception_fp_ieee_div_zero 0
		.amdhsa_exception_fp_ieee_overflow 0
		.amdhsa_exception_fp_ieee_underflow 0
		.amdhsa_exception_fp_ieee_inexact 0
		.amdhsa_exception_int_div_zero 0
	.end_amdhsa_kernel
	.section	.text._ZN7rocprim17ROCPRIM_400000_NS6detail17trampoline_kernelINS0_14default_configENS1_38merge_sort_block_merge_config_selectorIalEEZZNS1_27merge_sort_block_merge_implIS3_PaN6thrust23THRUST_200600_302600_NS10device_ptrIlEEjNS1_19radix_merge_compareILb0ELb0EaNS0_19identity_decomposerEEEEE10hipError_tT0_T1_T2_jT3_P12ihipStream_tbPNSt15iterator_traitsISG_E10value_typeEPNSM_ISH_E10value_typeEPSI_NS1_7vsmem_tEENKUlT_SG_SH_SI_E_clIS7_S7_SB_PlEESF_SV_SG_SH_SI_EUlSV_E1_NS1_11comp_targetILNS1_3genE2ELNS1_11target_archE906ELNS1_3gpuE6ELNS1_3repE0EEENS1_36merge_oddeven_config_static_selectorELNS0_4arch9wavefront6targetE1EEEvSH_,"axG",@progbits,_ZN7rocprim17ROCPRIM_400000_NS6detail17trampoline_kernelINS0_14default_configENS1_38merge_sort_block_merge_config_selectorIalEEZZNS1_27merge_sort_block_merge_implIS3_PaN6thrust23THRUST_200600_302600_NS10device_ptrIlEEjNS1_19radix_merge_compareILb0ELb0EaNS0_19identity_decomposerEEEEE10hipError_tT0_T1_T2_jT3_P12ihipStream_tbPNSt15iterator_traitsISG_E10value_typeEPNSM_ISH_E10value_typeEPSI_NS1_7vsmem_tEENKUlT_SG_SH_SI_E_clIS7_S7_SB_PlEESF_SV_SG_SH_SI_EUlSV_E1_NS1_11comp_targetILNS1_3genE2ELNS1_11target_archE906ELNS1_3gpuE6ELNS1_3repE0EEENS1_36merge_oddeven_config_static_selectorELNS0_4arch9wavefront6targetE1EEEvSH_,comdat
.Lfunc_end523:
	.size	_ZN7rocprim17ROCPRIM_400000_NS6detail17trampoline_kernelINS0_14default_configENS1_38merge_sort_block_merge_config_selectorIalEEZZNS1_27merge_sort_block_merge_implIS3_PaN6thrust23THRUST_200600_302600_NS10device_ptrIlEEjNS1_19radix_merge_compareILb0ELb0EaNS0_19identity_decomposerEEEEE10hipError_tT0_T1_T2_jT3_P12ihipStream_tbPNSt15iterator_traitsISG_E10value_typeEPNSM_ISH_E10value_typeEPSI_NS1_7vsmem_tEENKUlT_SG_SH_SI_E_clIS7_S7_SB_PlEESF_SV_SG_SH_SI_EUlSV_E1_NS1_11comp_targetILNS1_3genE2ELNS1_11target_archE906ELNS1_3gpuE6ELNS1_3repE0EEENS1_36merge_oddeven_config_static_selectorELNS0_4arch9wavefront6targetE1EEEvSH_, .Lfunc_end523-_ZN7rocprim17ROCPRIM_400000_NS6detail17trampoline_kernelINS0_14default_configENS1_38merge_sort_block_merge_config_selectorIalEEZZNS1_27merge_sort_block_merge_implIS3_PaN6thrust23THRUST_200600_302600_NS10device_ptrIlEEjNS1_19radix_merge_compareILb0ELb0EaNS0_19identity_decomposerEEEEE10hipError_tT0_T1_T2_jT3_P12ihipStream_tbPNSt15iterator_traitsISG_E10value_typeEPNSM_ISH_E10value_typeEPSI_NS1_7vsmem_tEENKUlT_SG_SH_SI_E_clIS7_S7_SB_PlEESF_SV_SG_SH_SI_EUlSV_E1_NS1_11comp_targetILNS1_3genE2ELNS1_11target_archE906ELNS1_3gpuE6ELNS1_3repE0EEENS1_36merge_oddeven_config_static_selectorELNS0_4arch9wavefront6targetE1EEEvSH_
                                        ; -- End function
	.section	.AMDGPU.csdata,"",@progbits
; Kernel info:
; codeLenInByte = 0
; NumSgprs: 4
; NumVgprs: 0
; NumAgprs: 0
; TotalNumVgprs: 0
; ScratchSize: 0
; MemoryBound: 0
; FloatMode: 240
; IeeeMode: 1
; LDSByteSize: 0 bytes/workgroup (compile time only)
; SGPRBlocks: 0
; VGPRBlocks: 0
; NumSGPRsForWavesPerEU: 4
; NumVGPRsForWavesPerEU: 1
; AccumOffset: 4
; Occupancy: 8
; WaveLimiterHint : 0
; COMPUTE_PGM_RSRC2:SCRATCH_EN: 0
; COMPUTE_PGM_RSRC2:USER_SGPR: 6
; COMPUTE_PGM_RSRC2:TRAP_HANDLER: 0
; COMPUTE_PGM_RSRC2:TGID_X_EN: 1
; COMPUTE_PGM_RSRC2:TGID_Y_EN: 0
; COMPUTE_PGM_RSRC2:TGID_Z_EN: 0
; COMPUTE_PGM_RSRC2:TIDIG_COMP_CNT: 0
; COMPUTE_PGM_RSRC3_GFX90A:ACCUM_OFFSET: 0
; COMPUTE_PGM_RSRC3_GFX90A:TG_SPLIT: 0
	.section	.text._ZN7rocprim17ROCPRIM_400000_NS6detail17trampoline_kernelINS0_14default_configENS1_38merge_sort_block_merge_config_selectorIalEEZZNS1_27merge_sort_block_merge_implIS3_PaN6thrust23THRUST_200600_302600_NS10device_ptrIlEEjNS1_19radix_merge_compareILb0ELb0EaNS0_19identity_decomposerEEEEE10hipError_tT0_T1_T2_jT3_P12ihipStream_tbPNSt15iterator_traitsISG_E10value_typeEPNSM_ISH_E10value_typeEPSI_NS1_7vsmem_tEENKUlT_SG_SH_SI_E_clIS7_S7_SB_PlEESF_SV_SG_SH_SI_EUlSV_E1_NS1_11comp_targetILNS1_3genE9ELNS1_11target_archE1100ELNS1_3gpuE3ELNS1_3repE0EEENS1_36merge_oddeven_config_static_selectorELNS0_4arch9wavefront6targetE1EEEvSH_,"axG",@progbits,_ZN7rocprim17ROCPRIM_400000_NS6detail17trampoline_kernelINS0_14default_configENS1_38merge_sort_block_merge_config_selectorIalEEZZNS1_27merge_sort_block_merge_implIS3_PaN6thrust23THRUST_200600_302600_NS10device_ptrIlEEjNS1_19radix_merge_compareILb0ELb0EaNS0_19identity_decomposerEEEEE10hipError_tT0_T1_T2_jT3_P12ihipStream_tbPNSt15iterator_traitsISG_E10value_typeEPNSM_ISH_E10value_typeEPSI_NS1_7vsmem_tEENKUlT_SG_SH_SI_E_clIS7_S7_SB_PlEESF_SV_SG_SH_SI_EUlSV_E1_NS1_11comp_targetILNS1_3genE9ELNS1_11target_archE1100ELNS1_3gpuE3ELNS1_3repE0EEENS1_36merge_oddeven_config_static_selectorELNS0_4arch9wavefront6targetE1EEEvSH_,comdat
	.protected	_ZN7rocprim17ROCPRIM_400000_NS6detail17trampoline_kernelINS0_14default_configENS1_38merge_sort_block_merge_config_selectorIalEEZZNS1_27merge_sort_block_merge_implIS3_PaN6thrust23THRUST_200600_302600_NS10device_ptrIlEEjNS1_19radix_merge_compareILb0ELb0EaNS0_19identity_decomposerEEEEE10hipError_tT0_T1_T2_jT3_P12ihipStream_tbPNSt15iterator_traitsISG_E10value_typeEPNSM_ISH_E10value_typeEPSI_NS1_7vsmem_tEENKUlT_SG_SH_SI_E_clIS7_S7_SB_PlEESF_SV_SG_SH_SI_EUlSV_E1_NS1_11comp_targetILNS1_3genE9ELNS1_11target_archE1100ELNS1_3gpuE3ELNS1_3repE0EEENS1_36merge_oddeven_config_static_selectorELNS0_4arch9wavefront6targetE1EEEvSH_ ; -- Begin function _ZN7rocprim17ROCPRIM_400000_NS6detail17trampoline_kernelINS0_14default_configENS1_38merge_sort_block_merge_config_selectorIalEEZZNS1_27merge_sort_block_merge_implIS3_PaN6thrust23THRUST_200600_302600_NS10device_ptrIlEEjNS1_19radix_merge_compareILb0ELb0EaNS0_19identity_decomposerEEEEE10hipError_tT0_T1_T2_jT3_P12ihipStream_tbPNSt15iterator_traitsISG_E10value_typeEPNSM_ISH_E10value_typeEPSI_NS1_7vsmem_tEENKUlT_SG_SH_SI_E_clIS7_S7_SB_PlEESF_SV_SG_SH_SI_EUlSV_E1_NS1_11comp_targetILNS1_3genE9ELNS1_11target_archE1100ELNS1_3gpuE3ELNS1_3repE0EEENS1_36merge_oddeven_config_static_selectorELNS0_4arch9wavefront6targetE1EEEvSH_
	.globl	_ZN7rocprim17ROCPRIM_400000_NS6detail17trampoline_kernelINS0_14default_configENS1_38merge_sort_block_merge_config_selectorIalEEZZNS1_27merge_sort_block_merge_implIS3_PaN6thrust23THRUST_200600_302600_NS10device_ptrIlEEjNS1_19radix_merge_compareILb0ELb0EaNS0_19identity_decomposerEEEEE10hipError_tT0_T1_T2_jT3_P12ihipStream_tbPNSt15iterator_traitsISG_E10value_typeEPNSM_ISH_E10value_typeEPSI_NS1_7vsmem_tEENKUlT_SG_SH_SI_E_clIS7_S7_SB_PlEESF_SV_SG_SH_SI_EUlSV_E1_NS1_11comp_targetILNS1_3genE9ELNS1_11target_archE1100ELNS1_3gpuE3ELNS1_3repE0EEENS1_36merge_oddeven_config_static_selectorELNS0_4arch9wavefront6targetE1EEEvSH_
	.p2align	8
	.type	_ZN7rocprim17ROCPRIM_400000_NS6detail17trampoline_kernelINS0_14default_configENS1_38merge_sort_block_merge_config_selectorIalEEZZNS1_27merge_sort_block_merge_implIS3_PaN6thrust23THRUST_200600_302600_NS10device_ptrIlEEjNS1_19radix_merge_compareILb0ELb0EaNS0_19identity_decomposerEEEEE10hipError_tT0_T1_T2_jT3_P12ihipStream_tbPNSt15iterator_traitsISG_E10value_typeEPNSM_ISH_E10value_typeEPSI_NS1_7vsmem_tEENKUlT_SG_SH_SI_E_clIS7_S7_SB_PlEESF_SV_SG_SH_SI_EUlSV_E1_NS1_11comp_targetILNS1_3genE9ELNS1_11target_archE1100ELNS1_3gpuE3ELNS1_3repE0EEENS1_36merge_oddeven_config_static_selectorELNS0_4arch9wavefront6targetE1EEEvSH_,@function
_ZN7rocprim17ROCPRIM_400000_NS6detail17trampoline_kernelINS0_14default_configENS1_38merge_sort_block_merge_config_selectorIalEEZZNS1_27merge_sort_block_merge_implIS3_PaN6thrust23THRUST_200600_302600_NS10device_ptrIlEEjNS1_19radix_merge_compareILb0ELb0EaNS0_19identity_decomposerEEEEE10hipError_tT0_T1_T2_jT3_P12ihipStream_tbPNSt15iterator_traitsISG_E10value_typeEPNSM_ISH_E10value_typeEPSI_NS1_7vsmem_tEENKUlT_SG_SH_SI_E_clIS7_S7_SB_PlEESF_SV_SG_SH_SI_EUlSV_E1_NS1_11comp_targetILNS1_3genE9ELNS1_11target_archE1100ELNS1_3gpuE3ELNS1_3repE0EEENS1_36merge_oddeven_config_static_selectorELNS0_4arch9wavefront6targetE1EEEvSH_: ; @_ZN7rocprim17ROCPRIM_400000_NS6detail17trampoline_kernelINS0_14default_configENS1_38merge_sort_block_merge_config_selectorIalEEZZNS1_27merge_sort_block_merge_implIS3_PaN6thrust23THRUST_200600_302600_NS10device_ptrIlEEjNS1_19radix_merge_compareILb0ELb0EaNS0_19identity_decomposerEEEEE10hipError_tT0_T1_T2_jT3_P12ihipStream_tbPNSt15iterator_traitsISG_E10value_typeEPNSM_ISH_E10value_typeEPSI_NS1_7vsmem_tEENKUlT_SG_SH_SI_E_clIS7_S7_SB_PlEESF_SV_SG_SH_SI_EUlSV_E1_NS1_11comp_targetILNS1_3genE9ELNS1_11target_archE1100ELNS1_3gpuE3ELNS1_3repE0EEENS1_36merge_oddeven_config_static_selectorELNS0_4arch9wavefront6targetE1EEEvSH_
; %bb.0:
	.section	.rodata,"a",@progbits
	.p2align	6, 0x0
	.amdhsa_kernel _ZN7rocprim17ROCPRIM_400000_NS6detail17trampoline_kernelINS0_14default_configENS1_38merge_sort_block_merge_config_selectorIalEEZZNS1_27merge_sort_block_merge_implIS3_PaN6thrust23THRUST_200600_302600_NS10device_ptrIlEEjNS1_19radix_merge_compareILb0ELb0EaNS0_19identity_decomposerEEEEE10hipError_tT0_T1_T2_jT3_P12ihipStream_tbPNSt15iterator_traitsISG_E10value_typeEPNSM_ISH_E10value_typeEPSI_NS1_7vsmem_tEENKUlT_SG_SH_SI_E_clIS7_S7_SB_PlEESF_SV_SG_SH_SI_EUlSV_E1_NS1_11comp_targetILNS1_3genE9ELNS1_11target_archE1100ELNS1_3gpuE3ELNS1_3repE0EEENS1_36merge_oddeven_config_static_selectorELNS0_4arch9wavefront6targetE1EEEvSH_
		.amdhsa_group_segment_fixed_size 0
		.amdhsa_private_segment_fixed_size 0
		.amdhsa_kernarg_size 48
		.amdhsa_user_sgpr_count 6
		.amdhsa_user_sgpr_private_segment_buffer 1
		.amdhsa_user_sgpr_dispatch_ptr 0
		.amdhsa_user_sgpr_queue_ptr 0
		.amdhsa_user_sgpr_kernarg_segment_ptr 1
		.amdhsa_user_sgpr_dispatch_id 0
		.amdhsa_user_sgpr_flat_scratch_init 0
		.amdhsa_user_sgpr_kernarg_preload_length 0
		.amdhsa_user_sgpr_kernarg_preload_offset 0
		.amdhsa_user_sgpr_private_segment_size 0
		.amdhsa_uses_dynamic_stack 0
		.amdhsa_system_sgpr_private_segment_wavefront_offset 0
		.amdhsa_system_sgpr_workgroup_id_x 1
		.amdhsa_system_sgpr_workgroup_id_y 0
		.amdhsa_system_sgpr_workgroup_id_z 0
		.amdhsa_system_sgpr_workgroup_info 0
		.amdhsa_system_vgpr_workitem_id 0
		.amdhsa_next_free_vgpr 1
		.amdhsa_next_free_sgpr 0
		.amdhsa_accum_offset 4
		.amdhsa_reserve_vcc 0
		.amdhsa_reserve_flat_scratch 0
		.amdhsa_float_round_mode_32 0
		.amdhsa_float_round_mode_16_64 0
		.amdhsa_float_denorm_mode_32 3
		.amdhsa_float_denorm_mode_16_64 3
		.amdhsa_dx10_clamp 1
		.amdhsa_ieee_mode 1
		.amdhsa_fp16_overflow 0
		.amdhsa_tg_split 0
		.amdhsa_exception_fp_ieee_invalid_op 0
		.amdhsa_exception_fp_denorm_src 0
		.amdhsa_exception_fp_ieee_div_zero 0
		.amdhsa_exception_fp_ieee_overflow 0
		.amdhsa_exception_fp_ieee_underflow 0
		.amdhsa_exception_fp_ieee_inexact 0
		.amdhsa_exception_int_div_zero 0
	.end_amdhsa_kernel
	.section	.text._ZN7rocprim17ROCPRIM_400000_NS6detail17trampoline_kernelINS0_14default_configENS1_38merge_sort_block_merge_config_selectorIalEEZZNS1_27merge_sort_block_merge_implIS3_PaN6thrust23THRUST_200600_302600_NS10device_ptrIlEEjNS1_19radix_merge_compareILb0ELb0EaNS0_19identity_decomposerEEEEE10hipError_tT0_T1_T2_jT3_P12ihipStream_tbPNSt15iterator_traitsISG_E10value_typeEPNSM_ISH_E10value_typeEPSI_NS1_7vsmem_tEENKUlT_SG_SH_SI_E_clIS7_S7_SB_PlEESF_SV_SG_SH_SI_EUlSV_E1_NS1_11comp_targetILNS1_3genE9ELNS1_11target_archE1100ELNS1_3gpuE3ELNS1_3repE0EEENS1_36merge_oddeven_config_static_selectorELNS0_4arch9wavefront6targetE1EEEvSH_,"axG",@progbits,_ZN7rocprim17ROCPRIM_400000_NS6detail17trampoline_kernelINS0_14default_configENS1_38merge_sort_block_merge_config_selectorIalEEZZNS1_27merge_sort_block_merge_implIS3_PaN6thrust23THRUST_200600_302600_NS10device_ptrIlEEjNS1_19radix_merge_compareILb0ELb0EaNS0_19identity_decomposerEEEEE10hipError_tT0_T1_T2_jT3_P12ihipStream_tbPNSt15iterator_traitsISG_E10value_typeEPNSM_ISH_E10value_typeEPSI_NS1_7vsmem_tEENKUlT_SG_SH_SI_E_clIS7_S7_SB_PlEESF_SV_SG_SH_SI_EUlSV_E1_NS1_11comp_targetILNS1_3genE9ELNS1_11target_archE1100ELNS1_3gpuE3ELNS1_3repE0EEENS1_36merge_oddeven_config_static_selectorELNS0_4arch9wavefront6targetE1EEEvSH_,comdat
.Lfunc_end524:
	.size	_ZN7rocprim17ROCPRIM_400000_NS6detail17trampoline_kernelINS0_14default_configENS1_38merge_sort_block_merge_config_selectorIalEEZZNS1_27merge_sort_block_merge_implIS3_PaN6thrust23THRUST_200600_302600_NS10device_ptrIlEEjNS1_19radix_merge_compareILb0ELb0EaNS0_19identity_decomposerEEEEE10hipError_tT0_T1_T2_jT3_P12ihipStream_tbPNSt15iterator_traitsISG_E10value_typeEPNSM_ISH_E10value_typeEPSI_NS1_7vsmem_tEENKUlT_SG_SH_SI_E_clIS7_S7_SB_PlEESF_SV_SG_SH_SI_EUlSV_E1_NS1_11comp_targetILNS1_3genE9ELNS1_11target_archE1100ELNS1_3gpuE3ELNS1_3repE0EEENS1_36merge_oddeven_config_static_selectorELNS0_4arch9wavefront6targetE1EEEvSH_, .Lfunc_end524-_ZN7rocprim17ROCPRIM_400000_NS6detail17trampoline_kernelINS0_14default_configENS1_38merge_sort_block_merge_config_selectorIalEEZZNS1_27merge_sort_block_merge_implIS3_PaN6thrust23THRUST_200600_302600_NS10device_ptrIlEEjNS1_19radix_merge_compareILb0ELb0EaNS0_19identity_decomposerEEEEE10hipError_tT0_T1_T2_jT3_P12ihipStream_tbPNSt15iterator_traitsISG_E10value_typeEPNSM_ISH_E10value_typeEPSI_NS1_7vsmem_tEENKUlT_SG_SH_SI_E_clIS7_S7_SB_PlEESF_SV_SG_SH_SI_EUlSV_E1_NS1_11comp_targetILNS1_3genE9ELNS1_11target_archE1100ELNS1_3gpuE3ELNS1_3repE0EEENS1_36merge_oddeven_config_static_selectorELNS0_4arch9wavefront6targetE1EEEvSH_
                                        ; -- End function
	.section	.AMDGPU.csdata,"",@progbits
; Kernel info:
; codeLenInByte = 0
; NumSgprs: 4
; NumVgprs: 0
; NumAgprs: 0
; TotalNumVgprs: 0
; ScratchSize: 0
; MemoryBound: 0
; FloatMode: 240
; IeeeMode: 1
; LDSByteSize: 0 bytes/workgroup (compile time only)
; SGPRBlocks: 0
; VGPRBlocks: 0
; NumSGPRsForWavesPerEU: 4
; NumVGPRsForWavesPerEU: 1
; AccumOffset: 4
; Occupancy: 8
; WaveLimiterHint : 0
; COMPUTE_PGM_RSRC2:SCRATCH_EN: 0
; COMPUTE_PGM_RSRC2:USER_SGPR: 6
; COMPUTE_PGM_RSRC2:TRAP_HANDLER: 0
; COMPUTE_PGM_RSRC2:TGID_X_EN: 1
; COMPUTE_PGM_RSRC2:TGID_Y_EN: 0
; COMPUTE_PGM_RSRC2:TGID_Z_EN: 0
; COMPUTE_PGM_RSRC2:TIDIG_COMP_CNT: 0
; COMPUTE_PGM_RSRC3_GFX90A:ACCUM_OFFSET: 0
; COMPUTE_PGM_RSRC3_GFX90A:TG_SPLIT: 0
	.section	.text._ZN7rocprim17ROCPRIM_400000_NS6detail17trampoline_kernelINS0_14default_configENS1_38merge_sort_block_merge_config_selectorIalEEZZNS1_27merge_sort_block_merge_implIS3_PaN6thrust23THRUST_200600_302600_NS10device_ptrIlEEjNS1_19radix_merge_compareILb0ELb0EaNS0_19identity_decomposerEEEEE10hipError_tT0_T1_T2_jT3_P12ihipStream_tbPNSt15iterator_traitsISG_E10value_typeEPNSM_ISH_E10value_typeEPSI_NS1_7vsmem_tEENKUlT_SG_SH_SI_E_clIS7_S7_SB_PlEESF_SV_SG_SH_SI_EUlSV_E1_NS1_11comp_targetILNS1_3genE8ELNS1_11target_archE1030ELNS1_3gpuE2ELNS1_3repE0EEENS1_36merge_oddeven_config_static_selectorELNS0_4arch9wavefront6targetE1EEEvSH_,"axG",@progbits,_ZN7rocprim17ROCPRIM_400000_NS6detail17trampoline_kernelINS0_14default_configENS1_38merge_sort_block_merge_config_selectorIalEEZZNS1_27merge_sort_block_merge_implIS3_PaN6thrust23THRUST_200600_302600_NS10device_ptrIlEEjNS1_19radix_merge_compareILb0ELb0EaNS0_19identity_decomposerEEEEE10hipError_tT0_T1_T2_jT3_P12ihipStream_tbPNSt15iterator_traitsISG_E10value_typeEPNSM_ISH_E10value_typeEPSI_NS1_7vsmem_tEENKUlT_SG_SH_SI_E_clIS7_S7_SB_PlEESF_SV_SG_SH_SI_EUlSV_E1_NS1_11comp_targetILNS1_3genE8ELNS1_11target_archE1030ELNS1_3gpuE2ELNS1_3repE0EEENS1_36merge_oddeven_config_static_selectorELNS0_4arch9wavefront6targetE1EEEvSH_,comdat
	.protected	_ZN7rocprim17ROCPRIM_400000_NS6detail17trampoline_kernelINS0_14default_configENS1_38merge_sort_block_merge_config_selectorIalEEZZNS1_27merge_sort_block_merge_implIS3_PaN6thrust23THRUST_200600_302600_NS10device_ptrIlEEjNS1_19radix_merge_compareILb0ELb0EaNS0_19identity_decomposerEEEEE10hipError_tT0_T1_T2_jT3_P12ihipStream_tbPNSt15iterator_traitsISG_E10value_typeEPNSM_ISH_E10value_typeEPSI_NS1_7vsmem_tEENKUlT_SG_SH_SI_E_clIS7_S7_SB_PlEESF_SV_SG_SH_SI_EUlSV_E1_NS1_11comp_targetILNS1_3genE8ELNS1_11target_archE1030ELNS1_3gpuE2ELNS1_3repE0EEENS1_36merge_oddeven_config_static_selectorELNS0_4arch9wavefront6targetE1EEEvSH_ ; -- Begin function _ZN7rocprim17ROCPRIM_400000_NS6detail17trampoline_kernelINS0_14default_configENS1_38merge_sort_block_merge_config_selectorIalEEZZNS1_27merge_sort_block_merge_implIS3_PaN6thrust23THRUST_200600_302600_NS10device_ptrIlEEjNS1_19radix_merge_compareILb0ELb0EaNS0_19identity_decomposerEEEEE10hipError_tT0_T1_T2_jT3_P12ihipStream_tbPNSt15iterator_traitsISG_E10value_typeEPNSM_ISH_E10value_typeEPSI_NS1_7vsmem_tEENKUlT_SG_SH_SI_E_clIS7_S7_SB_PlEESF_SV_SG_SH_SI_EUlSV_E1_NS1_11comp_targetILNS1_3genE8ELNS1_11target_archE1030ELNS1_3gpuE2ELNS1_3repE0EEENS1_36merge_oddeven_config_static_selectorELNS0_4arch9wavefront6targetE1EEEvSH_
	.globl	_ZN7rocprim17ROCPRIM_400000_NS6detail17trampoline_kernelINS0_14default_configENS1_38merge_sort_block_merge_config_selectorIalEEZZNS1_27merge_sort_block_merge_implIS3_PaN6thrust23THRUST_200600_302600_NS10device_ptrIlEEjNS1_19radix_merge_compareILb0ELb0EaNS0_19identity_decomposerEEEEE10hipError_tT0_T1_T2_jT3_P12ihipStream_tbPNSt15iterator_traitsISG_E10value_typeEPNSM_ISH_E10value_typeEPSI_NS1_7vsmem_tEENKUlT_SG_SH_SI_E_clIS7_S7_SB_PlEESF_SV_SG_SH_SI_EUlSV_E1_NS1_11comp_targetILNS1_3genE8ELNS1_11target_archE1030ELNS1_3gpuE2ELNS1_3repE0EEENS1_36merge_oddeven_config_static_selectorELNS0_4arch9wavefront6targetE1EEEvSH_
	.p2align	8
	.type	_ZN7rocprim17ROCPRIM_400000_NS6detail17trampoline_kernelINS0_14default_configENS1_38merge_sort_block_merge_config_selectorIalEEZZNS1_27merge_sort_block_merge_implIS3_PaN6thrust23THRUST_200600_302600_NS10device_ptrIlEEjNS1_19radix_merge_compareILb0ELb0EaNS0_19identity_decomposerEEEEE10hipError_tT0_T1_T2_jT3_P12ihipStream_tbPNSt15iterator_traitsISG_E10value_typeEPNSM_ISH_E10value_typeEPSI_NS1_7vsmem_tEENKUlT_SG_SH_SI_E_clIS7_S7_SB_PlEESF_SV_SG_SH_SI_EUlSV_E1_NS1_11comp_targetILNS1_3genE8ELNS1_11target_archE1030ELNS1_3gpuE2ELNS1_3repE0EEENS1_36merge_oddeven_config_static_selectorELNS0_4arch9wavefront6targetE1EEEvSH_,@function
_ZN7rocprim17ROCPRIM_400000_NS6detail17trampoline_kernelINS0_14default_configENS1_38merge_sort_block_merge_config_selectorIalEEZZNS1_27merge_sort_block_merge_implIS3_PaN6thrust23THRUST_200600_302600_NS10device_ptrIlEEjNS1_19radix_merge_compareILb0ELb0EaNS0_19identity_decomposerEEEEE10hipError_tT0_T1_T2_jT3_P12ihipStream_tbPNSt15iterator_traitsISG_E10value_typeEPNSM_ISH_E10value_typeEPSI_NS1_7vsmem_tEENKUlT_SG_SH_SI_E_clIS7_S7_SB_PlEESF_SV_SG_SH_SI_EUlSV_E1_NS1_11comp_targetILNS1_3genE8ELNS1_11target_archE1030ELNS1_3gpuE2ELNS1_3repE0EEENS1_36merge_oddeven_config_static_selectorELNS0_4arch9wavefront6targetE1EEEvSH_: ; @_ZN7rocprim17ROCPRIM_400000_NS6detail17trampoline_kernelINS0_14default_configENS1_38merge_sort_block_merge_config_selectorIalEEZZNS1_27merge_sort_block_merge_implIS3_PaN6thrust23THRUST_200600_302600_NS10device_ptrIlEEjNS1_19radix_merge_compareILb0ELb0EaNS0_19identity_decomposerEEEEE10hipError_tT0_T1_T2_jT3_P12ihipStream_tbPNSt15iterator_traitsISG_E10value_typeEPNSM_ISH_E10value_typeEPSI_NS1_7vsmem_tEENKUlT_SG_SH_SI_E_clIS7_S7_SB_PlEESF_SV_SG_SH_SI_EUlSV_E1_NS1_11comp_targetILNS1_3genE8ELNS1_11target_archE1030ELNS1_3gpuE2ELNS1_3repE0EEENS1_36merge_oddeven_config_static_selectorELNS0_4arch9wavefront6targetE1EEEvSH_
; %bb.0:
	.section	.rodata,"a",@progbits
	.p2align	6, 0x0
	.amdhsa_kernel _ZN7rocprim17ROCPRIM_400000_NS6detail17trampoline_kernelINS0_14default_configENS1_38merge_sort_block_merge_config_selectorIalEEZZNS1_27merge_sort_block_merge_implIS3_PaN6thrust23THRUST_200600_302600_NS10device_ptrIlEEjNS1_19radix_merge_compareILb0ELb0EaNS0_19identity_decomposerEEEEE10hipError_tT0_T1_T2_jT3_P12ihipStream_tbPNSt15iterator_traitsISG_E10value_typeEPNSM_ISH_E10value_typeEPSI_NS1_7vsmem_tEENKUlT_SG_SH_SI_E_clIS7_S7_SB_PlEESF_SV_SG_SH_SI_EUlSV_E1_NS1_11comp_targetILNS1_3genE8ELNS1_11target_archE1030ELNS1_3gpuE2ELNS1_3repE0EEENS1_36merge_oddeven_config_static_selectorELNS0_4arch9wavefront6targetE1EEEvSH_
		.amdhsa_group_segment_fixed_size 0
		.amdhsa_private_segment_fixed_size 0
		.amdhsa_kernarg_size 48
		.amdhsa_user_sgpr_count 6
		.amdhsa_user_sgpr_private_segment_buffer 1
		.amdhsa_user_sgpr_dispatch_ptr 0
		.amdhsa_user_sgpr_queue_ptr 0
		.amdhsa_user_sgpr_kernarg_segment_ptr 1
		.amdhsa_user_sgpr_dispatch_id 0
		.amdhsa_user_sgpr_flat_scratch_init 0
		.amdhsa_user_sgpr_kernarg_preload_length 0
		.amdhsa_user_sgpr_kernarg_preload_offset 0
		.amdhsa_user_sgpr_private_segment_size 0
		.amdhsa_uses_dynamic_stack 0
		.amdhsa_system_sgpr_private_segment_wavefront_offset 0
		.amdhsa_system_sgpr_workgroup_id_x 1
		.amdhsa_system_sgpr_workgroup_id_y 0
		.amdhsa_system_sgpr_workgroup_id_z 0
		.amdhsa_system_sgpr_workgroup_info 0
		.amdhsa_system_vgpr_workitem_id 0
		.amdhsa_next_free_vgpr 1
		.amdhsa_next_free_sgpr 0
		.amdhsa_accum_offset 4
		.amdhsa_reserve_vcc 0
		.amdhsa_reserve_flat_scratch 0
		.amdhsa_float_round_mode_32 0
		.amdhsa_float_round_mode_16_64 0
		.amdhsa_float_denorm_mode_32 3
		.amdhsa_float_denorm_mode_16_64 3
		.amdhsa_dx10_clamp 1
		.amdhsa_ieee_mode 1
		.amdhsa_fp16_overflow 0
		.amdhsa_tg_split 0
		.amdhsa_exception_fp_ieee_invalid_op 0
		.amdhsa_exception_fp_denorm_src 0
		.amdhsa_exception_fp_ieee_div_zero 0
		.amdhsa_exception_fp_ieee_overflow 0
		.amdhsa_exception_fp_ieee_underflow 0
		.amdhsa_exception_fp_ieee_inexact 0
		.amdhsa_exception_int_div_zero 0
	.end_amdhsa_kernel
	.section	.text._ZN7rocprim17ROCPRIM_400000_NS6detail17trampoline_kernelINS0_14default_configENS1_38merge_sort_block_merge_config_selectorIalEEZZNS1_27merge_sort_block_merge_implIS3_PaN6thrust23THRUST_200600_302600_NS10device_ptrIlEEjNS1_19radix_merge_compareILb0ELb0EaNS0_19identity_decomposerEEEEE10hipError_tT0_T1_T2_jT3_P12ihipStream_tbPNSt15iterator_traitsISG_E10value_typeEPNSM_ISH_E10value_typeEPSI_NS1_7vsmem_tEENKUlT_SG_SH_SI_E_clIS7_S7_SB_PlEESF_SV_SG_SH_SI_EUlSV_E1_NS1_11comp_targetILNS1_3genE8ELNS1_11target_archE1030ELNS1_3gpuE2ELNS1_3repE0EEENS1_36merge_oddeven_config_static_selectorELNS0_4arch9wavefront6targetE1EEEvSH_,"axG",@progbits,_ZN7rocprim17ROCPRIM_400000_NS6detail17trampoline_kernelINS0_14default_configENS1_38merge_sort_block_merge_config_selectorIalEEZZNS1_27merge_sort_block_merge_implIS3_PaN6thrust23THRUST_200600_302600_NS10device_ptrIlEEjNS1_19radix_merge_compareILb0ELb0EaNS0_19identity_decomposerEEEEE10hipError_tT0_T1_T2_jT3_P12ihipStream_tbPNSt15iterator_traitsISG_E10value_typeEPNSM_ISH_E10value_typeEPSI_NS1_7vsmem_tEENKUlT_SG_SH_SI_E_clIS7_S7_SB_PlEESF_SV_SG_SH_SI_EUlSV_E1_NS1_11comp_targetILNS1_3genE8ELNS1_11target_archE1030ELNS1_3gpuE2ELNS1_3repE0EEENS1_36merge_oddeven_config_static_selectorELNS0_4arch9wavefront6targetE1EEEvSH_,comdat
.Lfunc_end525:
	.size	_ZN7rocprim17ROCPRIM_400000_NS6detail17trampoline_kernelINS0_14default_configENS1_38merge_sort_block_merge_config_selectorIalEEZZNS1_27merge_sort_block_merge_implIS3_PaN6thrust23THRUST_200600_302600_NS10device_ptrIlEEjNS1_19radix_merge_compareILb0ELb0EaNS0_19identity_decomposerEEEEE10hipError_tT0_T1_T2_jT3_P12ihipStream_tbPNSt15iterator_traitsISG_E10value_typeEPNSM_ISH_E10value_typeEPSI_NS1_7vsmem_tEENKUlT_SG_SH_SI_E_clIS7_S7_SB_PlEESF_SV_SG_SH_SI_EUlSV_E1_NS1_11comp_targetILNS1_3genE8ELNS1_11target_archE1030ELNS1_3gpuE2ELNS1_3repE0EEENS1_36merge_oddeven_config_static_selectorELNS0_4arch9wavefront6targetE1EEEvSH_, .Lfunc_end525-_ZN7rocprim17ROCPRIM_400000_NS6detail17trampoline_kernelINS0_14default_configENS1_38merge_sort_block_merge_config_selectorIalEEZZNS1_27merge_sort_block_merge_implIS3_PaN6thrust23THRUST_200600_302600_NS10device_ptrIlEEjNS1_19radix_merge_compareILb0ELb0EaNS0_19identity_decomposerEEEEE10hipError_tT0_T1_T2_jT3_P12ihipStream_tbPNSt15iterator_traitsISG_E10value_typeEPNSM_ISH_E10value_typeEPSI_NS1_7vsmem_tEENKUlT_SG_SH_SI_E_clIS7_S7_SB_PlEESF_SV_SG_SH_SI_EUlSV_E1_NS1_11comp_targetILNS1_3genE8ELNS1_11target_archE1030ELNS1_3gpuE2ELNS1_3repE0EEENS1_36merge_oddeven_config_static_selectorELNS0_4arch9wavefront6targetE1EEEvSH_
                                        ; -- End function
	.section	.AMDGPU.csdata,"",@progbits
; Kernel info:
; codeLenInByte = 0
; NumSgprs: 4
; NumVgprs: 0
; NumAgprs: 0
; TotalNumVgprs: 0
; ScratchSize: 0
; MemoryBound: 0
; FloatMode: 240
; IeeeMode: 1
; LDSByteSize: 0 bytes/workgroup (compile time only)
; SGPRBlocks: 0
; VGPRBlocks: 0
; NumSGPRsForWavesPerEU: 4
; NumVGPRsForWavesPerEU: 1
; AccumOffset: 4
; Occupancy: 8
; WaveLimiterHint : 0
; COMPUTE_PGM_RSRC2:SCRATCH_EN: 0
; COMPUTE_PGM_RSRC2:USER_SGPR: 6
; COMPUTE_PGM_RSRC2:TRAP_HANDLER: 0
; COMPUTE_PGM_RSRC2:TGID_X_EN: 1
; COMPUTE_PGM_RSRC2:TGID_Y_EN: 0
; COMPUTE_PGM_RSRC2:TGID_Z_EN: 0
; COMPUTE_PGM_RSRC2:TIDIG_COMP_CNT: 0
; COMPUTE_PGM_RSRC3_GFX90A:ACCUM_OFFSET: 0
; COMPUTE_PGM_RSRC3_GFX90A:TG_SPLIT: 0
	.section	.text._ZN7rocprim17ROCPRIM_400000_NS6detail17trampoline_kernelINS0_14default_configENS1_25transform_config_selectorIaLb1EEEZNS1_14transform_implILb1ES3_S5_PaS7_NS0_8identityIaEEEE10hipError_tT2_T3_mT4_P12ihipStream_tbEUlT_E_NS1_11comp_targetILNS1_3genE0ELNS1_11target_archE4294967295ELNS1_3gpuE0ELNS1_3repE0EEENS1_30default_config_static_selectorELNS0_4arch9wavefront6targetE1EEEvT1_,"axG",@progbits,_ZN7rocprim17ROCPRIM_400000_NS6detail17trampoline_kernelINS0_14default_configENS1_25transform_config_selectorIaLb1EEEZNS1_14transform_implILb1ES3_S5_PaS7_NS0_8identityIaEEEE10hipError_tT2_T3_mT4_P12ihipStream_tbEUlT_E_NS1_11comp_targetILNS1_3genE0ELNS1_11target_archE4294967295ELNS1_3gpuE0ELNS1_3repE0EEENS1_30default_config_static_selectorELNS0_4arch9wavefront6targetE1EEEvT1_,comdat
	.protected	_ZN7rocprim17ROCPRIM_400000_NS6detail17trampoline_kernelINS0_14default_configENS1_25transform_config_selectorIaLb1EEEZNS1_14transform_implILb1ES3_S5_PaS7_NS0_8identityIaEEEE10hipError_tT2_T3_mT4_P12ihipStream_tbEUlT_E_NS1_11comp_targetILNS1_3genE0ELNS1_11target_archE4294967295ELNS1_3gpuE0ELNS1_3repE0EEENS1_30default_config_static_selectorELNS0_4arch9wavefront6targetE1EEEvT1_ ; -- Begin function _ZN7rocprim17ROCPRIM_400000_NS6detail17trampoline_kernelINS0_14default_configENS1_25transform_config_selectorIaLb1EEEZNS1_14transform_implILb1ES3_S5_PaS7_NS0_8identityIaEEEE10hipError_tT2_T3_mT4_P12ihipStream_tbEUlT_E_NS1_11comp_targetILNS1_3genE0ELNS1_11target_archE4294967295ELNS1_3gpuE0ELNS1_3repE0EEENS1_30default_config_static_selectorELNS0_4arch9wavefront6targetE1EEEvT1_
	.globl	_ZN7rocprim17ROCPRIM_400000_NS6detail17trampoline_kernelINS0_14default_configENS1_25transform_config_selectorIaLb1EEEZNS1_14transform_implILb1ES3_S5_PaS7_NS0_8identityIaEEEE10hipError_tT2_T3_mT4_P12ihipStream_tbEUlT_E_NS1_11comp_targetILNS1_3genE0ELNS1_11target_archE4294967295ELNS1_3gpuE0ELNS1_3repE0EEENS1_30default_config_static_selectorELNS0_4arch9wavefront6targetE1EEEvT1_
	.p2align	8
	.type	_ZN7rocprim17ROCPRIM_400000_NS6detail17trampoline_kernelINS0_14default_configENS1_25transform_config_selectorIaLb1EEEZNS1_14transform_implILb1ES3_S5_PaS7_NS0_8identityIaEEEE10hipError_tT2_T3_mT4_P12ihipStream_tbEUlT_E_NS1_11comp_targetILNS1_3genE0ELNS1_11target_archE4294967295ELNS1_3gpuE0ELNS1_3repE0EEENS1_30default_config_static_selectorELNS0_4arch9wavefront6targetE1EEEvT1_,@function
_ZN7rocprim17ROCPRIM_400000_NS6detail17trampoline_kernelINS0_14default_configENS1_25transform_config_selectorIaLb1EEEZNS1_14transform_implILb1ES3_S5_PaS7_NS0_8identityIaEEEE10hipError_tT2_T3_mT4_P12ihipStream_tbEUlT_E_NS1_11comp_targetILNS1_3genE0ELNS1_11target_archE4294967295ELNS1_3gpuE0ELNS1_3repE0EEENS1_30default_config_static_selectorELNS0_4arch9wavefront6targetE1EEEvT1_: ; @_ZN7rocprim17ROCPRIM_400000_NS6detail17trampoline_kernelINS0_14default_configENS1_25transform_config_selectorIaLb1EEEZNS1_14transform_implILb1ES3_S5_PaS7_NS0_8identityIaEEEE10hipError_tT2_T3_mT4_P12ihipStream_tbEUlT_E_NS1_11comp_targetILNS1_3genE0ELNS1_11target_archE4294967295ELNS1_3gpuE0ELNS1_3repE0EEENS1_30default_config_static_selectorELNS0_4arch9wavefront6targetE1EEEvT1_
; %bb.0:
	.section	.rodata,"a",@progbits
	.p2align	6, 0x0
	.amdhsa_kernel _ZN7rocprim17ROCPRIM_400000_NS6detail17trampoline_kernelINS0_14default_configENS1_25transform_config_selectorIaLb1EEEZNS1_14transform_implILb1ES3_S5_PaS7_NS0_8identityIaEEEE10hipError_tT2_T3_mT4_P12ihipStream_tbEUlT_E_NS1_11comp_targetILNS1_3genE0ELNS1_11target_archE4294967295ELNS1_3gpuE0ELNS1_3repE0EEENS1_30default_config_static_selectorELNS0_4arch9wavefront6targetE1EEEvT1_
		.amdhsa_group_segment_fixed_size 0
		.amdhsa_private_segment_fixed_size 0
		.amdhsa_kernarg_size 40
		.amdhsa_user_sgpr_count 6
		.amdhsa_user_sgpr_private_segment_buffer 1
		.amdhsa_user_sgpr_dispatch_ptr 0
		.amdhsa_user_sgpr_queue_ptr 0
		.amdhsa_user_sgpr_kernarg_segment_ptr 1
		.amdhsa_user_sgpr_dispatch_id 0
		.amdhsa_user_sgpr_flat_scratch_init 0
		.amdhsa_user_sgpr_kernarg_preload_length 0
		.amdhsa_user_sgpr_kernarg_preload_offset 0
		.amdhsa_user_sgpr_private_segment_size 0
		.amdhsa_uses_dynamic_stack 0
		.amdhsa_system_sgpr_private_segment_wavefront_offset 0
		.amdhsa_system_sgpr_workgroup_id_x 1
		.amdhsa_system_sgpr_workgroup_id_y 0
		.amdhsa_system_sgpr_workgroup_id_z 0
		.amdhsa_system_sgpr_workgroup_info 0
		.amdhsa_system_vgpr_workitem_id 0
		.amdhsa_next_free_vgpr 1
		.amdhsa_next_free_sgpr 0
		.amdhsa_accum_offset 4
		.amdhsa_reserve_vcc 0
		.amdhsa_reserve_flat_scratch 0
		.amdhsa_float_round_mode_32 0
		.amdhsa_float_round_mode_16_64 0
		.amdhsa_float_denorm_mode_32 3
		.amdhsa_float_denorm_mode_16_64 3
		.amdhsa_dx10_clamp 1
		.amdhsa_ieee_mode 1
		.amdhsa_fp16_overflow 0
		.amdhsa_tg_split 0
		.amdhsa_exception_fp_ieee_invalid_op 0
		.amdhsa_exception_fp_denorm_src 0
		.amdhsa_exception_fp_ieee_div_zero 0
		.amdhsa_exception_fp_ieee_overflow 0
		.amdhsa_exception_fp_ieee_underflow 0
		.amdhsa_exception_fp_ieee_inexact 0
		.amdhsa_exception_int_div_zero 0
	.end_amdhsa_kernel
	.section	.text._ZN7rocprim17ROCPRIM_400000_NS6detail17trampoline_kernelINS0_14default_configENS1_25transform_config_selectorIaLb1EEEZNS1_14transform_implILb1ES3_S5_PaS7_NS0_8identityIaEEEE10hipError_tT2_T3_mT4_P12ihipStream_tbEUlT_E_NS1_11comp_targetILNS1_3genE0ELNS1_11target_archE4294967295ELNS1_3gpuE0ELNS1_3repE0EEENS1_30default_config_static_selectorELNS0_4arch9wavefront6targetE1EEEvT1_,"axG",@progbits,_ZN7rocprim17ROCPRIM_400000_NS6detail17trampoline_kernelINS0_14default_configENS1_25transform_config_selectorIaLb1EEEZNS1_14transform_implILb1ES3_S5_PaS7_NS0_8identityIaEEEE10hipError_tT2_T3_mT4_P12ihipStream_tbEUlT_E_NS1_11comp_targetILNS1_3genE0ELNS1_11target_archE4294967295ELNS1_3gpuE0ELNS1_3repE0EEENS1_30default_config_static_selectorELNS0_4arch9wavefront6targetE1EEEvT1_,comdat
.Lfunc_end526:
	.size	_ZN7rocprim17ROCPRIM_400000_NS6detail17trampoline_kernelINS0_14default_configENS1_25transform_config_selectorIaLb1EEEZNS1_14transform_implILb1ES3_S5_PaS7_NS0_8identityIaEEEE10hipError_tT2_T3_mT4_P12ihipStream_tbEUlT_E_NS1_11comp_targetILNS1_3genE0ELNS1_11target_archE4294967295ELNS1_3gpuE0ELNS1_3repE0EEENS1_30default_config_static_selectorELNS0_4arch9wavefront6targetE1EEEvT1_, .Lfunc_end526-_ZN7rocprim17ROCPRIM_400000_NS6detail17trampoline_kernelINS0_14default_configENS1_25transform_config_selectorIaLb1EEEZNS1_14transform_implILb1ES3_S5_PaS7_NS0_8identityIaEEEE10hipError_tT2_T3_mT4_P12ihipStream_tbEUlT_E_NS1_11comp_targetILNS1_3genE0ELNS1_11target_archE4294967295ELNS1_3gpuE0ELNS1_3repE0EEENS1_30default_config_static_selectorELNS0_4arch9wavefront6targetE1EEEvT1_
                                        ; -- End function
	.section	.AMDGPU.csdata,"",@progbits
; Kernel info:
; codeLenInByte = 0
; NumSgprs: 4
; NumVgprs: 0
; NumAgprs: 0
; TotalNumVgprs: 0
; ScratchSize: 0
; MemoryBound: 0
; FloatMode: 240
; IeeeMode: 1
; LDSByteSize: 0 bytes/workgroup (compile time only)
; SGPRBlocks: 0
; VGPRBlocks: 0
; NumSGPRsForWavesPerEU: 4
; NumVGPRsForWavesPerEU: 1
; AccumOffset: 4
; Occupancy: 8
; WaveLimiterHint : 0
; COMPUTE_PGM_RSRC2:SCRATCH_EN: 0
; COMPUTE_PGM_RSRC2:USER_SGPR: 6
; COMPUTE_PGM_RSRC2:TRAP_HANDLER: 0
; COMPUTE_PGM_RSRC2:TGID_X_EN: 1
; COMPUTE_PGM_RSRC2:TGID_Y_EN: 0
; COMPUTE_PGM_RSRC2:TGID_Z_EN: 0
; COMPUTE_PGM_RSRC2:TIDIG_COMP_CNT: 0
; COMPUTE_PGM_RSRC3_GFX90A:ACCUM_OFFSET: 0
; COMPUTE_PGM_RSRC3_GFX90A:TG_SPLIT: 0
	.section	.text._ZN7rocprim17ROCPRIM_400000_NS6detail17trampoline_kernelINS0_14default_configENS1_25transform_config_selectorIaLb1EEEZNS1_14transform_implILb1ES3_S5_PaS7_NS0_8identityIaEEEE10hipError_tT2_T3_mT4_P12ihipStream_tbEUlT_E_NS1_11comp_targetILNS1_3genE10ELNS1_11target_archE1201ELNS1_3gpuE5ELNS1_3repE0EEENS1_30default_config_static_selectorELNS0_4arch9wavefront6targetE1EEEvT1_,"axG",@progbits,_ZN7rocprim17ROCPRIM_400000_NS6detail17trampoline_kernelINS0_14default_configENS1_25transform_config_selectorIaLb1EEEZNS1_14transform_implILb1ES3_S5_PaS7_NS0_8identityIaEEEE10hipError_tT2_T3_mT4_P12ihipStream_tbEUlT_E_NS1_11comp_targetILNS1_3genE10ELNS1_11target_archE1201ELNS1_3gpuE5ELNS1_3repE0EEENS1_30default_config_static_selectorELNS0_4arch9wavefront6targetE1EEEvT1_,comdat
	.protected	_ZN7rocprim17ROCPRIM_400000_NS6detail17trampoline_kernelINS0_14default_configENS1_25transform_config_selectorIaLb1EEEZNS1_14transform_implILb1ES3_S5_PaS7_NS0_8identityIaEEEE10hipError_tT2_T3_mT4_P12ihipStream_tbEUlT_E_NS1_11comp_targetILNS1_3genE10ELNS1_11target_archE1201ELNS1_3gpuE5ELNS1_3repE0EEENS1_30default_config_static_selectorELNS0_4arch9wavefront6targetE1EEEvT1_ ; -- Begin function _ZN7rocprim17ROCPRIM_400000_NS6detail17trampoline_kernelINS0_14default_configENS1_25transform_config_selectorIaLb1EEEZNS1_14transform_implILb1ES3_S5_PaS7_NS0_8identityIaEEEE10hipError_tT2_T3_mT4_P12ihipStream_tbEUlT_E_NS1_11comp_targetILNS1_3genE10ELNS1_11target_archE1201ELNS1_3gpuE5ELNS1_3repE0EEENS1_30default_config_static_selectorELNS0_4arch9wavefront6targetE1EEEvT1_
	.globl	_ZN7rocprim17ROCPRIM_400000_NS6detail17trampoline_kernelINS0_14default_configENS1_25transform_config_selectorIaLb1EEEZNS1_14transform_implILb1ES3_S5_PaS7_NS0_8identityIaEEEE10hipError_tT2_T3_mT4_P12ihipStream_tbEUlT_E_NS1_11comp_targetILNS1_3genE10ELNS1_11target_archE1201ELNS1_3gpuE5ELNS1_3repE0EEENS1_30default_config_static_selectorELNS0_4arch9wavefront6targetE1EEEvT1_
	.p2align	8
	.type	_ZN7rocprim17ROCPRIM_400000_NS6detail17trampoline_kernelINS0_14default_configENS1_25transform_config_selectorIaLb1EEEZNS1_14transform_implILb1ES3_S5_PaS7_NS0_8identityIaEEEE10hipError_tT2_T3_mT4_P12ihipStream_tbEUlT_E_NS1_11comp_targetILNS1_3genE10ELNS1_11target_archE1201ELNS1_3gpuE5ELNS1_3repE0EEENS1_30default_config_static_selectorELNS0_4arch9wavefront6targetE1EEEvT1_,@function
_ZN7rocprim17ROCPRIM_400000_NS6detail17trampoline_kernelINS0_14default_configENS1_25transform_config_selectorIaLb1EEEZNS1_14transform_implILb1ES3_S5_PaS7_NS0_8identityIaEEEE10hipError_tT2_T3_mT4_P12ihipStream_tbEUlT_E_NS1_11comp_targetILNS1_3genE10ELNS1_11target_archE1201ELNS1_3gpuE5ELNS1_3repE0EEENS1_30default_config_static_selectorELNS0_4arch9wavefront6targetE1EEEvT1_: ; @_ZN7rocprim17ROCPRIM_400000_NS6detail17trampoline_kernelINS0_14default_configENS1_25transform_config_selectorIaLb1EEEZNS1_14transform_implILb1ES3_S5_PaS7_NS0_8identityIaEEEE10hipError_tT2_T3_mT4_P12ihipStream_tbEUlT_E_NS1_11comp_targetILNS1_3genE10ELNS1_11target_archE1201ELNS1_3gpuE5ELNS1_3repE0EEENS1_30default_config_static_selectorELNS0_4arch9wavefront6targetE1EEEvT1_
; %bb.0:
	.section	.rodata,"a",@progbits
	.p2align	6, 0x0
	.amdhsa_kernel _ZN7rocprim17ROCPRIM_400000_NS6detail17trampoline_kernelINS0_14default_configENS1_25transform_config_selectorIaLb1EEEZNS1_14transform_implILb1ES3_S5_PaS7_NS0_8identityIaEEEE10hipError_tT2_T3_mT4_P12ihipStream_tbEUlT_E_NS1_11comp_targetILNS1_3genE10ELNS1_11target_archE1201ELNS1_3gpuE5ELNS1_3repE0EEENS1_30default_config_static_selectorELNS0_4arch9wavefront6targetE1EEEvT1_
		.amdhsa_group_segment_fixed_size 0
		.amdhsa_private_segment_fixed_size 0
		.amdhsa_kernarg_size 40
		.amdhsa_user_sgpr_count 6
		.amdhsa_user_sgpr_private_segment_buffer 1
		.amdhsa_user_sgpr_dispatch_ptr 0
		.amdhsa_user_sgpr_queue_ptr 0
		.amdhsa_user_sgpr_kernarg_segment_ptr 1
		.amdhsa_user_sgpr_dispatch_id 0
		.amdhsa_user_sgpr_flat_scratch_init 0
		.amdhsa_user_sgpr_kernarg_preload_length 0
		.amdhsa_user_sgpr_kernarg_preload_offset 0
		.amdhsa_user_sgpr_private_segment_size 0
		.amdhsa_uses_dynamic_stack 0
		.amdhsa_system_sgpr_private_segment_wavefront_offset 0
		.amdhsa_system_sgpr_workgroup_id_x 1
		.amdhsa_system_sgpr_workgroup_id_y 0
		.amdhsa_system_sgpr_workgroup_id_z 0
		.amdhsa_system_sgpr_workgroup_info 0
		.amdhsa_system_vgpr_workitem_id 0
		.amdhsa_next_free_vgpr 1
		.amdhsa_next_free_sgpr 0
		.amdhsa_accum_offset 4
		.amdhsa_reserve_vcc 0
		.amdhsa_reserve_flat_scratch 0
		.amdhsa_float_round_mode_32 0
		.amdhsa_float_round_mode_16_64 0
		.amdhsa_float_denorm_mode_32 3
		.amdhsa_float_denorm_mode_16_64 3
		.amdhsa_dx10_clamp 1
		.amdhsa_ieee_mode 1
		.amdhsa_fp16_overflow 0
		.amdhsa_tg_split 0
		.amdhsa_exception_fp_ieee_invalid_op 0
		.amdhsa_exception_fp_denorm_src 0
		.amdhsa_exception_fp_ieee_div_zero 0
		.amdhsa_exception_fp_ieee_overflow 0
		.amdhsa_exception_fp_ieee_underflow 0
		.amdhsa_exception_fp_ieee_inexact 0
		.amdhsa_exception_int_div_zero 0
	.end_amdhsa_kernel
	.section	.text._ZN7rocprim17ROCPRIM_400000_NS6detail17trampoline_kernelINS0_14default_configENS1_25transform_config_selectorIaLb1EEEZNS1_14transform_implILb1ES3_S5_PaS7_NS0_8identityIaEEEE10hipError_tT2_T3_mT4_P12ihipStream_tbEUlT_E_NS1_11comp_targetILNS1_3genE10ELNS1_11target_archE1201ELNS1_3gpuE5ELNS1_3repE0EEENS1_30default_config_static_selectorELNS0_4arch9wavefront6targetE1EEEvT1_,"axG",@progbits,_ZN7rocprim17ROCPRIM_400000_NS6detail17trampoline_kernelINS0_14default_configENS1_25transform_config_selectorIaLb1EEEZNS1_14transform_implILb1ES3_S5_PaS7_NS0_8identityIaEEEE10hipError_tT2_T3_mT4_P12ihipStream_tbEUlT_E_NS1_11comp_targetILNS1_3genE10ELNS1_11target_archE1201ELNS1_3gpuE5ELNS1_3repE0EEENS1_30default_config_static_selectorELNS0_4arch9wavefront6targetE1EEEvT1_,comdat
.Lfunc_end527:
	.size	_ZN7rocprim17ROCPRIM_400000_NS6detail17trampoline_kernelINS0_14default_configENS1_25transform_config_selectorIaLb1EEEZNS1_14transform_implILb1ES3_S5_PaS7_NS0_8identityIaEEEE10hipError_tT2_T3_mT4_P12ihipStream_tbEUlT_E_NS1_11comp_targetILNS1_3genE10ELNS1_11target_archE1201ELNS1_3gpuE5ELNS1_3repE0EEENS1_30default_config_static_selectorELNS0_4arch9wavefront6targetE1EEEvT1_, .Lfunc_end527-_ZN7rocprim17ROCPRIM_400000_NS6detail17trampoline_kernelINS0_14default_configENS1_25transform_config_selectorIaLb1EEEZNS1_14transform_implILb1ES3_S5_PaS7_NS0_8identityIaEEEE10hipError_tT2_T3_mT4_P12ihipStream_tbEUlT_E_NS1_11comp_targetILNS1_3genE10ELNS1_11target_archE1201ELNS1_3gpuE5ELNS1_3repE0EEENS1_30default_config_static_selectorELNS0_4arch9wavefront6targetE1EEEvT1_
                                        ; -- End function
	.section	.AMDGPU.csdata,"",@progbits
; Kernel info:
; codeLenInByte = 0
; NumSgprs: 4
; NumVgprs: 0
; NumAgprs: 0
; TotalNumVgprs: 0
; ScratchSize: 0
; MemoryBound: 0
; FloatMode: 240
; IeeeMode: 1
; LDSByteSize: 0 bytes/workgroup (compile time only)
; SGPRBlocks: 0
; VGPRBlocks: 0
; NumSGPRsForWavesPerEU: 4
; NumVGPRsForWavesPerEU: 1
; AccumOffset: 4
; Occupancy: 8
; WaveLimiterHint : 0
; COMPUTE_PGM_RSRC2:SCRATCH_EN: 0
; COMPUTE_PGM_RSRC2:USER_SGPR: 6
; COMPUTE_PGM_RSRC2:TRAP_HANDLER: 0
; COMPUTE_PGM_RSRC2:TGID_X_EN: 1
; COMPUTE_PGM_RSRC2:TGID_Y_EN: 0
; COMPUTE_PGM_RSRC2:TGID_Z_EN: 0
; COMPUTE_PGM_RSRC2:TIDIG_COMP_CNT: 0
; COMPUTE_PGM_RSRC3_GFX90A:ACCUM_OFFSET: 0
; COMPUTE_PGM_RSRC3_GFX90A:TG_SPLIT: 0
	.section	.text._ZN7rocprim17ROCPRIM_400000_NS6detail17trampoline_kernelINS0_14default_configENS1_25transform_config_selectorIaLb1EEEZNS1_14transform_implILb1ES3_S5_PaS7_NS0_8identityIaEEEE10hipError_tT2_T3_mT4_P12ihipStream_tbEUlT_E_NS1_11comp_targetILNS1_3genE5ELNS1_11target_archE942ELNS1_3gpuE9ELNS1_3repE0EEENS1_30default_config_static_selectorELNS0_4arch9wavefront6targetE1EEEvT1_,"axG",@progbits,_ZN7rocprim17ROCPRIM_400000_NS6detail17trampoline_kernelINS0_14default_configENS1_25transform_config_selectorIaLb1EEEZNS1_14transform_implILb1ES3_S5_PaS7_NS0_8identityIaEEEE10hipError_tT2_T3_mT4_P12ihipStream_tbEUlT_E_NS1_11comp_targetILNS1_3genE5ELNS1_11target_archE942ELNS1_3gpuE9ELNS1_3repE0EEENS1_30default_config_static_selectorELNS0_4arch9wavefront6targetE1EEEvT1_,comdat
	.protected	_ZN7rocprim17ROCPRIM_400000_NS6detail17trampoline_kernelINS0_14default_configENS1_25transform_config_selectorIaLb1EEEZNS1_14transform_implILb1ES3_S5_PaS7_NS0_8identityIaEEEE10hipError_tT2_T3_mT4_P12ihipStream_tbEUlT_E_NS1_11comp_targetILNS1_3genE5ELNS1_11target_archE942ELNS1_3gpuE9ELNS1_3repE0EEENS1_30default_config_static_selectorELNS0_4arch9wavefront6targetE1EEEvT1_ ; -- Begin function _ZN7rocprim17ROCPRIM_400000_NS6detail17trampoline_kernelINS0_14default_configENS1_25transform_config_selectorIaLb1EEEZNS1_14transform_implILb1ES3_S5_PaS7_NS0_8identityIaEEEE10hipError_tT2_T3_mT4_P12ihipStream_tbEUlT_E_NS1_11comp_targetILNS1_3genE5ELNS1_11target_archE942ELNS1_3gpuE9ELNS1_3repE0EEENS1_30default_config_static_selectorELNS0_4arch9wavefront6targetE1EEEvT1_
	.globl	_ZN7rocprim17ROCPRIM_400000_NS6detail17trampoline_kernelINS0_14default_configENS1_25transform_config_selectorIaLb1EEEZNS1_14transform_implILb1ES3_S5_PaS7_NS0_8identityIaEEEE10hipError_tT2_T3_mT4_P12ihipStream_tbEUlT_E_NS1_11comp_targetILNS1_3genE5ELNS1_11target_archE942ELNS1_3gpuE9ELNS1_3repE0EEENS1_30default_config_static_selectorELNS0_4arch9wavefront6targetE1EEEvT1_
	.p2align	8
	.type	_ZN7rocprim17ROCPRIM_400000_NS6detail17trampoline_kernelINS0_14default_configENS1_25transform_config_selectorIaLb1EEEZNS1_14transform_implILb1ES3_S5_PaS7_NS0_8identityIaEEEE10hipError_tT2_T3_mT4_P12ihipStream_tbEUlT_E_NS1_11comp_targetILNS1_3genE5ELNS1_11target_archE942ELNS1_3gpuE9ELNS1_3repE0EEENS1_30default_config_static_selectorELNS0_4arch9wavefront6targetE1EEEvT1_,@function
_ZN7rocprim17ROCPRIM_400000_NS6detail17trampoline_kernelINS0_14default_configENS1_25transform_config_selectorIaLb1EEEZNS1_14transform_implILb1ES3_S5_PaS7_NS0_8identityIaEEEE10hipError_tT2_T3_mT4_P12ihipStream_tbEUlT_E_NS1_11comp_targetILNS1_3genE5ELNS1_11target_archE942ELNS1_3gpuE9ELNS1_3repE0EEENS1_30default_config_static_selectorELNS0_4arch9wavefront6targetE1EEEvT1_: ; @_ZN7rocprim17ROCPRIM_400000_NS6detail17trampoline_kernelINS0_14default_configENS1_25transform_config_selectorIaLb1EEEZNS1_14transform_implILb1ES3_S5_PaS7_NS0_8identityIaEEEE10hipError_tT2_T3_mT4_P12ihipStream_tbEUlT_E_NS1_11comp_targetILNS1_3genE5ELNS1_11target_archE942ELNS1_3gpuE9ELNS1_3repE0EEENS1_30default_config_static_selectorELNS0_4arch9wavefront6targetE1EEEvT1_
; %bb.0:
	.section	.rodata,"a",@progbits
	.p2align	6, 0x0
	.amdhsa_kernel _ZN7rocprim17ROCPRIM_400000_NS6detail17trampoline_kernelINS0_14default_configENS1_25transform_config_selectorIaLb1EEEZNS1_14transform_implILb1ES3_S5_PaS7_NS0_8identityIaEEEE10hipError_tT2_T3_mT4_P12ihipStream_tbEUlT_E_NS1_11comp_targetILNS1_3genE5ELNS1_11target_archE942ELNS1_3gpuE9ELNS1_3repE0EEENS1_30default_config_static_selectorELNS0_4arch9wavefront6targetE1EEEvT1_
		.amdhsa_group_segment_fixed_size 0
		.amdhsa_private_segment_fixed_size 0
		.amdhsa_kernarg_size 40
		.amdhsa_user_sgpr_count 6
		.amdhsa_user_sgpr_private_segment_buffer 1
		.amdhsa_user_sgpr_dispatch_ptr 0
		.amdhsa_user_sgpr_queue_ptr 0
		.amdhsa_user_sgpr_kernarg_segment_ptr 1
		.amdhsa_user_sgpr_dispatch_id 0
		.amdhsa_user_sgpr_flat_scratch_init 0
		.amdhsa_user_sgpr_kernarg_preload_length 0
		.amdhsa_user_sgpr_kernarg_preload_offset 0
		.amdhsa_user_sgpr_private_segment_size 0
		.amdhsa_uses_dynamic_stack 0
		.amdhsa_system_sgpr_private_segment_wavefront_offset 0
		.amdhsa_system_sgpr_workgroup_id_x 1
		.amdhsa_system_sgpr_workgroup_id_y 0
		.amdhsa_system_sgpr_workgroup_id_z 0
		.amdhsa_system_sgpr_workgroup_info 0
		.amdhsa_system_vgpr_workitem_id 0
		.amdhsa_next_free_vgpr 1
		.amdhsa_next_free_sgpr 0
		.amdhsa_accum_offset 4
		.amdhsa_reserve_vcc 0
		.amdhsa_reserve_flat_scratch 0
		.amdhsa_float_round_mode_32 0
		.amdhsa_float_round_mode_16_64 0
		.amdhsa_float_denorm_mode_32 3
		.amdhsa_float_denorm_mode_16_64 3
		.amdhsa_dx10_clamp 1
		.amdhsa_ieee_mode 1
		.amdhsa_fp16_overflow 0
		.amdhsa_tg_split 0
		.amdhsa_exception_fp_ieee_invalid_op 0
		.amdhsa_exception_fp_denorm_src 0
		.amdhsa_exception_fp_ieee_div_zero 0
		.amdhsa_exception_fp_ieee_overflow 0
		.amdhsa_exception_fp_ieee_underflow 0
		.amdhsa_exception_fp_ieee_inexact 0
		.amdhsa_exception_int_div_zero 0
	.end_amdhsa_kernel
	.section	.text._ZN7rocprim17ROCPRIM_400000_NS6detail17trampoline_kernelINS0_14default_configENS1_25transform_config_selectorIaLb1EEEZNS1_14transform_implILb1ES3_S5_PaS7_NS0_8identityIaEEEE10hipError_tT2_T3_mT4_P12ihipStream_tbEUlT_E_NS1_11comp_targetILNS1_3genE5ELNS1_11target_archE942ELNS1_3gpuE9ELNS1_3repE0EEENS1_30default_config_static_selectorELNS0_4arch9wavefront6targetE1EEEvT1_,"axG",@progbits,_ZN7rocprim17ROCPRIM_400000_NS6detail17trampoline_kernelINS0_14default_configENS1_25transform_config_selectorIaLb1EEEZNS1_14transform_implILb1ES3_S5_PaS7_NS0_8identityIaEEEE10hipError_tT2_T3_mT4_P12ihipStream_tbEUlT_E_NS1_11comp_targetILNS1_3genE5ELNS1_11target_archE942ELNS1_3gpuE9ELNS1_3repE0EEENS1_30default_config_static_selectorELNS0_4arch9wavefront6targetE1EEEvT1_,comdat
.Lfunc_end528:
	.size	_ZN7rocprim17ROCPRIM_400000_NS6detail17trampoline_kernelINS0_14default_configENS1_25transform_config_selectorIaLb1EEEZNS1_14transform_implILb1ES3_S5_PaS7_NS0_8identityIaEEEE10hipError_tT2_T3_mT4_P12ihipStream_tbEUlT_E_NS1_11comp_targetILNS1_3genE5ELNS1_11target_archE942ELNS1_3gpuE9ELNS1_3repE0EEENS1_30default_config_static_selectorELNS0_4arch9wavefront6targetE1EEEvT1_, .Lfunc_end528-_ZN7rocprim17ROCPRIM_400000_NS6detail17trampoline_kernelINS0_14default_configENS1_25transform_config_selectorIaLb1EEEZNS1_14transform_implILb1ES3_S5_PaS7_NS0_8identityIaEEEE10hipError_tT2_T3_mT4_P12ihipStream_tbEUlT_E_NS1_11comp_targetILNS1_3genE5ELNS1_11target_archE942ELNS1_3gpuE9ELNS1_3repE0EEENS1_30default_config_static_selectorELNS0_4arch9wavefront6targetE1EEEvT1_
                                        ; -- End function
	.section	.AMDGPU.csdata,"",@progbits
; Kernel info:
; codeLenInByte = 0
; NumSgprs: 4
; NumVgprs: 0
; NumAgprs: 0
; TotalNumVgprs: 0
; ScratchSize: 0
; MemoryBound: 0
; FloatMode: 240
; IeeeMode: 1
; LDSByteSize: 0 bytes/workgroup (compile time only)
; SGPRBlocks: 0
; VGPRBlocks: 0
; NumSGPRsForWavesPerEU: 4
; NumVGPRsForWavesPerEU: 1
; AccumOffset: 4
; Occupancy: 8
; WaveLimiterHint : 0
; COMPUTE_PGM_RSRC2:SCRATCH_EN: 0
; COMPUTE_PGM_RSRC2:USER_SGPR: 6
; COMPUTE_PGM_RSRC2:TRAP_HANDLER: 0
; COMPUTE_PGM_RSRC2:TGID_X_EN: 1
; COMPUTE_PGM_RSRC2:TGID_Y_EN: 0
; COMPUTE_PGM_RSRC2:TGID_Z_EN: 0
; COMPUTE_PGM_RSRC2:TIDIG_COMP_CNT: 0
; COMPUTE_PGM_RSRC3_GFX90A:ACCUM_OFFSET: 0
; COMPUTE_PGM_RSRC3_GFX90A:TG_SPLIT: 0
	.section	.text._ZN7rocprim17ROCPRIM_400000_NS6detail17trampoline_kernelINS0_14default_configENS1_25transform_config_selectorIaLb1EEEZNS1_14transform_implILb1ES3_S5_PaS7_NS0_8identityIaEEEE10hipError_tT2_T3_mT4_P12ihipStream_tbEUlT_E_NS1_11comp_targetILNS1_3genE4ELNS1_11target_archE910ELNS1_3gpuE8ELNS1_3repE0EEENS1_30default_config_static_selectorELNS0_4arch9wavefront6targetE1EEEvT1_,"axG",@progbits,_ZN7rocprim17ROCPRIM_400000_NS6detail17trampoline_kernelINS0_14default_configENS1_25transform_config_selectorIaLb1EEEZNS1_14transform_implILb1ES3_S5_PaS7_NS0_8identityIaEEEE10hipError_tT2_T3_mT4_P12ihipStream_tbEUlT_E_NS1_11comp_targetILNS1_3genE4ELNS1_11target_archE910ELNS1_3gpuE8ELNS1_3repE0EEENS1_30default_config_static_selectorELNS0_4arch9wavefront6targetE1EEEvT1_,comdat
	.protected	_ZN7rocprim17ROCPRIM_400000_NS6detail17trampoline_kernelINS0_14default_configENS1_25transform_config_selectorIaLb1EEEZNS1_14transform_implILb1ES3_S5_PaS7_NS0_8identityIaEEEE10hipError_tT2_T3_mT4_P12ihipStream_tbEUlT_E_NS1_11comp_targetILNS1_3genE4ELNS1_11target_archE910ELNS1_3gpuE8ELNS1_3repE0EEENS1_30default_config_static_selectorELNS0_4arch9wavefront6targetE1EEEvT1_ ; -- Begin function _ZN7rocprim17ROCPRIM_400000_NS6detail17trampoline_kernelINS0_14default_configENS1_25transform_config_selectorIaLb1EEEZNS1_14transform_implILb1ES3_S5_PaS7_NS0_8identityIaEEEE10hipError_tT2_T3_mT4_P12ihipStream_tbEUlT_E_NS1_11comp_targetILNS1_3genE4ELNS1_11target_archE910ELNS1_3gpuE8ELNS1_3repE0EEENS1_30default_config_static_selectorELNS0_4arch9wavefront6targetE1EEEvT1_
	.globl	_ZN7rocprim17ROCPRIM_400000_NS6detail17trampoline_kernelINS0_14default_configENS1_25transform_config_selectorIaLb1EEEZNS1_14transform_implILb1ES3_S5_PaS7_NS0_8identityIaEEEE10hipError_tT2_T3_mT4_P12ihipStream_tbEUlT_E_NS1_11comp_targetILNS1_3genE4ELNS1_11target_archE910ELNS1_3gpuE8ELNS1_3repE0EEENS1_30default_config_static_selectorELNS0_4arch9wavefront6targetE1EEEvT1_
	.p2align	8
	.type	_ZN7rocprim17ROCPRIM_400000_NS6detail17trampoline_kernelINS0_14default_configENS1_25transform_config_selectorIaLb1EEEZNS1_14transform_implILb1ES3_S5_PaS7_NS0_8identityIaEEEE10hipError_tT2_T3_mT4_P12ihipStream_tbEUlT_E_NS1_11comp_targetILNS1_3genE4ELNS1_11target_archE910ELNS1_3gpuE8ELNS1_3repE0EEENS1_30default_config_static_selectorELNS0_4arch9wavefront6targetE1EEEvT1_,@function
_ZN7rocprim17ROCPRIM_400000_NS6detail17trampoline_kernelINS0_14default_configENS1_25transform_config_selectorIaLb1EEEZNS1_14transform_implILb1ES3_S5_PaS7_NS0_8identityIaEEEE10hipError_tT2_T3_mT4_P12ihipStream_tbEUlT_E_NS1_11comp_targetILNS1_3genE4ELNS1_11target_archE910ELNS1_3gpuE8ELNS1_3repE0EEENS1_30default_config_static_selectorELNS0_4arch9wavefront6targetE1EEEvT1_: ; @_ZN7rocprim17ROCPRIM_400000_NS6detail17trampoline_kernelINS0_14default_configENS1_25transform_config_selectorIaLb1EEEZNS1_14transform_implILb1ES3_S5_PaS7_NS0_8identityIaEEEE10hipError_tT2_T3_mT4_P12ihipStream_tbEUlT_E_NS1_11comp_targetILNS1_3genE4ELNS1_11target_archE910ELNS1_3gpuE8ELNS1_3repE0EEENS1_30default_config_static_selectorELNS0_4arch9wavefront6targetE1EEEvT1_
; %bb.0:
	s_load_dwordx8 s[8:15], s[4:5], 0x0
	s_load_dword s0, s[4:5], 0x28
	s_waitcnt lgkmcnt(0)
	s_add_u32 s1, s8, s10
	s_addc_u32 s2, s9, s11
	s_add_u32 s33, s14, s10
	s_addc_u32 s36, s15, s11
	s_lshl_b32 s37, s6, 14
	s_add_i32 s0, s0, -1
	s_add_u32 s30, s1, s37
	s_addc_u32 s31, s2, 0
	s_cmp_lg_u32 s6, s0
	s_mov_b64 s[0:1], -1
	s_cbranch_scc0 .LBB529_2
; %bb.1:
	v_lshlrev_b32_e32 v1, 4, v0
	global_load_dwordx4 v[2:5], v1, s[30:31]
	s_add_u32 s0, s33, s37
	s_addc_u32 s1, s36, 0
	s_waitcnt vmcnt(0)
	global_store_dwordx4 v1, v[2:5], s[0:1]
	s_mov_b64 s[0:1], 0
.LBB529_2:
	s_andn2_b64 vcc, exec, s[0:1]
	s_cbranch_vccnz .LBB529_67
; %bb.3:
	s_sub_i32 s34, s12, s37
	v_cmp_gt_u32_e32 vcc, s34, v0
                                        ; implicit-def: $vgpr1
	s_and_saveexec_b64 s[0:1], vcc
	s_cbranch_execz .LBB529_5
; %bb.4:
	global_load_ubyte v1, v0, s[30:31]
.LBB529_5:
	s_or_b64 exec, exec, s[0:1]
	v_or_b32_e32 v2, 0x400, v0
	v_cmp_gt_u32_e64 s[0:1], s34, v2
                                        ; implicit-def: $vgpr2
	s_and_saveexec_b64 s[2:3], s[0:1]
	s_cbranch_execz .LBB529_7
; %bb.6:
	global_load_ubyte v2, v0, s[30:31] offset:1024
.LBB529_7:
	s_or_b64 exec, exec, s[2:3]
	v_or_b32_e32 v3, 0x800, v0
	v_cmp_gt_u32_e64 s[2:3], s34, v3
                                        ; implicit-def: $vgpr3
	s_and_saveexec_b64 s[4:5], s[2:3]
	s_cbranch_execz .LBB529_9
; %bb.8:
	global_load_ubyte v3, v0, s[30:31] offset:2048
.LBB529_9:
	s_or_b64 exec, exec, s[4:5]
	v_or_b32_e32 v4, 0xc00, v0
	v_cmp_gt_u32_e64 s[4:5], s34, v4
                                        ; implicit-def: $vgpr4
	s_and_saveexec_b64 s[6:7], s[4:5]
	s_cbranch_execz .LBB529_11
; %bb.10:
	global_load_ubyte v4, v0, s[30:31] offset:3072
.LBB529_11:
	s_or_b64 exec, exec, s[6:7]
	v_or_b32_e32 v6, 0x1000, v0
	v_cmp_gt_u32_e64 s[6:7], s34, v6
                                        ; implicit-def: $vgpr5
	s_and_saveexec_b64 s[8:9], s[6:7]
	s_cbranch_execz .LBB529_13
; %bb.12:
	global_load_ubyte v5, v6, s[30:31]
.LBB529_13:
	s_or_b64 exec, exec, s[8:9]
	v_or_b32_e32 v7, 0x1400, v0
	v_cmp_gt_u32_e64 s[8:9], s34, v7
                                        ; implicit-def: $vgpr6
	s_and_saveexec_b64 s[10:11], s[8:9]
	s_cbranch_execz .LBB529_15
; %bb.14:
	global_load_ubyte v6, v7, s[30:31]
.LBB529_15:
	s_or_b64 exec, exec, s[10:11]
	v_or_b32_e32 v8, 0x1800, v0
	v_cmp_gt_u32_e64 s[10:11], s34, v8
                                        ; implicit-def: $vgpr7
	s_and_saveexec_b64 s[12:13], s[10:11]
	s_cbranch_execz .LBB529_17
; %bb.16:
	global_load_ubyte v7, v8, s[30:31]
.LBB529_17:
	s_or_b64 exec, exec, s[12:13]
	v_or_b32_e32 v9, 0x1c00, v0
	v_cmp_gt_u32_e64 s[12:13], s34, v9
                                        ; implicit-def: $vgpr8
	s_and_saveexec_b64 s[14:15], s[12:13]
	s_cbranch_execz .LBB529_19
; %bb.18:
	global_load_ubyte v8, v9, s[30:31]
.LBB529_19:
	s_or_b64 exec, exec, s[14:15]
	v_or_b32_e32 v10, 0x2000, v0
	v_cmp_gt_u32_e64 s[14:15], s34, v10
                                        ; implicit-def: $vgpr9
	s_and_saveexec_b64 s[16:17], s[14:15]
	s_cbranch_execz .LBB529_21
; %bb.20:
	global_load_ubyte v9, v10, s[30:31]
.LBB529_21:
	s_or_b64 exec, exec, s[16:17]
	v_or_b32_e32 v11, 0x2400, v0
	v_cmp_gt_u32_e64 s[16:17], s34, v11
                                        ; implicit-def: $vgpr10
	s_and_saveexec_b64 s[18:19], s[16:17]
	s_cbranch_execz .LBB529_23
; %bb.22:
	global_load_ubyte v10, v11, s[30:31]
.LBB529_23:
	s_or_b64 exec, exec, s[18:19]
	v_or_b32_e32 v12, 0x2800, v0
	v_cmp_gt_u32_e64 s[18:19], s34, v12
                                        ; implicit-def: $vgpr11
	s_and_saveexec_b64 s[20:21], s[18:19]
	s_cbranch_execz .LBB529_25
; %bb.24:
	global_load_ubyte v11, v12, s[30:31]
.LBB529_25:
	s_or_b64 exec, exec, s[20:21]
	v_or_b32_e32 v13, 0x2c00, v0
	v_cmp_gt_u32_e64 s[20:21], s34, v13
                                        ; implicit-def: $vgpr12
	s_and_saveexec_b64 s[22:23], s[20:21]
	s_cbranch_execz .LBB529_27
; %bb.26:
	global_load_ubyte v12, v13, s[30:31]
.LBB529_27:
	s_or_b64 exec, exec, s[22:23]
	v_or_b32_e32 v14, 0x3000, v0
	v_cmp_gt_u32_e64 s[22:23], s34, v14
                                        ; implicit-def: $vgpr13
	s_and_saveexec_b64 s[24:25], s[22:23]
	s_cbranch_execz .LBB529_29
; %bb.28:
	global_load_ubyte v13, v14, s[30:31]
.LBB529_29:
	s_or_b64 exec, exec, s[24:25]
	v_or_b32_e32 v15, 0x3400, v0
	v_cmp_gt_u32_e64 s[24:25], s34, v15
                                        ; implicit-def: $vgpr14
	s_and_saveexec_b64 s[26:27], s[24:25]
	s_cbranch_execz .LBB529_31
; %bb.30:
	global_load_ubyte v14, v15, s[30:31]
.LBB529_31:
	s_or_b64 exec, exec, s[26:27]
	v_or_b32_e32 v16, 0x3800, v0
	v_cmp_gt_u32_e64 s[26:27], s34, v16
                                        ; implicit-def: $vgpr15
	s_and_saveexec_b64 s[28:29], s[26:27]
	s_cbranch_execz .LBB529_33
; %bb.32:
	global_load_ubyte v15, v16, s[30:31]
.LBB529_33:
	s_or_b64 exec, exec, s[28:29]
	v_or_b32_e32 v17, 0x3c00, v0
	v_cmp_gt_u32_e64 s[28:29], s34, v17
                                        ; implicit-def: $vgpr16
	s_and_saveexec_b64 s[34:35], s[28:29]
	s_cbranch_execz .LBB529_35
; %bb.34:
	global_load_ubyte v16, v17, s[30:31]
.LBB529_35:
	s_or_b64 exec, exec, s[34:35]
	s_waitcnt vmcnt(0)
	v_lshlrev_b16_e32 v2, 8, v2
	v_or_b32_sdwa v1, v1, v2 dst_sel:DWORD dst_unused:UNUSED_PAD src0_sel:BYTE_0 src1_sel:DWORD
	v_lshlrev_b16_e32 v2, 8, v4
	v_or_b32_sdwa v2, v3, v2 dst_sel:WORD_1 dst_unused:UNUSED_PAD src0_sel:BYTE_0 src1_sel:DWORD
	v_or_b32_sdwa v17, v1, v2 dst_sel:DWORD dst_unused:UNUSED_PAD src0_sel:WORD_0 src1_sel:DWORD
	v_lshlrev_b16_e32 v1, 8, v6
	v_lshlrev_b16_e32 v2, 8, v8
	v_or_b32_sdwa v1, v5, v1 dst_sel:DWORD dst_unused:UNUSED_PAD src0_sel:BYTE_0 src1_sel:DWORD
	v_or_b32_sdwa v2, v7, v2 dst_sel:WORD_1 dst_unused:UNUSED_PAD src0_sel:BYTE_0 src1_sel:DWORD
	v_or_b32_sdwa v4, v1, v2 dst_sel:DWORD dst_unused:UNUSED_PAD src0_sel:WORD_0 src1_sel:DWORD
	v_lshlrev_b16_e32 v1, 8, v10
	v_lshlrev_b16_e32 v2, 8, v12
	v_or_b32_sdwa v1, v9, v1 dst_sel:DWORD dst_unused:UNUSED_PAD src0_sel:BYTE_0 src1_sel:DWORD
	v_or_b32_sdwa v2, v11, v2 dst_sel:WORD_1 dst_unused:UNUSED_PAD src0_sel:BYTE_0 src1_sel:DWORD
	v_or_b32_sdwa v3, v1, v2 dst_sel:DWORD dst_unused:UNUSED_PAD src0_sel:WORD_0 src1_sel:DWORD
	v_lshlrev_b16_e32 v1, 8, v14
	v_lshlrev_b16_e32 v2, 8, v16
	s_add_u32 s30, s33, s37
	v_or_b32_sdwa v1, v13, v1 dst_sel:DWORD dst_unused:UNUSED_PAD src0_sel:BYTE_0 src1_sel:DWORD
	v_or_b32_sdwa v2, v15, v2 dst_sel:WORD_1 dst_unused:UNUSED_PAD src0_sel:BYTE_0 src1_sel:DWORD
	s_addc_u32 s31, s36, 0
	v_or_b32_sdwa v2, v1, v2 dst_sel:DWORD dst_unused:UNUSED_PAD src0_sel:WORD_0 src1_sel:DWORD
	v_mov_b32_e32 v1, s31
	v_add_co_u32_e64 v0, s[30:31], s30, v0
	v_addc_co_u32_e64 v1, s[30:31], 0, v1, s[30:31]
	s_and_saveexec_b64 s[30:31], vcc
	s_cbranch_execz .LBB529_37
; %bb.36:
	global_store_byte v[0:1], v17, off
.LBB529_37:
	s_or_b64 exec, exec, s[30:31]
	s_and_saveexec_b64 s[30:31], s[0:1]
	s_cbranch_execz .LBB529_39
; %bb.38:
	v_lshrrev_b32_e32 v5, 8, v17
	global_store_byte v[0:1], v5, off offset:1024
.LBB529_39:
	s_or_b64 exec, exec, s[30:31]
	s_mov_b32 s0, 0x7060104
	v_perm_b32 v5, v17, v17, s0
	v_cndmask_b32_e64 v6, v5, v17, s[2:3]
	s_and_saveexec_b64 s[0:1], s[2:3]
	s_cbranch_execz .LBB529_41
; %bb.40:
	global_store_byte_d16_hi v[0:1], v6, off offset:2048
.LBB529_41:
	s_or_b64 exec, exec, s[0:1]
	s_mov_b32 s0, 0x7020504
	v_perm_b32 v5, v5, v6, s0
	v_cndmask_b32_e64 v5, v5, v17, s[4:5]
	s_and_saveexec_b64 s[0:1], s[4:5]
	s_cbranch_execz .LBB529_43
; %bb.42:
	v_lshrrev_b32_e32 v5, 24, v5
	global_store_byte v[0:1], v5, off offset:3072
.LBB529_43:
	s_or_b64 exec, exec, s[0:1]
	s_and_saveexec_b64 s[0:1], s[6:7]
	s_cbranch_execz .LBB529_45
; %bb.44:
	v_add_co_u32_e32 v6, vcc, 0x1000, v0
	v_addc_co_u32_e32 v7, vcc, 0, v1, vcc
	global_store_byte v[6:7], v4, off
.LBB529_45:
	s_or_b64 exec, exec, s[0:1]
	s_mov_b32 s0, 0x3020104
	v_perm_b32 v5, v4, v4, s0
	v_cndmask_b32_e64 v6, v5, v4, s[8:9]
	s_and_saveexec_b64 s[0:1], s[8:9]
	s_cbranch_execz .LBB529_47
; %bb.46:
	v_add_co_u32_e32 v8, vcc, 0x1000, v0
	v_lshrrev_b32_e32 v7, 8, v6
	v_addc_co_u32_e32 v9, vcc, 0, v1, vcc
	global_store_byte v[8:9], v7, off offset:1024
.LBB529_47:
	s_or_b64 exec, exec, s[0:1]
	s_mov_b32 s0, 0x7060104
	v_perm_b32 v5, v5, v6, s0
	v_cndmask_b32_e64 v6, v5, v4, s[10:11]
	s_and_saveexec_b64 s[0:1], s[10:11]
	s_cbranch_execz .LBB529_49
; %bb.48:
	v_add_co_u32_e32 v8, vcc, 0x1000, v0
	v_addc_co_u32_e32 v9, vcc, 0, v1, vcc
	global_store_byte_d16_hi v[8:9], v6, off offset:2048
.LBB529_49:
	s_or_b64 exec, exec, s[0:1]
	s_mov_b32 s0, 0x7020504
	v_perm_b32 v5, v5, v6, s0
	v_cndmask_b32_e64 v4, v5, v4, s[12:13]
	s_and_saveexec_b64 s[0:1], s[12:13]
	s_cbranch_execz .LBB529_51
; %bb.50:
	v_lshrrev_b32_e32 v6, 24, v4
	v_add_co_u32_e32 v4, vcc, 0x1000, v0
	v_addc_co_u32_e32 v5, vcc, 0, v1, vcc
	global_store_byte v[4:5], v6, off offset:3072
.LBB529_51:
	s_or_b64 exec, exec, s[0:1]
	s_and_saveexec_b64 s[0:1], s[14:15]
	s_cbranch_execz .LBB529_53
; %bb.52:
	v_add_co_u32_e32 v4, vcc, 0x2000, v0
	v_addc_co_u32_e32 v5, vcc, 0, v1, vcc
	global_store_byte v[4:5], v3, off
.LBB529_53:
	s_or_b64 exec, exec, s[0:1]
	s_mov_b32 s0, 0x3020104
	v_perm_b32 v4, v3, v3, s0
	v_cndmask_b32_e64 v5, v4, v3, s[16:17]
	s_and_saveexec_b64 s[0:1], s[16:17]
	s_cbranch_execz .LBB529_55
; %bb.54:
	v_add_co_u32_e32 v6, vcc, 0x2000, v0
	v_lshrrev_b32_e32 v8, 8, v5
	v_addc_co_u32_e32 v7, vcc, 0, v1, vcc
	global_store_byte v[6:7], v8, off offset:1024
.LBB529_55:
	s_or_b64 exec, exec, s[0:1]
	s_mov_b32 s0, 0x7060104
	v_perm_b32 v4, v4, v5, s0
	v_cndmask_b32_e64 v5, v4, v3, s[18:19]
	s_and_saveexec_b64 s[0:1], s[18:19]
	s_cbranch_execz .LBB529_57
; %bb.56:
	v_add_co_u32_e32 v6, vcc, 0x2000, v0
	v_addc_co_u32_e32 v7, vcc, 0, v1, vcc
	global_store_byte_d16_hi v[6:7], v5, off offset:2048
.LBB529_57:
	s_or_b64 exec, exec, s[0:1]
	s_mov_b32 s0, 0x7020504
	v_perm_b32 v4, v4, v5, s0
	v_cndmask_b32_e64 v3, v4, v3, s[20:21]
	s_and_saveexec_b64 s[0:1], s[20:21]
	s_cbranch_execz .LBB529_59
; %bb.58:
	v_add_co_u32_e32 v4, vcc, 0x2000, v0
	v_lshrrev_b32_e32 v3, 24, v3
	v_addc_co_u32_e32 v5, vcc, 0, v1, vcc
	global_store_byte v[4:5], v3, off offset:3072
.LBB529_59:
	s_or_b64 exec, exec, s[0:1]
	s_and_saveexec_b64 s[0:1], s[22:23]
	s_cbranch_execz .LBB529_61
; %bb.60:
	v_add_co_u32_e32 v4, vcc, 0x3000, v0
	v_addc_co_u32_e32 v5, vcc, 0, v1, vcc
	global_store_byte v[4:5], v2, off
.LBB529_61:
	s_or_b64 exec, exec, s[0:1]
	s_mov_b32 s0, 0x3020104
	v_perm_b32 v3, v2, v2, s0
	v_cndmask_b32_e64 v4, v3, v2, s[24:25]
	s_and_saveexec_b64 s[0:1], s[24:25]
	s_cbranch_execz .LBB529_63
; %bb.62:
	v_add_co_u32_e32 v6, vcc, 0x3000, v0
	v_lshrrev_b32_e32 v5, 8, v4
	v_addc_co_u32_e32 v7, vcc, 0, v1, vcc
	global_store_byte v[6:7], v5, off offset:1024
.LBB529_63:
	s_or_b64 exec, exec, s[0:1]
	s_mov_b32 s0, 0x7060104
	v_perm_b32 v3, v3, v4, s0
	s_and_saveexec_b64 s[0:1], s[26:27]
	s_cbranch_execz .LBB529_65
; %bb.64:
	v_add_co_u32_e32 v4, vcc, 0x3000, v0
	v_cndmask_b32_e64 v6, v3, v2, s[26:27]
	v_addc_co_u32_e32 v5, vcc, 0, v1, vcc
	global_store_byte_d16_hi v[4:5], v6, off offset:2048
.LBB529_65:
	s_or_b64 exec, exec, s[0:1]
	s_and_saveexec_b64 s[0:1], s[28:29]
	s_cbranch_execz .LBB529_67
; %bb.66:
	v_cndmask_b32_e64 v2, v3, v2, s[28:29]
	v_add_co_u32_e32 v0, vcc, 0x3000, v0
	v_lshrrev_b32_e32 v2, 24, v2
	v_addc_co_u32_e32 v1, vcc, 0, v1, vcc
	global_store_byte v[0:1], v2, off offset:3072
.LBB529_67:
	s_endpgm
	.section	.rodata,"a",@progbits
	.p2align	6, 0x0
	.amdhsa_kernel _ZN7rocprim17ROCPRIM_400000_NS6detail17trampoline_kernelINS0_14default_configENS1_25transform_config_selectorIaLb1EEEZNS1_14transform_implILb1ES3_S5_PaS7_NS0_8identityIaEEEE10hipError_tT2_T3_mT4_P12ihipStream_tbEUlT_E_NS1_11comp_targetILNS1_3genE4ELNS1_11target_archE910ELNS1_3gpuE8ELNS1_3repE0EEENS1_30default_config_static_selectorELNS0_4arch9wavefront6targetE1EEEvT1_
		.amdhsa_group_segment_fixed_size 0
		.amdhsa_private_segment_fixed_size 0
		.amdhsa_kernarg_size 296
		.amdhsa_user_sgpr_count 6
		.amdhsa_user_sgpr_private_segment_buffer 1
		.amdhsa_user_sgpr_dispatch_ptr 0
		.amdhsa_user_sgpr_queue_ptr 0
		.amdhsa_user_sgpr_kernarg_segment_ptr 1
		.amdhsa_user_sgpr_dispatch_id 0
		.amdhsa_user_sgpr_flat_scratch_init 0
		.amdhsa_user_sgpr_kernarg_preload_length 0
		.amdhsa_user_sgpr_kernarg_preload_offset 0
		.amdhsa_user_sgpr_private_segment_size 0
		.amdhsa_uses_dynamic_stack 0
		.amdhsa_system_sgpr_private_segment_wavefront_offset 0
		.amdhsa_system_sgpr_workgroup_id_x 1
		.amdhsa_system_sgpr_workgroup_id_y 0
		.amdhsa_system_sgpr_workgroup_id_z 0
		.amdhsa_system_sgpr_workgroup_info 0
		.amdhsa_system_vgpr_workitem_id 0
		.amdhsa_next_free_vgpr 18
		.amdhsa_next_free_sgpr 38
		.amdhsa_accum_offset 20
		.amdhsa_reserve_vcc 1
		.amdhsa_reserve_flat_scratch 0
		.amdhsa_float_round_mode_32 0
		.amdhsa_float_round_mode_16_64 0
		.amdhsa_float_denorm_mode_32 3
		.amdhsa_float_denorm_mode_16_64 3
		.amdhsa_dx10_clamp 1
		.amdhsa_ieee_mode 1
		.amdhsa_fp16_overflow 0
		.amdhsa_tg_split 0
		.amdhsa_exception_fp_ieee_invalid_op 0
		.amdhsa_exception_fp_denorm_src 0
		.amdhsa_exception_fp_ieee_div_zero 0
		.amdhsa_exception_fp_ieee_overflow 0
		.amdhsa_exception_fp_ieee_underflow 0
		.amdhsa_exception_fp_ieee_inexact 0
		.amdhsa_exception_int_div_zero 0
	.end_amdhsa_kernel
	.section	.text._ZN7rocprim17ROCPRIM_400000_NS6detail17trampoline_kernelINS0_14default_configENS1_25transform_config_selectorIaLb1EEEZNS1_14transform_implILb1ES3_S5_PaS7_NS0_8identityIaEEEE10hipError_tT2_T3_mT4_P12ihipStream_tbEUlT_E_NS1_11comp_targetILNS1_3genE4ELNS1_11target_archE910ELNS1_3gpuE8ELNS1_3repE0EEENS1_30default_config_static_selectorELNS0_4arch9wavefront6targetE1EEEvT1_,"axG",@progbits,_ZN7rocprim17ROCPRIM_400000_NS6detail17trampoline_kernelINS0_14default_configENS1_25transform_config_selectorIaLb1EEEZNS1_14transform_implILb1ES3_S5_PaS7_NS0_8identityIaEEEE10hipError_tT2_T3_mT4_P12ihipStream_tbEUlT_E_NS1_11comp_targetILNS1_3genE4ELNS1_11target_archE910ELNS1_3gpuE8ELNS1_3repE0EEENS1_30default_config_static_selectorELNS0_4arch9wavefront6targetE1EEEvT1_,comdat
.Lfunc_end529:
	.size	_ZN7rocprim17ROCPRIM_400000_NS6detail17trampoline_kernelINS0_14default_configENS1_25transform_config_selectorIaLb1EEEZNS1_14transform_implILb1ES3_S5_PaS7_NS0_8identityIaEEEE10hipError_tT2_T3_mT4_P12ihipStream_tbEUlT_E_NS1_11comp_targetILNS1_3genE4ELNS1_11target_archE910ELNS1_3gpuE8ELNS1_3repE0EEENS1_30default_config_static_selectorELNS0_4arch9wavefront6targetE1EEEvT1_, .Lfunc_end529-_ZN7rocprim17ROCPRIM_400000_NS6detail17trampoline_kernelINS0_14default_configENS1_25transform_config_selectorIaLb1EEEZNS1_14transform_implILb1ES3_S5_PaS7_NS0_8identityIaEEEE10hipError_tT2_T3_mT4_P12ihipStream_tbEUlT_E_NS1_11comp_targetILNS1_3genE4ELNS1_11target_archE910ELNS1_3gpuE8ELNS1_3repE0EEENS1_30default_config_static_selectorELNS0_4arch9wavefront6targetE1EEEvT1_
                                        ; -- End function
	.section	.AMDGPU.csdata,"",@progbits
; Kernel info:
; codeLenInByte = 1580
; NumSgprs: 42
; NumVgprs: 18
; NumAgprs: 0
; TotalNumVgprs: 18
; ScratchSize: 0
; MemoryBound: 1
; FloatMode: 240
; IeeeMode: 1
; LDSByteSize: 0 bytes/workgroup (compile time only)
; SGPRBlocks: 5
; VGPRBlocks: 2
; NumSGPRsForWavesPerEU: 42
; NumVGPRsForWavesPerEU: 18
; AccumOffset: 20
; Occupancy: 8
; WaveLimiterHint : 0
; COMPUTE_PGM_RSRC2:SCRATCH_EN: 0
; COMPUTE_PGM_RSRC2:USER_SGPR: 6
; COMPUTE_PGM_RSRC2:TRAP_HANDLER: 0
; COMPUTE_PGM_RSRC2:TGID_X_EN: 1
; COMPUTE_PGM_RSRC2:TGID_Y_EN: 0
; COMPUTE_PGM_RSRC2:TGID_Z_EN: 0
; COMPUTE_PGM_RSRC2:TIDIG_COMP_CNT: 0
; COMPUTE_PGM_RSRC3_GFX90A:ACCUM_OFFSET: 4
; COMPUTE_PGM_RSRC3_GFX90A:TG_SPLIT: 0
	.section	.text._ZN7rocprim17ROCPRIM_400000_NS6detail17trampoline_kernelINS0_14default_configENS1_25transform_config_selectorIaLb1EEEZNS1_14transform_implILb1ES3_S5_PaS7_NS0_8identityIaEEEE10hipError_tT2_T3_mT4_P12ihipStream_tbEUlT_E_NS1_11comp_targetILNS1_3genE3ELNS1_11target_archE908ELNS1_3gpuE7ELNS1_3repE0EEENS1_30default_config_static_selectorELNS0_4arch9wavefront6targetE1EEEvT1_,"axG",@progbits,_ZN7rocprim17ROCPRIM_400000_NS6detail17trampoline_kernelINS0_14default_configENS1_25transform_config_selectorIaLb1EEEZNS1_14transform_implILb1ES3_S5_PaS7_NS0_8identityIaEEEE10hipError_tT2_T3_mT4_P12ihipStream_tbEUlT_E_NS1_11comp_targetILNS1_3genE3ELNS1_11target_archE908ELNS1_3gpuE7ELNS1_3repE0EEENS1_30default_config_static_selectorELNS0_4arch9wavefront6targetE1EEEvT1_,comdat
	.protected	_ZN7rocprim17ROCPRIM_400000_NS6detail17trampoline_kernelINS0_14default_configENS1_25transform_config_selectorIaLb1EEEZNS1_14transform_implILb1ES3_S5_PaS7_NS0_8identityIaEEEE10hipError_tT2_T3_mT4_P12ihipStream_tbEUlT_E_NS1_11comp_targetILNS1_3genE3ELNS1_11target_archE908ELNS1_3gpuE7ELNS1_3repE0EEENS1_30default_config_static_selectorELNS0_4arch9wavefront6targetE1EEEvT1_ ; -- Begin function _ZN7rocprim17ROCPRIM_400000_NS6detail17trampoline_kernelINS0_14default_configENS1_25transform_config_selectorIaLb1EEEZNS1_14transform_implILb1ES3_S5_PaS7_NS0_8identityIaEEEE10hipError_tT2_T3_mT4_P12ihipStream_tbEUlT_E_NS1_11comp_targetILNS1_3genE3ELNS1_11target_archE908ELNS1_3gpuE7ELNS1_3repE0EEENS1_30default_config_static_selectorELNS0_4arch9wavefront6targetE1EEEvT1_
	.globl	_ZN7rocprim17ROCPRIM_400000_NS6detail17trampoline_kernelINS0_14default_configENS1_25transform_config_selectorIaLb1EEEZNS1_14transform_implILb1ES3_S5_PaS7_NS0_8identityIaEEEE10hipError_tT2_T3_mT4_P12ihipStream_tbEUlT_E_NS1_11comp_targetILNS1_3genE3ELNS1_11target_archE908ELNS1_3gpuE7ELNS1_3repE0EEENS1_30default_config_static_selectorELNS0_4arch9wavefront6targetE1EEEvT1_
	.p2align	8
	.type	_ZN7rocprim17ROCPRIM_400000_NS6detail17trampoline_kernelINS0_14default_configENS1_25transform_config_selectorIaLb1EEEZNS1_14transform_implILb1ES3_S5_PaS7_NS0_8identityIaEEEE10hipError_tT2_T3_mT4_P12ihipStream_tbEUlT_E_NS1_11comp_targetILNS1_3genE3ELNS1_11target_archE908ELNS1_3gpuE7ELNS1_3repE0EEENS1_30default_config_static_selectorELNS0_4arch9wavefront6targetE1EEEvT1_,@function
_ZN7rocprim17ROCPRIM_400000_NS6detail17trampoline_kernelINS0_14default_configENS1_25transform_config_selectorIaLb1EEEZNS1_14transform_implILb1ES3_S5_PaS7_NS0_8identityIaEEEE10hipError_tT2_T3_mT4_P12ihipStream_tbEUlT_E_NS1_11comp_targetILNS1_3genE3ELNS1_11target_archE908ELNS1_3gpuE7ELNS1_3repE0EEENS1_30default_config_static_selectorELNS0_4arch9wavefront6targetE1EEEvT1_: ; @_ZN7rocprim17ROCPRIM_400000_NS6detail17trampoline_kernelINS0_14default_configENS1_25transform_config_selectorIaLb1EEEZNS1_14transform_implILb1ES3_S5_PaS7_NS0_8identityIaEEEE10hipError_tT2_T3_mT4_P12ihipStream_tbEUlT_E_NS1_11comp_targetILNS1_3genE3ELNS1_11target_archE908ELNS1_3gpuE7ELNS1_3repE0EEENS1_30default_config_static_selectorELNS0_4arch9wavefront6targetE1EEEvT1_
; %bb.0:
	.section	.rodata,"a",@progbits
	.p2align	6, 0x0
	.amdhsa_kernel _ZN7rocprim17ROCPRIM_400000_NS6detail17trampoline_kernelINS0_14default_configENS1_25transform_config_selectorIaLb1EEEZNS1_14transform_implILb1ES3_S5_PaS7_NS0_8identityIaEEEE10hipError_tT2_T3_mT4_P12ihipStream_tbEUlT_E_NS1_11comp_targetILNS1_3genE3ELNS1_11target_archE908ELNS1_3gpuE7ELNS1_3repE0EEENS1_30default_config_static_selectorELNS0_4arch9wavefront6targetE1EEEvT1_
		.amdhsa_group_segment_fixed_size 0
		.amdhsa_private_segment_fixed_size 0
		.amdhsa_kernarg_size 40
		.amdhsa_user_sgpr_count 6
		.amdhsa_user_sgpr_private_segment_buffer 1
		.amdhsa_user_sgpr_dispatch_ptr 0
		.amdhsa_user_sgpr_queue_ptr 0
		.amdhsa_user_sgpr_kernarg_segment_ptr 1
		.amdhsa_user_sgpr_dispatch_id 0
		.amdhsa_user_sgpr_flat_scratch_init 0
		.amdhsa_user_sgpr_kernarg_preload_length 0
		.amdhsa_user_sgpr_kernarg_preload_offset 0
		.amdhsa_user_sgpr_private_segment_size 0
		.amdhsa_uses_dynamic_stack 0
		.amdhsa_system_sgpr_private_segment_wavefront_offset 0
		.amdhsa_system_sgpr_workgroup_id_x 1
		.amdhsa_system_sgpr_workgroup_id_y 0
		.amdhsa_system_sgpr_workgroup_id_z 0
		.amdhsa_system_sgpr_workgroup_info 0
		.amdhsa_system_vgpr_workitem_id 0
		.amdhsa_next_free_vgpr 1
		.amdhsa_next_free_sgpr 0
		.amdhsa_accum_offset 4
		.amdhsa_reserve_vcc 0
		.amdhsa_reserve_flat_scratch 0
		.amdhsa_float_round_mode_32 0
		.amdhsa_float_round_mode_16_64 0
		.amdhsa_float_denorm_mode_32 3
		.amdhsa_float_denorm_mode_16_64 3
		.amdhsa_dx10_clamp 1
		.amdhsa_ieee_mode 1
		.amdhsa_fp16_overflow 0
		.amdhsa_tg_split 0
		.amdhsa_exception_fp_ieee_invalid_op 0
		.amdhsa_exception_fp_denorm_src 0
		.amdhsa_exception_fp_ieee_div_zero 0
		.amdhsa_exception_fp_ieee_overflow 0
		.amdhsa_exception_fp_ieee_underflow 0
		.amdhsa_exception_fp_ieee_inexact 0
		.amdhsa_exception_int_div_zero 0
	.end_amdhsa_kernel
	.section	.text._ZN7rocprim17ROCPRIM_400000_NS6detail17trampoline_kernelINS0_14default_configENS1_25transform_config_selectorIaLb1EEEZNS1_14transform_implILb1ES3_S5_PaS7_NS0_8identityIaEEEE10hipError_tT2_T3_mT4_P12ihipStream_tbEUlT_E_NS1_11comp_targetILNS1_3genE3ELNS1_11target_archE908ELNS1_3gpuE7ELNS1_3repE0EEENS1_30default_config_static_selectorELNS0_4arch9wavefront6targetE1EEEvT1_,"axG",@progbits,_ZN7rocprim17ROCPRIM_400000_NS6detail17trampoline_kernelINS0_14default_configENS1_25transform_config_selectorIaLb1EEEZNS1_14transform_implILb1ES3_S5_PaS7_NS0_8identityIaEEEE10hipError_tT2_T3_mT4_P12ihipStream_tbEUlT_E_NS1_11comp_targetILNS1_3genE3ELNS1_11target_archE908ELNS1_3gpuE7ELNS1_3repE0EEENS1_30default_config_static_selectorELNS0_4arch9wavefront6targetE1EEEvT1_,comdat
.Lfunc_end530:
	.size	_ZN7rocprim17ROCPRIM_400000_NS6detail17trampoline_kernelINS0_14default_configENS1_25transform_config_selectorIaLb1EEEZNS1_14transform_implILb1ES3_S5_PaS7_NS0_8identityIaEEEE10hipError_tT2_T3_mT4_P12ihipStream_tbEUlT_E_NS1_11comp_targetILNS1_3genE3ELNS1_11target_archE908ELNS1_3gpuE7ELNS1_3repE0EEENS1_30default_config_static_selectorELNS0_4arch9wavefront6targetE1EEEvT1_, .Lfunc_end530-_ZN7rocprim17ROCPRIM_400000_NS6detail17trampoline_kernelINS0_14default_configENS1_25transform_config_selectorIaLb1EEEZNS1_14transform_implILb1ES3_S5_PaS7_NS0_8identityIaEEEE10hipError_tT2_T3_mT4_P12ihipStream_tbEUlT_E_NS1_11comp_targetILNS1_3genE3ELNS1_11target_archE908ELNS1_3gpuE7ELNS1_3repE0EEENS1_30default_config_static_selectorELNS0_4arch9wavefront6targetE1EEEvT1_
                                        ; -- End function
	.section	.AMDGPU.csdata,"",@progbits
; Kernel info:
; codeLenInByte = 0
; NumSgprs: 4
; NumVgprs: 0
; NumAgprs: 0
; TotalNumVgprs: 0
; ScratchSize: 0
; MemoryBound: 0
; FloatMode: 240
; IeeeMode: 1
; LDSByteSize: 0 bytes/workgroup (compile time only)
; SGPRBlocks: 0
; VGPRBlocks: 0
; NumSGPRsForWavesPerEU: 4
; NumVGPRsForWavesPerEU: 1
; AccumOffset: 4
; Occupancy: 8
; WaveLimiterHint : 0
; COMPUTE_PGM_RSRC2:SCRATCH_EN: 0
; COMPUTE_PGM_RSRC2:USER_SGPR: 6
; COMPUTE_PGM_RSRC2:TRAP_HANDLER: 0
; COMPUTE_PGM_RSRC2:TGID_X_EN: 1
; COMPUTE_PGM_RSRC2:TGID_Y_EN: 0
; COMPUTE_PGM_RSRC2:TGID_Z_EN: 0
; COMPUTE_PGM_RSRC2:TIDIG_COMP_CNT: 0
; COMPUTE_PGM_RSRC3_GFX90A:ACCUM_OFFSET: 0
; COMPUTE_PGM_RSRC3_GFX90A:TG_SPLIT: 0
	.section	.text._ZN7rocprim17ROCPRIM_400000_NS6detail17trampoline_kernelINS0_14default_configENS1_25transform_config_selectorIaLb1EEEZNS1_14transform_implILb1ES3_S5_PaS7_NS0_8identityIaEEEE10hipError_tT2_T3_mT4_P12ihipStream_tbEUlT_E_NS1_11comp_targetILNS1_3genE2ELNS1_11target_archE906ELNS1_3gpuE6ELNS1_3repE0EEENS1_30default_config_static_selectorELNS0_4arch9wavefront6targetE1EEEvT1_,"axG",@progbits,_ZN7rocprim17ROCPRIM_400000_NS6detail17trampoline_kernelINS0_14default_configENS1_25transform_config_selectorIaLb1EEEZNS1_14transform_implILb1ES3_S5_PaS7_NS0_8identityIaEEEE10hipError_tT2_T3_mT4_P12ihipStream_tbEUlT_E_NS1_11comp_targetILNS1_3genE2ELNS1_11target_archE906ELNS1_3gpuE6ELNS1_3repE0EEENS1_30default_config_static_selectorELNS0_4arch9wavefront6targetE1EEEvT1_,comdat
	.protected	_ZN7rocprim17ROCPRIM_400000_NS6detail17trampoline_kernelINS0_14default_configENS1_25transform_config_selectorIaLb1EEEZNS1_14transform_implILb1ES3_S5_PaS7_NS0_8identityIaEEEE10hipError_tT2_T3_mT4_P12ihipStream_tbEUlT_E_NS1_11comp_targetILNS1_3genE2ELNS1_11target_archE906ELNS1_3gpuE6ELNS1_3repE0EEENS1_30default_config_static_selectorELNS0_4arch9wavefront6targetE1EEEvT1_ ; -- Begin function _ZN7rocprim17ROCPRIM_400000_NS6detail17trampoline_kernelINS0_14default_configENS1_25transform_config_selectorIaLb1EEEZNS1_14transform_implILb1ES3_S5_PaS7_NS0_8identityIaEEEE10hipError_tT2_T3_mT4_P12ihipStream_tbEUlT_E_NS1_11comp_targetILNS1_3genE2ELNS1_11target_archE906ELNS1_3gpuE6ELNS1_3repE0EEENS1_30default_config_static_selectorELNS0_4arch9wavefront6targetE1EEEvT1_
	.globl	_ZN7rocprim17ROCPRIM_400000_NS6detail17trampoline_kernelINS0_14default_configENS1_25transform_config_selectorIaLb1EEEZNS1_14transform_implILb1ES3_S5_PaS7_NS0_8identityIaEEEE10hipError_tT2_T3_mT4_P12ihipStream_tbEUlT_E_NS1_11comp_targetILNS1_3genE2ELNS1_11target_archE906ELNS1_3gpuE6ELNS1_3repE0EEENS1_30default_config_static_selectorELNS0_4arch9wavefront6targetE1EEEvT1_
	.p2align	8
	.type	_ZN7rocprim17ROCPRIM_400000_NS6detail17trampoline_kernelINS0_14default_configENS1_25transform_config_selectorIaLb1EEEZNS1_14transform_implILb1ES3_S5_PaS7_NS0_8identityIaEEEE10hipError_tT2_T3_mT4_P12ihipStream_tbEUlT_E_NS1_11comp_targetILNS1_3genE2ELNS1_11target_archE906ELNS1_3gpuE6ELNS1_3repE0EEENS1_30default_config_static_selectorELNS0_4arch9wavefront6targetE1EEEvT1_,@function
_ZN7rocprim17ROCPRIM_400000_NS6detail17trampoline_kernelINS0_14default_configENS1_25transform_config_selectorIaLb1EEEZNS1_14transform_implILb1ES3_S5_PaS7_NS0_8identityIaEEEE10hipError_tT2_T3_mT4_P12ihipStream_tbEUlT_E_NS1_11comp_targetILNS1_3genE2ELNS1_11target_archE906ELNS1_3gpuE6ELNS1_3repE0EEENS1_30default_config_static_selectorELNS0_4arch9wavefront6targetE1EEEvT1_: ; @_ZN7rocprim17ROCPRIM_400000_NS6detail17trampoline_kernelINS0_14default_configENS1_25transform_config_selectorIaLb1EEEZNS1_14transform_implILb1ES3_S5_PaS7_NS0_8identityIaEEEE10hipError_tT2_T3_mT4_P12ihipStream_tbEUlT_E_NS1_11comp_targetILNS1_3genE2ELNS1_11target_archE906ELNS1_3gpuE6ELNS1_3repE0EEENS1_30default_config_static_selectorELNS0_4arch9wavefront6targetE1EEEvT1_
; %bb.0:
	.section	.rodata,"a",@progbits
	.p2align	6, 0x0
	.amdhsa_kernel _ZN7rocprim17ROCPRIM_400000_NS6detail17trampoline_kernelINS0_14default_configENS1_25transform_config_selectorIaLb1EEEZNS1_14transform_implILb1ES3_S5_PaS7_NS0_8identityIaEEEE10hipError_tT2_T3_mT4_P12ihipStream_tbEUlT_E_NS1_11comp_targetILNS1_3genE2ELNS1_11target_archE906ELNS1_3gpuE6ELNS1_3repE0EEENS1_30default_config_static_selectorELNS0_4arch9wavefront6targetE1EEEvT1_
		.amdhsa_group_segment_fixed_size 0
		.amdhsa_private_segment_fixed_size 0
		.amdhsa_kernarg_size 40
		.amdhsa_user_sgpr_count 6
		.amdhsa_user_sgpr_private_segment_buffer 1
		.amdhsa_user_sgpr_dispatch_ptr 0
		.amdhsa_user_sgpr_queue_ptr 0
		.amdhsa_user_sgpr_kernarg_segment_ptr 1
		.amdhsa_user_sgpr_dispatch_id 0
		.amdhsa_user_sgpr_flat_scratch_init 0
		.amdhsa_user_sgpr_kernarg_preload_length 0
		.amdhsa_user_sgpr_kernarg_preload_offset 0
		.amdhsa_user_sgpr_private_segment_size 0
		.amdhsa_uses_dynamic_stack 0
		.amdhsa_system_sgpr_private_segment_wavefront_offset 0
		.amdhsa_system_sgpr_workgroup_id_x 1
		.amdhsa_system_sgpr_workgroup_id_y 0
		.amdhsa_system_sgpr_workgroup_id_z 0
		.amdhsa_system_sgpr_workgroup_info 0
		.amdhsa_system_vgpr_workitem_id 0
		.amdhsa_next_free_vgpr 1
		.amdhsa_next_free_sgpr 0
		.amdhsa_accum_offset 4
		.amdhsa_reserve_vcc 0
		.amdhsa_reserve_flat_scratch 0
		.amdhsa_float_round_mode_32 0
		.amdhsa_float_round_mode_16_64 0
		.amdhsa_float_denorm_mode_32 3
		.amdhsa_float_denorm_mode_16_64 3
		.amdhsa_dx10_clamp 1
		.amdhsa_ieee_mode 1
		.amdhsa_fp16_overflow 0
		.amdhsa_tg_split 0
		.amdhsa_exception_fp_ieee_invalid_op 0
		.amdhsa_exception_fp_denorm_src 0
		.amdhsa_exception_fp_ieee_div_zero 0
		.amdhsa_exception_fp_ieee_overflow 0
		.amdhsa_exception_fp_ieee_underflow 0
		.amdhsa_exception_fp_ieee_inexact 0
		.amdhsa_exception_int_div_zero 0
	.end_amdhsa_kernel
	.section	.text._ZN7rocprim17ROCPRIM_400000_NS6detail17trampoline_kernelINS0_14default_configENS1_25transform_config_selectorIaLb1EEEZNS1_14transform_implILb1ES3_S5_PaS7_NS0_8identityIaEEEE10hipError_tT2_T3_mT4_P12ihipStream_tbEUlT_E_NS1_11comp_targetILNS1_3genE2ELNS1_11target_archE906ELNS1_3gpuE6ELNS1_3repE0EEENS1_30default_config_static_selectorELNS0_4arch9wavefront6targetE1EEEvT1_,"axG",@progbits,_ZN7rocprim17ROCPRIM_400000_NS6detail17trampoline_kernelINS0_14default_configENS1_25transform_config_selectorIaLb1EEEZNS1_14transform_implILb1ES3_S5_PaS7_NS0_8identityIaEEEE10hipError_tT2_T3_mT4_P12ihipStream_tbEUlT_E_NS1_11comp_targetILNS1_3genE2ELNS1_11target_archE906ELNS1_3gpuE6ELNS1_3repE0EEENS1_30default_config_static_selectorELNS0_4arch9wavefront6targetE1EEEvT1_,comdat
.Lfunc_end531:
	.size	_ZN7rocprim17ROCPRIM_400000_NS6detail17trampoline_kernelINS0_14default_configENS1_25transform_config_selectorIaLb1EEEZNS1_14transform_implILb1ES3_S5_PaS7_NS0_8identityIaEEEE10hipError_tT2_T3_mT4_P12ihipStream_tbEUlT_E_NS1_11comp_targetILNS1_3genE2ELNS1_11target_archE906ELNS1_3gpuE6ELNS1_3repE0EEENS1_30default_config_static_selectorELNS0_4arch9wavefront6targetE1EEEvT1_, .Lfunc_end531-_ZN7rocprim17ROCPRIM_400000_NS6detail17trampoline_kernelINS0_14default_configENS1_25transform_config_selectorIaLb1EEEZNS1_14transform_implILb1ES3_S5_PaS7_NS0_8identityIaEEEE10hipError_tT2_T3_mT4_P12ihipStream_tbEUlT_E_NS1_11comp_targetILNS1_3genE2ELNS1_11target_archE906ELNS1_3gpuE6ELNS1_3repE0EEENS1_30default_config_static_selectorELNS0_4arch9wavefront6targetE1EEEvT1_
                                        ; -- End function
	.section	.AMDGPU.csdata,"",@progbits
; Kernel info:
; codeLenInByte = 0
; NumSgprs: 4
; NumVgprs: 0
; NumAgprs: 0
; TotalNumVgprs: 0
; ScratchSize: 0
; MemoryBound: 0
; FloatMode: 240
; IeeeMode: 1
; LDSByteSize: 0 bytes/workgroup (compile time only)
; SGPRBlocks: 0
; VGPRBlocks: 0
; NumSGPRsForWavesPerEU: 4
; NumVGPRsForWavesPerEU: 1
; AccumOffset: 4
; Occupancy: 8
; WaveLimiterHint : 0
; COMPUTE_PGM_RSRC2:SCRATCH_EN: 0
; COMPUTE_PGM_RSRC2:USER_SGPR: 6
; COMPUTE_PGM_RSRC2:TRAP_HANDLER: 0
; COMPUTE_PGM_RSRC2:TGID_X_EN: 1
; COMPUTE_PGM_RSRC2:TGID_Y_EN: 0
; COMPUTE_PGM_RSRC2:TGID_Z_EN: 0
; COMPUTE_PGM_RSRC2:TIDIG_COMP_CNT: 0
; COMPUTE_PGM_RSRC3_GFX90A:ACCUM_OFFSET: 0
; COMPUTE_PGM_RSRC3_GFX90A:TG_SPLIT: 0
	.section	.text._ZN7rocprim17ROCPRIM_400000_NS6detail17trampoline_kernelINS0_14default_configENS1_25transform_config_selectorIaLb1EEEZNS1_14transform_implILb1ES3_S5_PaS7_NS0_8identityIaEEEE10hipError_tT2_T3_mT4_P12ihipStream_tbEUlT_E_NS1_11comp_targetILNS1_3genE9ELNS1_11target_archE1100ELNS1_3gpuE3ELNS1_3repE0EEENS1_30default_config_static_selectorELNS0_4arch9wavefront6targetE1EEEvT1_,"axG",@progbits,_ZN7rocprim17ROCPRIM_400000_NS6detail17trampoline_kernelINS0_14default_configENS1_25transform_config_selectorIaLb1EEEZNS1_14transform_implILb1ES3_S5_PaS7_NS0_8identityIaEEEE10hipError_tT2_T3_mT4_P12ihipStream_tbEUlT_E_NS1_11comp_targetILNS1_3genE9ELNS1_11target_archE1100ELNS1_3gpuE3ELNS1_3repE0EEENS1_30default_config_static_selectorELNS0_4arch9wavefront6targetE1EEEvT1_,comdat
	.protected	_ZN7rocprim17ROCPRIM_400000_NS6detail17trampoline_kernelINS0_14default_configENS1_25transform_config_selectorIaLb1EEEZNS1_14transform_implILb1ES3_S5_PaS7_NS0_8identityIaEEEE10hipError_tT2_T3_mT4_P12ihipStream_tbEUlT_E_NS1_11comp_targetILNS1_3genE9ELNS1_11target_archE1100ELNS1_3gpuE3ELNS1_3repE0EEENS1_30default_config_static_selectorELNS0_4arch9wavefront6targetE1EEEvT1_ ; -- Begin function _ZN7rocprim17ROCPRIM_400000_NS6detail17trampoline_kernelINS0_14default_configENS1_25transform_config_selectorIaLb1EEEZNS1_14transform_implILb1ES3_S5_PaS7_NS0_8identityIaEEEE10hipError_tT2_T3_mT4_P12ihipStream_tbEUlT_E_NS1_11comp_targetILNS1_3genE9ELNS1_11target_archE1100ELNS1_3gpuE3ELNS1_3repE0EEENS1_30default_config_static_selectorELNS0_4arch9wavefront6targetE1EEEvT1_
	.globl	_ZN7rocprim17ROCPRIM_400000_NS6detail17trampoline_kernelINS0_14default_configENS1_25transform_config_selectorIaLb1EEEZNS1_14transform_implILb1ES3_S5_PaS7_NS0_8identityIaEEEE10hipError_tT2_T3_mT4_P12ihipStream_tbEUlT_E_NS1_11comp_targetILNS1_3genE9ELNS1_11target_archE1100ELNS1_3gpuE3ELNS1_3repE0EEENS1_30default_config_static_selectorELNS0_4arch9wavefront6targetE1EEEvT1_
	.p2align	8
	.type	_ZN7rocprim17ROCPRIM_400000_NS6detail17trampoline_kernelINS0_14default_configENS1_25transform_config_selectorIaLb1EEEZNS1_14transform_implILb1ES3_S5_PaS7_NS0_8identityIaEEEE10hipError_tT2_T3_mT4_P12ihipStream_tbEUlT_E_NS1_11comp_targetILNS1_3genE9ELNS1_11target_archE1100ELNS1_3gpuE3ELNS1_3repE0EEENS1_30default_config_static_selectorELNS0_4arch9wavefront6targetE1EEEvT1_,@function
_ZN7rocprim17ROCPRIM_400000_NS6detail17trampoline_kernelINS0_14default_configENS1_25transform_config_selectorIaLb1EEEZNS1_14transform_implILb1ES3_S5_PaS7_NS0_8identityIaEEEE10hipError_tT2_T3_mT4_P12ihipStream_tbEUlT_E_NS1_11comp_targetILNS1_3genE9ELNS1_11target_archE1100ELNS1_3gpuE3ELNS1_3repE0EEENS1_30default_config_static_selectorELNS0_4arch9wavefront6targetE1EEEvT1_: ; @_ZN7rocprim17ROCPRIM_400000_NS6detail17trampoline_kernelINS0_14default_configENS1_25transform_config_selectorIaLb1EEEZNS1_14transform_implILb1ES3_S5_PaS7_NS0_8identityIaEEEE10hipError_tT2_T3_mT4_P12ihipStream_tbEUlT_E_NS1_11comp_targetILNS1_3genE9ELNS1_11target_archE1100ELNS1_3gpuE3ELNS1_3repE0EEENS1_30default_config_static_selectorELNS0_4arch9wavefront6targetE1EEEvT1_
; %bb.0:
	.section	.rodata,"a",@progbits
	.p2align	6, 0x0
	.amdhsa_kernel _ZN7rocprim17ROCPRIM_400000_NS6detail17trampoline_kernelINS0_14default_configENS1_25transform_config_selectorIaLb1EEEZNS1_14transform_implILb1ES3_S5_PaS7_NS0_8identityIaEEEE10hipError_tT2_T3_mT4_P12ihipStream_tbEUlT_E_NS1_11comp_targetILNS1_3genE9ELNS1_11target_archE1100ELNS1_3gpuE3ELNS1_3repE0EEENS1_30default_config_static_selectorELNS0_4arch9wavefront6targetE1EEEvT1_
		.amdhsa_group_segment_fixed_size 0
		.amdhsa_private_segment_fixed_size 0
		.amdhsa_kernarg_size 40
		.amdhsa_user_sgpr_count 6
		.amdhsa_user_sgpr_private_segment_buffer 1
		.amdhsa_user_sgpr_dispatch_ptr 0
		.amdhsa_user_sgpr_queue_ptr 0
		.amdhsa_user_sgpr_kernarg_segment_ptr 1
		.amdhsa_user_sgpr_dispatch_id 0
		.amdhsa_user_sgpr_flat_scratch_init 0
		.amdhsa_user_sgpr_kernarg_preload_length 0
		.amdhsa_user_sgpr_kernarg_preload_offset 0
		.amdhsa_user_sgpr_private_segment_size 0
		.amdhsa_uses_dynamic_stack 0
		.amdhsa_system_sgpr_private_segment_wavefront_offset 0
		.amdhsa_system_sgpr_workgroup_id_x 1
		.amdhsa_system_sgpr_workgroup_id_y 0
		.amdhsa_system_sgpr_workgroup_id_z 0
		.amdhsa_system_sgpr_workgroup_info 0
		.amdhsa_system_vgpr_workitem_id 0
		.amdhsa_next_free_vgpr 1
		.amdhsa_next_free_sgpr 0
		.amdhsa_accum_offset 4
		.amdhsa_reserve_vcc 0
		.amdhsa_reserve_flat_scratch 0
		.amdhsa_float_round_mode_32 0
		.amdhsa_float_round_mode_16_64 0
		.amdhsa_float_denorm_mode_32 3
		.amdhsa_float_denorm_mode_16_64 3
		.amdhsa_dx10_clamp 1
		.amdhsa_ieee_mode 1
		.amdhsa_fp16_overflow 0
		.amdhsa_tg_split 0
		.amdhsa_exception_fp_ieee_invalid_op 0
		.amdhsa_exception_fp_denorm_src 0
		.amdhsa_exception_fp_ieee_div_zero 0
		.amdhsa_exception_fp_ieee_overflow 0
		.amdhsa_exception_fp_ieee_underflow 0
		.amdhsa_exception_fp_ieee_inexact 0
		.amdhsa_exception_int_div_zero 0
	.end_amdhsa_kernel
	.section	.text._ZN7rocprim17ROCPRIM_400000_NS6detail17trampoline_kernelINS0_14default_configENS1_25transform_config_selectorIaLb1EEEZNS1_14transform_implILb1ES3_S5_PaS7_NS0_8identityIaEEEE10hipError_tT2_T3_mT4_P12ihipStream_tbEUlT_E_NS1_11comp_targetILNS1_3genE9ELNS1_11target_archE1100ELNS1_3gpuE3ELNS1_3repE0EEENS1_30default_config_static_selectorELNS0_4arch9wavefront6targetE1EEEvT1_,"axG",@progbits,_ZN7rocprim17ROCPRIM_400000_NS6detail17trampoline_kernelINS0_14default_configENS1_25transform_config_selectorIaLb1EEEZNS1_14transform_implILb1ES3_S5_PaS7_NS0_8identityIaEEEE10hipError_tT2_T3_mT4_P12ihipStream_tbEUlT_E_NS1_11comp_targetILNS1_3genE9ELNS1_11target_archE1100ELNS1_3gpuE3ELNS1_3repE0EEENS1_30default_config_static_selectorELNS0_4arch9wavefront6targetE1EEEvT1_,comdat
.Lfunc_end532:
	.size	_ZN7rocprim17ROCPRIM_400000_NS6detail17trampoline_kernelINS0_14default_configENS1_25transform_config_selectorIaLb1EEEZNS1_14transform_implILb1ES3_S5_PaS7_NS0_8identityIaEEEE10hipError_tT2_T3_mT4_P12ihipStream_tbEUlT_E_NS1_11comp_targetILNS1_3genE9ELNS1_11target_archE1100ELNS1_3gpuE3ELNS1_3repE0EEENS1_30default_config_static_selectorELNS0_4arch9wavefront6targetE1EEEvT1_, .Lfunc_end532-_ZN7rocprim17ROCPRIM_400000_NS6detail17trampoline_kernelINS0_14default_configENS1_25transform_config_selectorIaLb1EEEZNS1_14transform_implILb1ES3_S5_PaS7_NS0_8identityIaEEEE10hipError_tT2_T3_mT4_P12ihipStream_tbEUlT_E_NS1_11comp_targetILNS1_3genE9ELNS1_11target_archE1100ELNS1_3gpuE3ELNS1_3repE0EEENS1_30default_config_static_selectorELNS0_4arch9wavefront6targetE1EEEvT1_
                                        ; -- End function
	.section	.AMDGPU.csdata,"",@progbits
; Kernel info:
; codeLenInByte = 0
; NumSgprs: 4
; NumVgprs: 0
; NumAgprs: 0
; TotalNumVgprs: 0
; ScratchSize: 0
; MemoryBound: 0
; FloatMode: 240
; IeeeMode: 1
; LDSByteSize: 0 bytes/workgroup (compile time only)
; SGPRBlocks: 0
; VGPRBlocks: 0
; NumSGPRsForWavesPerEU: 4
; NumVGPRsForWavesPerEU: 1
; AccumOffset: 4
; Occupancy: 8
; WaveLimiterHint : 0
; COMPUTE_PGM_RSRC2:SCRATCH_EN: 0
; COMPUTE_PGM_RSRC2:USER_SGPR: 6
; COMPUTE_PGM_RSRC2:TRAP_HANDLER: 0
; COMPUTE_PGM_RSRC2:TGID_X_EN: 1
; COMPUTE_PGM_RSRC2:TGID_Y_EN: 0
; COMPUTE_PGM_RSRC2:TGID_Z_EN: 0
; COMPUTE_PGM_RSRC2:TIDIG_COMP_CNT: 0
; COMPUTE_PGM_RSRC3_GFX90A:ACCUM_OFFSET: 0
; COMPUTE_PGM_RSRC3_GFX90A:TG_SPLIT: 0
	.section	.text._ZN7rocprim17ROCPRIM_400000_NS6detail17trampoline_kernelINS0_14default_configENS1_25transform_config_selectorIaLb1EEEZNS1_14transform_implILb1ES3_S5_PaS7_NS0_8identityIaEEEE10hipError_tT2_T3_mT4_P12ihipStream_tbEUlT_E_NS1_11comp_targetILNS1_3genE8ELNS1_11target_archE1030ELNS1_3gpuE2ELNS1_3repE0EEENS1_30default_config_static_selectorELNS0_4arch9wavefront6targetE1EEEvT1_,"axG",@progbits,_ZN7rocprim17ROCPRIM_400000_NS6detail17trampoline_kernelINS0_14default_configENS1_25transform_config_selectorIaLb1EEEZNS1_14transform_implILb1ES3_S5_PaS7_NS0_8identityIaEEEE10hipError_tT2_T3_mT4_P12ihipStream_tbEUlT_E_NS1_11comp_targetILNS1_3genE8ELNS1_11target_archE1030ELNS1_3gpuE2ELNS1_3repE0EEENS1_30default_config_static_selectorELNS0_4arch9wavefront6targetE1EEEvT1_,comdat
	.protected	_ZN7rocprim17ROCPRIM_400000_NS6detail17trampoline_kernelINS0_14default_configENS1_25transform_config_selectorIaLb1EEEZNS1_14transform_implILb1ES3_S5_PaS7_NS0_8identityIaEEEE10hipError_tT2_T3_mT4_P12ihipStream_tbEUlT_E_NS1_11comp_targetILNS1_3genE8ELNS1_11target_archE1030ELNS1_3gpuE2ELNS1_3repE0EEENS1_30default_config_static_selectorELNS0_4arch9wavefront6targetE1EEEvT1_ ; -- Begin function _ZN7rocprim17ROCPRIM_400000_NS6detail17trampoline_kernelINS0_14default_configENS1_25transform_config_selectorIaLb1EEEZNS1_14transform_implILb1ES3_S5_PaS7_NS0_8identityIaEEEE10hipError_tT2_T3_mT4_P12ihipStream_tbEUlT_E_NS1_11comp_targetILNS1_3genE8ELNS1_11target_archE1030ELNS1_3gpuE2ELNS1_3repE0EEENS1_30default_config_static_selectorELNS0_4arch9wavefront6targetE1EEEvT1_
	.globl	_ZN7rocprim17ROCPRIM_400000_NS6detail17trampoline_kernelINS0_14default_configENS1_25transform_config_selectorIaLb1EEEZNS1_14transform_implILb1ES3_S5_PaS7_NS0_8identityIaEEEE10hipError_tT2_T3_mT4_P12ihipStream_tbEUlT_E_NS1_11comp_targetILNS1_3genE8ELNS1_11target_archE1030ELNS1_3gpuE2ELNS1_3repE0EEENS1_30default_config_static_selectorELNS0_4arch9wavefront6targetE1EEEvT1_
	.p2align	8
	.type	_ZN7rocprim17ROCPRIM_400000_NS6detail17trampoline_kernelINS0_14default_configENS1_25transform_config_selectorIaLb1EEEZNS1_14transform_implILb1ES3_S5_PaS7_NS0_8identityIaEEEE10hipError_tT2_T3_mT4_P12ihipStream_tbEUlT_E_NS1_11comp_targetILNS1_3genE8ELNS1_11target_archE1030ELNS1_3gpuE2ELNS1_3repE0EEENS1_30default_config_static_selectorELNS0_4arch9wavefront6targetE1EEEvT1_,@function
_ZN7rocprim17ROCPRIM_400000_NS6detail17trampoline_kernelINS0_14default_configENS1_25transform_config_selectorIaLb1EEEZNS1_14transform_implILb1ES3_S5_PaS7_NS0_8identityIaEEEE10hipError_tT2_T3_mT4_P12ihipStream_tbEUlT_E_NS1_11comp_targetILNS1_3genE8ELNS1_11target_archE1030ELNS1_3gpuE2ELNS1_3repE0EEENS1_30default_config_static_selectorELNS0_4arch9wavefront6targetE1EEEvT1_: ; @_ZN7rocprim17ROCPRIM_400000_NS6detail17trampoline_kernelINS0_14default_configENS1_25transform_config_selectorIaLb1EEEZNS1_14transform_implILb1ES3_S5_PaS7_NS0_8identityIaEEEE10hipError_tT2_T3_mT4_P12ihipStream_tbEUlT_E_NS1_11comp_targetILNS1_3genE8ELNS1_11target_archE1030ELNS1_3gpuE2ELNS1_3repE0EEENS1_30default_config_static_selectorELNS0_4arch9wavefront6targetE1EEEvT1_
; %bb.0:
	.section	.rodata,"a",@progbits
	.p2align	6, 0x0
	.amdhsa_kernel _ZN7rocprim17ROCPRIM_400000_NS6detail17trampoline_kernelINS0_14default_configENS1_25transform_config_selectorIaLb1EEEZNS1_14transform_implILb1ES3_S5_PaS7_NS0_8identityIaEEEE10hipError_tT2_T3_mT4_P12ihipStream_tbEUlT_E_NS1_11comp_targetILNS1_3genE8ELNS1_11target_archE1030ELNS1_3gpuE2ELNS1_3repE0EEENS1_30default_config_static_selectorELNS0_4arch9wavefront6targetE1EEEvT1_
		.amdhsa_group_segment_fixed_size 0
		.amdhsa_private_segment_fixed_size 0
		.amdhsa_kernarg_size 40
		.amdhsa_user_sgpr_count 6
		.amdhsa_user_sgpr_private_segment_buffer 1
		.amdhsa_user_sgpr_dispatch_ptr 0
		.amdhsa_user_sgpr_queue_ptr 0
		.amdhsa_user_sgpr_kernarg_segment_ptr 1
		.amdhsa_user_sgpr_dispatch_id 0
		.amdhsa_user_sgpr_flat_scratch_init 0
		.amdhsa_user_sgpr_kernarg_preload_length 0
		.amdhsa_user_sgpr_kernarg_preload_offset 0
		.amdhsa_user_sgpr_private_segment_size 0
		.amdhsa_uses_dynamic_stack 0
		.amdhsa_system_sgpr_private_segment_wavefront_offset 0
		.amdhsa_system_sgpr_workgroup_id_x 1
		.amdhsa_system_sgpr_workgroup_id_y 0
		.amdhsa_system_sgpr_workgroup_id_z 0
		.amdhsa_system_sgpr_workgroup_info 0
		.amdhsa_system_vgpr_workitem_id 0
		.amdhsa_next_free_vgpr 1
		.amdhsa_next_free_sgpr 0
		.amdhsa_accum_offset 4
		.amdhsa_reserve_vcc 0
		.amdhsa_reserve_flat_scratch 0
		.amdhsa_float_round_mode_32 0
		.amdhsa_float_round_mode_16_64 0
		.amdhsa_float_denorm_mode_32 3
		.amdhsa_float_denorm_mode_16_64 3
		.amdhsa_dx10_clamp 1
		.amdhsa_ieee_mode 1
		.amdhsa_fp16_overflow 0
		.amdhsa_tg_split 0
		.amdhsa_exception_fp_ieee_invalid_op 0
		.amdhsa_exception_fp_denorm_src 0
		.amdhsa_exception_fp_ieee_div_zero 0
		.amdhsa_exception_fp_ieee_overflow 0
		.amdhsa_exception_fp_ieee_underflow 0
		.amdhsa_exception_fp_ieee_inexact 0
		.amdhsa_exception_int_div_zero 0
	.end_amdhsa_kernel
	.section	.text._ZN7rocprim17ROCPRIM_400000_NS6detail17trampoline_kernelINS0_14default_configENS1_25transform_config_selectorIaLb1EEEZNS1_14transform_implILb1ES3_S5_PaS7_NS0_8identityIaEEEE10hipError_tT2_T3_mT4_P12ihipStream_tbEUlT_E_NS1_11comp_targetILNS1_3genE8ELNS1_11target_archE1030ELNS1_3gpuE2ELNS1_3repE0EEENS1_30default_config_static_selectorELNS0_4arch9wavefront6targetE1EEEvT1_,"axG",@progbits,_ZN7rocprim17ROCPRIM_400000_NS6detail17trampoline_kernelINS0_14default_configENS1_25transform_config_selectorIaLb1EEEZNS1_14transform_implILb1ES3_S5_PaS7_NS0_8identityIaEEEE10hipError_tT2_T3_mT4_P12ihipStream_tbEUlT_E_NS1_11comp_targetILNS1_3genE8ELNS1_11target_archE1030ELNS1_3gpuE2ELNS1_3repE0EEENS1_30default_config_static_selectorELNS0_4arch9wavefront6targetE1EEEvT1_,comdat
.Lfunc_end533:
	.size	_ZN7rocprim17ROCPRIM_400000_NS6detail17trampoline_kernelINS0_14default_configENS1_25transform_config_selectorIaLb1EEEZNS1_14transform_implILb1ES3_S5_PaS7_NS0_8identityIaEEEE10hipError_tT2_T3_mT4_P12ihipStream_tbEUlT_E_NS1_11comp_targetILNS1_3genE8ELNS1_11target_archE1030ELNS1_3gpuE2ELNS1_3repE0EEENS1_30default_config_static_selectorELNS0_4arch9wavefront6targetE1EEEvT1_, .Lfunc_end533-_ZN7rocprim17ROCPRIM_400000_NS6detail17trampoline_kernelINS0_14default_configENS1_25transform_config_selectorIaLb1EEEZNS1_14transform_implILb1ES3_S5_PaS7_NS0_8identityIaEEEE10hipError_tT2_T3_mT4_P12ihipStream_tbEUlT_E_NS1_11comp_targetILNS1_3genE8ELNS1_11target_archE1030ELNS1_3gpuE2ELNS1_3repE0EEENS1_30default_config_static_selectorELNS0_4arch9wavefront6targetE1EEEvT1_
                                        ; -- End function
	.section	.AMDGPU.csdata,"",@progbits
; Kernel info:
; codeLenInByte = 0
; NumSgprs: 4
; NumVgprs: 0
; NumAgprs: 0
; TotalNumVgprs: 0
; ScratchSize: 0
; MemoryBound: 0
; FloatMode: 240
; IeeeMode: 1
; LDSByteSize: 0 bytes/workgroup (compile time only)
; SGPRBlocks: 0
; VGPRBlocks: 0
; NumSGPRsForWavesPerEU: 4
; NumVGPRsForWavesPerEU: 1
; AccumOffset: 4
; Occupancy: 8
; WaveLimiterHint : 0
; COMPUTE_PGM_RSRC2:SCRATCH_EN: 0
; COMPUTE_PGM_RSRC2:USER_SGPR: 6
; COMPUTE_PGM_RSRC2:TRAP_HANDLER: 0
; COMPUTE_PGM_RSRC2:TGID_X_EN: 1
; COMPUTE_PGM_RSRC2:TGID_Y_EN: 0
; COMPUTE_PGM_RSRC2:TGID_Z_EN: 0
; COMPUTE_PGM_RSRC2:TIDIG_COMP_CNT: 0
; COMPUTE_PGM_RSRC3_GFX90A:ACCUM_OFFSET: 0
; COMPUTE_PGM_RSRC3_GFX90A:TG_SPLIT: 0
	.section	.text._ZN7rocprim17ROCPRIM_400000_NS6detail17trampoline_kernelINS0_14default_configENS1_38merge_sort_block_merge_config_selectorIalEEZZNS1_27merge_sort_block_merge_implIS3_PaN6thrust23THRUST_200600_302600_NS10device_ptrIlEEjNS1_19radix_merge_compareILb0ELb1EaNS0_19identity_decomposerEEEEE10hipError_tT0_T1_T2_jT3_P12ihipStream_tbPNSt15iterator_traitsISG_E10value_typeEPNSM_ISH_E10value_typeEPSI_NS1_7vsmem_tEENKUlT_SG_SH_SI_E_clIS7_S7_PlSB_EESF_SV_SG_SH_SI_EUlSV_E_NS1_11comp_targetILNS1_3genE0ELNS1_11target_archE4294967295ELNS1_3gpuE0ELNS1_3repE0EEENS1_48merge_mergepath_partition_config_static_selectorELNS0_4arch9wavefront6targetE1EEEvSH_,"axG",@progbits,_ZN7rocprim17ROCPRIM_400000_NS6detail17trampoline_kernelINS0_14default_configENS1_38merge_sort_block_merge_config_selectorIalEEZZNS1_27merge_sort_block_merge_implIS3_PaN6thrust23THRUST_200600_302600_NS10device_ptrIlEEjNS1_19radix_merge_compareILb0ELb1EaNS0_19identity_decomposerEEEEE10hipError_tT0_T1_T2_jT3_P12ihipStream_tbPNSt15iterator_traitsISG_E10value_typeEPNSM_ISH_E10value_typeEPSI_NS1_7vsmem_tEENKUlT_SG_SH_SI_E_clIS7_S7_PlSB_EESF_SV_SG_SH_SI_EUlSV_E_NS1_11comp_targetILNS1_3genE0ELNS1_11target_archE4294967295ELNS1_3gpuE0ELNS1_3repE0EEENS1_48merge_mergepath_partition_config_static_selectorELNS0_4arch9wavefront6targetE1EEEvSH_,comdat
	.protected	_ZN7rocprim17ROCPRIM_400000_NS6detail17trampoline_kernelINS0_14default_configENS1_38merge_sort_block_merge_config_selectorIalEEZZNS1_27merge_sort_block_merge_implIS3_PaN6thrust23THRUST_200600_302600_NS10device_ptrIlEEjNS1_19radix_merge_compareILb0ELb1EaNS0_19identity_decomposerEEEEE10hipError_tT0_T1_T2_jT3_P12ihipStream_tbPNSt15iterator_traitsISG_E10value_typeEPNSM_ISH_E10value_typeEPSI_NS1_7vsmem_tEENKUlT_SG_SH_SI_E_clIS7_S7_PlSB_EESF_SV_SG_SH_SI_EUlSV_E_NS1_11comp_targetILNS1_3genE0ELNS1_11target_archE4294967295ELNS1_3gpuE0ELNS1_3repE0EEENS1_48merge_mergepath_partition_config_static_selectorELNS0_4arch9wavefront6targetE1EEEvSH_ ; -- Begin function _ZN7rocprim17ROCPRIM_400000_NS6detail17trampoline_kernelINS0_14default_configENS1_38merge_sort_block_merge_config_selectorIalEEZZNS1_27merge_sort_block_merge_implIS3_PaN6thrust23THRUST_200600_302600_NS10device_ptrIlEEjNS1_19radix_merge_compareILb0ELb1EaNS0_19identity_decomposerEEEEE10hipError_tT0_T1_T2_jT3_P12ihipStream_tbPNSt15iterator_traitsISG_E10value_typeEPNSM_ISH_E10value_typeEPSI_NS1_7vsmem_tEENKUlT_SG_SH_SI_E_clIS7_S7_PlSB_EESF_SV_SG_SH_SI_EUlSV_E_NS1_11comp_targetILNS1_3genE0ELNS1_11target_archE4294967295ELNS1_3gpuE0ELNS1_3repE0EEENS1_48merge_mergepath_partition_config_static_selectorELNS0_4arch9wavefront6targetE1EEEvSH_
	.globl	_ZN7rocprim17ROCPRIM_400000_NS6detail17trampoline_kernelINS0_14default_configENS1_38merge_sort_block_merge_config_selectorIalEEZZNS1_27merge_sort_block_merge_implIS3_PaN6thrust23THRUST_200600_302600_NS10device_ptrIlEEjNS1_19radix_merge_compareILb0ELb1EaNS0_19identity_decomposerEEEEE10hipError_tT0_T1_T2_jT3_P12ihipStream_tbPNSt15iterator_traitsISG_E10value_typeEPNSM_ISH_E10value_typeEPSI_NS1_7vsmem_tEENKUlT_SG_SH_SI_E_clIS7_S7_PlSB_EESF_SV_SG_SH_SI_EUlSV_E_NS1_11comp_targetILNS1_3genE0ELNS1_11target_archE4294967295ELNS1_3gpuE0ELNS1_3repE0EEENS1_48merge_mergepath_partition_config_static_selectorELNS0_4arch9wavefront6targetE1EEEvSH_
	.p2align	8
	.type	_ZN7rocprim17ROCPRIM_400000_NS6detail17trampoline_kernelINS0_14default_configENS1_38merge_sort_block_merge_config_selectorIalEEZZNS1_27merge_sort_block_merge_implIS3_PaN6thrust23THRUST_200600_302600_NS10device_ptrIlEEjNS1_19radix_merge_compareILb0ELb1EaNS0_19identity_decomposerEEEEE10hipError_tT0_T1_T2_jT3_P12ihipStream_tbPNSt15iterator_traitsISG_E10value_typeEPNSM_ISH_E10value_typeEPSI_NS1_7vsmem_tEENKUlT_SG_SH_SI_E_clIS7_S7_PlSB_EESF_SV_SG_SH_SI_EUlSV_E_NS1_11comp_targetILNS1_3genE0ELNS1_11target_archE4294967295ELNS1_3gpuE0ELNS1_3repE0EEENS1_48merge_mergepath_partition_config_static_selectorELNS0_4arch9wavefront6targetE1EEEvSH_,@function
_ZN7rocprim17ROCPRIM_400000_NS6detail17trampoline_kernelINS0_14default_configENS1_38merge_sort_block_merge_config_selectorIalEEZZNS1_27merge_sort_block_merge_implIS3_PaN6thrust23THRUST_200600_302600_NS10device_ptrIlEEjNS1_19radix_merge_compareILb0ELb1EaNS0_19identity_decomposerEEEEE10hipError_tT0_T1_T2_jT3_P12ihipStream_tbPNSt15iterator_traitsISG_E10value_typeEPNSM_ISH_E10value_typeEPSI_NS1_7vsmem_tEENKUlT_SG_SH_SI_E_clIS7_S7_PlSB_EESF_SV_SG_SH_SI_EUlSV_E_NS1_11comp_targetILNS1_3genE0ELNS1_11target_archE4294967295ELNS1_3gpuE0ELNS1_3repE0EEENS1_48merge_mergepath_partition_config_static_selectorELNS0_4arch9wavefront6targetE1EEEvSH_: ; @_ZN7rocprim17ROCPRIM_400000_NS6detail17trampoline_kernelINS0_14default_configENS1_38merge_sort_block_merge_config_selectorIalEEZZNS1_27merge_sort_block_merge_implIS3_PaN6thrust23THRUST_200600_302600_NS10device_ptrIlEEjNS1_19radix_merge_compareILb0ELb1EaNS0_19identity_decomposerEEEEE10hipError_tT0_T1_T2_jT3_P12ihipStream_tbPNSt15iterator_traitsISG_E10value_typeEPNSM_ISH_E10value_typeEPSI_NS1_7vsmem_tEENKUlT_SG_SH_SI_E_clIS7_S7_PlSB_EESF_SV_SG_SH_SI_EUlSV_E_NS1_11comp_targetILNS1_3genE0ELNS1_11target_archE4294967295ELNS1_3gpuE0ELNS1_3repE0EEENS1_48merge_mergepath_partition_config_static_selectorELNS0_4arch9wavefront6targetE1EEEvSH_
; %bb.0:
	.section	.rodata,"a",@progbits
	.p2align	6, 0x0
	.amdhsa_kernel _ZN7rocprim17ROCPRIM_400000_NS6detail17trampoline_kernelINS0_14default_configENS1_38merge_sort_block_merge_config_selectorIalEEZZNS1_27merge_sort_block_merge_implIS3_PaN6thrust23THRUST_200600_302600_NS10device_ptrIlEEjNS1_19radix_merge_compareILb0ELb1EaNS0_19identity_decomposerEEEEE10hipError_tT0_T1_T2_jT3_P12ihipStream_tbPNSt15iterator_traitsISG_E10value_typeEPNSM_ISH_E10value_typeEPSI_NS1_7vsmem_tEENKUlT_SG_SH_SI_E_clIS7_S7_PlSB_EESF_SV_SG_SH_SI_EUlSV_E_NS1_11comp_targetILNS1_3genE0ELNS1_11target_archE4294967295ELNS1_3gpuE0ELNS1_3repE0EEENS1_48merge_mergepath_partition_config_static_selectorELNS0_4arch9wavefront6targetE1EEEvSH_
		.amdhsa_group_segment_fixed_size 0
		.amdhsa_private_segment_fixed_size 0
		.amdhsa_kernarg_size 40
		.amdhsa_user_sgpr_count 6
		.amdhsa_user_sgpr_private_segment_buffer 1
		.amdhsa_user_sgpr_dispatch_ptr 0
		.amdhsa_user_sgpr_queue_ptr 0
		.amdhsa_user_sgpr_kernarg_segment_ptr 1
		.amdhsa_user_sgpr_dispatch_id 0
		.amdhsa_user_sgpr_flat_scratch_init 0
		.amdhsa_user_sgpr_kernarg_preload_length 0
		.amdhsa_user_sgpr_kernarg_preload_offset 0
		.amdhsa_user_sgpr_private_segment_size 0
		.amdhsa_uses_dynamic_stack 0
		.amdhsa_system_sgpr_private_segment_wavefront_offset 0
		.amdhsa_system_sgpr_workgroup_id_x 1
		.amdhsa_system_sgpr_workgroup_id_y 0
		.amdhsa_system_sgpr_workgroup_id_z 0
		.amdhsa_system_sgpr_workgroup_info 0
		.amdhsa_system_vgpr_workitem_id 0
		.amdhsa_next_free_vgpr 1
		.amdhsa_next_free_sgpr 0
		.amdhsa_accum_offset 4
		.amdhsa_reserve_vcc 0
		.amdhsa_reserve_flat_scratch 0
		.amdhsa_float_round_mode_32 0
		.amdhsa_float_round_mode_16_64 0
		.amdhsa_float_denorm_mode_32 3
		.amdhsa_float_denorm_mode_16_64 3
		.amdhsa_dx10_clamp 1
		.amdhsa_ieee_mode 1
		.amdhsa_fp16_overflow 0
		.amdhsa_tg_split 0
		.amdhsa_exception_fp_ieee_invalid_op 0
		.amdhsa_exception_fp_denorm_src 0
		.amdhsa_exception_fp_ieee_div_zero 0
		.amdhsa_exception_fp_ieee_overflow 0
		.amdhsa_exception_fp_ieee_underflow 0
		.amdhsa_exception_fp_ieee_inexact 0
		.amdhsa_exception_int_div_zero 0
	.end_amdhsa_kernel
	.section	.text._ZN7rocprim17ROCPRIM_400000_NS6detail17trampoline_kernelINS0_14default_configENS1_38merge_sort_block_merge_config_selectorIalEEZZNS1_27merge_sort_block_merge_implIS3_PaN6thrust23THRUST_200600_302600_NS10device_ptrIlEEjNS1_19radix_merge_compareILb0ELb1EaNS0_19identity_decomposerEEEEE10hipError_tT0_T1_T2_jT3_P12ihipStream_tbPNSt15iterator_traitsISG_E10value_typeEPNSM_ISH_E10value_typeEPSI_NS1_7vsmem_tEENKUlT_SG_SH_SI_E_clIS7_S7_PlSB_EESF_SV_SG_SH_SI_EUlSV_E_NS1_11comp_targetILNS1_3genE0ELNS1_11target_archE4294967295ELNS1_3gpuE0ELNS1_3repE0EEENS1_48merge_mergepath_partition_config_static_selectorELNS0_4arch9wavefront6targetE1EEEvSH_,"axG",@progbits,_ZN7rocprim17ROCPRIM_400000_NS6detail17trampoline_kernelINS0_14default_configENS1_38merge_sort_block_merge_config_selectorIalEEZZNS1_27merge_sort_block_merge_implIS3_PaN6thrust23THRUST_200600_302600_NS10device_ptrIlEEjNS1_19radix_merge_compareILb0ELb1EaNS0_19identity_decomposerEEEEE10hipError_tT0_T1_T2_jT3_P12ihipStream_tbPNSt15iterator_traitsISG_E10value_typeEPNSM_ISH_E10value_typeEPSI_NS1_7vsmem_tEENKUlT_SG_SH_SI_E_clIS7_S7_PlSB_EESF_SV_SG_SH_SI_EUlSV_E_NS1_11comp_targetILNS1_3genE0ELNS1_11target_archE4294967295ELNS1_3gpuE0ELNS1_3repE0EEENS1_48merge_mergepath_partition_config_static_selectorELNS0_4arch9wavefront6targetE1EEEvSH_,comdat
.Lfunc_end534:
	.size	_ZN7rocprim17ROCPRIM_400000_NS6detail17trampoline_kernelINS0_14default_configENS1_38merge_sort_block_merge_config_selectorIalEEZZNS1_27merge_sort_block_merge_implIS3_PaN6thrust23THRUST_200600_302600_NS10device_ptrIlEEjNS1_19radix_merge_compareILb0ELb1EaNS0_19identity_decomposerEEEEE10hipError_tT0_T1_T2_jT3_P12ihipStream_tbPNSt15iterator_traitsISG_E10value_typeEPNSM_ISH_E10value_typeEPSI_NS1_7vsmem_tEENKUlT_SG_SH_SI_E_clIS7_S7_PlSB_EESF_SV_SG_SH_SI_EUlSV_E_NS1_11comp_targetILNS1_3genE0ELNS1_11target_archE4294967295ELNS1_3gpuE0ELNS1_3repE0EEENS1_48merge_mergepath_partition_config_static_selectorELNS0_4arch9wavefront6targetE1EEEvSH_, .Lfunc_end534-_ZN7rocprim17ROCPRIM_400000_NS6detail17trampoline_kernelINS0_14default_configENS1_38merge_sort_block_merge_config_selectorIalEEZZNS1_27merge_sort_block_merge_implIS3_PaN6thrust23THRUST_200600_302600_NS10device_ptrIlEEjNS1_19radix_merge_compareILb0ELb1EaNS0_19identity_decomposerEEEEE10hipError_tT0_T1_T2_jT3_P12ihipStream_tbPNSt15iterator_traitsISG_E10value_typeEPNSM_ISH_E10value_typeEPSI_NS1_7vsmem_tEENKUlT_SG_SH_SI_E_clIS7_S7_PlSB_EESF_SV_SG_SH_SI_EUlSV_E_NS1_11comp_targetILNS1_3genE0ELNS1_11target_archE4294967295ELNS1_3gpuE0ELNS1_3repE0EEENS1_48merge_mergepath_partition_config_static_selectorELNS0_4arch9wavefront6targetE1EEEvSH_
                                        ; -- End function
	.section	.AMDGPU.csdata,"",@progbits
; Kernel info:
; codeLenInByte = 0
; NumSgprs: 4
; NumVgprs: 0
; NumAgprs: 0
; TotalNumVgprs: 0
; ScratchSize: 0
; MemoryBound: 0
; FloatMode: 240
; IeeeMode: 1
; LDSByteSize: 0 bytes/workgroup (compile time only)
; SGPRBlocks: 0
; VGPRBlocks: 0
; NumSGPRsForWavesPerEU: 4
; NumVGPRsForWavesPerEU: 1
; AccumOffset: 4
; Occupancy: 8
; WaveLimiterHint : 0
; COMPUTE_PGM_RSRC2:SCRATCH_EN: 0
; COMPUTE_PGM_RSRC2:USER_SGPR: 6
; COMPUTE_PGM_RSRC2:TRAP_HANDLER: 0
; COMPUTE_PGM_RSRC2:TGID_X_EN: 1
; COMPUTE_PGM_RSRC2:TGID_Y_EN: 0
; COMPUTE_PGM_RSRC2:TGID_Z_EN: 0
; COMPUTE_PGM_RSRC2:TIDIG_COMP_CNT: 0
; COMPUTE_PGM_RSRC3_GFX90A:ACCUM_OFFSET: 0
; COMPUTE_PGM_RSRC3_GFX90A:TG_SPLIT: 0
	.section	.text._ZN7rocprim17ROCPRIM_400000_NS6detail17trampoline_kernelINS0_14default_configENS1_38merge_sort_block_merge_config_selectorIalEEZZNS1_27merge_sort_block_merge_implIS3_PaN6thrust23THRUST_200600_302600_NS10device_ptrIlEEjNS1_19radix_merge_compareILb0ELb1EaNS0_19identity_decomposerEEEEE10hipError_tT0_T1_T2_jT3_P12ihipStream_tbPNSt15iterator_traitsISG_E10value_typeEPNSM_ISH_E10value_typeEPSI_NS1_7vsmem_tEENKUlT_SG_SH_SI_E_clIS7_S7_PlSB_EESF_SV_SG_SH_SI_EUlSV_E_NS1_11comp_targetILNS1_3genE10ELNS1_11target_archE1201ELNS1_3gpuE5ELNS1_3repE0EEENS1_48merge_mergepath_partition_config_static_selectorELNS0_4arch9wavefront6targetE1EEEvSH_,"axG",@progbits,_ZN7rocprim17ROCPRIM_400000_NS6detail17trampoline_kernelINS0_14default_configENS1_38merge_sort_block_merge_config_selectorIalEEZZNS1_27merge_sort_block_merge_implIS3_PaN6thrust23THRUST_200600_302600_NS10device_ptrIlEEjNS1_19radix_merge_compareILb0ELb1EaNS0_19identity_decomposerEEEEE10hipError_tT0_T1_T2_jT3_P12ihipStream_tbPNSt15iterator_traitsISG_E10value_typeEPNSM_ISH_E10value_typeEPSI_NS1_7vsmem_tEENKUlT_SG_SH_SI_E_clIS7_S7_PlSB_EESF_SV_SG_SH_SI_EUlSV_E_NS1_11comp_targetILNS1_3genE10ELNS1_11target_archE1201ELNS1_3gpuE5ELNS1_3repE0EEENS1_48merge_mergepath_partition_config_static_selectorELNS0_4arch9wavefront6targetE1EEEvSH_,comdat
	.protected	_ZN7rocprim17ROCPRIM_400000_NS6detail17trampoline_kernelINS0_14default_configENS1_38merge_sort_block_merge_config_selectorIalEEZZNS1_27merge_sort_block_merge_implIS3_PaN6thrust23THRUST_200600_302600_NS10device_ptrIlEEjNS1_19radix_merge_compareILb0ELb1EaNS0_19identity_decomposerEEEEE10hipError_tT0_T1_T2_jT3_P12ihipStream_tbPNSt15iterator_traitsISG_E10value_typeEPNSM_ISH_E10value_typeEPSI_NS1_7vsmem_tEENKUlT_SG_SH_SI_E_clIS7_S7_PlSB_EESF_SV_SG_SH_SI_EUlSV_E_NS1_11comp_targetILNS1_3genE10ELNS1_11target_archE1201ELNS1_3gpuE5ELNS1_3repE0EEENS1_48merge_mergepath_partition_config_static_selectorELNS0_4arch9wavefront6targetE1EEEvSH_ ; -- Begin function _ZN7rocprim17ROCPRIM_400000_NS6detail17trampoline_kernelINS0_14default_configENS1_38merge_sort_block_merge_config_selectorIalEEZZNS1_27merge_sort_block_merge_implIS3_PaN6thrust23THRUST_200600_302600_NS10device_ptrIlEEjNS1_19radix_merge_compareILb0ELb1EaNS0_19identity_decomposerEEEEE10hipError_tT0_T1_T2_jT3_P12ihipStream_tbPNSt15iterator_traitsISG_E10value_typeEPNSM_ISH_E10value_typeEPSI_NS1_7vsmem_tEENKUlT_SG_SH_SI_E_clIS7_S7_PlSB_EESF_SV_SG_SH_SI_EUlSV_E_NS1_11comp_targetILNS1_3genE10ELNS1_11target_archE1201ELNS1_3gpuE5ELNS1_3repE0EEENS1_48merge_mergepath_partition_config_static_selectorELNS0_4arch9wavefront6targetE1EEEvSH_
	.globl	_ZN7rocprim17ROCPRIM_400000_NS6detail17trampoline_kernelINS0_14default_configENS1_38merge_sort_block_merge_config_selectorIalEEZZNS1_27merge_sort_block_merge_implIS3_PaN6thrust23THRUST_200600_302600_NS10device_ptrIlEEjNS1_19radix_merge_compareILb0ELb1EaNS0_19identity_decomposerEEEEE10hipError_tT0_T1_T2_jT3_P12ihipStream_tbPNSt15iterator_traitsISG_E10value_typeEPNSM_ISH_E10value_typeEPSI_NS1_7vsmem_tEENKUlT_SG_SH_SI_E_clIS7_S7_PlSB_EESF_SV_SG_SH_SI_EUlSV_E_NS1_11comp_targetILNS1_3genE10ELNS1_11target_archE1201ELNS1_3gpuE5ELNS1_3repE0EEENS1_48merge_mergepath_partition_config_static_selectorELNS0_4arch9wavefront6targetE1EEEvSH_
	.p2align	8
	.type	_ZN7rocprim17ROCPRIM_400000_NS6detail17trampoline_kernelINS0_14default_configENS1_38merge_sort_block_merge_config_selectorIalEEZZNS1_27merge_sort_block_merge_implIS3_PaN6thrust23THRUST_200600_302600_NS10device_ptrIlEEjNS1_19radix_merge_compareILb0ELb1EaNS0_19identity_decomposerEEEEE10hipError_tT0_T1_T2_jT3_P12ihipStream_tbPNSt15iterator_traitsISG_E10value_typeEPNSM_ISH_E10value_typeEPSI_NS1_7vsmem_tEENKUlT_SG_SH_SI_E_clIS7_S7_PlSB_EESF_SV_SG_SH_SI_EUlSV_E_NS1_11comp_targetILNS1_3genE10ELNS1_11target_archE1201ELNS1_3gpuE5ELNS1_3repE0EEENS1_48merge_mergepath_partition_config_static_selectorELNS0_4arch9wavefront6targetE1EEEvSH_,@function
_ZN7rocprim17ROCPRIM_400000_NS6detail17trampoline_kernelINS0_14default_configENS1_38merge_sort_block_merge_config_selectorIalEEZZNS1_27merge_sort_block_merge_implIS3_PaN6thrust23THRUST_200600_302600_NS10device_ptrIlEEjNS1_19radix_merge_compareILb0ELb1EaNS0_19identity_decomposerEEEEE10hipError_tT0_T1_T2_jT3_P12ihipStream_tbPNSt15iterator_traitsISG_E10value_typeEPNSM_ISH_E10value_typeEPSI_NS1_7vsmem_tEENKUlT_SG_SH_SI_E_clIS7_S7_PlSB_EESF_SV_SG_SH_SI_EUlSV_E_NS1_11comp_targetILNS1_3genE10ELNS1_11target_archE1201ELNS1_3gpuE5ELNS1_3repE0EEENS1_48merge_mergepath_partition_config_static_selectorELNS0_4arch9wavefront6targetE1EEEvSH_: ; @_ZN7rocprim17ROCPRIM_400000_NS6detail17trampoline_kernelINS0_14default_configENS1_38merge_sort_block_merge_config_selectorIalEEZZNS1_27merge_sort_block_merge_implIS3_PaN6thrust23THRUST_200600_302600_NS10device_ptrIlEEjNS1_19radix_merge_compareILb0ELb1EaNS0_19identity_decomposerEEEEE10hipError_tT0_T1_T2_jT3_P12ihipStream_tbPNSt15iterator_traitsISG_E10value_typeEPNSM_ISH_E10value_typeEPSI_NS1_7vsmem_tEENKUlT_SG_SH_SI_E_clIS7_S7_PlSB_EESF_SV_SG_SH_SI_EUlSV_E_NS1_11comp_targetILNS1_3genE10ELNS1_11target_archE1201ELNS1_3gpuE5ELNS1_3repE0EEENS1_48merge_mergepath_partition_config_static_selectorELNS0_4arch9wavefront6targetE1EEEvSH_
; %bb.0:
	.section	.rodata,"a",@progbits
	.p2align	6, 0x0
	.amdhsa_kernel _ZN7rocprim17ROCPRIM_400000_NS6detail17trampoline_kernelINS0_14default_configENS1_38merge_sort_block_merge_config_selectorIalEEZZNS1_27merge_sort_block_merge_implIS3_PaN6thrust23THRUST_200600_302600_NS10device_ptrIlEEjNS1_19radix_merge_compareILb0ELb1EaNS0_19identity_decomposerEEEEE10hipError_tT0_T1_T2_jT3_P12ihipStream_tbPNSt15iterator_traitsISG_E10value_typeEPNSM_ISH_E10value_typeEPSI_NS1_7vsmem_tEENKUlT_SG_SH_SI_E_clIS7_S7_PlSB_EESF_SV_SG_SH_SI_EUlSV_E_NS1_11comp_targetILNS1_3genE10ELNS1_11target_archE1201ELNS1_3gpuE5ELNS1_3repE0EEENS1_48merge_mergepath_partition_config_static_selectorELNS0_4arch9wavefront6targetE1EEEvSH_
		.amdhsa_group_segment_fixed_size 0
		.amdhsa_private_segment_fixed_size 0
		.amdhsa_kernarg_size 40
		.amdhsa_user_sgpr_count 6
		.amdhsa_user_sgpr_private_segment_buffer 1
		.amdhsa_user_sgpr_dispatch_ptr 0
		.amdhsa_user_sgpr_queue_ptr 0
		.amdhsa_user_sgpr_kernarg_segment_ptr 1
		.amdhsa_user_sgpr_dispatch_id 0
		.amdhsa_user_sgpr_flat_scratch_init 0
		.amdhsa_user_sgpr_kernarg_preload_length 0
		.amdhsa_user_sgpr_kernarg_preload_offset 0
		.amdhsa_user_sgpr_private_segment_size 0
		.amdhsa_uses_dynamic_stack 0
		.amdhsa_system_sgpr_private_segment_wavefront_offset 0
		.amdhsa_system_sgpr_workgroup_id_x 1
		.amdhsa_system_sgpr_workgroup_id_y 0
		.amdhsa_system_sgpr_workgroup_id_z 0
		.amdhsa_system_sgpr_workgroup_info 0
		.amdhsa_system_vgpr_workitem_id 0
		.amdhsa_next_free_vgpr 1
		.amdhsa_next_free_sgpr 0
		.amdhsa_accum_offset 4
		.amdhsa_reserve_vcc 0
		.amdhsa_reserve_flat_scratch 0
		.amdhsa_float_round_mode_32 0
		.amdhsa_float_round_mode_16_64 0
		.amdhsa_float_denorm_mode_32 3
		.amdhsa_float_denorm_mode_16_64 3
		.amdhsa_dx10_clamp 1
		.amdhsa_ieee_mode 1
		.amdhsa_fp16_overflow 0
		.amdhsa_tg_split 0
		.amdhsa_exception_fp_ieee_invalid_op 0
		.amdhsa_exception_fp_denorm_src 0
		.amdhsa_exception_fp_ieee_div_zero 0
		.amdhsa_exception_fp_ieee_overflow 0
		.amdhsa_exception_fp_ieee_underflow 0
		.amdhsa_exception_fp_ieee_inexact 0
		.amdhsa_exception_int_div_zero 0
	.end_amdhsa_kernel
	.section	.text._ZN7rocprim17ROCPRIM_400000_NS6detail17trampoline_kernelINS0_14default_configENS1_38merge_sort_block_merge_config_selectorIalEEZZNS1_27merge_sort_block_merge_implIS3_PaN6thrust23THRUST_200600_302600_NS10device_ptrIlEEjNS1_19radix_merge_compareILb0ELb1EaNS0_19identity_decomposerEEEEE10hipError_tT0_T1_T2_jT3_P12ihipStream_tbPNSt15iterator_traitsISG_E10value_typeEPNSM_ISH_E10value_typeEPSI_NS1_7vsmem_tEENKUlT_SG_SH_SI_E_clIS7_S7_PlSB_EESF_SV_SG_SH_SI_EUlSV_E_NS1_11comp_targetILNS1_3genE10ELNS1_11target_archE1201ELNS1_3gpuE5ELNS1_3repE0EEENS1_48merge_mergepath_partition_config_static_selectorELNS0_4arch9wavefront6targetE1EEEvSH_,"axG",@progbits,_ZN7rocprim17ROCPRIM_400000_NS6detail17trampoline_kernelINS0_14default_configENS1_38merge_sort_block_merge_config_selectorIalEEZZNS1_27merge_sort_block_merge_implIS3_PaN6thrust23THRUST_200600_302600_NS10device_ptrIlEEjNS1_19radix_merge_compareILb0ELb1EaNS0_19identity_decomposerEEEEE10hipError_tT0_T1_T2_jT3_P12ihipStream_tbPNSt15iterator_traitsISG_E10value_typeEPNSM_ISH_E10value_typeEPSI_NS1_7vsmem_tEENKUlT_SG_SH_SI_E_clIS7_S7_PlSB_EESF_SV_SG_SH_SI_EUlSV_E_NS1_11comp_targetILNS1_3genE10ELNS1_11target_archE1201ELNS1_3gpuE5ELNS1_3repE0EEENS1_48merge_mergepath_partition_config_static_selectorELNS0_4arch9wavefront6targetE1EEEvSH_,comdat
.Lfunc_end535:
	.size	_ZN7rocprim17ROCPRIM_400000_NS6detail17trampoline_kernelINS0_14default_configENS1_38merge_sort_block_merge_config_selectorIalEEZZNS1_27merge_sort_block_merge_implIS3_PaN6thrust23THRUST_200600_302600_NS10device_ptrIlEEjNS1_19radix_merge_compareILb0ELb1EaNS0_19identity_decomposerEEEEE10hipError_tT0_T1_T2_jT3_P12ihipStream_tbPNSt15iterator_traitsISG_E10value_typeEPNSM_ISH_E10value_typeEPSI_NS1_7vsmem_tEENKUlT_SG_SH_SI_E_clIS7_S7_PlSB_EESF_SV_SG_SH_SI_EUlSV_E_NS1_11comp_targetILNS1_3genE10ELNS1_11target_archE1201ELNS1_3gpuE5ELNS1_3repE0EEENS1_48merge_mergepath_partition_config_static_selectorELNS0_4arch9wavefront6targetE1EEEvSH_, .Lfunc_end535-_ZN7rocprim17ROCPRIM_400000_NS6detail17trampoline_kernelINS0_14default_configENS1_38merge_sort_block_merge_config_selectorIalEEZZNS1_27merge_sort_block_merge_implIS3_PaN6thrust23THRUST_200600_302600_NS10device_ptrIlEEjNS1_19radix_merge_compareILb0ELb1EaNS0_19identity_decomposerEEEEE10hipError_tT0_T1_T2_jT3_P12ihipStream_tbPNSt15iterator_traitsISG_E10value_typeEPNSM_ISH_E10value_typeEPSI_NS1_7vsmem_tEENKUlT_SG_SH_SI_E_clIS7_S7_PlSB_EESF_SV_SG_SH_SI_EUlSV_E_NS1_11comp_targetILNS1_3genE10ELNS1_11target_archE1201ELNS1_3gpuE5ELNS1_3repE0EEENS1_48merge_mergepath_partition_config_static_selectorELNS0_4arch9wavefront6targetE1EEEvSH_
                                        ; -- End function
	.section	.AMDGPU.csdata,"",@progbits
; Kernel info:
; codeLenInByte = 0
; NumSgprs: 4
; NumVgprs: 0
; NumAgprs: 0
; TotalNumVgprs: 0
; ScratchSize: 0
; MemoryBound: 0
; FloatMode: 240
; IeeeMode: 1
; LDSByteSize: 0 bytes/workgroup (compile time only)
; SGPRBlocks: 0
; VGPRBlocks: 0
; NumSGPRsForWavesPerEU: 4
; NumVGPRsForWavesPerEU: 1
; AccumOffset: 4
; Occupancy: 8
; WaveLimiterHint : 0
; COMPUTE_PGM_RSRC2:SCRATCH_EN: 0
; COMPUTE_PGM_RSRC2:USER_SGPR: 6
; COMPUTE_PGM_RSRC2:TRAP_HANDLER: 0
; COMPUTE_PGM_RSRC2:TGID_X_EN: 1
; COMPUTE_PGM_RSRC2:TGID_Y_EN: 0
; COMPUTE_PGM_RSRC2:TGID_Z_EN: 0
; COMPUTE_PGM_RSRC2:TIDIG_COMP_CNT: 0
; COMPUTE_PGM_RSRC3_GFX90A:ACCUM_OFFSET: 0
; COMPUTE_PGM_RSRC3_GFX90A:TG_SPLIT: 0
	.section	.text._ZN7rocprim17ROCPRIM_400000_NS6detail17trampoline_kernelINS0_14default_configENS1_38merge_sort_block_merge_config_selectorIalEEZZNS1_27merge_sort_block_merge_implIS3_PaN6thrust23THRUST_200600_302600_NS10device_ptrIlEEjNS1_19radix_merge_compareILb0ELb1EaNS0_19identity_decomposerEEEEE10hipError_tT0_T1_T2_jT3_P12ihipStream_tbPNSt15iterator_traitsISG_E10value_typeEPNSM_ISH_E10value_typeEPSI_NS1_7vsmem_tEENKUlT_SG_SH_SI_E_clIS7_S7_PlSB_EESF_SV_SG_SH_SI_EUlSV_E_NS1_11comp_targetILNS1_3genE5ELNS1_11target_archE942ELNS1_3gpuE9ELNS1_3repE0EEENS1_48merge_mergepath_partition_config_static_selectorELNS0_4arch9wavefront6targetE1EEEvSH_,"axG",@progbits,_ZN7rocprim17ROCPRIM_400000_NS6detail17trampoline_kernelINS0_14default_configENS1_38merge_sort_block_merge_config_selectorIalEEZZNS1_27merge_sort_block_merge_implIS3_PaN6thrust23THRUST_200600_302600_NS10device_ptrIlEEjNS1_19radix_merge_compareILb0ELb1EaNS0_19identity_decomposerEEEEE10hipError_tT0_T1_T2_jT3_P12ihipStream_tbPNSt15iterator_traitsISG_E10value_typeEPNSM_ISH_E10value_typeEPSI_NS1_7vsmem_tEENKUlT_SG_SH_SI_E_clIS7_S7_PlSB_EESF_SV_SG_SH_SI_EUlSV_E_NS1_11comp_targetILNS1_3genE5ELNS1_11target_archE942ELNS1_3gpuE9ELNS1_3repE0EEENS1_48merge_mergepath_partition_config_static_selectorELNS0_4arch9wavefront6targetE1EEEvSH_,comdat
	.protected	_ZN7rocprim17ROCPRIM_400000_NS6detail17trampoline_kernelINS0_14default_configENS1_38merge_sort_block_merge_config_selectorIalEEZZNS1_27merge_sort_block_merge_implIS3_PaN6thrust23THRUST_200600_302600_NS10device_ptrIlEEjNS1_19radix_merge_compareILb0ELb1EaNS0_19identity_decomposerEEEEE10hipError_tT0_T1_T2_jT3_P12ihipStream_tbPNSt15iterator_traitsISG_E10value_typeEPNSM_ISH_E10value_typeEPSI_NS1_7vsmem_tEENKUlT_SG_SH_SI_E_clIS7_S7_PlSB_EESF_SV_SG_SH_SI_EUlSV_E_NS1_11comp_targetILNS1_3genE5ELNS1_11target_archE942ELNS1_3gpuE9ELNS1_3repE0EEENS1_48merge_mergepath_partition_config_static_selectorELNS0_4arch9wavefront6targetE1EEEvSH_ ; -- Begin function _ZN7rocprim17ROCPRIM_400000_NS6detail17trampoline_kernelINS0_14default_configENS1_38merge_sort_block_merge_config_selectorIalEEZZNS1_27merge_sort_block_merge_implIS3_PaN6thrust23THRUST_200600_302600_NS10device_ptrIlEEjNS1_19radix_merge_compareILb0ELb1EaNS0_19identity_decomposerEEEEE10hipError_tT0_T1_T2_jT3_P12ihipStream_tbPNSt15iterator_traitsISG_E10value_typeEPNSM_ISH_E10value_typeEPSI_NS1_7vsmem_tEENKUlT_SG_SH_SI_E_clIS7_S7_PlSB_EESF_SV_SG_SH_SI_EUlSV_E_NS1_11comp_targetILNS1_3genE5ELNS1_11target_archE942ELNS1_3gpuE9ELNS1_3repE0EEENS1_48merge_mergepath_partition_config_static_selectorELNS0_4arch9wavefront6targetE1EEEvSH_
	.globl	_ZN7rocprim17ROCPRIM_400000_NS6detail17trampoline_kernelINS0_14default_configENS1_38merge_sort_block_merge_config_selectorIalEEZZNS1_27merge_sort_block_merge_implIS3_PaN6thrust23THRUST_200600_302600_NS10device_ptrIlEEjNS1_19radix_merge_compareILb0ELb1EaNS0_19identity_decomposerEEEEE10hipError_tT0_T1_T2_jT3_P12ihipStream_tbPNSt15iterator_traitsISG_E10value_typeEPNSM_ISH_E10value_typeEPSI_NS1_7vsmem_tEENKUlT_SG_SH_SI_E_clIS7_S7_PlSB_EESF_SV_SG_SH_SI_EUlSV_E_NS1_11comp_targetILNS1_3genE5ELNS1_11target_archE942ELNS1_3gpuE9ELNS1_3repE0EEENS1_48merge_mergepath_partition_config_static_selectorELNS0_4arch9wavefront6targetE1EEEvSH_
	.p2align	8
	.type	_ZN7rocprim17ROCPRIM_400000_NS6detail17trampoline_kernelINS0_14default_configENS1_38merge_sort_block_merge_config_selectorIalEEZZNS1_27merge_sort_block_merge_implIS3_PaN6thrust23THRUST_200600_302600_NS10device_ptrIlEEjNS1_19radix_merge_compareILb0ELb1EaNS0_19identity_decomposerEEEEE10hipError_tT0_T1_T2_jT3_P12ihipStream_tbPNSt15iterator_traitsISG_E10value_typeEPNSM_ISH_E10value_typeEPSI_NS1_7vsmem_tEENKUlT_SG_SH_SI_E_clIS7_S7_PlSB_EESF_SV_SG_SH_SI_EUlSV_E_NS1_11comp_targetILNS1_3genE5ELNS1_11target_archE942ELNS1_3gpuE9ELNS1_3repE0EEENS1_48merge_mergepath_partition_config_static_selectorELNS0_4arch9wavefront6targetE1EEEvSH_,@function
_ZN7rocprim17ROCPRIM_400000_NS6detail17trampoline_kernelINS0_14default_configENS1_38merge_sort_block_merge_config_selectorIalEEZZNS1_27merge_sort_block_merge_implIS3_PaN6thrust23THRUST_200600_302600_NS10device_ptrIlEEjNS1_19radix_merge_compareILb0ELb1EaNS0_19identity_decomposerEEEEE10hipError_tT0_T1_T2_jT3_P12ihipStream_tbPNSt15iterator_traitsISG_E10value_typeEPNSM_ISH_E10value_typeEPSI_NS1_7vsmem_tEENKUlT_SG_SH_SI_E_clIS7_S7_PlSB_EESF_SV_SG_SH_SI_EUlSV_E_NS1_11comp_targetILNS1_3genE5ELNS1_11target_archE942ELNS1_3gpuE9ELNS1_3repE0EEENS1_48merge_mergepath_partition_config_static_selectorELNS0_4arch9wavefront6targetE1EEEvSH_: ; @_ZN7rocprim17ROCPRIM_400000_NS6detail17trampoline_kernelINS0_14default_configENS1_38merge_sort_block_merge_config_selectorIalEEZZNS1_27merge_sort_block_merge_implIS3_PaN6thrust23THRUST_200600_302600_NS10device_ptrIlEEjNS1_19radix_merge_compareILb0ELb1EaNS0_19identity_decomposerEEEEE10hipError_tT0_T1_T2_jT3_P12ihipStream_tbPNSt15iterator_traitsISG_E10value_typeEPNSM_ISH_E10value_typeEPSI_NS1_7vsmem_tEENKUlT_SG_SH_SI_E_clIS7_S7_PlSB_EESF_SV_SG_SH_SI_EUlSV_E_NS1_11comp_targetILNS1_3genE5ELNS1_11target_archE942ELNS1_3gpuE9ELNS1_3repE0EEENS1_48merge_mergepath_partition_config_static_selectorELNS0_4arch9wavefront6targetE1EEEvSH_
; %bb.0:
	.section	.rodata,"a",@progbits
	.p2align	6, 0x0
	.amdhsa_kernel _ZN7rocprim17ROCPRIM_400000_NS6detail17trampoline_kernelINS0_14default_configENS1_38merge_sort_block_merge_config_selectorIalEEZZNS1_27merge_sort_block_merge_implIS3_PaN6thrust23THRUST_200600_302600_NS10device_ptrIlEEjNS1_19radix_merge_compareILb0ELb1EaNS0_19identity_decomposerEEEEE10hipError_tT0_T1_T2_jT3_P12ihipStream_tbPNSt15iterator_traitsISG_E10value_typeEPNSM_ISH_E10value_typeEPSI_NS1_7vsmem_tEENKUlT_SG_SH_SI_E_clIS7_S7_PlSB_EESF_SV_SG_SH_SI_EUlSV_E_NS1_11comp_targetILNS1_3genE5ELNS1_11target_archE942ELNS1_3gpuE9ELNS1_3repE0EEENS1_48merge_mergepath_partition_config_static_selectorELNS0_4arch9wavefront6targetE1EEEvSH_
		.amdhsa_group_segment_fixed_size 0
		.amdhsa_private_segment_fixed_size 0
		.amdhsa_kernarg_size 40
		.amdhsa_user_sgpr_count 6
		.amdhsa_user_sgpr_private_segment_buffer 1
		.amdhsa_user_sgpr_dispatch_ptr 0
		.amdhsa_user_sgpr_queue_ptr 0
		.amdhsa_user_sgpr_kernarg_segment_ptr 1
		.amdhsa_user_sgpr_dispatch_id 0
		.amdhsa_user_sgpr_flat_scratch_init 0
		.amdhsa_user_sgpr_kernarg_preload_length 0
		.amdhsa_user_sgpr_kernarg_preload_offset 0
		.amdhsa_user_sgpr_private_segment_size 0
		.amdhsa_uses_dynamic_stack 0
		.amdhsa_system_sgpr_private_segment_wavefront_offset 0
		.amdhsa_system_sgpr_workgroup_id_x 1
		.amdhsa_system_sgpr_workgroup_id_y 0
		.amdhsa_system_sgpr_workgroup_id_z 0
		.amdhsa_system_sgpr_workgroup_info 0
		.amdhsa_system_vgpr_workitem_id 0
		.amdhsa_next_free_vgpr 1
		.amdhsa_next_free_sgpr 0
		.amdhsa_accum_offset 4
		.amdhsa_reserve_vcc 0
		.amdhsa_reserve_flat_scratch 0
		.amdhsa_float_round_mode_32 0
		.amdhsa_float_round_mode_16_64 0
		.amdhsa_float_denorm_mode_32 3
		.amdhsa_float_denorm_mode_16_64 3
		.amdhsa_dx10_clamp 1
		.amdhsa_ieee_mode 1
		.amdhsa_fp16_overflow 0
		.amdhsa_tg_split 0
		.amdhsa_exception_fp_ieee_invalid_op 0
		.amdhsa_exception_fp_denorm_src 0
		.amdhsa_exception_fp_ieee_div_zero 0
		.amdhsa_exception_fp_ieee_overflow 0
		.amdhsa_exception_fp_ieee_underflow 0
		.amdhsa_exception_fp_ieee_inexact 0
		.amdhsa_exception_int_div_zero 0
	.end_amdhsa_kernel
	.section	.text._ZN7rocprim17ROCPRIM_400000_NS6detail17trampoline_kernelINS0_14default_configENS1_38merge_sort_block_merge_config_selectorIalEEZZNS1_27merge_sort_block_merge_implIS3_PaN6thrust23THRUST_200600_302600_NS10device_ptrIlEEjNS1_19radix_merge_compareILb0ELb1EaNS0_19identity_decomposerEEEEE10hipError_tT0_T1_T2_jT3_P12ihipStream_tbPNSt15iterator_traitsISG_E10value_typeEPNSM_ISH_E10value_typeEPSI_NS1_7vsmem_tEENKUlT_SG_SH_SI_E_clIS7_S7_PlSB_EESF_SV_SG_SH_SI_EUlSV_E_NS1_11comp_targetILNS1_3genE5ELNS1_11target_archE942ELNS1_3gpuE9ELNS1_3repE0EEENS1_48merge_mergepath_partition_config_static_selectorELNS0_4arch9wavefront6targetE1EEEvSH_,"axG",@progbits,_ZN7rocprim17ROCPRIM_400000_NS6detail17trampoline_kernelINS0_14default_configENS1_38merge_sort_block_merge_config_selectorIalEEZZNS1_27merge_sort_block_merge_implIS3_PaN6thrust23THRUST_200600_302600_NS10device_ptrIlEEjNS1_19radix_merge_compareILb0ELb1EaNS0_19identity_decomposerEEEEE10hipError_tT0_T1_T2_jT3_P12ihipStream_tbPNSt15iterator_traitsISG_E10value_typeEPNSM_ISH_E10value_typeEPSI_NS1_7vsmem_tEENKUlT_SG_SH_SI_E_clIS7_S7_PlSB_EESF_SV_SG_SH_SI_EUlSV_E_NS1_11comp_targetILNS1_3genE5ELNS1_11target_archE942ELNS1_3gpuE9ELNS1_3repE0EEENS1_48merge_mergepath_partition_config_static_selectorELNS0_4arch9wavefront6targetE1EEEvSH_,comdat
.Lfunc_end536:
	.size	_ZN7rocprim17ROCPRIM_400000_NS6detail17trampoline_kernelINS0_14default_configENS1_38merge_sort_block_merge_config_selectorIalEEZZNS1_27merge_sort_block_merge_implIS3_PaN6thrust23THRUST_200600_302600_NS10device_ptrIlEEjNS1_19radix_merge_compareILb0ELb1EaNS0_19identity_decomposerEEEEE10hipError_tT0_T1_T2_jT3_P12ihipStream_tbPNSt15iterator_traitsISG_E10value_typeEPNSM_ISH_E10value_typeEPSI_NS1_7vsmem_tEENKUlT_SG_SH_SI_E_clIS7_S7_PlSB_EESF_SV_SG_SH_SI_EUlSV_E_NS1_11comp_targetILNS1_3genE5ELNS1_11target_archE942ELNS1_3gpuE9ELNS1_3repE0EEENS1_48merge_mergepath_partition_config_static_selectorELNS0_4arch9wavefront6targetE1EEEvSH_, .Lfunc_end536-_ZN7rocprim17ROCPRIM_400000_NS6detail17trampoline_kernelINS0_14default_configENS1_38merge_sort_block_merge_config_selectorIalEEZZNS1_27merge_sort_block_merge_implIS3_PaN6thrust23THRUST_200600_302600_NS10device_ptrIlEEjNS1_19radix_merge_compareILb0ELb1EaNS0_19identity_decomposerEEEEE10hipError_tT0_T1_T2_jT3_P12ihipStream_tbPNSt15iterator_traitsISG_E10value_typeEPNSM_ISH_E10value_typeEPSI_NS1_7vsmem_tEENKUlT_SG_SH_SI_E_clIS7_S7_PlSB_EESF_SV_SG_SH_SI_EUlSV_E_NS1_11comp_targetILNS1_3genE5ELNS1_11target_archE942ELNS1_3gpuE9ELNS1_3repE0EEENS1_48merge_mergepath_partition_config_static_selectorELNS0_4arch9wavefront6targetE1EEEvSH_
                                        ; -- End function
	.section	.AMDGPU.csdata,"",@progbits
; Kernel info:
; codeLenInByte = 0
; NumSgprs: 4
; NumVgprs: 0
; NumAgprs: 0
; TotalNumVgprs: 0
; ScratchSize: 0
; MemoryBound: 0
; FloatMode: 240
; IeeeMode: 1
; LDSByteSize: 0 bytes/workgroup (compile time only)
; SGPRBlocks: 0
; VGPRBlocks: 0
; NumSGPRsForWavesPerEU: 4
; NumVGPRsForWavesPerEU: 1
; AccumOffset: 4
; Occupancy: 8
; WaveLimiterHint : 0
; COMPUTE_PGM_RSRC2:SCRATCH_EN: 0
; COMPUTE_PGM_RSRC2:USER_SGPR: 6
; COMPUTE_PGM_RSRC2:TRAP_HANDLER: 0
; COMPUTE_PGM_RSRC2:TGID_X_EN: 1
; COMPUTE_PGM_RSRC2:TGID_Y_EN: 0
; COMPUTE_PGM_RSRC2:TGID_Z_EN: 0
; COMPUTE_PGM_RSRC2:TIDIG_COMP_CNT: 0
; COMPUTE_PGM_RSRC3_GFX90A:ACCUM_OFFSET: 0
; COMPUTE_PGM_RSRC3_GFX90A:TG_SPLIT: 0
	.section	.text._ZN7rocprim17ROCPRIM_400000_NS6detail17trampoline_kernelINS0_14default_configENS1_38merge_sort_block_merge_config_selectorIalEEZZNS1_27merge_sort_block_merge_implIS3_PaN6thrust23THRUST_200600_302600_NS10device_ptrIlEEjNS1_19radix_merge_compareILb0ELb1EaNS0_19identity_decomposerEEEEE10hipError_tT0_T1_T2_jT3_P12ihipStream_tbPNSt15iterator_traitsISG_E10value_typeEPNSM_ISH_E10value_typeEPSI_NS1_7vsmem_tEENKUlT_SG_SH_SI_E_clIS7_S7_PlSB_EESF_SV_SG_SH_SI_EUlSV_E_NS1_11comp_targetILNS1_3genE4ELNS1_11target_archE910ELNS1_3gpuE8ELNS1_3repE0EEENS1_48merge_mergepath_partition_config_static_selectorELNS0_4arch9wavefront6targetE1EEEvSH_,"axG",@progbits,_ZN7rocprim17ROCPRIM_400000_NS6detail17trampoline_kernelINS0_14default_configENS1_38merge_sort_block_merge_config_selectorIalEEZZNS1_27merge_sort_block_merge_implIS3_PaN6thrust23THRUST_200600_302600_NS10device_ptrIlEEjNS1_19radix_merge_compareILb0ELb1EaNS0_19identity_decomposerEEEEE10hipError_tT0_T1_T2_jT3_P12ihipStream_tbPNSt15iterator_traitsISG_E10value_typeEPNSM_ISH_E10value_typeEPSI_NS1_7vsmem_tEENKUlT_SG_SH_SI_E_clIS7_S7_PlSB_EESF_SV_SG_SH_SI_EUlSV_E_NS1_11comp_targetILNS1_3genE4ELNS1_11target_archE910ELNS1_3gpuE8ELNS1_3repE0EEENS1_48merge_mergepath_partition_config_static_selectorELNS0_4arch9wavefront6targetE1EEEvSH_,comdat
	.protected	_ZN7rocprim17ROCPRIM_400000_NS6detail17trampoline_kernelINS0_14default_configENS1_38merge_sort_block_merge_config_selectorIalEEZZNS1_27merge_sort_block_merge_implIS3_PaN6thrust23THRUST_200600_302600_NS10device_ptrIlEEjNS1_19radix_merge_compareILb0ELb1EaNS0_19identity_decomposerEEEEE10hipError_tT0_T1_T2_jT3_P12ihipStream_tbPNSt15iterator_traitsISG_E10value_typeEPNSM_ISH_E10value_typeEPSI_NS1_7vsmem_tEENKUlT_SG_SH_SI_E_clIS7_S7_PlSB_EESF_SV_SG_SH_SI_EUlSV_E_NS1_11comp_targetILNS1_3genE4ELNS1_11target_archE910ELNS1_3gpuE8ELNS1_3repE0EEENS1_48merge_mergepath_partition_config_static_selectorELNS0_4arch9wavefront6targetE1EEEvSH_ ; -- Begin function _ZN7rocprim17ROCPRIM_400000_NS6detail17trampoline_kernelINS0_14default_configENS1_38merge_sort_block_merge_config_selectorIalEEZZNS1_27merge_sort_block_merge_implIS3_PaN6thrust23THRUST_200600_302600_NS10device_ptrIlEEjNS1_19radix_merge_compareILb0ELb1EaNS0_19identity_decomposerEEEEE10hipError_tT0_T1_T2_jT3_P12ihipStream_tbPNSt15iterator_traitsISG_E10value_typeEPNSM_ISH_E10value_typeEPSI_NS1_7vsmem_tEENKUlT_SG_SH_SI_E_clIS7_S7_PlSB_EESF_SV_SG_SH_SI_EUlSV_E_NS1_11comp_targetILNS1_3genE4ELNS1_11target_archE910ELNS1_3gpuE8ELNS1_3repE0EEENS1_48merge_mergepath_partition_config_static_selectorELNS0_4arch9wavefront6targetE1EEEvSH_
	.globl	_ZN7rocprim17ROCPRIM_400000_NS6detail17trampoline_kernelINS0_14default_configENS1_38merge_sort_block_merge_config_selectorIalEEZZNS1_27merge_sort_block_merge_implIS3_PaN6thrust23THRUST_200600_302600_NS10device_ptrIlEEjNS1_19radix_merge_compareILb0ELb1EaNS0_19identity_decomposerEEEEE10hipError_tT0_T1_T2_jT3_P12ihipStream_tbPNSt15iterator_traitsISG_E10value_typeEPNSM_ISH_E10value_typeEPSI_NS1_7vsmem_tEENKUlT_SG_SH_SI_E_clIS7_S7_PlSB_EESF_SV_SG_SH_SI_EUlSV_E_NS1_11comp_targetILNS1_3genE4ELNS1_11target_archE910ELNS1_3gpuE8ELNS1_3repE0EEENS1_48merge_mergepath_partition_config_static_selectorELNS0_4arch9wavefront6targetE1EEEvSH_
	.p2align	8
	.type	_ZN7rocprim17ROCPRIM_400000_NS6detail17trampoline_kernelINS0_14default_configENS1_38merge_sort_block_merge_config_selectorIalEEZZNS1_27merge_sort_block_merge_implIS3_PaN6thrust23THRUST_200600_302600_NS10device_ptrIlEEjNS1_19radix_merge_compareILb0ELb1EaNS0_19identity_decomposerEEEEE10hipError_tT0_T1_T2_jT3_P12ihipStream_tbPNSt15iterator_traitsISG_E10value_typeEPNSM_ISH_E10value_typeEPSI_NS1_7vsmem_tEENKUlT_SG_SH_SI_E_clIS7_S7_PlSB_EESF_SV_SG_SH_SI_EUlSV_E_NS1_11comp_targetILNS1_3genE4ELNS1_11target_archE910ELNS1_3gpuE8ELNS1_3repE0EEENS1_48merge_mergepath_partition_config_static_selectorELNS0_4arch9wavefront6targetE1EEEvSH_,@function
_ZN7rocprim17ROCPRIM_400000_NS6detail17trampoline_kernelINS0_14default_configENS1_38merge_sort_block_merge_config_selectorIalEEZZNS1_27merge_sort_block_merge_implIS3_PaN6thrust23THRUST_200600_302600_NS10device_ptrIlEEjNS1_19radix_merge_compareILb0ELb1EaNS0_19identity_decomposerEEEEE10hipError_tT0_T1_T2_jT3_P12ihipStream_tbPNSt15iterator_traitsISG_E10value_typeEPNSM_ISH_E10value_typeEPSI_NS1_7vsmem_tEENKUlT_SG_SH_SI_E_clIS7_S7_PlSB_EESF_SV_SG_SH_SI_EUlSV_E_NS1_11comp_targetILNS1_3genE4ELNS1_11target_archE910ELNS1_3gpuE8ELNS1_3repE0EEENS1_48merge_mergepath_partition_config_static_selectorELNS0_4arch9wavefront6targetE1EEEvSH_: ; @_ZN7rocprim17ROCPRIM_400000_NS6detail17trampoline_kernelINS0_14default_configENS1_38merge_sort_block_merge_config_selectorIalEEZZNS1_27merge_sort_block_merge_implIS3_PaN6thrust23THRUST_200600_302600_NS10device_ptrIlEEjNS1_19radix_merge_compareILb0ELb1EaNS0_19identity_decomposerEEEEE10hipError_tT0_T1_T2_jT3_P12ihipStream_tbPNSt15iterator_traitsISG_E10value_typeEPNSM_ISH_E10value_typeEPSI_NS1_7vsmem_tEENKUlT_SG_SH_SI_E_clIS7_S7_PlSB_EESF_SV_SG_SH_SI_EUlSV_E_NS1_11comp_targetILNS1_3genE4ELNS1_11target_archE910ELNS1_3gpuE8ELNS1_3repE0EEENS1_48merge_mergepath_partition_config_static_selectorELNS0_4arch9wavefront6targetE1EEEvSH_
; %bb.0:
	s_load_dword s0, s[4:5], 0x0
	v_lshl_or_b32 v0, s6, 7, v0
	s_waitcnt lgkmcnt(0)
	v_cmp_gt_u32_e32 vcc, s0, v0
	s_and_saveexec_b64 s[0:1], vcc
	s_cbranch_execz .LBB537_6
; %bb.1:
	s_load_dwordx2 s[2:3], s[4:5], 0x4
	s_load_dwordx2 s[0:1], s[4:5], 0x20
	s_waitcnt lgkmcnt(0)
	s_lshr_b32 s6, s2, 9
	s_and_b32 s6, s6, 0x7ffffe
	s_add_i32 s7, s6, -1
	s_sub_i32 s6, 0, s6
	v_and_b32_e32 v1, s6, v0
	v_lshlrev_b32_e32 v3, 10, v1
	v_min_u32_e32 v1, s3, v3
	v_add_u32_e32 v3, s2, v3
	v_min_u32_e32 v7, s3, v3
	v_add_u32_e32 v3, s2, v7
	v_and_b32_e32 v2, s7, v0
	v_min_u32_e32 v4, s3, v3
	v_sub_u32_e32 v3, v4, v1
	v_lshlrev_b32_e32 v2, 10, v2
	v_min_u32_e32 v3, v3, v2
	v_sub_u32_e32 v5, v7, v1
	v_sub_u32_e32 v2, v4, v7
	v_sub_u32_e64 v2, v3, v2 clamp
	v_min_u32_e32 v4, v3, v5
	v_cmp_lt_u32_e32 vcc, v2, v4
	s_and_saveexec_b64 s[2:3], vcc
	s_cbranch_execz .LBB537_5
; %bb.2:
	s_load_dwordx2 s[8:9], s[4:5], 0x10
	s_load_dword s6, s[4:5], 0x18
	s_mov_b64 s[4:5], 0
	s_waitcnt lgkmcnt(0)
	v_mov_b32_e32 v8, s9
	v_add_co_u32_e32 v5, vcc, s8, v1
	v_addc_co_u32_e32 v6, vcc, 0, v8, vcc
	v_add_co_u32_e32 v7, vcc, s8, v7
	v_addc_co_u32_e32 v8, vcc, 0, v8, vcc
.LBB537_3:                              ; =>This Inner Loop Header: Depth=1
	v_add_u32_e32 v9, v4, v2
	v_lshrrev_b32_e32 v9, 1, v9
	v_add_co_u32_e32 v10, vcc, v5, v9
	v_xad_u32 v12, v9, -1, v3
	v_addc_co_u32_e32 v11, vcc, 0, v6, vcc
	v_add_co_u32_e32 v12, vcc, v7, v12
	v_addc_co_u32_e32 v13, vcc, 0, v8, vcc
	global_load_ubyte v14, v[10:11], off
	global_load_ubyte v15, v[12:13], off
	v_add_u32_e32 v10, 1, v9
	s_waitcnt vmcnt(1)
	v_and_b32_e32 v11, s6, v14
	s_waitcnt vmcnt(0)
	v_and_b32_e32 v12, s6, v15
	v_cmp_gt_i16_sdwa vcc, sext(v11), sext(v12) src0_sel:BYTE_0 src1_sel:BYTE_0
	v_cndmask_b32_e32 v4, v4, v9, vcc
	v_cndmask_b32_e32 v2, v10, v2, vcc
	v_cmp_ge_u32_e32 vcc, v2, v4
	s_or_b64 s[4:5], vcc, s[4:5]
	s_andn2_b64 exec, exec, s[4:5]
	s_cbranch_execnz .LBB537_3
; %bb.4:
	s_or_b64 exec, exec, s[4:5]
.LBB537_5:
	s_or_b64 exec, exec, s[2:3]
	v_add_u32_e32 v2, v2, v1
	v_mov_b32_e32 v1, 0
	v_lshlrev_b64 v[0:1], 2, v[0:1]
	v_mov_b32_e32 v3, s1
	v_add_co_u32_e32 v0, vcc, s0, v0
	v_addc_co_u32_e32 v1, vcc, v3, v1, vcc
	global_store_dword v[0:1], v2, off
.LBB537_6:
	s_endpgm
	.section	.rodata,"a",@progbits
	.p2align	6, 0x0
	.amdhsa_kernel _ZN7rocprim17ROCPRIM_400000_NS6detail17trampoline_kernelINS0_14default_configENS1_38merge_sort_block_merge_config_selectorIalEEZZNS1_27merge_sort_block_merge_implIS3_PaN6thrust23THRUST_200600_302600_NS10device_ptrIlEEjNS1_19radix_merge_compareILb0ELb1EaNS0_19identity_decomposerEEEEE10hipError_tT0_T1_T2_jT3_P12ihipStream_tbPNSt15iterator_traitsISG_E10value_typeEPNSM_ISH_E10value_typeEPSI_NS1_7vsmem_tEENKUlT_SG_SH_SI_E_clIS7_S7_PlSB_EESF_SV_SG_SH_SI_EUlSV_E_NS1_11comp_targetILNS1_3genE4ELNS1_11target_archE910ELNS1_3gpuE8ELNS1_3repE0EEENS1_48merge_mergepath_partition_config_static_selectorELNS0_4arch9wavefront6targetE1EEEvSH_
		.amdhsa_group_segment_fixed_size 0
		.amdhsa_private_segment_fixed_size 0
		.amdhsa_kernarg_size 40
		.amdhsa_user_sgpr_count 6
		.amdhsa_user_sgpr_private_segment_buffer 1
		.amdhsa_user_sgpr_dispatch_ptr 0
		.amdhsa_user_sgpr_queue_ptr 0
		.amdhsa_user_sgpr_kernarg_segment_ptr 1
		.amdhsa_user_sgpr_dispatch_id 0
		.amdhsa_user_sgpr_flat_scratch_init 0
		.amdhsa_user_sgpr_kernarg_preload_length 0
		.amdhsa_user_sgpr_kernarg_preload_offset 0
		.amdhsa_user_sgpr_private_segment_size 0
		.amdhsa_uses_dynamic_stack 0
		.amdhsa_system_sgpr_private_segment_wavefront_offset 0
		.amdhsa_system_sgpr_workgroup_id_x 1
		.amdhsa_system_sgpr_workgroup_id_y 0
		.amdhsa_system_sgpr_workgroup_id_z 0
		.amdhsa_system_sgpr_workgroup_info 0
		.amdhsa_system_vgpr_workitem_id 0
		.amdhsa_next_free_vgpr 16
		.amdhsa_next_free_sgpr 10
		.amdhsa_accum_offset 16
		.amdhsa_reserve_vcc 1
		.amdhsa_reserve_flat_scratch 0
		.amdhsa_float_round_mode_32 0
		.amdhsa_float_round_mode_16_64 0
		.amdhsa_float_denorm_mode_32 3
		.amdhsa_float_denorm_mode_16_64 3
		.amdhsa_dx10_clamp 1
		.amdhsa_ieee_mode 1
		.amdhsa_fp16_overflow 0
		.amdhsa_tg_split 0
		.amdhsa_exception_fp_ieee_invalid_op 0
		.amdhsa_exception_fp_denorm_src 0
		.amdhsa_exception_fp_ieee_div_zero 0
		.amdhsa_exception_fp_ieee_overflow 0
		.amdhsa_exception_fp_ieee_underflow 0
		.amdhsa_exception_fp_ieee_inexact 0
		.amdhsa_exception_int_div_zero 0
	.end_amdhsa_kernel
	.section	.text._ZN7rocprim17ROCPRIM_400000_NS6detail17trampoline_kernelINS0_14default_configENS1_38merge_sort_block_merge_config_selectorIalEEZZNS1_27merge_sort_block_merge_implIS3_PaN6thrust23THRUST_200600_302600_NS10device_ptrIlEEjNS1_19radix_merge_compareILb0ELb1EaNS0_19identity_decomposerEEEEE10hipError_tT0_T1_T2_jT3_P12ihipStream_tbPNSt15iterator_traitsISG_E10value_typeEPNSM_ISH_E10value_typeEPSI_NS1_7vsmem_tEENKUlT_SG_SH_SI_E_clIS7_S7_PlSB_EESF_SV_SG_SH_SI_EUlSV_E_NS1_11comp_targetILNS1_3genE4ELNS1_11target_archE910ELNS1_3gpuE8ELNS1_3repE0EEENS1_48merge_mergepath_partition_config_static_selectorELNS0_4arch9wavefront6targetE1EEEvSH_,"axG",@progbits,_ZN7rocprim17ROCPRIM_400000_NS6detail17trampoline_kernelINS0_14default_configENS1_38merge_sort_block_merge_config_selectorIalEEZZNS1_27merge_sort_block_merge_implIS3_PaN6thrust23THRUST_200600_302600_NS10device_ptrIlEEjNS1_19radix_merge_compareILb0ELb1EaNS0_19identity_decomposerEEEEE10hipError_tT0_T1_T2_jT3_P12ihipStream_tbPNSt15iterator_traitsISG_E10value_typeEPNSM_ISH_E10value_typeEPSI_NS1_7vsmem_tEENKUlT_SG_SH_SI_E_clIS7_S7_PlSB_EESF_SV_SG_SH_SI_EUlSV_E_NS1_11comp_targetILNS1_3genE4ELNS1_11target_archE910ELNS1_3gpuE8ELNS1_3repE0EEENS1_48merge_mergepath_partition_config_static_selectorELNS0_4arch9wavefront6targetE1EEEvSH_,comdat
.Lfunc_end537:
	.size	_ZN7rocprim17ROCPRIM_400000_NS6detail17trampoline_kernelINS0_14default_configENS1_38merge_sort_block_merge_config_selectorIalEEZZNS1_27merge_sort_block_merge_implIS3_PaN6thrust23THRUST_200600_302600_NS10device_ptrIlEEjNS1_19radix_merge_compareILb0ELb1EaNS0_19identity_decomposerEEEEE10hipError_tT0_T1_T2_jT3_P12ihipStream_tbPNSt15iterator_traitsISG_E10value_typeEPNSM_ISH_E10value_typeEPSI_NS1_7vsmem_tEENKUlT_SG_SH_SI_E_clIS7_S7_PlSB_EESF_SV_SG_SH_SI_EUlSV_E_NS1_11comp_targetILNS1_3genE4ELNS1_11target_archE910ELNS1_3gpuE8ELNS1_3repE0EEENS1_48merge_mergepath_partition_config_static_selectorELNS0_4arch9wavefront6targetE1EEEvSH_, .Lfunc_end537-_ZN7rocprim17ROCPRIM_400000_NS6detail17trampoline_kernelINS0_14default_configENS1_38merge_sort_block_merge_config_selectorIalEEZZNS1_27merge_sort_block_merge_implIS3_PaN6thrust23THRUST_200600_302600_NS10device_ptrIlEEjNS1_19radix_merge_compareILb0ELb1EaNS0_19identity_decomposerEEEEE10hipError_tT0_T1_T2_jT3_P12ihipStream_tbPNSt15iterator_traitsISG_E10value_typeEPNSM_ISH_E10value_typeEPSI_NS1_7vsmem_tEENKUlT_SG_SH_SI_E_clIS7_S7_PlSB_EESF_SV_SG_SH_SI_EUlSV_E_NS1_11comp_targetILNS1_3genE4ELNS1_11target_archE910ELNS1_3gpuE8ELNS1_3repE0EEENS1_48merge_mergepath_partition_config_static_selectorELNS0_4arch9wavefront6targetE1EEEvSH_
                                        ; -- End function
	.section	.AMDGPU.csdata,"",@progbits
; Kernel info:
; codeLenInByte = 340
; NumSgprs: 14
; NumVgprs: 16
; NumAgprs: 0
; TotalNumVgprs: 16
; ScratchSize: 0
; MemoryBound: 0
; FloatMode: 240
; IeeeMode: 1
; LDSByteSize: 0 bytes/workgroup (compile time only)
; SGPRBlocks: 1
; VGPRBlocks: 1
; NumSGPRsForWavesPerEU: 14
; NumVGPRsForWavesPerEU: 16
; AccumOffset: 16
; Occupancy: 8
; WaveLimiterHint : 0
; COMPUTE_PGM_RSRC2:SCRATCH_EN: 0
; COMPUTE_PGM_RSRC2:USER_SGPR: 6
; COMPUTE_PGM_RSRC2:TRAP_HANDLER: 0
; COMPUTE_PGM_RSRC2:TGID_X_EN: 1
; COMPUTE_PGM_RSRC2:TGID_Y_EN: 0
; COMPUTE_PGM_RSRC2:TGID_Z_EN: 0
; COMPUTE_PGM_RSRC2:TIDIG_COMP_CNT: 0
; COMPUTE_PGM_RSRC3_GFX90A:ACCUM_OFFSET: 3
; COMPUTE_PGM_RSRC3_GFX90A:TG_SPLIT: 0
	.section	.text._ZN7rocprim17ROCPRIM_400000_NS6detail17trampoline_kernelINS0_14default_configENS1_38merge_sort_block_merge_config_selectorIalEEZZNS1_27merge_sort_block_merge_implIS3_PaN6thrust23THRUST_200600_302600_NS10device_ptrIlEEjNS1_19radix_merge_compareILb0ELb1EaNS0_19identity_decomposerEEEEE10hipError_tT0_T1_T2_jT3_P12ihipStream_tbPNSt15iterator_traitsISG_E10value_typeEPNSM_ISH_E10value_typeEPSI_NS1_7vsmem_tEENKUlT_SG_SH_SI_E_clIS7_S7_PlSB_EESF_SV_SG_SH_SI_EUlSV_E_NS1_11comp_targetILNS1_3genE3ELNS1_11target_archE908ELNS1_3gpuE7ELNS1_3repE0EEENS1_48merge_mergepath_partition_config_static_selectorELNS0_4arch9wavefront6targetE1EEEvSH_,"axG",@progbits,_ZN7rocprim17ROCPRIM_400000_NS6detail17trampoline_kernelINS0_14default_configENS1_38merge_sort_block_merge_config_selectorIalEEZZNS1_27merge_sort_block_merge_implIS3_PaN6thrust23THRUST_200600_302600_NS10device_ptrIlEEjNS1_19radix_merge_compareILb0ELb1EaNS0_19identity_decomposerEEEEE10hipError_tT0_T1_T2_jT3_P12ihipStream_tbPNSt15iterator_traitsISG_E10value_typeEPNSM_ISH_E10value_typeEPSI_NS1_7vsmem_tEENKUlT_SG_SH_SI_E_clIS7_S7_PlSB_EESF_SV_SG_SH_SI_EUlSV_E_NS1_11comp_targetILNS1_3genE3ELNS1_11target_archE908ELNS1_3gpuE7ELNS1_3repE0EEENS1_48merge_mergepath_partition_config_static_selectorELNS0_4arch9wavefront6targetE1EEEvSH_,comdat
	.protected	_ZN7rocprim17ROCPRIM_400000_NS6detail17trampoline_kernelINS0_14default_configENS1_38merge_sort_block_merge_config_selectorIalEEZZNS1_27merge_sort_block_merge_implIS3_PaN6thrust23THRUST_200600_302600_NS10device_ptrIlEEjNS1_19radix_merge_compareILb0ELb1EaNS0_19identity_decomposerEEEEE10hipError_tT0_T1_T2_jT3_P12ihipStream_tbPNSt15iterator_traitsISG_E10value_typeEPNSM_ISH_E10value_typeEPSI_NS1_7vsmem_tEENKUlT_SG_SH_SI_E_clIS7_S7_PlSB_EESF_SV_SG_SH_SI_EUlSV_E_NS1_11comp_targetILNS1_3genE3ELNS1_11target_archE908ELNS1_3gpuE7ELNS1_3repE0EEENS1_48merge_mergepath_partition_config_static_selectorELNS0_4arch9wavefront6targetE1EEEvSH_ ; -- Begin function _ZN7rocprim17ROCPRIM_400000_NS6detail17trampoline_kernelINS0_14default_configENS1_38merge_sort_block_merge_config_selectorIalEEZZNS1_27merge_sort_block_merge_implIS3_PaN6thrust23THRUST_200600_302600_NS10device_ptrIlEEjNS1_19radix_merge_compareILb0ELb1EaNS0_19identity_decomposerEEEEE10hipError_tT0_T1_T2_jT3_P12ihipStream_tbPNSt15iterator_traitsISG_E10value_typeEPNSM_ISH_E10value_typeEPSI_NS1_7vsmem_tEENKUlT_SG_SH_SI_E_clIS7_S7_PlSB_EESF_SV_SG_SH_SI_EUlSV_E_NS1_11comp_targetILNS1_3genE3ELNS1_11target_archE908ELNS1_3gpuE7ELNS1_3repE0EEENS1_48merge_mergepath_partition_config_static_selectorELNS0_4arch9wavefront6targetE1EEEvSH_
	.globl	_ZN7rocprim17ROCPRIM_400000_NS6detail17trampoline_kernelINS0_14default_configENS1_38merge_sort_block_merge_config_selectorIalEEZZNS1_27merge_sort_block_merge_implIS3_PaN6thrust23THRUST_200600_302600_NS10device_ptrIlEEjNS1_19radix_merge_compareILb0ELb1EaNS0_19identity_decomposerEEEEE10hipError_tT0_T1_T2_jT3_P12ihipStream_tbPNSt15iterator_traitsISG_E10value_typeEPNSM_ISH_E10value_typeEPSI_NS1_7vsmem_tEENKUlT_SG_SH_SI_E_clIS7_S7_PlSB_EESF_SV_SG_SH_SI_EUlSV_E_NS1_11comp_targetILNS1_3genE3ELNS1_11target_archE908ELNS1_3gpuE7ELNS1_3repE0EEENS1_48merge_mergepath_partition_config_static_selectorELNS0_4arch9wavefront6targetE1EEEvSH_
	.p2align	8
	.type	_ZN7rocprim17ROCPRIM_400000_NS6detail17trampoline_kernelINS0_14default_configENS1_38merge_sort_block_merge_config_selectorIalEEZZNS1_27merge_sort_block_merge_implIS3_PaN6thrust23THRUST_200600_302600_NS10device_ptrIlEEjNS1_19radix_merge_compareILb0ELb1EaNS0_19identity_decomposerEEEEE10hipError_tT0_T1_T2_jT3_P12ihipStream_tbPNSt15iterator_traitsISG_E10value_typeEPNSM_ISH_E10value_typeEPSI_NS1_7vsmem_tEENKUlT_SG_SH_SI_E_clIS7_S7_PlSB_EESF_SV_SG_SH_SI_EUlSV_E_NS1_11comp_targetILNS1_3genE3ELNS1_11target_archE908ELNS1_3gpuE7ELNS1_3repE0EEENS1_48merge_mergepath_partition_config_static_selectorELNS0_4arch9wavefront6targetE1EEEvSH_,@function
_ZN7rocprim17ROCPRIM_400000_NS6detail17trampoline_kernelINS0_14default_configENS1_38merge_sort_block_merge_config_selectorIalEEZZNS1_27merge_sort_block_merge_implIS3_PaN6thrust23THRUST_200600_302600_NS10device_ptrIlEEjNS1_19radix_merge_compareILb0ELb1EaNS0_19identity_decomposerEEEEE10hipError_tT0_T1_T2_jT3_P12ihipStream_tbPNSt15iterator_traitsISG_E10value_typeEPNSM_ISH_E10value_typeEPSI_NS1_7vsmem_tEENKUlT_SG_SH_SI_E_clIS7_S7_PlSB_EESF_SV_SG_SH_SI_EUlSV_E_NS1_11comp_targetILNS1_3genE3ELNS1_11target_archE908ELNS1_3gpuE7ELNS1_3repE0EEENS1_48merge_mergepath_partition_config_static_selectorELNS0_4arch9wavefront6targetE1EEEvSH_: ; @_ZN7rocprim17ROCPRIM_400000_NS6detail17trampoline_kernelINS0_14default_configENS1_38merge_sort_block_merge_config_selectorIalEEZZNS1_27merge_sort_block_merge_implIS3_PaN6thrust23THRUST_200600_302600_NS10device_ptrIlEEjNS1_19radix_merge_compareILb0ELb1EaNS0_19identity_decomposerEEEEE10hipError_tT0_T1_T2_jT3_P12ihipStream_tbPNSt15iterator_traitsISG_E10value_typeEPNSM_ISH_E10value_typeEPSI_NS1_7vsmem_tEENKUlT_SG_SH_SI_E_clIS7_S7_PlSB_EESF_SV_SG_SH_SI_EUlSV_E_NS1_11comp_targetILNS1_3genE3ELNS1_11target_archE908ELNS1_3gpuE7ELNS1_3repE0EEENS1_48merge_mergepath_partition_config_static_selectorELNS0_4arch9wavefront6targetE1EEEvSH_
; %bb.0:
	.section	.rodata,"a",@progbits
	.p2align	6, 0x0
	.amdhsa_kernel _ZN7rocprim17ROCPRIM_400000_NS6detail17trampoline_kernelINS0_14default_configENS1_38merge_sort_block_merge_config_selectorIalEEZZNS1_27merge_sort_block_merge_implIS3_PaN6thrust23THRUST_200600_302600_NS10device_ptrIlEEjNS1_19radix_merge_compareILb0ELb1EaNS0_19identity_decomposerEEEEE10hipError_tT0_T1_T2_jT3_P12ihipStream_tbPNSt15iterator_traitsISG_E10value_typeEPNSM_ISH_E10value_typeEPSI_NS1_7vsmem_tEENKUlT_SG_SH_SI_E_clIS7_S7_PlSB_EESF_SV_SG_SH_SI_EUlSV_E_NS1_11comp_targetILNS1_3genE3ELNS1_11target_archE908ELNS1_3gpuE7ELNS1_3repE0EEENS1_48merge_mergepath_partition_config_static_selectorELNS0_4arch9wavefront6targetE1EEEvSH_
		.amdhsa_group_segment_fixed_size 0
		.amdhsa_private_segment_fixed_size 0
		.amdhsa_kernarg_size 40
		.amdhsa_user_sgpr_count 6
		.amdhsa_user_sgpr_private_segment_buffer 1
		.amdhsa_user_sgpr_dispatch_ptr 0
		.amdhsa_user_sgpr_queue_ptr 0
		.amdhsa_user_sgpr_kernarg_segment_ptr 1
		.amdhsa_user_sgpr_dispatch_id 0
		.amdhsa_user_sgpr_flat_scratch_init 0
		.amdhsa_user_sgpr_kernarg_preload_length 0
		.amdhsa_user_sgpr_kernarg_preload_offset 0
		.amdhsa_user_sgpr_private_segment_size 0
		.amdhsa_uses_dynamic_stack 0
		.amdhsa_system_sgpr_private_segment_wavefront_offset 0
		.amdhsa_system_sgpr_workgroup_id_x 1
		.amdhsa_system_sgpr_workgroup_id_y 0
		.amdhsa_system_sgpr_workgroup_id_z 0
		.amdhsa_system_sgpr_workgroup_info 0
		.amdhsa_system_vgpr_workitem_id 0
		.amdhsa_next_free_vgpr 1
		.amdhsa_next_free_sgpr 0
		.amdhsa_accum_offset 4
		.amdhsa_reserve_vcc 0
		.amdhsa_reserve_flat_scratch 0
		.amdhsa_float_round_mode_32 0
		.amdhsa_float_round_mode_16_64 0
		.amdhsa_float_denorm_mode_32 3
		.amdhsa_float_denorm_mode_16_64 3
		.amdhsa_dx10_clamp 1
		.amdhsa_ieee_mode 1
		.amdhsa_fp16_overflow 0
		.amdhsa_tg_split 0
		.amdhsa_exception_fp_ieee_invalid_op 0
		.amdhsa_exception_fp_denorm_src 0
		.amdhsa_exception_fp_ieee_div_zero 0
		.amdhsa_exception_fp_ieee_overflow 0
		.amdhsa_exception_fp_ieee_underflow 0
		.amdhsa_exception_fp_ieee_inexact 0
		.amdhsa_exception_int_div_zero 0
	.end_amdhsa_kernel
	.section	.text._ZN7rocprim17ROCPRIM_400000_NS6detail17trampoline_kernelINS0_14default_configENS1_38merge_sort_block_merge_config_selectorIalEEZZNS1_27merge_sort_block_merge_implIS3_PaN6thrust23THRUST_200600_302600_NS10device_ptrIlEEjNS1_19radix_merge_compareILb0ELb1EaNS0_19identity_decomposerEEEEE10hipError_tT0_T1_T2_jT3_P12ihipStream_tbPNSt15iterator_traitsISG_E10value_typeEPNSM_ISH_E10value_typeEPSI_NS1_7vsmem_tEENKUlT_SG_SH_SI_E_clIS7_S7_PlSB_EESF_SV_SG_SH_SI_EUlSV_E_NS1_11comp_targetILNS1_3genE3ELNS1_11target_archE908ELNS1_3gpuE7ELNS1_3repE0EEENS1_48merge_mergepath_partition_config_static_selectorELNS0_4arch9wavefront6targetE1EEEvSH_,"axG",@progbits,_ZN7rocprim17ROCPRIM_400000_NS6detail17trampoline_kernelINS0_14default_configENS1_38merge_sort_block_merge_config_selectorIalEEZZNS1_27merge_sort_block_merge_implIS3_PaN6thrust23THRUST_200600_302600_NS10device_ptrIlEEjNS1_19radix_merge_compareILb0ELb1EaNS0_19identity_decomposerEEEEE10hipError_tT0_T1_T2_jT3_P12ihipStream_tbPNSt15iterator_traitsISG_E10value_typeEPNSM_ISH_E10value_typeEPSI_NS1_7vsmem_tEENKUlT_SG_SH_SI_E_clIS7_S7_PlSB_EESF_SV_SG_SH_SI_EUlSV_E_NS1_11comp_targetILNS1_3genE3ELNS1_11target_archE908ELNS1_3gpuE7ELNS1_3repE0EEENS1_48merge_mergepath_partition_config_static_selectorELNS0_4arch9wavefront6targetE1EEEvSH_,comdat
.Lfunc_end538:
	.size	_ZN7rocprim17ROCPRIM_400000_NS6detail17trampoline_kernelINS0_14default_configENS1_38merge_sort_block_merge_config_selectorIalEEZZNS1_27merge_sort_block_merge_implIS3_PaN6thrust23THRUST_200600_302600_NS10device_ptrIlEEjNS1_19radix_merge_compareILb0ELb1EaNS0_19identity_decomposerEEEEE10hipError_tT0_T1_T2_jT3_P12ihipStream_tbPNSt15iterator_traitsISG_E10value_typeEPNSM_ISH_E10value_typeEPSI_NS1_7vsmem_tEENKUlT_SG_SH_SI_E_clIS7_S7_PlSB_EESF_SV_SG_SH_SI_EUlSV_E_NS1_11comp_targetILNS1_3genE3ELNS1_11target_archE908ELNS1_3gpuE7ELNS1_3repE0EEENS1_48merge_mergepath_partition_config_static_selectorELNS0_4arch9wavefront6targetE1EEEvSH_, .Lfunc_end538-_ZN7rocprim17ROCPRIM_400000_NS6detail17trampoline_kernelINS0_14default_configENS1_38merge_sort_block_merge_config_selectorIalEEZZNS1_27merge_sort_block_merge_implIS3_PaN6thrust23THRUST_200600_302600_NS10device_ptrIlEEjNS1_19radix_merge_compareILb0ELb1EaNS0_19identity_decomposerEEEEE10hipError_tT0_T1_T2_jT3_P12ihipStream_tbPNSt15iterator_traitsISG_E10value_typeEPNSM_ISH_E10value_typeEPSI_NS1_7vsmem_tEENKUlT_SG_SH_SI_E_clIS7_S7_PlSB_EESF_SV_SG_SH_SI_EUlSV_E_NS1_11comp_targetILNS1_3genE3ELNS1_11target_archE908ELNS1_3gpuE7ELNS1_3repE0EEENS1_48merge_mergepath_partition_config_static_selectorELNS0_4arch9wavefront6targetE1EEEvSH_
                                        ; -- End function
	.section	.AMDGPU.csdata,"",@progbits
; Kernel info:
; codeLenInByte = 0
; NumSgprs: 4
; NumVgprs: 0
; NumAgprs: 0
; TotalNumVgprs: 0
; ScratchSize: 0
; MemoryBound: 0
; FloatMode: 240
; IeeeMode: 1
; LDSByteSize: 0 bytes/workgroup (compile time only)
; SGPRBlocks: 0
; VGPRBlocks: 0
; NumSGPRsForWavesPerEU: 4
; NumVGPRsForWavesPerEU: 1
; AccumOffset: 4
; Occupancy: 8
; WaveLimiterHint : 0
; COMPUTE_PGM_RSRC2:SCRATCH_EN: 0
; COMPUTE_PGM_RSRC2:USER_SGPR: 6
; COMPUTE_PGM_RSRC2:TRAP_HANDLER: 0
; COMPUTE_PGM_RSRC2:TGID_X_EN: 1
; COMPUTE_PGM_RSRC2:TGID_Y_EN: 0
; COMPUTE_PGM_RSRC2:TGID_Z_EN: 0
; COMPUTE_PGM_RSRC2:TIDIG_COMP_CNT: 0
; COMPUTE_PGM_RSRC3_GFX90A:ACCUM_OFFSET: 0
; COMPUTE_PGM_RSRC3_GFX90A:TG_SPLIT: 0
	.section	.text._ZN7rocprim17ROCPRIM_400000_NS6detail17trampoline_kernelINS0_14default_configENS1_38merge_sort_block_merge_config_selectorIalEEZZNS1_27merge_sort_block_merge_implIS3_PaN6thrust23THRUST_200600_302600_NS10device_ptrIlEEjNS1_19radix_merge_compareILb0ELb1EaNS0_19identity_decomposerEEEEE10hipError_tT0_T1_T2_jT3_P12ihipStream_tbPNSt15iterator_traitsISG_E10value_typeEPNSM_ISH_E10value_typeEPSI_NS1_7vsmem_tEENKUlT_SG_SH_SI_E_clIS7_S7_PlSB_EESF_SV_SG_SH_SI_EUlSV_E_NS1_11comp_targetILNS1_3genE2ELNS1_11target_archE906ELNS1_3gpuE6ELNS1_3repE0EEENS1_48merge_mergepath_partition_config_static_selectorELNS0_4arch9wavefront6targetE1EEEvSH_,"axG",@progbits,_ZN7rocprim17ROCPRIM_400000_NS6detail17trampoline_kernelINS0_14default_configENS1_38merge_sort_block_merge_config_selectorIalEEZZNS1_27merge_sort_block_merge_implIS3_PaN6thrust23THRUST_200600_302600_NS10device_ptrIlEEjNS1_19radix_merge_compareILb0ELb1EaNS0_19identity_decomposerEEEEE10hipError_tT0_T1_T2_jT3_P12ihipStream_tbPNSt15iterator_traitsISG_E10value_typeEPNSM_ISH_E10value_typeEPSI_NS1_7vsmem_tEENKUlT_SG_SH_SI_E_clIS7_S7_PlSB_EESF_SV_SG_SH_SI_EUlSV_E_NS1_11comp_targetILNS1_3genE2ELNS1_11target_archE906ELNS1_3gpuE6ELNS1_3repE0EEENS1_48merge_mergepath_partition_config_static_selectorELNS0_4arch9wavefront6targetE1EEEvSH_,comdat
	.protected	_ZN7rocprim17ROCPRIM_400000_NS6detail17trampoline_kernelINS0_14default_configENS1_38merge_sort_block_merge_config_selectorIalEEZZNS1_27merge_sort_block_merge_implIS3_PaN6thrust23THRUST_200600_302600_NS10device_ptrIlEEjNS1_19radix_merge_compareILb0ELb1EaNS0_19identity_decomposerEEEEE10hipError_tT0_T1_T2_jT3_P12ihipStream_tbPNSt15iterator_traitsISG_E10value_typeEPNSM_ISH_E10value_typeEPSI_NS1_7vsmem_tEENKUlT_SG_SH_SI_E_clIS7_S7_PlSB_EESF_SV_SG_SH_SI_EUlSV_E_NS1_11comp_targetILNS1_3genE2ELNS1_11target_archE906ELNS1_3gpuE6ELNS1_3repE0EEENS1_48merge_mergepath_partition_config_static_selectorELNS0_4arch9wavefront6targetE1EEEvSH_ ; -- Begin function _ZN7rocprim17ROCPRIM_400000_NS6detail17trampoline_kernelINS0_14default_configENS1_38merge_sort_block_merge_config_selectorIalEEZZNS1_27merge_sort_block_merge_implIS3_PaN6thrust23THRUST_200600_302600_NS10device_ptrIlEEjNS1_19radix_merge_compareILb0ELb1EaNS0_19identity_decomposerEEEEE10hipError_tT0_T1_T2_jT3_P12ihipStream_tbPNSt15iterator_traitsISG_E10value_typeEPNSM_ISH_E10value_typeEPSI_NS1_7vsmem_tEENKUlT_SG_SH_SI_E_clIS7_S7_PlSB_EESF_SV_SG_SH_SI_EUlSV_E_NS1_11comp_targetILNS1_3genE2ELNS1_11target_archE906ELNS1_3gpuE6ELNS1_3repE0EEENS1_48merge_mergepath_partition_config_static_selectorELNS0_4arch9wavefront6targetE1EEEvSH_
	.globl	_ZN7rocprim17ROCPRIM_400000_NS6detail17trampoline_kernelINS0_14default_configENS1_38merge_sort_block_merge_config_selectorIalEEZZNS1_27merge_sort_block_merge_implIS3_PaN6thrust23THRUST_200600_302600_NS10device_ptrIlEEjNS1_19radix_merge_compareILb0ELb1EaNS0_19identity_decomposerEEEEE10hipError_tT0_T1_T2_jT3_P12ihipStream_tbPNSt15iterator_traitsISG_E10value_typeEPNSM_ISH_E10value_typeEPSI_NS1_7vsmem_tEENKUlT_SG_SH_SI_E_clIS7_S7_PlSB_EESF_SV_SG_SH_SI_EUlSV_E_NS1_11comp_targetILNS1_3genE2ELNS1_11target_archE906ELNS1_3gpuE6ELNS1_3repE0EEENS1_48merge_mergepath_partition_config_static_selectorELNS0_4arch9wavefront6targetE1EEEvSH_
	.p2align	8
	.type	_ZN7rocprim17ROCPRIM_400000_NS6detail17trampoline_kernelINS0_14default_configENS1_38merge_sort_block_merge_config_selectorIalEEZZNS1_27merge_sort_block_merge_implIS3_PaN6thrust23THRUST_200600_302600_NS10device_ptrIlEEjNS1_19radix_merge_compareILb0ELb1EaNS0_19identity_decomposerEEEEE10hipError_tT0_T1_T2_jT3_P12ihipStream_tbPNSt15iterator_traitsISG_E10value_typeEPNSM_ISH_E10value_typeEPSI_NS1_7vsmem_tEENKUlT_SG_SH_SI_E_clIS7_S7_PlSB_EESF_SV_SG_SH_SI_EUlSV_E_NS1_11comp_targetILNS1_3genE2ELNS1_11target_archE906ELNS1_3gpuE6ELNS1_3repE0EEENS1_48merge_mergepath_partition_config_static_selectorELNS0_4arch9wavefront6targetE1EEEvSH_,@function
_ZN7rocprim17ROCPRIM_400000_NS6detail17trampoline_kernelINS0_14default_configENS1_38merge_sort_block_merge_config_selectorIalEEZZNS1_27merge_sort_block_merge_implIS3_PaN6thrust23THRUST_200600_302600_NS10device_ptrIlEEjNS1_19radix_merge_compareILb0ELb1EaNS0_19identity_decomposerEEEEE10hipError_tT0_T1_T2_jT3_P12ihipStream_tbPNSt15iterator_traitsISG_E10value_typeEPNSM_ISH_E10value_typeEPSI_NS1_7vsmem_tEENKUlT_SG_SH_SI_E_clIS7_S7_PlSB_EESF_SV_SG_SH_SI_EUlSV_E_NS1_11comp_targetILNS1_3genE2ELNS1_11target_archE906ELNS1_3gpuE6ELNS1_3repE0EEENS1_48merge_mergepath_partition_config_static_selectorELNS0_4arch9wavefront6targetE1EEEvSH_: ; @_ZN7rocprim17ROCPRIM_400000_NS6detail17trampoline_kernelINS0_14default_configENS1_38merge_sort_block_merge_config_selectorIalEEZZNS1_27merge_sort_block_merge_implIS3_PaN6thrust23THRUST_200600_302600_NS10device_ptrIlEEjNS1_19radix_merge_compareILb0ELb1EaNS0_19identity_decomposerEEEEE10hipError_tT0_T1_T2_jT3_P12ihipStream_tbPNSt15iterator_traitsISG_E10value_typeEPNSM_ISH_E10value_typeEPSI_NS1_7vsmem_tEENKUlT_SG_SH_SI_E_clIS7_S7_PlSB_EESF_SV_SG_SH_SI_EUlSV_E_NS1_11comp_targetILNS1_3genE2ELNS1_11target_archE906ELNS1_3gpuE6ELNS1_3repE0EEENS1_48merge_mergepath_partition_config_static_selectorELNS0_4arch9wavefront6targetE1EEEvSH_
; %bb.0:
	.section	.rodata,"a",@progbits
	.p2align	6, 0x0
	.amdhsa_kernel _ZN7rocprim17ROCPRIM_400000_NS6detail17trampoline_kernelINS0_14default_configENS1_38merge_sort_block_merge_config_selectorIalEEZZNS1_27merge_sort_block_merge_implIS3_PaN6thrust23THRUST_200600_302600_NS10device_ptrIlEEjNS1_19radix_merge_compareILb0ELb1EaNS0_19identity_decomposerEEEEE10hipError_tT0_T1_T2_jT3_P12ihipStream_tbPNSt15iterator_traitsISG_E10value_typeEPNSM_ISH_E10value_typeEPSI_NS1_7vsmem_tEENKUlT_SG_SH_SI_E_clIS7_S7_PlSB_EESF_SV_SG_SH_SI_EUlSV_E_NS1_11comp_targetILNS1_3genE2ELNS1_11target_archE906ELNS1_3gpuE6ELNS1_3repE0EEENS1_48merge_mergepath_partition_config_static_selectorELNS0_4arch9wavefront6targetE1EEEvSH_
		.amdhsa_group_segment_fixed_size 0
		.amdhsa_private_segment_fixed_size 0
		.amdhsa_kernarg_size 40
		.amdhsa_user_sgpr_count 6
		.amdhsa_user_sgpr_private_segment_buffer 1
		.amdhsa_user_sgpr_dispatch_ptr 0
		.amdhsa_user_sgpr_queue_ptr 0
		.amdhsa_user_sgpr_kernarg_segment_ptr 1
		.amdhsa_user_sgpr_dispatch_id 0
		.amdhsa_user_sgpr_flat_scratch_init 0
		.amdhsa_user_sgpr_kernarg_preload_length 0
		.amdhsa_user_sgpr_kernarg_preload_offset 0
		.amdhsa_user_sgpr_private_segment_size 0
		.amdhsa_uses_dynamic_stack 0
		.amdhsa_system_sgpr_private_segment_wavefront_offset 0
		.amdhsa_system_sgpr_workgroup_id_x 1
		.amdhsa_system_sgpr_workgroup_id_y 0
		.amdhsa_system_sgpr_workgroup_id_z 0
		.amdhsa_system_sgpr_workgroup_info 0
		.amdhsa_system_vgpr_workitem_id 0
		.amdhsa_next_free_vgpr 1
		.amdhsa_next_free_sgpr 0
		.amdhsa_accum_offset 4
		.amdhsa_reserve_vcc 0
		.amdhsa_reserve_flat_scratch 0
		.amdhsa_float_round_mode_32 0
		.amdhsa_float_round_mode_16_64 0
		.amdhsa_float_denorm_mode_32 3
		.amdhsa_float_denorm_mode_16_64 3
		.amdhsa_dx10_clamp 1
		.amdhsa_ieee_mode 1
		.amdhsa_fp16_overflow 0
		.amdhsa_tg_split 0
		.amdhsa_exception_fp_ieee_invalid_op 0
		.amdhsa_exception_fp_denorm_src 0
		.amdhsa_exception_fp_ieee_div_zero 0
		.amdhsa_exception_fp_ieee_overflow 0
		.amdhsa_exception_fp_ieee_underflow 0
		.amdhsa_exception_fp_ieee_inexact 0
		.amdhsa_exception_int_div_zero 0
	.end_amdhsa_kernel
	.section	.text._ZN7rocprim17ROCPRIM_400000_NS6detail17trampoline_kernelINS0_14default_configENS1_38merge_sort_block_merge_config_selectorIalEEZZNS1_27merge_sort_block_merge_implIS3_PaN6thrust23THRUST_200600_302600_NS10device_ptrIlEEjNS1_19radix_merge_compareILb0ELb1EaNS0_19identity_decomposerEEEEE10hipError_tT0_T1_T2_jT3_P12ihipStream_tbPNSt15iterator_traitsISG_E10value_typeEPNSM_ISH_E10value_typeEPSI_NS1_7vsmem_tEENKUlT_SG_SH_SI_E_clIS7_S7_PlSB_EESF_SV_SG_SH_SI_EUlSV_E_NS1_11comp_targetILNS1_3genE2ELNS1_11target_archE906ELNS1_3gpuE6ELNS1_3repE0EEENS1_48merge_mergepath_partition_config_static_selectorELNS0_4arch9wavefront6targetE1EEEvSH_,"axG",@progbits,_ZN7rocprim17ROCPRIM_400000_NS6detail17trampoline_kernelINS0_14default_configENS1_38merge_sort_block_merge_config_selectorIalEEZZNS1_27merge_sort_block_merge_implIS3_PaN6thrust23THRUST_200600_302600_NS10device_ptrIlEEjNS1_19radix_merge_compareILb0ELb1EaNS0_19identity_decomposerEEEEE10hipError_tT0_T1_T2_jT3_P12ihipStream_tbPNSt15iterator_traitsISG_E10value_typeEPNSM_ISH_E10value_typeEPSI_NS1_7vsmem_tEENKUlT_SG_SH_SI_E_clIS7_S7_PlSB_EESF_SV_SG_SH_SI_EUlSV_E_NS1_11comp_targetILNS1_3genE2ELNS1_11target_archE906ELNS1_3gpuE6ELNS1_3repE0EEENS1_48merge_mergepath_partition_config_static_selectorELNS0_4arch9wavefront6targetE1EEEvSH_,comdat
.Lfunc_end539:
	.size	_ZN7rocprim17ROCPRIM_400000_NS6detail17trampoline_kernelINS0_14default_configENS1_38merge_sort_block_merge_config_selectorIalEEZZNS1_27merge_sort_block_merge_implIS3_PaN6thrust23THRUST_200600_302600_NS10device_ptrIlEEjNS1_19radix_merge_compareILb0ELb1EaNS0_19identity_decomposerEEEEE10hipError_tT0_T1_T2_jT3_P12ihipStream_tbPNSt15iterator_traitsISG_E10value_typeEPNSM_ISH_E10value_typeEPSI_NS1_7vsmem_tEENKUlT_SG_SH_SI_E_clIS7_S7_PlSB_EESF_SV_SG_SH_SI_EUlSV_E_NS1_11comp_targetILNS1_3genE2ELNS1_11target_archE906ELNS1_3gpuE6ELNS1_3repE0EEENS1_48merge_mergepath_partition_config_static_selectorELNS0_4arch9wavefront6targetE1EEEvSH_, .Lfunc_end539-_ZN7rocprim17ROCPRIM_400000_NS6detail17trampoline_kernelINS0_14default_configENS1_38merge_sort_block_merge_config_selectorIalEEZZNS1_27merge_sort_block_merge_implIS3_PaN6thrust23THRUST_200600_302600_NS10device_ptrIlEEjNS1_19radix_merge_compareILb0ELb1EaNS0_19identity_decomposerEEEEE10hipError_tT0_T1_T2_jT3_P12ihipStream_tbPNSt15iterator_traitsISG_E10value_typeEPNSM_ISH_E10value_typeEPSI_NS1_7vsmem_tEENKUlT_SG_SH_SI_E_clIS7_S7_PlSB_EESF_SV_SG_SH_SI_EUlSV_E_NS1_11comp_targetILNS1_3genE2ELNS1_11target_archE906ELNS1_3gpuE6ELNS1_3repE0EEENS1_48merge_mergepath_partition_config_static_selectorELNS0_4arch9wavefront6targetE1EEEvSH_
                                        ; -- End function
	.section	.AMDGPU.csdata,"",@progbits
; Kernel info:
; codeLenInByte = 0
; NumSgprs: 4
; NumVgprs: 0
; NumAgprs: 0
; TotalNumVgprs: 0
; ScratchSize: 0
; MemoryBound: 0
; FloatMode: 240
; IeeeMode: 1
; LDSByteSize: 0 bytes/workgroup (compile time only)
; SGPRBlocks: 0
; VGPRBlocks: 0
; NumSGPRsForWavesPerEU: 4
; NumVGPRsForWavesPerEU: 1
; AccumOffset: 4
; Occupancy: 8
; WaveLimiterHint : 0
; COMPUTE_PGM_RSRC2:SCRATCH_EN: 0
; COMPUTE_PGM_RSRC2:USER_SGPR: 6
; COMPUTE_PGM_RSRC2:TRAP_HANDLER: 0
; COMPUTE_PGM_RSRC2:TGID_X_EN: 1
; COMPUTE_PGM_RSRC2:TGID_Y_EN: 0
; COMPUTE_PGM_RSRC2:TGID_Z_EN: 0
; COMPUTE_PGM_RSRC2:TIDIG_COMP_CNT: 0
; COMPUTE_PGM_RSRC3_GFX90A:ACCUM_OFFSET: 0
; COMPUTE_PGM_RSRC3_GFX90A:TG_SPLIT: 0
	.section	.text._ZN7rocprim17ROCPRIM_400000_NS6detail17trampoline_kernelINS0_14default_configENS1_38merge_sort_block_merge_config_selectorIalEEZZNS1_27merge_sort_block_merge_implIS3_PaN6thrust23THRUST_200600_302600_NS10device_ptrIlEEjNS1_19radix_merge_compareILb0ELb1EaNS0_19identity_decomposerEEEEE10hipError_tT0_T1_T2_jT3_P12ihipStream_tbPNSt15iterator_traitsISG_E10value_typeEPNSM_ISH_E10value_typeEPSI_NS1_7vsmem_tEENKUlT_SG_SH_SI_E_clIS7_S7_PlSB_EESF_SV_SG_SH_SI_EUlSV_E_NS1_11comp_targetILNS1_3genE9ELNS1_11target_archE1100ELNS1_3gpuE3ELNS1_3repE0EEENS1_48merge_mergepath_partition_config_static_selectorELNS0_4arch9wavefront6targetE1EEEvSH_,"axG",@progbits,_ZN7rocprim17ROCPRIM_400000_NS6detail17trampoline_kernelINS0_14default_configENS1_38merge_sort_block_merge_config_selectorIalEEZZNS1_27merge_sort_block_merge_implIS3_PaN6thrust23THRUST_200600_302600_NS10device_ptrIlEEjNS1_19radix_merge_compareILb0ELb1EaNS0_19identity_decomposerEEEEE10hipError_tT0_T1_T2_jT3_P12ihipStream_tbPNSt15iterator_traitsISG_E10value_typeEPNSM_ISH_E10value_typeEPSI_NS1_7vsmem_tEENKUlT_SG_SH_SI_E_clIS7_S7_PlSB_EESF_SV_SG_SH_SI_EUlSV_E_NS1_11comp_targetILNS1_3genE9ELNS1_11target_archE1100ELNS1_3gpuE3ELNS1_3repE0EEENS1_48merge_mergepath_partition_config_static_selectorELNS0_4arch9wavefront6targetE1EEEvSH_,comdat
	.protected	_ZN7rocprim17ROCPRIM_400000_NS6detail17trampoline_kernelINS0_14default_configENS1_38merge_sort_block_merge_config_selectorIalEEZZNS1_27merge_sort_block_merge_implIS3_PaN6thrust23THRUST_200600_302600_NS10device_ptrIlEEjNS1_19radix_merge_compareILb0ELb1EaNS0_19identity_decomposerEEEEE10hipError_tT0_T1_T2_jT3_P12ihipStream_tbPNSt15iterator_traitsISG_E10value_typeEPNSM_ISH_E10value_typeEPSI_NS1_7vsmem_tEENKUlT_SG_SH_SI_E_clIS7_S7_PlSB_EESF_SV_SG_SH_SI_EUlSV_E_NS1_11comp_targetILNS1_3genE9ELNS1_11target_archE1100ELNS1_3gpuE3ELNS1_3repE0EEENS1_48merge_mergepath_partition_config_static_selectorELNS0_4arch9wavefront6targetE1EEEvSH_ ; -- Begin function _ZN7rocprim17ROCPRIM_400000_NS6detail17trampoline_kernelINS0_14default_configENS1_38merge_sort_block_merge_config_selectorIalEEZZNS1_27merge_sort_block_merge_implIS3_PaN6thrust23THRUST_200600_302600_NS10device_ptrIlEEjNS1_19radix_merge_compareILb0ELb1EaNS0_19identity_decomposerEEEEE10hipError_tT0_T1_T2_jT3_P12ihipStream_tbPNSt15iterator_traitsISG_E10value_typeEPNSM_ISH_E10value_typeEPSI_NS1_7vsmem_tEENKUlT_SG_SH_SI_E_clIS7_S7_PlSB_EESF_SV_SG_SH_SI_EUlSV_E_NS1_11comp_targetILNS1_3genE9ELNS1_11target_archE1100ELNS1_3gpuE3ELNS1_3repE0EEENS1_48merge_mergepath_partition_config_static_selectorELNS0_4arch9wavefront6targetE1EEEvSH_
	.globl	_ZN7rocprim17ROCPRIM_400000_NS6detail17trampoline_kernelINS0_14default_configENS1_38merge_sort_block_merge_config_selectorIalEEZZNS1_27merge_sort_block_merge_implIS3_PaN6thrust23THRUST_200600_302600_NS10device_ptrIlEEjNS1_19radix_merge_compareILb0ELb1EaNS0_19identity_decomposerEEEEE10hipError_tT0_T1_T2_jT3_P12ihipStream_tbPNSt15iterator_traitsISG_E10value_typeEPNSM_ISH_E10value_typeEPSI_NS1_7vsmem_tEENKUlT_SG_SH_SI_E_clIS7_S7_PlSB_EESF_SV_SG_SH_SI_EUlSV_E_NS1_11comp_targetILNS1_3genE9ELNS1_11target_archE1100ELNS1_3gpuE3ELNS1_3repE0EEENS1_48merge_mergepath_partition_config_static_selectorELNS0_4arch9wavefront6targetE1EEEvSH_
	.p2align	8
	.type	_ZN7rocprim17ROCPRIM_400000_NS6detail17trampoline_kernelINS0_14default_configENS1_38merge_sort_block_merge_config_selectorIalEEZZNS1_27merge_sort_block_merge_implIS3_PaN6thrust23THRUST_200600_302600_NS10device_ptrIlEEjNS1_19radix_merge_compareILb0ELb1EaNS0_19identity_decomposerEEEEE10hipError_tT0_T1_T2_jT3_P12ihipStream_tbPNSt15iterator_traitsISG_E10value_typeEPNSM_ISH_E10value_typeEPSI_NS1_7vsmem_tEENKUlT_SG_SH_SI_E_clIS7_S7_PlSB_EESF_SV_SG_SH_SI_EUlSV_E_NS1_11comp_targetILNS1_3genE9ELNS1_11target_archE1100ELNS1_3gpuE3ELNS1_3repE0EEENS1_48merge_mergepath_partition_config_static_selectorELNS0_4arch9wavefront6targetE1EEEvSH_,@function
_ZN7rocprim17ROCPRIM_400000_NS6detail17trampoline_kernelINS0_14default_configENS1_38merge_sort_block_merge_config_selectorIalEEZZNS1_27merge_sort_block_merge_implIS3_PaN6thrust23THRUST_200600_302600_NS10device_ptrIlEEjNS1_19radix_merge_compareILb0ELb1EaNS0_19identity_decomposerEEEEE10hipError_tT0_T1_T2_jT3_P12ihipStream_tbPNSt15iterator_traitsISG_E10value_typeEPNSM_ISH_E10value_typeEPSI_NS1_7vsmem_tEENKUlT_SG_SH_SI_E_clIS7_S7_PlSB_EESF_SV_SG_SH_SI_EUlSV_E_NS1_11comp_targetILNS1_3genE9ELNS1_11target_archE1100ELNS1_3gpuE3ELNS1_3repE0EEENS1_48merge_mergepath_partition_config_static_selectorELNS0_4arch9wavefront6targetE1EEEvSH_: ; @_ZN7rocprim17ROCPRIM_400000_NS6detail17trampoline_kernelINS0_14default_configENS1_38merge_sort_block_merge_config_selectorIalEEZZNS1_27merge_sort_block_merge_implIS3_PaN6thrust23THRUST_200600_302600_NS10device_ptrIlEEjNS1_19radix_merge_compareILb0ELb1EaNS0_19identity_decomposerEEEEE10hipError_tT0_T1_T2_jT3_P12ihipStream_tbPNSt15iterator_traitsISG_E10value_typeEPNSM_ISH_E10value_typeEPSI_NS1_7vsmem_tEENKUlT_SG_SH_SI_E_clIS7_S7_PlSB_EESF_SV_SG_SH_SI_EUlSV_E_NS1_11comp_targetILNS1_3genE9ELNS1_11target_archE1100ELNS1_3gpuE3ELNS1_3repE0EEENS1_48merge_mergepath_partition_config_static_selectorELNS0_4arch9wavefront6targetE1EEEvSH_
; %bb.0:
	.section	.rodata,"a",@progbits
	.p2align	6, 0x0
	.amdhsa_kernel _ZN7rocprim17ROCPRIM_400000_NS6detail17trampoline_kernelINS0_14default_configENS1_38merge_sort_block_merge_config_selectorIalEEZZNS1_27merge_sort_block_merge_implIS3_PaN6thrust23THRUST_200600_302600_NS10device_ptrIlEEjNS1_19radix_merge_compareILb0ELb1EaNS0_19identity_decomposerEEEEE10hipError_tT0_T1_T2_jT3_P12ihipStream_tbPNSt15iterator_traitsISG_E10value_typeEPNSM_ISH_E10value_typeEPSI_NS1_7vsmem_tEENKUlT_SG_SH_SI_E_clIS7_S7_PlSB_EESF_SV_SG_SH_SI_EUlSV_E_NS1_11comp_targetILNS1_3genE9ELNS1_11target_archE1100ELNS1_3gpuE3ELNS1_3repE0EEENS1_48merge_mergepath_partition_config_static_selectorELNS0_4arch9wavefront6targetE1EEEvSH_
		.amdhsa_group_segment_fixed_size 0
		.amdhsa_private_segment_fixed_size 0
		.amdhsa_kernarg_size 40
		.amdhsa_user_sgpr_count 6
		.amdhsa_user_sgpr_private_segment_buffer 1
		.amdhsa_user_sgpr_dispatch_ptr 0
		.amdhsa_user_sgpr_queue_ptr 0
		.amdhsa_user_sgpr_kernarg_segment_ptr 1
		.amdhsa_user_sgpr_dispatch_id 0
		.amdhsa_user_sgpr_flat_scratch_init 0
		.amdhsa_user_sgpr_kernarg_preload_length 0
		.amdhsa_user_sgpr_kernarg_preload_offset 0
		.amdhsa_user_sgpr_private_segment_size 0
		.amdhsa_uses_dynamic_stack 0
		.amdhsa_system_sgpr_private_segment_wavefront_offset 0
		.amdhsa_system_sgpr_workgroup_id_x 1
		.amdhsa_system_sgpr_workgroup_id_y 0
		.amdhsa_system_sgpr_workgroup_id_z 0
		.amdhsa_system_sgpr_workgroup_info 0
		.amdhsa_system_vgpr_workitem_id 0
		.amdhsa_next_free_vgpr 1
		.amdhsa_next_free_sgpr 0
		.amdhsa_accum_offset 4
		.amdhsa_reserve_vcc 0
		.amdhsa_reserve_flat_scratch 0
		.amdhsa_float_round_mode_32 0
		.amdhsa_float_round_mode_16_64 0
		.amdhsa_float_denorm_mode_32 3
		.amdhsa_float_denorm_mode_16_64 3
		.amdhsa_dx10_clamp 1
		.amdhsa_ieee_mode 1
		.amdhsa_fp16_overflow 0
		.amdhsa_tg_split 0
		.amdhsa_exception_fp_ieee_invalid_op 0
		.amdhsa_exception_fp_denorm_src 0
		.amdhsa_exception_fp_ieee_div_zero 0
		.amdhsa_exception_fp_ieee_overflow 0
		.amdhsa_exception_fp_ieee_underflow 0
		.amdhsa_exception_fp_ieee_inexact 0
		.amdhsa_exception_int_div_zero 0
	.end_amdhsa_kernel
	.section	.text._ZN7rocprim17ROCPRIM_400000_NS6detail17trampoline_kernelINS0_14default_configENS1_38merge_sort_block_merge_config_selectorIalEEZZNS1_27merge_sort_block_merge_implIS3_PaN6thrust23THRUST_200600_302600_NS10device_ptrIlEEjNS1_19radix_merge_compareILb0ELb1EaNS0_19identity_decomposerEEEEE10hipError_tT0_T1_T2_jT3_P12ihipStream_tbPNSt15iterator_traitsISG_E10value_typeEPNSM_ISH_E10value_typeEPSI_NS1_7vsmem_tEENKUlT_SG_SH_SI_E_clIS7_S7_PlSB_EESF_SV_SG_SH_SI_EUlSV_E_NS1_11comp_targetILNS1_3genE9ELNS1_11target_archE1100ELNS1_3gpuE3ELNS1_3repE0EEENS1_48merge_mergepath_partition_config_static_selectorELNS0_4arch9wavefront6targetE1EEEvSH_,"axG",@progbits,_ZN7rocprim17ROCPRIM_400000_NS6detail17trampoline_kernelINS0_14default_configENS1_38merge_sort_block_merge_config_selectorIalEEZZNS1_27merge_sort_block_merge_implIS3_PaN6thrust23THRUST_200600_302600_NS10device_ptrIlEEjNS1_19radix_merge_compareILb0ELb1EaNS0_19identity_decomposerEEEEE10hipError_tT0_T1_T2_jT3_P12ihipStream_tbPNSt15iterator_traitsISG_E10value_typeEPNSM_ISH_E10value_typeEPSI_NS1_7vsmem_tEENKUlT_SG_SH_SI_E_clIS7_S7_PlSB_EESF_SV_SG_SH_SI_EUlSV_E_NS1_11comp_targetILNS1_3genE9ELNS1_11target_archE1100ELNS1_3gpuE3ELNS1_3repE0EEENS1_48merge_mergepath_partition_config_static_selectorELNS0_4arch9wavefront6targetE1EEEvSH_,comdat
.Lfunc_end540:
	.size	_ZN7rocprim17ROCPRIM_400000_NS6detail17trampoline_kernelINS0_14default_configENS1_38merge_sort_block_merge_config_selectorIalEEZZNS1_27merge_sort_block_merge_implIS3_PaN6thrust23THRUST_200600_302600_NS10device_ptrIlEEjNS1_19radix_merge_compareILb0ELb1EaNS0_19identity_decomposerEEEEE10hipError_tT0_T1_T2_jT3_P12ihipStream_tbPNSt15iterator_traitsISG_E10value_typeEPNSM_ISH_E10value_typeEPSI_NS1_7vsmem_tEENKUlT_SG_SH_SI_E_clIS7_S7_PlSB_EESF_SV_SG_SH_SI_EUlSV_E_NS1_11comp_targetILNS1_3genE9ELNS1_11target_archE1100ELNS1_3gpuE3ELNS1_3repE0EEENS1_48merge_mergepath_partition_config_static_selectorELNS0_4arch9wavefront6targetE1EEEvSH_, .Lfunc_end540-_ZN7rocprim17ROCPRIM_400000_NS6detail17trampoline_kernelINS0_14default_configENS1_38merge_sort_block_merge_config_selectorIalEEZZNS1_27merge_sort_block_merge_implIS3_PaN6thrust23THRUST_200600_302600_NS10device_ptrIlEEjNS1_19radix_merge_compareILb0ELb1EaNS0_19identity_decomposerEEEEE10hipError_tT0_T1_T2_jT3_P12ihipStream_tbPNSt15iterator_traitsISG_E10value_typeEPNSM_ISH_E10value_typeEPSI_NS1_7vsmem_tEENKUlT_SG_SH_SI_E_clIS7_S7_PlSB_EESF_SV_SG_SH_SI_EUlSV_E_NS1_11comp_targetILNS1_3genE9ELNS1_11target_archE1100ELNS1_3gpuE3ELNS1_3repE0EEENS1_48merge_mergepath_partition_config_static_selectorELNS0_4arch9wavefront6targetE1EEEvSH_
                                        ; -- End function
	.section	.AMDGPU.csdata,"",@progbits
; Kernel info:
; codeLenInByte = 0
; NumSgprs: 4
; NumVgprs: 0
; NumAgprs: 0
; TotalNumVgprs: 0
; ScratchSize: 0
; MemoryBound: 0
; FloatMode: 240
; IeeeMode: 1
; LDSByteSize: 0 bytes/workgroup (compile time only)
; SGPRBlocks: 0
; VGPRBlocks: 0
; NumSGPRsForWavesPerEU: 4
; NumVGPRsForWavesPerEU: 1
; AccumOffset: 4
; Occupancy: 8
; WaveLimiterHint : 0
; COMPUTE_PGM_RSRC2:SCRATCH_EN: 0
; COMPUTE_PGM_RSRC2:USER_SGPR: 6
; COMPUTE_PGM_RSRC2:TRAP_HANDLER: 0
; COMPUTE_PGM_RSRC2:TGID_X_EN: 1
; COMPUTE_PGM_RSRC2:TGID_Y_EN: 0
; COMPUTE_PGM_RSRC2:TGID_Z_EN: 0
; COMPUTE_PGM_RSRC2:TIDIG_COMP_CNT: 0
; COMPUTE_PGM_RSRC3_GFX90A:ACCUM_OFFSET: 0
; COMPUTE_PGM_RSRC3_GFX90A:TG_SPLIT: 0
	.section	.text._ZN7rocprim17ROCPRIM_400000_NS6detail17trampoline_kernelINS0_14default_configENS1_38merge_sort_block_merge_config_selectorIalEEZZNS1_27merge_sort_block_merge_implIS3_PaN6thrust23THRUST_200600_302600_NS10device_ptrIlEEjNS1_19radix_merge_compareILb0ELb1EaNS0_19identity_decomposerEEEEE10hipError_tT0_T1_T2_jT3_P12ihipStream_tbPNSt15iterator_traitsISG_E10value_typeEPNSM_ISH_E10value_typeEPSI_NS1_7vsmem_tEENKUlT_SG_SH_SI_E_clIS7_S7_PlSB_EESF_SV_SG_SH_SI_EUlSV_E_NS1_11comp_targetILNS1_3genE8ELNS1_11target_archE1030ELNS1_3gpuE2ELNS1_3repE0EEENS1_48merge_mergepath_partition_config_static_selectorELNS0_4arch9wavefront6targetE1EEEvSH_,"axG",@progbits,_ZN7rocprim17ROCPRIM_400000_NS6detail17trampoline_kernelINS0_14default_configENS1_38merge_sort_block_merge_config_selectorIalEEZZNS1_27merge_sort_block_merge_implIS3_PaN6thrust23THRUST_200600_302600_NS10device_ptrIlEEjNS1_19radix_merge_compareILb0ELb1EaNS0_19identity_decomposerEEEEE10hipError_tT0_T1_T2_jT3_P12ihipStream_tbPNSt15iterator_traitsISG_E10value_typeEPNSM_ISH_E10value_typeEPSI_NS1_7vsmem_tEENKUlT_SG_SH_SI_E_clIS7_S7_PlSB_EESF_SV_SG_SH_SI_EUlSV_E_NS1_11comp_targetILNS1_3genE8ELNS1_11target_archE1030ELNS1_3gpuE2ELNS1_3repE0EEENS1_48merge_mergepath_partition_config_static_selectorELNS0_4arch9wavefront6targetE1EEEvSH_,comdat
	.protected	_ZN7rocprim17ROCPRIM_400000_NS6detail17trampoline_kernelINS0_14default_configENS1_38merge_sort_block_merge_config_selectorIalEEZZNS1_27merge_sort_block_merge_implIS3_PaN6thrust23THRUST_200600_302600_NS10device_ptrIlEEjNS1_19radix_merge_compareILb0ELb1EaNS0_19identity_decomposerEEEEE10hipError_tT0_T1_T2_jT3_P12ihipStream_tbPNSt15iterator_traitsISG_E10value_typeEPNSM_ISH_E10value_typeEPSI_NS1_7vsmem_tEENKUlT_SG_SH_SI_E_clIS7_S7_PlSB_EESF_SV_SG_SH_SI_EUlSV_E_NS1_11comp_targetILNS1_3genE8ELNS1_11target_archE1030ELNS1_3gpuE2ELNS1_3repE0EEENS1_48merge_mergepath_partition_config_static_selectorELNS0_4arch9wavefront6targetE1EEEvSH_ ; -- Begin function _ZN7rocprim17ROCPRIM_400000_NS6detail17trampoline_kernelINS0_14default_configENS1_38merge_sort_block_merge_config_selectorIalEEZZNS1_27merge_sort_block_merge_implIS3_PaN6thrust23THRUST_200600_302600_NS10device_ptrIlEEjNS1_19radix_merge_compareILb0ELb1EaNS0_19identity_decomposerEEEEE10hipError_tT0_T1_T2_jT3_P12ihipStream_tbPNSt15iterator_traitsISG_E10value_typeEPNSM_ISH_E10value_typeEPSI_NS1_7vsmem_tEENKUlT_SG_SH_SI_E_clIS7_S7_PlSB_EESF_SV_SG_SH_SI_EUlSV_E_NS1_11comp_targetILNS1_3genE8ELNS1_11target_archE1030ELNS1_3gpuE2ELNS1_3repE0EEENS1_48merge_mergepath_partition_config_static_selectorELNS0_4arch9wavefront6targetE1EEEvSH_
	.globl	_ZN7rocprim17ROCPRIM_400000_NS6detail17trampoline_kernelINS0_14default_configENS1_38merge_sort_block_merge_config_selectorIalEEZZNS1_27merge_sort_block_merge_implIS3_PaN6thrust23THRUST_200600_302600_NS10device_ptrIlEEjNS1_19radix_merge_compareILb0ELb1EaNS0_19identity_decomposerEEEEE10hipError_tT0_T1_T2_jT3_P12ihipStream_tbPNSt15iterator_traitsISG_E10value_typeEPNSM_ISH_E10value_typeEPSI_NS1_7vsmem_tEENKUlT_SG_SH_SI_E_clIS7_S7_PlSB_EESF_SV_SG_SH_SI_EUlSV_E_NS1_11comp_targetILNS1_3genE8ELNS1_11target_archE1030ELNS1_3gpuE2ELNS1_3repE0EEENS1_48merge_mergepath_partition_config_static_selectorELNS0_4arch9wavefront6targetE1EEEvSH_
	.p2align	8
	.type	_ZN7rocprim17ROCPRIM_400000_NS6detail17trampoline_kernelINS0_14default_configENS1_38merge_sort_block_merge_config_selectorIalEEZZNS1_27merge_sort_block_merge_implIS3_PaN6thrust23THRUST_200600_302600_NS10device_ptrIlEEjNS1_19radix_merge_compareILb0ELb1EaNS0_19identity_decomposerEEEEE10hipError_tT0_T1_T2_jT3_P12ihipStream_tbPNSt15iterator_traitsISG_E10value_typeEPNSM_ISH_E10value_typeEPSI_NS1_7vsmem_tEENKUlT_SG_SH_SI_E_clIS7_S7_PlSB_EESF_SV_SG_SH_SI_EUlSV_E_NS1_11comp_targetILNS1_3genE8ELNS1_11target_archE1030ELNS1_3gpuE2ELNS1_3repE0EEENS1_48merge_mergepath_partition_config_static_selectorELNS0_4arch9wavefront6targetE1EEEvSH_,@function
_ZN7rocprim17ROCPRIM_400000_NS6detail17trampoline_kernelINS0_14default_configENS1_38merge_sort_block_merge_config_selectorIalEEZZNS1_27merge_sort_block_merge_implIS3_PaN6thrust23THRUST_200600_302600_NS10device_ptrIlEEjNS1_19radix_merge_compareILb0ELb1EaNS0_19identity_decomposerEEEEE10hipError_tT0_T1_T2_jT3_P12ihipStream_tbPNSt15iterator_traitsISG_E10value_typeEPNSM_ISH_E10value_typeEPSI_NS1_7vsmem_tEENKUlT_SG_SH_SI_E_clIS7_S7_PlSB_EESF_SV_SG_SH_SI_EUlSV_E_NS1_11comp_targetILNS1_3genE8ELNS1_11target_archE1030ELNS1_3gpuE2ELNS1_3repE0EEENS1_48merge_mergepath_partition_config_static_selectorELNS0_4arch9wavefront6targetE1EEEvSH_: ; @_ZN7rocprim17ROCPRIM_400000_NS6detail17trampoline_kernelINS0_14default_configENS1_38merge_sort_block_merge_config_selectorIalEEZZNS1_27merge_sort_block_merge_implIS3_PaN6thrust23THRUST_200600_302600_NS10device_ptrIlEEjNS1_19radix_merge_compareILb0ELb1EaNS0_19identity_decomposerEEEEE10hipError_tT0_T1_T2_jT3_P12ihipStream_tbPNSt15iterator_traitsISG_E10value_typeEPNSM_ISH_E10value_typeEPSI_NS1_7vsmem_tEENKUlT_SG_SH_SI_E_clIS7_S7_PlSB_EESF_SV_SG_SH_SI_EUlSV_E_NS1_11comp_targetILNS1_3genE8ELNS1_11target_archE1030ELNS1_3gpuE2ELNS1_3repE0EEENS1_48merge_mergepath_partition_config_static_selectorELNS0_4arch9wavefront6targetE1EEEvSH_
; %bb.0:
	.section	.rodata,"a",@progbits
	.p2align	6, 0x0
	.amdhsa_kernel _ZN7rocprim17ROCPRIM_400000_NS6detail17trampoline_kernelINS0_14default_configENS1_38merge_sort_block_merge_config_selectorIalEEZZNS1_27merge_sort_block_merge_implIS3_PaN6thrust23THRUST_200600_302600_NS10device_ptrIlEEjNS1_19radix_merge_compareILb0ELb1EaNS0_19identity_decomposerEEEEE10hipError_tT0_T1_T2_jT3_P12ihipStream_tbPNSt15iterator_traitsISG_E10value_typeEPNSM_ISH_E10value_typeEPSI_NS1_7vsmem_tEENKUlT_SG_SH_SI_E_clIS7_S7_PlSB_EESF_SV_SG_SH_SI_EUlSV_E_NS1_11comp_targetILNS1_3genE8ELNS1_11target_archE1030ELNS1_3gpuE2ELNS1_3repE0EEENS1_48merge_mergepath_partition_config_static_selectorELNS0_4arch9wavefront6targetE1EEEvSH_
		.amdhsa_group_segment_fixed_size 0
		.amdhsa_private_segment_fixed_size 0
		.amdhsa_kernarg_size 40
		.amdhsa_user_sgpr_count 6
		.amdhsa_user_sgpr_private_segment_buffer 1
		.amdhsa_user_sgpr_dispatch_ptr 0
		.amdhsa_user_sgpr_queue_ptr 0
		.amdhsa_user_sgpr_kernarg_segment_ptr 1
		.amdhsa_user_sgpr_dispatch_id 0
		.amdhsa_user_sgpr_flat_scratch_init 0
		.amdhsa_user_sgpr_kernarg_preload_length 0
		.amdhsa_user_sgpr_kernarg_preload_offset 0
		.amdhsa_user_sgpr_private_segment_size 0
		.amdhsa_uses_dynamic_stack 0
		.amdhsa_system_sgpr_private_segment_wavefront_offset 0
		.amdhsa_system_sgpr_workgroup_id_x 1
		.amdhsa_system_sgpr_workgroup_id_y 0
		.amdhsa_system_sgpr_workgroup_id_z 0
		.amdhsa_system_sgpr_workgroup_info 0
		.amdhsa_system_vgpr_workitem_id 0
		.amdhsa_next_free_vgpr 1
		.amdhsa_next_free_sgpr 0
		.amdhsa_accum_offset 4
		.amdhsa_reserve_vcc 0
		.amdhsa_reserve_flat_scratch 0
		.amdhsa_float_round_mode_32 0
		.amdhsa_float_round_mode_16_64 0
		.amdhsa_float_denorm_mode_32 3
		.amdhsa_float_denorm_mode_16_64 3
		.amdhsa_dx10_clamp 1
		.amdhsa_ieee_mode 1
		.amdhsa_fp16_overflow 0
		.amdhsa_tg_split 0
		.amdhsa_exception_fp_ieee_invalid_op 0
		.amdhsa_exception_fp_denorm_src 0
		.amdhsa_exception_fp_ieee_div_zero 0
		.amdhsa_exception_fp_ieee_overflow 0
		.amdhsa_exception_fp_ieee_underflow 0
		.amdhsa_exception_fp_ieee_inexact 0
		.amdhsa_exception_int_div_zero 0
	.end_amdhsa_kernel
	.section	.text._ZN7rocprim17ROCPRIM_400000_NS6detail17trampoline_kernelINS0_14default_configENS1_38merge_sort_block_merge_config_selectorIalEEZZNS1_27merge_sort_block_merge_implIS3_PaN6thrust23THRUST_200600_302600_NS10device_ptrIlEEjNS1_19radix_merge_compareILb0ELb1EaNS0_19identity_decomposerEEEEE10hipError_tT0_T1_T2_jT3_P12ihipStream_tbPNSt15iterator_traitsISG_E10value_typeEPNSM_ISH_E10value_typeEPSI_NS1_7vsmem_tEENKUlT_SG_SH_SI_E_clIS7_S7_PlSB_EESF_SV_SG_SH_SI_EUlSV_E_NS1_11comp_targetILNS1_3genE8ELNS1_11target_archE1030ELNS1_3gpuE2ELNS1_3repE0EEENS1_48merge_mergepath_partition_config_static_selectorELNS0_4arch9wavefront6targetE1EEEvSH_,"axG",@progbits,_ZN7rocprim17ROCPRIM_400000_NS6detail17trampoline_kernelINS0_14default_configENS1_38merge_sort_block_merge_config_selectorIalEEZZNS1_27merge_sort_block_merge_implIS3_PaN6thrust23THRUST_200600_302600_NS10device_ptrIlEEjNS1_19radix_merge_compareILb0ELb1EaNS0_19identity_decomposerEEEEE10hipError_tT0_T1_T2_jT3_P12ihipStream_tbPNSt15iterator_traitsISG_E10value_typeEPNSM_ISH_E10value_typeEPSI_NS1_7vsmem_tEENKUlT_SG_SH_SI_E_clIS7_S7_PlSB_EESF_SV_SG_SH_SI_EUlSV_E_NS1_11comp_targetILNS1_3genE8ELNS1_11target_archE1030ELNS1_3gpuE2ELNS1_3repE0EEENS1_48merge_mergepath_partition_config_static_selectorELNS0_4arch9wavefront6targetE1EEEvSH_,comdat
.Lfunc_end541:
	.size	_ZN7rocprim17ROCPRIM_400000_NS6detail17trampoline_kernelINS0_14default_configENS1_38merge_sort_block_merge_config_selectorIalEEZZNS1_27merge_sort_block_merge_implIS3_PaN6thrust23THRUST_200600_302600_NS10device_ptrIlEEjNS1_19radix_merge_compareILb0ELb1EaNS0_19identity_decomposerEEEEE10hipError_tT0_T1_T2_jT3_P12ihipStream_tbPNSt15iterator_traitsISG_E10value_typeEPNSM_ISH_E10value_typeEPSI_NS1_7vsmem_tEENKUlT_SG_SH_SI_E_clIS7_S7_PlSB_EESF_SV_SG_SH_SI_EUlSV_E_NS1_11comp_targetILNS1_3genE8ELNS1_11target_archE1030ELNS1_3gpuE2ELNS1_3repE0EEENS1_48merge_mergepath_partition_config_static_selectorELNS0_4arch9wavefront6targetE1EEEvSH_, .Lfunc_end541-_ZN7rocprim17ROCPRIM_400000_NS6detail17trampoline_kernelINS0_14default_configENS1_38merge_sort_block_merge_config_selectorIalEEZZNS1_27merge_sort_block_merge_implIS3_PaN6thrust23THRUST_200600_302600_NS10device_ptrIlEEjNS1_19radix_merge_compareILb0ELb1EaNS0_19identity_decomposerEEEEE10hipError_tT0_T1_T2_jT3_P12ihipStream_tbPNSt15iterator_traitsISG_E10value_typeEPNSM_ISH_E10value_typeEPSI_NS1_7vsmem_tEENKUlT_SG_SH_SI_E_clIS7_S7_PlSB_EESF_SV_SG_SH_SI_EUlSV_E_NS1_11comp_targetILNS1_3genE8ELNS1_11target_archE1030ELNS1_3gpuE2ELNS1_3repE0EEENS1_48merge_mergepath_partition_config_static_selectorELNS0_4arch9wavefront6targetE1EEEvSH_
                                        ; -- End function
	.section	.AMDGPU.csdata,"",@progbits
; Kernel info:
; codeLenInByte = 0
; NumSgprs: 4
; NumVgprs: 0
; NumAgprs: 0
; TotalNumVgprs: 0
; ScratchSize: 0
; MemoryBound: 0
; FloatMode: 240
; IeeeMode: 1
; LDSByteSize: 0 bytes/workgroup (compile time only)
; SGPRBlocks: 0
; VGPRBlocks: 0
; NumSGPRsForWavesPerEU: 4
; NumVGPRsForWavesPerEU: 1
; AccumOffset: 4
; Occupancy: 8
; WaveLimiterHint : 0
; COMPUTE_PGM_RSRC2:SCRATCH_EN: 0
; COMPUTE_PGM_RSRC2:USER_SGPR: 6
; COMPUTE_PGM_RSRC2:TRAP_HANDLER: 0
; COMPUTE_PGM_RSRC2:TGID_X_EN: 1
; COMPUTE_PGM_RSRC2:TGID_Y_EN: 0
; COMPUTE_PGM_RSRC2:TGID_Z_EN: 0
; COMPUTE_PGM_RSRC2:TIDIG_COMP_CNT: 0
; COMPUTE_PGM_RSRC3_GFX90A:ACCUM_OFFSET: 0
; COMPUTE_PGM_RSRC3_GFX90A:TG_SPLIT: 0
	.section	.text._ZN7rocprim17ROCPRIM_400000_NS6detail17trampoline_kernelINS0_14default_configENS1_38merge_sort_block_merge_config_selectorIalEEZZNS1_27merge_sort_block_merge_implIS3_PaN6thrust23THRUST_200600_302600_NS10device_ptrIlEEjNS1_19radix_merge_compareILb0ELb1EaNS0_19identity_decomposerEEEEE10hipError_tT0_T1_T2_jT3_P12ihipStream_tbPNSt15iterator_traitsISG_E10value_typeEPNSM_ISH_E10value_typeEPSI_NS1_7vsmem_tEENKUlT_SG_SH_SI_E_clIS7_S7_PlSB_EESF_SV_SG_SH_SI_EUlSV_E0_NS1_11comp_targetILNS1_3genE0ELNS1_11target_archE4294967295ELNS1_3gpuE0ELNS1_3repE0EEENS1_38merge_mergepath_config_static_selectorELNS0_4arch9wavefront6targetE1EEEvSH_,"axG",@progbits,_ZN7rocprim17ROCPRIM_400000_NS6detail17trampoline_kernelINS0_14default_configENS1_38merge_sort_block_merge_config_selectorIalEEZZNS1_27merge_sort_block_merge_implIS3_PaN6thrust23THRUST_200600_302600_NS10device_ptrIlEEjNS1_19radix_merge_compareILb0ELb1EaNS0_19identity_decomposerEEEEE10hipError_tT0_T1_T2_jT3_P12ihipStream_tbPNSt15iterator_traitsISG_E10value_typeEPNSM_ISH_E10value_typeEPSI_NS1_7vsmem_tEENKUlT_SG_SH_SI_E_clIS7_S7_PlSB_EESF_SV_SG_SH_SI_EUlSV_E0_NS1_11comp_targetILNS1_3genE0ELNS1_11target_archE4294967295ELNS1_3gpuE0ELNS1_3repE0EEENS1_38merge_mergepath_config_static_selectorELNS0_4arch9wavefront6targetE1EEEvSH_,comdat
	.protected	_ZN7rocprim17ROCPRIM_400000_NS6detail17trampoline_kernelINS0_14default_configENS1_38merge_sort_block_merge_config_selectorIalEEZZNS1_27merge_sort_block_merge_implIS3_PaN6thrust23THRUST_200600_302600_NS10device_ptrIlEEjNS1_19radix_merge_compareILb0ELb1EaNS0_19identity_decomposerEEEEE10hipError_tT0_T1_T2_jT3_P12ihipStream_tbPNSt15iterator_traitsISG_E10value_typeEPNSM_ISH_E10value_typeEPSI_NS1_7vsmem_tEENKUlT_SG_SH_SI_E_clIS7_S7_PlSB_EESF_SV_SG_SH_SI_EUlSV_E0_NS1_11comp_targetILNS1_3genE0ELNS1_11target_archE4294967295ELNS1_3gpuE0ELNS1_3repE0EEENS1_38merge_mergepath_config_static_selectorELNS0_4arch9wavefront6targetE1EEEvSH_ ; -- Begin function _ZN7rocprim17ROCPRIM_400000_NS6detail17trampoline_kernelINS0_14default_configENS1_38merge_sort_block_merge_config_selectorIalEEZZNS1_27merge_sort_block_merge_implIS3_PaN6thrust23THRUST_200600_302600_NS10device_ptrIlEEjNS1_19radix_merge_compareILb0ELb1EaNS0_19identity_decomposerEEEEE10hipError_tT0_T1_T2_jT3_P12ihipStream_tbPNSt15iterator_traitsISG_E10value_typeEPNSM_ISH_E10value_typeEPSI_NS1_7vsmem_tEENKUlT_SG_SH_SI_E_clIS7_S7_PlSB_EESF_SV_SG_SH_SI_EUlSV_E0_NS1_11comp_targetILNS1_3genE0ELNS1_11target_archE4294967295ELNS1_3gpuE0ELNS1_3repE0EEENS1_38merge_mergepath_config_static_selectorELNS0_4arch9wavefront6targetE1EEEvSH_
	.globl	_ZN7rocprim17ROCPRIM_400000_NS6detail17trampoline_kernelINS0_14default_configENS1_38merge_sort_block_merge_config_selectorIalEEZZNS1_27merge_sort_block_merge_implIS3_PaN6thrust23THRUST_200600_302600_NS10device_ptrIlEEjNS1_19radix_merge_compareILb0ELb1EaNS0_19identity_decomposerEEEEE10hipError_tT0_T1_T2_jT3_P12ihipStream_tbPNSt15iterator_traitsISG_E10value_typeEPNSM_ISH_E10value_typeEPSI_NS1_7vsmem_tEENKUlT_SG_SH_SI_E_clIS7_S7_PlSB_EESF_SV_SG_SH_SI_EUlSV_E0_NS1_11comp_targetILNS1_3genE0ELNS1_11target_archE4294967295ELNS1_3gpuE0ELNS1_3repE0EEENS1_38merge_mergepath_config_static_selectorELNS0_4arch9wavefront6targetE1EEEvSH_
	.p2align	8
	.type	_ZN7rocprim17ROCPRIM_400000_NS6detail17trampoline_kernelINS0_14default_configENS1_38merge_sort_block_merge_config_selectorIalEEZZNS1_27merge_sort_block_merge_implIS3_PaN6thrust23THRUST_200600_302600_NS10device_ptrIlEEjNS1_19radix_merge_compareILb0ELb1EaNS0_19identity_decomposerEEEEE10hipError_tT0_T1_T2_jT3_P12ihipStream_tbPNSt15iterator_traitsISG_E10value_typeEPNSM_ISH_E10value_typeEPSI_NS1_7vsmem_tEENKUlT_SG_SH_SI_E_clIS7_S7_PlSB_EESF_SV_SG_SH_SI_EUlSV_E0_NS1_11comp_targetILNS1_3genE0ELNS1_11target_archE4294967295ELNS1_3gpuE0ELNS1_3repE0EEENS1_38merge_mergepath_config_static_selectorELNS0_4arch9wavefront6targetE1EEEvSH_,@function
_ZN7rocprim17ROCPRIM_400000_NS6detail17trampoline_kernelINS0_14default_configENS1_38merge_sort_block_merge_config_selectorIalEEZZNS1_27merge_sort_block_merge_implIS3_PaN6thrust23THRUST_200600_302600_NS10device_ptrIlEEjNS1_19radix_merge_compareILb0ELb1EaNS0_19identity_decomposerEEEEE10hipError_tT0_T1_T2_jT3_P12ihipStream_tbPNSt15iterator_traitsISG_E10value_typeEPNSM_ISH_E10value_typeEPSI_NS1_7vsmem_tEENKUlT_SG_SH_SI_E_clIS7_S7_PlSB_EESF_SV_SG_SH_SI_EUlSV_E0_NS1_11comp_targetILNS1_3genE0ELNS1_11target_archE4294967295ELNS1_3gpuE0ELNS1_3repE0EEENS1_38merge_mergepath_config_static_selectorELNS0_4arch9wavefront6targetE1EEEvSH_: ; @_ZN7rocprim17ROCPRIM_400000_NS6detail17trampoline_kernelINS0_14default_configENS1_38merge_sort_block_merge_config_selectorIalEEZZNS1_27merge_sort_block_merge_implIS3_PaN6thrust23THRUST_200600_302600_NS10device_ptrIlEEjNS1_19radix_merge_compareILb0ELb1EaNS0_19identity_decomposerEEEEE10hipError_tT0_T1_T2_jT3_P12ihipStream_tbPNSt15iterator_traitsISG_E10value_typeEPNSM_ISH_E10value_typeEPSI_NS1_7vsmem_tEENKUlT_SG_SH_SI_E_clIS7_S7_PlSB_EESF_SV_SG_SH_SI_EUlSV_E0_NS1_11comp_targetILNS1_3genE0ELNS1_11target_archE4294967295ELNS1_3gpuE0ELNS1_3repE0EEENS1_38merge_mergepath_config_static_selectorELNS0_4arch9wavefront6targetE1EEEvSH_
; %bb.0:
	.section	.rodata,"a",@progbits
	.p2align	6, 0x0
	.amdhsa_kernel _ZN7rocprim17ROCPRIM_400000_NS6detail17trampoline_kernelINS0_14default_configENS1_38merge_sort_block_merge_config_selectorIalEEZZNS1_27merge_sort_block_merge_implIS3_PaN6thrust23THRUST_200600_302600_NS10device_ptrIlEEjNS1_19radix_merge_compareILb0ELb1EaNS0_19identity_decomposerEEEEE10hipError_tT0_T1_T2_jT3_P12ihipStream_tbPNSt15iterator_traitsISG_E10value_typeEPNSM_ISH_E10value_typeEPSI_NS1_7vsmem_tEENKUlT_SG_SH_SI_E_clIS7_S7_PlSB_EESF_SV_SG_SH_SI_EUlSV_E0_NS1_11comp_targetILNS1_3genE0ELNS1_11target_archE4294967295ELNS1_3gpuE0ELNS1_3repE0EEENS1_38merge_mergepath_config_static_selectorELNS0_4arch9wavefront6targetE1EEEvSH_
		.amdhsa_group_segment_fixed_size 0
		.amdhsa_private_segment_fixed_size 0
		.amdhsa_kernarg_size 64
		.amdhsa_user_sgpr_count 6
		.amdhsa_user_sgpr_private_segment_buffer 1
		.amdhsa_user_sgpr_dispatch_ptr 0
		.amdhsa_user_sgpr_queue_ptr 0
		.amdhsa_user_sgpr_kernarg_segment_ptr 1
		.amdhsa_user_sgpr_dispatch_id 0
		.amdhsa_user_sgpr_flat_scratch_init 0
		.amdhsa_user_sgpr_kernarg_preload_length 0
		.amdhsa_user_sgpr_kernarg_preload_offset 0
		.amdhsa_user_sgpr_private_segment_size 0
		.amdhsa_uses_dynamic_stack 0
		.amdhsa_system_sgpr_private_segment_wavefront_offset 0
		.amdhsa_system_sgpr_workgroup_id_x 1
		.amdhsa_system_sgpr_workgroup_id_y 0
		.amdhsa_system_sgpr_workgroup_id_z 0
		.amdhsa_system_sgpr_workgroup_info 0
		.amdhsa_system_vgpr_workitem_id 0
		.amdhsa_next_free_vgpr 1
		.amdhsa_next_free_sgpr 0
		.amdhsa_accum_offset 4
		.amdhsa_reserve_vcc 0
		.amdhsa_reserve_flat_scratch 0
		.amdhsa_float_round_mode_32 0
		.amdhsa_float_round_mode_16_64 0
		.amdhsa_float_denorm_mode_32 3
		.amdhsa_float_denorm_mode_16_64 3
		.amdhsa_dx10_clamp 1
		.amdhsa_ieee_mode 1
		.amdhsa_fp16_overflow 0
		.amdhsa_tg_split 0
		.amdhsa_exception_fp_ieee_invalid_op 0
		.amdhsa_exception_fp_denorm_src 0
		.amdhsa_exception_fp_ieee_div_zero 0
		.amdhsa_exception_fp_ieee_overflow 0
		.amdhsa_exception_fp_ieee_underflow 0
		.amdhsa_exception_fp_ieee_inexact 0
		.amdhsa_exception_int_div_zero 0
	.end_amdhsa_kernel
	.section	.text._ZN7rocprim17ROCPRIM_400000_NS6detail17trampoline_kernelINS0_14default_configENS1_38merge_sort_block_merge_config_selectorIalEEZZNS1_27merge_sort_block_merge_implIS3_PaN6thrust23THRUST_200600_302600_NS10device_ptrIlEEjNS1_19radix_merge_compareILb0ELb1EaNS0_19identity_decomposerEEEEE10hipError_tT0_T1_T2_jT3_P12ihipStream_tbPNSt15iterator_traitsISG_E10value_typeEPNSM_ISH_E10value_typeEPSI_NS1_7vsmem_tEENKUlT_SG_SH_SI_E_clIS7_S7_PlSB_EESF_SV_SG_SH_SI_EUlSV_E0_NS1_11comp_targetILNS1_3genE0ELNS1_11target_archE4294967295ELNS1_3gpuE0ELNS1_3repE0EEENS1_38merge_mergepath_config_static_selectorELNS0_4arch9wavefront6targetE1EEEvSH_,"axG",@progbits,_ZN7rocprim17ROCPRIM_400000_NS6detail17trampoline_kernelINS0_14default_configENS1_38merge_sort_block_merge_config_selectorIalEEZZNS1_27merge_sort_block_merge_implIS3_PaN6thrust23THRUST_200600_302600_NS10device_ptrIlEEjNS1_19radix_merge_compareILb0ELb1EaNS0_19identity_decomposerEEEEE10hipError_tT0_T1_T2_jT3_P12ihipStream_tbPNSt15iterator_traitsISG_E10value_typeEPNSM_ISH_E10value_typeEPSI_NS1_7vsmem_tEENKUlT_SG_SH_SI_E_clIS7_S7_PlSB_EESF_SV_SG_SH_SI_EUlSV_E0_NS1_11comp_targetILNS1_3genE0ELNS1_11target_archE4294967295ELNS1_3gpuE0ELNS1_3repE0EEENS1_38merge_mergepath_config_static_selectorELNS0_4arch9wavefront6targetE1EEEvSH_,comdat
.Lfunc_end542:
	.size	_ZN7rocprim17ROCPRIM_400000_NS6detail17trampoline_kernelINS0_14default_configENS1_38merge_sort_block_merge_config_selectorIalEEZZNS1_27merge_sort_block_merge_implIS3_PaN6thrust23THRUST_200600_302600_NS10device_ptrIlEEjNS1_19radix_merge_compareILb0ELb1EaNS0_19identity_decomposerEEEEE10hipError_tT0_T1_T2_jT3_P12ihipStream_tbPNSt15iterator_traitsISG_E10value_typeEPNSM_ISH_E10value_typeEPSI_NS1_7vsmem_tEENKUlT_SG_SH_SI_E_clIS7_S7_PlSB_EESF_SV_SG_SH_SI_EUlSV_E0_NS1_11comp_targetILNS1_3genE0ELNS1_11target_archE4294967295ELNS1_3gpuE0ELNS1_3repE0EEENS1_38merge_mergepath_config_static_selectorELNS0_4arch9wavefront6targetE1EEEvSH_, .Lfunc_end542-_ZN7rocprim17ROCPRIM_400000_NS6detail17trampoline_kernelINS0_14default_configENS1_38merge_sort_block_merge_config_selectorIalEEZZNS1_27merge_sort_block_merge_implIS3_PaN6thrust23THRUST_200600_302600_NS10device_ptrIlEEjNS1_19radix_merge_compareILb0ELb1EaNS0_19identity_decomposerEEEEE10hipError_tT0_T1_T2_jT3_P12ihipStream_tbPNSt15iterator_traitsISG_E10value_typeEPNSM_ISH_E10value_typeEPSI_NS1_7vsmem_tEENKUlT_SG_SH_SI_E_clIS7_S7_PlSB_EESF_SV_SG_SH_SI_EUlSV_E0_NS1_11comp_targetILNS1_3genE0ELNS1_11target_archE4294967295ELNS1_3gpuE0ELNS1_3repE0EEENS1_38merge_mergepath_config_static_selectorELNS0_4arch9wavefront6targetE1EEEvSH_
                                        ; -- End function
	.section	.AMDGPU.csdata,"",@progbits
; Kernel info:
; codeLenInByte = 0
; NumSgprs: 4
; NumVgprs: 0
; NumAgprs: 0
; TotalNumVgprs: 0
; ScratchSize: 0
; MemoryBound: 0
; FloatMode: 240
; IeeeMode: 1
; LDSByteSize: 0 bytes/workgroup (compile time only)
; SGPRBlocks: 0
; VGPRBlocks: 0
; NumSGPRsForWavesPerEU: 4
; NumVGPRsForWavesPerEU: 1
; AccumOffset: 4
; Occupancy: 8
; WaveLimiterHint : 0
; COMPUTE_PGM_RSRC2:SCRATCH_EN: 0
; COMPUTE_PGM_RSRC2:USER_SGPR: 6
; COMPUTE_PGM_RSRC2:TRAP_HANDLER: 0
; COMPUTE_PGM_RSRC2:TGID_X_EN: 1
; COMPUTE_PGM_RSRC2:TGID_Y_EN: 0
; COMPUTE_PGM_RSRC2:TGID_Z_EN: 0
; COMPUTE_PGM_RSRC2:TIDIG_COMP_CNT: 0
; COMPUTE_PGM_RSRC3_GFX90A:ACCUM_OFFSET: 0
; COMPUTE_PGM_RSRC3_GFX90A:TG_SPLIT: 0
	.section	.text._ZN7rocprim17ROCPRIM_400000_NS6detail17trampoline_kernelINS0_14default_configENS1_38merge_sort_block_merge_config_selectorIalEEZZNS1_27merge_sort_block_merge_implIS3_PaN6thrust23THRUST_200600_302600_NS10device_ptrIlEEjNS1_19radix_merge_compareILb0ELb1EaNS0_19identity_decomposerEEEEE10hipError_tT0_T1_T2_jT3_P12ihipStream_tbPNSt15iterator_traitsISG_E10value_typeEPNSM_ISH_E10value_typeEPSI_NS1_7vsmem_tEENKUlT_SG_SH_SI_E_clIS7_S7_PlSB_EESF_SV_SG_SH_SI_EUlSV_E0_NS1_11comp_targetILNS1_3genE10ELNS1_11target_archE1201ELNS1_3gpuE5ELNS1_3repE0EEENS1_38merge_mergepath_config_static_selectorELNS0_4arch9wavefront6targetE1EEEvSH_,"axG",@progbits,_ZN7rocprim17ROCPRIM_400000_NS6detail17trampoline_kernelINS0_14default_configENS1_38merge_sort_block_merge_config_selectorIalEEZZNS1_27merge_sort_block_merge_implIS3_PaN6thrust23THRUST_200600_302600_NS10device_ptrIlEEjNS1_19radix_merge_compareILb0ELb1EaNS0_19identity_decomposerEEEEE10hipError_tT0_T1_T2_jT3_P12ihipStream_tbPNSt15iterator_traitsISG_E10value_typeEPNSM_ISH_E10value_typeEPSI_NS1_7vsmem_tEENKUlT_SG_SH_SI_E_clIS7_S7_PlSB_EESF_SV_SG_SH_SI_EUlSV_E0_NS1_11comp_targetILNS1_3genE10ELNS1_11target_archE1201ELNS1_3gpuE5ELNS1_3repE0EEENS1_38merge_mergepath_config_static_selectorELNS0_4arch9wavefront6targetE1EEEvSH_,comdat
	.protected	_ZN7rocprim17ROCPRIM_400000_NS6detail17trampoline_kernelINS0_14default_configENS1_38merge_sort_block_merge_config_selectorIalEEZZNS1_27merge_sort_block_merge_implIS3_PaN6thrust23THRUST_200600_302600_NS10device_ptrIlEEjNS1_19radix_merge_compareILb0ELb1EaNS0_19identity_decomposerEEEEE10hipError_tT0_T1_T2_jT3_P12ihipStream_tbPNSt15iterator_traitsISG_E10value_typeEPNSM_ISH_E10value_typeEPSI_NS1_7vsmem_tEENKUlT_SG_SH_SI_E_clIS7_S7_PlSB_EESF_SV_SG_SH_SI_EUlSV_E0_NS1_11comp_targetILNS1_3genE10ELNS1_11target_archE1201ELNS1_3gpuE5ELNS1_3repE0EEENS1_38merge_mergepath_config_static_selectorELNS0_4arch9wavefront6targetE1EEEvSH_ ; -- Begin function _ZN7rocprim17ROCPRIM_400000_NS6detail17trampoline_kernelINS0_14default_configENS1_38merge_sort_block_merge_config_selectorIalEEZZNS1_27merge_sort_block_merge_implIS3_PaN6thrust23THRUST_200600_302600_NS10device_ptrIlEEjNS1_19radix_merge_compareILb0ELb1EaNS0_19identity_decomposerEEEEE10hipError_tT0_T1_T2_jT3_P12ihipStream_tbPNSt15iterator_traitsISG_E10value_typeEPNSM_ISH_E10value_typeEPSI_NS1_7vsmem_tEENKUlT_SG_SH_SI_E_clIS7_S7_PlSB_EESF_SV_SG_SH_SI_EUlSV_E0_NS1_11comp_targetILNS1_3genE10ELNS1_11target_archE1201ELNS1_3gpuE5ELNS1_3repE0EEENS1_38merge_mergepath_config_static_selectorELNS0_4arch9wavefront6targetE1EEEvSH_
	.globl	_ZN7rocprim17ROCPRIM_400000_NS6detail17trampoline_kernelINS0_14default_configENS1_38merge_sort_block_merge_config_selectorIalEEZZNS1_27merge_sort_block_merge_implIS3_PaN6thrust23THRUST_200600_302600_NS10device_ptrIlEEjNS1_19radix_merge_compareILb0ELb1EaNS0_19identity_decomposerEEEEE10hipError_tT0_T1_T2_jT3_P12ihipStream_tbPNSt15iterator_traitsISG_E10value_typeEPNSM_ISH_E10value_typeEPSI_NS1_7vsmem_tEENKUlT_SG_SH_SI_E_clIS7_S7_PlSB_EESF_SV_SG_SH_SI_EUlSV_E0_NS1_11comp_targetILNS1_3genE10ELNS1_11target_archE1201ELNS1_3gpuE5ELNS1_3repE0EEENS1_38merge_mergepath_config_static_selectorELNS0_4arch9wavefront6targetE1EEEvSH_
	.p2align	8
	.type	_ZN7rocprim17ROCPRIM_400000_NS6detail17trampoline_kernelINS0_14default_configENS1_38merge_sort_block_merge_config_selectorIalEEZZNS1_27merge_sort_block_merge_implIS3_PaN6thrust23THRUST_200600_302600_NS10device_ptrIlEEjNS1_19radix_merge_compareILb0ELb1EaNS0_19identity_decomposerEEEEE10hipError_tT0_T1_T2_jT3_P12ihipStream_tbPNSt15iterator_traitsISG_E10value_typeEPNSM_ISH_E10value_typeEPSI_NS1_7vsmem_tEENKUlT_SG_SH_SI_E_clIS7_S7_PlSB_EESF_SV_SG_SH_SI_EUlSV_E0_NS1_11comp_targetILNS1_3genE10ELNS1_11target_archE1201ELNS1_3gpuE5ELNS1_3repE0EEENS1_38merge_mergepath_config_static_selectorELNS0_4arch9wavefront6targetE1EEEvSH_,@function
_ZN7rocprim17ROCPRIM_400000_NS6detail17trampoline_kernelINS0_14default_configENS1_38merge_sort_block_merge_config_selectorIalEEZZNS1_27merge_sort_block_merge_implIS3_PaN6thrust23THRUST_200600_302600_NS10device_ptrIlEEjNS1_19radix_merge_compareILb0ELb1EaNS0_19identity_decomposerEEEEE10hipError_tT0_T1_T2_jT3_P12ihipStream_tbPNSt15iterator_traitsISG_E10value_typeEPNSM_ISH_E10value_typeEPSI_NS1_7vsmem_tEENKUlT_SG_SH_SI_E_clIS7_S7_PlSB_EESF_SV_SG_SH_SI_EUlSV_E0_NS1_11comp_targetILNS1_3genE10ELNS1_11target_archE1201ELNS1_3gpuE5ELNS1_3repE0EEENS1_38merge_mergepath_config_static_selectorELNS0_4arch9wavefront6targetE1EEEvSH_: ; @_ZN7rocprim17ROCPRIM_400000_NS6detail17trampoline_kernelINS0_14default_configENS1_38merge_sort_block_merge_config_selectorIalEEZZNS1_27merge_sort_block_merge_implIS3_PaN6thrust23THRUST_200600_302600_NS10device_ptrIlEEjNS1_19radix_merge_compareILb0ELb1EaNS0_19identity_decomposerEEEEE10hipError_tT0_T1_T2_jT3_P12ihipStream_tbPNSt15iterator_traitsISG_E10value_typeEPNSM_ISH_E10value_typeEPSI_NS1_7vsmem_tEENKUlT_SG_SH_SI_E_clIS7_S7_PlSB_EESF_SV_SG_SH_SI_EUlSV_E0_NS1_11comp_targetILNS1_3genE10ELNS1_11target_archE1201ELNS1_3gpuE5ELNS1_3repE0EEENS1_38merge_mergepath_config_static_selectorELNS0_4arch9wavefront6targetE1EEEvSH_
; %bb.0:
	.section	.rodata,"a",@progbits
	.p2align	6, 0x0
	.amdhsa_kernel _ZN7rocprim17ROCPRIM_400000_NS6detail17trampoline_kernelINS0_14default_configENS1_38merge_sort_block_merge_config_selectorIalEEZZNS1_27merge_sort_block_merge_implIS3_PaN6thrust23THRUST_200600_302600_NS10device_ptrIlEEjNS1_19radix_merge_compareILb0ELb1EaNS0_19identity_decomposerEEEEE10hipError_tT0_T1_T2_jT3_P12ihipStream_tbPNSt15iterator_traitsISG_E10value_typeEPNSM_ISH_E10value_typeEPSI_NS1_7vsmem_tEENKUlT_SG_SH_SI_E_clIS7_S7_PlSB_EESF_SV_SG_SH_SI_EUlSV_E0_NS1_11comp_targetILNS1_3genE10ELNS1_11target_archE1201ELNS1_3gpuE5ELNS1_3repE0EEENS1_38merge_mergepath_config_static_selectorELNS0_4arch9wavefront6targetE1EEEvSH_
		.amdhsa_group_segment_fixed_size 0
		.amdhsa_private_segment_fixed_size 0
		.amdhsa_kernarg_size 64
		.amdhsa_user_sgpr_count 6
		.amdhsa_user_sgpr_private_segment_buffer 1
		.amdhsa_user_sgpr_dispatch_ptr 0
		.amdhsa_user_sgpr_queue_ptr 0
		.amdhsa_user_sgpr_kernarg_segment_ptr 1
		.amdhsa_user_sgpr_dispatch_id 0
		.amdhsa_user_sgpr_flat_scratch_init 0
		.amdhsa_user_sgpr_kernarg_preload_length 0
		.amdhsa_user_sgpr_kernarg_preload_offset 0
		.amdhsa_user_sgpr_private_segment_size 0
		.amdhsa_uses_dynamic_stack 0
		.amdhsa_system_sgpr_private_segment_wavefront_offset 0
		.amdhsa_system_sgpr_workgroup_id_x 1
		.amdhsa_system_sgpr_workgroup_id_y 0
		.amdhsa_system_sgpr_workgroup_id_z 0
		.amdhsa_system_sgpr_workgroup_info 0
		.amdhsa_system_vgpr_workitem_id 0
		.amdhsa_next_free_vgpr 1
		.amdhsa_next_free_sgpr 0
		.amdhsa_accum_offset 4
		.amdhsa_reserve_vcc 0
		.amdhsa_reserve_flat_scratch 0
		.amdhsa_float_round_mode_32 0
		.amdhsa_float_round_mode_16_64 0
		.amdhsa_float_denorm_mode_32 3
		.amdhsa_float_denorm_mode_16_64 3
		.amdhsa_dx10_clamp 1
		.amdhsa_ieee_mode 1
		.amdhsa_fp16_overflow 0
		.amdhsa_tg_split 0
		.amdhsa_exception_fp_ieee_invalid_op 0
		.amdhsa_exception_fp_denorm_src 0
		.amdhsa_exception_fp_ieee_div_zero 0
		.amdhsa_exception_fp_ieee_overflow 0
		.amdhsa_exception_fp_ieee_underflow 0
		.amdhsa_exception_fp_ieee_inexact 0
		.amdhsa_exception_int_div_zero 0
	.end_amdhsa_kernel
	.section	.text._ZN7rocprim17ROCPRIM_400000_NS6detail17trampoline_kernelINS0_14default_configENS1_38merge_sort_block_merge_config_selectorIalEEZZNS1_27merge_sort_block_merge_implIS3_PaN6thrust23THRUST_200600_302600_NS10device_ptrIlEEjNS1_19radix_merge_compareILb0ELb1EaNS0_19identity_decomposerEEEEE10hipError_tT0_T1_T2_jT3_P12ihipStream_tbPNSt15iterator_traitsISG_E10value_typeEPNSM_ISH_E10value_typeEPSI_NS1_7vsmem_tEENKUlT_SG_SH_SI_E_clIS7_S7_PlSB_EESF_SV_SG_SH_SI_EUlSV_E0_NS1_11comp_targetILNS1_3genE10ELNS1_11target_archE1201ELNS1_3gpuE5ELNS1_3repE0EEENS1_38merge_mergepath_config_static_selectorELNS0_4arch9wavefront6targetE1EEEvSH_,"axG",@progbits,_ZN7rocprim17ROCPRIM_400000_NS6detail17trampoline_kernelINS0_14default_configENS1_38merge_sort_block_merge_config_selectorIalEEZZNS1_27merge_sort_block_merge_implIS3_PaN6thrust23THRUST_200600_302600_NS10device_ptrIlEEjNS1_19radix_merge_compareILb0ELb1EaNS0_19identity_decomposerEEEEE10hipError_tT0_T1_T2_jT3_P12ihipStream_tbPNSt15iterator_traitsISG_E10value_typeEPNSM_ISH_E10value_typeEPSI_NS1_7vsmem_tEENKUlT_SG_SH_SI_E_clIS7_S7_PlSB_EESF_SV_SG_SH_SI_EUlSV_E0_NS1_11comp_targetILNS1_3genE10ELNS1_11target_archE1201ELNS1_3gpuE5ELNS1_3repE0EEENS1_38merge_mergepath_config_static_selectorELNS0_4arch9wavefront6targetE1EEEvSH_,comdat
.Lfunc_end543:
	.size	_ZN7rocprim17ROCPRIM_400000_NS6detail17trampoline_kernelINS0_14default_configENS1_38merge_sort_block_merge_config_selectorIalEEZZNS1_27merge_sort_block_merge_implIS3_PaN6thrust23THRUST_200600_302600_NS10device_ptrIlEEjNS1_19radix_merge_compareILb0ELb1EaNS0_19identity_decomposerEEEEE10hipError_tT0_T1_T2_jT3_P12ihipStream_tbPNSt15iterator_traitsISG_E10value_typeEPNSM_ISH_E10value_typeEPSI_NS1_7vsmem_tEENKUlT_SG_SH_SI_E_clIS7_S7_PlSB_EESF_SV_SG_SH_SI_EUlSV_E0_NS1_11comp_targetILNS1_3genE10ELNS1_11target_archE1201ELNS1_3gpuE5ELNS1_3repE0EEENS1_38merge_mergepath_config_static_selectorELNS0_4arch9wavefront6targetE1EEEvSH_, .Lfunc_end543-_ZN7rocprim17ROCPRIM_400000_NS6detail17trampoline_kernelINS0_14default_configENS1_38merge_sort_block_merge_config_selectorIalEEZZNS1_27merge_sort_block_merge_implIS3_PaN6thrust23THRUST_200600_302600_NS10device_ptrIlEEjNS1_19radix_merge_compareILb0ELb1EaNS0_19identity_decomposerEEEEE10hipError_tT0_T1_T2_jT3_P12ihipStream_tbPNSt15iterator_traitsISG_E10value_typeEPNSM_ISH_E10value_typeEPSI_NS1_7vsmem_tEENKUlT_SG_SH_SI_E_clIS7_S7_PlSB_EESF_SV_SG_SH_SI_EUlSV_E0_NS1_11comp_targetILNS1_3genE10ELNS1_11target_archE1201ELNS1_3gpuE5ELNS1_3repE0EEENS1_38merge_mergepath_config_static_selectorELNS0_4arch9wavefront6targetE1EEEvSH_
                                        ; -- End function
	.section	.AMDGPU.csdata,"",@progbits
; Kernel info:
; codeLenInByte = 0
; NumSgprs: 4
; NumVgprs: 0
; NumAgprs: 0
; TotalNumVgprs: 0
; ScratchSize: 0
; MemoryBound: 0
; FloatMode: 240
; IeeeMode: 1
; LDSByteSize: 0 bytes/workgroup (compile time only)
; SGPRBlocks: 0
; VGPRBlocks: 0
; NumSGPRsForWavesPerEU: 4
; NumVGPRsForWavesPerEU: 1
; AccumOffset: 4
; Occupancy: 8
; WaveLimiterHint : 0
; COMPUTE_PGM_RSRC2:SCRATCH_EN: 0
; COMPUTE_PGM_RSRC2:USER_SGPR: 6
; COMPUTE_PGM_RSRC2:TRAP_HANDLER: 0
; COMPUTE_PGM_RSRC2:TGID_X_EN: 1
; COMPUTE_PGM_RSRC2:TGID_Y_EN: 0
; COMPUTE_PGM_RSRC2:TGID_Z_EN: 0
; COMPUTE_PGM_RSRC2:TIDIG_COMP_CNT: 0
; COMPUTE_PGM_RSRC3_GFX90A:ACCUM_OFFSET: 0
; COMPUTE_PGM_RSRC3_GFX90A:TG_SPLIT: 0
	.section	.text._ZN7rocprim17ROCPRIM_400000_NS6detail17trampoline_kernelINS0_14default_configENS1_38merge_sort_block_merge_config_selectorIalEEZZNS1_27merge_sort_block_merge_implIS3_PaN6thrust23THRUST_200600_302600_NS10device_ptrIlEEjNS1_19radix_merge_compareILb0ELb1EaNS0_19identity_decomposerEEEEE10hipError_tT0_T1_T2_jT3_P12ihipStream_tbPNSt15iterator_traitsISG_E10value_typeEPNSM_ISH_E10value_typeEPSI_NS1_7vsmem_tEENKUlT_SG_SH_SI_E_clIS7_S7_PlSB_EESF_SV_SG_SH_SI_EUlSV_E0_NS1_11comp_targetILNS1_3genE5ELNS1_11target_archE942ELNS1_3gpuE9ELNS1_3repE0EEENS1_38merge_mergepath_config_static_selectorELNS0_4arch9wavefront6targetE1EEEvSH_,"axG",@progbits,_ZN7rocprim17ROCPRIM_400000_NS6detail17trampoline_kernelINS0_14default_configENS1_38merge_sort_block_merge_config_selectorIalEEZZNS1_27merge_sort_block_merge_implIS3_PaN6thrust23THRUST_200600_302600_NS10device_ptrIlEEjNS1_19radix_merge_compareILb0ELb1EaNS0_19identity_decomposerEEEEE10hipError_tT0_T1_T2_jT3_P12ihipStream_tbPNSt15iterator_traitsISG_E10value_typeEPNSM_ISH_E10value_typeEPSI_NS1_7vsmem_tEENKUlT_SG_SH_SI_E_clIS7_S7_PlSB_EESF_SV_SG_SH_SI_EUlSV_E0_NS1_11comp_targetILNS1_3genE5ELNS1_11target_archE942ELNS1_3gpuE9ELNS1_3repE0EEENS1_38merge_mergepath_config_static_selectorELNS0_4arch9wavefront6targetE1EEEvSH_,comdat
	.protected	_ZN7rocprim17ROCPRIM_400000_NS6detail17trampoline_kernelINS0_14default_configENS1_38merge_sort_block_merge_config_selectorIalEEZZNS1_27merge_sort_block_merge_implIS3_PaN6thrust23THRUST_200600_302600_NS10device_ptrIlEEjNS1_19radix_merge_compareILb0ELb1EaNS0_19identity_decomposerEEEEE10hipError_tT0_T1_T2_jT3_P12ihipStream_tbPNSt15iterator_traitsISG_E10value_typeEPNSM_ISH_E10value_typeEPSI_NS1_7vsmem_tEENKUlT_SG_SH_SI_E_clIS7_S7_PlSB_EESF_SV_SG_SH_SI_EUlSV_E0_NS1_11comp_targetILNS1_3genE5ELNS1_11target_archE942ELNS1_3gpuE9ELNS1_3repE0EEENS1_38merge_mergepath_config_static_selectorELNS0_4arch9wavefront6targetE1EEEvSH_ ; -- Begin function _ZN7rocprim17ROCPRIM_400000_NS6detail17trampoline_kernelINS0_14default_configENS1_38merge_sort_block_merge_config_selectorIalEEZZNS1_27merge_sort_block_merge_implIS3_PaN6thrust23THRUST_200600_302600_NS10device_ptrIlEEjNS1_19radix_merge_compareILb0ELb1EaNS0_19identity_decomposerEEEEE10hipError_tT0_T1_T2_jT3_P12ihipStream_tbPNSt15iterator_traitsISG_E10value_typeEPNSM_ISH_E10value_typeEPSI_NS1_7vsmem_tEENKUlT_SG_SH_SI_E_clIS7_S7_PlSB_EESF_SV_SG_SH_SI_EUlSV_E0_NS1_11comp_targetILNS1_3genE5ELNS1_11target_archE942ELNS1_3gpuE9ELNS1_3repE0EEENS1_38merge_mergepath_config_static_selectorELNS0_4arch9wavefront6targetE1EEEvSH_
	.globl	_ZN7rocprim17ROCPRIM_400000_NS6detail17trampoline_kernelINS0_14default_configENS1_38merge_sort_block_merge_config_selectorIalEEZZNS1_27merge_sort_block_merge_implIS3_PaN6thrust23THRUST_200600_302600_NS10device_ptrIlEEjNS1_19radix_merge_compareILb0ELb1EaNS0_19identity_decomposerEEEEE10hipError_tT0_T1_T2_jT3_P12ihipStream_tbPNSt15iterator_traitsISG_E10value_typeEPNSM_ISH_E10value_typeEPSI_NS1_7vsmem_tEENKUlT_SG_SH_SI_E_clIS7_S7_PlSB_EESF_SV_SG_SH_SI_EUlSV_E0_NS1_11comp_targetILNS1_3genE5ELNS1_11target_archE942ELNS1_3gpuE9ELNS1_3repE0EEENS1_38merge_mergepath_config_static_selectorELNS0_4arch9wavefront6targetE1EEEvSH_
	.p2align	8
	.type	_ZN7rocprim17ROCPRIM_400000_NS6detail17trampoline_kernelINS0_14default_configENS1_38merge_sort_block_merge_config_selectorIalEEZZNS1_27merge_sort_block_merge_implIS3_PaN6thrust23THRUST_200600_302600_NS10device_ptrIlEEjNS1_19radix_merge_compareILb0ELb1EaNS0_19identity_decomposerEEEEE10hipError_tT0_T1_T2_jT3_P12ihipStream_tbPNSt15iterator_traitsISG_E10value_typeEPNSM_ISH_E10value_typeEPSI_NS1_7vsmem_tEENKUlT_SG_SH_SI_E_clIS7_S7_PlSB_EESF_SV_SG_SH_SI_EUlSV_E0_NS1_11comp_targetILNS1_3genE5ELNS1_11target_archE942ELNS1_3gpuE9ELNS1_3repE0EEENS1_38merge_mergepath_config_static_selectorELNS0_4arch9wavefront6targetE1EEEvSH_,@function
_ZN7rocprim17ROCPRIM_400000_NS6detail17trampoline_kernelINS0_14default_configENS1_38merge_sort_block_merge_config_selectorIalEEZZNS1_27merge_sort_block_merge_implIS3_PaN6thrust23THRUST_200600_302600_NS10device_ptrIlEEjNS1_19radix_merge_compareILb0ELb1EaNS0_19identity_decomposerEEEEE10hipError_tT0_T1_T2_jT3_P12ihipStream_tbPNSt15iterator_traitsISG_E10value_typeEPNSM_ISH_E10value_typeEPSI_NS1_7vsmem_tEENKUlT_SG_SH_SI_E_clIS7_S7_PlSB_EESF_SV_SG_SH_SI_EUlSV_E0_NS1_11comp_targetILNS1_3genE5ELNS1_11target_archE942ELNS1_3gpuE9ELNS1_3repE0EEENS1_38merge_mergepath_config_static_selectorELNS0_4arch9wavefront6targetE1EEEvSH_: ; @_ZN7rocprim17ROCPRIM_400000_NS6detail17trampoline_kernelINS0_14default_configENS1_38merge_sort_block_merge_config_selectorIalEEZZNS1_27merge_sort_block_merge_implIS3_PaN6thrust23THRUST_200600_302600_NS10device_ptrIlEEjNS1_19radix_merge_compareILb0ELb1EaNS0_19identity_decomposerEEEEE10hipError_tT0_T1_T2_jT3_P12ihipStream_tbPNSt15iterator_traitsISG_E10value_typeEPNSM_ISH_E10value_typeEPSI_NS1_7vsmem_tEENKUlT_SG_SH_SI_E_clIS7_S7_PlSB_EESF_SV_SG_SH_SI_EUlSV_E0_NS1_11comp_targetILNS1_3genE5ELNS1_11target_archE942ELNS1_3gpuE9ELNS1_3repE0EEENS1_38merge_mergepath_config_static_selectorELNS0_4arch9wavefront6targetE1EEEvSH_
; %bb.0:
	.section	.rodata,"a",@progbits
	.p2align	6, 0x0
	.amdhsa_kernel _ZN7rocprim17ROCPRIM_400000_NS6detail17trampoline_kernelINS0_14default_configENS1_38merge_sort_block_merge_config_selectorIalEEZZNS1_27merge_sort_block_merge_implIS3_PaN6thrust23THRUST_200600_302600_NS10device_ptrIlEEjNS1_19radix_merge_compareILb0ELb1EaNS0_19identity_decomposerEEEEE10hipError_tT0_T1_T2_jT3_P12ihipStream_tbPNSt15iterator_traitsISG_E10value_typeEPNSM_ISH_E10value_typeEPSI_NS1_7vsmem_tEENKUlT_SG_SH_SI_E_clIS7_S7_PlSB_EESF_SV_SG_SH_SI_EUlSV_E0_NS1_11comp_targetILNS1_3genE5ELNS1_11target_archE942ELNS1_3gpuE9ELNS1_3repE0EEENS1_38merge_mergepath_config_static_selectorELNS0_4arch9wavefront6targetE1EEEvSH_
		.amdhsa_group_segment_fixed_size 0
		.amdhsa_private_segment_fixed_size 0
		.amdhsa_kernarg_size 64
		.amdhsa_user_sgpr_count 6
		.amdhsa_user_sgpr_private_segment_buffer 1
		.amdhsa_user_sgpr_dispatch_ptr 0
		.amdhsa_user_sgpr_queue_ptr 0
		.amdhsa_user_sgpr_kernarg_segment_ptr 1
		.amdhsa_user_sgpr_dispatch_id 0
		.amdhsa_user_sgpr_flat_scratch_init 0
		.amdhsa_user_sgpr_kernarg_preload_length 0
		.amdhsa_user_sgpr_kernarg_preload_offset 0
		.amdhsa_user_sgpr_private_segment_size 0
		.amdhsa_uses_dynamic_stack 0
		.amdhsa_system_sgpr_private_segment_wavefront_offset 0
		.amdhsa_system_sgpr_workgroup_id_x 1
		.amdhsa_system_sgpr_workgroup_id_y 0
		.amdhsa_system_sgpr_workgroup_id_z 0
		.amdhsa_system_sgpr_workgroup_info 0
		.amdhsa_system_vgpr_workitem_id 0
		.amdhsa_next_free_vgpr 1
		.amdhsa_next_free_sgpr 0
		.amdhsa_accum_offset 4
		.amdhsa_reserve_vcc 0
		.amdhsa_reserve_flat_scratch 0
		.amdhsa_float_round_mode_32 0
		.amdhsa_float_round_mode_16_64 0
		.amdhsa_float_denorm_mode_32 3
		.amdhsa_float_denorm_mode_16_64 3
		.amdhsa_dx10_clamp 1
		.amdhsa_ieee_mode 1
		.amdhsa_fp16_overflow 0
		.amdhsa_tg_split 0
		.amdhsa_exception_fp_ieee_invalid_op 0
		.amdhsa_exception_fp_denorm_src 0
		.amdhsa_exception_fp_ieee_div_zero 0
		.amdhsa_exception_fp_ieee_overflow 0
		.amdhsa_exception_fp_ieee_underflow 0
		.amdhsa_exception_fp_ieee_inexact 0
		.amdhsa_exception_int_div_zero 0
	.end_amdhsa_kernel
	.section	.text._ZN7rocprim17ROCPRIM_400000_NS6detail17trampoline_kernelINS0_14default_configENS1_38merge_sort_block_merge_config_selectorIalEEZZNS1_27merge_sort_block_merge_implIS3_PaN6thrust23THRUST_200600_302600_NS10device_ptrIlEEjNS1_19radix_merge_compareILb0ELb1EaNS0_19identity_decomposerEEEEE10hipError_tT0_T1_T2_jT3_P12ihipStream_tbPNSt15iterator_traitsISG_E10value_typeEPNSM_ISH_E10value_typeEPSI_NS1_7vsmem_tEENKUlT_SG_SH_SI_E_clIS7_S7_PlSB_EESF_SV_SG_SH_SI_EUlSV_E0_NS1_11comp_targetILNS1_3genE5ELNS1_11target_archE942ELNS1_3gpuE9ELNS1_3repE0EEENS1_38merge_mergepath_config_static_selectorELNS0_4arch9wavefront6targetE1EEEvSH_,"axG",@progbits,_ZN7rocprim17ROCPRIM_400000_NS6detail17trampoline_kernelINS0_14default_configENS1_38merge_sort_block_merge_config_selectorIalEEZZNS1_27merge_sort_block_merge_implIS3_PaN6thrust23THRUST_200600_302600_NS10device_ptrIlEEjNS1_19radix_merge_compareILb0ELb1EaNS0_19identity_decomposerEEEEE10hipError_tT0_T1_T2_jT3_P12ihipStream_tbPNSt15iterator_traitsISG_E10value_typeEPNSM_ISH_E10value_typeEPSI_NS1_7vsmem_tEENKUlT_SG_SH_SI_E_clIS7_S7_PlSB_EESF_SV_SG_SH_SI_EUlSV_E0_NS1_11comp_targetILNS1_3genE5ELNS1_11target_archE942ELNS1_3gpuE9ELNS1_3repE0EEENS1_38merge_mergepath_config_static_selectorELNS0_4arch9wavefront6targetE1EEEvSH_,comdat
.Lfunc_end544:
	.size	_ZN7rocprim17ROCPRIM_400000_NS6detail17trampoline_kernelINS0_14default_configENS1_38merge_sort_block_merge_config_selectorIalEEZZNS1_27merge_sort_block_merge_implIS3_PaN6thrust23THRUST_200600_302600_NS10device_ptrIlEEjNS1_19radix_merge_compareILb0ELb1EaNS0_19identity_decomposerEEEEE10hipError_tT0_T1_T2_jT3_P12ihipStream_tbPNSt15iterator_traitsISG_E10value_typeEPNSM_ISH_E10value_typeEPSI_NS1_7vsmem_tEENKUlT_SG_SH_SI_E_clIS7_S7_PlSB_EESF_SV_SG_SH_SI_EUlSV_E0_NS1_11comp_targetILNS1_3genE5ELNS1_11target_archE942ELNS1_3gpuE9ELNS1_3repE0EEENS1_38merge_mergepath_config_static_selectorELNS0_4arch9wavefront6targetE1EEEvSH_, .Lfunc_end544-_ZN7rocprim17ROCPRIM_400000_NS6detail17trampoline_kernelINS0_14default_configENS1_38merge_sort_block_merge_config_selectorIalEEZZNS1_27merge_sort_block_merge_implIS3_PaN6thrust23THRUST_200600_302600_NS10device_ptrIlEEjNS1_19radix_merge_compareILb0ELb1EaNS0_19identity_decomposerEEEEE10hipError_tT0_T1_T2_jT3_P12ihipStream_tbPNSt15iterator_traitsISG_E10value_typeEPNSM_ISH_E10value_typeEPSI_NS1_7vsmem_tEENKUlT_SG_SH_SI_E_clIS7_S7_PlSB_EESF_SV_SG_SH_SI_EUlSV_E0_NS1_11comp_targetILNS1_3genE5ELNS1_11target_archE942ELNS1_3gpuE9ELNS1_3repE0EEENS1_38merge_mergepath_config_static_selectorELNS0_4arch9wavefront6targetE1EEEvSH_
                                        ; -- End function
	.section	.AMDGPU.csdata,"",@progbits
; Kernel info:
; codeLenInByte = 0
; NumSgprs: 4
; NumVgprs: 0
; NumAgprs: 0
; TotalNumVgprs: 0
; ScratchSize: 0
; MemoryBound: 0
; FloatMode: 240
; IeeeMode: 1
; LDSByteSize: 0 bytes/workgroup (compile time only)
; SGPRBlocks: 0
; VGPRBlocks: 0
; NumSGPRsForWavesPerEU: 4
; NumVGPRsForWavesPerEU: 1
; AccumOffset: 4
; Occupancy: 8
; WaveLimiterHint : 0
; COMPUTE_PGM_RSRC2:SCRATCH_EN: 0
; COMPUTE_PGM_RSRC2:USER_SGPR: 6
; COMPUTE_PGM_RSRC2:TRAP_HANDLER: 0
; COMPUTE_PGM_RSRC2:TGID_X_EN: 1
; COMPUTE_PGM_RSRC2:TGID_Y_EN: 0
; COMPUTE_PGM_RSRC2:TGID_Z_EN: 0
; COMPUTE_PGM_RSRC2:TIDIG_COMP_CNT: 0
; COMPUTE_PGM_RSRC3_GFX90A:ACCUM_OFFSET: 0
; COMPUTE_PGM_RSRC3_GFX90A:TG_SPLIT: 0
	.section	.text._ZN7rocprim17ROCPRIM_400000_NS6detail17trampoline_kernelINS0_14default_configENS1_38merge_sort_block_merge_config_selectorIalEEZZNS1_27merge_sort_block_merge_implIS3_PaN6thrust23THRUST_200600_302600_NS10device_ptrIlEEjNS1_19radix_merge_compareILb0ELb1EaNS0_19identity_decomposerEEEEE10hipError_tT0_T1_T2_jT3_P12ihipStream_tbPNSt15iterator_traitsISG_E10value_typeEPNSM_ISH_E10value_typeEPSI_NS1_7vsmem_tEENKUlT_SG_SH_SI_E_clIS7_S7_PlSB_EESF_SV_SG_SH_SI_EUlSV_E0_NS1_11comp_targetILNS1_3genE4ELNS1_11target_archE910ELNS1_3gpuE8ELNS1_3repE0EEENS1_38merge_mergepath_config_static_selectorELNS0_4arch9wavefront6targetE1EEEvSH_,"axG",@progbits,_ZN7rocprim17ROCPRIM_400000_NS6detail17trampoline_kernelINS0_14default_configENS1_38merge_sort_block_merge_config_selectorIalEEZZNS1_27merge_sort_block_merge_implIS3_PaN6thrust23THRUST_200600_302600_NS10device_ptrIlEEjNS1_19radix_merge_compareILb0ELb1EaNS0_19identity_decomposerEEEEE10hipError_tT0_T1_T2_jT3_P12ihipStream_tbPNSt15iterator_traitsISG_E10value_typeEPNSM_ISH_E10value_typeEPSI_NS1_7vsmem_tEENKUlT_SG_SH_SI_E_clIS7_S7_PlSB_EESF_SV_SG_SH_SI_EUlSV_E0_NS1_11comp_targetILNS1_3genE4ELNS1_11target_archE910ELNS1_3gpuE8ELNS1_3repE0EEENS1_38merge_mergepath_config_static_selectorELNS0_4arch9wavefront6targetE1EEEvSH_,comdat
	.protected	_ZN7rocprim17ROCPRIM_400000_NS6detail17trampoline_kernelINS0_14default_configENS1_38merge_sort_block_merge_config_selectorIalEEZZNS1_27merge_sort_block_merge_implIS3_PaN6thrust23THRUST_200600_302600_NS10device_ptrIlEEjNS1_19radix_merge_compareILb0ELb1EaNS0_19identity_decomposerEEEEE10hipError_tT0_T1_T2_jT3_P12ihipStream_tbPNSt15iterator_traitsISG_E10value_typeEPNSM_ISH_E10value_typeEPSI_NS1_7vsmem_tEENKUlT_SG_SH_SI_E_clIS7_S7_PlSB_EESF_SV_SG_SH_SI_EUlSV_E0_NS1_11comp_targetILNS1_3genE4ELNS1_11target_archE910ELNS1_3gpuE8ELNS1_3repE0EEENS1_38merge_mergepath_config_static_selectorELNS0_4arch9wavefront6targetE1EEEvSH_ ; -- Begin function _ZN7rocprim17ROCPRIM_400000_NS6detail17trampoline_kernelINS0_14default_configENS1_38merge_sort_block_merge_config_selectorIalEEZZNS1_27merge_sort_block_merge_implIS3_PaN6thrust23THRUST_200600_302600_NS10device_ptrIlEEjNS1_19radix_merge_compareILb0ELb1EaNS0_19identity_decomposerEEEEE10hipError_tT0_T1_T2_jT3_P12ihipStream_tbPNSt15iterator_traitsISG_E10value_typeEPNSM_ISH_E10value_typeEPSI_NS1_7vsmem_tEENKUlT_SG_SH_SI_E_clIS7_S7_PlSB_EESF_SV_SG_SH_SI_EUlSV_E0_NS1_11comp_targetILNS1_3genE4ELNS1_11target_archE910ELNS1_3gpuE8ELNS1_3repE0EEENS1_38merge_mergepath_config_static_selectorELNS0_4arch9wavefront6targetE1EEEvSH_
	.globl	_ZN7rocprim17ROCPRIM_400000_NS6detail17trampoline_kernelINS0_14default_configENS1_38merge_sort_block_merge_config_selectorIalEEZZNS1_27merge_sort_block_merge_implIS3_PaN6thrust23THRUST_200600_302600_NS10device_ptrIlEEjNS1_19radix_merge_compareILb0ELb1EaNS0_19identity_decomposerEEEEE10hipError_tT0_T1_T2_jT3_P12ihipStream_tbPNSt15iterator_traitsISG_E10value_typeEPNSM_ISH_E10value_typeEPSI_NS1_7vsmem_tEENKUlT_SG_SH_SI_E_clIS7_S7_PlSB_EESF_SV_SG_SH_SI_EUlSV_E0_NS1_11comp_targetILNS1_3genE4ELNS1_11target_archE910ELNS1_3gpuE8ELNS1_3repE0EEENS1_38merge_mergepath_config_static_selectorELNS0_4arch9wavefront6targetE1EEEvSH_
	.p2align	8
	.type	_ZN7rocprim17ROCPRIM_400000_NS6detail17trampoline_kernelINS0_14default_configENS1_38merge_sort_block_merge_config_selectorIalEEZZNS1_27merge_sort_block_merge_implIS3_PaN6thrust23THRUST_200600_302600_NS10device_ptrIlEEjNS1_19radix_merge_compareILb0ELb1EaNS0_19identity_decomposerEEEEE10hipError_tT0_T1_T2_jT3_P12ihipStream_tbPNSt15iterator_traitsISG_E10value_typeEPNSM_ISH_E10value_typeEPSI_NS1_7vsmem_tEENKUlT_SG_SH_SI_E_clIS7_S7_PlSB_EESF_SV_SG_SH_SI_EUlSV_E0_NS1_11comp_targetILNS1_3genE4ELNS1_11target_archE910ELNS1_3gpuE8ELNS1_3repE0EEENS1_38merge_mergepath_config_static_selectorELNS0_4arch9wavefront6targetE1EEEvSH_,@function
_ZN7rocprim17ROCPRIM_400000_NS6detail17trampoline_kernelINS0_14default_configENS1_38merge_sort_block_merge_config_selectorIalEEZZNS1_27merge_sort_block_merge_implIS3_PaN6thrust23THRUST_200600_302600_NS10device_ptrIlEEjNS1_19radix_merge_compareILb0ELb1EaNS0_19identity_decomposerEEEEE10hipError_tT0_T1_T2_jT3_P12ihipStream_tbPNSt15iterator_traitsISG_E10value_typeEPNSM_ISH_E10value_typeEPSI_NS1_7vsmem_tEENKUlT_SG_SH_SI_E_clIS7_S7_PlSB_EESF_SV_SG_SH_SI_EUlSV_E0_NS1_11comp_targetILNS1_3genE4ELNS1_11target_archE910ELNS1_3gpuE8ELNS1_3repE0EEENS1_38merge_mergepath_config_static_selectorELNS0_4arch9wavefront6targetE1EEEvSH_: ; @_ZN7rocprim17ROCPRIM_400000_NS6detail17trampoline_kernelINS0_14default_configENS1_38merge_sort_block_merge_config_selectorIalEEZZNS1_27merge_sort_block_merge_implIS3_PaN6thrust23THRUST_200600_302600_NS10device_ptrIlEEjNS1_19radix_merge_compareILb0ELb1EaNS0_19identity_decomposerEEEEE10hipError_tT0_T1_T2_jT3_P12ihipStream_tbPNSt15iterator_traitsISG_E10value_typeEPNSM_ISH_E10value_typeEPSI_NS1_7vsmem_tEENKUlT_SG_SH_SI_E_clIS7_S7_PlSB_EESF_SV_SG_SH_SI_EUlSV_E0_NS1_11comp_targetILNS1_3genE4ELNS1_11target_archE910ELNS1_3gpuE8ELNS1_3repE0EEENS1_38merge_mergepath_config_static_selectorELNS0_4arch9wavefront6targetE1EEEvSH_
; %bb.0:
	s_load_dwordx2 s[24:25], s[4:5], 0x40
	s_load_dword s0, s[4:5], 0x30
	s_add_u32 s22, s4, 64
	s_addc_u32 s23, s5, 0
	s_waitcnt lgkmcnt(0)
	s_mul_i32 s1, s25, s8
	s_add_i32 s1, s1, s7
	s_mul_i32 s1, s1, s24
	s_add_i32 s20, s1, s6
	s_cmp_ge_u32 s20, s0
	s_cbranch_scc1 .LBB545_53
; %bb.1:
	s_load_dwordx8 s[8:15], s[4:5], 0x10
	s_load_dwordx2 s[30:31], s[4:5], 0x8
	s_load_dwordx2 s[0:1], s[4:5], 0x38
	s_mov_b32 s21, 0
	v_mov_b32_e32 v1, 0
	s_waitcnt lgkmcnt(0)
	s_lshr_b32 s29, s14, 10
	s_cmp_lg_u32 s20, s29
	s_cselect_b64 s[18:19], -1, 0
	s_lshl_b64 s[2:3], s[20:21], 2
	s_add_u32 s0, s0, s2
	s_addc_u32 s1, s1, s3
	s_lshr_b32 s2, s15, 9
	s_and_b32 s2, s2, 0x7ffffe
	s_load_dwordx2 s[0:1], s[0:1], 0x0
	s_sub_i32 s3, 0, s2
	s_and_b32 s2, s20, s3
	s_lshl_b32 s7, s2, 10
	s_lshl_b32 s16, s20, 10
	;; [unrolled: 1-line block ×3, first 2 shown]
	s_sub_i32 s17, s16, s7
	s_add_i32 s25, s2, s15
	s_add_i32 s17, s25, s17
	s_waitcnt lgkmcnt(0)
	s_sub_i32 s2, s17, s0
	s_sub_i32 s17, s17, s1
	;; [unrolled: 1-line block ×3, first 2 shown]
	s_min_u32 s2, s14, s2
	s_addk_i32 s17, 0x400
	s_or_b32 s3, s20, s3
	s_min_u32 s25, s14, s7
	s_add_i32 s7, s7, s15
	s_cmp_eq_u32 s3, -1
	s_cselect_b32 s3, s7, s17
	s_cselect_b32 s1, s25, s1
	s_min_u32 s17, s3, s14
	s_sub_i32 s15, s1, s0
	s_add_u32 s26, s30, s0
	s_addc_u32 s28, s31, 0
	s_add_u32 s25, s30, s2
	s_addc_u32 s27, s31, 0
	s_cmp_lt_u32 s6, s24
	s_cselect_b32 s1, 12, 18
	global_load_dword v2, v1, s[22:23] offset:14
	s_add_u32 s6, s22, s1
	s_addc_u32 s7, s23, 0
	global_load_ushort v1, v1, s[6:7]
	s_mov_b32 s1, s21
	s_mov_b32 s3, s21
	s_cmp_eq_u32 s20, s29
	s_waitcnt vmcnt(1)
	v_lshrrev_b32_e32 v3, 16, v2
	v_and_b32_e32 v2, 0xffff, v2
	v_mul_lo_u32 v2, v2, v3
	s_waitcnt vmcnt(0)
	v_mul_lo_u32 v17, v2, v1
	v_add_u32_e32 v4, v17, v0
	v_add_u32_e32 v2, v4, v17
	s_cbranch_scc1 .LBB545_3
; %bb.2:
	v_mov_b32_e32 v1, s28
	v_add_co_u32_e32 v3, vcc, s26, v0
	v_addc_co_u32_e32 v1, vcc, 0, v1, vcc
	v_subrev_u32_e32 v5, s15, v0
	v_mov_b32_e32 v6, s27
	v_add_co_u32_e32 v5, vcc, s25, v5
	v_addc_co_u32_e32 v6, vcc, 0, v6, vcc
	v_cmp_gt_u32_e32 vcc, s15, v0
	v_cndmask_b32_e32 v7, v6, v1, vcc
	v_cndmask_b32_e32 v6, v5, v3, vcc
	v_mov_b32_e32 v1, s28
	v_add_co_u32_e32 v3, vcc, s26, v4
	v_addc_co_u32_e32 v1, vcc, 0, v1, vcc
	v_subrev_u32_e32 v5, s15, v4
	v_mov_b32_e32 v8, s27
	v_add_co_u32_e32 v5, vcc, s25, v5
	v_addc_co_u32_e32 v8, vcc, 0, v8, vcc
	v_cmp_gt_u32_e32 vcc, s15, v4
	v_cndmask_b32_e32 v9, v8, v1, vcc
	v_cndmask_b32_e32 v8, v5, v3, vcc
	;; [unrolled: 10-line block ×3, first 2 shown]
	global_load_ubyte v1, v[6:7], off
	global_load_ubyte v15, v[8:9], off
	;; [unrolled: 1-line block ×3, first 2 shown]
	v_add_u32_e32 v3, v2, v17
	s_mov_b64 s[6:7], -1
	s_sub_i32 s17, s17, s2
	s_cbranch_execz .LBB545_4
	s_branch .LBB545_11
.LBB545_3:
	s_mov_b64 s[6:7], 0
                                        ; implicit-def: $vgpr1
                                        ; implicit-def: $vgpr15
                                        ; implicit-def: $vgpr16
                                        ; implicit-def: $vgpr3
	s_sub_i32 s17, s17, s2
.LBB545_4:
	s_add_i32 s20, s17, s15
	v_cmp_gt_u32_e32 vcc, s20, v0
                                        ; implicit-def: $vgpr1
	s_and_saveexec_b64 s[6:7], vcc
	s_cbranch_execz .LBB545_6
; %bb.5:
	s_waitcnt vmcnt(2)
	v_mov_b32_e32 v1, s28
	v_add_co_u32_e32 v3, vcc, s26, v0
	v_addc_co_u32_e32 v1, vcc, 0, v1, vcc
	v_subrev_u32_e32 v5, s15, v0
	v_mov_b32_e32 v6, s27
	v_add_co_u32_e32 v5, vcc, s25, v5
	v_addc_co_u32_e32 v6, vcc, 0, v6, vcc
	v_cmp_gt_u32_e32 vcc, s15, v0
	v_cndmask_b32_e32 v7, v6, v1, vcc
	v_cndmask_b32_e32 v6, v5, v3, vcc
	global_load_ubyte v1, v[6:7], off
.LBB545_6:
	s_or_b64 exec, exec, s[6:7]
	v_cmp_gt_u32_e32 vcc, s20, v4
                                        ; implicit-def: $vgpr15
	s_and_saveexec_b64 s[6:7], vcc
	s_cbranch_execz .LBB545_8
; %bb.7:
	v_mov_b32_e32 v3, s28
	v_add_co_u32_e32 v5, vcc, s26, v4
	v_addc_co_u32_e32 v3, vcc, 0, v3, vcc
	v_subrev_u32_e32 v6, s15, v4
	v_mov_b32_e32 v7, s27
	v_add_co_u32_e32 v6, vcc, s25, v6
	v_addc_co_u32_e32 v7, vcc, 0, v7, vcc
	v_cmp_gt_u32_e32 vcc, s15, v4
	v_cndmask_b32_e32 v7, v7, v3, vcc
	v_cndmask_b32_e32 v6, v6, v5, vcc
	global_load_ubyte v15, v[6:7], off
.LBB545_8:
	s_or_b64 exec, exec, s[6:7]
	v_cmp_gt_u32_e32 vcc, s20, v2
                                        ; implicit-def: $vgpr16
	s_and_saveexec_b64 s[6:7], vcc
	s_cbranch_execz .LBB545_10
; %bb.9:
	v_mov_b32_e32 v3, s28
	v_add_co_u32_e32 v5, vcc, s26, v2
	v_addc_co_u32_e32 v3, vcc, 0, v3, vcc
	v_subrev_u32_e32 v6, s15, v2
	v_mov_b32_e32 v7, s27
	v_add_co_u32_e32 v6, vcc, s25, v6
	v_addc_co_u32_e32 v7, vcc, 0, v7, vcc
	v_cmp_gt_u32_e32 vcc, s15, v2
	v_cndmask_b32_e32 v7, v7, v3, vcc
	v_cndmask_b32_e32 v6, v6, v5, vcc
	global_load_ubyte v16, v[6:7], off
.LBB545_10:
	s_or_b64 exec, exec, s[6:7]
	v_add_u32_e32 v3, v2, v17
	v_cmp_gt_u32_e64 s[6:7], s20, v3
.LBB545_11:
                                        ; implicit-def: $vgpr18
	s_and_saveexec_b64 s[20:21], s[6:7]
	s_cbranch_execz .LBB545_13
; %bb.12:
	v_mov_b32_e32 v5, s28
	v_add_co_u32_e32 v6, vcc, s26, v3
	v_addc_co_u32_e32 v5, vcc, 0, v5, vcc
	v_subrev_u32_e32 v7, s15, v3
	v_mov_b32_e32 v8, s27
	v_add_co_u32_e32 v9, vcc, s25, v7
	v_addc_co_u32_e32 v7, vcc, 0, v8, vcc
	v_cmp_gt_u32_e32 vcc, s15, v3
	v_cndmask_b32_e32 v7, v7, v5, vcc
	v_cndmask_b32_e32 v6, v9, v6, vcc
	global_load_ubyte v18, v[6:7], off
.LBB545_13:
	s_or_b64 exec, exec, s[20:21]
	s_lshl_b64 s[0:1], s[0:1], 3
	s_add_u32 s20, s10, s0
	s_addc_u32 s21, s11, s1
	s_lshl_b64 s[0:1], s[2:3], 3
	s_add_u32 s6, s10, s0
	s_addc_u32 s7, s11, s1
	s_andn2_b64 vcc, exec, s[18:19]
	v_lshlrev_b32_e32 v14, 3, v0
	s_waitcnt vmcnt(0)
	ds_write_b8 v0, v1
	ds_write_b8 v0, v15 offset:256
	ds_write_b8 v0, v16 offset:512
	;; [unrolled: 1-line block ×3, first 2 shown]
	s_cbranch_vccnz .LBB545_15
; %bb.14:
	v_mov_b32_e32 v13, 0
	v_mov_b32_e32 v3, s21
	v_add_co_u32_e32 v5, vcc, s20, v14
	v_subrev_u32_e32 v12, s15, v0
	v_addc_co_u32_e32 v3, vcc, 0, v3, vcc
	v_lshlrev_b64 v[6:7], 3, v[12:13]
	v_mov_b32_e32 v8, s7
	v_add_co_u32_e32 v6, vcc, s6, v6
	v_addc_co_u32_e32 v7, vcc, v8, v7, vcc
	v_cmp_gt_u32_e32 vcc, s15, v0
	v_cndmask_b32_e32 v6, v6, v5, vcc
	v_mov_b32_e32 v5, v13
	v_lshlrev_b64 v[8:9], 3, v[4:5]
	v_cndmask_b32_e32 v7, v7, v3, vcc
	v_mov_b32_e32 v3, s21
	v_add_co_u32_e32 v5, vcc, s20, v8
	v_subrev_u32_e32 v12, s15, v4
	v_addc_co_u32_e32 v3, vcc, v3, v9, vcc
	v_lshlrev_b64 v[8:9], 3, v[12:13]
	v_mov_b32_e32 v10, s7
	v_add_co_u32_e32 v8, vcc, s6, v8
	v_addc_co_u32_e32 v9, vcc, v10, v9, vcc
	v_cmp_gt_u32_e32 vcc, s15, v4
	v_cndmask_b32_e32 v9, v9, v3, vcc
	v_mov_b32_e32 v3, v13
	v_lshlrev_b64 v[10:11], 3, v[2:3]
	v_cndmask_b32_e32 v8, v8, v5, vcc
	v_mov_b32_e32 v3, s21
	v_add_co_u32_e32 v5, vcc, s20, v10
	v_subrev_u32_e32 v12, s15, v2
	v_addc_co_u32_e32 v3, vcc, v3, v11, vcc
	v_lshlrev_b64 v[10:11], 3, v[12:13]
	v_mov_b32_e32 v12, s7
	v_add_co_u32_e32 v10, vcc, s6, v10
	v_addc_co_u32_e32 v11, vcc, v12, v11, vcc
	v_add_u32_e32 v12, v2, v17
	v_cmp_gt_u32_e32 vcc, s15, v2
	v_lshlrev_b64 v[20:21], 3, v[12:13]
	v_cndmask_b32_e32 v11, v11, v3, vcc
	v_cndmask_b32_e32 v10, v10, v5, vcc
	v_mov_b32_e32 v3, s21
	v_add_co_u32_e32 v5, vcc, s20, v20
	v_addc_co_u32_e32 v3, vcc, v3, v21, vcc
	v_cmp_gt_u32_e32 vcc, s15, v12
	v_subrev_u32_e32 v12, s15, v12
	v_lshlrev_b64 v[12:13], 3, v[12:13]
	v_mov_b32_e32 v19, s7
	v_add_co_u32_e64 v12, s[0:1], s6, v12
	v_addc_co_u32_e64 v13, s[0:1], v19, v13, s[0:1]
	v_cndmask_b32_e32 v13, v13, v3, vcc
	v_cndmask_b32_e32 v12, v12, v5, vcc
	global_load_dwordx2 v[6:7], v[6:7], off
	s_add_i32 s10, s17, s15
	global_load_dwordx2 v[8:9], v[8:9], off
	s_nop 0
	global_load_dwordx2 v[10:11], v[10:11], off
	s_nop 0
	global_load_dwordx2 v[12:13], v[12:13], off
	s_cbranch_execz .LBB545_16
	s_branch .LBB545_25
.LBB545_15:
                                        ; implicit-def: $vgpr6_vgpr7
                                        ; implicit-def: $vgpr8_vgpr9
                                        ; implicit-def: $vgpr10_vgpr11
                                        ; implicit-def: $vgpr12_vgpr13
                                        ; implicit-def: $sgpr10
.LBB545_16:
	s_add_i32 s10, s17, s15
	v_cmp_gt_u32_e32 vcc, s10, v0
                                        ; implicit-def: $vgpr6_vgpr7
	s_and_saveexec_b64 s[0:1], vcc
	s_cbranch_execz .LBB545_18
; %bb.17:
	s_waitcnt vmcnt(3)
	v_mov_b32_e32 v7, 0
	v_mov_b32_e32 v3, s21
	v_add_co_u32_e32 v5, vcc, s20, v14
	v_subrev_u32_e32 v6, s15, v0
	v_addc_co_u32_e32 v3, vcc, 0, v3, vcc
	v_lshlrev_b64 v[6:7], 3, v[6:7]
	s_waitcnt vmcnt(2)
	v_mov_b32_e32 v8, s7
	v_add_co_u32_e32 v6, vcc, s6, v6
	v_addc_co_u32_e32 v7, vcc, v8, v7, vcc
	v_cmp_gt_u32_e32 vcc, s15, v0
	v_cndmask_b32_e32 v7, v7, v3, vcc
	v_cndmask_b32_e32 v6, v6, v5, vcc
	global_load_dwordx2 v[6:7], v[6:7], off
.LBB545_18:
	s_or_b64 exec, exec, s[0:1]
	v_cmp_gt_u32_e32 vcc, s10, v4
                                        ; implicit-def: $vgpr8_vgpr9
	s_and_saveexec_b64 s[2:3], vcc
	s_cbranch_execz .LBB545_20
; %bb.19:
	v_mov_b32_e32 v5, 0
	s_waitcnt vmcnt(2)
	v_lshlrev_b64 v[8:9], 3, v[4:5]
	v_mov_b32_e32 v3, s21
	v_add_co_u32_e32 v8, vcc, s20, v8
	v_addc_co_u32_e32 v3, vcc, v3, v9, vcc
	v_cmp_gt_u32_e32 vcc, s15, v4
	v_subrev_u32_e32 v4, s15, v4
	v_lshlrev_b64 v[4:5], 3, v[4:5]
	v_mov_b32_e32 v9, s7
	v_add_co_u32_e64 v4, s[0:1], s6, v4
	v_addc_co_u32_e64 v5, s[0:1], v9, v5, s[0:1]
	v_cndmask_b32_e32 v5, v5, v3, vcc
	v_cndmask_b32_e32 v4, v4, v8, vcc
	global_load_dwordx2 v[8:9], v[4:5], off
.LBB545_20:
	s_or_b64 exec, exec, s[2:3]
	v_cmp_gt_u32_e32 vcc, s10, v2
                                        ; implicit-def: $vgpr10_vgpr11
	s_and_saveexec_b64 s[0:1], vcc
	s_cbranch_execz .LBB545_22
; %bb.21:
	v_mov_b32_e32 v3, 0
	v_lshlrev_b64 v[4:5], 3, v[2:3]
	s_waitcnt vmcnt(1)
	v_mov_b32_e32 v10, s21
	v_add_co_u32_e32 v11, vcc, s20, v4
	v_addc_co_u32_e32 v10, vcc, v10, v5, vcc
	v_subrev_u32_e32 v4, s15, v2
	v_mov_b32_e32 v5, v3
	v_lshlrev_b64 v[4:5], 3, v[4:5]
	v_mov_b32_e32 v3, s7
	v_add_co_u32_e32 v4, vcc, s6, v4
	v_addc_co_u32_e32 v3, vcc, v3, v5, vcc
	v_cmp_gt_u32_e32 vcc, s15, v2
	v_cndmask_b32_e32 v5, v3, v10, vcc
	v_cndmask_b32_e32 v4, v4, v11, vcc
	global_load_dwordx2 v[10:11], v[4:5], off
.LBB545_22:
	s_or_b64 exec, exec, s[0:1]
	v_add_u32_e32 v2, v2, v17
	v_cmp_gt_u32_e32 vcc, s10, v2
                                        ; implicit-def: $vgpr12_vgpr13
	s_and_saveexec_b64 s[2:3], vcc
	s_cbranch_execz .LBB545_24
; %bb.23:
	v_mov_b32_e32 v3, 0
	v_lshlrev_b64 v[4:5], 3, v[2:3]
	s_waitcnt vmcnt(0)
	v_mov_b32_e32 v12, s21
	v_add_co_u32_e32 v4, vcc, s20, v4
	v_addc_co_u32_e32 v5, vcc, v12, v5, vcc
	v_cmp_gt_u32_e32 vcc, s15, v2
	v_subrev_u32_e32 v2, s15, v2
	v_lshlrev_b64 v[2:3], 3, v[2:3]
	v_mov_b32_e32 v12, s7
	v_add_co_u32_e64 v2, s[0:1], s6, v2
	v_addc_co_u32_e64 v3, s[0:1], v12, v3, s[0:1]
	v_cndmask_b32_e32 v3, v3, v5, vcc
	v_cndmask_b32_e32 v2, v2, v4, vcc
	global_load_dwordx2 v[12:13], v[2:3], off
.LBB545_24:
	s_or_b64 exec, exec, s[2:3]
.LBB545_25:
	s_load_dword s11, s[4:5], 0x34
	v_lshlrev_b32_e32 v17, 2, v0
	v_min_u32_e32 v3, s10, v17
	v_sub_u32_e64 v2, v3, s17 clamp
	v_min_u32_e32 v4, s15, v3
	v_cmp_lt_u32_e32 vcc, v2, v4
	s_waitcnt lgkmcnt(0)
	s_barrier
	s_and_saveexec_b64 s[0:1], vcc
	s_cbranch_execz .LBB545_29
; %bb.26:
	v_add_u32_e32 v5, s15, v3
	s_mov_b64 s[2:3], 0
.LBB545_27:                             ; =>This Inner Loop Header: Depth=1
	v_add_u32_e32 v19, v4, v2
	v_lshrrev_b32_e32 v19, 1, v19
	v_xad_u32 v20, v19, -1, v5
	ds_read_u8 v21, v19
	ds_read_u8 v20, v20
	v_add_u32_e32 v22, 1, v19
	s_waitcnt lgkmcnt(1)
	v_and_b32_e32 v21, s11, v21
	s_waitcnt lgkmcnt(0)
	v_and_b32_e32 v20, s11, v20
	v_cmp_gt_i16_sdwa vcc, sext(v21), sext(v20) src0_sel:BYTE_0 src1_sel:BYTE_0
	v_cndmask_b32_e32 v4, v4, v19, vcc
	v_cndmask_b32_e32 v2, v22, v2, vcc
	v_cmp_ge_u32_e32 vcc, v2, v4
	s_or_b64 s[2:3], vcc, s[2:3]
	s_andn2_b64 exec, exec, s[2:3]
	s_cbranch_execnz .LBB545_27
; %bb.28:
	s_or_b64 exec, exec, s[2:3]
.LBB545_29:
	s_or_b64 exec, exec, s[0:1]
	v_sub_u32_e32 v3, v3, v2
	v_add_u32_e32 v19, s15, v3
	v_cmp_ge_u32_e32 vcc, s15, v2
	v_cmp_ge_u32_e64 s[0:1], s10, v19
	s_or_b64 s[0:1], vcc, s[0:1]
                                        ; implicit-def: $vgpr20
                                        ; implicit-def: $vgpr5
                                        ; implicit-def: $vgpr4
                                        ; implicit-def: $vgpr3
	s_and_saveexec_b64 s[6:7], s[0:1]
	s_cbranch_execz .LBB545_35
; %bb.30:
	v_cmp_gt_u32_e32 vcc, s15, v2
                                        ; implicit-def: $vgpr1
	s_and_saveexec_b64 s[0:1], vcc
	s_cbranch_execz .LBB545_32
; %bb.31:
	ds_read_u8 v1, v2
.LBB545_32:
	s_or_b64 exec, exec, s[0:1]
	v_cmp_le_u32_e64 s[0:1], s10, v19
	v_cmp_gt_u32_e64 s[2:3], s10, v19
                                        ; implicit-def: $vgpr15
	s_and_saveexec_b64 s[4:5], s[2:3]
	s_cbranch_execz .LBB545_34
; %bb.33:
	ds_read_u8 v15, v19
.LBB545_34:
	s_or_b64 exec, exec, s[4:5]
	s_waitcnt lgkmcnt(0)
	v_and_b32_e32 v3, s11, v15
	v_and_b32_e32 v4, s11, v1
	v_cmp_le_i16_sdwa s[2:3], sext(v4), sext(v3) src0_sel:BYTE_0 src1_sel:BYTE_0
	s_and_b64 s[2:3], vcc, s[2:3]
	s_or_b64 vcc, s[0:1], s[2:3]
	v_mov_b32_e32 v16, s10
	v_mov_b32_e32 v18, s15
	v_cndmask_b32_e32 v3, v19, v2, vcc
	v_cndmask_b32_e32 v4, v16, v18, vcc
	v_add_u32_e32 v5, 1, v3
	v_add_u32_e32 v4, -1, v4
	v_min_u32_e32 v4, v5, v4
	ds_read_u8 v4, v4
	v_cndmask_b32_e32 v19, v5, v19, vcc
	v_cndmask_b32_e32 v2, v2, v5, vcc
	v_cmp_gt_u32_e64 s[2:3], s15, v2
	v_cmp_le_u32_e64 s[0:1], s10, v19
	s_waitcnt lgkmcnt(0)
	v_cndmask_b32_e32 v20, v4, v15, vcc
	v_cndmask_b32_e32 v21, v1, v4, vcc
	v_and_b32_e32 v4, s11, v20
	v_and_b32_e32 v5, s11, v21
	v_cmp_le_i16_sdwa s[4:5], sext(v5), sext(v4) src0_sel:BYTE_0 src1_sel:BYTE_0
	s_and_b64 s[2:3], s[2:3], s[4:5]
	s_or_b64 s[0:1], s[0:1], s[2:3]
	v_cndmask_b32_e64 v4, v19, v2, s[0:1]
	v_cndmask_b32_e64 v5, v16, v18, s[0:1]
	v_add_u32_e32 v22, 1, v4
	v_add_u32_e32 v5, -1, v5
	v_min_u32_e32 v5, v22, v5
	ds_read_u8 v5, v5
	v_cndmask_b32_e64 v19, v22, v19, s[0:1]
	v_cndmask_b32_e64 v2, v2, v22, s[0:1]
	v_cmp_gt_u32_e64 s[4:5], s15, v2
	v_cmp_le_u32_e64 s[2:3], s10, v19
	s_waitcnt lgkmcnt(0)
	v_cndmask_b32_e64 v23, v5, v20, s[0:1]
	v_cndmask_b32_e64 v24, v21, v5, s[0:1]
	v_and_b32_e32 v5, s11, v23
	v_and_b32_e32 v22, s11, v24
	v_cmp_le_i16_sdwa s[20:21], sext(v22), sext(v5) src0_sel:BYTE_0 src1_sel:BYTE_0
	s_and_b64 s[4:5], s[4:5], s[20:21]
	s_or_b64 s[2:3], s[2:3], s[4:5]
	v_cndmask_b32_e64 v5, v19, v2, s[2:3]
	v_cndmask_b32_e64 v16, v16, v18, s[2:3]
	v_add_u32_e32 v18, 1, v5
	v_add_u32_e32 v16, -1, v16
	v_min_u32_e32 v16, v18, v16
	ds_read_u8 v22, v16
	v_cndmask_b32_e32 v1, v15, v1, vcc
	v_cndmask_b32_e64 v15, v20, v21, s[0:1]
	v_cndmask_b32_e64 v19, v18, v19, s[2:3]
	;; [unrolled: 1-line block ×3, first 2 shown]
	s_waitcnt lgkmcnt(0)
	v_cndmask_b32_e64 v21, v22, v23, s[2:3]
	v_cndmask_b32_e64 v22, v24, v22, s[2:3]
	v_and_b32_e32 v18, s11, v21
	v_and_b32_e32 v20, s11, v22
	v_cndmask_b32_e64 v16, v23, v24, s[2:3]
	v_cmp_gt_u32_e64 s[0:1], s15, v2
	v_cmp_le_i16_sdwa s[2:3], sext(v20), sext(v18) src0_sel:BYTE_0 src1_sel:BYTE_0
	v_cmp_le_u32_e32 vcc, s10, v19
	s_and_b64 s[0:1], s[0:1], s[2:3]
	s_or_b64 vcc, vcc, s[0:1]
	v_cndmask_b32_e32 v20, v19, v2, vcc
	v_cndmask_b32_e32 v18, v21, v22, vcc
.LBB545_35:
	s_or_b64 exec, exec, s[6:7]
	v_mad_u32_u24 v19, v0, 7, v0
	v_lshlrev_b32_e32 v2, 3, v3
	v_lshlrev_b32_e32 v3, 3, v4
	;; [unrolled: 1-line block ×4, first 2 shown]
	s_barrier
	s_waitcnt vmcnt(0)
	ds_write2st64_b64 v19, v[6:7], v[8:9] offset1:4
	ds_write2st64_b64 v19, v[10:11], v[12:13] offset0:8 offset1:12
	s_waitcnt lgkmcnt(0)
	s_barrier
	ds_read_b64 v[6:7], v2
	ds_read_b64 v[8:9], v3
	;; [unrolled: 1-line block ×4, first 2 shown]
	v_lshlrev_b16_e32 v11, 8, v15
	v_lshrrev_b32_e32 v20, 3, v0
	v_or_b32_sdwa v1, v1, v11 dst_sel:DWORD dst_unused:UNUSED_PAD src0_sel:BYTE_0 src1_sel:DWORD
	v_lshlrev_b16_e32 v11, 8, v18
	s_add_u32 s0, s8, s16
	v_and_b32_e32 v10, 28, v20
	v_or_b32_sdwa v11, v16, v11 dst_sel:WORD_1 dst_unused:UNUSED_PAD src0_sel:BYTE_0 src1_sel:DWORD
	s_addc_u32 s1, s9, 0
	v_add_u32_e32 v10, v10, v17
	v_or_b32_sdwa v1, v1, v11 dst_sel:DWORD dst_unused:UNUSED_PAD src0_sel:WORD_0 src1_sel:DWORD
	v_or_b32_e32 v23, 0x100, v0
	v_or_b32_e32 v22, 0x200, v0
	;; [unrolled: 1-line block ×3, first 2 shown]
	s_waitcnt lgkmcnt(0)
	s_barrier
	s_barrier
	ds_write_b32 v10, v1
	v_lshrrev_b32_e32 v1, 5, v23
	v_lshrrev_b32_e32 v13, 5, v22
	v_lshrrev_b32_e32 v28, 5, v21
	v_mov_b32_e32 v11, s1
	v_add_co_u32_e32 v10, vcc, s0, v0
	v_lshrrev_b32_e32 v15, 5, v0
	v_and_b32_e32 v12, 12, v1
	v_and_b32_e32 v16, 20, v13
	;; [unrolled: 1-line block ×3, first 2 shown]
	v_addc_co_u32_e32 v11, vcc, 0, v11, vcc
	s_mov_b32 s17, 0
	v_and_b32_e32 v24, 4, v15
	s_and_b64 vcc, exec, s[18:19]
	v_add_u32_e32 v25, v0, v12
	v_add_u32_e32 v26, v0, v16
	;; [unrolled: 1-line block ×3, first 2 shown]
	v_lshlrev_b32_e32 v18, 3, v17
	v_lshl_add_u32 v1, v1, 3, v19
	v_lshl_add_u32 v16, v13, 3, v19
	;; [unrolled: 1-line block ×3, first 2 shown]
	s_waitcnt lgkmcnt(0)
	s_cbranch_vccz .LBB545_37
; %bb.36:
	v_add_u32_e32 v12, v0, v24
	s_barrier
	ds_read_u8 v12, v12
	ds_read_u8 v13, v25 offset:256
	ds_read_u8 v28, v26 offset:512
	;; [unrolled: 1-line block ×3, first 2 shown]
	s_lshl_b64 s[0:1], s[16:17], 3
	s_add_u32 s0, s12, s0
	s_waitcnt lgkmcnt(3)
	global_store_byte v[10:11], v12, off
	s_waitcnt lgkmcnt(2)
	global_store_byte v[10:11], v13, off offset:256
	s_waitcnt lgkmcnt(1)
	global_store_byte v[10:11], v28, off offset:512
	;; [unrolled: 2-line block ×3, first 2 shown]
	v_lshl_add_u32 v12, v20, 3, v18
	s_barrier
	ds_write2_b64 v12, v[6:7], v[8:9] offset1:1
	ds_write2_b64 v12, v[2:3], v[4:5] offset0:2 offset1:3
	v_lshl_add_u32 v12, v15, 3, v19
	s_addc_u32 s1, s13, s1
	s_waitcnt lgkmcnt(0)
	s_barrier
	ds_read_b64 v[28:29], v12
	ds_read_b64 v[30:31], v1 offset:2048
	ds_read_b64 v[32:33], v16 offset:4096
	;; [unrolled: 1-line block ×3, first 2 shown]
	v_mov_b32_e32 v34, s1
	v_add_co_u32_e32 v35, vcc, s0, v14
	v_addc_co_u32_e32 v34, vcc, 0, v34, vcc
	s_waitcnt lgkmcnt(3)
	global_store_dwordx2 v14, v[28:29], s[0:1]
	s_waitcnt lgkmcnt(2)
	global_store_dwordx2 v14, v[30:31], s[0:1] offset:2048
	v_add_co_u32_e32 v28, vcc, 0x1000, v35
	v_addc_co_u32_e32 v29, vcc, 0, v34, vcc
	s_waitcnt lgkmcnt(1)
	global_store_dwordx2 v[28:29], v[32:33], off
	s_mov_b64 s[6:7], -1
	s_cbranch_execz .LBB545_38
	s_branch .LBB545_51
.LBB545_37:
	s_mov_b64 s[6:7], 0
                                        ; implicit-def: $vgpr12_vgpr13
.LBB545_38:
	s_barrier
	s_waitcnt lgkmcnt(0)
	ds_read_u8 v25, v25 offset:256
	ds_read_u8 v13, v26 offset:512
	;; [unrolled: 1-line block ×3, first 2 shown]
	s_sub_i32 s6, s14, s16
	v_cmp_gt_u32_e32 vcc, s6, v0
	s_and_saveexec_b64 s[0:1], vcc
	s_cbranch_execz .LBB545_42
; %bb.39:
	v_add_u32_e32 v0, v0, v24
	ds_read_u8 v0, v0
	s_waitcnt lgkmcnt(0)
	global_store_byte v[10:11], v0, off
	s_or_b64 exec, exec, s[0:1]
	v_cmp_gt_u32_e64 s[0:1], s6, v23
	s_and_saveexec_b64 s[2:3], s[0:1]
	s_cbranch_execnz .LBB545_43
.LBB545_40:
	s_or_b64 exec, exec, s[2:3]
	v_cmp_gt_u32_e64 s[2:3], s6, v22
	s_and_saveexec_b64 s[4:5], s[2:3]
	s_cbranch_execz .LBB545_44
.LBB545_41:
	s_waitcnt lgkmcnt(1)
	global_store_byte v[10:11], v13, off offset:512
	s_or_b64 exec, exec, s[4:5]
	v_cmp_gt_u32_e64 s[6:7], s6, v21
	s_and_saveexec_b64 s[4:5], s[6:7]
	s_cbranch_execnz .LBB545_45
	s_branch .LBB545_46
.LBB545_42:
	s_or_b64 exec, exec, s[0:1]
	v_cmp_gt_u32_e64 s[0:1], s6, v23
	s_and_saveexec_b64 s[2:3], s[0:1]
	s_cbranch_execz .LBB545_40
.LBB545_43:
	s_waitcnt lgkmcnt(2)
	global_store_byte v[10:11], v25, off offset:256
	s_or_b64 exec, exec, s[2:3]
	v_cmp_gt_u32_e64 s[2:3], s6, v22
	s_and_saveexec_b64 s[4:5], s[2:3]
	s_cbranch_execnz .LBB545_41
.LBB545_44:
	s_or_b64 exec, exec, s[4:5]
	v_cmp_gt_u32_e64 s[6:7], s6, v21
	s_and_saveexec_b64 s[4:5], s[6:7]
	s_cbranch_execz .LBB545_46
.LBB545_45:
	s_waitcnt lgkmcnt(0)
	global_store_byte v[10:11], v12, off offset:768
.LBB545_46:
	s_or_b64 exec, exec, s[4:5]
	v_lshl_add_u32 v0, v20, 3, v18
	s_waitcnt lgkmcnt(0)
	s_barrier
	ds_write2_b64 v0, v[6:7], v[8:9] offset1:1
	ds_write2_b64 v0, v[2:3], v[4:5] offset0:2 offset1:3
	s_waitcnt lgkmcnt(0)
	s_barrier
	ds_read_b64 v[4:5], v1 offset:2048
	ds_read_b64 v[0:1], v16 offset:4096
	;; [unrolled: 1-line block ×3, first 2 shown]
	s_lshl_b64 s[4:5], s[16:17], 3
	s_add_u32 s4, s12, s4
	s_addc_u32 s5, s13, s5
	v_mov_b32_e32 v3, s5
	v_add_co_u32_e64 v2, s[4:5], s4, v14
	v_addc_co_u32_e64 v3, s[4:5], 0, v3, s[4:5]
	s_and_saveexec_b64 s[4:5], vcc
	s_cbranch_execz .LBB545_54
; %bb.47:
	v_lshl_add_u32 v6, v15, 3, v19
	ds_read_b64 v[6:7], v6
	s_waitcnt lgkmcnt(0)
	global_store_dwordx2 v[2:3], v[6:7], off
	s_or_b64 exec, exec, s[4:5]
	s_and_saveexec_b64 s[4:5], s[0:1]
	s_cbranch_execnz .LBB545_55
.LBB545_48:
	s_or_b64 exec, exec, s[4:5]
	s_and_saveexec_b64 s[0:1], s[2:3]
	s_cbranch_execz .LBB545_50
.LBB545_49:
	v_add_co_u32_e32 v2, vcc, 0x1000, v2
	v_addc_co_u32_e32 v3, vcc, 0, v3, vcc
	s_waitcnt lgkmcnt(1)
	global_store_dwordx2 v[2:3], v[0:1], off
.LBB545_50:
	s_or_b64 exec, exec, s[0:1]
.LBB545_51:
	s_and_saveexec_b64 s[0:1], s[6:7]
	s_cbranch_execz .LBB545_53
; %bb.52:
	s_lshl_b64 s[0:1], s[16:17], 3
	s_add_u32 s0, s12, s0
	s_addc_u32 s1, s13, s1
	s_waitcnt lgkmcnt(1)
	v_mov_b32_e32 v0, s1
	v_add_co_u32_e32 v1, vcc, s0, v14
	v_addc_co_u32_e32 v2, vcc, 0, v0, vcc
	v_add_co_u32_e32 v0, vcc, 0x1000, v1
	v_addc_co_u32_e32 v1, vcc, 0, v2, vcc
	s_waitcnt lgkmcnt(0)
	global_store_dwordx2 v[0:1], v[12:13], off offset:2048
.LBB545_53:
	s_endpgm
.LBB545_54:
	s_or_b64 exec, exec, s[4:5]
	s_and_saveexec_b64 s[4:5], s[0:1]
	s_cbranch_execz .LBB545_48
.LBB545_55:
	s_waitcnt lgkmcnt(2)
	global_store_dwordx2 v[2:3], v[4:5], off offset:2048
	s_or_b64 exec, exec, s[4:5]
	s_and_saveexec_b64 s[0:1], s[2:3]
	s_cbranch_execnz .LBB545_49
	s_branch .LBB545_50
	.section	.rodata,"a",@progbits
	.p2align	6, 0x0
	.amdhsa_kernel _ZN7rocprim17ROCPRIM_400000_NS6detail17trampoline_kernelINS0_14default_configENS1_38merge_sort_block_merge_config_selectorIalEEZZNS1_27merge_sort_block_merge_implIS3_PaN6thrust23THRUST_200600_302600_NS10device_ptrIlEEjNS1_19radix_merge_compareILb0ELb1EaNS0_19identity_decomposerEEEEE10hipError_tT0_T1_T2_jT3_P12ihipStream_tbPNSt15iterator_traitsISG_E10value_typeEPNSM_ISH_E10value_typeEPSI_NS1_7vsmem_tEENKUlT_SG_SH_SI_E_clIS7_S7_PlSB_EESF_SV_SG_SH_SI_EUlSV_E0_NS1_11comp_targetILNS1_3genE4ELNS1_11target_archE910ELNS1_3gpuE8ELNS1_3repE0EEENS1_38merge_mergepath_config_static_selectorELNS0_4arch9wavefront6targetE1EEEvSH_
		.amdhsa_group_segment_fixed_size 8448
		.amdhsa_private_segment_fixed_size 0
		.amdhsa_kernarg_size 320
		.amdhsa_user_sgpr_count 6
		.amdhsa_user_sgpr_private_segment_buffer 1
		.amdhsa_user_sgpr_dispatch_ptr 0
		.amdhsa_user_sgpr_queue_ptr 0
		.amdhsa_user_sgpr_kernarg_segment_ptr 1
		.amdhsa_user_sgpr_dispatch_id 0
		.amdhsa_user_sgpr_flat_scratch_init 0
		.amdhsa_user_sgpr_kernarg_preload_length 0
		.amdhsa_user_sgpr_kernarg_preload_offset 0
		.amdhsa_user_sgpr_private_segment_size 0
		.amdhsa_uses_dynamic_stack 0
		.amdhsa_system_sgpr_private_segment_wavefront_offset 0
		.amdhsa_system_sgpr_workgroup_id_x 1
		.amdhsa_system_sgpr_workgroup_id_y 1
		.amdhsa_system_sgpr_workgroup_id_z 1
		.amdhsa_system_sgpr_workgroup_info 0
		.amdhsa_system_vgpr_workitem_id 0
		.amdhsa_next_free_vgpr 36
		.amdhsa_next_free_sgpr 32
		.amdhsa_accum_offset 36
		.amdhsa_reserve_vcc 1
		.amdhsa_reserve_flat_scratch 0
		.amdhsa_float_round_mode_32 0
		.amdhsa_float_round_mode_16_64 0
		.amdhsa_float_denorm_mode_32 3
		.amdhsa_float_denorm_mode_16_64 3
		.amdhsa_dx10_clamp 1
		.amdhsa_ieee_mode 1
		.amdhsa_fp16_overflow 0
		.amdhsa_tg_split 0
		.amdhsa_exception_fp_ieee_invalid_op 0
		.amdhsa_exception_fp_denorm_src 0
		.amdhsa_exception_fp_ieee_div_zero 0
		.amdhsa_exception_fp_ieee_overflow 0
		.amdhsa_exception_fp_ieee_underflow 0
		.amdhsa_exception_fp_ieee_inexact 0
		.amdhsa_exception_int_div_zero 0
	.end_amdhsa_kernel
	.section	.text._ZN7rocprim17ROCPRIM_400000_NS6detail17trampoline_kernelINS0_14default_configENS1_38merge_sort_block_merge_config_selectorIalEEZZNS1_27merge_sort_block_merge_implIS3_PaN6thrust23THRUST_200600_302600_NS10device_ptrIlEEjNS1_19radix_merge_compareILb0ELb1EaNS0_19identity_decomposerEEEEE10hipError_tT0_T1_T2_jT3_P12ihipStream_tbPNSt15iterator_traitsISG_E10value_typeEPNSM_ISH_E10value_typeEPSI_NS1_7vsmem_tEENKUlT_SG_SH_SI_E_clIS7_S7_PlSB_EESF_SV_SG_SH_SI_EUlSV_E0_NS1_11comp_targetILNS1_3genE4ELNS1_11target_archE910ELNS1_3gpuE8ELNS1_3repE0EEENS1_38merge_mergepath_config_static_selectorELNS0_4arch9wavefront6targetE1EEEvSH_,"axG",@progbits,_ZN7rocprim17ROCPRIM_400000_NS6detail17trampoline_kernelINS0_14default_configENS1_38merge_sort_block_merge_config_selectorIalEEZZNS1_27merge_sort_block_merge_implIS3_PaN6thrust23THRUST_200600_302600_NS10device_ptrIlEEjNS1_19radix_merge_compareILb0ELb1EaNS0_19identity_decomposerEEEEE10hipError_tT0_T1_T2_jT3_P12ihipStream_tbPNSt15iterator_traitsISG_E10value_typeEPNSM_ISH_E10value_typeEPSI_NS1_7vsmem_tEENKUlT_SG_SH_SI_E_clIS7_S7_PlSB_EESF_SV_SG_SH_SI_EUlSV_E0_NS1_11comp_targetILNS1_3genE4ELNS1_11target_archE910ELNS1_3gpuE8ELNS1_3repE0EEENS1_38merge_mergepath_config_static_selectorELNS0_4arch9wavefront6targetE1EEEvSH_,comdat
.Lfunc_end545:
	.size	_ZN7rocprim17ROCPRIM_400000_NS6detail17trampoline_kernelINS0_14default_configENS1_38merge_sort_block_merge_config_selectorIalEEZZNS1_27merge_sort_block_merge_implIS3_PaN6thrust23THRUST_200600_302600_NS10device_ptrIlEEjNS1_19radix_merge_compareILb0ELb1EaNS0_19identity_decomposerEEEEE10hipError_tT0_T1_T2_jT3_P12ihipStream_tbPNSt15iterator_traitsISG_E10value_typeEPNSM_ISH_E10value_typeEPSI_NS1_7vsmem_tEENKUlT_SG_SH_SI_E_clIS7_S7_PlSB_EESF_SV_SG_SH_SI_EUlSV_E0_NS1_11comp_targetILNS1_3genE4ELNS1_11target_archE910ELNS1_3gpuE8ELNS1_3repE0EEENS1_38merge_mergepath_config_static_selectorELNS0_4arch9wavefront6targetE1EEEvSH_, .Lfunc_end545-_ZN7rocprim17ROCPRIM_400000_NS6detail17trampoline_kernelINS0_14default_configENS1_38merge_sort_block_merge_config_selectorIalEEZZNS1_27merge_sort_block_merge_implIS3_PaN6thrust23THRUST_200600_302600_NS10device_ptrIlEEjNS1_19radix_merge_compareILb0ELb1EaNS0_19identity_decomposerEEEEE10hipError_tT0_T1_T2_jT3_P12ihipStream_tbPNSt15iterator_traitsISG_E10value_typeEPNSM_ISH_E10value_typeEPSI_NS1_7vsmem_tEENKUlT_SG_SH_SI_E_clIS7_S7_PlSB_EESF_SV_SG_SH_SI_EUlSV_E0_NS1_11comp_targetILNS1_3genE4ELNS1_11target_archE910ELNS1_3gpuE8ELNS1_3repE0EEENS1_38merge_mergepath_config_static_selectorELNS0_4arch9wavefront6targetE1EEEvSH_
                                        ; -- End function
	.section	.AMDGPU.csdata,"",@progbits
; Kernel info:
; codeLenInByte = 3188
; NumSgprs: 36
; NumVgprs: 36
; NumAgprs: 0
; TotalNumVgprs: 36
; ScratchSize: 0
; MemoryBound: 0
; FloatMode: 240
; IeeeMode: 1
; LDSByteSize: 8448 bytes/workgroup (compile time only)
; SGPRBlocks: 4
; VGPRBlocks: 4
; NumSGPRsForWavesPerEU: 36
; NumVGPRsForWavesPerEU: 36
; AccumOffset: 36
; Occupancy: 7
; WaveLimiterHint : 1
; COMPUTE_PGM_RSRC2:SCRATCH_EN: 0
; COMPUTE_PGM_RSRC2:USER_SGPR: 6
; COMPUTE_PGM_RSRC2:TRAP_HANDLER: 0
; COMPUTE_PGM_RSRC2:TGID_X_EN: 1
; COMPUTE_PGM_RSRC2:TGID_Y_EN: 1
; COMPUTE_PGM_RSRC2:TGID_Z_EN: 1
; COMPUTE_PGM_RSRC2:TIDIG_COMP_CNT: 0
; COMPUTE_PGM_RSRC3_GFX90A:ACCUM_OFFSET: 8
; COMPUTE_PGM_RSRC3_GFX90A:TG_SPLIT: 0
	.section	.text._ZN7rocprim17ROCPRIM_400000_NS6detail17trampoline_kernelINS0_14default_configENS1_38merge_sort_block_merge_config_selectorIalEEZZNS1_27merge_sort_block_merge_implIS3_PaN6thrust23THRUST_200600_302600_NS10device_ptrIlEEjNS1_19radix_merge_compareILb0ELb1EaNS0_19identity_decomposerEEEEE10hipError_tT0_T1_T2_jT3_P12ihipStream_tbPNSt15iterator_traitsISG_E10value_typeEPNSM_ISH_E10value_typeEPSI_NS1_7vsmem_tEENKUlT_SG_SH_SI_E_clIS7_S7_PlSB_EESF_SV_SG_SH_SI_EUlSV_E0_NS1_11comp_targetILNS1_3genE3ELNS1_11target_archE908ELNS1_3gpuE7ELNS1_3repE0EEENS1_38merge_mergepath_config_static_selectorELNS0_4arch9wavefront6targetE1EEEvSH_,"axG",@progbits,_ZN7rocprim17ROCPRIM_400000_NS6detail17trampoline_kernelINS0_14default_configENS1_38merge_sort_block_merge_config_selectorIalEEZZNS1_27merge_sort_block_merge_implIS3_PaN6thrust23THRUST_200600_302600_NS10device_ptrIlEEjNS1_19radix_merge_compareILb0ELb1EaNS0_19identity_decomposerEEEEE10hipError_tT0_T1_T2_jT3_P12ihipStream_tbPNSt15iterator_traitsISG_E10value_typeEPNSM_ISH_E10value_typeEPSI_NS1_7vsmem_tEENKUlT_SG_SH_SI_E_clIS7_S7_PlSB_EESF_SV_SG_SH_SI_EUlSV_E0_NS1_11comp_targetILNS1_3genE3ELNS1_11target_archE908ELNS1_3gpuE7ELNS1_3repE0EEENS1_38merge_mergepath_config_static_selectorELNS0_4arch9wavefront6targetE1EEEvSH_,comdat
	.protected	_ZN7rocprim17ROCPRIM_400000_NS6detail17trampoline_kernelINS0_14default_configENS1_38merge_sort_block_merge_config_selectorIalEEZZNS1_27merge_sort_block_merge_implIS3_PaN6thrust23THRUST_200600_302600_NS10device_ptrIlEEjNS1_19radix_merge_compareILb0ELb1EaNS0_19identity_decomposerEEEEE10hipError_tT0_T1_T2_jT3_P12ihipStream_tbPNSt15iterator_traitsISG_E10value_typeEPNSM_ISH_E10value_typeEPSI_NS1_7vsmem_tEENKUlT_SG_SH_SI_E_clIS7_S7_PlSB_EESF_SV_SG_SH_SI_EUlSV_E0_NS1_11comp_targetILNS1_3genE3ELNS1_11target_archE908ELNS1_3gpuE7ELNS1_3repE0EEENS1_38merge_mergepath_config_static_selectorELNS0_4arch9wavefront6targetE1EEEvSH_ ; -- Begin function _ZN7rocprim17ROCPRIM_400000_NS6detail17trampoline_kernelINS0_14default_configENS1_38merge_sort_block_merge_config_selectorIalEEZZNS1_27merge_sort_block_merge_implIS3_PaN6thrust23THRUST_200600_302600_NS10device_ptrIlEEjNS1_19radix_merge_compareILb0ELb1EaNS0_19identity_decomposerEEEEE10hipError_tT0_T1_T2_jT3_P12ihipStream_tbPNSt15iterator_traitsISG_E10value_typeEPNSM_ISH_E10value_typeEPSI_NS1_7vsmem_tEENKUlT_SG_SH_SI_E_clIS7_S7_PlSB_EESF_SV_SG_SH_SI_EUlSV_E0_NS1_11comp_targetILNS1_3genE3ELNS1_11target_archE908ELNS1_3gpuE7ELNS1_3repE0EEENS1_38merge_mergepath_config_static_selectorELNS0_4arch9wavefront6targetE1EEEvSH_
	.globl	_ZN7rocprim17ROCPRIM_400000_NS6detail17trampoline_kernelINS0_14default_configENS1_38merge_sort_block_merge_config_selectorIalEEZZNS1_27merge_sort_block_merge_implIS3_PaN6thrust23THRUST_200600_302600_NS10device_ptrIlEEjNS1_19radix_merge_compareILb0ELb1EaNS0_19identity_decomposerEEEEE10hipError_tT0_T1_T2_jT3_P12ihipStream_tbPNSt15iterator_traitsISG_E10value_typeEPNSM_ISH_E10value_typeEPSI_NS1_7vsmem_tEENKUlT_SG_SH_SI_E_clIS7_S7_PlSB_EESF_SV_SG_SH_SI_EUlSV_E0_NS1_11comp_targetILNS1_3genE3ELNS1_11target_archE908ELNS1_3gpuE7ELNS1_3repE0EEENS1_38merge_mergepath_config_static_selectorELNS0_4arch9wavefront6targetE1EEEvSH_
	.p2align	8
	.type	_ZN7rocprim17ROCPRIM_400000_NS6detail17trampoline_kernelINS0_14default_configENS1_38merge_sort_block_merge_config_selectorIalEEZZNS1_27merge_sort_block_merge_implIS3_PaN6thrust23THRUST_200600_302600_NS10device_ptrIlEEjNS1_19radix_merge_compareILb0ELb1EaNS0_19identity_decomposerEEEEE10hipError_tT0_T1_T2_jT3_P12ihipStream_tbPNSt15iterator_traitsISG_E10value_typeEPNSM_ISH_E10value_typeEPSI_NS1_7vsmem_tEENKUlT_SG_SH_SI_E_clIS7_S7_PlSB_EESF_SV_SG_SH_SI_EUlSV_E0_NS1_11comp_targetILNS1_3genE3ELNS1_11target_archE908ELNS1_3gpuE7ELNS1_3repE0EEENS1_38merge_mergepath_config_static_selectorELNS0_4arch9wavefront6targetE1EEEvSH_,@function
_ZN7rocprim17ROCPRIM_400000_NS6detail17trampoline_kernelINS0_14default_configENS1_38merge_sort_block_merge_config_selectorIalEEZZNS1_27merge_sort_block_merge_implIS3_PaN6thrust23THRUST_200600_302600_NS10device_ptrIlEEjNS1_19radix_merge_compareILb0ELb1EaNS0_19identity_decomposerEEEEE10hipError_tT0_T1_T2_jT3_P12ihipStream_tbPNSt15iterator_traitsISG_E10value_typeEPNSM_ISH_E10value_typeEPSI_NS1_7vsmem_tEENKUlT_SG_SH_SI_E_clIS7_S7_PlSB_EESF_SV_SG_SH_SI_EUlSV_E0_NS1_11comp_targetILNS1_3genE3ELNS1_11target_archE908ELNS1_3gpuE7ELNS1_3repE0EEENS1_38merge_mergepath_config_static_selectorELNS0_4arch9wavefront6targetE1EEEvSH_: ; @_ZN7rocprim17ROCPRIM_400000_NS6detail17trampoline_kernelINS0_14default_configENS1_38merge_sort_block_merge_config_selectorIalEEZZNS1_27merge_sort_block_merge_implIS3_PaN6thrust23THRUST_200600_302600_NS10device_ptrIlEEjNS1_19radix_merge_compareILb0ELb1EaNS0_19identity_decomposerEEEEE10hipError_tT0_T1_T2_jT3_P12ihipStream_tbPNSt15iterator_traitsISG_E10value_typeEPNSM_ISH_E10value_typeEPSI_NS1_7vsmem_tEENKUlT_SG_SH_SI_E_clIS7_S7_PlSB_EESF_SV_SG_SH_SI_EUlSV_E0_NS1_11comp_targetILNS1_3genE3ELNS1_11target_archE908ELNS1_3gpuE7ELNS1_3repE0EEENS1_38merge_mergepath_config_static_selectorELNS0_4arch9wavefront6targetE1EEEvSH_
; %bb.0:
	.section	.rodata,"a",@progbits
	.p2align	6, 0x0
	.amdhsa_kernel _ZN7rocprim17ROCPRIM_400000_NS6detail17trampoline_kernelINS0_14default_configENS1_38merge_sort_block_merge_config_selectorIalEEZZNS1_27merge_sort_block_merge_implIS3_PaN6thrust23THRUST_200600_302600_NS10device_ptrIlEEjNS1_19radix_merge_compareILb0ELb1EaNS0_19identity_decomposerEEEEE10hipError_tT0_T1_T2_jT3_P12ihipStream_tbPNSt15iterator_traitsISG_E10value_typeEPNSM_ISH_E10value_typeEPSI_NS1_7vsmem_tEENKUlT_SG_SH_SI_E_clIS7_S7_PlSB_EESF_SV_SG_SH_SI_EUlSV_E0_NS1_11comp_targetILNS1_3genE3ELNS1_11target_archE908ELNS1_3gpuE7ELNS1_3repE0EEENS1_38merge_mergepath_config_static_selectorELNS0_4arch9wavefront6targetE1EEEvSH_
		.amdhsa_group_segment_fixed_size 0
		.amdhsa_private_segment_fixed_size 0
		.amdhsa_kernarg_size 64
		.amdhsa_user_sgpr_count 6
		.amdhsa_user_sgpr_private_segment_buffer 1
		.amdhsa_user_sgpr_dispatch_ptr 0
		.amdhsa_user_sgpr_queue_ptr 0
		.amdhsa_user_sgpr_kernarg_segment_ptr 1
		.amdhsa_user_sgpr_dispatch_id 0
		.amdhsa_user_sgpr_flat_scratch_init 0
		.amdhsa_user_sgpr_kernarg_preload_length 0
		.amdhsa_user_sgpr_kernarg_preload_offset 0
		.amdhsa_user_sgpr_private_segment_size 0
		.amdhsa_uses_dynamic_stack 0
		.amdhsa_system_sgpr_private_segment_wavefront_offset 0
		.amdhsa_system_sgpr_workgroup_id_x 1
		.amdhsa_system_sgpr_workgroup_id_y 0
		.amdhsa_system_sgpr_workgroup_id_z 0
		.amdhsa_system_sgpr_workgroup_info 0
		.amdhsa_system_vgpr_workitem_id 0
		.amdhsa_next_free_vgpr 1
		.amdhsa_next_free_sgpr 0
		.amdhsa_accum_offset 4
		.amdhsa_reserve_vcc 0
		.amdhsa_reserve_flat_scratch 0
		.amdhsa_float_round_mode_32 0
		.amdhsa_float_round_mode_16_64 0
		.amdhsa_float_denorm_mode_32 3
		.amdhsa_float_denorm_mode_16_64 3
		.amdhsa_dx10_clamp 1
		.amdhsa_ieee_mode 1
		.amdhsa_fp16_overflow 0
		.amdhsa_tg_split 0
		.amdhsa_exception_fp_ieee_invalid_op 0
		.amdhsa_exception_fp_denorm_src 0
		.amdhsa_exception_fp_ieee_div_zero 0
		.amdhsa_exception_fp_ieee_overflow 0
		.amdhsa_exception_fp_ieee_underflow 0
		.amdhsa_exception_fp_ieee_inexact 0
		.amdhsa_exception_int_div_zero 0
	.end_amdhsa_kernel
	.section	.text._ZN7rocprim17ROCPRIM_400000_NS6detail17trampoline_kernelINS0_14default_configENS1_38merge_sort_block_merge_config_selectorIalEEZZNS1_27merge_sort_block_merge_implIS3_PaN6thrust23THRUST_200600_302600_NS10device_ptrIlEEjNS1_19radix_merge_compareILb0ELb1EaNS0_19identity_decomposerEEEEE10hipError_tT0_T1_T2_jT3_P12ihipStream_tbPNSt15iterator_traitsISG_E10value_typeEPNSM_ISH_E10value_typeEPSI_NS1_7vsmem_tEENKUlT_SG_SH_SI_E_clIS7_S7_PlSB_EESF_SV_SG_SH_SI_EUlSV_E0_NS1_11comp_targetILNS1_3genE3ELNS1_11target_archE908ELNS1_3gpuE7ELNS1_3repE0EEENS1_38merge_mergepath_config_static_selectorELNS0_4arch9wavefront6targetE1EEEvSH_,"axG",@progbits,_ZN7rocprim17ROCPRIM_400000_NS6detail17trampoline_kernelINS0_14default_configENS1_38merge_sort_block_merge_config_selectorIalEEZZNS1_27merge_sort_block_merge_implIS3_PaN6thrust23THRUST_200600_302600_NS10device_ptrIlEEjNS1_19radix_merge_compareILb0ELb1EaNS0_19identity_decomposerEEEEE10hipError_tT0_T1_T2_jT3_P12ihipStream_tbPNSt15iterator_traitsISG_E10value_typeEPNSM_ISH_E10value_typeEPSI_NS1_7vsmem_tEENKUlT_SG_SH_SI_E_clIS7_S7_PlSB_EESF_SV_SG_SH_SI_EUlSV_E0_NS1_11comp_targetILNS1_3genE3ELNS1_11target_archE908ELNS1_3gpuE7ELNS1_3repE0EEENS1_38merge_mergepath_config_static_selectorELNS0_4arch9wavefront6targetE1EEEvSH_,comdat
.Lfunc_end546:
	.size	_ZN7rocprim17ROCPRIM_400000_NS6detail17trampoline_kernelINS0_14default_configENS1_38merge_sort_block_merge_config_selectorIalEEZZNS1_27merge_sort_block_merge_implIS3_PaN6thrust23THRUST_200600_302600_NS10device_ptrIlEEjNS1_19radix_merge_compareILb0ELb1EaNS0_19identity_decomposerEEEEE10hipError_tT0_T1_T2_jT3_P12ihipStream_tbPNSt15iterator_traitsISG_E10value_typeEPNSM_ISH_E10value_typeEPSI_NS1_7vsmem_tEENKUlT_SG_SH_SI_E_clIS7_S7_PlSB_EESF_SV_SG_SH_SI_EUlSV_E0_NS1_11comp_targetILNS1_3genE3ELNS1_11target_archE908ELNS1_3gpuE7ELNS1_3repE0EEENS1_38merge_mergepath_config_static_selectorELNS0_4arch9wavefront6targetE1EEEvSH_, .Lfunc_end546-_ZN7rocprim17ROCPRIM_400000_NS6detail17trampoline_kernelINS0_14default_configENS1_38merge_sort_block_merge_config_selectorIalEEZZNS1_27merge_sort_block_merge_implIS3_PaN6thrust23THRUST_200600_302600_NS10device_ptrIlEEjNS1_19radix_merge_compareILb0ELb1EaNS0_19identity_decomposerEEEEE10hipError_tT0_T1_T2_jT3_P12ihipStream_tbPNSt15iterator_traitsISG_E10value_typeEPNSM_ISH_E10value_typeEPSI_NS1_7vsmem_tEENKUlT_SG_SH_SI_E_clIS7_S7_PlSB_EESF_SV_SG_SH_SI_EUlSV_E0_NS1_11comp_targetILNS1_3genE3ELNS1_11target_archE908ELNS1_3gpuE7ELNS1_3repE0EEENS1_38merge_mergepath_config_static_selectorELNS0_4arch9wavefront6targetE1EEEvSH_
                                        ; -- End function
	.section	.AMDGPU.csdata,"",@progbits
; Kernel info:
; codeLenInByte = 0
; NumSgprs: 4
; NumVgprs: 0
; NumAgprs: 0
; TotalNumVgprs: 0
; ScratchSize: 0
; MemoryBound: 0
; FloatMode: 240
; IeeeMode: 1
; LDSByteSize: 0 bytes/workgroup (compile time only)
; SGPRBlocks: 0
; VGPRBlocks: 0
; NumSGPRsForWavesPerEU: 4
; NumVGPRsForWavesPerEU: 1
; AccumOffset: 4
; Occupancy: 8
; WaveLimiterHint : 0
; COMPUTE_PGM_RSRC2:SCRATCH_EN: 0
; COMPUTE_PGM_RSRC2:USER_SGPR: 6
; COMPUTE_PGM_RSRC2:TRAP_HANDLER: 0
; COMPUTE_PGM_RSRC2:TGID_X_EN: 1
; COMPUTE_PGM_RSRC2:TGID_Y_EN: 0
; COMPUTE_PGM_RSRC2:TGID_Z_EN: 0
; COMPUTE_PGM_RSRC2:TIDIG_COMP_CNT: 0
; COMPUTE_PGM_RSRC3_GFX90A:ACCUM_OFFSET: 0
; COMPUTE_PGM_RSRC3_GFX90A:TG_SPLIT: 0
	.section	.text._ZN7rocprim17ROCPRIM_400000_NS6detail17trampoline_kernelINS0_14default_configENS1_38merge_sort_block_merge_config_selectorIalEEZZNS1_27merge_sort_block_merge_implIS3_PaN6thrust23THRUST_200600_302600_NS10device_ptrIlEEjNS1_19radix_merge_compareILb0ELb1EaNS0_19identity_decomposerEEEEE10hipError_tT0_T1_T2_jT3_P12ihipStream_tbPNSt15iterator_traitsISG_E10value_typeEPNSM_ISH_E10value_typeEPSI_NS1_7vsmem_tEENKUlT_SG_SH_SI_E_clIS7_S7_PlSB_EESF_SV_SG_SH_SI_EUlSV_E0_NS1_11comp_targetILNS1_3genE2ELNS1_11target_archE906ELNS1_3gpuE6ELNS1_3repE0EEENS1_38merge_mergepath_config_static_selectorELNS0_4arch9wavefront6targetE1EEEvSH_,"axG",@progbits,_ZN7rocprim17ROCPRIM_400000_NS6detail17trampoline_kernelINS0_14default_configENS1_38merge_sort_block_merge_config_selectorIalEEZZNS1_27merge_sort_block_merge_implIS3_PaN6thrust23THRUST_200600_302600_NS10device_ptrIlEEjNS1_19radix_merge_compareILb0ELb1EaNS0_19identity_decomposerEEEEE10hipError_tT0_T1_T2_jT3_P12ihipStream_tbPNSt15iterator_traitsISG_E10value_typeEPNSM_ISH_E10value_typeEPSI_NS1_7vsmem_tEENKUlT_SG_SH_SI_E_clIS7_S7_PlSB_EESF_SV_SG_SH_SI_EUlSV_E0_NS1_11comp_targetILNS1_3genE2ELNS1_11target_archE906ELNS1_3gpuE6ELNS1_3repE0EEENS1_38merge_mergepath_config_static_selectorELNS0_4arch9wavefront6targetE1EEEvSH_,comdat
	.protected	_ZN7rocprim17ROCPRIM_400000_NS6detail17trampoline_kernelINS0_14default_configENS1_38merge_sort_block_merge_config_selectorIalEEZZNS1_27merge_sort_block_merge_implIS3_PaN6thrust23THRUST_200600_302600_NS10device_ptrIlEEjNS1_19radix_merge_compareILb0ELb1EaNS0_19identity_decomposerEEEEE10hipError_tT0_T1_T2_jT3_P12ihipStream_tbPNSt15iterator_traitsISG_E10value_typeEPNSM_ISH_E10value_typeEPSI_NS1_7vsmem_tEENKUlT_SG_SH_SI_E_clIS7_S7_PlSB_EESF_SV_SG_SH_SI_EUlSV_E0_NS1_11comp_targetILNS1_3genE2ELNS1_11target_archE906ELNS1_3gpuE6ELNS1_3repE0EEENS1_38merge_mergepath_config_static_selectorELNS0_4arch9wavefront6targetE1EEEvSH_ ; -- Begin function _ZN7rocprim17ROCPRIM_400000_NS6detail17trampoline_kernelINS0_14default_configENS1_38merge_sort_block_merge_config_selectorIalEEZZNS1_27merge_sort_block_merge_implIS3_PaN6thrust23THRUST_200600_302600_NS10device_ptrIlEEjNS1_19radix_merge_compareILb0ELb1EaNS0_19identity_decomposerEEEEE10hipError_tT0_T1_T2_jT3_P12ihipStream_tbPNSt15iterator_traitsISG_E10value_typeEPNSM_ISH_E10value_typeEPSI_NS1_7vsmem_tEENKUlT_SG_SH_SI_E_clIS7_S7_PlSB_EESF_SV_SG_SH_SI_EUlSV_E0_NS1_11comp_targetILNS1_3genE2ELNS1_11target_archE906ELNS1_3gpuE6ELNS1_3repE0EEENS1_38merge_mergepath_config_static_selectorELNS0_4arch9wavefront6targetE1EEEvSH_
	.globl	_ZN7rocprim17ROCPRIM_400000_NS6detail17trampoline_kernelINS0_14default_configENS1_38merge_sort_block_merge_config_selectorIalEEZZNS1_27merge_sort_block_merge_implIS3_PaN6thrust23THRUST_200600_302600_NS10device_ptrIlEEjNS1_19radix_merge_compareILb0ELb1EaNS0_19identity_decomposerEEEEE10hipError_tT0_T1_T2_jT3_P12ihipStream_tbPNSt15iterator_traitsISG_E10value_typeEPNSM_ISH_E10value_typeEPSI_NS1_7vsmem_tEENKUlT_SG_SH_SI_E_clIS7_S7_PlSB_EESF_SV_SG_SH_SI_EUlSV_E0_NS1_11comp_targetILNS1_3genE2ELNS1_11target_archE906ELNS1_3gpuE6ELNS1_3repE0EEENS1_38merge_mergepath_config_static_selectorELNS0_4arch9wavefront6targetE1EEEvSH_
	.p2align	8
	.type	_ZN7rocprim17ROCPRIM_400000_NS6detail17trampoline_kernelINS0_14default_configENS1_38merge_sort_block_merge_config_selectorIalEEZZNS1_27merge_sort_block_merge_implIS3_PaN6thrust23THRUST_200600_302600_NS10device_ptrIlEEjNS1_19radix_merge_compareILb0ELb1EaNS0_19identity_decomposerEEEEE10hipError_tT0_T1_T2_jT3_P12ihipStream_tbPNSt15iterator_traitsISG_E10value_typeEPNSM_ISH_E10value_typeEPSI_NS1_7vsmem_tEENKUlT_SG_SH_SI_E_clIS7_S7_PlSB_EESF_SV_SG_SH_SI_EUlSV_E0_NS1_11comp_targetILNS1_3genE2ELNS1_11target_archE906ELNS1_3gpuE6ELNS1_3repE0EEENS1_38merge_mergepath_config_static_selectorELNS0_4arch9wavefront6targetE1EEEvSH_,@function
_ZN7rocprim17ROCPRIM_400000_NS6detail17trampoline_kernelINS0_14default_configENS1_38merge_sort_block_merge_config_selectorIalEEZZNS1_27merge_sort_block_merge_implIS3_PaN6thrust23THRUST_200600_302600_NS10device_ptrIlEEjNS1_19radix_merge_compareILb0ELb1EaNS0_19identity_decomposerEEEEE10hipError_tT0_T1_T2_jT3_P12ihipStream_tbPNSt15iterator_traitsISG_E10value_typeEPNSM_ISH_E10value_typeEPSI_NS1_7vsmem_tEENKUlT_SG_SH_SI_E_clIS7_S7_PlSB_EESF_SV_SG_SH_SI_EUlSV_E0_NS1_11comp_targetILNS1_3genE2ELNS1_11target_archE906ELNS1_3gpuE6ELNS1_3repE0EEENS1_38merge_mergepath_config_static_selectorELNS0_4arch9wavefront6targetE1EEEvSH_: ; @_ZN7rocprim17ROCPRIM_400000_NS6detail17trampoline_kernelINS0_14default_configENS1_38merge_sort_block_merge_config_selectorIalEEZZNS1_27merge_sort_block_merge_implIS3_PaN6thrust23THRUST_200600_302600_NS10device_ptrIlEEjNS1_19radix_merge_compareILb0ELb1EaNS0_19identity_decomposerEEEEE10hipError_tT0_T1_T2_jT3_P12ihipStream_tbPNSt15iterator_traitsISG_E10value_typeEPNSM_ISH_E10value_typeEPSI_NS1_7vsmem_tEENKUlT_SG_SH_SI_E_clIS7_S7_PlSB_EESF_SV_SG_SH_SI_EUlSV_E0_NS1_11comp_targetILNS1_3genE2ELNS1_11target_archE906ELNS1_3gpuE6ELNS1_3repE0EEENS1_38merge_mergepath_config_static_selectorELNS0_4arch9wavefront6targetE1EEEvSH_
; %bb.0:
	.section	.rodata,"a",@progbits
	.p2align	6, 0x0
	.amdhsa_kernel _ZN7rocprim17ROCPRIM_400000_NS6detail17trampoline_kernelINS0_14default_configENS1_38merge_sort_block_merge_config_selectorIalEEZZNS1_27merge_sort_block_merge_implIS3_PaN6thrust23THRUST_200600_302600_NS10device_ptrIlEEjNS1_19radix_merge_compareILb0ELb1EaNS0_19identity_decomposerEEEEE10hipError_tT0_T1_T2_jT3_P12ihipStream_tbPNSt15iterator_traitsISG_E10value_typeEPNSM_ISH_E10value_typeEPSI_NS1_7vsmem_tEENKUlT_SG_SH_SI_E_clIS7_S7_PlSB_EESF_SV_SG_SH_SI_EUlSV_E0_NS1_11comp_targetILNS1_3genE2ELNS1_11target_archE906ELNS1_3gpuE6ELNS1_3repE0EEENS1_38merge_mergepath_config_static_selectorELNS0_4arch9wavefront6targetE1EEEvSH_
		.amdhsa_group_segment_fixed_size 0
		.amdhsa_private_segment_fixed_size 0
		.amdhsa_kernarg_size 64
		.amdhsa_user_sgpr_count 6
		.amdhsa_user_sgpr_private_segment_buffer 1
		.amdhsa_user_sgpr_dispatch_ptr 0
		.amdhsa_user_sgpr_queue_ptr 0
		.amdhsa_user_sgpr_kernarg_segment_ptr 1
		.amdhsa_user_sgpr_dispatch_id 0
		.amdhsa_user_sgpr_flat_scratch_init 0
		.amdhsa_user_sgpr_kernarg_preload_length 0
		.amdhsa_user_sgpr_kernarg_preload_offset 0
		.amdhsa_user_sgpr_private_segment_size 0
		.amdhsa_uses_dynamic_stack 0
		.amdhsa_system_sgpr_private_segment_wavefront_offset 0
		.amdhsa_system_sgpr_workgroup_id_x 1
		.amdhsa_system_sgpr_workgroup_id_y 0
		.amdhsa_system_sgpr_workgroup_id_z 0
		.amdhsa_system_sgpr_workgroup_info 0
		.amdhsa_system_vgpr_workitem_id 0
		.amdhsa_next_free_vgpr 1
		.amdhsa_next_free_sgpr 0
		.amdhsa_accum_offset 4
		.amdhsa_reserve_vcc 0
		.amdhsa_reserve_flat_scratch 0
		.amdhsa_float_round_mode_32 0
		.amdhsa_float_round_mode_16_64 0
		.amdhsa_float_denorm_mode_32 3
		.amdhsa_float_denorm_mode_16_64 3
		.amdhsa_dx10_clamp 1
		.amdhsa_ieee_mode 1
		.amdhsa_fp16_overflow 0
		.amdhsa_tg_split 0
		.amdhsa_exception_fp_ieee_invalid_op 0
		.amdhsa_exception_fp_denorm_src 0
		.amdhsa_exception_fp_ieee_div_zero 0
		.amdhsa_exception_fp_ieee_overflow 0
		.amdhsa_exception_fp_ieee_underflow 0
		.amdhsa_exception_fp_ieee_inexact 0
		.amdhsa_exception_int_div_zero 0
	.end_amdhsa_kernel
	.section	.text._ZN7rocprim17ROCPRIM_400000_NS6detail17trampoline_kernelINS0_14default_configENS1_38merge_sort_block_merge_config_selectorIalEEZZNS1_27merge_sort_block_merge_implIS3_PaN6thrust23THRUST_200600_302600_NS10device_ptrIlEEjNS1_19radix_merge_compareILb0ELb1EaNS0_19identity_decomposerEEEEE10hipError_tT0_T1_T2_jT3_P12ihipStream_tbPNSt15iterator_traitsISG_E10value_typeEPNSM_ISH_E10value_typeEPSI_NS1_7vsmem_tEENKUlT_SG_SH_SI_E_clIS7_S7_PlSB_EESF_SV_SG_SH_SI_EUlSV_E0_NS1_11comp_targetILNS1_3genE2ELNS1_11target_archE906ELNS1_3gpuE6ELNS1_3repE0EEENS1_38merge_mergepath_config_static_selectorELNS0_4arch9wavefront6targetE1EEEvSH_,"axG",@progbits,_ZN7rocprim17ROCPRIM_400000_NS6detail17trampoline_kernelINS0_14default_configENS1_38merge_sort_block_merge_config_selectorIalEEZZNS1_27merge_sort_block_merge_implIS3_PaN6thrust23THRUST_200600_302600_NS10device_ptrIlEEjNS1_19radix_merge_compareILb0ELb1EaNS0_19identity_decomposerEEEEE10hipError_tT0_T1_T2_jT3_P12ihipStream_tbPNSt15iterator_traitsISG_E10value_typeEPNSM_ISH_E10value_typeEPSI_NS1_7vsmem_tEENKUlT_SG_SH_SI_E_clIS7_S7_PlSB_EESF_SV_SG_SH_SI_EUlSV_E0_NS1_11comp_targetILNS1_3genE2ELNS1_11target_archE906ELNS1_3gpuE6ELNS1_3repE0EEENS1_38merge_mergepath_config_static_selectorELNS0_4arch9wavefront6targetE1EEEvSH_,comdat
.Lfunc_end547:
	.size	_ZN7rocprim17ROCPRIM_400000_NS6detail17trampoline_kernelINS0_14default_configENS1_38merge_sort_block_merge_config_selectorIalEEZZNS1_27merge_sort_block_merge_implIS3_PaN6thrust23THRUST_200600_302600_NS10device_ptrIlEEjNS1_19radix_merge_compareILb0ELb1EaNS0_19identity_decomposerEEEEE10hipError_tT0_T1_T2_jT3_P12ihipStream_tbPNSt15iterator_traitsISG_E10value_typeEPNSM_ISH_E10value_typeEPSI_NS1_7vsmem_tEENKUlT_SG_SH_SI_E_clIS7_S7_PlSB_EESF_SV_SG_SH_SI_EUlSV_E0_NS1_11comp_targetILNS1_3genE2ELNS1_11target_archE906ELNS1_3gpuE6ELNS1_3repE0EEENS1_38merge_mergepath_config_static_selectorELNS0_4arch9wavefront6targetE1EEEvSH_, .Lfunc_end547-_ZN7rocprim17ROCPRIM_400000_NS6detail17trampoline_kernelINS0_14default_configENS1_38merge_sort_block_merge_config_selectorIalEEZZNS1_27merge_sort_block_merge_implIS3_PaN6thrust23THRUST_200600_302600_NS10device_ptrIlEEjNS1_19radix_merge_compareILb0ELb1EaNS0_19identity_decomposerEEEEE10hipError_tT0_T1_T2_jT3_P12ihipStream_tbPNSt15iterator_traitsISG_E10value_typeEPNSM_ISH_E10value_typeEPSI_NS1_7vsmem_tEENKUlT_SG_SH_SI_E_clIS7_S7_PlSB_EESF_SV_SG_SH_SI_EUlSV_E0_NS1_11comp_targetILNS1_3genE2ELNS1_11target_archE906ELNS1_3gpuE6ELNS1_3repE0EEENS1_38merge_mergepath_config_static_selectorELNS0_4arch9wavefront6targetE1EEEvSH_
                                        ; -- End function
	.section	.AMDGPU.csdata,"",@progbits
; Kernel info:
; codeLenInByte = 0
; NumSgprs: 4
; NumVgprs: 0
; NumAgprs: 0
; TotalNumVgprs: 0
; ScratchSize: 0
; MemoryBound: 0
; FloatMode: 240
; IeeeMode: 1
; LDSByteSize: 0 bytes/workgroup (compile time only)
; SGPRBlocks: 0
; VGPRBlocks: 0
; NumSGPRsForWavesPerEU: 4
; NumVGPRsForWavesPerEU: 1
; AccumOffset: 4
; Occupancy: 8
; WaveLimiterHint : 0
; COMPUTE_PGM_RSRC2:SCRATCH_EN: 0
; COMPUTE_PGM_RSRC2:USER_SGPR: 6
; COMPUTE_PGM_RSRC2:TRAP_HANDLER: 0
; COMPUTE_PGM_RSRC2:TGID_X_EN: 1
; COMPUTE_PGM_RSRC2:TGID_Y_EN: 0
; COMPUTE_PGM_RSRC2:TGID_Z_EN: 0
; COMPUTE_PGM_RSRC2:TIDIG_COMP_CNT: 0
; COMPUTE_PGM_RSRC3_GFX90A:ACCUM_OFFSET: 0
; COMPUTE_PGM_RSRC3_GFX90A:TG_SPLIT: 0
	.section	.text._ZN7rocprim17ROCPRIM_400000_NS6detail17trampoline_kernelINS0_14default_configENS1_38merge_sort_block_merge_config_selectorIalEEZZNS1_27merge_sort_block_merge_implIS3_PaN6thrust23THRUST_200600_302600_NS10device_ptrIlEEjNS1_19radix_merge_compareILb0ELb1EaNS0_19identity_decomposerEEEEE10hipError_tT0_T1_T2_jT3_P12ihipStream_tbPNSt15iterator_traitsISG_E10value_typeEPNSM_ISH_E10value_typeEPSI_NS1_7vsmem_tEENKUlT_SG_SH_SI_E_clIS7_S7_PlSB_EESF_SV_SG_SH_SI_EUlSV_E0_NS1_11comp_targetILNS1_3genE9ELNS1_11target_archE1100ELNS1_3gpuE3ELNS1_3repE0EEENS1_38merge_mergepath_config_static_selectorELNS0_4arch9wavefront6targetE1EEEvSH_,"axG",@progbits,_ZN7rocprim17ROCPRIM_400000_NS6detail17trampoline_kernelINS0_14default_configENS1_38merge_sort_block_merge_config_selectorIalEEZZNS1_27merge_sort_block_merge_implIS3_PaN6thrust23THRUST_200600_302600_NS10device_ptrIlEEjNS1_19radix_merge_compareILb0ELb1EaNS0_19identity_decomposerEEEEE10hipError_tT0_T1_T2_jT3_P12ihipStream_tbPNSt15iterator_traitsISG_E10value_typeEPNSM_ISH_E10value_typeEPSI_NS1_7vsmem_tEENKUlT_SG_SH_SI_E_clIS7_S7_PlSB_EESF_SV_SG_SH_SI_EUlSV_E0_NS1_11comp_targetILNS1_3genE9ELNS1_11target_archE1100ELNS1_3gpuE3ELNS1_3repE0EEENS1_38merge_mergepath_config_static_selectorELNS0_4arch9wavefront6targetE1EEEvSH_,comdat
	.protected	_ZN7rocprim17ROCPRIM_400000_NS6detail17trampoline_kernelINS0_14default_configENS1_38merge_sort_block_merge_config_selectorIalEEZZNS1_27merge_sort_block_merge_implIS3_PaN6thrust23THRUST_200600_302600_NS10device_ptrIlEEjNS1_19radix_merge_compareILb0ELb1EaNS0_19identity_decomposerEEEEE10hipError_tT0_T1_T2_jT3_P12ihipStream_tbPNSt15iterator_traitsISG_E10value_typeEPNSM_ISH_E10value_typeEPSI_NS1_7vsmem_tEENKUlT_SG_SH_SI_E_clIS7_S7_PlSB_EESF_SV_SG_SH_SI_EUlSV_E0_NS1_11comp_targetILNS1_3genE9ELNS1_11target_archE1100ELNS1_3gpuE3ELNS1_3repE0EEENS1_38merge_mergepath_config_static_selectorELNS0_4arch9wavefront6targetE1EEEvSH_ ; -- Begin function _ZN7rocprim17ROCPRIM_400000_NS6detail17trampoline_kernelINS0_14default_configENS1_38merge_sort_block_merge_config_selectorIalEEZZNS1_27merge_sort_block_merge_implIS3_PaN6thrust23THRUST_200600_302600_NS10device_ptrIlEEjNS1_19radix_merge_compareILb0ELb1EaNS0_19identity_decomposerEEEEE10hipError_tT0_T1_T2_jT3_P12ihipStream_tbPNSt15iterator_traitsISG_E10value_typeEPNSM_ISH_E10value_typeEPSI_NS1_7vsmem_tEENKUlT_SG_SH_SI_E_clIS7_S7_PlSB_EESF_SV_SG_SH_SI_EUlSV_E0_NS1_11comp_targetILNS1_3genE9ELNS1_11target_archE1100ELNS1_3gpuE3ELNS1_3repE0EEENS1_38merge_mergepath_config_static_selectorELNS0_4arch9wavefront6targetE1EEEvSH_
	.globl	_ZN7rocprim17ROCPRIM_400000_NS6detail17trampoline_kernelINS0_14default_configENS1_38merge_sort_block_merge_config_selectorIalEEZZNS1_27merge_sort_block_merge_implIS3_PaN6thrust23THRUST_200600_302600_NS10device_ptrIlEEjNS1_19radix_merge_compareILb0ELb1EaNS0_19identity_decomposerEEEEE10hipError_tT0_T1_T2_jT3_P12ihipStream_tbPNSt15iterator_traitsISG_E10value_typeEPNSM_ISH_E10value_typeEPSI_NS1_7vsmem_tEENKUlT_SG_SH_SI_E_clIS7_S7_PlSB_EESF_SV_SG_SH_SI_EUlSV_E0_NS1_11comp_targetILNS1_3genE9ELNS1_11target_archE1100ELNS1_3gpuE3ELNS1_3repE0EEENS1_38merge_mergepath_config_static_selectorELNS0_4arch9wavefront6targetE1EEEvSH_
	.p2align	8
	.type	_ZN7rocprim17ROCPRIM_400000_NS6detail17trampoline_kernelINS0_14default_configENS1_38merge_sort_block_merge_config_selectorIalEEZZNS1_27merge_sort_block_merge_implIS3_PaN6thrust23THRUST_200600_302600_NS10device_ptrIlEEjNS1_19radix_merge_compareILb0ELb1EaNS0_19identity_decomposerEEEEE10hipError_tT0_T1_T2_jT3_P12ihipStream_tbPNSt15iterator_traitsISG_E10value_typeEPNSM_ISH_E10value_typeEPSI_NS1_7vsmem_tEENKUlT_SG_SH_SI_E_clIS7_S7_PlSB_EESF_SV_SG_SH_SI_EUlSV_E0_NS1_11comp_targetILNS1_3genE9ELNS1_11target_archE1100ELNS1_3gpuE3ELNS1_3repE0EEENS1_38merge_mergepath_config_static_selectorELNS0_4arch9wavefront6targetE1EEEvSH_,@function
_ZN7rocprim17ROCPRIM_400000_NS6detail17trampoline_kernelINS0_14default_configENS1_38merge_sort_block_merge_config_selectorIalEEZZNS1_27merge_sort_block_merge_implIS3_PaN6thrust23THRUST_200600_302600_NS10device_ptrIlEEjNS1_19radix_merge_compareILb0ELb1EaNS0_19identity_decomposerEEEEE10hipError_tT0_T1_T2_jT3_P12ihipStream_tbPNSt15iterator_traitsISG_E10value_typeEPNSM_ISH_E10value_typeEPSI_NS1_7vsmem_tEENKUlT_SG_SH_SI_E_clIS7_S7_PlSB_EESF_SV_SG_SH_SI_EUlSV_E0_NS1_11comp_targetILNS1_3genE9ELNS1_11target_archE1100ELNS1_3gpuE3ELNS1_3repE0EEENS1_38merge_mergepath_config_static_selectorELNS0_4arch9wavefront6targetE1EEEvSH_: ; @_ZN7rocprim17ROCPRIM_400000_NS6detail17trampoline_kernelINS0_14default_configENS1_38merge_sort_block_merge_config_selectorIalEEZZNS1_27merge_sort_block_merge_implIS3_PaN6thrust23THRUST_200600_302600_NS10device_ptrIlEEjNS1_19radix_merge_compareILb0ELb1EaNS0_19identity_decomposerEEEEE10hipError_tT0_T1_T2_jT3_P12ihipStream_tbPNSt15iterator_traitsISG_E10value_typeEPNSM_ISH_E10value_typeEPSI_NS1_7vsmem_tEENKUlT_SG_SH_SI_E_clIS7_S7_PlSB_EESF_SV_SG_SH_SI_EUlSV_E0_NS1_11comp_targetILNS1_3genE9ELNS1_11target_archE1100ELNS1_3gpuE3ELNS1_3repE0EEENS1_38merge_mergepath_config_static_selectorELNS0_4arch9wavefront6targetE1EEEvSH_
; %bb.0:
	.section	.rodata,"a",@progbits
	.p2align	6, 0x0
	.amdhsa_kernel _ZN7rocprim17ROCPRIM_400000_NS6detail17trampoline_kernelINS0_14default_configENS1_38merge_sort_block_merge_config_selectorIalEEZZNS1_27merge_sort_block_merge_implIS3_PaN6thrust23THRUST_200600_302600_NS10device_ptrIlEEjNS1_19radix_merge_compareILb0ELb1EaNS0_19identity_decomposerEEEEE10hipError_tT0_T1_T2_jT3_P12ihipStream_tbPNSt15iterator_traitsISG_E10value_typeEPNSM_ISH_E10value_typeEPSI_NS1_7vsmem_tEENKUlT_SG_SH_SI_E_clIS7_S7_PlSB_EESF_SV_SG_SH_SI_EUlSV_E0_NS1_11comp_targetILNS1_3genE9ELNS1_11target_archE1100ELNS1_3gpuE3ELNS1_3repE0EEENS1_38merge_mergepath_config_static_selectorELNS0_4arch9wavefront6targetE1EEEvSH_
		.amdhsa_group_segment_fixed_size 0
		.amdhsa_private_segment_fixed_size 0
		.amdhsa_kernarg_size 64
		.amdhsa_user_sgpr_count 6
		.amdhsa_user_sgpr_private_segment_buffer 1
		.amdhsa_user_sgpr_dispatch_ptr 0
		.amdhsa_user_sgpr_queue_ptr 0
		.amdhsa_user_sgpr_kernarg_segment_ptr 1
		.amdhsa_user_sgpr_dispatch_id 0
		.amdhsa_user_sgpr_flat_scratch_init 0
		.amdhsa_user_sgpr_kernarg_preload_length 0
		.amdhsa_user_sgpr_kernarg_preload_offset 0
		.amdhsa_user_sgpr_private_segment_size 0
		.amdhsa_uses_dynamic_stack 0
		.amdhsa_system_sgpr_private_segment_wavefront_offset 0
		.amdhsa_system_sgpr_workgroup_id_x 1
		.amdhsa_system_sgpr_workgroup_id_y 0
		.amdhsa_system_sgpr_workgroup_id_z 0
		.amdhsa_system_sgpr_workgroup_info 0
		.amdhsa_system_vgpr_workitem_id 0
		.amdhsa_next_free_vgpr 1
		.amdhsa_next_free_sgpr 0
		.amdhsa_accum_offset 4
		.amdhsa_reserve_vcc 0
		.amdhsa_reserve_flat_scratch 0
		.amdhsa_float_round_mode_32 0
		.amdhsa_float_round_mode_16_64 0
		.amdhsa_float_denorm_mode_32 3
		.amdhsa_float_denorm_mode_16_64 3
		.amdhsa_dx10_clamp 1
		.amdhsa_ieee_mode 1
		.amdhsa_fp16_overflow 0
		.amdhsa_tg_split 0
		.amdhsa_exception_fp_ieee_invalid_op 0
		.amdhsa_exception_fp_denorm_src 0
		.amdhsa_exception_fp_ieee_div_zero 0
		.amdhsa_exception_fp_ieee_overflow 0
		.amdhsa_exception_fp_ieee_underflow 0
		.amdhsa_exception_fp_ieee_inexact 0
		.amdhsa_exception_int_div_zero 0
	.end_amdhsa_kernel
	.section	.text._ZN7rocprim17ROCPRIM_400000_NS6detail17trampoline_kernelINS0_14default_configENS1_38merge_sort_block_merge_config_selectorIalEEZZNS1_27merge_sort_block_merge_implIS3_PaN6thrust23THRUST_200600_302600_NS10device_ptrIlEEjNS1_19radix_merge_compareILb0ELb1EaNS0_19identity_decomposerEEEEE10hipError_tT0_T1_T2_jT3_P12ihipStream_tbPNSt15iterator_traitsISG_E10value_typeEPNSM_ISH_E10value_typeEPSI_NS1_7vsmem_tEENKUlT_SG_SH_SI_E_clIS7_S7_PlSB_EESF_SV_SG_SH_SI_EUlSV_E0_NS1_11comp_targetILNS1_3genE9ELNS1_11target_archE1100ELNS1_3gpuE3ELNS1_3repE0EEENS1_38merge_mergepath_config_static_selectorELNS0_4arch9wavefront6targetE1EEEvSH_,"axG",@progbits,_ZN7rocprim17ROCPRIM_400000_NS6detail17trampoline_kernelINS0_14default_configENS1_38merge_sort_block_merge_config_selectorIalEEZZNS1_27merge_sort_block_merge_implIS3_PaN6thrust23THRUST_200600_302600_NS10device_ptrIlEEjNS1_19radix_merge_compareILb0ELb1EaNS0_19identity_decomposerEEEEE10hipError_tT0_T1_T2_jT3_P12ihipStream_tbPNSt15iterator_traitsISG_E10value_typeEPNSM_ISH_E10value_typeEPSI_NS1_7vsmem_tEENKUlT_SG_SH_SI_E_clIS7_S7_PlSB_EESF_SV_SG_SH_SI_EUlSV_E0_NS1_11comp_targetILNS1_3genE9ELNS1_11target_archE1100ELNS1_3gpuE3ELNS1_3repE0EEENS1_38merge_mergepath_config_static_selectorELNS0_4arch9wavefront6targetE1EEEvSH_,comdat
.Lfunc_end548:
	.size	_ZN7rocprim17ROCPRIM_400000_NS6detail17trampoline_kernelINS0_14default_configENS1_38merge_sort_block_merge_config_selectorIalEEZZNS1_27merge_sort_block_merge_implIS3_PaN6thrust23THRUST_200600_302600_NS10device_ptrIlEEjNS1_19radix_merge_compareILb0ELb1EaNS0_19identity_decomposerEEEEE10hipError_tT0_T1_T2_jT3_P12ihipStream_tbPNSt15iterator_traitsISG_E10value_typeEPNSM_ISH_E10value_typeEPSI_NS1_7vsmem_tEENKUlT_SG_SH_SI_E_clIS7_S7_PlSB_EESF_SV_SG_SH_SI_EUlSV_E0_NS1_11comp_targetILNS1_3genE9ELNS1_11target_archE1100ELNS1_3gpuE3ELNS1_3repE0EEENS1_38merge_mergepath_config_static_selectorELNS0_4arch9wavefront6targetE1EEEvSH_, .Lfunc_end548-_ZN7rocprim17ROCPRIM_400000_NS6detail17trampoline_kernelINS0_14default_configENS1_38merge_sort_block_merge_config_selectorIalEEZZNS1_27merge_sort_block_merge_implIS3_PaN6thrust23THRUST_200600_302600_NS10device_ptrIlEEjNS1_19radix_merge_compareILb0ELb1EaNS0_19identity_decomposerEEEEE10hipError_tT0_T1_T2_jT3_P12ihipStream_tbPNSt15iterator_traitsISG_E10value_typeEPNSM_ISH_E10value_typeEPSI_NS1_7vsmem_tEENKUlT_SG_SH_SI_E_clIS7_S7_PlSB_EESF_SV_SG_SH_SI_EUlSV_E0_NS1_11comp_targetILNS1_3genE9ELNS1_11target_archE1100ELNS1_3gpuE3ELNS1_3repE0EEENS1_38merge_mergepath_config_static_selectorELNS0_4arch9wavefront6targetE1EEEvSH_
                                        ; -- End function
	.section	.AMDGPU.csdata,"",@progbits
; Kernel info:
; codeLenInByte = 0
; NumSgprs: 4
; NumVgprs: 0
; NumAgprs: 0
; TotalNumVgprs: 0
; ScratchSize: 0
; MemoryBound: 0
; FloatMode: 240
; IeeeMode: 1
; LDSByteSize: 0 bytes/workgroup (compile time only)
; SGPRBlocks: 0
; VGPRBlocks: 0
; NumSGPRsForWavesPerEU: 4
; NumVGPRsForWavesPerEU: 1
; AccumOffset: 4
; Occupancy: 8
; WaveLimiterHint : 0
; COMPUTE_PGM_RSRC2:SCRATCH_EN: 0
; COMPUTE_PGM_RSRC2:USER_SGPR: 6
; COMPUTE_PGM_RSRC2:TRAP_HANDLER: 0
; COMPUTE_PGM_RSRC2:TGID_X_EN: 1
; COMPUTE_PGM_RSRC2:TGID_Y_EN: 0
; COMPUTE_PGM_RSRC2:TGID_Z_EN: 0
; COMPUTE_PGM_RSRC2:TIDIG_COMP_CNT: 0
; COMPUTE_PGM_RSRC3_GFX90A:ACCUM_OFFSET: 0
; COMPUTE_PGM_RSRC3_GFX90A:TG_SPLIT: 0
	.section	.text._ZN7rocprim17ROCPRIM_400000_NS6detail17trampoline_kernelINS0_14default_configENS1_38merge_sort_block_merge_config_selectorIalEEZZNS1_27merge_sort_block_merge_implIS3_PaN6thrust23THRUST_200600_302600_NS10device_ptrIlEEjNS1_19radix_merge_compareILb0ELb1EaNS0_19identity_decomposerEEEEE10hipError_tT0_T1_T2_jT3_P12ihipStream_tbPNSt15iterator_traitsISG_E10value_typeEPNSM_ISH_E10value_typeEPSI_NS1_7vsmem_tEENKUlT_SG_SH_SI_E_clIS7_S7_PlSB_EESF_SV_SG_SH_SI_EUlSV_E0_NS1_11comp_targetILNS1_3genE8ELNS1_11target_archE1030ELNS1_3gpuE2ELNS1_3repE0EEENS1_38merge_mergepath_config_static_selectorELNS0_4arch9wavefront6targetE1EEEvSH_,"axG",@progbits,_ZN7rocprim17ROCPRIM_400000_NS6detail17trampoline_kernelINS0_14default_configENS1_38merge_sort_block_merge_config_selectorIalEEZZNS1_27merge_sort_block_merge_implIS3_PaN6thrust23THRUST_200600_302600_NS10device_ptrIlEEjNS1_19radix_merge_compareILb0ELb1EaNS0_19identity_decomposerEEEEE10hipError_tT0_T1_T2_jT3_P12ihipStream_tbPNSt15iterator_traitsISG_E10value_typeEPNSM_ISH_E10value_typeEPSI_NS1_7vsmem_tEENKUlT_SG_SH_SI_E_clIS7_S7_PlSB_EESF_SV_SG_SH_SI_EUlSV_E0_NS1_11comp_targetILNS1_3genE8ELNS1_11target_archE1030ELNS1_3gpuE2ELNS1_3repE0EEENS1_38merge_mergepath_config_static_selectorELNS0_4arch9wavefront6targetE1EEEvSH_,comdat
	.protected	_ZN7rocprim17ROCPRIM_400000_NS6detail17trampoline_kernelINS0_14default_configENS1_38merge_sort_block_merge_config_selectorIalEEZZNS1_27merge_sort_block_merge_implIS3_PaN6thrust23THRUST_200600_302600_NS10device_ptrIlEEjNS1_19radix_merge_compareILb0ELb1EaNS0_19identity_decomposerEEEEE10hipError_tT0_T1_T2_jT3_P12ihipStream_tbPNSt15iterator_traitsISG_E10value_typeEPNSM_ISH_E10value_typeEPSI_NS1_7vsmem_tEENKUlT_SG_SH_SI_E_clIS7_S7_PlSB_EESF_SV_SG_SH_SI_EUlSV_E0_NS1_11comp_targetILNS1_3genE8ELNS1_11target_archE1030ELNS1_3gpuE2ELNS1_3repE0EEENS1_38merge_mergepath_config_static_selectorELNS0_4arch9wavefront6targetE1EEEvSH_ ; -- Begin function _ZN7rocprim17ROCPRIM_400000_NS6detail17trampoline_kernelINS0_14default_configENS1_38merge_sort_block_merge_config_selectorIalEEZZNS1_27merge_sort_block_merge_implIS3_PaN6thrust23THRUST_200600_302600_NS10device_ptrIlEEjNS1_19radix_merge_compareILb0ELb1EaNS0_19identity_decomposerEEEEE10hipError_tT0_T1_T2_jT3_P12ihipStream_tbPNSt15iterator_traitsISG_E10value_typeEPNSM_ISH_E10value_typeEPSI_NS1_7vsmem_tEENKUlT_SG_SH_SI_E_clIS7_S7_PlSB_EESF_SV_SG_SH_SI_EUlSV_E0_NS1_11comp_targetILNS1_3genE8ELNS1_11target_archE1030ELNS1_3gpuE2ELNS1_3repE0EEENS1_38merge_mergepath_config_static_selectorELNS0_4arch9wavefront6targetE1EEEvSH_
	.globl	_ZN7rocprim17ROCPRIM_400000_NS6detail17trampoline_kernelINS0_14default_configENS1_38merge_sort_block_merge_config_selectorIalEEZZNS1_27merge_sort_block_merge_implIS3_PaN6thrust23THRUST_200600_302600_NS10device_ptrIlEEjNS1_19radix_merge_compareILb0ELb1EaNS0_19identity_decomposerEEEEE10hipError_tT0_T1_T2_jT3_P12ihipStream_tbPNSt15iterator_traitsISG_E10value_typeEPNSM_ISH_E10value_typeEPSI_NS1_7vsmem_tEENKUlT_SG_SH_SI_E_clIS7_S7_PlSB_EESF_SV_SG_SH_SI_EUlSV_E0_NS1_11comp_targetILNS1_3genE8ELNS1_11target_archE1030ELNS1_3gpuE2ELNS1_3repE0EEENS1_38merge_mergepath_config_static_selectorELNS0_4arch9wavefront6targetE1EEEvSH_
	.p2align	8
	.type	_ZN7rocprim17ROCPRIM_400000_NS6detail17trampoline_kernelINS0_14default_configENS1_38merge_sort_block_merge_config_selectorIalEEZZNS1_27merge_sort_block_merge_implIS3_PaN6thrust23THRUST_200600_302600_NS10device_ptrIlEEjNS1_19radix_merge_compareILb0ELb1EaNS0_19identity_decomposerEEEEE10hipError_tT0_T1_T2_jT3_P12ihipStream_tbPNSt15iterator_traitsISG_E10value_typeEPNSM_ISH_E10value_typeEPSI_NS1_7vsmem_tEENKUlT_SG_SH_SI_E_clIS7_S7_PlSB_EESF_SV_SG_SH_SI_EUlSV_E0_NS1_11comp_targetILNS1_3genE8ELNS1_11target_archE1030ELNS1_3gpuE2ELNS1_3repE0EEENS1_38merge_mergepath_config_static_selectorELNS0_4arch9wavefront6targetE1EEEvSH_,@function
_ZN7rocprim17ROCPRIM_400000_NS6detail17trampoline_kernelINS0_14default_configENS1_38merge_sort_block_merge_config_selectorIalEEZZNS1_27merge_sort_block_merge_implIS3_PaN6thrust23THRUST_200600_302600_NS10device_ptrIlEEjNS1_19radix_merge_compareILb0ELb1EaNS0_19identity_decomposerEEEEE10hipError_tT0_T1_T2_jT3_P12ihipStream_tbPNSt15iterator_traitsISG_E10value_typeEPNSM_ISH_E10value_typeEPSI_NS1_7vsmem_tEENKUlT_SG_SH_SI_E_clIS7_S7_PlSB_EESF_SV_SG_SH_SI_EUlSV_E0_NS1_11comp_targetILNS1_3genE8ELNS1_11target_archE1030ELNS1_3gpuE2ELNS1_3repE0EEENS1_38merge_mergepath_config_static_selectorELNS0_4arch9wavefront6targetE1EEEvSH_: ; @_ZN7rocprim17ROCPRIM_400000_NS6detail17trampoline_kernelINS0_14default_configENS1_38merge_sort_block_merge_config_selectorIalEEZZNS1_27merge_sort_block_merge_implIS3_PaN6thrust23THRUST_200600_302600_NS10device_ptrIlEEjNS1_19radix_merge_compareILb0ELb1EaNS0_19identity_decomposerEEEEE10hipError_tT0_T1_T2_jT3_P12ihipStream_tbPNSt15iterator_traitsISG_E10value_typeEPNSM_ISH_E10value_typeEPSI_NS1_7vsmem_tEENKUlT_SG_SH_SI_E_clIS7_S7_PlSB_EESF_SV_SG_SH_SI_EUlSV_E0_NS1_11comp_targetILNS1_3genE8ELNS1_11target_archE1030ELNS1_3gpuE2ELNS1_3repE0EEENS1_38merge_mergepath_config_static_selectorELNS0_4arch9wavefront6targetE1EEEvSH_
; %bb.0:
	.section	.rodata,"a",@progbits
	.p2align	6, 0x0
	.amdhsa_kernel _ZN7rocprim17ROCPRIM_400000_NS6detail17trampoline_kernelINS0_14default_configENS1_38merge_sort_block_merge_config_selectorIalEEZZNS1_27merge_sort_block_merge_implIS3_PaN6thrust23THRUST_200600_302600_NS10device_ptrIlEEjNS1_19radix_merge_compareILb0ELb1EaNS0_19identity_decomposerEEEEE10hipError_tT0_T1_T2_jT3_P12ihipStream_tbPNSt15iterator_traitsISG_E10value_typeEPNSM_ISH_E10value_typeEPSI_NS1_7vsmem_tEENKUlT_SG_SH_SI_E_clIS7_S7_PlSB_EESF_SV_SG_SH_SI_EUlSV_E0_NS1_11comp_targetILNS1_3genE8ELNS1_11target_archE1030ELNS1_3gpuE2ELNS1_3repE0EEENS1_38merge_mergepath_config_static_selectorELNS0_4arch9wavefront6targetE1EEEvSH_
		.amdhsa_group_segment_fixed_size 0
		.amdhsa_private_segment_fixed_size 0
		.amdhsa_kernarg_size 64
		.amdhsa_user_sgpr_count 6
		.amdhsa_user_sgpr_private_segment_buffer 1
		.amdhsa_user_sgpr_dispatch_ptr 0
		.amdhsa_user_sgpr_queue_ptr 0
		.amdhsa_user_sgpr_kernarg_segment_ptr 1
		.amdhsa_user_sgpr_dispatch_id 0
		.amdhsa_user_sgpr_flat_scratch_init 0
		.amdhsa_user_sgpr_kernarg_preload_length 0
		.amdhsa_user_sgpr_kernarg_preload_offset 0
		.amdhsa_user_sgpr_private_segment_size 0
		.amdhsa_uses_dynamic_stack 0
		.amdhsa_system_sgpr_private_segment_wavefront_offset 0
		.amdhsa_system_sgpr_workgroup_id_x 1
		.amdhsa_system_sgpr_workgroup_id_y 0
		.amdhsa_system_sgpr_workgroup_id_z 0
		.amdhsa_system_sgpr_workgroup_info 0
		.amdhsa_system_vgpr_workitem_id 0
		.amdhsa_next_free_vgpr 1
		.amdhsa_next_free_sgpr 0
		.amdhsa_accum_offset 4
		.amdhsa_reserve_vcc 0
		.amdhsa_reserve_flat_scratch 0
		.amdhsa_float_round_mode_32 0
		.amdhsa_float_round_mode_16_64 0
		.amdhsa_float_denorm_mode_32 3
		.amdhsa_float_denorm_mode_16_64 3
		.amdhsa_dx10_clamp 1
		.amdhsa_ieee_mode 1
		.amdhsa_fp16_overflow 0
		.amdhsa_tg_split 0
		.amdhsa_exception_fp_ieee_invalid_op 0
		.amdhsa_exception_fp_denorm_src 0
		.amdhsa_exception_fp_ieee_div_zero 0
		.amdhsa_exception_fp_ieee_overflow 0
		.amdhsa_exception_fp_ieee_underflow 0
		.amdhsa_exception_fp_ieee_inexact 0
		.amdhsa_exception_int_div_zero 0
	.end_amdhsa_kernel
	.section	.text._ZN7rocprim17ROCPRIM_400000_NS6detail17trampoline_kernelINS0_14default_configENS1_38merge_sort_block_merge_config_selectorIalEEZZNS1_27merge_sort_block_merge_implIS3_PaN6thrust23THRUST_200600_302600_NS10device_ptrIlEEjNS1_19radix_merge_compareILb0ELb1EaNS0_19identity_decomposerEEEEE10hipError_tT0_T1_T2_jT3_P12ihipStream_tbPNSt15iterator_traitsISG_E10value_typeEPNSM_ISH_E10value_typeEPSI_NS1_7vsmem_tEENKUlT_SG_SH_SI_E_clIS7_S7_PlSB_EESF_SV_SG_SH_SI_EUlSV_E0_NS1_11comp_targetILNS1_3genE8ELNS1_11target_archE1030ELNS1_3gpuE2ELNS1_3repE0EEENS1_38merge_mergepath_config_static_selectorELNS0_4arch9wavefront6targetE1EEEvSH_,"axG",@progbits,_ZN7rocprim17ROCPRIM_400000_NS6detail17trampoline_kernelINS0_14default_configENS1_38merge_sort_block_merge_config_selectorIalEEZZNS1_27merge_sort_block_merge_implIS3_PaN6thrust23THRUST_200600_302600_NS10device_ptrIlEEjNS1_19radix_merge_compareILb0ELb1EaNS0_19identity_decomposerEEEEE10hipError_tT0_T1_T2_jT3_P12ihipStream_tbPNSt15iterator_traitsISG_E10value_typeEPNSM_ISH_E10value_typeEPSI_NS1_7vsmem_tEENKUlT_SG_SH_SI_E_clIS7_S7_PlSB_EESF_SV_SG_SH_SI_EUlSV_E0_NS1_11comp_targetILNS1_3genE8ELNS1_11target_archE1030ELNS1_3gpuE2ELNS1_3repE0EEENS1_38merge_mergepath_config_static_selectorELNS0_4arch9wavefront6targetE1EEEvSH_,comdat
.Lfunc_end549:
	.size	_ZN7rocprim17ROCPRIM_400000_NS6detail17trampoline_kernelINS0_14default_configENS1_38merge_sort_block_merge_config_selectorIalEEZZNS1_27merge_sort_block_merge_implIS3_PaN6thrust23THRUST_200600_302600_NS10device_ptrIlEEjNS1_19radix_merge_compareILb0ELb1EaNS0_19identity_decomposerEEEEE10hipError_tT0_T1_T2_jT3_P12ihipStream_tbPNSt15iterator_traitsISG_E10value_typeEPNSM_ISH_E10value_typeEPSI_NS1_7vsmem_tEENKUlT_SG_SH_SI_E_clIS7_S7_PlSB_EESF_SV_SG_SH_SI_EUlSV_E0_NS1_11comp_targetILNS1_3genE8ELNS1_11target_archE1030ELNS1_3gpuE2ELNS1_3repE0EEENS1_38merge_mergepath_config_static_selectorELNS0_4arch9wavefront6targetE1EEEvSH_, .Lfunc_end549-_ZN7rocprim17ROCPRIM_400000_NS6detail17trampoline_kernelINS0_14default_configENS1_38merge_sort_block_merge_config_selectorIalEEZZNS1_27merge_sort_block_merge_implIS3_PaN6thrust23THRUST_200600_302600_NS10device_ptrIlEEjNS1_19radix_merge_compareILb0ELb1EaNS0_19identity_decomposerEEEEE10hipError_tT0_T1_T2_jT3_P12ihipStream_tbPNSt15iterator_traitsISG_E10value_typeEPNSM_ISH_E10value_typeEPSI_NS1_7vsmem_tEENKUlT_SG_SH_SI_E_clIS7_S7_PlSB_EESF_SV_SG_SH_SI_EUlSV_E0_NS1_11comp_targetILNS1_3genE8ELNS1_11target_archE1030ELNS1_3gpuE2ELNS1_3repE0EEENS1_38merge_mergepath_config_static_selectorELNS0_4arch9wavefront6targetE1EEEvSH_
                                        ; -- End function
	.section	.AMDGPU.csdata,"",@progbits
; Kernel info:
; codeLenInByte = 0
; NumSgprs: 4
; NumVgprs: 0
; NumAgprs: 0
; TotalNumVgprs: 0
; ScratchSize: 0
; MemoryBound: 0
; FloatMode: 240
; IeeeMode: 1
; LDSByteSize: 0 bytes/workgroup (compile time only)
; SGPRBlocks: 0
; VGPRBlocks: 0
; NumSGPRsForWavesPerEU: 4
; NumVGPRsForWavesPerEU: 1
; AccumOffset: 4
; Occupancy: 8
; WaveLimiterHint : 0
; COMPUTE_PGM_RSRC2:SCRATCH_EN: 0
; COMPUTE_PGM_RSRC2:USER_SGPR: 6
; COMPUTE_PGM_RSRC2:TRAP_HANDLER: 0
; COMPUTE_PGM_RSRC2:TGID_X_EN: 1
; COMPUTE_PGM_RSRC2:TGID_Y_EN: 0
; COMPUTE_PGM_RSRC2:TGID_Z_EN: 0
; COMPUTE_PGM_RSRC2:TIDIG_COMP_CNT: 0
; COMPUTE_PGM_RSRC3_GFX90A:ACCUM_OFFSET: 0
; COMPUTE_PGM_RSRC3_GFX90A:TG_SPLIT: 0
	.section	.text._ZN7rocprim17ROCPRIM_400000_NS6detail17trampoline_kernelINS0_14default_configENS1_38merge_sort_block_merge_config_selectorIalEEZZNS1_27merge_sort_block_merge_implIS3_PaN6thrust23THRUST_200600_302600_NS10device_ptrIlEEjNS1_19radix_merge_compareILb0ELb1EaNS0_19identity_decomposerEEEEE10hipError_tT0_T1_T2_jT3_P12ihipStream_tbPNSt15iterator_traitsISG_E10value_typeEPNSM_ISH_E10value_typeEPSI_NS1_7vsmem_tEENKUlT_SG_SH_SI_E_clIS7_S7_PlSB_EESF_SV_SG_SH_SI_EUlSV_E1_NS1_11comp_targetILNS1_3genE0ELNS1_11target_archE4294967295ELNS1_3gpuE0ELNS1_3repE0EEENS1_36merge_oddeven_config_static_selectorELNS0_4arch9wavefront6targetE1EEEvSH_,"axG",@progbits,_ZN7rocprim17ROCPRIM_400000_NS6detail17trampoline_kernelINS0_14default_configENS1_38merge_sort_block_merge_config_selectorIalEEZZNS1_27merge_sort_block_merge_implIS3_PaN6thrust23THRUST_200600_302600_NS10device_ptrIlEEjNS1_19radix_merge_compareILb0ELb1EaNS0_19identity_decomposerEEEEE10hipError_tT0_T1_T2_jT3_P12ihipStream_tbPNSt15iterator_traitsISG_E10value_typeEPNSM_ISH_E10value_typeEPSI_NS1_7vsmem_tEENKUlT_SG_SH_SI_E_clIS7_S7_PlSB_EESF_SV_SG_SH_SI_EUlSV_E1_NS1_11comp_targetILNS1_3genE0ELNS1_11target_archE4294967295ELNS1_3gpuE0ELNS1_3repE0EEENS1_36merge_oddeven_config_static_selectorELNS0_4arch9wavefront6targetE1EEEvSH_,comdat
	.protected	_ZN7rocprim17ROCPRIM_400000_NS6detail17trampoline_kernelINS0_14default_configENS1_38merge_sort_block_merge_config_selectorIalEEZZNS1_27merge_sort_block_merge_implIS3_PaN6thrust23THRUST_200600_302600_NS10device_ptrIlEEjNS1_19radix_merge_compareILb0ELb1EaNS0_19identity_decomposerEEEEE10hipError_tT0_T1_T2_jT3_P12ihipStream_tbPNSt15iterator_traitsISG_E10value_typeEPNSM_ISH_E10value_typeEPSI_NS1_7vsmem_tEENKUlT_SG_SH_SI_E_clIS7_S7_PlSB_EESF_SV_SG_SH_SI_EUlSV_E1_NS1_11comp_targetILNS1_3genE0ELNS1_11target_archE4294967295ELNS1_3gpuE0ELNS1_3repE0EEENS1_36merge_oddeven_config_static_selectorELNS0_4arch9wavefront6targetE1EEEvSH_ ; -- Begin function _ZN7rocprim17ROCPRIM_400000_NS6detail17trampoline_kernelINS0_14default_configENS1_38merge_sort_block_merge_config_selectorIalEEZZNS1_27merge_sort_block_merge_implIS3_PaN6thrust23THRUST_200600_302600_NS10device_ptrIlEEjNS1_19radix_merge_compareILb0ELb1EaNS0_19identity_decomposerEEEEE10hipError_tT0_T1_T2_jT3_P12ihipStream_tbPNSt15iterator_traitsISG_E10value_typeEPNSM_ISH_E10value_typeEPSI_NS1_7vsmem_tEENKUlT_SG_SH_SI_E_clIS7_S7_PlSB_EESF_SV_SG_SH_SI_EUlSV_E1_NS1_11comp_targetILNS1_3genE0ELNS1_11target_archE4294967295ELNS1_3gpuE0ELNS1_3repE0EEENS1_36merge_oddeven_config_static_selectorELNS0_4arch9wavefront6targetE1EEEvSH_
	.globl	_ZN7rocprim17ROCPRIM_400000_NS6detail17trampoline_kernelINS0_14default_configENS1_38merge_sort_block_merge_config_selectorIalEEZZNS1_27merge_sort_block_merge_implIS3_PaN6thrust23THRUST_200600_302600_NS10device_ptrIlEEjNS1_19radix_merge_compareILb0ELb1EaNS0_19identity_decomposerEEEEE10hipError_tT0_T1_T2_jT3_P12ihipStream_tbPNSt15iterator_traitsISG_E10value_typeEPNSM_ISH_E10value_typeEPSI_NS1_7vsmem_tEENKUlT_SG_SH_SI_E_clIS7_S7_PlSB_EESF_SV_SG_SH_SI_EUlSV_E1_NS1_11comp_targetILNS1_3genE0ELNS1_11target_archE4294967295ELNS1_3gpuE0ELNS1_3repE0EEENS1_36merge_oddeven_config_static_selectorELNS0_4arch9wavefront6targetE1EEEvSH_
	.p2align	8
	.type	_ZN7rocprim17ROCPRIM_400000_NS6detail17trampoline_kernelINS0_14default_configENS1_38merge_sort_block_merge_config_selectorIalEEZZNS1_27merge_sort_block_merge_implIS3_PaN6thrust23THRUST_200600_302600_NS10device_ptrIlEEjNS1_19radix_merge_compareILb0ELb1EaNS0_19identity_decomposerEEEEE10hipError_tT0_T1_T2_jT3_P12ihipStream_tbPNSt15iterator_traitsISG_E10value_typeEPNSM_ISH_E10value_typeEPSI_NS1_7vsmem_tEENKUlT_SG_SH_SI_E_clIS7_S7_PlSB_EESF_SV_SG_SH_SI_EUlSV_E1_NS1_11comp_targetILNS1_3genE0ELNS1_11target_archE4294967295ELNS1_3gpuE0ELNS1_3repE0EEENS1_36merge_oddeven_config_static_selectorELNS0_4arch9wavefront6targetE1EEEvSH_,@function
_ZN7rocprim17ROCPRIM_400000_NS6detail17trampoline_kernelINS0_14default_configENS1_38merge_sort_block_merge_config_selectorIalEEZZNS1_27merge_sort_block_merge_implIS3_PaN6thrust23THRUST_200600_302600_NS10device_ptrIlEEjNS1_19radix_merge_compareILb0ELb1EaNS0_19identity_decomposerEEEEE10hipError_tT0_T1_T2_jT3_P12ihipStream_tbPNSt15iterator_traitsISG_E10value_typeEPNSM_ISH_E10value_typeEPSI_NS1_7vsmem_tEENKUlT_SG_SH_SI_E_clIS7_S7_PlSB_EESF_SV_SG_SH_SI_EUlSV_E1_NS1_11comp_targetILNS1_3genE0ELNS1_11target_archE4294967295ELNS1_3gpuE0ELNS1_3repE0EEENS1_36merge_oddeven_config_static_selectorELNS0_4arch9wavefront6targetE1EEEvSH_: ; @_ZN7rocprim17ROCPRIM_400000_NS6detail17trampoline_kernelINS0_14default_configENS1_38merge_sort_block_merge_config_selectorIalEEZZNS1_27merge_sort_block_merge_implIS3_PaN6thrust23THRUST_200600_302600_NS10device_ptrIlEEjNS1_19radix_merge_compareILb0ELb1EaNS0_19identity_decomposerEEEEE10hipError_tT0_T1_T2_jT3_P12ihipStream_tbPNSt15iterator_traitsISG_E10value_typeEPNSM_ISH_E10value_typeEPSI_NS1_7vsmem_tEENKUlT_SG_SH_SI_E_clIS7_S7_PlSB_EESF_SV_SG_SH_SI_EUlSV_E1_NS1_11comp_targetILNS1_3genE0ELNS1_11target_archE4294967295ELNS1_3gpuE0ELNS1_3repE0EEENS1_36merge_oddeven_config_static_selectorELNS0_4arch9wavefront6targetE1EEEvSH_
; %bb.0:
	.section	.rodata,"a",@progbits
	.p2align	6, 0x0
	.amdhsa_kernel _ZN7rocprim17ROCPRIM_400000_NS6detail17trampoline_kernelINS0_14default_configENS1_38merge_sort_block_merge_config_selectorIalEEZZNS1_27merge_sort_block_merge_implIS3_PaN6thrust23THRUST_200600_302600_NS10device_ptrIlEEjNS1_19radix_merge_compareILb0ELb1EaNS0_19identity_decomposerEEEEE10hipError_tT0_T1_T2_jT3_P12ihipStream_tbPNSt15iterator_traitsISG_E10value_typeEPNSM_ISH_E10value_typeEPSI_NS1_7vsmem_tEENKUlT_SG_SH_SI_E_clIS7_S7_PlSB_EESF_SV_SG_SH_SI_EUlSV_E1_NS1_11comp_targetILNS1_3genE0ELNS1_11target_archE4294967295ELNS1_3gpuE0ELNS1_3repE0EEENS1_36merge_oddeven_config_static_selectorELNS0_4arch9wavefront6targetE1EEEvSH_
		.amdhsa_group_segment_fixed_size 0
		.amdhsa_private_segment_fixed_size 0
		.amdhsa_kernarg_size 48
		.amdhsa_user_sgpr_count 6
		.amdhsa_user_sgpr_private_segment_buffer 1
		.amdhsa_user_sgpr_dispatch_ptr 0
		.amdhsa_user_sgpr_queue_ptr 0
		.amdhsa_user_sgpr_kernarg_segment_ptr 1
		.amdhsa_user_sgpr_dispatch_id 0
		.amdhsa_user_sgpr_flat_scratch_init 0
		.amdhsa_user_sgpr_kernarg_preload_length 0
		.amdhsa_user_sgpr_kernarg_preload_offset 0
		.amdhsa_user_sgpr_private_segment_size 0
		.amdhsa_uses_dynamic_stack 0
		.amdhsa_system_sgpr_private_segment_wavefront_offset 0
		.amdhsa_system_sgpr_workgroup_id_x 1
		.amdhsa_system_sgpr_workgroup_id_y 0
		.amdhsa_system_sgpr_workgroup_id_z 0
		.amdhsa_system_sgpr_workgroup_info 0
		.amdhsa_system_vgpr_workitem_id 0
		.amdhsa_next_free_vgpr 1
		.amdhsa_next_free_sgpr 0
		.amdhsa_accum_offset 4
		.amdhsa_reserve_vcc 0
		.amdhsa_reserve_flat_scratch 0
		.amdhsa_float_round_mode_32 0
		.amdhsa_float_round_mode_16_64 0
		.amdhsa_float_denorm_mode_32 3
		.amdhsa_float_denorm_mode_16_64 3
		.amdhsa_dx10_clamp 1
		.amdhsa_ieee_mode 1
		.amdhsa_fp16_overflow 0
		.amdhsa_tg_split 0
		.amdhsa_exception_fp_ieee_invalid_op 0
		.amdhsa_exception_fp_denorm_src 0
		.amdhsa_exception_fp_ieee_div_zero 0
		.amdhsa_exception_fp_ieee_overflow 0
		.amdhsa_exception_fp_ieee_underflow 0
		.amdhsa_exception_fp_ieee_inexact 0
		.amdhsa_exception_int_div_zero 0
	.end_amdhsa_kernel
	.section	.text._ZN7rocprim17ROCPRIM_400000_NS6detail17trampoline_kernelINS0_14default_configENS1_38merge_sort_block_merge_config_selectorIalEEZZNS1_27merge_sort_block_merge_implIS3_PaN6thrust23THRUST_200600_302600_NS10device_ptrIlEEjNS1_19radix_merge_compareILb0ELb1EaNS0_19identity_decomposerEEEEE10hipError_tT0_T1_T2_jT3_P12ihipStream_tbPNSt15iterator_traitsISG_E10value_typeEPNSM_ISH_E10value_typeEPSI_NS1_7vsmem_tEENKUlT_SG_SH_SI_E_clIS7_S7_PlSB_EESF_SV_SG_SH_SI_EUlSV_E1_NS1_11comp_targetILNS1_3genE0ELNS1_11target_archE4294967295ELNS1_3gpuE0ELNS1_3repE0EEENS1_36merge_oddeven_config_static_selectorELNS0_4arch9wavefront6targetE1EEEvSH_,"axG",@progbits,_ZN7rocprim17ROCPRIM_400000_NS6detail17trampoline_kernelINS0_14default_configENS1_38merge_sort_block_merge_config_selectorIalEEZZNS1_27merge_sort_block_merge_implIS3_PaN6thrust23THRUST_200600_302600_NS10device_ptrIlEEjNS1_19radix_merge_compareILb0ELb1EaNS0_19identity_decomposerEEEEE10hipError_tT0_T1_T2_jT3_P12ihipStream_tbPNSt15iterator_traitsISG_E10value_typeEPNSM_ISH_E10value_typeEPSI_NS1_7vsmem_tEENKUlT_SG_SH_SI_E_clIS7_S7_PlSB_EESF_SV_SG_SH_SI_EUlSV_E1_NS1_11comp_targetILNS1_3genE0ELNS1_11target_archE4294967295ELNS1_3gpuE0ELNS1_3repE0EEENS1_36merge_oddeven_config_static_selectorELNS0_4arch9wavefront6targetE1EEEvSH_,comdat
.Lfunc_end550:
	.size	_ZN7rocprim17ROCPRIM_400000_NS6detail17trampoline_kernelINS0_14default_configENS1_38merge_sort_block_merge_config_selectorIalEEZZNS1_27merge_sort_block_merge_implIS3_PaN6thrust23THRUST_200600_302600_NS10device_ptrIlEEjNS1_19radix_merge_compareILb0ELb1EaNS0_19identity_decomposerEEEEE10hipError_tT0_T1_T2_jT3_P12ihipStream_tbPNSt15iterator_traitsISG_E10value_typeEPNSM_ISH_E10value_typeEPSI_NS1_7vsmem_tEENKUlT_SG_SH_SI_E_clIS7_S7_PlSB_EESF_SV_SG_SH_SI_EUlSV_E1_NS1_11comp_targetILNS1_3genE0ELNS1_11target_archE4294967295ELNS1_3gpuE0ELNS1_3repE0EEENS1_36merge_oddeven_config_static_selectorELNS0_4arch9wavefront6targetE1EEEvSH_, .Lfunc_end550-_ZN7rocprim17ROCPRIM_400000_NS6detail17trampoline_kernelINS0_14default_configENS1_38merge_sort_block_merge_config_selectorIalEEZZNS1_27merge_sort_block_merge_implIS3_PaN6thrust23THRUST_200600_302600_NS10device_ptrIlEEjNS1_19radix_merge_compareILb0ELb1EaNS0_19identity_decomposerEEEEE10hipError_tT0_T1_T2_jT3_P12ihipStream_tbPNSt15iterator_traitsISG_E10value_typeEPNSM_ISH_E10value_typeEPSI_NS1_7vsmem_tEENKUlT_SG_SH_SI_E_clIS7_S7_PlSB_EESF_SV_SG_SH_SI_EUlSV_E1_NS1_11comp_targetILNS1_3genE0ELNS1_11target_archE4294967295ELNS1_3gpuE0ELNS1_3repE0EEENS1_36merge_oddeven_config_static_selectorELNS0_4arch9wavefront6targetE1EEEvSH_
                                        ; -- End function
	.section	.AMDGPU.csdata,"",@progbits
; Kernel info:
; codeLenInByte = 0
; NumSgprs: 4
; NumVgprs: 0
; NumAgprs: 0
; TotalNumVgprs: 0
; ScratchSize: 0
; MemoryBound: 0
; FloatMode: 240
; IeeeMode: 1
; LDSByteSize: 0 bytes/workgroup (compile time only)
; SGPRBlocks: 0
; VGPRBlocks: 0
; NumSGPRsForWavesPerEU: 4
; NumVGPRsForWavesPerEU: 1
; AccumOffset: 4
; Occupancy: 8
; WaveLimiterHint : 0
; COMPUTE_PGM_RSRC2:SCRATCH_EN: 0
; COMPUTE_PGM_RSRC2:USER_SGPR: 6
; COMPUTE_PGM_RSRC2:TRAP_HANDLER: 0
; COMPUTE_PGM_RSRC2:TGID_X_EN: 1
; COMPUTE_PGM_RSRC2:TGID_Y_EN: 0
; COMPUTE_PGM_RSRC2:TGID_Z_EN: 0
; COMPUTE_PGM_RSRC2:TIDIG_COMP_CNT: 0
; COMPUTE_PGM_RSRC3_GFX90A:ACCUM_OFFSET: 0
; COMPUTE_PGM_RSRC3_GFX90A:TG_SPLIT: 0
	.section	.text._ZN7rocprim17ROCPRIM_400000_NS6detail17trampoline_kernelINS0_14default_configENS1_38merge_sort_block_merge_config_selectorIalEEZZNS1_27merge_sort_block_merge_implIS3_PaN6thrust23THRUST_200600_302600_NS10device_ptrIlEEjNS1_19radix_merge_compareILb0ELb1EaNS0_19identity_decomposerEEEEE10hipError_tT0_T1_T2_jT3_P12ihipStream_tbPNSt15iterator_traitsISG_E10value_typeEPNSM_ISH_E10value_typeEPSI_NS1_7vsmem_tEENKUlT_SG_SH_SI_E_clIS7_S7_PlSB_EESF_SV_SG_SH_SI_EUlSV_E1_NS1_11comp_targetILNS1_3genE10ELNS1_11target_archE1201ELNS1_3gpuE5ELNS1_3repE0EEENS1_36merge_oddeven_config_static_selectorELNS0_4arch9wavefront6targetE1EEEvSH_,"axG",@progbits,_ZN7rocprim17ROCPRIM_400000_NS6detail17trampoline_kernelINS0_14default_configENS1_38merge_sort_block_merge_config_selectorIalEEZZNS1_27merge_sort_block_merge_implIS3_PaN6thrust23THRUST_200600_302600_NS10device_ptrIlEEjNS1_19radix_merge_compareILb0ELb1EaNS0_19identity_decomposerEEEEE10hipError_tT0_T1_T2_jT3_P12ihipStream_tbPNSt15iterator_traitsISG_E10value_typeEPNSM_ISH_E10value_typeEPSI_NS1_7vsmem_tEENKUlT_SG_SH_SI_E_clIS7_S7_PlSB_EESF_SV_SG_SH_SI_EUlSV_E1_NS1_11comp_targetILNS1_3genE10ELNS1_11target_archE1201ELNS1_3gpuE5ELNS1_3repE0EEENS1_36merge_oddeven_config_static_selectorELNS0_4arch9wavefront6targetE1EEEvSH_,comdat
	.protected	_ZN7rocprim17ROCPRIM_400000_NS6detail17trampoline_kernelINS0_14default_configENS1_38merge_sort_block_merge_config_selectorIalEEZZNS1_27merge_sort_block_merge_implIS3_PaN6thrust23THRUST_200600_302600_NS10device_ptrIlEEjNS1_19radix_merge_compareILb0ELb1EaNS0_19identity_decomposerEEEEE10hipError_tT0_T1_T2_jT3_P12ihipStream_tbPNSt15iterator_traitsISG_E10value_typeEPNSM_ISH_E10value_typeEPSI_NS1_7vsmem_tEENKUlT_SG_SH_SI_E_clIS7_S7_PlSB_EESF_SV_SG_SH_SI_EUlSV_E1_NS1_11comp_targetILNS1_3genE10ELNS1_11target_archE1201ELNS1_3gpuE5ELNS1_3repE0EEENS1_36merge_oddeven_config_static_selectorELNS0_4arch9wavefront6targetE1EEEvSH_ ; -- Begin function _ZN7rocprim17ROCPRIM_400000_NS6detail17trampoline_kernelINS0_14default_configENS1_38merge_sort_block_merge_config_selectorIalEEZZNS1_27merge_sort_block_merge_implIS3_PaN6thrust23THRUST_200600_302600_NS10device_ptrIlEEjNS1_19radix_merge_compareILb0ELb1EaNS0_19identity_decomposerEEEEE10hipError_tT0_T1_T2_jT3_P12ihipStream_tbPNSt15iterator_traitsISG_E10value_typeEPNSM_ISH_E10value_typeEPSI_NS1_7vsmem_tEENKUlT_SG_SH_SI_E_clIS7_S7_PlSB_EESF_SV_SG_SH_SI_EUlSV_E1_NS1_11comp_targetILNS1_3genE10ELNS1_11target_archE1201ELNS1_3gpuE5ELNS1_3repE0EEENS1_36merge_oddeven_config_static_selectorELNS0_4arch9wavefront6targetE1EEEvSH_
	.globl	_ZN7rocprim17ROCPRIM_400000_NS6detail17trampoline_kernelINS0_14default_configENS1_38merge_sort_block_merge_config_selectorIalEEZZNS1_27merge_sort_block_merge_implIS3_PaN6thrust23THRUST_200600_302600_NS10device_ptrIlEEjNS1_19radix_merge_compareILb0ELb1EaNS0_19identity_decomposerEEEEE10hipError_tT0_T1_T2_jT3_P12ihipStream_tbPNSt15iterator_traitsISG_E10value_typeEPNSM_ISH_E10value_typeEPSI_NS1_7vsmem_tEENKUlT_SG_SH_SI_E_clIS7_S7_PlSB_EESF_SV_SG_SH_SI_EUlSV_E1_NS1_11comp_targetILNS1_3genE10ELNS1_11target_archE1201ELNS1_3gpuE5ELNS1_3repE0EEENS1_36merge_oddeven_config_static_selectorELNS0_4arch9wavefront6targetE1EEEvSH_
	.p2align	8
	.type	_ZN7rocprim17ROCPRIM_400000_NS6detail17trampoline_kernelINS0_14default_configENS1_38merge_sort_block_merge_config_selectorIalEEZZNS1_27merge_sort_block_merge_implIS3_PaN6thrust23THRUST_200600_302600_NS10device_ptrIlEEjNS1_19radix_merge_compareILb0ELb1EaNS0_19identity_decomposerEEEEE10hipError_tT0_T1_T2_jT3_P12ihipStream_tbPNSt15iterator_traitsISG_E10value_typeEPNSM_ISH_E10value_typeEPSI_NS1_7vsmem_tEENKUlT_SG_SH_SI_E_clIS7_S7_PlSB_EESF_SV_SG_SH_SI_EUlSV_E1_NS1_11comp_targetILNS1_3genE10ELNS1_11target_archE1201ELNS1_3gpuE5ELNS1_3repE0EEENS1_36merge_oddeven_config_static_selectorELNS0_4arch9wavefront6targetE1EEEvSH_,@function
_ZN7rocprim17ROCPRIM_400000_NS6detail17trampoline_kernelINS0_14default_configENS1_38merge_sort_block_merge_config_selectorIalEEZZNS1_27merge_sort_block_merge_implIS3_PaN6thrust23THRUST_200600_302600_NS10device_ptrIlEEjNS1_19radix_merge_compareILb0ELb1EaNS0_19identity_decomposerEEEEE10hipError_tT0_T1_T2_jT3_P12ihipStream_tbPNSt15iterator_traitsISG_E10value_typeEPNSM_ISH_E10value_typeEPSI_NS1_7vsmem_tEENKUlT_SG_SH_SI_E_clIS7_S7_PlSB_EESF_SV_SG_SH_SI_EUlSV_E1_NS1_11comp_targetILNS1_3genE10ELNS1_11target_archE1201ELNS1_3gpuE5ELNS1_3repE0EEENS1_36merge_oddeven_config_static_selectorELNS0_4arch9wavefront6targetE1EEEvSH_: ; @_ZN7rocprim17ROCPRIM_400000_NS6detail17trampoline_kernelINS0_14default_configENS1_38merge_sort_block_merge_config_selectorIalEEZZNS1_27merge_sort_block_merge_implIS3_PaN6thrust23THRUST_200600_302600_NS10device_ptrIlEEjNS1_19radix_merge_compareILb0ELb1EaNS0_19identity_decomposerEEEEE10hipError_tT0_T1_T2_jT3_P12ihipStream_tbPNSt15iterator_traitsISG_E10value_typeEPNSM_ISH_E10value_typeEPSI_NS1_7vsmem_tEENKUlT_SG_SH_SI_E_clIS7_S7_PlSB_EESF_SV_SG_SH_SI_EUlSV_E1_NS1_11comp_targetILNS1_3genE10ELNS1_11target_archE1201ELNS1_3gpuE5ELNS1_3repE0EEENS1_36merge_oddeven_config_static_selectorELNS0_4arch9wavefront6targetE1EEEvSH_
; %bb.0:
	.section	.rodata,"a",@progbits
	.p2align	6, 0x0
	.amdhsa_kernel _ZN7rocprim17ROCPRIM_400000_NS6detail17trampoline_kernelINS0_14default_configENS1_38merge_sort_block_merge_config_selectorIalEEZZNS1_27merge_sort_block_merge_implIS3_PaN6thrust23THRUST_200600_302600_NS10device_ptrIlEEjNS1_19radix_merge_compareILb0ELb1EaNS0_19identity_decomposerEEEEE10hipError_tT0_T1_T2_jT3_P12ihipStream_tbPNSt15iterator_traitsISG_E10value_typeEPNSM_ISH_E10value_typeEPSI_NS1_7vsmem_tEENKUlT_SG_SH_SI_E_clIS7_S7_PlSB_EESF_SV_SG_SH_SI_EUlSV_E1_NS1_11comp_targetILNS1_3genE10ELNS1_11target_archE1201ELNS1_3gpuE5ELNS1_3repE0EEENS1_36merge_oddeven_config_static_selectorELNS0_4arch9wavefront6targetE1EEEvSH_
		.amdhsa_group_segment_fixed_size 0
		.amdhsa_private_segment_fixed_size 0
		.amdhsa_kernarg_size 48
		.amdhsa_user_sgpr_count 6
		.amdhsa_user_sgpr_private_segment_buffer 1
		.amdhsa_user_sgpr_dispatch_ptr 0
		.amdhsa_user_sgpr_queue_ptr 0
		.amdhsa_user_sgpr_kernarg_segment_ptr 1
		.amdhsa_user_sgpr_dispatch_id 0
		.amdhsa_user_sgpr_flat_scratch_init 0
		.amdhsa_user_sgpr_kernarg_preload_length 0
		.amdhsa_user_sgpr_kernarg_preload_offset 0
		.amdhsa_user_sgpr_private_segment_size 0
		.amdhsa_uses_dynamic_stack 0
		.amdhsa_system_sgpr_private_segment_wavefront_offset 0
		.amdhsa_system_sgpr_workgroup_id_x 1
		.amdhsa_system_sgpr_workgroup_id_y 0
		.amdhsa_system_sgpr_workgroup_id_z 0
		.amdhsa_system_sgpr_workgroup_info 0
		.amdhsa_system_vgpr_workitem_id 0
		.amdhsa_next_free_vgpr 1
		.amdhsa_next_free_sgpr 0
		.amdhsa_accum_offset 4
		.amdhsa_reserve_vcc 0
		.amdhsa_reserve_flat_scratch 0
		.amdhsa_float_round_mode_32 0
		.amdhsa_float_round_mode_16_64 0
		.amdhsa_float_denorm_mode_32 3
		.amdhsa_float_denorm_mode_16_64 3
		.amdhsa_dx10_clamp 1
		.amdhsa_ieee_mode 1
		.amdhsa_fp16_overflow 0
		.amdhsa_tg_split 0
		.amdhsa_exception_fp_ieee_invalid_op 0
		.amdhsa_exception_fp_denorm_src 0
		.amdhsa_exception_fp_ieee_div_zero 0
		.amdhsa_exception_fp_ieee_overflow 0
		.amdhsa_exception_fp_ieee_underflow 0
		.amdhsa_exception_fp_ieee_inexact 0
		.amdhsa_exception_int_div_zero 0
	.end_amdhsa_kernel
	.section	.text._ZN7rocprim17ROCPRIM_400000_NS6detail17trampoline_kernelINS0_14default_configENS1_38merge_sort_block_merge_config_selectorIalEEZZNS1_27merge_sort_block_merge_implIS3_PaN6thrust23THRUST_200600_302600_NS10device_ptrIlEEjNS1_19radix_merge_compareILb0ELb1EaNS0_19identity_decomposerEEEEE10hipError_tT0_T1_T2_jT3_P12ihipStream_tbPNSt15iterator_traitsISG_E10value_typeEPNSM_ISH_E10value_typeEPSI_NS1_7vsmem_tEENKUlT_SG_SH_SI_E_clIS7_S7_PlSB_EESF_SV_SG_SH_SI_EUlSV_E1_NS1_11comp_targetILNS1_3genE10ELNS1_11target_archE1201ELNS1_3gpuE5ELNS1_3repE0EEENS1_36merge_oddeven_config_static_selectorELNS0_4arch9wavefront6targetE1EEEvSH_,"axG",@progbits,_ZN7rocprim17ROCPRIM_400000_NS6detail17trampoline_kernelINS0_14default_configENS1_38merge_sort_block_merge_config_selectorIalEEZZNS1_27merge_sort_block_merge_implIS3_PaN6thrust23THRUST_200600_302600_NS10device_ptrIlEEjNS1_19radix_merge_compareILb0ELb1EaNS0_19identity_decomposerEEEEE10hipError_tT0_T1_T2_jT3_P12ihipStream_tbPNSt15iterator_traitsISG_E10value_typeEPNSM_ISH_E10value_typeEPSI_NS1_7vsmem_tEENKUlT_SG_SH_SI_E_clIS7_S7_PlSB_EESF_SV_SG_SH_SI_EUlSV_E1_NS1_11comp_targetILNS1_3genE10ELNS1_11target_archE1201ELNS1_3gpuE5ELNS1_3repE0EEENS1_36merge_oddeven_config_static_selectorELNS0_4arch9wavefront6targetE1EEEvSH_,comdat
.Lfunc_end551:
	.size	_ZN7rocprim17ROCPRIM_400000_NS6detail17trampoline_kernelINS0_14default_configENS1_38merge_sort_block_merge_config_selectorIalEEZZNS1_27merge_sort_block_merge_implIS3_PaN6thrust23THRUST_200600_302600_NS10device_ptrIlEEjNS1_19radix_merge_compareILb0ELb1EaNS0_19identity_decomposerEEEEE10hipError_tT0_T1_T2_jT3_P12ihipStream_tbPNSt15iterator_traitsISG_E10value_typeEPNSM_ISH_E10value_typeEPSI_NS1_7vsmem_tEENKUlT_SG_SH_SI_E_clIS7_S7_PlSB_EESF_SV_SG_SH_SI_EUlSV_E1_NS1_11comp_targetILNS1_3genE10ELNS1_11target_archE1201ELNS1_3gpuE5ELNS1_3repE0EEENS1_36merge_oddeven_config_static_selectorELNS0_4arch9wavefront6targetE1EEEvSH_, .Lfunc_end551-_ZN7rocprim17ROCPRIM_400000_NS6detail17trampoline_kernelINS0_14default_configENS1_38merge_sort_block_merge_config_selectorIalEEZZNS1_27merge_sort_block_merge_implIS3_PaN6thrust23THRUST_200600_302600_NS10device_ptrIlEEjNS1_19radix_merge_compareILb0ELb1EaNS0_19identity_decomposerEEEEE10hipError_tT0_T1_T2_jT3_P12ihipStream_tbPNSt15iterator_traitsISG_E10value_typeEPNSM_ISH_E10value_typeEPSI_NS1_7vsmem_tEENKUlT_SG_SH_SI_E_clIS7_S7_PlSB_EESF_SV_SG_SH_SI_EUlSV_E1_NS1_11comp_targetILNS1_3genE10ELNS1_11target_archE1201ELNS1_3gpuE5ELNS1_3repE0EEENS1_36merge_oddeven_config_static_selectorELNS0_4arch9wavefront6targetE1EEEvSH_
                                        ; -- End function
	.section	.AMDGPU.csdata,"",@progbits
; Kernel info:
; codeLenInByte = 0
; NumSgprs: 4
; NumVgprs: 0
; NumAgprs: 0
; TotalNumVgprs: 0
; ScratchSize: 0
; MemoryBound: 0
; FloatMode: 240
; IeeeMode: 1
; LDSByteSize: 0 bytes/workgroup (compile time only)
; SGPRBlocks: 0
; VGPRBlocks: 0
; NumSGPRsForWavesPerEU: 4
; NumVGPRsForWavesPerEU: 1
; AccumOffset: 4
; Occupancy: 8
; WaveLimiterHint : 0
; COMPUTE_PGM_RSRC2:SCRATCH_EN: 0
; COMPUTE_PGM_RSRC2:USER_SGPR: 6
; COMPUTE_PGM_RSRC2:TRAP_HANDLER: 0
; COMPUTE_PGM_RSRC2:TGID_X_EN: 1
; COMPUTE_PGM_RSRC2:TGID_Y_EN: 0
; COMPUTE_PGM_RSRC2:TGID_Z_EN: 0
; COMPUTE_PGM_RSRC2:TIDIG_COMP_CNT: 0
; COMPUTE_PGM_RSRC3_GFX90A:ACCUM_OFFSET: 0
; COMPUTE_PGM_RSRC3_GFX90A:TG_SPLIT: 0
	.section	.text._ZN7rocprim17ROCPRIM_400000_NS6detail17trampoline_kernelINS0_14default_configENS1_38merge_sort_block_merge_config_selectorIalEEZZNS1_27merge_sort_block_merge_implIS3_PaN6thrust23THRUST_200600_302600_NS10device_ptrIlEEjNS1_19radix_merge_compareILb0ELb1EaNS0_19identity_decomposerEEEEE10hipError_tT0_T1_T2_jT3_P12ihipStream_tbPNSt15iterator_traitsISG_E10value_typeEPNSM_ISH_E10value_typeEPSI_NS1_7vsmem_tEENKUlT_SG_SH_SI_E_clIS7_S7_PlSB_EESF_SV_SG_SH_SI_EUlSV_E1_NS1_11comp_targetILNS1_3genE5ELNS1_11target_archE942ELNS1_3gpuE9ELNS1_3repE0EEENS1_36merge_oddeven_config_static_selectorELNS0_4arch9wavefront6targetE1EEEvSH_,"axG",@progbits,_ZN7rocprim17ROCPRIM_400000_NS6detail17trampoline_kernelINS0_14default_configENS1_38merge_sort_block_merge_config_selectorIalEEZZNS1_27merge_sort_block_merge_implIS3_PaN6thrust23THRUST_200600_302600_NS10device_ptrIlEEjNS1_19radix_merge_compareILb0ELb1EaNS0_19identity_decomposerEEEEE10hipError_tT0_T1_T2_jT3_P12ihipStream_tbPNSt15iterator_traitsISG_E10value_typeEPNSM_ISH_E10value_typeEPSI_NS1_7vsmem_tEENKUlT_SG_SH_SI_E_clIS7_S7_PlSB_EESF_SV_SG_SH_SI_EUlSV_E1_NS1_11comp_targetILNS1_3genE5ELNS1_11target_archE942ELNS1_3gpuE9ELNS1_3repE0EEENS1_36merge_oddeven_config_static_selectorELNS0_4arch9wavefront6targetE1EEEvSH_,comdat
	.protected	_ZN7rocprim17ROCPRIM_400000_NS6detail17trampoline_kernelINS0_14default_configENS1_38merge_sort_block_merge_config_selectorIalEEZZNS1_27merge_sort_block_merge_implIS3_PaN6thrust23THRUST_200600_302600_NS10device_ptrIlEEjNS1_19radix_merge_compareILb0ELb1EaNS0_19identity_decomposerEEEEE10hipError_tT0_T1_T2_jT3_P12ihipStream_tbPNSt15iterator_traitsISG_E10value_typeEPNSM_ISH_E10value_typeEPSI_NS1_7vsmem_tEENKUlT_SG_SH_SI_E_clIS7_S7_PlSB_EESF_SV_SG_SH_SI_EUlSV_E1_NS1_11comp_targetILNS1_3genE5ELNS1_11target_archE942ELNS1_3gpuE9ELNS1_3repE0EEENS1_36merge_oddeven_config_static_selectorELNS0_4arch9wavefront6targetE1EEEvSH_ ; -- Begin function _ZN7rocprim17ROCPRIM_400000_NS6detail17trampoline_kernelINS0_14default_configENS1_38merge_sort_block_merge_config_selectorIalEEZZNS1_27merge_sort_block_merge_implIS3_PaN6thrust23THRUST_200600_302600_NS10device_ptrIlEEjNS1_19radix_merge_compareILb0ELb1EaNS0_19identity_decomposerEEEEE10hipError_tT0_T1_T2_jT3_P12ihipStream_tbPNSt15iterator_traitsISG_E10value_typeEPNSM_ISH_E10value_typeEPSI_NS1_7vsmem_tEENKUlT_SG_SH_SI_E_clIS7_S7_PlSB_EESF_SV_SG_SH_SI_EUlSV_E1_NS1_11comp_targetILNS1_3genE5ELNS1_11target_archE942ELNS1_3gpuE9ELNS1_3repE0EEENS1_36merge_oddeven_config_static_selectorELNS0_4arch9wavefront6targetE1EEEvSH_
	.globl	_ZN7rocprim17ROCPRIM_400000_NS6detail17trampoline_kernelINS0_14default_configENS1_38merge_sort_block_merge_config_selectorIalEEZZNS1_27merge_sort_block_merge_implIS3_PaN6thrust23THRUST_200600_302600_NS10device_ptrIlEEjNS1_19radix_merge_compareILb0ELb1EaNS0_19identity_decomposerEEEEE10hipError_tT0_T1_T2_jT3_P12ihipStream_tbPNSt15iterator_traitsISG_E10value_typeEPNSM_ISH_E10value_typeEPSI_NS1_7vsmem_tEENKUlT_SG_SH_SI_E_clIS7_S7_PlSB_EESF_SV_SG_SH_SI_EUlSV_E1_NS1_11comp_targetILNS1_3genE5ELNS1_11target_archE942ELNS1_3gpuE9ELNS1_3repE0EEENS1_36merge_oddeven_config_static_selectorELNS0_4arch9wavefront6targetE1EEEvSH_
	.p2align	8
	.type	_ZN7rocprim17ROCPRIM_400000_NS6detail17trampoline_kernelINS0_14default_configENS1_38merge_sort_block_merge_config_selectorIalEEZZNS1_27merge_sort_block_merge_implIS3_PaN6thrust23THRUST_200600_302600_NS10device_ptrIlEEjNS1_19radix_merge_compareILb0ELb1EaNS0_19identity_decomposerEEEEE10hipError_tT0_T1_T2_jT3_P12ihipStream_tbPNSt15iterator_traitsISG_E10value_typeEPNSM_ISH_E10value_typeEPSI_NS1_7vsmem_tEENKUlT_SG_SH_SI_E_clIS7_S7_PlSB_EESF_SV_SG_SH_SI_EUlSV_E1_NS1_11comp_targetILNS1_3genE5ELNS1_11target_archE942ELNS1_3gpuE9ELNS1_3repE0EEENS1_36merge_oddeven_config_static_selectorELNS0_4arch9wavefront6targetE1EEEvSH_,@function
_ZN7rocprim17ROCPRIM_400000_NS6detail17trampoline_kernelINS0_14default_configENS1_38merge_sort_block_merge_config_selectorIalEEZZNS1_27merge_sort_block_merge_implIS3_PaN6thrust23THRUST_200600_302600_NS10device_ptrIlEEjNS1_19radix_merge_compareILb0ELb1EaNS0_19identity_decomposerEEEEE10hipError_tT0_T1_T2_jT3_P12ihipStream_tbPNSt15iterator_traitsISG_E10value_typeEPNSM_ISH_E10value_typeEPSI_NS1_7vsmem_tEENKUlT_SG_SH_SI_E_clIS7_S7_PlSB_EESF_SV_SG_SH_SI_EUlSV_E1_NS1_11comp_targetILNS1_3genE5ELNS1_11target_archE942ELNS1_3gpuE9ELNS1_3repE0EEENS1_36merge_oddeven_config_static_selectorELNS0_4arch9wavefront6targetE1EEEvSH_: ; @_ZN7rocprim17ROCPRIM_400000_NS6detail17trampoline_kernelINS0_14default_configENS1_38merge_sort_block_merge_config_selectorIalEEZZNS1_27merge_sort_block_merge_implIS3_PaN6thrust23THRUST_200600_302600_NS10device_ptrIlEEjNS1_19radix_merge_compareILb0ELb1EaNS0_19identity_decomposerEEEEE10hipError_tT0_T1_T2_jT3_P12ihipStream_tbPNSt15iterator_traitsISG_E10value_typeEPNSM_ISH_E10value_typeEPSI_NS1_7vsmem_tEENKUlT_SG_SH_SI_E_clIS7_S7_PlSB_EESF_SV_SG_SH_SI_EUlSV_E1_NS1_11comp_targetILNS1_3genE5ELNS1_11target_archE942ELNS1_3gpuE9ELNS1_3repE0EEENS1_36merge_oddeven_config_static_selectorELNS0_4arch9wavefront6targetE1EEEvSH_
; %bb.0:
	.section	.rodata,"a",@progbits
	.p2align	6, 0x0
	.amdhsa_kernel _ZN7rocprim17ROCPRIM_400000_NS6detail17trampoline_kernelINS0_14default_configENS1_38merge_sort_block_merge_config_selectorIalEEZZNS1_27merge_sort_block_merge_implIS3_PaN6thrust23THRUST_200600_302600_NS10device_ptrIlEEjNS1_19radix_merge_compareILb0ELb1EaNS0_19identity_decomposerEEEEE10hipError_tT0_T1_T2_jT3_P12ihipStream_tbPNSt15iterator_traitsISG_E10value_typeEPNSM_ISH_E10value_typeEPSI_NS1_7vsmem_tEENKUlT_SG_SH_SI_E_clIS7_S7_PlSB_EESF_SV_SG_SH_SI_EUlSV_E1_NS1_11comp_targetILNS1_3genE5ELNS1_11target_archE942ELNS1_3gpuE9ELNS1_3repE0EEENS1_36merge_oddeven_config_static_selectorELNS0_4arch9wavefront6targetE1EEEvSH_
		.amdhsa_group_segment_fixed_size 0
		.amdhsa_private_segment_fixed_size 0
		.amdhsa_kernarg_size 48
		.amdhsa_user_sgpr_count 6
		.amdhsa_user_sgpr_private_segment_buffer 1
		.amdhsa_user_sgpr_dispatch_ptr 0
		.amdhsa_user_sgpr_queue_ptr 0
		.amdhsa_user_sgpr_kernarg_segment_ptr 1
		.amdhsa_user_sgpr_dispatch_id 0
		.amdhsa_user_sgpr_flat_scratch_init 0
		.amdhsa_user_sgpr_kernarg_preload_length 0
		.amdhsa_user_sgpr_kernarg_preload_offset 0
		.amdhsa_user_sgpr_private_segment_size 0
		.amdhsa_uses_dynamic_stack 0
		.amdhsa_system_sgpr_private_segment_wavefront_offset 0
		.amdhsa_system_sgpr_workgroup_id_x 1
		.amdhsa_system_sgpr_workgroup_id_y 0
		.amdhsa_system_sgpr_workgroup_id_z 0
		.amdhsa_system_sgpr_workgroup_info 0
		.amdhsa_system_vgpr_workitem_id 0
		.amdhsa_next_free_vgpr 1
		.amdhsa_next_free_sgpr 0
		.amdhsa_accum_offset 4
		.amdhsa_reserve_vcc 0
		.amdhsa_reserve_flat_scratch 0
		.amdhsa_float_round_mode_32 0
		.amdhsa_float_round_mode_16_64 0
		.amdhsa_float_denorm_mode_32 3
		.amdhsa_float_denorm_mode_16_64 3
		.amdhsa_dx10_clamp 1
		.amdhsa_ieee_mode 1
		.amdhsa_fp16_overflow 0
		.amdhsa_tg_split 0
		.amdhsa_exception_fp_ieee_invalid_op 0
		.amdhsa_exception_fp_denorm_src 0
		.amdhsa_exception_fp_ieee_div_zero 0
		.amdhsa_exception_fp_ieee_overflow 0
		.amdhsa_exception_fp_ieee_underflow 0
		.amdhsa_exception_fp_ieee_inexact 0
		.amdhsa_exception_int_div_zero 0
	.end_amdhsa_kernel
	.section	.text._ZN7rocprim17ROCPRIM_400000_NS6detail17trampoline_kernelINS0_14default_configENS1_38merge_sort_block_merge_config_selectorIalEEZZNS1_27merge_sort_block_merge_implIS3_PaN6thrust23THRUST_200600_302600_NS10device_ptrIlEEjNS1_19radix_merge_compareILb0ELb1EaNS0_19identity_decomposerEEEEE10hipError_tT0_T1_T2_jT3_P12ihipStream_tbPNSt15iterator_traitsISG_E10value_typeEPNSM_ISH_E10value_typeEPSI_NS1_7vsmem_tEENKUlT_SG_SH_SI_E_clIS7_S7_PlSB_EESF_SV_SG_SH_SI_EUlSV_E1_NS1_11comp_targetILNS1_3genE5ELNS1_11target_archE942ELNS1_3gpuE9ELNS1_3repE0EEENS1_36merge_oddeven_config_static_selectorELNS0_4arch9wavefront6targetE1EEEvSH_,"axG",@progbits,_ZN7rocprim17ROCPRIM_400000_NS6detail17trampoline_kernelINS0_14default_configENS1_38merge_sort_block_merge_config_selectorIalEEZZNS1_27merge_sort_block_merge_implIS3_PaN6thrust23THRUST_200600_302600_NS10device_ptrIlEEjNS1_19radix_merge_compareILb0ELb1EaNS0_19identity_decomposerEEEEE10hipError_tT0_T1_T2_jT3_P12ihipStream_tbPNSt15iterator_traitsISG_E10value_typeEPNSM_ISH_E10value_typeEPSI_NS1_7vsmem_tEENKUlT_SG_SH_SI_E_clIS7_S7_PlSB_EESF_SV_SG_SH_SI_EUlSV_E1_NS1_11comp_targetILNS1_3genE5ELNS1_11target_archE942ELNS1_3gpuE9ELNS1_3repE0EEENS1_36merge_oddeven_config_static_selectorELNS0_4arch9wavefront6targetE1EEEvSH_,comdat
.Lfunc_end552:
	.size	_ZN7rocprim17ROCPRIM_400000_NS6detail17trampoline_kernelINS0_14default_configENS1_38merge_sort_block_merge_config_selectorIalEEZZNS1_27merge_sort_block_merge_implIS3_PaN6thrust23THRUST_200600_302600_NS10device_ptrIlEEjNS1_19radix_merge_compareILb0ELb1EaNS0_19identity_decomposerEEEEE10hipError_tT0_T1_T2_jT3_P12ihipStream_tbPNSt15iterator_traitsISG_E10value_typeEPNSM_ISH_E10value_typeEPSI_NS1_7vsmem_tEENKUlT_SG_SH_SI_E_clIS7_S7_PlSB_EESF_SV_SG_SH_SI_EUlSV_E1_NS1_11comp_targetILNS1_3genE5ELNS1_11target_archE942ELNS1_3gpuE9ELNS1_3repE0EEENS1_36merge_oddeven_config_static_selectorELNS0_4arch9wavefront6targetE1EEEvSH_, .Lfunc_end552-_ZN7rocprim17ROCPRIM_400000_NS6detail17trampoline_kernelINS0_14default_configENS1_38merge_sort_block_merge_config_selectorIalEEZZNS1_27merge_sort_block_merge_implIS3_PaN6thrust23THRUST_200600_302600_NS10device_ptrIlEEjNS1_19radix_merge_compareILb0ELb1EaNS0_19identity_decomposerEEEEE10hipError_tT0_T1_T2_jT3_P12ihipStream_tbPNSt15iterator_traitsISG_E10value_typeEPNSM_ISH_E10value_typeEPSI_NS1_7vsmem_tEENKUlT_SG_SH_SI_E_clIS7_S7_PlSB_EESF_SV_SG_SH_SI_EUlSV_E1_NS1_11comp_targetILNS1_3genE5ELNS1_11target_archE942ELNS1_3gpuE9ELNS1_3repE0EEENS1_36merge_oddeven_config_static_selectorELNS0_4arch9wavefront6targetE1EEEvSH_
                                        ; -- End function
	.section	.AMDGPU.csdata,"",@progbits
; Kernel info:
; codeLenInByte = 0
; NumSgprs: 4
; NumVgprs: 0
; NumAgprs: 0
; TotalNumVgprs: 0
; ScratchSize: 0
; MemoryBound: 0
; FloatMode: 240
; IeeeMode: 1
; LDSByteSize: 0 bytes/workgroup (compile time only)
; SGPRBlocks: 0
; VGPRBlocks: 0
; NumSGPRsForWavesPerEU: 4
; NumVGPRsForWavesPerEU: 1
; AccumOffset: 4
; Occupancy: 8
; WaveLimiterHint : 0
; COMPUTE_PGM_RSRC2:SCRATCH_EN: 0
; COMPUTE_PGM_RSRC2:USER_SGPR: 6
; COMPUTE_PGM_RSRC2:TRAP_HANDLER: 0
; COMPUTE_PGM_RSRC2:TGID_X_EN: 1
; COMPUTE_PGM_RSRC2:TGID_Y_EN: 0
; COMPUTE_PGM_RSRC2:TGID_Z_EN: 0
; COMPUTE_PGM_RSRC2:TIDIG_COMP_CNT: 0
; COMPUTE_PGM_RSRC3_GFX90A:ACCUM_OFFSET: 0
; COMPUTE_PGM_RSRC3_GFX90A:TG_SPLIT: 0
	.section	.text._ZN7rocprim17ROCPRIM_400000_NS6detail17trampoline_kernelINS0_14default_configENS1_38merge_sort_block_merge_config_selectorIalEEZZNS1_27merge_sort_block_merge_implIS3_PaN6thrust23THRUST_200600_302600_NS10device_ptrIlEEjNS1_19radix_merge_compareILb0ELb1EaNS0_19identity_decomposerEEEEE10hipError_tT0_T1_T2_jT3_P12ihipStream_tbPNSt15iterator_traitsISG_E10value_typeEPNSM_ISH_E10value_typeEPSI_NS1_7vsmem_tEENKUlT_SG_SH_SI_E_clIS7_S7_PlSB_EESF_SV_SG_SH_SI_EUlSV_E1_NS1_11comp_targetILNS1_3genE4ELNS1_11target_archE910ELNS1_3gpuE8ELNS1_3repE0EEENS1_36merge_oddeven_config_static_selectorELNS0_4arch9wavefront6targetE1EEEvSH_,"axG",@progbits,_ZN7rocprim17ROCPRIM_400000_NS6detail17trampoline_kernelINS0_14default_configENS1_38merge_sort_block_merge_config_selectorIalEEZZNS1_27merge_sort_block_merge_implIS3_PaN6thrust23THRUST_200600_302600_NS10device_ptrIlEEjNS1_19radix_merge_compareILb0ELb1EaNS0_19identity_decomposerEEEEE10hipError_tT0_T1_T2_jT3_P12ihipStream_tbPNSt15iterator_traitsISG_E10value_typeEPNSM_ISH_E10value_typeEPSI_NS1_7vsmem_tEENKUlT_SG_SH_SI_E_clIS7_S7_PlSB_EESF_SV_SG_SH_SI_EUlSV_E1_NS1_11comp_targetILNS1_3genE4ELNS1_11target_archE910ELNS1_3gpuE8ELNS1_3repE0EEENS1_36merge_oddeven_config_static_selectorELNS0_4arch9wavefront6targetE1EEEvSH_,comdat
	.protected	_ZN7rocprim17ROCPRIM_400000_NS6detail17trampoline_kernelINS0_14default_configENS1_38merge_sort_block_merge_config_selectorIalEEZZNS1_27merge_sort_block_merge_implIS3_PaN6thrust23THRUST_200600_302600_NS10device_ptrIlEEjNS1_19radix_merge_compareILb0ELb1EaNS0_19identity_decomposerEEEEE10hipError_tT0_T1_T2_jT3_P12ihipStream_tbPNSt15iterator_traitsISG_E10value_typeEPNSM_ISH_E10value_typeEPSI_NS1_7vsmem_tEENKUlT_SG_SH_SI_E_clIS7_S7_PlSB_EESF_SV_SG_SH_SI_EUlSV_E1_NS1_11comp_targetILNS1_3genE4ELNS1_11target_archE910ELNS1_3gpuE8ELNS1_3repE0EEENS1_36merge_oddeven_config_static_selectorELNS0_4arch9wavefront6targetE1EEEvSH_ ; -- Begin function _ZN7rocprim17ROCPRIM_400000_NS6detail17trampoline_kernelINS0_14default_configENS1_38merge_sort_block_merge_config_selectorIalEEZZNS1_27merge_sort_block_merge_implIS3_PaN6thrust23THRUST_200600_302600_NS10device_ptrIlEEjNS1_19radix_merge_compareILb0ELb1EaNS0_19identity_decomposerEEEEE10hipError_tT0_T1_T2_jT3_P12ihipStream_tbPNSt15iterator_traitsISG_E10value_typeEPNSM_ISH_E10value_typeEPSI_NS1_7vsmem_tEENKUlT_SG_SH_SI_E_clIS7_S7_PlSB_EESF_SV_SG_SH_SI_EUlSV_E1_NS1_11comp_targetILNS1_3genE4ELNS1_11target_archE910ELNS1_3gpuE8ELNS1_3repE0EEENS1_36merge_oddeven_config_static_selectorELNS0_4arch9wavefront6targetE1EEEvSH_
	.globl	_ZN7rocprim17ROCPRIM_400000_NS6detail17trampoline_kernelINS0_14default_configENS1_38merge_sort_block_merge_config_selectorIalEEZZNS1_27merge_sort_block_merge_implIS3_PaN6thrust23THRUST_200600_302600_NS10device_ptrIlEEjNS1_19radix_merge_compareILb0ELb1EaNS0_19identity_decomposerEEEEE10hipError_tT0_T1_T2_jT3_P12ihipStream_tbPNSt15iterator_traitsISG_E10value_typeEPNSM_ISH_E10value_typeEPSI_NS1_7vsmem_tEENKUlT_SG_SH_SI_E_clIS7_S7_PlSB_EESF_SV_SG_SH_SI_EUlSV_E1_NS1_11comp_targetILNS1_3genE4ELNS1_11target_archE910ELNS1_3gpuE8ELNS1_3repE0EEENS1_36merge_oddeven_config_static_selectorELNS0_4arch9wavefront6targetE1EEEvSH_
	.p2align	8
	.type	_ZN7rocprim17ROCPRIM_400000_NS6detail17trampoline_kernelINS0_14default_configENS1_38merge_sort_block_merge_config_selectorIalEEZZNS1_27merge_sort_block_merge_implIS3_PaN6thrust23THRUST_200600_302600_NS10device_ptrIlEEjNS1_19radix_merge_compareILb0ELb1EaNS0_19identity_decomposerEEEEE10hipError_tT0_T1_T2_jT3_P12ihipStream_tbPNSt15iterator_traitsISG_E10value_typeEPNSM_ISH_E10value_typeEPSI_NS1_7vsmem_tEENKUlT_SG_SH_SI_E_clIS7_S7_PlSB_EESF_SV_SG_SH_SI_EUlSV_E1_NS1_11comp_targetILNS1_3genE4ELNS1_11target_archE910ELNS1_3gpuE8ELNS1_3repE0EEENS1_36merge_oddeven_config_static_selectorELNS0_4arch9wavefront6targetE1EEEvSH_,@function
_ZN7rocprim17ROCPRIM_400000_NS6detail17trampoline_kernelINS0_14default_configENS1_38merge_sort_block_merge_config_selectorIalEEZZNS1_27merge_sort_block_merge_implIS3_PaN6thrust23THRUST_200600_302600_NS10device_ptrIlEEjNS1_19radix_merge_compareILb0ELb1EaNS0_19identity_decomposerEEEEE10hipError_tT0_T1_T2_jT3_P12ihipStream_tbPNSt15iterator_traitsISG_E10value_typeEPNSM_ISH_E10value_typeEPSI_NS1_7vsmem_tEENKUlT_SG_SH_SI_E_clIS7_S7_PlSB_EESF_SV_SG_SH_SI_EUlSV_E1_NS1_11comp_targetILNS1_3genE4ELNS1_11target_archE910ELNS1_3gpuE8ELNS1_3repE0EEENS1_36merge_oddeven_config_static_selectorELNS0_4arch9wavefront6targetE1EEEvSH_: ; @_ZN7rocprim17ROCPRIM_400000_NS6detail17trampoline_kernelINS0_14default_configENS1_38merge_sort_block_merge_config_selectorIalEEZZNS1_27merge_sort_block_merge_implIS3_PaN6thrust23THRUST_200600_302600_NS10device_ptrIlEEjNS1_19radix_merge_compareILb0ELb1EaNS0_19identity_decomposerEEEEE10hipError_tT0_T1_T2_jT3_P12ihipStream_tbPNSt15iterator_traitsISG_E10value_typeEPNSM_ISH_E10value_typeEPSI_NS1_7vsmem_tEENKUlT_SG_SH_SI_E_clIS7_S7_PlSB_EESF_SV_SG_SH_SI_EUlSV_E1_NS1_11comp_targetILNS1_3genE4ELNS1_11target_archE910ELNS1_3gpuE8ELNS1_3repE0EEENS1_36merge_oddeven_config_static_selectorELNS0_4arch9wavefront6targetE1EEEvSH_
; %bb.0:
	s_load_dword s21, s[4:5], 0x20
	s_waitcnt lgkmcnt(0)
	s_lshr_b32 s2, s21, 8
	s_cmp_lg_u32 s6, s2
	s_cselect_b64 s[0:1], -1, 0
	s_cmp_eq_u32 s6, s2
	s_cselect_b64 s[16:17], -1, 0
	s_lshl_b32 s18, s6, 8
	s_sub_i32 s2, s21, s18
	v_cmp_gt_u32_e64 s[2:3], s2, v0
	s_or_b64 s[0:1], s[0:1], s[2:3]
	s_and_saveexec_b64 s[8:9], s[0:1]
	s_cbranch_execz .LBB553_26
; %bb.1:
	s_load_dwordx8 s[8:15], s[4:5], 0x0
	s_mov_b32 s19, 0
	v_lshlrev_b32_e32 v1, 3, v0
	v_add_u32_e32 v4, s18, v0
	s_waitcnt lgkmcnt(0)
	s_add_u32 s0, s8, s18
	s_addc_u32 s1, s9, 0
	s_lshl_b64 s[22:23], s[18:19], 3
	s_add_u32 s12, s12, s22
	s_addc_u32 s13, s13, s23
	global_load_dwordx2 v[2:3], v1, s[12:13]
	global_load_ubyte v6, v0, s[0:1]
	s_load_dword s22, s[4:5], 0x24
	s_waitcnt lgkmcnt(0)
	s_lshr_b32 s0, s22, 8
	s_sub_i32 s1, 0, s0
	s_and_b32 s1, s6, s1
	s_and_b32 s0, s1, s0
	s_lshl_b32 s23, s1, 8
	s_sub_i32 s12, 0, s22
	s_cmp_eq_u32 s0, 0
	s_cselect_b64 s[0:1], -1, 0
	s_and_b64 s[6:7], s[0:1], exec
	s_cselect_b32 s20, s22, s12
	s_add_i32 s20, s20, s23
	s_cmp_lt_u32 s20, s21
	s_cbranch_scc1 .LBB553_6
; %bb.2:
	s_and_b64 vcc, exec, s[16:17]
	s_cbranch_vccz .LBB553_7
; %bb.3:
	v_cmp_gt_u32_e32 vcc, s21, v4
	s_mov_b64 s[12:13], 0
	s_mov_b64 s[6:7], 0
                                        ; implicit-def: $vgpr0_vgpr1
	s_and_saveexec_b64 s[18:19], vcc
	s_cbranch_execz .LBB553_5
; %bb.4:
	v_mov_b32_e32 v5, 0
	v_lshlrev_b64 v[0:1], 3, v[4:5]
	v_mov_b32_e32 v5, s15
	v_add_co_u32_e32 v0, vcc, s14, v0
	s_mov_b64 s[6:7], exec
	v_addc_co_u32_e32 v1, vcc, v5, v1, vcc
	s_waitcnt vmcnt(0)
	global_store_byte v4, v6, s[10:11]
.LBB553_5:
	s_or_b64 exec, exec, s[18:19]
	s_and_b64 vcc, exec, s[12:13]
	s_cbranch_vccnz .LBB553_8
	s_branch .LBB553_9
.LBB553_6:
	s_mov_b64 s[6:7], 0
                                        ; implicit-def: $vgpr0_vgpr1
	s_cbranch_execnz .LBB553_10
	s_branch .LBB553_24
.LBB553_7:
	s_mov_b64 s[6:7], 0
                                        ; implicit-def: $vgpr0_vgpr1
	s_cbranch_execz .LBB553_9
.LBB553_8:
	v_mov_b32_e32 v5, 0
	v_lshlrev_b64 v[0:1], 3, v[4:5]
	v_mov_b32_e32 v5, s15
	v_add_co_u32_e32 v0, vcc, s14, v0
	v_addc_co_u32_e32 v1, vcc, v5, v1, vcc
	s_or_b64 s[6:7], s[6:7], exec
	s_waitcnt vmcnt(0)
	global_store_byte v4, v6, s[10:11]
.LBB553_9:
	s_branch .LBB553_24
.LBB553_10:
	s_load_dword s12, s[4:5], 0x28
	s_min_u32 s13, s20, s21
	s_add_i32 s4, s13, s22
	s_min_u32 s18, s4, s21
	s_min_u32 s4, s23, s13
	s_add_i32 s23, s23, s13
	v_subrev_u32_e32 v0, s23, v4
	v_add_u32_e32 v4, s4, v0
	s_and_b64 vcc, exec, s[16:17]
	s_cbranch_vccz .LBB553_18
; %bb.11:
                                        ; implicit-def: $vgpr0_vgpr1
	s_and_saveexec_b64 s[4:5], s[2:3]
	s_cbranch_execz .LBB553_17
; %bb.12:
	s_cmp_ge_u32 s20, s18
	v_mov_b32_e32 v0, s13
	s_cbranch_scc1 .LBB553_16
; %bb.13:
	s_waitcnt vmcnt(0) lgkmcnt(0)
	v_and_b32_e32 v1, s12, v6
	s_mov_b64 s[2:3], 0
	v_mov_b32_e32 v5, s18
	v_mov_b32_e32 v0, s13
.LBB553_14:                             ; =>This Inner Loop Header: Depth=1
	v_add_u32_e32 v7, v0, v5
	v_lshrrev_b32_e32 v7, 1, v7
	global_load_ubyte v8, v7, s[8:9]
	v_add_u32_e32 v9, 1, v7
	s_waitcnt vmcnt(0)
	v_and_b32_e32 v8, s12, v8
	v_bfe_i32 v8, v8, 0, 8
	v_cmp_gt_i16_sdwa s[16:17], sext(v1), v8 src0_sel:BYTE_0 src1_sel:DWORD
	v_cndmask_b32_e64 v10, 0, 1, s[16:17]
	v_cmp_le_i16_sdwa s[16:17], v8, sext(v1) src0_sel:DWORD src1_sel:BYTE_0
	v_cndmask_b32_e64 v8, 0, 1, s[16:17]
	v_cndmask_b32_e64 v8, v8, v10, s[0:1]
	v_and_b32_e32 v8, 1, v8
	v_cmp_eq_u32_e32 vcc, 1, v8
	v_cndmask_b32_e32 v5, v7, v5, vcc
	v_cndmask_b32_e32 v0, v0, v9, vcc
	v_cmp_ge_u32_e32 vcc, v0, v5
	s_or_b64 s[2:3], vcc, s[2:3]
	s_andn2_b64 exec, exec, s[2:3]
	s_cbranch_execnz .LBB553_14
; %bb.15:
	s_or_b64 exec, exec, s[2:3]
.LBB553_16:
	v_add_u32_e32 v0, v0, v4
	v_mov_b32_e32 v1, 0
	s_waitcnt vmcnt(0)
	global_store_byte v0, v6, s[10:11]
	v_lshlrev_b64 v[0:1], 3, v[0:1]
	v_mov_b32_e32 v5, s15
	v_add_co_u32_e32 v0, vcc, s14, v0
	v_addc_co_u32_e32 v1, vcc, v5, v1, vcc
	s_or_b64 s[6:7], s[6:7], exec
.LBB553_17:
	s_or_b64 exec, exec, s[4:5]
	s_branch .LBB553_24
.LBB553_18:
                                        ; implicit-def: $vgpr0_vgpr1
	s_cbranch_execz .LBB553_24
; %bb.19:
	s_cmp_ge_u32 s20, s18
	v_mov_b32_e32 v0, s13
	s_cbranch_scc1 .LBB553_23
; %bb.20:
	s_waitcnt vmcnt(0) lgkmcnt(0)
	v_and_b32_e32 v1, s12, v6
	s_mov_b64 s[2:3], 0
	v_mov_b32_e32 v5, s18
	v_mov_b32_e32 v0, s13
.LBB553_21:                             ; =>This Inner Loop Header: Depth=1
	v_add_u32_e32 v7, v0, v5
	v_lshrrev_b32_e32 v7, 1, v7
	global_load_ubyte v8, v7, s[8:9]
	v_add_u32_e32 v9, 1, v7
	s_waitcnt vmcnt(0)
	v_and_b32_e32 v8, s12, v8
	v_bfe_i32 v8, v8, 0, 8
	v_cmp_gt_i16_sdwa s[4:5], sext(v1), v8 src0_sel:BYTE_0 src1_sel:DWORD
	v_cndmask_b32_e64 v10, 0, 1, s[4:5]
	v_cmp_le_i16_sdwa s[4:5], v8, sext(v1) src0_sel:DWORD src1_sel:BYTE_0
	v_cndmask_b32_e64 v8, 0, 1, s[4:5]
	v_cndmask_b32_e64 v8, v8, v10, s[0:1]
	v_and_b32_e32 v8, 1, v8
	v_cmp_eq_u32_e32 vcc, 1, v8
	v_cndmask_b32_e32 v5, v7, v5, vcc
	v_cndmask_b32_e32 v0, v0, v9, vcc
	v_cmp_ge_u32_e32 vcc, v0, v5
	s_or_b64 s[2:3], vcc, s[2:3]
	s_andn2_b64 exec, exec, s[2:3]
	s_cbranch_execnz .LBB553_21
; %bb.22:
	s_or_b64 exec, exec, s[2:3]
.LBB553_23:
	v_add_u32_e32 v0, v0, v4
	v_mov_b32_e32 v1, 0
	s_waitcnt vmcnt(0)
	global_store_byte v0, v6, s[10:11]
	v_lshlrev_b64 v[0:1], 3, v[0:1]
	v_mov_b32_e32 v4, s15
	v_add_co_u32_e32 v0, vcc, s14, v0
	v_addc_co_u32_e32 v1, vcc, v4, v1, vcc
	s_mov_b64 s[6:7], -1
.LBB553_24:
	s_and_b64 exec, exec, s[6:7]
	s_cbranch_execz .LBB553_26
; %bb.25:
	s_waitcnt vmcnt(1)
	global_store_dwordx2 v[0:1], v[2:3], off
.LBB553_26:
	s_endpgm
	.section	.rodata,"a",@progbits
	.p2align	6, 0x0
	.amdhsa_kernel _ZN7rocprim17ROCPRIM_400000_NS6detail17trampoline_kernelINS0_14default_configENS1_38merge_sort_block_merge_config_selectorIalEEZZNS1_27merge_sort_block_merge_implIS3_PaN6thrust23THRUST_200600_302600_NS10device_ptrIlEEjNS1_19radix_merge_compareILb0ELb1EaNS0_19identity_decomposerEEEEE10hipError_tT0_T1_T2_jT3_P12ihipStream_tbPNSt15iterator_traitsISG_E10value_typeEPNSM_ISH_E10value_typeEPSI_NS1_7vsmem_tEENKUlT_SG_SH_SI_E_clIS7_S7_PlSB_EESF_SV_SG_SH_SI_EUlSV_E1_NS1_11comp_targetILNS1_3genE4ELNS1_11target_archE910ELNS1_3gpuE8ELNS1_3repE0EEENS1_36merge_oddeven_config_static_selectorELNS0_4arch9wavefront6targetE1EEEvSH_
		.amdhsa_group_segment_fixed_size 0
		.amdhsa_private_segment_fixed_size 0
		.amdhsa_kernarg_size 48
		.amdhsa_user_sgpr_count 6
		.amdhsa_user_sgpr_private_segment_buffer 1
		.amdhsa_user_sgpr_dispatch_ptr 0
		.amdhsa_user_sgpr_queue_ptr 0
		.amdhsa_user_sgpr_kernarg_segment_ptr 1
		.amdhsa_user_sgpr_dispatch_id 0
		.amdhsa_user_sgpr_flat_scratch_init 0
		.amdhsa_user_sgpr_kernarg_preload_length 0
		.amdhsa_user_sgpr_kernarg_preload_offset 0
		.amdhsa_user_sgpr_private_segment_size 0
		.amdhsa_uses_dynamic_stack 0
		.amdhsa_system_sgpr_private_segment_wavefront_offset 0
		.amdhsa_system_sgpr_workgroup_id_x 1
		.amdhsa_system_sgpr_workgroup_id_y 0
		.amdhsa_system_sgpr_workgroup_id_z 0
		.amdhsa_system_sgpr_workgroup_info 0
		.amdhsa_system_vgpr_workitem_id 0
		.amdhsa_next_free_vgpr 11
		.amdhsa_next_free_sgpr 24
		.amdhsa_accum_offset 12
		.amdhsa_reserve_vcc 1
		.amdhsa_reserve_flat_scratch 0
		.amdhsa_float_round_mode_32 0
		.amdhsa_float_round_mode_16_64 0
		.amdhsa_float_denorm_mode_32 3
		.amdhsa_float_denorm_mode_16_64 3
		.amdhsa_dx10_clamp 1
		.amdhsa_ieee_mode 1
		.amdhsa_fp16_overflow 0
		.amdhsa_tg_split 0
		.amdhsa_exception_fp_ieee_invalid_op 0
		.amdhsa_exception_fp_denorm_src 0
		.amdhsa_exception_fp_ieee_div_zero 0
		.amdhsa_exception_fp_ieee_overflow 0
		.amdhsa_exception_fp_ieee_underflow 0
		.amdhsa_exception_fp_ieee_inexact 0
		.amdhsa_exception_int_div_zero 0
	.end_amdhsa_kernel
	.section	.text._ZN7rocprim17ROCPRIM_400000_NS6detail17trampoline_kernelINS0_14default_configENS1_38merge_sort_block_merge_config_selectorIalEEZZNS1_27merge_sort_block_merge_implIS3_PaN6thrust23THRUST_200600_302600_NS10device_ptrIlEEjNS1_19radix_merge_compareILb0ELb1EaNS0_19identity_decomposerEEEEE10hipError_tT0_T1_T2_jT3_P12ihipStream_tbPNSt15iterator_traitsISG_E10value_typeEPNSM_ISH_E10value_typeEPSI_NS1_7vsmem_tEENKUlT_SG_SH_SI_E_clIS7_S7_PlSB_EESF_SV_SG_SH_SI_EUlSV_E1_NS1_11comp_targetILNS1_3genE4ELNS1_11target_archE910ELNS1_3gpuE8ELNS1_3repE0EEENS1_36merge_oddeven_config_static_selectorELNS0_4arch9wavefront6targetE1EEEvSH_,"axG",@progbits,_ZN7rocprim17ROCPRIM_400000_NS6detail17trampoline_kernelINS0_14default_configENS1_38merge_sort_block_merge_config_selectorIalEEZZNS1_27merge_sort_block_merge_implIS3_PaN6thrust23THRUST_200600_302600_NS10device_ptrIlEEjNS1_19radix_merge_compareILb0ELb1EaNS0_19identity_decomposerEEEEE10hipError_tT0_T1_T2_jT3_P12ihipStream_tbPNSt15iterator_traitsISG_E10value_typeEPNSM_ISH_E10value_typeEPSI_NS1_7vsmem_tEENKUlT_SG_SH_SI_E_clIS7_S7_PlSB_EESF_SV_SG_SH_SI_EUlSV_E1_NS1_11comp_targetILNS1_3genE4ELNS1_11target_archE910ELNS1_3gpuE8ELNS1_3repE0EEENS1_36merge_oddeven_config_static_selectorELNS0_4arch9wavefront6targetE1EEEvSH_,comdat
.Lfunc_end553:
	.size	_ZN7rocprim17ROCPRIM_400000_NS6detail17trampoline_kernelINS0_14default_configENS1_38merge_sort_block_merge_config_selectorIalEEZZNS1_27merge_sort_block_merge_implIS3_PaN6thrust23THRUST_200600_302600_NS10device_ptrIlEEjNS1_19radix_merge_compareILb0ELb1EaNS0_19identity_decomposerEEEEE10hipError_tT0_T1_T2_jT3_P12ihipStream_tbPNSt15iterator_traitsISG_E10value_typeEPNSM_ISH_E10value_typeEPSI_NS1_7vsmem_tEENKUlT_SG_SH_SI_E_clIS7_S7_PlSB_EESF_SV_SG_SH_SI_EUlSV_E1_NS1_11comp_targetILNS1_3genE4ELNS1_11target_archE910ELNS1_3gpuE8ELNS1_3repE0EEENS1_36merge_oddeven_config_static_selectorELNS0_4arch9wavefront6targetE1EEEvSH_, .Lfunc_end553-_ZN7rocprim17ROCPRIM_400000_NS6detail17trampoline_kernelINS0_14default_configENS1_38merge_sort_block_merge_config_selectorIalEEZZNS1_27merge_sort_block_merge_implIS3_PaN6thrust23THRUST_200600_302600_NS10device_ptrIlEEjNS1_19radix_merge_compareILb0ELb1EaNS0_19identity_decomposerEEEEE10hipError_tT0_T1_T2_jT3_P12ihipStream_tbPNSt15iterator_traitsISG_E10value_typeEPNSM_ISH_E10value_typeEPSI_NS1_7vsmem_tEENKUlT_SG_SH_SI_E_clIS7_S7_PlSB_EESF_SV_SG_SH_SI_EUlSV_E1_NS1_11comp_targetILNS1_3genE4ELNS1_11target_archE910ELNS1_3gpuE8ELNS1_3repE0EEENS1_36merge_oddeven_config_static_selectorELNS0_4arch9wavefront6targetE1EEEvSH_
                                        ; -- End function
	.section	.AMDGPU.csdata,"",@progbits
; Kernel info:
; codeLenInByte = 796
; NumSgprs: 28
; NumVgprs: 11
; NumAgprs: 0
; TotalNumVgprs: 11
; ScratchSize: 0
; MemoryBound: 0
; FloatMode: 240
; IeeeMode: 1
; LDSByteSize: 0 bytes/workgroup (compile time only)
; SGPRBlocks: 3
; VGPRBlocks: 1
; NumSGPRsForWavesPerEU: 28
; NumVGPRsForWavesPerEU: 11
; AccumOffset: 12
; Occupancy: 8
; WaveLimiterHint : 0
; COMPUTE_PGM_RSRC2:SCRATCH_EN: 0
; COMPUTE_PGM_RSRC2:USER_SGPR: 6
; COMPUTE_PGM_RSRC2:TRAP_HANDLER: 0
; COMPUTE_PGM_RSRC2:TGID_X_EN: 1
; COMPUTE_PGM_RSRC2:TGID_Y_EN: 0
; COMPUTE_PGM_RSRC2:TGID_Z_EN: 0
; COMPUTE_PGM_RSRC2:TIDIG_COMP_CNT: 0
; COMPUTE_PGM_RSRC3_GFX90A:ACCUM_OFFSET: 2
; COMPUTE_PGM_RSRC3_GFX90A:TG_SPLIT: 0
	.section	.text._ZN7rocprim17ROCPRIM_400000_NS6detail17trampoline_kernelINS0_14default_configENS1_38merge_sort_block_merge_config_selectorIalEEZZNS1_27merge_sort_block_merge_implIS3_PaN6thrust23THRUST_200600_302600_NS10device_ptrIlEEjNS1_19radix_merge_compareILb0ELb1EaNS0_19identity_decomposerEEEEE10hipError_tT0_T1_T2_jT3_P12ihipStream_tbPNSt15iterator_traitsISG_E10value_typeEPNSM_ISH_E10value_typeEPSI_NS1_7vsmem_tEENKUlT_SG_SH_SI_E_clIS7_S7_PlSB_EESF_SV_SG_SH_SI_EUlSV_E1_NS1_11comp_targetILNS1_3genE3ELNS1_11target_archE908ELNS1_3gpuE7ELNS1_3repE0EEENS1_36merge_oddeven_config_static_selectorELNS0_4arch9wavefront6targetE1EEEvSH_,"axG",@progbits,_ZN7rocprim17ROCPRIM_400000_NS6detail17trampoline_kernelINS0_14default_configENS1_38merge_sort_block_merge_config_selectorIalEEZZNS1_27merge_sort_block_merge_implIS3_PaN6thrust23THRUST_200600_302600_NS10device_ptrIlEEjNS1_19radix_merge_compareILb0ELb1EaNS0_19identity_decomposerEEEEE10hipError_tT0_T1_T2_jT3_P12ihipStream_tbPNSt15iterator_traitsISG_E10value_typeEPNSM_ISH_E10value_typeEPSI_NS1_7vsmem_tEENKUlT_SG_SH_SI_E_clIS7_S7_PlSB_EESF_SV_SG_SH_SI_EUlSV_E1_NS1_11comp_targetILNS1_3genE3ELNS1_11target_archE908ELNS1_3gpuE7ELNS1_3repE0EEENS1_36merge_oddeven_config_static_selectorELNS0_4arch9wavefront6targetE1EEEvSH_,comdat
	.protected	_ZN7rocprim17ROCPRIM_400000_NS6detail17trampoline_kernelINS0_14default_configENS1_38merge_sort_block_merge_config_selectorIalEEZZNS1_27merge_sort_block_merge_implIS3_PaN6thrust23THRUST_200600_302600_NS10device_ptrIlEEjNS1_19radix_merge_compareILb0ELb1EaNS0_19identity_decomposerEEEEE10hipError_tT0_T1_T2_jT3_P12ihipStream_tbPNSt15iterator_traitsISG_E10value_typeEPNSM_ISH_E10value_typeEPSI_NS1_7vsmem_tEENKUlT_SG_SH_SI_E_clIS7_S7_PlSB_EESF_SV_SG_SH_SI_EUlSV_E1_NS1_11comp_targetILNS1_3genE3ELNS1_11target_archE908ELNS1_3gpuE7ELNS1_3repE0EEENS1_36merge_oddeven_config_static_selectorELNS0_4arch9wavefront6targetE1EEEvSH_ ; -- Begin function _ZN7rocprim17ROCPRIM_400000_NS6detail17trampoline_kernelINS0_14default_configENS1_38merge_sort_block_merge_config_selectorIalEEZZNS1_27merge_sort_block_merge_implIS3_PaN6thrust23THRUST_200600_302600_NS10device_ptrIlEEjNS1_19radix_merge_compareILb0ELb1EaNS0_19identity_decomposerEEEEE10hipError_tT0_T1_T2_jT3_P12ihipStream_tbPNSt15iterator_traitsISG_E10value_typeEPNSM_ISH_E10value_typeEPSI_NS1_7vsmem_tEENKUlT_SG_SH_SI_E_clIS7_S7_PlSB_EESF_SV_SG_SH_SI_EUlSV_E1_NS1_11comp_targetILNS1_3genE3ELNS1_11target_archE908ELNS1_3gpuE7ELNS1_3repE0EEENS1_36merge_oddeven_config_static_selectorELNS0_4arch9wavefront6targetE1EEEvSH_
	.globl	_ZN7rocprim17ROCPRIM_400000_NS6detail17trampoline_kernelINS0_14default_configENS1_38merge_sort_block_merge_config_selectorIalEEZZNS1_27merge_sort_block_merge_implIS3_PaN6thrust23THRUST_200600_302600_NS10device_ptrIlEEjNS1_19radix_merge_compareILb0ELb1EaNS0_19identity_decomposerEEEEE10hipError_tT0_T1_T2_jT3_P12ihipStream_tbPNSt15iterator_traitsISG_E10value_typeEPNSM_ISH_E10value_typeEPSI_NS1_7vsmem_tEENKUlT_SG_SH_SI_E_clIS7_S7_PlSB_EESF_SV_SG_SH_SI_EUlSV_E1_NS1_11comp_targetILNS1_3genE3ELNS1_11target_archE908ELNS1_3gpuE7ELNS1_3repE0EEENS1_36merge_oddeven_config_static_selectorELNS0_4arch9wavefront6targetE1EEEvSH_
	.p2align	8
	.type	_ZN7rocprim17ROCPRIM_400000_NS6detail17trampoline_kernelINS0_14default_configENS1_38merge_sort_block_merge_config_selectorIalEEZZNS1_27merge_sort_block_merge_implIS3_PaN6thrust23THRUST_200600_302600_NS10device_ptrIlEEjNS1_19radix_merge_compareILb0ELb1EaNS0_19identity_decomposerEEEEE10hipError_tT0_T1_T2_jT3_P12ihipStream_tbPNSt15iterator_traitsISG_E10value_typeEPNSM_ISH_E10value_typeEPSI_NS1_7vsmem_tEENKUlT_SG_SH_SI_E_clIS7_S7_PlSB_EESF_SV_SG_SH_SI_EUlSV_E1_NS1_11comp_targetILNS1_3genE3ELNS1_11target_archE908ELNS1_3gpuE7ELNS1_3repE0EEENS1_36merge_oddeven_config_static_selectorELNS0_4arch9wavefront6targetE1EEEvSH_,@function
_ZN7rocprim17ROCPRIM_400000_NS6detail17trampoline_kernelINS0_14default_configENS1_38merge_sort_block_merge_config_selectorIalEEZZNS1_27merge_sort_block_merge_implIS3_PaN6thrust23THRUST_200600_302600_NS10device_ptrIlEEjNS1_19radix_merge_compareILb0ELb1EaNS0_19identity_decomposerEEEEE10hipError_tT0_T1_T2_jT3_P12ihipStream_tbPNSt15iterator_traitsISG_E10value_typeEPNSM_ISH_E10value_typeEPSI_NS1_7vsmem_tEENKUlT_SG_SH_SI_E_clIS7_S7_PlSB_EESF_SV_SG_SH_SI_EUlSV_E1_NS1_11comp_targetILNS1_3genE3ELNS1_11target_archE908ELNS1_3gpuE7ELNS1_3repE0EEENS1_36merge_oddeven_config_static_selectorELNS0_4arch9wavefront6targetE1EEEvSH_: ; @_ZN7rocprim17ROCPRIM_400000_NS6detail17trampoline_kernelINS0_14default_configENS1_38merge_sort_block_merge_config_selectorIalEEZZNS1_27merge_sort_block_merge_implIS3_PaN6thrust23THRUST_200600_302600_NS10device_ptrIlEEjNS1_19radix_merge_compareILb0ELb1EaNS0_19identity_decomposerEEEEE10hipError_tT0_T1_T2_jT3_P12ihipStream_tbPNSt15iterator_traitsISG_E10value_typeEPNSM_ISH_E10value_typeEPSI_NS1_7vsmem_tEENKUlT_SG_SH_SI_E_clIS7_S7_PlSB_EESF_SV_SG_SH_SI_EUlSV_E1_NS1_11comp_targetILNS1_3genE3ELNS1_11target_archE908ELNS1_3gpuE7ELNS1_3repE0EEENS1_36merge_oddeven_config_static_selectorELNS0_4arch9wavefront6targetE1EEEvSH_
; %bb.0:
	.section	.rodata,"a",@progbits
	.p2align	6, 0x0
	.amdhsa_kernel _ZN7rocprim17ROCPRIM_400000_NS6detail17trampoline_kernelINS0_14default_configENS1_38merge_sort_block_merge_config_selectorIalEEZZNS1_27merge_sort_block_merge_implIS3_PaN6thrust23THRUST_200600_302600_NS10device_ptrIlEEjNS1_19radix_merge_compareILb0ELb1EaNS0_19identity_decomposerEEEEE10hipError_tT0_T1_T2_jT3_P12ihipStream_tbPNSt15iterator_traitsISG_E10value_typeEPNSM_ISH_E10value_typeEPSI_NS1_7vsmem_tEENKUlT_SG_SH_SI_E_clIS7_S7_PlSB_EESF_SV_SG_SH_SI_EUlSV_E1_NS1_11comp_targetILNS1_3genE3ELNS1_11target_archE908ELNS1_3gpuE7ELNS1_3repE0EEENS1_36merge_oddeven_config_static_selectorELNS0_4arch9wavefront6targetE1EEEvSH_
		.amdhsa_group_segment_fixed_size 0
		.amdhsa_private_segment_fixed_size 0
		.amdhsa_kernarg_size 48
		.amdhsa_user_sgpr_count 6
		.amdhsa_user_sgpr_private_segment_buffer 1
		.amdhsa_user_sgpr_dispatch_ptr 0
		.amdhsa_user_sgpr_queue_ptr 0
		.amdhsa_user_sgpr_kernarg_segment_ptr 1
		.amdhsa_user_sgpr_dispatch_id 0
		.amdhsa_user_sgpr_flat_scratch_init 0
		.amdhsa_user_sgpr_kernarg_preload_length 0
		.amdhsa_user_sgpr_kernarg_preload_offset 0
		.amdhsa_user_sgpr_private_segment_size 0
		.amdhsa_uses_dynamic_stack 0
		.amdhsa_system_sgpr_private_segment_wavefront_offset 0
		.amdhsa_system_sgpr_workgroup_id_x 1
		.amdhsa_system_sgpr_workgroup_id_y 0
		.amdhsa_system_sgpr_workgroup_id_z 0
		.amdhsa_system_sgpr_workgroup_info 0
		.amdhsa_system_vgpr_workitem_id 0
		.amdhsa_next_free_vgpr 1
		.amdhsa_next_free_sgpr 0
		.amdhsa_accum_offset 4
		.amdhsa_reserve_vcc 0
		.amdhsa_reserve_flat_scratch 0
		.amdhsa_float_round_mode_32 0
		.amdhsa_float_round_mode_16_64 0
		.amdhsa_float_denorm_mode_32 3
		.amdhsa_float_denorm_mode_16_64 3
		.amdhsa_dx10_clamp 1
		.amdhsa_ieee_mode 1
		.amdhsa_fp16_overflow 0
		.amdhsa_tg_split 0
		.amdhsa_exception_fp_ieee_invalid_op 0
		.amdhsa_exception_fp_denorm_src 0
		.amdhsa_exception_fp_ieee_div_zero 0
		.amdhsa_exception_fp_ieee_overflow 0
		.amdhsa_exception_fp_ieee_underflow 0
		.amdhsa_exception_fp_ieee_inexact 0
		.amdhsa_exception_int_div_zero 0
	.end_amdhsa_kernel
	.section	.text._ZN7rocprim17ROCPRIM_400000_NS6detail17trampoline_kernelINS0_14default_configENS1_38merge_sort_block_merge_config_selectorIalEEZZNS1_27merge_sort_block_merge_implIS3_PaN6thrust23THRUST_200600_302600_NS10device_ptrIlEEjNS1_19radix_merge_compareILb0ELb1EaNS0_19identity_decomposerEEEEE10hipError_tT0_T1_T2_jT3_P12ihipStream_tbPNSt15iterator_traitsISG_E10value_typeEPNSM_ISH_E10value_typeEPSI_NS1_7vsmem_tEENKUlT_SG_SH_SI_E_clIS7_S7_PlSB_EESF_SV_SG_SH_SI_EUlSV_E1_NS1_11comp_targetILNS1_3genE3ELNS1_11target_archE908ELNS1_3gpuE7ELNS1_3repE0EEENS1_36merge_oddeven_config_static_selectorELNS0_4arch9wavefront6targetE1EEEvSH_,"axG",@progbits,_ZN7rocprim17ROCPRIM_400000_NS6detail17trampoline_kernelINS0_14default_configENS1_38merge_sort_block_merge_config_selectorIalEEZZNS1_27merge_sort_block_merge_implIS3_PaN6thrust23THRUST_200600_302600_NS10device_ptrIlEEjNS1_19radix_merge_compareILb0ELb1EaNS0_19identity_decomposerEEEEE10hipError_tT0_T1_T2_jT3_P12ihipStream_tbPNSt15iterator_traitsISG_E10value_typeEPNSM_ISH_E10value_typeEPSI_NS1_7vsmem_tEENKUlT_SG_SH_SI_E_clIS7_S7_PlSB_EESF_SV_SG_SH_SI_EUlSV_E1_NS1_11comp_targetILNS1_3genE3ELNS1_11target_archE908ELNS1_3gpuE7ELNS1_3repE0EEENS1_36merge_oddeven_config_static_selectorELNS0_4arch9wavefront6targetE1EEEvSH_,comdat
.Lfunc_end554:
	.size	_ZN7rocprim17ROCPRIM_400000_NS6detail17trampoline_kernelINS0_14default_configENS1_38merge_sort_block_merge_config_selectorIalEEZZNS1_27merge_sort_block_merge_implIS3_PaN6thrust23THRUST_200600_302600_NS10device_ptrIlEEjNS1_19radix_merge_compareILb0ELb1EaNS0_19identity_decomposerEEEEE10hipError_tT0_T1_T2_jT3_P12ihipStream_tbPNSt15iterator_traitsISG_E10value_typeEPNSM_ISH_E10value_typeEPSI_NS1_7vsmem_tEENKUlT_SG_SH_SI_E_clIS7_S7_PlSB_EESF_SV_SG_SH_SI_EUlSV_E1_NS1_11comp_targetILNS1_3genE3ELNS1_11target_archE908ELNS1_3gpuE7ELNS1_3repE0EEENS1_36merge_oddeven_config_static_selectorELNS0_4arch9wavefront6targetE1EEEvSH_, .Lfunc_end554-_ZN7rocprim17ROCPRIM_400000_NS6detail17trampoline_kernelINS0_14default_configENS1_38merge_sort_block_merge_config_selectorIalEEZZNS1_27merge_sort_block_merge_implIS3_PaN6thrust23THRUST_200600_302600_NS10device_ptrIlEEjNS1_19radix_merge_compareILb0ELb1EaNS0_19identity_decomposerEEEEE10hipError_tT0_T1_T2_jT3_P12ihipStream_tbPNSt15iterator_traitsISG_E10value_typeEPNSM_ISH_E10value_typeEPSI_NS1_7vsmem_tEENKUlT_SG_SH_SI_E_clIS7_S7_PlSB_EESF_SV_SG_SH_SI_EUlSV_E1_NS1_11comp_targetILNS1_3genE3ELNS1_11target_archE908ELNS1_3gpuE7ELNS1_3repE0EEENS1_36merge_oddeven_config_static_selectorELNS0_4arch9wavefront6targetE1EEEvSH_
                                        ; -- End function
	.section	.AMDGPU.csdata,"",@progbits
; Kernel info:
; codeLenInByte = 0
; NumSgprs: 4
; NumVgprs: 0
; NumAgprs: 0
; TotalNumVgprs: 0
; ScratchSize: 0
; MemoryBound: 0
; FloatMode: 240
; IeeeMode: 1
; LDSByteSize: 0 bytes/workgroup (compile time only)
; SGPRBlocks: 0
; VGPRBlocks: 0
; NumSGPRsForWavesPerEU: 4
; NumVGPRsForWavesPerEU: 1
; AccumOffset: 4
; Occupancy: 8
; WaveLimiterHint : 0
; COMPUTE_PGM_RSRC2:SCRATCH_EN: 0
; COMPUTE_PGM_RSRC2:USER_SGPR: 6
; COMPUTE_PGM_RSRC2:TRAP_HANDLER: 0
; COMPUTE_PGM_RSRC2:TGID_X_EN: 1
; COMPUTE_PGM_RSRC2:TGID_Y_EN: 0
; COMPUTE_PGM_RSRC2:TGID_Z_EN: 0
; COMPUTE_PGM_RSRC2:TIDIG_COMP_CNT: 0
; COMPUTE_PGM_RSRC3_GFX90A:ACCUM_OFFSET: 0
; COMPUTE_PGM_RSRC3_GFX90A:TG_SPLIT: 0
	.section	.text._ZN7rocprim17ROCPRIM_400000_NS6detail17trampoline_kernelINS0_14default_configENS1_38merge_sort_block_merge_config_selectorIalEEZZNS1_27merge_sort_block_merge_implIS3_PaN6thrust23THRUST_200600_302600_NS10device_ptrIlEEjNS1_19radix_merge_compareILb0ELb1EaNS0_19identity_decomposerEEEEE10hipError_tT0_T1_T2_jT3_P12ihipStream_tbPNSt15iterator_traitsISG_E10value_typeEPNSM_ISH_E10value_typeEPSI_NS1_7vsmem_tEENKUlT_SG_SH_SI_E_clIS7_S7_PlSB_EESF_SV_SG_SH_SI_EUlSV_E1_NS1_11comp_targetILNS1_3genE2ELNS1_11target_archE906ELNS1_3gpuE6ELNS1_3repE0EEENS1_36merge_oddeven_config_static_selectorELNS0_4arch9wavefront6targetE1EEEvSH_,"axG",@progbits,_ZN7rocprim17ROCPRIM_400000_NS6detail17trampoline_kernelINS0_14default_configENS1_38merge_sort_block_merge_config_selectorIalEEZZNS1_27merge_sort_block_merge_implIS3_PaN6thrust23THRUST_200600_302600_NS10device_ptrIlEEjNS1_19radix_merge_compareILb0ELb1EaNS0_19identity_decomposerEEEEE10hipError_tT0_T1_T2_jT3_P12ihipStream_tbPNSt15iterator_traitsISG_E10value_typeEPNSM_ISH_E10value_typeEPSI_NS1_7vsmem_tEENKUlT_SG_SH_SI_E_clIS7_S7_PlSB_EESF_SV_SG_SH_SI_EUlSV_E1_NS1_11comp_targetILNS1_3genE2ELNS1_11target_archE906ELNS1_3gpuE6ELNS1_3repE0EEENS1_36merge_oddeven_config_static_selectorELNS0_4arch9wavefront6targetE1EEEvSH_,comdat
	.protected	_ZN7rocprim17ROCPRIM_400000_NS6detail17trampoline_kernelINS0_14default_configENS1_38merge_sort_block_merge_config_selectorIalEEZZNS1_27merge_sort_block_merge_implIS3_PaN6thrust23THRUST_200600_302600_NS10device_ptrIlEEjNS1_19radix_merge_compareILb0ELb1EaNS0_19identity_decomposerEEEEE10hipError_tT0_T1_T2_jT3_P12ihipStream_tbPNSt15iterator_traitsISG_E10value_typeEPNSM_ISH_E10value_typeEPSI_NS1_7vsmem_tEENKUlT_SG_SH_SI_E_clIS7_S7_PlSB_EESF_SV_SG_SH_SI_EUlSV_E1_NS1_11comp_targetILNS1_3genE2ELNS1_11target_archE906ELNS1_3gpuE6ELNS1_3repE0EEENS1_36merge_oddeven_config_static_selectorELNS0_4arch9wavefront6targetE1EEEvSH_ ; -- Begin function _ZN7rocprim17ROCPRIM_400000_NS6detail17trampoline_kernelINS0_14default_configENS1_38merge_sort_block_merge_config_selectorIalEEZZNS1_27merge_sort_block_merge_implIS3_PaN6thrust23THRUST_200600_302600_NS10device_ptrIlEEjNS1_19radix_merge_compareILb0ELb1EaNS0_19identity_decomposerEEEEE10hipError_tT0_T1_T2_jT3_P12ihipStream_tbPNSt15iterator_traitsISG_E10value_typeEPNSM_ISH_E10value_typeEPSI_NS1_7vsmem_tEENKUlT_SG_SH_SI_E_clIS7_S7_PlSB_EESF_SV_SG_SH_SI_EUlSV_E1_NS1_11comp_targetILNS1_3genE2ELNS1_11target_archE906ELNS1_3gpuE6ELNS1_3repE0EEENS1_36merge_oddeven_config_static_selectorELNS0_4arch9wavefront6targetE1EEEvSH_
	.globl	_ZN7rocprim17ROCPRIM_400000_NS6detail17trampoline_kernelINS0_14default_configENS1_38merge_sort_block_merge_config_selectorIalEEZZNS1_27merge_sort_block_merge_implIS3_PaN6thrust23THRUST_200600_302600_NS10device_ptrIlEEjNS1_19radix_merge_compareILb0ELb1EaNS0_19identity_decomposerEEEEE10hipError_tT0_T1_T2_jT3_P12ihipStream_tbPNSt15iterator_traitsISG_E10value_typeEPNSM_ISH_E10value_typeEPSI_NS1_7vsmem_tEENKUlT_SG_SH_SI_E_clIS7_S7_PlSB_EESF_SV_SG_SH_SI_EUlSV_E1_NS1_11comp_targetILNS1_3genE2ELNS1_11target_archE906ELNS1_3gpuE6ELNS1_3repE0EEENS1_36merge_oddeven_config_static_selectorELNS0_4arch9wavefront6targetE1EEEvSH_
	.p2align	8
	.type	_ZN7rocprim17ROCPRIM_400000_NS6detail17trampoline_kernelINS0_14default_configENS1_38merge_sort_block_merge_config_selectorIalEEZZNS1_27merge_sort_block_merge_implIS3_PaN6thrust23THRUST_200600_302600_NS10device_ptrIlEEjNS1_19radix_merge_compareILb0ELb1EaNS0_19identity_decomposerEEEEE10hipError_tT0_T1_T2_jT3_P12ihipStream_tbPNSt15iterator_traitsISG_E10value_typeEPNSM_ISH_E10value_typeEPSI_NS1_7vsmem_tEENKUlT_SG_SH_SI_E_clIS7_S7_PlSB_EESF_SV_SG_SH_SI_EUlSV_E1_NS1_11comp_targetILNS1_3genE2ELNS1_11target_archE906ELNS1_3gpuE6ELNS1_3repE0EEENS1_36merge_oddeven_config_static_selectorELNS0_4arch9wavefront6targetE1EEEvSH_,@function
_ZN7rocprim17ROCPRIM_400000_NS6detail17trampoline_kernelINS0_14default_configENS1_38merge_sort_block_merge_config_selectorIalEEZZNS1_27merge_sort_block_merge_implIS3_PaN6thrust23THRUST_200600_302600_NS10device_ptrIlEEjNS1_19radix_merge_compareILb0ELb1EaNS0_19identity_decomposerEEEEE10hipError_tT0_T1_T2_jT3_P12ihipStream_tbPNSt15iterator_traitsISG_E10value_typeEPNSM_ISH_E10value_typeEPSI_NS1_7vsmem_tEENKUlT_SG_SH_SI_E_clIS7_S7_PlSB_EESF_SV_SG_SH_SI_EUlSV_E1_NS1_11comp_targetILNS1_3genE2ELNS1_11target_archE906ELNS1_3gpuE6ELNS1_3repE0EEENS1_36merge_oddeven_config_static_selectorELNS0_4arch9wavefront6targetE1EEEvSH_: ; @_ZN7rocprim17ROCPRIM_400000_NS6detail17trampoline_kernelINS0_14default_configENS1_38merge_sort_block_merge_config_selectorIalEEZZNS1_27merge_sort_block_merge_implIS3_PaN6thrust23THRUST_200600_302600_NS10device_ptrIlEEjNS1_19radix_merge_compareILb0ELb1EaNS0_19identity_decomposerEEEEE10hipError_tT0_T1_T2_jT3_P12ihipStream_tbPNSt15iterator_traitsISG_E10value_typeEPNSM_ISH_E10value_typeEPSI_NS1_7vsmem_tEENKUlT_SG_SH_SI_E_clIS7_S7_PlSB_EESF_SV_SG_SH_SI_EUlSV_E1_NS1_11comp_targetILNS1_3genE2ELNS1_11target_archE906ELNS1_3gpuE6ELNS1_3repE0EEENS1_36merge_oddeven_config_static_selectorELNS0_4arch9wavefront6targetE1EEEvSH_
; %bb.0:
	.section	.rodata,"a",@progbits
	.p2align	6, 0x0
	.amdhsa_kernel _ZN7rocprim17ROCPRIM_400000_NS6detail17trampoline_kernelINS0_14default_configENS1_38merge_sort_block_merge_config_selectorIalEEZZNS1_27merge_sort_block_merge_implIS3_PaN6thrust23THRUST_200600_302600_NS10device_ptrIlEEjNS1_19radix_merge_compareILb0ELb1EaNS0_19identity_decomposerEEEEE10hipError_tT0_T1_T2_jT3_P12ihipStream_tbPNSt15iterator_traitsISG_E10value_typeEPNSM_ISH_E10value_typeEPSI_NS1_7vsmem_tEENKUlT_SG_SH_SI_E_clIS7_S7_PlSB_EESF_SV_SG_SH_SI_EUlSV_E1_NS1_11comp_targetILNS1_3genE2ELNS1_11target_archE906ELNS1_3gpuE6ELNS1_3repE0EEENS1_36merge_oddeven_config_static_selectorELNS0_4arch9wavefront6targetE1EEEvSH_
		.amdhsa_group_segment_fixed_size 0
		.amdhsa_private_segment_fixed_size 0
		.amdhsa_kernarg_size 48
		.amdhsa_user_sgpr_count 6
		.amdhsa_user_sgpr_private_segment_buffer 1
		.amdhsa_user_sgpr_dispatch_ptr 0
		.amdhsa_user_sgpr_queue_ptr 0
		.amdhsa_user_sgpr_kernarg_segment_ptr 1
		.amdhsa_user_sgpr_dispatch_id 0
		.amdhsa_user_sgpr_flat_scratch_init 0
		.amdhsa_user_sgpr_kernarg_preload_length 0
		.amdhsa_user_sgpr_kernarg_preload_offset 0
		.amdhsa_user_sgpr_private_segment_size 0
		.amdhsa_uses_dynamic_stack 0
		.amdhsa_system_sgpr_private_segment_wavefront_offset 0
		.amdhsa_system_sgpr_workgroup_id_x 1
		.amdhsa_system_sgpr_workgroup_id_y 0
		.amdhsa_system_sgpr_workgroup_id_z 0
		.amdhsa_system_sgpr_workgroup_info 0
		.amdhsa_system_vgpr_workitem_id 0
		.amdhsa_next_free_vgpr 1
		.amdhsa_next_free_sgpr 0
		.amdhsa_accum_offset 4
		.amdhsa_reserve_vcc 0
		.amdhsa_reserve_flat_scratch 0
		.amdhsa_float_round_mode_32 0
		.amdhsa_float_round_mode_16_64 0
		.amdhsa_float_denorm_mode_32 3
		.amdhsa_float_denorm_mode_16_64 3
		.amdhsa_dx10_clamp 1
		.amdhsa_ieee_mode 1
		.amdhsa_fp16_overflow 0
		.amdhsa_tg_split 0
		.amdhsa_exception_fp_ieee_invalid_op 0
		.amdhsa_exception_fp_denorm_src 0
		.amdhsa_exception_fp_ieee_div_zero 0
		.amdhsa_exception_fp_ieee_overflow 0
		.amdhsa_exception_fp_ieee_underflow 0
		.amdhsa_exception_fp_ieee_inexact 0
		.amdhsa_exception_int_div_zero 0
	.end_amdhsa_kernel
	.section	.text._ZN7rocprim17ROCPRIM_400000_NS6detail17trampoline_kernelINS0_14default_configENS1_38merge_sort_block_merge_config_selectorIalEEZZNS1_27merge_sort_block_merge_implIS3_PaN6thrust23THRUST_200600_302600_NS10device_ptrIlEEjNS1_19radix_merge_compareILb0ELb1EaNS0_19identity_decomposerEEEEE10hipError_tT0_T1_T2_jT3_P12ihipStream_tbPNSt15iterator_traitsISG_E10value_typeEPNSM_ISH_E10value_typeEPSI_NS1_7vsmem_tEENKUlT_SG_SH_SI_E_clIS7_S7_PlSB_EESF_SV_SG_SH_SI_EUlSV_E1_NS1_11comp_targetILNS1_3genE2ELNS1_11target_archE906ELNS1_3gpuE6ELNS1_3repE0EEENS1_36merge_oddeven_config_static_selectorELNS0_4arch9wavefront6targetE1EEEvSH_,"axG",@progbits,_ZN7rocprim17ROCPRIM_400000_NS6detail17trampoline_kernelINS0_14default_configENS1_38merge_sort_block_merge_config_selectorIalEEZZNS1_27merge_sort_block_merge_implIS3_PaN6thrust23THRUST_200600_302600_NS10device_ptrIlEEjNS1_19radix_merge_compareILb0ELb1EaNS0_19identity_decomposerEEEEE10hipError_tT0_T1_T2_jT3_P12ihipStream_tbPNSt15iterator_traitsISG_E10value_typeEPNSM_ISH_E10value_typeEPSI_NS1_7vsmem_tEENKUlT_SG_SH_SI_E_clIS7_S7_PlSB_EESF_SV_SG_SH_SI_EUlSV_E1_NS1_11comp_targetILNS1_3genE2ELNS1_11target_archE906ELNS1_3gpuE6ELNS1_3repE0EEENS1_36merge_oddeven_config_static_selectorELNS0_4arch9wavefront6targetE1EEEvSH_,comdat
.Lfunc_end555:
	.size	_ZN7rocprim17ROCPRIM_400000_NS6detail17trampoline_kernelINS0_14default_configENS1_38merge_sort_block_merge_config_selectorIalEEZZNS1_27merge_sort_block_merge_implIS3_PaN6thrust23THRUST_200600_302600_NS10device_ptrIlEEjNS1_19radix_merge_compareILb0ELb1EaNS0_19identity_decomposerEEEEE10hipError_tT0_T1_T2_jT3_P12ihipStream_tbPNSt15iterator_traitsISG_E10value_typeEPNSM_ISH_E10value_typeEPSI_NS1_7vsmem_tEENKUlT_SG_SH_SI_E_clIS7_S7_PlSB_EESF_SV_SG_SH_SI_EUlSV_E1_NS1_11comp_targetILNS1_3genE2ELNS1_11target_archE906ELNS1_3gpuE6ELNS1_3repE0EEENS1_36merge_oddeven_config_static_selectorELNS0_4arch9wavefront6targetE1EEEvSH_, .Lfunc_end555-_ZN7rocprim17ROCPRIM_400000_NS6detail17trampoline_kernelINS0_14default_configENS1_38merge_sort_block_merge_config_selectorIalEEZZNS1_27merge_sort_block_merge_implIS3_PaN6thrust23THRUST_200600_302600_NS10device_ptrIlEEjNS1_19radix_merge_compareILb0ELb1EaNS0_19identity_decomposerEEEEE10hipError_tT0_T1_T2_jT3_P12ihipStream_tbPNSt15iterator_traitsISG_E10value_typeEPNSM_ISH_E10value_typeEPSI_NS1_7vsmem_tEENKUlT_SG_SH_SI_E_clIS7_S7_PlSB_EESF_SV_SG_SH_SI_EUlSV_E1_NS1_11comp_targetILNS1_3genE2ELNS1_11target_archE906ELNS1_3gpuE6ELNS1_3repE0EEENS1_36merge_oddeven_config_static_selectorELNS0_4arch9wavefront6targetE1EEEvSH_
                                        ; -- End function
	.section	.AMDGPU.csdata,"",@progbits
; Kernel info:
; codeLenInByte = 0
; NumSgprs: 4
; NumVgprs: 0
; NumAgprs: 0
; TotalNumVgprs: 0
; ScratchSize: 0
; MemoryBound: 0
; FloatMode: 240
; IeeeMode: 1
; LDSByteSize: 0 bytes/workgroup (compile time only)
; SGPRBlocks: 0
; VGPRBlocks: 0
; NumSGPRsForWavesPerEU: 4
; NumVGPRsForWavesPerEU: 1
; AccumOffset: 4
; Occupancy: 8
; WaveLimiterHint : 0
; COMPUTE_PGM_RSRC2:SCRATCH_EN: 0
; COMPUTE_PGM_RSRC2:USER_SGPR: 6
; COMPUTE_PGM_RSRC2:TRAP_HANDLER: 0
; COMPUTE_PGM_RSRC2:TGID_X_EN: 1
; COMPUTE_PGM_RSRC2:TGID_Y_EN: 0
; COMPUTE_PGM_RSRC2:TGID_Z_EN: 0
; COMPUTE_PGM_RSRC2:TIDIG_COMP_CNT: 0
; COMPUTE_PGM_RSRC3_GFX90A:ACCUM_OFFSET: 0
; COMPUTE_PGM_RSRC3_GFX90A:TG_SPLIT: 0
	.section	.text._ZN7rocprim17ROCPRIM_400000_NS6detail17trampoline_kernelINS0_14default_configENS1_38merge_sort_block_merge_config_selectorIalEEZZNS1_27merge_sort_block_merge_implIS3_PaN6thrust23THRUST_200600_302600_NS10device_ptrIlEEjNS1_19radix_merge_compareILb0ELb1EaNS0_19identity_decomposerEEEEE10hipError_tT0_T1_T2_jT3_P12ihipStream_tbPNSt15iterator_traitsISG_E10value_typeEPNSM_ISH_E10value_typeEPSI_NS1_7vsmem_tEENKUlT_SG_SH_SI_E_clIS7_S7_PlSB_EESF_SV_SG_SH_SI_EUlSV_E1_NS1_11comp_targetILNS1_3genE9ELNS1_11target_archE1100ELNS1_3gpuE3ELNS1_3repE0EEENS1_36merge_oddeven_config_static_selectorELNS0_4arch9wavefront6targetE1EEEvSH_,"axG",@progbits,_ZN7rocprim17ROCPRIM_400000_NS6detail17trampoline_kernelINS0_14default_configENS1_38merge_sort_block_merge_config_selectorIalEEZZNS1_27merge_sort_block_merge_implIS3_PaN6thrust23THRUST_200600_302600_NS10device_ptrIlEEjNS1_19radix_merge_compareILb0ELb1EaNS0_19identity_decomposerEEEEE10hipError_tT0_T1_T2_jT3_P12ihipStream_tbPNSt15iterator_traitsISG_E10value_typeEPNSM_ISH_E10value_typeEPSI_NS1_7vsmem_tEENKUlT_SG_SH_SI_E_clIS7_S7_PlSB_EESF_SV_SG_SH_SI_EUlSV_E1_NS1_11comp_targetILNS1_3genE9ELNS1_11target_archE1100ELNS1_3gpuE3ELNS1_3repE0EEENS1_36merge_oddeven_config_static_selectorELNS0_4arch9wavefront6targetE1EEEvSH_,comdat
	.protected	_ZN7rocprim17ROCPRIM_400000_NS6detail17trampoline_kernelINS0_14default_configENS1_38merge_sort_block_merge_config_selectorIalEEZZNS1_27merge_sort_block_merge_implIS3_PaN6thrust23THRUST_200600_302600_NS10device_ptrIlEEjNS1_19radix_merge_compareILb0ELb1EaNS0_19identity_decomposerEEEEE10hipError_tT0_T1_T2_jT3_P12ihipStream_tbPNSt15iterator_traitsISG_E10value_typeEPNSM_ISH_E10value_typeEPSI_NS1_7vsmem_tEENKUlT_SG_SH_SI_E_clIS7_S7_PlSB_EESF_SV_SG_SH_SI_EUlSV_E1_NS1_11comp_targetILNS1_3genE9ELNS1_11target_archE1100ELNS1_3gpuE3ELNS1_3repE0EEENS1_36merge_oddeven_config_static_selectorELNS0_4arch9wavefront6targetE1EEEvSH_ ; -- Begin function _ZN7rocprim17ROCPRIM_400000_NS6detail17trampoline_kernelINS0_14default_configENS1_38merge_sort_block_merge_config_selectorIalEEZZNS1_27merge_sort_block_merge_implIS3_PaN6thrust23THRUST_200600_302600_NS10device_ptrIlEEjNS1_19radix_merge_compareILb0ELb1EaNS0_19identity_decomposerEEEEE10hipError_tT0_T1_T2_jT3_P12ihipStream_tbPNSt15iterator_traitsISG_E10value_typeEPNSM_ISH_E10value_typeEPSI_NS1_7vsmem_tEENKUlT_SG_SH_SI_E_clIS7_S7_PlSB_EESF_SV_SG_SH_SI_EUlSV_E1_NS1_11comp_targetILNS1_3genE9ELNS1_11target_archE1100ELNS1_3gpuE3ELNS1_3repE0EEENS1_36merge_oddeven_config_static_selectorELNS0_4arch9wavefront6targetE1EEEvSH_
	.globl	_ZN7rocprim17ROCPRIM_400000_NS6detail17trampoline_kernelINS0_14default_configENS1_38merge_sort_block_merge_config_selectorIalEEZZNS1_27merge_sort_block_merge_implIS3_PaN6thrust23THRUST_200600_302600_NS10device_ptrIlEEjNS1_19radix_merge_compareILb0ELb1EaNS0_19identity_decomposerEEEEE10hipError_tT0_T1_T2_jT3_P12ihipStream_tbPNSt15iterator_traitsISG_E10value_typeEPNSM_ISH_E10value_typeEPSI_NS1_7vsmem_tEENKUlT_SG_SH_SI_E_clIS7_S7_PlSB_EESF_SV_SG_SH_SI_EUlSV_E1_NS1_11comp_targetILNS1_3genE9ELNS1_11target_archE1100ELNS1_3gpuE3ELNS1_3repE0EEENS1_36merge_oddeven_config_static_selectorELNS0_4arch9wavefront6targetE1EEEvSH_
	.p2align	8
	.type	_ZN7rocprim17ROCPRIM_400000_NS6detail17trampoline_kernelINS0_14default_configENS1_38merge_sort_block_merge_config_selectorIalEEZZNS1_27merge_sort_block_merge_implIS3_PaN6thrust23THRUST_200600_302600_NS10device_ptrIlEEjNS1_19radix_merge_compareILb0ELb1EaNS0_19identity_decomposerEEEEE10hipError_tT0_T1_T2_jT3_P12ihipStream_tbPNSt15iterator_traitsISG_E10value_typeEPNSM_ISH_E10value_typeEPSI_NS1_7vsmem_tEENKUlT_SG_SH_SI_E_clIS7_S7_PlSB_EESF_SV_SG_SH_SI_EUlSV_E1_NS1_11comp_targetILNS1_3genE9ELNS1_11target_archE1100ELNS1_3gpuE3ELNS1_3repE0EEENS1_36merge_oddeven_config_static_selectorELNS0_4arch9wavefront6targetE1EEEvSH_,@function
_ZN7rocprim17ROCPRIM_400000_NS6detail17trampoline_kernelINS0_14default_configENS1_38merge_sort_block_merge_config_selectorIalEEZZNS1_27merge_sort_block_merge_implIS3_PaN6thrust23THRUST_200600_302600_NS10device_ptrIlEEjNS1_19radix_merge_compareILb0ELb1EaNS0_19identity_decomposerEEEEE10hipError_tT0_T1_T2_jT3_P12ihipStream_tbPNSt15iterator_traitsISG_E10value_typeEPNSM_ISH_E10value_typeEPSI_NS1_7vsmem_tEENKUlT_SG_SH_SI_E_clIS7_S7_PlSB_EESF_SV_SG_SH_SI_EUlSV_E1_NS1_11comp_targetILNS1_3genE9ELNS1_11target_archE1100ELNS1_3gpuE3ELNS1_3repE0EEENS1_36merge_oddeven_config_static_selectorELNS0_4arch9wavefront6targetE1EEEvSH_: ; @_ZN7rocprim17ROCPRIM_400000_NS6detail17trampoline_kernelINS0_14default_configENS1_38merge_sort_block_merge_config_selectorIalEEZZNS1_27merge_sort_block_merge_implIS3_PaN6thrust23THRUST_200600_302600_NS10device_ptrIlEEjNS1_19radix_merge_compareILb0ELb1EaNS0_19identity_decomposerEEEEE10hipError_tT0_T1_T2_jT3_P12ihipStream_tbPNSt15iterator_traitsISG_E10value_typeEPNSM_ISH_E10value_typeEPSI_NS1_7vsmem_tEENKUlT_SG_SH_SI_E_clIS7_S7_PlSB_EESF_SV_SG_SH_SI_EUlSV_E1_NS1_11comp_targetILNS1_3genE9ELNS1_11target_archE1100ELNS1_3gpuE3ELNS1_3repE0EEENS1_36merge_oddeven_config_static_selectorELNS0_4arch9wavefront6targetE1EEEvSH_
; %bb.0:
	.section	.rodata,"a",@progbits
	.p2align	6, 0x0
	.amdhsa_kernel _ZN7rocprim17ROCPRIM_400000_NS6detail17trampoline_kernelINS0_14default_configENS1_38merge_sort_block_merge_config_selectorIalEEZZNS1_27merge_sort_block_merge_implIS3_PaN6thrust23THRUST_200600_302600_NS10device_ptrIlEEjNS1_19radix_merge_compareILb0ELb1EaNS0_19identity_decomposerEEEEE10hipError_tT0_T1_T2_jT3_P12ihipStream_tbPNSt15iterator_traitsISG_E10value_typeEPNSM_ISH_E10value_typeEPSI_NS1_7vsmem_tEENKUlT_SG_SH_SI_E_clIS7_S7_PlSB_EESF_SV_SG_SH_SI_EUlSV_E1_NS1_11comp_targetILNS1_3genE9ELNS1_11target_archE1100ELNS1_3gpuE3ELNS1_3repE0EEENS1_36merge_oddeven_config_static_selectorELNS0_4arch9wavefront6targetE1EEEvSH_
		.amdhsa_group_segment_fixed_size 0
		.amdhsa_private_segment_fixed_size 0
		.amdhsa_kernarg_size 48
		.amdhsa_user_sgpr_count 6
		.amdhsa_user_sgpr_private_segment_buffer 1
		.amdhsa_user_sgpr_dispatch_ptr 0
		.amdhsa_user_sgpr_queue_ptr 0
		.amdhsa_user_sgpr_kernarg_segment_ptr 1
		.amdhsa_user_sgpr_dispatch_id 0
		.amdhsa_user_sgpr_flat_scratch_init 0
		.amdhsa_user_sgpr_kernarg_preload_length 0
		.amdhsa_user_sgpr_kernarg_preload_offset 0
		.amdhsa_user_sgpr_private_segment_size 0
		.amdhsa_uses_dynamic_stack 0
		.amdhsa_system_sgpr_private_segment_wavefront_offset 0
		.amdhsa_system_sgpr_workgroup_id_x 1
		.amdhsa_system_sgpr_workgroup_id_y 0
		.amdhsa_system_sgpr_workgroup_id_z 0
		.amdhsa_system_sgpr_workgroup_info 0
		.amdhsa_system_vgpr_workitem_id 0
		.amdhsa_next_free_vgpr 1
		.amdhsa_next_free_sgpr 0
		.amdhsa_accum_offset 4
		.amdhsa_reserve_vcc 0
		.amdhsa_reserve_flat_scratch 0
		.amdhsa_float_round_mode_32 0
		.amdhsa_float_round_mode_16_64 0
		.amdhsa_float_denorm_mode_32 3
		.amdhsa_float_denorm_mode_16_64 3
		.amdhsa_dx10_clamp 1
		.amdhsa_ieee_mode 1
		.amdhsa_fp16_overflow 0
		.amdhsa_tg_split 0
		.amdhsa_exception_fp_ieee_invalid_op 0
		.amdhsa_exception_fp_denorm_src 0
		.amdhsa_exception_fp_ieee_div_zero 0
		.amdhsa_exception_fp_ieee_overflow 0
		.amdhsa_exception_fp_ieee_underflow 0
		.amdhsa_exception_fp_ieee_inexact 0
		.amdhsa_exception_int_div_zero 0
	.end_amdhsa_kernel
	.section	.text._ZN7rocprim17ROCPRIM_400000_NS6detail17trampoline_kernelINS0_14default_configENS1_38merge_sort_block_merge_config_selectorIalEEZZNS1_27merge_sort_block_merge_implIS3_PaN6thrust23THRUST_200600_302600_NS10device_ptrIlEEjNS1_19radix_merge_compareILb0ELb1EaNS0_19identity_decomposerEEEEE10hipError_tT0_T1_T2_jT3_P12ihipStream_tbPNSt15iterator_traitsISG_E10value_typeEPNSM_ISH_E10value_typeEPSI_NS1_7vsmem_tEENKUlT_SG_SH_SI_E_clIS7_S7_PlSB_EESF_SV_SG_SH_SI_EUlSV_E1_NS1_11comp_targetILNS1_3genE9ELNS1_11target_archE1100ELNS1_3gpuE3ELNS1_3repE0EEENS1_36merge_oddeven_config_static_selectorELNS0_4arch9wavefront6targetE1EEEvSH_,"axG",@progbits,_ZN7rocprim17ROCPRIM_400000_NS6detail17trampoline_kernelINS0_14default_configENS1_38merge_sort_block_merge_config_selectorIalEEZZNS1_27merge_sort_block_merge_implIS3_PaN6thrust23THRUST_200600_302600_NS10device_ptrIlEEjNS1_19radix_merge_compareILb0ELb1EaNS0_19identity_decomposerEEEEE10hipError_tT0_T1_T2_jT3_P12ihipStream_tbPNSt15iterator_traitsISG_E10value_typeEPNSM_ISH_E10value_typeEPSI_NS1_7vsmem_tEENKUlT_SG_SH_SI_E_clIS7_S7_PlSB_EESF_SV_SG_SH_SI_EUlSV_E1_NS1_11comp_targetILNS1_3genE9ELNS1_11target_archE1100ELNS1_3gpuE3ELNS1_3repE0EEENS1_36merge_oddeven_config_static_selectorELNS0_4arch9wavefront6targetE1EEEvSH_,comdat
.Lfunc_end556:
	.size	_ZN7rocprim17ROCPRIM_400000_NS6detail17trampoline_kernelINS0_14default_configENS1_38merge_sort_block_merge_config_selectorIalEEZZNS1_27merge_sort_block_merge_implIS3_PaN6thrust23THRUST_200600_302600_NS10device_ptrIlEEjNS1_19radix_merge_compareILb0ELb1EaNS0_19identity_decomposerEEEEE10hipError_tT0_T1_T2_jT3_P12ihipStream_tbPNSt15iterator_traitsISG_E10value_typeEPNSM_ISH_E10value_typeEPSI_NS1_7vsmem_tEENKUlT_SG_SH_SI_E_clIS7_S7_PlSB_EESF_SV_SG_SH_SI_EUlSV_E1_NS1_11comp_targetILNS1_3genE9ELNS1_11target_archE1100ELNS1_3gpuE3ELNS1_3repE0EEENS1_36merge_oddeven_config_static_selectorELNS0_4arch9wavefront6targetE1EEEvSH_, .Lfunc_end556-_ZN7rocprim17ROCPRIM_400000_NS6detail17trampoline_kernelINS0_14default_configENS1_38merge_sort_block_merge_config_selectorIalEEZZNS1_27merge_sort_block_merge_implIS3_PaN6thrust23THRUST_200600_302600_NS10device_ptrIlEEjNS1_19radix_merge_compareILb0ELb1EaNS0_19identity_decomposerEEEEE10hipError_tT0_T1_T2_jT3_P12ihipStream_tbPNSt15iterator_traitsISG_E10value_typeEPNSM_ISH_E10value_typeEPSI_NS1_7vsmem_tEENKUlT_SG_SH_SI_E_clIS7_S7_PlSB_EESF_SV_SG_SH_SI_EUlSV_E1_NS1_11comp_targetILNS1_3genE9ELNS1_11target_archE1100ELNS1_3gpuE3ELNS1_3repE0EEENS1_36merge_oddeven_config_static_selectorELNS0_4arch9wavefront6targetE1EEEvSH_
                                        ; -- End function
	.section	.AMDGPU.csdata,"",@progbits
; Kernel info:
; codeLenInByte = 0
; NumSgprs: 4
; NumVgprs: 0
; NumAgprs: 0
; TotalNumVgprs: 0
; ScratchSize: 0
; MemoryBound: 0
; FloatMode: 240
; IeeeMode: 1
; LDSByteSize: 0 bytes/workgroup (compile time only)
; SGPRBlocks: 0
; VGPRBlocks: 0
; NumSGPRsForWavesPerEU: 4
; NumVGPRsForWavesPerEU: 1
; AccumOffset: 4
; Occupancy: 8
; WaveLimiterHint : 0
; COMPUTE_PGM_RSRC2:SCRATCH_EN: 0
; COMPUTE_PGM_RSRC2:USER_SGPR: 6
; COMPUTE_PGM_RSRC2:TRAP_HANDLER: 0
; COMPUTE_PGM_RSRC2:TGID_X_EN: 1
; COMPUTE_PGM_RSRC2:TGID_Y_EN: 0
; COMPUTE_PGM_RSRC2:TGID_Z_EN: 0
; COMPUTE_PGM_RSRC2:TIDIG_COMP_CNT: 0
; COMPUTE_PGM_RSRC3_GFX90A:ACCUM_OFFSET: 0
; COMPUTE_PGM_RSRC3_GFX90A:TG_SPLIT: 0
	.section	.text._ZN7rocprim17ROCPRIM_400000_NS6detail17trampoline_kernelINS0_14default_configENS1_38merge_sort_block_merge_config_selectorIalEEZZNS1_27merge_sort_block_merge_implIS3_PaN6thrust23THRUST_200600_302600_NS10device_ptrIlEEjNS1_19radix_merge_compareILb0ELb1EaNS0_19identity_decomposerEEEEE10hipError_tT0_T1_T2_jT3_P12ihipStream_tbPNSt15iterator_traitsISG_E10value_typeEPNSM_ISH_E10value_typeEPSI_NS1_7vsmem_tEENKUlT_SG_SH_SI_E_clIS7_S7_PlSB_EESF_SV_SG_SH_SI_EUlSV_E1_NS1_11comp_targetILNS1_3genE8ELNS1_11target_archE1030ELNS1_3gpuE2ELNS1_3repE0EEENS1_36merge_oddeven_config_static_selectorELNS0_4arch9wavefront6targetE1EEEvSH_,"axG",@progbits,_ZN7rocprim17ROCPRIM_400000_NS6detail17trampoline_kernelINS0_14default_configENS1_38merge_sort_block_merge_config_selectorIalEEZZNS1_27merge_sort_block_merge_implIS3_PaN6thrust23THRUST_200600_302600_NS10device_ptrIlEEjNS1_19radix_merge_compareILb0ELb1EaNS0_19identity_decomposerEEEEE10hipError_tT0_T1_T2_jT3_P12ihipStream_tbPNSt15iterator_traitsISG_E10value_typeEPNSM_ISH_E10value_typeEPSI_NS1_7vsmem_tEENKUlT_SG_SH_SI_E_clIS7_S7_PlSB_EESF_SV_SG_SH_SI_EUlSV_E1_NS1_11comp_targetILNS1_3genE8ELNS1_11target_archE1030ELNS1_3gpuE2ELNS1_3repE0EEENS1_36merge_oddeven_config_static_selectorELNS0_4arch9wavefront6targetE1EEEvSH_,comdat
	.protected	_ZN7rocprim17ROCPRIM_400000_NS6detail17trampoline_kernelINS0_14default_configENS1_38merge_sort_block_merge_config_selectorIalEEZZNS1_27merge_sort_block_merge_implIS3_PaN6thrust23THRUST_200600_302600_NS10device_ptrIlEEjNS1_19radix_merge_compareILb0ELb1EaNS0_19identity_decomposerEEEEE10hipError_tT0_T1_T2_jT3_P12ihipStream_tbPNSt15iterator_traitsISG_E10value_typeEPNSM_ISH_E10value_typeEPSI_NS1_7vsmem_tEENKUlT_SG_SH_SI_E_clIS7_S7_PlSB_EESF_SV_SG_SH_SI_EUlSV_E1_NS1_11comp_targetILNS1_3genE8ELNS1_11target_archE1030ELNS1_3gpuE2ELNS1_3repE0EEENS1_36merge_oddeven_config_static_selectorELNS0_4arch9wavefront6targetE1EEEvSH_ ; -- Begin function _ZN7rocprim17ROCPRIM_400000_NS6detail17trampoline_kernelINS0_14default_configENS1_38merge_sort_block_merge_config_selectorIalEEZZNS1_27merge_sort_block_merge_implIS3_PaN6thrust23THRUST_200600_302600_NS10device_ptrIlEEjNS1_19radix_merge_compareILb0ELb1EaNS0_19identity_decomposerEEEEE10hipError_tT0_T1_T2_jT3_P12ihipStream_tbPNSt15iterator_traitsISG_E10value_typeEPNSM_ISH_E10value_typeEPSI_NS1_7vsmem_tEENKUlT_SG_SH_SI_E_clIS7_S7_PlSB_EESF_SV_SG_SH_SI_EUlSV_E1_NS1_11comp_targetILNS1_3genE8ELNS1_11target_archE1030ELNS1_3gpuE2ELNS1_3repE0EEENS1_36merge_oddeven_config_static_selectorELNS0_4arch9wavefront6targetE1EEEvSH_
	.globl	_ZN7rocprim17ROCPRIM_400000_NS6detail17trampoline_kernelINS0_14default_configENS1_38merge_sort_block_merge_config_selectorIalEEZZNS1_27merge_sort_block_merge_implIS3_PaN6thrust23THRUST_200600_302600_NS10device_ptrIlEEjNS1_19radix_merge_compareILb0ELb1EaNS0_19identity_decomposerEEEEE10hipError_tT0_T1_T2_jT3_P12ihipStream_tbPNSt15iterator_traitsISG_E10value_typeEPNSM_ISH_E10value_typeEPSI_NS1_7vsmem_tEENKUlT_SG_SH_SI_E_clIS7_S7_PlSB_EESF_SV_SG_SH_SI_EUlSV_E1_NS1_11comp_targetILNS1_3genE8ELNS1_11target_archE1030ELNS1_3gpuE2ELNS1_3repE0EEENS1_36merge_oddeven_config_static_selectorELNS0_4arch9wavefront6targetE1EEEvSH_
	.p2align	8
	.type	_ZN7rocprim17ROCPRIM_400000_NS6detail17trampoline_kernelINS0_14default_configENS1_38merge_sort_block_merge_config_selectorIalEEZZNS1_27merge_sort_block_merge_implIS3_PaN6thrust23THRUST_200600_302600_NS10device_ptrIlEEjNS1_19radix_merge_compareILb0ELb1EaNS0_19identity_decomposerEEEEE10hipError_tT0_T1_T2_jT3_P12ihipStream_tbPNSt15iterator_traitsISG_E10value_typeEPNSM_ISH_E10value_typeEPSI_NS1_7vsmem_tEENKUlT_SG_SH_SI_E_clIS7_S7_PlSB_EESF_SV_SG_SH_SI_EUlSV_E1_NS1_11comp_targetILNS1_3genE8ELNS1_11target_archE1030ELNS1_3gpuE2ELNS1_3repE0EEENS1_36merge_oddeven_config_static_selectorELNS0_4arch9wavefront6targetE1EEEvSH_,@function
_ZN7rocprim17ROCPRIM_400000_NS6detail17trampoline_kernelINS0_14default_configENS1_38merge_sort_block_merge_config_selectorIalEEZZNS1_27merge_sort_block_merge_implIS3_PaN6thrust23THRUST_200600_302600_NS10device_ptrIlEEjNS1_19radix_merge_compareILb0ELb1EaNS0_19identity_decomposerEEEEE10hipError_tT0_T1_T2_jT3_P12ihipStream_tbPNSt15iterator_traitsISG_E10value_typeEPNSM_ISH_E10value_typeEPSI_NS1_7vsmem_tEENKUlT_SG_SH_SI_E_clIS7_S7_PlSB_EESF_SV_SG_SH_SI_EUlSV_E1_NS1_11comp_targetILNS1_3genE8ELNS1_11target_archE1030ELNS1_3gpuE2ELNS1_3repE0EEENS1_36merge_oddeven_config_static_selectorELNS0_4arch9wavefront6targetE1EEEvSH_: ; @_ZN7rocprim17ROCPRIM_400000_NS6detail17trampoline_kernelINS0_14default_configENS1_38merge_sort_block_merge_config_selectorIalEEZZNS1_27merge_sort_block_merge_implIS3_PaN6thrust23THRUST_200600_302600_NS10device_ptrIlEEjNS1_19radix_merge_compareILb0ELb1EaNS0_19identity_decomposerEEEEE10hipError_tT0_T1_T2_jT3_P12ihipStream_tbPNSt15iterator_traitsISG_E10value_typeEPNSM_ISH_E10value_typeEPSI_NS1_7vsmem_tEENKUlT_SG_SH_SI_E_clIS7_S7_PlSB_EESF_SV_SG_SH_SI_EUlSV_E1_NS1_11comp_targetILNS1_3genE8ELNS1_11target_archE1030ELNS1_3gpuE2ELNS1_3repE0EEENS1_36merge_oddeven_config_static_selectorELNS0_4arch9wavefront6targetE1EEEvSH_
; %bb.0:
	.section	.rodata,"a",@progbits
	.p2align	6, 0x0
	.amdhsa_kernel _ZN7rocprim17ROCPRIM_400000_NS6detail17trampoline_kernelINS0_14default_configENS1_38merge_sort_block_merge_config_selectorIalEEZZNS1_27merge_sort_block_merge_implIS3_PaN6thrust23THRUST_200600_302600_NS10device_ptrIlEEjNS1_19radix_merge_compareILb0ELb1EaNS0_19identity_decomposerEEEEE10hipError_tT0_T1_T2_jT3_P12ihipStream_tbPNSt15iterator_traitsISG_E10value_typeEPNSM_ISH_E10value_typeEPSI_NS1_7vsmem_tEENKUlT_SG_SH_SI_E_clIS7_S7_PlSB_EESF_SV_SG_SH_SI_EUlSV_E1_NS1_11comp_targetILNS1_3genE8ELNS1_11target_archE1030ELNS1_3gpuE2ELNS1_3repE0EEENS1_36merge_oddeven_config_static_selectorELNS0_4arch9wavefront6targetE1EEEvSH_
		.amdhsa_group_segment_fixed_size 0
		.amdhsa_private_segment_fixed_size 0
		.amdhsa_kernarg_size 48
		.amdhsa_user_sgpr_count 6
		.amdhsa_user_sgpr_private_segment_buffer 1
		.amdhsa_user_sgpr_dispatch_ptr 0
		.amdhsa_user_sgpr_queue_ptr 0
		.amdhsa_user_sgpr_kernarg_segment_ptr 1
		.amdhsa_user_sgpr_dispatch_id 0
		.amdhsa_user_sgpr_flat_scratch_init 0
		.amdhsa_user_sgpr_kernarg_preload_length 0
		.amdhsa_user_sgpr_kernarg_preload_offset 0
		.amdhsa_user_sgpr_private_segment_size 0
		.amdhsa_uses_dynamic_stack 0
		.amdhsa_system_sgpr_private_segment_wavefront_offset 0
		.amdhsa_system_sgpr_workgroup_id_x 1
		.amdhsa_system_sgpr_workgroup_id_y 0
		.amdhsa_system_sgpr_workgroup_id_z 0
		.amdhsa_system_sgpr_workgroup_info 0
		.amdhsa_system_vgpr_workitem_id 0
		.amdhsa_next_free_vgpr 1
		.amdhsa_next_free_sgpr 0
		.amdhsa_accum_offset 4
		.amdhsa_reserve_vcc 0
		.amdhsa_reserve_flat_scratch 0
		.amdhsa_float_round_mode_32 0
		.amdhsa_float_round_mode_16_64 0
		.amdhsa_float_denorm_mode_32 3
		.amdhsa_float_denorm_mode_16_64 3
		.amdhsa_dx10_clamp 1
		.amdhsa_ieee_mode 1
		.amdhsa_fp16_overflow 0
		.amdhsa_tg_split 0
		.amdhsa_exception_fp_ieee_invalid_op 0
		.amdhsa_exception_fp_denorm_src 0
		.amdhsa_exception_fp_ieee_div_zero 0
		.amdhsa_exception_fp_ieee_overflow 0
		.amdhsa_exception_fp_ieee_underflow 0
		.amdhsa_exception_fp_ieee_inexact 0
		.amdhsa_exception_int_div_zero 0
	.end_amdhsa_kernel
	.section	.text._ZN7rocprim17ROCPRIM_400000_NS6detail17trampoline_kernelINS0_14default_configENS1_38merge_sort_block_merge_config_selectorIalEEZZNS1_27merge_sort_block_merge_implIS3_PaN6thrust23THRUST_200600_302600_NS10device_ptrIlEEjNS1_19radix_merge_compareILb0ELb1EaNS0_19identity_decomposerEEEEE10hipError_tT0_T1_T2_jT3_P12ihipStream_tbPNSt15iterator_traitsISG_E10value_typeEPNSM_ISH_E10value_typeEPSI_NS1_7vsmem_tEENKUlT_SG_SH_SI_E_clIS7_S7_PlSB_EESF_SV_SG_SH_SI_EUlSV_E1_NS1_11comp_targetILNS1_3genE8ELNS1_11target_archE1030ELNS1_3gpuE2ELNS1_3repE0EEENS1_36merge_oddeven_config_static_selectorELNS0_4arch9wavefront6targetE1EEEvSH_,"axG",@progbits,_ZN7rocprim17ROCPRIM_400000_NS6detail17trampoline_kernelINS0_14default_configENS1_38merge_sort_block_merge_config_selectorIalEEZZNS1_27merge_sort_block_merge_implIS3_PaN6thrust23THRUST_200600_302600_NS10device_ptrIlEEjNS1_19radix_merge_compareILb0ELb1EaNS0_19identity_decomposerEEEEE10hipError_tT0_T1_T2_jT3_P12ihipStream_tbPNSt15iterator_traitsISG_E10value_typeEPNSM_ISH_E10value_typeEPSI_NS1_7vsmem_tEENKUlT_SG_SH_SI_E_clIS7_S7_PlSB_EESF_SV_SG_SH_SI_EUlSV_E1_NS1_11comp_targetILNS1_3genE8ELNS1_11target_archE1030ELNS1_3gpuE2ELNS1_3repE0EEENS1_36merge_oddeven_config_static_selectorELNS0_4arch9wavefront6targetE1EEEvSH_,comdat
.Lfunc_end557:
	.size	_ZN7rocprim17ROCPRIM_400000_NS6detail17trampoline_kernelINS0_14default_configENS1_38merge_sort_block_merge_config_selectorIalEEZZNS1_27merge_sort_block_merge_implIS3_PaN6thrust23THRUST_200600_302600_NS10device_ptrIlEEjNS1_19radix_merge_compareILb0ELb1EaNS0_19identity_decomposerEEEEE10hipError_tT0_T1_T2_jT3_P12ihipStream_tbPNSt15iterator_traitsISG_E10value_typeEPNSM_ISH_E10value_typeEPSI_NS1_7vsmem_tEENKUlT_SG_SH_SI_E_clIS7_S7_PlSB_EESF_SV_SG_SH_SI_EUlSV_E1_NS1_11comp_targetILNS1_3genE8ELNS1_11target_archE1030ELNS1_3gpuE2ELNS1_3repE0EEENS1_36merge_oddeven_config_static_selectorELNS0_4arch9wavefront6targetE1EEEvSH_, .Lfunc_end557-_ZN7rocprim17ROCPRIM_400000_NS6detail17trampoline_kernelINS0_14default_configENS1_38merge_sort_block_merge_config_selectorIalEEZZNS1_27merge_sort_block_merge_implIS3_PaN6thrust23THRUST_200600_302600_NS10device_ptrIlEEjNS1_19radix_merge_compareILb0ELb1EaNS0_19identity_decomposerEEEEE10hipError_tT0_T1_T2_jT3_P12ihipStream_tbPNSt15iterator_traitsISG_E10value_typeEPNSM_ISH_E10value_typeEPSI_NS1_7vsmem_tEENKUlT_SG_SH_SI_E_clIS7_S7_PlSB_EESF_SV_SG_SH_SI_EUlSV_E1_NS1_11comp_targetILNS1_3genE8ELNS1_11target_archE1030ELNS1_3gpuE2ELNS1_3repE0EEENS1_36merge_oddeven_config_static_selectorELNS0_4arch9wavefront6targetE1EEEvSH_
                                        ; -- End function
	.section	.AMDGPU.csdata,"",@progbits
; Kernel info:
; codeLenInByte = 0
; NumSgprs: 4
; NumVgprs: 0
; NumAgprs: 0
; TotalNumVgprs: 0
; ScratchSize: 0
; MemoryBound: 0
; FloatMode: 240
; IeeeMode: 1
; LDSByteSize: 0 bytes/workgroup (compile time only)
; SGPRBlocks: 0
; VGPRBlocks: 0
; NumSGPRsForWavesPerEU: 4
; NumVGPRsForWavesPerEU: 1
; AccumOffset: 4
; Occupancy: 8
; WaveLimiterHint : 0
; COMPUTE_PGM_RSRC2:SCRATCH_EN: 0
; COMPUTE_PGM_RSRC2:USER_SGPR: 6
; COMPUTE_PGM_RSRC2:TRAP_HANDLER: 0
; COMPUTE_PGM_RSRC2:TGID_X_EN: 1
; COMPUTE_PGM_RSRC2:TGID_Y_EN: 0
; COMPUTE_PGM_RSRC2:TGID_Z_EN: 0
; COMPUTE_PGM_RSRC2:TIDIG_COMP_CNT: 0
; COMPUTE_PGM_RSRC3_GFX90A:ACCUM_OFFSET: 0
; COMPUTE_PGM_RSRC3_GFX90A:TG_SPLIT: 0
	.section	.text._ZN7rocprim17ROCPRIM_400000_NS6detail17trampoline_kernelINS0_14default_configENS1_38merge_sort_block_merge_config_selectorIalEEZZNS1_27merge_sort_block_merge_implIS3_PaN6thrust23THRUST_200600_302600_NS10device_ptrIlEEjNS1_19radix_merge_compareILb0ELb1EaNS0_19identity_decomposerEEEEE10hipError_tT0_T1_T2_jT3_P12ihipStream_tbPNSt15iterator_traitsISG_E10value_typeEPNSM_ISH_E10value_typeEPSI_NS1_7vsmem_tEENKUlT_SG_SH_SI_E_clIS7_S7_SB_PlEESF_SV_SG_SH_SI_EUlSV_E_NS1_11comp_targetILNS1_3genE0ELNS1_11target_archE4294967295ELNS1_3gpuE0ELNS1_3repE0EEENS1_48merge_mergepath_partition_config_static_selectorELNS0_4arch9wavefront6targetE1EEEvSH_,"axG",@progbits,_ZN7rocprim17ROCPRIM_400000_NS6detail17trampoline_kernelINS0_14default_configENS1_38merge_sort_block_merge_config_selectorIalEEZZNS1_27merge_sort_block_merge_implIS3_PaN6thrust23THRUST_200600_302600_NS10device_ptrIlEEjNS1_19radix_merge_compareILb0ELb1EaNS0_19identity_decomposerEEEEE10hipError_tT0_T1_T2_jT3_P12ihipStream_tbPNSt15iterator_traitsISG_E10value_typeEPNSM_ISH_E10value_typeEPSI_NS1_7vsmem_tEENKUlT_SG_SH_SI_E_clIS7_S7_SB_PlEESF_SV_SG_SH_SI_EUlSV_E_NS1_11comp_targetILNS1_3genE0ELNS1_11target_archE4294967295ELNS1_3gpuE0ELNS1_3repE0EEENS1_48merge_mergepath_partition_config_static_selectorELNS0_4arch9wavefront6targetE1EEEvSH_,comdat
	.protected	_ZN7rocprim17ROCPRIM_400000_NS6detail17trampoline_kernelINS0_14default_configENS1_38merge_sort_block_merge_config_selectorIalEEZZNS1_27merge_sort_block_merge_implIS3_PaN6thrust23THRUST_200600_302600_NS10device_ptrIlEEjNS1_19radix_merge_compareILb0ELb1EaNS0_19identity_decomposerEEEEE10hipError_tT0_T1_T2_jT3_P12ihipStream_tbPNSt15iterator_traitsISG_E10value_typeEPNSM_ISH_E10value_typeEPSI_NS1_7vsmem_tEENKUlT_SG_SH_SI_E_clIS7_S7_SB_PlEESF_SV_SG_SH_SI_EUlSV_E_NS1_11comp_targetILNS1_3genE0ELNS1_11target_archE4294967295ELNS1_3gpuE0ELNS1_3repE0EEENS1_48merge_mergepath_partition_config_static_selectorELNS0_4arch9wavefront6targetE1EEEvSH_ ; -- Begin function _ZN7rocprim17ROCPRIM_400000_NS6detail17trampoline_kernelINS0_14default_configENS1_38merge_sort_block_merge_config_selectorIalEEZZNS1_27merge_sort_block_merge_implIS3_PaN6thrust23THRUST_200600_302600_NS10device_ptrIlEEjNS1_19radix_merge_compareILb0ELb1EaNS0_19identity_decomposerEEEEE10hipError_tT0_T1_T2_jT3_P12ihipStream_tbPNSt15iterator_traitsISG_E10value_typeEPNSM_ISH_E10value_typeEPSI_NS1_7vsmem_tEENKUlT_SG_SH_SI_E_clIS7_S7_SB_PlEESF_SV_SG_SH_SI_EUlSV_E_NS1_11comp_targetILNS1_3genE0ELNS1_11target_archE4294967295ELNS1_3gpuE0ELNS1_3repE0EEENS1_48merge_mergepath_partition_config_static_selectorELNS0_4arch9wavefront6targetE1EEEvSH_
	.globl	_ZN7rocprim17ROCPRIM_400000_NS6detail17trampoline_kernelINS0_14default_configENS1_38merge_sort_block_merge_config_selectorIalEEZZNS1_27merge_sort_block_merge_implIS3_PaN6thrust23THRUST_200600_302600_NS10device_ptrIlEEjNS1_19radix_merge_compareILb0ELb1EaNS0_19identity_decomposerEEEEE10hipError_tT0_T1_T2_jT3_P12ihipStream_tbPNSt15iterator_traitsISG_E10value_typeEPNSM_ISH_E10value_typeEPSI_NS1_7vsmem_tEENKUlT_SG_SH_SI_E_clIS7_S7_SB_PlEESF_SV_SG_SH_SI_EUlSV_E_NS1_11comp_targetILNS1_3genE0ELNS1_11target_archE4294967295ELNS1_3gpuE0ELNS1_3repE0EEENS1_48merge_mergepath_partition_config_static_selectorELNS0_4arch9wavefront6targetE1EEEvSH_
	.p2align	8
	.type	_ZN7rocprim17ROCPRIM_400000_NS6detail17trampoline_kernelINS0_14default_configENS1_38merge_sort_block_merge_config_selectorIalEEZZNS1_27merge_sort_block_merge_implIS3_PaN6thrust23THRUST_200600_302600_NS10device_ptrIlEEjNS1_19radix_merge_compareILb0ELb1EaNS0_19identity_decomposerEEEEE10hipError_tT0_T1_T2_jT3_P12ihipStream_tbPNSt15iterator_traitsISG_E10value_typeEPNSM_ISH_E10value_typeEPSI_NS1_7vsmem_tEENKUlT_SG_SH_SI_E_clIS7_S7_SB_PlEESF_SV_SG_SH_SI_EUlSV_E_NS1_11comp_targetILNS1_3genE0ELNS1_11target_archE4294967295ELNS1_3gpuE0ELNS1_3repE0EEENS1_48merge_mergepath_partition_config_static_selectorELNS0_4arch9wavefront6targetE1EEEvSH_,@function
_ZN7rocprim17ROCPRIM_400000_NS6detail17trampoline_kernelINS0_14default_configENS1_38merge_sort_block_merge_config_selectorIalEEZZNS1_27merge_sort_block_merge_implIS3_PaN6thrust23THRUST_200600_302600_NS10device_ptrIlEEjNS1_19radix_merge_compareILb0ELb1EaNS0_19identity_decomposerEEEEE10hipError_tT0_T1_T2_jT3_P12ihipStream_tbPNSt15iterator_traitsISG_E10value_typeEPNSM_ISH_E10value_typeEPSI_NS1_7vsmem_tEENKUlT_SG_SH_SI_E_clIS7_S7_SB_PlEESF_SV_SG_SH_SI_EUlSV_E_NS1_11comp_targetILNS1_3genE0ELNS1_11target_archE4294967295ELNS1_3gpuE0ELNS1_3repE0EEENS1_48merge_mergepath_partition_config_static_selectorELNS0_4arch9wavefront6targetE1EEEvSH_: ; @_ZN7rocprim17ROCPRIM_400000_NS6detail17trampoline_kernelINS0_14default_configENS1_38merge_sort_block_merge_config_selectorIalEEZZNS1_27merge_sort_block_merge_implIS3_PaN6thrust23THRUST_200600_302600_NS10device_ptrIlEEjNS1_19radix_merge_compareILb0ELb1EaNS0_19identity_decomposerEEEEE10hipError_tT0_T1_T2_jT3_P12ihipStream_tbPNSt15iterator_traitsISG_E10value_typeEPNSM_ISH_E10value_typeEPSI_NS1_7vsmem_tEENKUlT_SG_SH_SI_E_clIS7_S7_SB_PlEESF_SV_SG_SH_SI_EUlSV_E_NS1_11comp_targetILNS1_3genE0ELNS1_11target_archE4294967295ELNS1_3gpuE0ELNS1_3repE0EEENS1_48merge_mergepath_partition_config_static_selectorELNS0_4arch9wavefront6targetE1EEEvSH_
; %bb.0:
	.section	.rodata,"a",@progbits
	.p2align	6, 0x0
	.amdhsa_kernel _ZN7rocprim17ROCPRIM_400000_NS6detail17trampoline_kernelINS0_14default_configENS1_38merge_sort_block_merge_config_selectorIalEEZZNS1_27merge_sort_block_merge_implIS3_PaN6thrust23THRUST_200600_302600_NS10device_ptrIlEEjNS1_19radix_merge_compareILb0ELb1EaNS0_19identity_decomposerEEEEE10hipError_tT0_T1_T2_jT3_P12ihipStream_tbPNSt15iterator_traitsISG_E10value_typeEPNSM_ISH_E10value_typeEPSI_NS1_7vsmem_tEENKUlT_SG_SH_SI_E_clIS7_S7_SB_PlEESF_SV_SG_SH_SI_EUlSV_E_NS1_11comp_targetILNS1_3genE0ELNS1_11target_archE4294967295ELNS1_3gpuE0ELNS1_3repE0EEENS1_48merge_mergepath_partition_config_static_selectorELNS0_4arch9wavefront6targetE1EEEvSH_
		.amdhsa_group_segment_fixed_size 0
		.amdhsa_private_segment_fixed_size 0
		.amdhsa_kernarg_size 40
		.amdhsa_user_sgpr_count 6
		.amdhsa_user_sgpr_private_segment_buffer 1
		.amdhsa_user_sgpr_dispatch_ptr 0
		.amdhsa_user_sgpr_queue_ptr 0
		.amdhsa_user_sgpr_kernarg_segment_ptr 1
		.amdhsa_user_sgpr_dispatch_id 0
		.amdhsa_user_sgpr_flat_scratch_init 0
		.amdhsa_user_sgpr_kernarg_preload_length 0
		.amdhsa_user_sgpr_kernarg_preload_offset 0
		.amdhsa_user_sgpr_private_segment_size 0
		.amdhsa_uses_dynamic_stack 0
		.amdhsa_system_sgpr_private_segment_wavefront_offset 0
		.amdhsa_system_sgpr_workgroup_id_x 1
		.amdhsa_system_sgpr_workgroup_id_y 0
		.amdhsa_system_sgpr_workgroup_id_z 0
		.amdhsa_system_sgpr_workgroup_info 0
		.amdhsa_system_vgpr_workitem_id 0
		.amdhsa_next_free_vgpr 1
		.amdhsa_next_free_sgpr 0
		.amdhsa_accum_offset 4
		.amdhsa_reserve_vcc 0
		.amdhsa_reserve_flat_scratch 0
		.amdhsa_float_round_mode_32 0
		.amdhsa_float_round_mode_16_64 0
		.amdhsa_float_denorm_mode_32 3
		.amdhsa_float_denorm_mode_16_64 3
		.amdhsa_dx10_clamp 1
		.amdhsa_ieee_mode 1
		.amdhsa_fp16_overflow 0
		.amdhsa_tg_split 0
		.amdhsa_exception_fp_ieee_invalid_op 0
		.amdhsa_exception_fp_denorm_src 0
		.amdhsa_exception_fp_ieee_div_zero 0
		.amdhsa_exception_fp_ieee_overflow 0
		.amdhsa_exception_fp_ieee_underflow 0
		.amdhsa_exception_fp_ieee_inexact 0
		.amdhsa_exception_int_div_zero 0
	.end_amdhsa_kernel
	.section	.text._ZN7rocprim17ROCPRIM_400000_NS6detail17trampoline_kernelINS0_14default_configENS1_38merge_sort_block_merge_config_selectorIalEEZZNS1_27merge_sort_block_merge_implIS3_PaN6thrust23THRUST_200600_302600_NS10device_ptrIlEEjNS1_19radix_merge_compareILb0ELb1EaNS0_19identity_decomposerEEEEE10hipError_tT0_T1_T2_jT3_P12ihipStream_tbPNSt15iterator_traitsISG_E10value_typeEPNSM_ISH_E10value_typeEPSI_NS1_7vsmem_tEENKUlT_SG_SH_SI_E_clIS7_S7_SB_PlEESF_SV_SG_SH_SI_EUlSV_E_NS1_11comp_targetILNS1_3genE0ELNS1_11target_archE4294967295ELNS1_3gpuE0ELNS1_3repE0EEENS1_48merge_mergepath_partition_config_static_selectorELNS0_4arch9wavefront6targetE1EEEvSH_,"axG",@progbits,_ZN7rocprim17ROCPRIM_400000_NS6detail17trampoline_kernelINS0_14default_configENS1_38merge_sort_block_merge_config_selectorIalEEZZNS1_27merge_sort_block_merge_implIS3_PaN6thrust23THRUST_200600_302600_NS10device_ptrIlEEjNS1_19radix_merge_compareILb0ELb1EaNS0_19identity_decomposerEEEEE10hipError_tT0_T1_T2_jT3_P12ihipStream_tbPNSt15iterator_traitsISG_E10value_typeEPNSM_ISH_E10value_typeEPSI_NS1_7vsmem_tEENKUlT_SG_SH_SI_E_clIS7_S7_SB_PlEESF_SV_SG_SH_SI_EUlSV_E_NS1_11comp_targetILNS1_3genE0ELNS1_11target_archE4294967295ELNS1_3gpuE0ELNS1_3repE0EEENS1_48merge_mergepath_partition_config_static_selectorELNS0_4arch9wavefront6targetE1EEEvSH_,comdat
.Lfunc_end558:
	.size	_ZN7rocprim17ROCPRIM_400000_NS6detail17trampoline_kernelINS0_14default_configENS1_38merge_sort_block_merge_config_selectorIalEEZZNS1_27merge_sort_block_merge_implIS3_PaN6thrust23THRUST_200600_302600_NS10device_ptrIlEEjNS1_19radix_merge_compareILb0ELb1EaNS0_19identity_decomposerEEEEE10hipError_tT0_T1_T2_jT3_P12ihipStream_tbPNSt15iterator_traitsISG_E10value_typeEPNSM_ISH_E10value_typeEPSI_NS1_7vsmem_tEENKUlT_SG_SH_SI_E_clIS7_S7_SB_PlEESF_SV_SG_SH_SI_EUlSV_E_NS1_11comp_targetILNS1_3genE0ELNS1_11target_archE4294967295ELNS1_3gpuE0ELNS1_3repE0EEENS1_48merge_mergepath_partition_config_static_selectorELNS0_4arch9wavefront6targetE1EEEvSH_, .Lfunc_end558-_ZN7rocprim17ROCPRIM_400000_NS6detail17trampoline_kernelINS0_14default_configENS1_38merge_sort_block_merge_config_selectorIalEEZZNS1_27merge_sort_block_merge_implIS3_PaN6thrust23THRUST_200600_302600_NS10device_ptrIlEEjNS1_19radix_merge_compareILb0ELb1EaNS0_19identity_decomposerEEEEE10hipError_tT0_T1_T2_jT3_P12ihipStream_tbPNSt15iterator_traitsISG_E10value_typeEPNSM_ISH_E10value_typeEPSI_NS1_7vsmem_tEENKUlT_SG_SH_SI_E_clIS7_S7_SB_PlEESF_SV_SG_SH_SI_EUlSV_E_NS1_11comp_targetILNS1_3genE0ELNS1_11target_archE4294967295ELNS1_3gpuE0ELNS1_3repE0EEENS1_48merge_mergepath_partition_config_static_selectorELNS0_4arch9wavefront6targetE1EEEvSH_
                                        ; -- End function
	.section	.AMDGPU.csdata,"",@progbits
; Kernel info:
; codeLenInByte = 0
; NumSgprs: 4
; NumVgprs: 0
; NumAgprs: 0
; TotalNumVgprs: 0
; ScratchSize: 0
; MemoryBound: 0
; FloatMode: 240
; IeeeMode: 1
; LDSByteSize: 0 bytes/workgroup (compile time only)
; SGPRBlocks: 0
; VGPRBlocks: 0
; NumSGPRsForWavesPerEU: 4
; NumVGPRsForWavesPerEU: 1
; AccumOffset: 4
; Occupancy: 8
; WaveLimiterHint : 0
; COMPUTE_PGM_RSRC2:SCRATCH_EN: 0
; COMPUTE_PGM_RSRC2:USER_SGPR: 6
; COMPUTE_PGM_RSRC2:TRAP_HANDLER: 0
; COMPUTE_PGM_RSRC2:TGID_X_EN: 1
; COMPUTE_PGM_RSRC2:TGID_Y_EN: 0
; COMPUTE_PGM_RSRC2:TGID_Z_EN: 0
; COMPUTE_PGM_RSRC2:TIDIG_COMP_CNT: 0
; COMPUTE_PGM_RSRC3_GFX90A:ACCUM_OFFSET: 0
; COMPUTE_PGM_RSRC3_GFX90A:TG_SPLIT: 0
	.section	.text._ZN7rocprim17ROCPRIM_400000_NS6detail17trampoline_kernelINS0_14default_configENS1_38merge_sort_block_merge_config_selectorIalEEZZNS1_27merge_sort_block_merge_implIS3_PaN6thrust23THRUST_200600_302600_NS10device_ptrIlEEjNS1_19radix_merge_compareILb0ELb1EaNS0_19identity_decomposerEEEEE10hipError_tT0_T1_T2_jT3_P12ihipStream_tbPNSt15iterator_traitsISG_E10value_typeEPNSM_ISH_E10value_typeEPSI_NS1_7vsmem_tEENKUlT_SG_SH_SI_E_clIS7_S7_SB_PlEESF_SV_SG_SH_SI_EUlSV_E_NS1_11comp_targetILNS1_3genE10ELNS1_11target_archE1201ELNS1_3gpuE5ELNS1_3repE0EEENS1_48merge_mergepath_partition_config_static_selectorELNS0_4arch9wavefront6targetE1EEEvSH_,"axG",@progbits,_ZN7rocprim17ROCPRIM_400000_NS6detail17trampoline_kernelINS0_14default_configENS1_38merge_sort_block_merge_config_selectorIalEEZZNS1_27merge_sort_block_merge_implIS3_PaN6thrust23THRUST_200600_302600_NS10device_ptrIlEEjNS1_19radix_merge_compareILb0ELb1EaNS0_19identity_decomposerEEEEE10hipError_tT0_T1_T2_jT3_P12ihipStream_tbPNSt15iterator_traitsISG_E10value_typeEPNSM_ISH_E10value_typeEPSI_NS1_7vsmem_tEENKUlT_SG_SH_SI_E_clIS7_S7_SB_PlEESF_SV_SG_SH_SI_EUlSV_E_NS1_11comp_targetILNS1_3genE10ELNS1_11target_archE1201ELNS1_3gpuE5ELNS1_3repE0EEENS1_48merge_mergepath_partition_config_static_selectorELNS0_4arch9wavefront6targetE1EEEvSH_,comdat
	.protected	_ZN7rocprim17ROCPRIM_400000_NS6detail17trampoline_kernelINS0_14default_configENS1_38merge_sort_block_merge_config_selectorIalEEZZNS1_27merge_sort_block_merge_implIS3_PaN6thrust23THRUST_200600_302600_NS10device_ptrIlEEjNS1_19radix_merge_compareILb0ELb1EaNS0_19identity_decomposerEEEEE10hipError_tT0_T1_T2_jT3_P12ihipStream_tbPNSt15iterator_traitsISG_E10value_typeEPNSM_ISH_E10value_typeEPSI_NS1_7vsmem_tEENKUlT_SG_SH_SI_E_clIS7_S7_SB_PlEESF_SV_SG_SH_SI_EUlSV_E_NS1_11comp_targetILNS1_3genE10ELNS1_11target_archE1201ELNS1_3gpuE5ELNS1_3repE0EEENS1_48merge_mergepath_partition_config_static_selectorELNS0_4arch9wavefront6targetE1EEEvSH_ ; -- Begin function _ZN7rocprim17ROCPRIM_400000_NS6detail17trampoline_kernelINS0_14default_configENS1_38merge_sort_block_merge_config_selectorIalEEZZNS1_27merge_sort_block_merge_implIS3_PaN6thrust23THRUST_200600_302600_NS10device_ptrIlEEjNS1_19radix_merge_compareILb0ELb1EaNS0_19identity_decomposerEEEEE10hipError_tT0_T1_T2_jT3_P12ihipStream_tbPNSt15iterator_traitsISG_E10value_typeEPNSM_ISH_E10value_typeEPSI_NS1_7vsmem_tEENKUlT_SG_SH_SI_E_clIS7_S7_SB_PlEESF_SV_SG_SH_SI_EUlSV_E_NS1_11comp_targetILNS1_3genE10ELNS1_11target_archE1201ELNS1_3gpuE5ELNS1_3repE0EEENS1_48merge_mergepath_partition_config_static_selectorELNS0_4arch9wavefront6targetE1EEEvSH_
	.globl	_ZN7rocprim17ROCPRIM_400000_NS6detail17trampoline_kernelINS0_14default_configENS1_38merge_sort_block_merge_config_selectorIalEEZZNS1_27merge_sort_block_merge_implIS3_PaN6thrust23THRUST_200600_302600_NS10device_ptrIlEEjNS1_19radix_merge_compareILb0ELb1EaNS0_19identity_decomposerEEEEE10hipError_tT0_T1_T2_jT3_P12ihipStream_tbPNSt15iterator_traitsISG_E10value_typeEPNSM_ISH_E10value_typeEPSI_NS1_7vsmem_tEENKUlT_SG_SH_SI_E_clIS7_S7_SB_PlEESF_SV_SG_SH_SI_EUlSV_E_NS1_11comp_targetILNS1_3genE10ELNS1_11target_archE1201ELNS1_3gpuE5ELNS1_3repE0EEENS1_48merge_mergepath_partition_config_static_selectorELNS0_4arch9wavefront6targetE1EEEvSH_
	.p2align	8
	.type	_ZN7rocprim17ROCPRIM_400000_NS6detail17trampoline_kernelINS0_14default_configENS1_38merge_sort_block_merge_config_selectorIalEEZZNS1_27merge_sort_block_merge_implIS3_PaN6thrust23THRUST_200600_302600_NS10device_ptrIlEEjNS1_19radix_merge_compareILb0ELb1EaNS0_19identity_decomposerEEEEE10hipError_tT0_T1_T2_jT3_P12ihipStream_tbPNSt15iterator_traitsISG_E10value_typeEPNSM_ISH_E10value_typeEPSI_NS1_7vsmem_tEENKUlT_SG_SH_SI_E_clIS7_S7_SB_PlEESF_SV_SG_SH_SI_EUlSV_E_NS1_11comp_targetILNS1_3genE10ELNS1_11target_archE1201ELNS1_3gpuE5ELNS1_3repE0EEENS1_48merge_mergepath_partition_config_static_selectorELNS0_4arch9wavefront6targetE1EEEvSH_,@function
_ZN7rocprim17ROCPRIM_400000_NS6detail17trampoline_kernelINS0_14default_configENS1_38merge_sort_block_merge_config_selectorIalEEZZNS1_27merge_sort_block_merge_implIS3_PaN6thrust23THRUST_200600_302600_NS10device_ptrIlEEjNS1_19radix_merge_compareILb0ELb1EaNS0_19identity_decomposerEEEEE10hipError_tT0_T1_T2_jT3_P12ihipStream_tbPNSt15iterator_traitsISG_E10value_typeEPNSM_ISH_E10value_typeEPSI_NS1_7vsmem_tEENKUlT_SG_SH_SI_E_clIS7_S7_SB_PlEESF_SV_SG_SH_SI_EUlSV_E_NS1_11comp_targetILNS1_3genE10ELNS1_11target_archE1201ELNS1_3gpuE5ELNS1_3repE0EEENS1_48merge_mergepath_partition_config_static_selectorELNS0_4arch9wavefront6targetE1EEEvSH_: ; @_ZN7rocprim17ROCPRIM_400000_NS6detail17trampoline_kernelINS0_14default_configENS1_38merge_sort_block_merge_config_selectorIalEEZZNS1_27merge_sort_block_merge_implIS3_PaN6thrust23THRUST_200600_302600_NS10device_ptrIlEEjNS1_19radix_merge_compareILb0ELb1EaNS0_19identity_decomposerEEEEE10hipError_tT0_T1_T2_jT3_P12ihipStream_tbPNSt15iterator_traitsISG_E10value_typeEPNSM_ISH_E10value_typeEPSI_NS1_7vsmem_tEENKUlT_SG_SH_SI_E_clIS7_S7_SB_PlEESF_SV_SG_SH_SI_EUlSV_E_NS1_11comp_targetILNS1_3genE10ELNS1_11target_archE1201ELNS1_3gpuE5ELNS1_3repE0EEENS1_48merge_mergepath_partition_config_static_selectorELNS0_4arch9wavefront6targetE1EEEvSH_
; %bb.0:
	.section	.rodata,"a",@progbits
	.p2align	6, 0x0
	.amdhsa_kernel _ZN7rocprim17ROCPRIM_400000_NS6detail17trampoline_kernelINS0_14default_configENS1_38merge_sort_block_merge_config_selectorIalEEZZNS1_27merge_sort_block_merge_implIS3_PaN6thrust23THRUST_200600_302600_NS10device_ptrIlEEjNS1_19radix_merge_compareILb0ELb1EaNS0_19identity_decomposerEEEEE10hipError_tT0_T1_T2_jT3_P12ihipStream_tbPNSt15iterator_traitsISG_E10value_typeEPNSM_ISH_E10value_typeEPSI_NS1_7vsmem_tEENKUlT_SG_SH_SI_E_clIS7_S7_SB_PlEESF_SV_SG_SH_SI_EUlSV_E_NS1_11comp_targetILNS1_3genE10ELNS1_11target_archE1201ELNS1_3gpuE5ELNS1_3repE0EEENS1_48merge_mergepath_partition_config_static_selectorELNS0_4arch9wavefront6targetE1EEEvSH_
		.amdhsa_group_segment_fixed_size 0
		.amdhsa_private_segment_fixed_size 0
		.amdhsa_kernarg_size 40
		.amdhsa_user_sgpr_count 6
		.amdhsa_user_sgpr_private_segment_buffer 1
		.amdhsa_user_sgpr_dispatch_ptr 0
		.amdhsa_user_sgpr_queue_ptr 0
		.amdhsa_user_sgpr_kernarg_segment_ptr 1
		.amdhsa_user_sgpr_dispatch_id 0
		.amdhsa_user_sgpr_flat_scratch_init 0
		.amdhsa_user_sgpr_kernarg_preload_length 0
		.amdhsa_user_sgpr_kernarg_preload_offset 0
		.amdhsa_user_sgpr_private_segment_size 0
		.amdhsa_uses_dynamic_stack 0
		.amdhsa_system_sgpr_private_segment_wavefront_offset 0
		.amdhsa_system_sgpr_workgroup_id_x 1
		.amdhsa_system_sgpr_workgroup_id_y 0
		.amdhsa_system_sgpr_workgroup_id_z 0
		.amdhsa_system_sgpr_workgroup_info 0
		.amdhsa_system_vgpr_workitem_id 0
		.amdhsa_next_free_vgpr 1
		.amdhsa_next_free_sgpr 0
		.amdhsa_accum_offset 4
		.amdhsa_reserve_vcc 0
		.amdhsa_reserve_flat_scratch 0
		.amdhsa_float_round_mode_32 0
		.amdhsa_float_round_mode_16_64 0
		.amdhsa_float_denorm_mode_32 3
		.amdhsa_float_denorm_mode_16_64 3
		.amdhsa_dx10_clamp 1
		.amdhsa_ieee_mode 1
		.amdhsa_fp16_overflow 0
		.amdhsa_tg_split 0
		.amdhsa_exception_fp_ieee_invalid_op 0
		.amdhsa_exception_fp_denorm_src 0
		.amdhsa_exception_fp_ieee_div_zero 0
		.amdhsa_exception_fp_ieee_overflow 0
		.amdhsa_exception_fp_ieee_underflow 0
		.amdhsa_exception_fp_ieee_inexact 0
		.amdhsa_exception_int_div_zero 0
	.end_amdhsa_kernel
	.section	.text._ZN7rocprim17ROCPRIM_400000_NS6detail17trampoline_kernelINS0_14default_configENS1_38merge_sort_block_merge_config_selectorIalEEZZNS1_27merge_sort_block_merge_implIS3_PaN6thrust23THRUST_200600_302600_NS10device_ptrIlEEjNS1_19radix_merge_compareILb0ELb1EaNS0_19identity_decomposerEEEEE10hipError_tT0_T1_T2_jT3_P12ihipStream_tbPNSt15iterator_traitsISG_E10value_typeEPNSM_ISH_E10value_typeEPSI_NS1_7vsmem_tEENKUlT_SG_SH_SI_E_clIS7_S7_SB_PlEESF_SV_SG_SH_SI_EUlSV_E_NS1_11comp_targetILNS1_3genE10ELNS1_11target_archE1201ELNS1_3gpuE5ELNS1_3repE0EEENS1_48merge_mergepath_partition_config_static_selectorELNS0_4arch9wavefront6targetE1EEEvSH_,"axG",@progbits,_ZN7rocprim17ROCPRIM_400000_NS6detail17trampoline_kernelINS0_14default_configENS1_38merge_sort_block_merge_config_selectorIalEEZZNS1_27merge_sort_block_merge_implIS3_PaN6thrust23THRUST_200600_302600_NS10device_ptrIlEEjNS1_19radix_merge_compareILb0ELb1EaNS0_19identity_decomposerEEEEE10hipError_tT0_T1_T2_jT3_P12ihipStream_tbPNSt15iterator_traitsISG_E10value_typeEPNSM_ISH_E10value_typeEPSI_NS1_7vsmem_tEENKUlT_SG_SH_SI_E_clIS7_S7_SB_PlEESF_SV_SG_SH_SI_EUlSV_E_NS1_11comp_targetILNS1_3genE10ELNS1_11target_archE1201ELNS1_3gpuE5ELNS1_3repE0EEENS1_48merge_mergepath_partition_config_static_selectorELNS0_4arch9wavefront6targetE1EEEvSH_,comdat
.Lfunc_end559:
	.size	_ZN7rocprim17ROCPRIM_400000_NS6detail17trampoline_kernelINS0_14default_configENS1_38merge_sort_block_merge_config_selectorIalEEZZNS1_27merge_sort_block_merge_implIS3_PaN6thrust23THRUST_200600_302600_NS10device_ptrIlEEjNS1_19radix_merge_compareILb0ELb1EaNS0_19identity_decomposerEEEEE10hipError_tT0_T1_T2_jT3_P12ihipStream_tbPNSt15iterator_traitsISG_E10value_typeEPNSM_ISH_E10value_typeEPSI_NS1_7vsmem_tEENKUlT_SG_SH_SI_E_clIS7_S7_SB_PlEESF_SV_SG_SH_SI_EUlSV_E_NS1_11comp_targetILNS1_3genE10ELNS1_11target_archE1201ELNS1_3gpuE5ELNS1_3repE0EEENS1_48merge_mergepath_partition_config_static_selectorELNS0_4arch9wavefront6targetE1EEEvSH_, .Lfunc_end559-_ZN7rocprim17ROCPRIM_400000_NS6detail17trampoline_kernelINS0_14default_configENS1_38merge_sort_block_merge_config_selectorIalEEZZNS1_27merge_sort_block_merge_implIS3_PaN6thrust23THRUST_200600_302600_NS10device_ptrIlEEjNS1_19radix_merge_compareILb0ELb1EaNS0_19identity_decomposerEEEEE10hipError_tT0_T1_T2_jT3_P12ihipStream_tbPNSt15iterator_traitsISG_E10value_typeEPNSM_ISH_E10value_typeEPSI_NS1_7vsmem_tEENKUlT_SG_SH_SI_E_clIS7_S7_SB_PlEESF_SV_SG_SH_SI_EUlSV_E_NS1_11comp_targetILNS1_3genE10ELNS1_11target_archE1201ELNS1_3gpuE5ELNS1_3repE0EEENS1_48merge_mergepath_partition_config_static_selectorELNS0_4arch9wavefront6targetE1EEEvSH_
                                        ; -- End function
	.section	.AMDGPU.csdata,"",@progbits
; Kernel info:
; codeLenInByte = 0
; NumSgprs: 4
; NumVgprs: 0
; NumAgprs: 0
; TotalNumVgprs: 0
; ScratchSize: 0
; MemoryBound: 0
; FloatMode: 240
; IeeeMode: 1
; LDSByteSize: 0 bytes/workgroup (compile time only)
; SGPRBlocks: 0
; VGPRBlocks: 0
; NumSGPRsForWavesPerEU: 4
; NumVGPRsForWavesPerEU: 1
; AccumOffset: 4
; Occupancy: 8
; WaveLimiterHint : 0
; COMPUTE_PGM_RSRC2:SCRATCH_EN: 0
; COMPUTE_PGM_RSRC2:USER_SGPR: 6
; COMPUTE_PGM_RSRC2:TRAP_HANDLER: 0
; COMPUTE_PGM_RSRC2:TGID_X_EN: 1
; COMPUTE_PGM_RSRC2:TGID_Y_EN: 0
; COMPUTE_PGM_RSRC2:TGID_Z_EN: 0
; COMPUTE_PGM_RSRC2:TIDIG_COMP_CNT: 0
; COMPUTE_PGM_RSRC3_GFX90A:ACCUM_OFFSET: 0
; COMPUTE_PGM_RSRC3_GFX90A:TG_SPLIT: 0
	.section	.text._ZN7rocprim17ROCPRIM_400000_NS6detail17trampoline_kernelINS0_14default_configENS1_38merge_sort_block_merge_config_selectorIalEEZZNS1_27merge_sort_block_merge_implIS3_PaN6thrust23THRUST_200600_302600_NS10device_ptrIlEEjNS1_19radix_merge_compareILb0ELb1EaNS0_19identity_decomposerEEEEE10hipError_tT0_T1_T2_jT3_P12ihipStream_tbPNSt15iterator_traitsISG_E10value_typeEPNSM_ISH_E10value_typeEPSI_NS1_7vsmem_tEENKUlT_SG_SH_SI_E_clIS7_S7_SB_PlEESF_SV_SG_SH_SI_EUlSV_E_NS1_11comp_targetILNS1_3genE5ELNS1_11target_archE942ELNS1_3gpuE9ELNS1_3repE0EEENS1_48merge_mergepath_partition_config_static_selectorELNS0_4arch9wavefront6targetE1EEEvSH_,"axG",@progbits,_ZN7rocprim17ROCPRIM_400000_NS6detail17trampoline_kernelINS0_14default_configENS1_38merge_sort_block_merge_config_selectorIalEEZZNS1_27merge_sort_block_merge_implIS3_PaN6thrust23THRUST_200600_302600_NS10device_ptrIlEEjNS1_19radix_merge_compareILb0ELb1EaNS0_19identity_decomposerEEEEE10hipError_tT0_T1_T2_jT3_P12ihipStream_tbPNSt15iterator_traitsISG_E10value_typeEPNSM_ISH_E10value_typeEPSI_NS1_7vsmem_tEENKUlT_SG_SH_SI_E_clIS7_S7_SB_PlEESF_SV_SG_SH_SI_EUlSV_E_NS1_11comp_targetILNS1_3genE5ELNS1_11target_archE942ELNS1_3gpuE9ELNS1_3repE0EEENS1_48merge_mergepath_partition_config_static_selectorELNS0_4arch9wavefront6targetE1EEEvSH_,comdat
	.protected	_ZN7rocprim17ROCPRIM_400000_NS6detail17trampoline_kernelINS0_14default_configENS1_38merge_sort_block_merge_config_selectorIalEEZZNS1_27merge_sort_block_merge_implIS3_PaN6thrust23THRUST_200600_302600_NS10device_ptrIlEEjNS1_19radix_merge_compareILb0ELb1EaNS0_19identity_decomposerEEEEE10hipError_tT0_T1_T2_jT3_P12ihipStream_tbPNSt15iterator_traitsISG_E10value_typeEPNSM_ISH_E10value_typeEPSI_NS1_7vsmem_tEENKUlT_SG_SH_SI_E_clIS7_S7_SB_PlEESF_SV_SG_SH_SI_EUlSV_E_NS1_11comp_targetILNS1_3genE5ELNS1_11target_archE942ELNS1_3gpuE9ELNS1_3repE0EEENS1_48merge_mergepath_partition_config_static_selectorELNS0_4arch9wavefront6targetE1EEEvSH_ ; -- Begin function _ZN7rocprim17ROCPRIM_400000_NS6detail17trampoline_kernelINS0_14default_configENS1_38merge_sort_block_merge_config_selectorIalEEZZNS1_27merge_sort_block_merge_implIS3_PaN6thrust23THRUST_200600_302600_NS10device_ptrIlEEjNS1_19radix_merge_compareILb0ELb1EaNS0_19identity_decomposerEEEEE10hipError_tT0_T1_T2_jT3_P12ihipStream_tbPNSt15iterator_traitsISG_E10value_typeEPNSM_ISH_E10value_typeEPSI_NS1_7vsmem_tEENKUlT_SG_SH_SI_E_clIS7_S7_SB_PlEESF_SV_SG_SH_SI_EUlSV_E_NS1_11comp_targetILNS1_3genE5ELNS1_11target_archE942ELNS1_3gpuE9ELNS1_3repE0EEENS1_48merge_mergepath_partition_config_static_selectorELNS0_4arch9wavefront6targetE1EEEvSH_
	.globl	_ZN7rocprim17ROCPRIM_400000_NS6detail17trampoline_kernelINS0_14default_configENS1_38merge_sort_block_merge_config_selectorIalEEZZNS1_27merge_sort_block_merge_implIS3_PaN6thrust23THRUST_200600_302600_NS10device_ptrIlEEjNS1_19radix_merge_compareILb0ELb1EaNS0_19identity_decomposerEEEEE10hipError_tT0_T1_T2_jT3_P12ihipStream_tbPNSt15iterator_traitsISG_E10value_typeEPNSM_ISH_E10value_typeEPSI_NS1_7vsmem_tEENKUlT_SG_SH_SI_E_clIS7_S7_SB_PlEESF_SV_SG_SH_SI_EUlSV_E_NS1_11comp_targetILNS1_3genE5ELNS1_11target_archE942ELNS1_3gpuE9ELNS1_3repE0EEENS1_48merge_mergepath_partition_config_static_selectorELNS0_4arch9wavefront6targetE1EEEvSH_
	.p2align	8
	.type	_ZN7rocprim17ROCPRIM_400000_NS6detail17trampoline_kernelINS0_14default_configENS1_38merge_sort_block_merge_config_selectorIalEEZZNS1_27merge_sort_block_merge_implIS3_PaN6thrust23THRUST_200600_302600_NS10device_ptrIlEEjNS1_19radix_merge_compareILb0ELb1EaNS0_19identity_decomposerEEEEE10hipError_tT0_T1_T2_jT3_P12ihipStream_tbPNSt15iterator_traitsISG_E10value_typeEPNSM_ISH_E10value_typeEPSI_NS1_7vsmem_tEENKUlT_SG_SH_SI_E_clIS7_S7_SB_PlEESF_SV_SG_SH_SI_EUlSV_E_NS1_11comp_targetILNS1_3genE5ELNS1_11target_archE942ELNS1_3gpuE9ELNS1_3repE0EEENS1_48merge_mergepath_partition_config_static_selectorELNS0_4arch9wavefront6targetE1EEEvSH_,@function
_ZN7rocprim17ROCPRIM_400000_NS6detail17trampoline_kernelINS0_14default_configENS1_38merge_sort_block_merge_config_selectorIalEEZZNS1_27merge_sort_block_merge_implIS3_PaN6thrust23THRUST_200600_302600_NS10device_ptrIlEEjNS1_19radix_merge_compareILb0ELb1EaNS0_19identity_decomposerEEEEE10hipError_tT0_T1_T2_jT3_P12ihipStream_tbPNSt15iterator_traitsISG_E10value_typeEPNSM_ISH_E10value_typeEPSI_NS1_7vsmem_tEENKUlT_SG_SH_SI_E_clIS7_S7_SB_PlEESF_SV_SG_SH_SI_EUlSV_E_NS1_11comp_targetILNS1_3genE5ELNS1_11target_archE942ELNS1_3gpuE9ELNS1_3repE0EEENS1_48merge_mergepath_partition_config_static_selectorELNS0_4arch9wavefront6targetE1EEEvSH_: ; @_ZN7rocprim17ROCPRIM_400000_NS6detail17trampoline_kernelINS0_14default_configENS1_38merge_sort_block_merge_config_selectorIalEEZZNS1_27merge_sort_block_merge_implIS3_PaN6thrust23THRUST_200600_302600_NS10device_ptrIlEEjNS1_19radix_merge_compareILb0ELb1EaNS0_19identity_decomposerEEEEE10hipError_tT0_T1_T2_jT3_P12ihipStream_tbPNSt15iterator_traitsISG_E10value_typeEPNSM_ISH_E10value_typeEPSI_NS1_7vsmem_tEENKUlT_SG_SH_SI_E_clIS7_S7_SB_PlEESF_SV_SG_SH_SI_EUlSV_E_NS1_11comp_targetILNS1_3genE5ELNS1_11target_archE942ELNS1_3gpuE9ELNS1_3repE0EEENS1_48merge_mergepath_partition_config_static_selectorELNS0_4arch9wavefront6targetE1EEEvSH_
; %bb.0:
	.section	.rodata,"a",@progbits
	.p2align	6, 0x0
	.amdhsa_kernel _ZN7rocprim17ROCPRIM_400000_NS6detail17trampoline_kernelINS0_14default_configENS1_38merge_sort_block_merge_config_selectorIalEEZZNS1_27merge_sort_block_merge_implIS3_PaN6thrust23THRUST_200600_302600_NS10device_ptrIlEEjNS1_19radix_merge_compareILb0ELb1EaNS0_19identity_decomposerEEEEE10hipError_tT0_T1_T2_jT3_P12ihipStream_tbPNSt15iterator_traitsISG_E10value_typeEPNSM_ISH_E10value_typeEPSI_NS1_7vsmem_tEENKUlT_SG_SH_SI_E_clIS7_S7_SB_PlEESF_SV_SG_SH_SI_EUlSV_E_NS1_11comp_targetILNS1_3genE5ELNS1_11target_archE942ELNS1_3gpuE9ELNS1_3repE0EEENS1_48merge_mergepath_partition_config_static_selectorELNS0_4arch9wavefront6targetE1EEEvSH_
		.amdhsa_group_segment_fixed_size 0
		.amdhsa_private_segment_fixed_size 0
		.amdhsa_kernarg_size 40
		.amdhsa_user_sgpr_count 6
		.amdhsa_user_sgpr_private_segment_buffer 1
		.amdhsa_user_sgpr_dispatch_ptr 0
		.amdhsa_user_sgpr_queue_ptr 0
		.amdhsa_user_sgpr_kernarg_segment_ptr 1
		.amdhsa_user_sgpr_dispatch_id 0
		.amdhsa_user_sgpr_flat_scratch_init 0
		.amdhsa_user_sgpr_kernarg_preload_length 0
		.amdhsa_user_sgpr_kernarg_preload_offset 0
		.amdhsa_user_sgpr_private_segment_size 0
		.amdhsa_uses_dynamic_stack 0
		.amdhsa_system_sgpr_private_segment_wavefront_offset 0
		.amdhsa_system_sgpr_workgroup_id_x 1
		.amdhsa_system_sgpr_workgroup_id_y 0
		.amdhsa_system_sgpr_workgroup_id_z 0
		.amdhsa_system_sgpr_workgroup_info 0
		.amdhsa_system_vgpr_workitem_id 0
		.amdhsa_next_free_vgpr 1
		.amdhsa_next_free_sgpr 0
		.amdhsa_accum_offset 4
		.amdhsa_reserve_vcc 0
		.amdhsa_reserve_flat_scratch 0
		.amdhsa_float_round_mode_32 0
		.amdhsa_float_round_mode_16_64 0
		.amdhsa_float_denorm_mode_32 3
		.amdhsa_float_denorm_mode_16_64 3
		.amdhsa_dx10_clamp 1
		.amdhsa_ieee_mode 1
		.amdhsa_fp16_overflow 0
		.amdhsa_tg_split 0
		.amdhsa_exception_fp_ieee_invalid_op 0
		.amdhsa_exception_fp_denorm_src 0
		.amdhsa_exception_fp_ieee_div_zero 0
		.amdhsa_exception_fp_ieee_overflow 0
		.amdhsa_exception_fp_ieee_underflow 0
		.amdhsa_exception_fp_ieee_inexact 0
		.amdhsa_exception_int_div_zero 0
	.end_amdhsa_kernel
	.section	.text._ZN7rocprim17ROCPRIM_400000_NS6detail17trampoline_kernelINS0_14default_configENS1_38merge_sort_block_merge_config_selectorIalEEZZNS1_27merge_sort_block_merge_implIS3_PaN6thrust23THRUST_200600_302600_NS10device_ptrIlEEjNS1_19radix_merge_compareILb0ELb1EaNS0_19identity_decomposerEEEEE10hipError_tT0_T1_T2_jT3_P12ihipStream_tbPNSt15iterator_traitsISG_E10value_typeEPNSM_ISH_E10value_typeEPSI_NS1_7vsmem_tEENKUlT_SG_SH_SI_E_clIS7_S7_SB_PlEESF_SV_SG_SH_SI_EUlSV_E_NS1_11comp_targetILNS1_3genE5ELNS1_11target_archE942ELNS1_3gpuE9ELNS1_3repE0EEENS1_48merge_mergepath_partition_config_static_selectorELNS0_4arch9wavefront6targetE1EEEvSH_,"axG",@progbits,_ZN7rocprim17ROCPRIM_400000_NS6detail17trampoline_kernelINS0_14default_configENS1_38merge_sort_block_merge_config_selectorIalEEZZNS1_27merge_sort_block_merge_implIS3_PaN6thrust23THRUST_200600_302600_NS10device_ptrIlEEjNS1_19radix_merge_compareILb0ELb1EaNS0_19identity_decomposerEEEEE10hipError_tT0_T1_T2_jT3_P12ihipStream_tbPNSt15iterator_traitsISG_E10value_typeEPNSM_ISH_E10value_typeEPSI_NS1_7vsmem_tEENKUlT_SG_SH_SI_E_clIS7_S7_SB_PlEESF_SV_SG_SH_SI_EUlSV_E_NS1_11comp_targetILNS1_3genE5ELNS1_11target_archE942ELNS1_3gpuE9ELNS1_3repE0EEENS1_48merge_mergepath_partition_config_static_selectorELNS0_4arch9wavefront6targetE1EEEvSH_,comdat
.Lfunc_end560:
	.size	_ZN7rocprim17ROCPRIM_400000_NS6detail17trampoline_kernelINS0_14default_configENS1_38merge_sort_block_merge_config_selectorIalEEZZNS1_27merge_sort_block_merge_implIS3_PaN6thrust23THRUST_200600_302600_NS10device_ptrIlEEjNS1_19radix_merge_compareILb0ELb1EaNS0_19identity_decomposerEEEEE10hipError_tT0_T1_T2_jT3_P12ihipStream_tbPNSt15iterator_traitsISG_E10value_typeEPNSM_ISH_E10value_typeEPSI_NS1_7vsmem_tEENKUlT_SG_SH_SI_E_clIS7_S7_SB_PlEESF_SV_SG_SH_SI_EUlSV_E_NS1_11comp_targetILNS1_3genE5ELNS1_11target_archE942ELNS1_3gpuE9ELNS1_3repE0EEENS1_48merge_mergepath_partition_config_static_selectorELNS0_4arch9wavefront6targetE1EEEvSH_, .Lfunc_end560-_ZN7rocprim17ROCPRIM_400000_NS6detail17trampoline_kernelINS0_14default_configENS1_38merge_sort_block_merge_config_selectorIalEEZZNS1_27merge_sort_block_merge_implIS3_PaN6thrust23THRUST_200600_302600_NS10device_ptrIlEEjNS1_19radix_merge_compareILb0ELb1EaNS0_19identity_decomposerEEEEE10hipError_tT0_T1_T2_jT3_P12ihipStream_tbPNSt15iterator_traitsISG_E10value_typeEPNSM_ISH_E10value_typeEPSI_NS1_7vsmem_tEENKUlT_SG_SH_SI_E_clIS7_S7_SB_PlEESF_SV_SG_SH_SI_EUlSV_E_NS1_11comp_targetILNS1_3genE5ELNS1_11target_archE942ELNS1_3gpuE9ELNS1_3repE0EEENS1_48merge_mergepath_partition_config_static_selectorELNS0_4arch9wavefront6targetE1EEEvSH_
                                        ; -- End function
	.section	.AMDGPU.csdata,"",@progbits
; Kernel info:
; codeLenInByte = 0
; NumSgprs: 4
; NumVgprs: 0
; NumAgprs: 0
; TotalNumVgprs: 0
; ScratchSize: 0
; MemoryBound: 0
; FloatMode: 240
; IeeeMode: 1
; LDSByteSize: 0 bytes/workgroup (compile time only)
; SGPRBlocks: 0
; VGPRBlocks: 0
; NumSGPRsForWavesPerEU: 4
; NumVGPRsForWavesPerEU: 1
; AccumOffset: 4
; Occupancy: 8
; WaveLimiterHint : 0
; COMPUTE_PGM_RSRC2:SCRATCH_EN: 0
; COMPUTE_PGM_RSRC2:USER_SGPR: 6
; COMPUTE_PGM_RSRC2:TRAP_HANDLER: 0
; COMPUTE_PGM_RSRC2:TGID_X_EN: 1
; COMPUTE_PGM_RSRC2:TGID_Y_EN: 0
; COMPUTE_PGM_RSRC2:TGID_Z_EN: 0
; COMPUTE_PGM_RSRC2:TIDIG_COMP_CNT: 0
; COMPUTE_PGM_RSRC3_GFX90A:ACCUM_OFFSET: 0
; COMPUTE_PGM_RSRC3_GFX90A:TG_SPLIT: 0
	.section	.text._ZN7rocprim17ROCPRIM_400000_NS6detail17trampoline_kernelINS0_14default_configENS1_38merge_sort_block_merge_config_selectorIalEEZZNS1_27merge_sort_block_merge_implIS3_PaN6thrust23THRUST_200600_302600_NS10device_ptrIlEEjNS1_19radix_merge_compareILb0ELb1EaNS0_19identity_decomposerEEEEE10hipError_tT0_T1_T2_jT3_P12ihipStream_tbPNSt15iterator_traitsISG_E10value_typeEPNSM_ISH_E10value_typeEPSI_NS1_7vsmem_tEENKUlT_SG_SH_SI_E_clIS7_S7_SB_PlEESF_SV_SG_SH_SI_EUlSV_E_NS1_11comp_targetILNS1_3genE4ELNS1_11target_archE910ELNS1_3gpuE8ELNS1_3repE0EEENS1_48merge_mergepath_partition_config_static_selectorELNS0_4arch9wavefront6targetE1EEEvSH_,"axG",@progbits,_ZN7rocprim17ROCPRIM_400000_NS6detail17trampoline_kernelINS0_14default_configENS1_38merge_sort_block_merge_config_selectorIalEEZZNS1_27merge_sort_block_merge_implIS3_PaN6thrust23THRUST_200600_302600_NS10device_ptrIlEEjNS1_19radix_merge_compareILb0ELb1EaNS0_19identity_decomposerEEEEE10hipError_tT0_T1_T2_jT3_P12ihipStream_tbPNSt15iterator_traitsISG_E10value_typeEPNSM_ISH_E10value_typeEPSI_NS1_7vsmem_tEENKUlT_SG_SH_SI_E_clIS7_S7_SB_PlEESF_SV_SG_SH_SI_EUlSV_E_NS1_11comp_targetILNS1_3genE4ELNS1_11target_archE910ELNS1_3gpuE8ELNS1_3repE0EEENS1_48merge_mergepath_partition_config_static_selectorELNS0_4arch9wavefront6targetE1EEEvSH_,comdat
	.protected	_ZN7rocprim17ROCPRIM_400000_NS6detail17trampoline_kernelINS0_14default_configENS1_38merge_sort_block_merge_config_selectorIalEEZZNS1_27merge_sort_block_merge_implIS3_PaN6thrust23THRUST_200600_302600_NS10device_ptrIlEEjNS1_19radix_merge_compareILb0ELb1EaNS0_19identity_decomposerEEEEE10hipError_tT0_T1_T2_jT3_P12ihipStream_tbPNSt15iterator_traitsISG_E10value_typeEPNSM_ISH_E10value_typeEPSI_NS1_7vsmem_tEENKUlT_SG_SH_SI_E_clIS7_S7_SB_PlEESF_SV_SG_SH_SI_EUlSV_E_NS1_11comp_targetILNS1_3genE4ELNS1_11target_archE910ELNS1_3gpuE8ELNS1_3repE0EEENS1_48merge_mergepath_partition_config_static_selectorELNS0_4arch9wavefront6targetE1EEEvSH_ ; -- Begin function _ZN7rocprim17ROCPRIM_400000_NS6detail17trampoline_kernelINS0_14default_configENS1_38merge_sort_block_merge_config_selectorIalEEZZNS1_27merge_sort_block_merge_implIS3_PaN6thrust23THRUST_200600_302600_NS10device_ptrIlEEjNS1_19radix_merge_compareILb0ELb1EaNS0_19identity_decomposerEEEEE10hipError_tT0_T1_T2_jT3_P12ihipStream_tbPNSt15iterator_traitsISG_E10value_typeEPNSM_ISH_E10value_typeEPSI_NS1_7vsmem_tEENKUlT_SG_SH_SI_E_clIS7_S7_SB_PlEESF_SV_SG_SH_SI_EUlSV_E_NS1_11comp_targetILNS1_3genE4ELNS1_11target_archE910ELNS1_3gpuE8ELNS1_3repE0EEENS1_48merge_mergepath_partition_config_static_selectorELNS0_4arch9wavefront6targetE1EEEvSH_
	.globl	_ZN7rocprim17ROCPRIM_400000_NS6detail17trampoline_kernelINS0_14default_configENS1_38merge_sort_block_merge_config_selectorIalEEZZNS1_27merge_sort_block_merge_implIS3_PaN6thrust23THRUST_200600_302600_NS10device_ptrIlEEjNS1_19radix_merge_compareILb0ELb1EaNS0_19identity_decomposerEEEEE10hipError_tT0_T1_T2_jT3_P12ihipStream_tbPNSt15iterator_traitsISG_E10value_typeEPNSM_ISH_E10value_typeEPSI_NS1_7vsmem_tEENKUlT_SG_SH_SI_E_clIS7_S7_SB_PlEESF_SV_SG_SH_SI_EUlSV_E_NS1_11comp_targetILNS1_3genE4ELNS1_11target_archE910ELNS1_3gpuE8ELNS1_3repE0EEENS1_48merge_mergepath_partition_config_static_selectorELNS0_4arch9wavefront6targetE1EEEvSH_
	.p2align	8
	.type	_ZN7rocprim17ROCPRIM_400000_NS6detail17trampoline_kernelINS0_14default_configENS1_38merge_sort_block_merge_config_selectorIalEEZZNS1_27merge_sort_block_merge_implIS3_PaN6thrust23THRUST_200600_302600_NS10device_ptrIlEEjNS1_19radix_merge_compareILb0ELb1EaNS0_19identity_decomposerEEEEE10hipError_tT0_T1_T2_jT3_P12ihipStream_tbPNSt15iterator_traitsISG_E10value_typeEPNSM_ISH_E10value_typeEPSI_NS1_7vsmem_tEENKUlT_SG_SH_SI_E_clIS7_S7_SB_PlEESF_SV_SG_SH_SI_EUlSV_E_NS1_11comp_targetILNS1_3genE4ELNS1_11target_archE910ELNS1_3gpuE8ELNS1_3repE0EEENS1_48merge_mergepath_partition_config_static_selectorELNS0_4arch9wavefront6targetE1EEEvSH_,@function
_ZN7rocprim17ROCPRIM_400000_NS6detail17trampoline_kernelINS0_14default_configENS1_38merge_sort_block_merge_config_selectorIalEEZZNS1_27merge_sort_block_merge_implIS3_PaN6thrust23THRUST_200600_302600_NS10device_ptrIlEEjNS1_19radix_merge_compareILb0ELb1EaNS0_19identity_decomposerEEEEE10hipError_tT0_T1_T2_jT3_P12ihipStream_tbPNSt15iterator_traitsISG_E10value_typeEPNSM_ISH_E10value_typeEPSI_NS1_7vsmem_tEENKUlT_SG_SH_SI_E_clIS7_S7_SB_PlEESF_SV_SG_SH_SI_EUlSV_E_NS1_11comp_targetILNS1_3genE4ELNS1_11target_archE910ELNS1_3gpuE8ELNS1_3repE0EEENS1_48merge_mergepath_partition_config_static_selectorELNS0_4arch9wavefront6targetE1EEEvSH_: ; @_ZN7rocprim17ROCPRIM_400000_NS6detail17trampoline_kernelINS0_14default_configENS1_38merge_sort_block_merge_config_selectorIalEEZZNS1_27merge_sort_block_merge_implIS3_PaN6thrust23THRUST_200600_302600_NS10device_ptrIlEEjNS1_19radix_merge_compareILb0ELb1EaNS0_19identity_decomposerEEEEE10hipError_tT0_T1_T2_jT3_P12ihipStream_tbPNSt15iterator_traitsISG_E10value_typeEPNSM_ISH_E10value_typeEPSI_NS1_7vsmem_tEENKUlT_SG_SH_SI_E_clIS7_S7_SB_PlEESF_SV_SG_SH_SI_EUlSV_E_NS1_11comp_targetILNS1_3genE4ELNS1_11target_archE910ELNS1_3gpuE8ELNS1_3repE0EEENS1_48merge_mergepath_partition_config_static_selectorELNS0_4arch9wavefront6targetE1EEEvSH_
; %bb.0:
	s_load_dword s0, s[4:5], 0x0
	v_lshl_or_b32 v0, s6, 7, v0
	s_waitcnt lgkmcnt(0)
	v_cmp_gt_u32_e32 vcc, s0, v0
	s_and_saveexec_b64 s[0:1], vcc
	s_cbranch_execz .LBB561_6
; %bb.1:
	s_load_dwordx2 s[2:3], s[4:5], 0x4
	s_load_dwordx2 s[0:1], s[4:5], 0x20
	s_waitcnt lgkmcnt(0)
	s_lshr_b32 s6, s2, 9
	s_and_b32 s6, s6, 0x7ffffe
	s_add_i32 s7, s6, -1
	s_sub_i32 s6, 0, s6
	v_and_b32_e32 v1, s6, v0
	v_lshlrev_b32_e32 v3, 10, v1
	v_min_u32_e32 v1, s3, v3
	v_add_u32_e32 v3, s2, v3
	v_min_u32_e32 v7, s3, v3
	v_add_u32_e32 v3, s2, v7
	v_and_b32_e32 v2, s7, v0
	v_min_u32_e32 v4, s3, v3
	v_sub_u32_e32 v3, v4, v1
	v_lshlrev_b32_e32 v2, 10, v2
	v_min_u32_e32 v3, v3, v2
	v_sub_u32_e32 v5, v7, v1
	v_sub_u32_e32 v2, v4, v7
	v_sub_u32_e64 v2, v3, v2 clamp
	v_min_u32_e32 v4, v3, v5
	v_cmp_lt_u32_e32 vcc, v2, v4
	s_and_saveexec_b64 s[2:3], vcc
	s_cbranch_execz .LBB561_5
; %bb.2:
	s_load_dwordx2 s[8:9], s[4:5], 0x10
	s_load_dword s6, s[4:5], 0x18
	s_mov_b64 s[4:5], 0
	s_waitcnt lgkmcnt(0)
	v_mov_b32_e32 v8, s9
	v_add_co_u32_e32 v5, vcc, s8, v1
	v_addc_co_u32_e32 v6, vcc, 0, v8, vcc
	v_add_co_u32_e32 v7, vcc, s8, v7
	v_addc_co_u32_e32 v8, vcc, 0, v8, vcc
.LBB561_3:                              ; =>This Inner Loop Header: Depth=1
	v_add_u32_e32 v9, v4, v2
	v_lshrrev_b32_e32 v9, 1, v9
	v_add_co_u32_e32 v10, vcc, v5, v9
	v_xad_u32 v12, v9, -1, v3
	v_addc_co_u32_e32 v11, vcc, 0, v6, vcc
	v_add_co_u32_e32 v12, vcc, v7, v12
	v_addc_co_u32_e32 v13, vcc, 0, v8, vcc
	global_load_ubyte v14, v[10:11], off
	global_load_ubyte v15, v[12:13], off
	v_add_u32_e32 v10, 1, v9
	s_waitcnt vmcnt(1)
	v_and_b32_e32 v11, s6, v14
	s_waitcnt vmcnt(0)
	v_and_b32_e32 v12, s6, v15
	v_cmp_gt_i16_sdwa vcc, sext(v11), sext(v12) src0_sel:BYTE_0 src1_sel:BYTE_0
	v_cndmask_b32_e32 v4, v4, v9, vcc
	v_cndmask_b32_e32 v2, v10, v2, vcc
	v_cmp_ge_u32_e32 vcc, v2, v4
	s_or_b64 s[4:5], vcc, s[4:5]
	s_andn2_b64 exec, exec, s[4:5]
	s_cbranch_execnz .LBB561_3
; %bb.4:
	s_or_b64 exec, exec, s[4:5]
.LBB561_5:
	s_or_b64 exec, exec, s[2:3]
	v_add_u32_e32 v2, v2, v1
	v_mov_b32_e32 v1, 0
	v_lshlrev_b64 v[0:1], 2, v[0:1]
	v_mov_b32_e32 v3, s1
	v_add_co_u32_e32 v0, vcc, s0, v0
	v_addc_co_u32_e32 v1, vcc, v3, v1, vcc
	global_store_dword v[0:1], v2, off
.LBB561_6:
	s_endpgm
	.section	.rodata,"a",@progbits
	.p2align	6, 0x0
	.amdhsa_kernel _ZN7rocprim17ROCPRIM_400000_NS6detail17trampoline_kernelINS0_14default_configENS1_38merge_sort_block_merge_config_selectorIalEEZZNS1_27merge_sort_block_merge_implIS3_PaN6thrust23THRUST_200600_302600_NS10device_ptrIlEEjNS1_19radix_merge_compareILb0ELb1EaNS0_19identity_decomposerEEEEE10hipError_tT0_T1_T2_jT3_P12ihipStream_tbPNSt15iterator_traitsISG_E10value_typeEPNSM_ISH_E10value_typeEPSI_NS1_7vsmem_tEENKUlT_SG_SH_SI_E_clIS7_S7_SB_PlEESF_SV_SG_SH_SI_EUlSV_E_NS1_11comp_targetILNS1_3genE4ELNS1_11target_archE910ELNS1_3gpuE8ELNS1_3repE0EEENS1_48merge_mergepath_partition_config_static_selectorELNS0_4arch9wavefront6targetE1EEEvSH_
		.amdhsa_group_segment_fixed_size 0
		.amdhsa_private_segment_fixed_size 0
		.amdhsa_kernarg_size 40
		.amdhsa_user_sgpr_count 6
		.amdhsa_user_sgpr_private_segment_buffer 1
		.amdhsa_user_sgpr_dispatch_ptr 0
		.amdhsa_user_sgpr_queue_ptr 0
		.amdhsa_user_sgpr_kernarg_segment_ptr 1
		.amdhsa_user_sgpr_dispatch_id 0
		.amdhsa_user_sgpr_flat_scratch_init 0
		.amdhsa_user_sgpr_kernarg_preload_length 0
		.amdhsa_user_sgpr_kernarg_preload_offset 0
		.amdhsa_user_sgpr_private_segment_size 0
		.amdhsa_uses_dynamic_stack 0
		.amdhsa_system_sgpr_private_segment_wavefront_offset 0
		.amdhsa_system_sgpr_workgroup_id_x 1
		.amdhsa_system_sgpr_workgroup_id_y 0
		.amdhsa_system_sgpr_workgroup_id_z 0
		.amdhsa_system_sgpr_workgroup_info 0
		.amdhsa_system_vgpr_workitem_id 0
		.amdhsa_next_free_vgpr 16
		.amdhsa_next_free_sgpr 10
		.amdhsa_accum_offset 16
		.amdhsa_reserve_vcc 1
		.amdhsa_reserve_flat_scratch 0
		.amdhsa_float_round_mode_32 0
		.amdhsa_float_round_mode_16_64 0
		.amdhsa_float_denorm_mode_32 3
		.amdhsa_float_denorm_mode_16_64 3
		.amdhsa_dx10_clamp 1
		.amdhsa_ieee_mode 1
		.amdhsa_fp16_overflow 0
		.amdhsa_tg_split 0
		.amdhsa_exception_fp_ieee_invalid_op 0
		.amdhsa_exception_fp_denorm_src 0
		.amdhsa_exception_fp_ieee_div_zero 0
		.amdhsa_exception_fp_ieee_overflow 0
		.amdhsa_exception_fp_ieee_underflow 0
		.amdhsa_exception_fp_ieee_inexact 0
		.amdhsa_exception_int_div_zero 0
	.end_amdhsa_kernel
	.section	.text._ZN7rocprim17ROCPRIM_400000_NS6detail17trampoline_kernelINS0_14default_configENS1_38merge_sort_block_merge_config_selectorIalEEZZNS1_27merge_sort_block_merge_implIS3_PaN6thrust23THRUST_200600_302600_NS10device_ptrIlEEjNS1_19radix_merge_compareILb0ELb1EaNS0_19identity_decomposerEEEEE10hipError_tT0_T1_T2_jT3_P12ihipStream_tbPNSt15iterator_traitsISG_E10value_typeEPNSM_ISH_E10value_typeEPSI_NS1_7vsmem_tEENKUlT_SG_SH_SI_E_clIS7_S7_SB_PlEESF_SV_SG_SH_SI_EUlSV_E_NS1_11comp_targetILNS1_3genE4ELNS1_11target_archE910ELNS1_3gpuE8ELNS1_3repE0EEENS1_48merge_mergepath_partition_config_static_selectorELNS0_4arch9wavefront6targetE1EEEvSH_,"axG",@progbits,_ZN7rocprim17ROCPRIM_400000_NS6detail17trampoline_kernelINS0_14default_configENS1_38merge_sort_block_merge_config_selectorIalEEZZNS1_27merge_sort_block_merge_implIS3_PaN6thrust23THRUST_200600_302600_NS10device_ptrIlEEjNS1_19radix_merge_compareILb0ELb1EaNS0_19identity_decomposerEEEEE10hipError_tT0_T1_T2_jT3_P12ihipStream_tbPNSt15iterator_traitsISG_E10value_typeEPNSM_ISH_E10value_typeEPSI_NS1_7vsmem_tEENKUlT_SG_SH_SI_E_clIS7_S7_SB_PlEESF_SV_SG_SH_SI_EUlSV_E_NS1_11comp_targetILNS1_3genE4ELNS1_11target_archE910ELNS1_3gpuE8ELNS1_3repE0EEENS1_48merge_mergepath_partition_config_static_selectorELNS0_4arch9wavefront6targetE1EEEvSH_,comdat
.Lfunc_end561:
	.size	_ZN7rocprim17ROCPRIM_400000_NS6detail17trampoline_kernelINS0_14default_configENS1_38merge_sort_block_merge_config_selectorIalEEZZNS1_27merge_sort_block_merge_implIS3_PaN6thrust23THRUST_200600_302600_NS10device_ptrIlEEjNS1_19radix_merge_compareILb0ELb1EaNS0_19identity_decomposerEEEEE10hipError_tT0_T1_T2_jT3_P12ihipStream_tbPNSt15iterator_traitsISG_E10value_typeEPNSM_ISH_E10value_typeEPSI_NS1_7vsmem_tEENKUlT_SG_SH_SI_E_clIS7_S7_SB_PlEESF_SV_SG_SH_SI_EUlSV_E_NS1_11comp_targetILNS1_3genE4ELNS1_11target_archE910ELNS1_3gpuE8ELNS1_3repE0EEENS1_48merge_mergepath_partition_config_static_selectorELNS0_4arch9wavefront6targetE1EEEvSH_, .Lfunc_end561-_ZN7rocprim17ROCPRIM_400000_NS6detail17trampoline_kernelINS0_14default_configENS1_38merge_sort_block_merge_config_selectorIalEEZZNS1_27merge_sort_block_merge_implIS3_PaN6thrust23THRUST_200600_302600_NS10device_ptrIlEEjNS1_19radix_merge_compareILb0ELb1EaNS0_19identity_decomposerEEEEE10hipError_tT0_T1_T2_jT3_P12ihipStream_tbPNSt15iterator_traitsISG_E10value_typeEPNSM_ISH_E10value_typeEPSI_NS1_7vsmem_tEENKUlT_SG_SH_SI_E_clIS7_S7_SB_PlEESF_SV_SG_SH_SI_EUlSV_E_NS1_11comp_targetILNS1_3genE4ELNS1_11target_archE910ELNS1_3gpuE8ELNS1_3repE0EEENS1_48merge_mergepath_partition_config_static_selectorELNS0_4arch9wavefront6targetE1EEEvSH_
                                        ; -- End function
	.section	.AMDGPU.csdata,"",@progbits
; Kernel info:
; codeLenInByte = 340
; NumSgprs: 14
; NumVgprs: 16
; NumAgprs: 0
; TotalNumVgprs: 16
; ScratchSize: 0
; MemoryBound: 0
; FloatMode: 240
; IeeeMode: 1
; LDSByteSize: 0 bytes/workgroup (compile time only)
; SGPRBlocks: 1
; VGPRBlocks: 1
; NumSGPRsForWavesPerEU: 14
; NumVGPRsForWavesPerEU: 16
; AccumOffset: 16
; Occupancy: 8
; WaveLimiterHint : 0
; COMPUTE_PGM_RSRC2:SCRATCH_EN: 0
; COMPUTE_PGM_RSRC2:USER_SGPR: 6
; COMPUTE_PGM_RSRC2:TRAP_HANDLER: 0
; COMPUTE_PGM_RSRC2:TGID_X_EN: 1
; COMPUTE_PGM_RSRC2:TGID_Y_EN: 0
; COMPUTE_PGM_RSRC2:TGID_Z_EN: 0
; COMPUTE_PGM_RSRC2:TIDIG_COMP_CNT: 0
; COMPUTE_PGM_RSRC3_GFX90A:ACCUM_OFFSET: 3
; COMPUTE_PGM_RSRC3_GFX90A:TG_SPLIT: 0
	.section	.text._ZN7rocprim17ROCPRIM_400000_NS6detail17trampoline_kernelINS0_14default_configENS1_38merge_sort_block_merge_config_selectorIalEEZZNS1_27merge_sort_block_merge_implIS3_PaN6thrust23THRUST_200600_302600_NS10device_ptrIlEEjNS1_19radix_merge_compareILb0ELb1EaNS0_19identity_decomposerEEEEE10hipError_tT0_T1_T2_jT3_P12ihipStream_tbPNSt15iterator_traitsISG_E10value_typeEPNSM_ISH_E10value_typeEPSI_NS1_7vsmem_tEENKUlT_SG_SH_SI_E_clIS7_S7_SB_PlEESF_SV_SG_SH_SI_EUlSV_E_NS1_11comp_targetILNS1_3genE3ELNS1_11target_archE908ELNS1_3gpuE7ELNS1_3repE0EEENS1_48merge_mergepath_partition_config_static_selectorELNS0_4arch9wavefront6targetE1EEEvSH_,"axG",@progbits,_ZN7rocprim17ROCPRIM_400000_NS6detail17trampoline_kernelINS0_14default_configENS1_38merge_sort_block_merge_config_selectorIalEEZZNS1_27merge_sort_block_merge_implIS3_PaN6thrust23THRUST_200600_302600_NS10device_ptrIlEEjNS1_19radix_merge_compareILb0ELb1EaNS0_19identity_decomposerEEEEE10hipError_tT0_T1_T2_jT3_P12ihipStream_tbPNSt15iterator_traitsISG_E10value_typeEPNSM_ISH_E10value_typeEPSI_NS1_7vsmem_tEENKUlT_SG_SH_SI_E_clIS7_S7_SB_PlEESF_SV_SG_SH_SI_EUlSV_E_NS1_11comp_targetILNS1_3genE3ELNS1_11target_archE908ELNS1_3gpuE7ELNS1_3repE0EEENS1_48merge_mergepath_partition_config_static_selectorELNS0_4arch9wavefront6targetE1EEEvSH_,comdat
	.protected	_ZN7rocprim17ROCPRIM_400000_NS6detail17trampoline_kernelINS0_14default_configENS1_38merge_sort_block_merge_config_selectorIalEEZZNS1_27merge_sort_block_merge_implIS3_PaN6thrust23THRUST_200600_302600_NS10device_ptrIlEEjNS1_19radix_merge_compareILb0ELb1EaNS0_19identity_decomposerEEEEE10hipError_tT0_T1_T2_jT3_P12ihipStream_tbPNSt15iterator_traitsISG_E10value_typeEPNSM_ISH_E10value_typeEPSI_NS1_7vsmem_tEENKUlT_SG_SH_SI_E_clIS7_S7_SB_PlEESF_SV_SG_SH_SI_EUlSV_E_NS1_11comp_targetILNS1_3genE3ELNS1_11target_archE908ELNS1_3gpuE7ELNS1_3repE0EEENS1_48merge_mergepath_partition_config_static_selectorELNS0_4arch9wavefront6targetE1EEEvSH_ ; -- Begin function _ZN7rocprim17ROCPRIM_400000_NS6detail17trampoline_kernelINS0_14default_configENS1_38merge_sort_block_merge_config_selectorIalEEZZNS1_27merge_sort_block_merge_implIS3_PaN6thrust23THRUST_200600_302600_NS10device_ptrIlEEjNS1_19radix_merge_compareILb0ELb1EaNS0_19identity_decomposerEEEEE10hipError_tT0_T1_T2_jT3_P12ihipStream_tbPNSt15iterator_traitsISG_E10value_typeEPNSM_ISH_E10value_typeEPSI_NS1_7vsmem_tEENKUlT_SG_SH_SI_E_clIS7_S7_SB_PlEESF_SV_SG_SH_SI_EUlSV_E_NS1_11comp_targetILNS1_3genE3ELNS1_11target_archE908ELNS1_3gpuE7ELNS1_3repE0EEENS1_48merge_mergepath_partition_config_static_selectorELNS0_4arch9wavefront6targetE1EEEvSH_
	.globl	_ZN7rocprim17ROCPRIM_400000_NS6detail17trampoline_kernelINS0_14default_configENS1_38merge_sort_block_merge_config_selectorIalEEZZNS1_27merge_sort_block_merge_implIS3_PaN6thrust23THRUST_200600_302600_NS10device_ptrIlEEjNS1_19radix_merge_compareILb0ELb1EaNS0_19identity_decomposerEEEEE10hipError_tT0_T1_T2_jT3_P12ihipStream_tbPNSt15iterator_traitsISG_E10value_typeEPNSM_ISH_E10value_typeEPSI_NS1_7vsmem_tEENKUlT_SG_SH_SI_E_clIS7_S7_SB_PlEESF_SV_SG_SH_SI_EUlSV_E_NS1_11comp_targetILNS1_3genE3ELNS1_11target_archE908ELNS1_3gpuE7ELNS1_3repE0EEENS1_48merge_mergepath_partition_config_static_selectorELNS0_4arch9wavefront6targetE1EEEvSH_
	.p2align	8
	.type	_ZN7rocprim17ROCPRIM_400000_NS6detail17trampoline_kernelINS0_14default_configENS1_38merge_sort_block_merge_config_selectorIalEEZZNS1_27merge_sort_block_merge_implIS3_PaN6thrust23THRUST_200600_302600_NS10device_ptrIlEEjNS1_19radix_merge_compareILb0ELb1EaNS0_19identity_decomposerEEEEE10hipError_tT0_T1_T2_jT3_P12ihipStream_tbPNSt15iterator_traitsISG_E10value_typeEPNSM_ISH_E10value_typeEPSI_NS1_7vsmem_tEENKUlT_SG_SH_SI_E_clIS7_S7_SB_PlEESF_SV_SG_SH_SI_EUlSV_E_NS1_11comp_targetILNS1_3genE3ELNS1_11target_archE908ELNS1_3gpuE7ELNS1_3repE0EEENS1_48merge_mergepath_partition_config_static_selectorELNS0_4arch9wavefront6targetE1EEEvSH_,@function
_ZN7rocprim17ROCPRIM_400000_NS6detail17trampoline_kernelINS0_14default_configENS1_38merge_sort_block_merge_config_selectorIalEEZZNS1_27merge_sort_block_merge_implIS3_PaN6thrust23THRUST_200600_302600_NS10device_ptrIlEEjNS1_19radix_merge_compareILb0ELb1EaNS0_19identity_decomposerEEEEE10hipError_tT0_T1_T2_jT3_P12ihipStream_tbPNSt15iterator_traitsISG_E10value_typeEPNSM_ISH_E10value_typeEPSI_NS1_7vsmem_tEENKUlT_SG_SH_SI_E_clIS7_S7_SB_PlEESF_SV_SG_SH_SI_EUlSV_E_NS1_11comp_targetILNS1_3genE3ELNS1_11target_archE908ELNS1_3gpuE7ELNS1_3repE0EEENS1_48merge_mergepath_partition_config_static_selectorELNS0_4arch9wavefront6targetE1EEEvSH_: ; @_ZN7rocprim17ROCPRIM_400000_NS6detail17trampoline_kernelINS0_14default_configENS1_38merge_sort_block_merge_config_selectorIalEEZZNS1_27merge_sort_block_merge_implIS3_PaN6thrust23THRUST_200600_302600_NS10device_ptrIlEEjNS1_19radix_merge_compareILb0ELb1EaNS0_19identity_decomposerEEEEE10hipError_tT0_T1_T2_jT3_P12ihipStream_tbPNSt15iterator_traitsISG_E10value_typeEPNSM_ISH_E10value_typeEPSI_NS1_7vsmem_tEENKUlT_SG_SH_SI_E_clIS7_S7_SB_PlEESF_SV_SG_SH_SI_EUlSV_E_NS1_11comp_targetILNS1_3genE3ELNS1_11target_archE908ELNS1_3gpuE7ELNS1_3repE0EEENS1_48merge_mergepath_partition_config_static_selectorELNS0_4arch9wavefront6targetE1EEEvSH_
; %bb.0:
	.section	.rodata,"a",@progbits
	.p2align	6, 0x0
	.amdhsa_kernel _ZN7rocprim17ROCPRIM_400000_NS6detail17trampoline_kernelINS0_14default_configENS1_38merge_sort_block_merge_config_selectorIalEEZZNS1_27merge_sort_block_merge_implIS3_PaN6thrust23THRUST_200600_302600_NS10device_ptrIlEEjNS1_19radix_merge_compareILb0ELb1EaNS0_19identity_decomposerEEEEE10hipError_tT0_T1_T2_jT3_P12ihipStream_tbPNSt15iterator_traitsISG_E10value_typeEPNSM_ISH_E10value_typeEPSI_NS1_7vsmem_tEENKUlT_SG_SH_SI_E_clIS7_S7_SB_PlEESF_SV_SG_SH_SI_EUlSV_E_NS1_11comp_targetILNS1_3genE3ELNS1_11target_archE908ELNS1_3gpuE7ELNS1_3repE0EEENS1_48merge_mergepath_partition_config_static_selectorELNS0_4arch9wavefront6targetE1EEEvSH_
		.amdhsa_group_segment_fixed_size 0
		.amdhsa_private_segment_fixed_size 0
		.amdhsa_kernarg_size 40
		.amdhsa_user_sgpr_count 6
		.amdhsa_user_sgpr_private_segment_buffer 1
		.amdhsa_user_sgpr_dispatch_ptr 0
		.amdhsa_user_sgpr_queue_ptr 0
		.amdhsa_user_sgpr_kernarg_segment_ptr 1
		.amdhsa_user_sgpr_dispatch_id 0
		.amdhsa_user_sgpr_flat_scratch_init 0
		.amdhsa_user_sgpr_kernarg_preload_length 0
		.amdhsa_user_sgpr_kernarg_preload_offset 0
		.amdhsa_user_sgpr_private_segment_size 0
		.amdhsa_uses_dynamic_stack 0
		.amdhsa_system_sgpr_private_segment_wavefront_offset 0
		.amdhsa_system_sgpr_workgroup_id_x 1
		.amdhsa_system_sgpr_workgroup_id_y 0
		.amdhsa_system_sgpr_workgroup_id_z 0
		.amdhsa_system_sgpr_workgroup_info 0
		.amdhsa_system_vgpr_workitem_id 0
		.amdhsa_next_free_vgpr 1
		.amdhsa_next_free_sgpr 0
		.amdhsa_accum_offset 4
		.amdhsa_reserve_vcc 0
		.amdhsa_reserve_flat_scratch 0
		.amdhsa_float_round_mode_32 0
		.amdhsa_float_round_mode_16_64 0
		.amdhsa_float_denorm_mode_32 3
		.amdhsa_float_denorm_mode_16_64 3
		.amdhsa_dx10_clamp 1
		.amdhsa_ieee_mode 1
		.amdhsa_fp16_overflow 0
		.amdhsa_tg_split 0
		.amdhsa_exception_fp_ieee_invalid_op 0
		.amdhsa_exception_fp_denorm_src 0
		.amdhsa_exception_fp_ieee_div_zero 0
		.amdhsa_exception_fp_ieee_overflow 0
		.amdhsa_exception_fp_ieee_underflow 0
		.amdhsa_exception_fp_ieee_inexact 0
		.amdhsa_exception_int_div_zero 0
	.end_amdhsa_kernel
	.section	.text._ZN7rocprim17ROCPRIM_400000_NS6detail17trampoline_kernelINS0_14default_configENS1_38merge_sort_block_merge_config_selectorIalEEZZNS1_27merge_sort_block_merge_implIS3_PaN6thrust23THRUST_200600_302600_NS10device_ptrIlEEjNS1_19radix_merge_compareILb0ELb1EaNS0_19identity_decomposerEEEEE10hipError_tT0_T1_T2_jT3_P12ihipStream_tbPNSt15iterator_traitsISG_E10value_typeEPNSM_ISH_E10value_typeEPSI_NS1_7vsmem_tEENKUlT_SG_SH_SI_E_clIS7_S7_SB_PlEESF_SV_SG_SH_SI_EUlSV_E_NS1_11comp_targetILNS1_3genE3ELNS1_11target_archE908ELNS1_3gpuE7ELNS1_3repE0EEENS1_48merge_mergepath_partition_config_static_selectorELNS0_4arch9wavefront6targetE1EEEvSH_,"axG",@progbits,_ZN7rocprim17ROCPRIM_400000_NS6detail17trampoline_kernelINS0_14default_configENS1_38merge_sort_block_merge_config_selectorIalEEZZNS1_27merge_sort_block_merge_implIS3_PaN6thrust23THRUST_200600_302600_NS10device_ptrIlEEjNS1_19radix_merge_compareILb0ELb1EaNS0_19identity_decomposerEEEEE10hipError_tT0_T1_T2_jT3_P12ihipStream_tbPNSt15iterator_traitsISG_E10value_typeEPNSM_ISH_E10value_typeEPSI_NS1_7vsmem_tEENKUlT_SG_SH_SI_E_clIS7_S7_SB_PlEESF_SV_SG_SH_SI_EUlSV_E_NS1_11comp_targetILNS1_3genE3ELNS1_11target_archE908ELNS1_3gpuE7ELNS1_3repE0EEENS1_48merge_mergepath_partition_config_static_selectorELNS0_4arch9wavefront6targetE1EEEvSH_,comdat
.Lfunc_end562:
	.size	_ZN7rocprim17ROCPRIM_400000_NS6detail17trampoline_kernelINS0_14default_configENS1_38merge_sort_block_merge_config_selectorIalEEZZNS1_27merge_sort_block_merge_implIS3_PaN6thrust23THRUST_200600_302600_NS10device_ptrIlEEjNS1_19radix_merge_compareILb0ELb1EaNS0_19identity_decomposerEEEEE10hipError_tT0_T1_T2_jT3_P12ihipStream_tbPNSt15iterator_traitsISG_E10value_typeEPNSM_ISH_E10value_typeEPSI_NS1_7vsmem_tEENKUlT_SG_SH_SI_E_clIS7_S7_SB_PlEESF_SV_SG_SH_SI_EUlSV_E_NS1_11comp_targetILNS1_3genE3ELNS1_11target_archE908ELNS1_3gpuE7ELNS1_3repE0EEENS1_48merge_mergepath_partition_config_static_selectorELNS0_4arch9wavefront6targetE1EEEvSH_, .Lfunc_end562-_ZN7rocprim17ROCPRIM_400000_NS6detail17trampoline_kernelINS0_14default_configENS1_38merge_sort_block_merge_config_selectorIalEEZZNS1_27merge_sort_block_merge_implIS3_PaN6thrust23THRUST_200600_302600_NS10device_ptrIlEEjNS1_19radix_merge_compareILb0ELb1EaNS0_19identity_decomposerEEEEE10hipError_tT0_T1_T2_jT3_P12ihipStream_tbPNSt15iterator_traitsISG_E10value_typeEPNSM_ISH_E10value_typeEPSI_NS1_7vsmem_tEENKUlT_SG_SH_SI_E_clIS7_S7_SB_PlEESF_SV_SG_SH_SI_EUlSV_E_NS1_11comp_targetILNS1_3genE3ELNS1_11target_archE908ELNS1_3gpuE7ELNS1_3repE0EEENS1_48merge_mergepath_partition_config_static_selectorELNS0_4arch9wavefront6targetE1EEEvSH_
                                        ; -- End function
	.section	.AMDGPU.csdata,"",@progbits
; Kernel info:
; codeLenInByte = 0
; NumSgprs: 4
; NumVgprs: 0
; NumAgprs: 0
; TotalNumVgprs: 0
; ScratchSize: 0
; MemoryBound: 0
; FloatMode: 240
; IeeeMode: 1
; LDSByteSize: 0 bytes/workgroup (compile time only)
; SGPRBlocks: 0
; VGPRBlocks: 0
; NumSGPRsForWavesPerEU: 4
; NumVGPRsForWavesPerEU: 1
; AccumOffset: 4
; Occupancy: 8
; WaveLimiterHint : 0
; COMPUTE_PGM_RSRC2:SCRATCH_EN: 0
; COMPUTE_PGM_RSRC2:USER_SGPR: 6
; COMPUTE_PGM_RSRC2:TRAP_HANDLER: 0
; COMPUTE_PGM_RSRC2:TGID_X_EN: 1
; COMPUTE_PGM_RSRC2:TGID_Y_EN: 0
; COMPUTE_PGM_RSRC2:TGID_Z_EN: 0
; COMPUTE_PGM_RSRC2:TIDIG_COMP_CNT: 0
; COMPUTE_PGM_RSRC3_GFX90A:ACCUM_OFFSET: 0
; COMPUTE_PGM_RSRC3_GFX90A:TG_SPLIT: 0
	.section	.text._ZN7rocprim17ROCPRIM_400000_NS6detail17trampoline_kernelINS0_14default_configENS1_38merge_sort_block_merge_config_selectorIalEEZZNS1_27merge_sort_block_merge_implIS3_PaN6thrust23THRUST_200600_302600_NS10device_ptrIlEEjNS1_19radix_merge_compareILb0ELb1EaNS0_19identity_decomposerEEEEE10hipError_tT0_T1_T2_jT3_P12ihipStream_tbPNSt15iterator_traitsISG_E10value_typeEPNSM_ISH_E10value_typeEPSI_NS1_7vsmem_tEENKUlT_SG_SH_SI_E_clIS7_S7_SB_PlEESF_SV_SG_SH_SI_EUlSV_E_NS1_11comp_targetILNS1_3genE2ELNS1_11target_archE906ELNS1_3gpuE6ELNS1_3repE0EEENS1_48merge_mergepath_partition_config_static_selectorELNS0_4arch9wavefront6targetE1EEEvSH_,"axG",@progbits,_ZN7rocprim17ROCPRIM_400000_NS6detail17trampoline_kernelINS0_14default_configENS1_38merge_sort_block_merge_config_selectorIalEEZZNS1_27merge_sort_block_merge_implIS3_PaN6thrust23THRUST_200600_302600_NS10device_ptrIlEEjNS1_19radix_merge_compareILb0ELb1EaNS0_19identity_decomposerEEEEE10hipError_tT0_T1_T2_jT3_P12ihipStream_tbPNSt15iterator_traitsISG_E10value_typeEPNSM_ISH_E10value_typeEPSI_NS1_7vsmem_tEENKUlT_SG_SH_SI_E_clIS7_S7_SB_PlEESF_SV_SG_SH_SI_EUlSV_E_NS1_11comp_targetILNS1_3genE2ELNS1_11target_archE906ELNS1_3gpuE6ELNS1_3repE0EEENS1_48merge_mergepath_partition_config_static_selectorELNS0_4arch9wavefront6targetE1EEEvSH_,comdat
	.protected	_ZN7rocprim17ROCPRIM_400000_NS6detail17trampoline_kernelINS0_14default_configENS1_38merge_sort_block_merge_config_selectorIalEEZZNS1_27merge_sort_block_merge_implIS3_PaN6thrust23THRUST_200600_302600_NS10device_ptrIlEEjNS1_19radix_merge_compareILb0ELb1EaNS0_19identity_decomposerEEEEE10hipError_tT0_T1_T2_jT3_P12ihipStream_tbPNSt15iterator_traitsISG_E10value_typeEPNSM_ISH_E10value_typeEPSI_NS1_7vsmem_tEENKUlT_SG_SH_SI_E_clIS7_S7_SB_PlEESF_SV_SG_SH_SI_EUlSV_E_NS1_11comp_targetILNS1_3genE2ELNS1_11target_archE906ELNS1_3gpuE6ELNS1_3repE0EEENS1_48merge_mergepath_partition_config_static_selectorELNS0_4arch9wavefront6targetE1EEEvSH_ ; -- Begin function _ZN7rocprim17ROCPRIM_400000_NS6detail17trampoline_kernelINS0_14default_configENS1_38merge_sort_block_merge_config_selectorIalEEZZNS1_27merge_sort_block_merge_implIS3_PaN6thrust23THRUST_200600_302600_NS10device_ptrIlEEjNS1_19radix_merge_compareILb0ELb1EaNS0_19identity_decomposerEEEEE10hipError_tT0_T1_T2_jT3_P12ihipStream_tbPNSt15iterator_traitsISG_E10value_typeEPNSM_ISH_E10value_typeEPSI_NS1_7vsmem_tEENKUlT_SG_SH_SI_E_clIS7_S7_SB_PlEESF_SV_SG_SH_SI_EUlSV_E_NS1_11comp_targetILNS1_3genE2ELNS1_11target_archE906ELNS1_3gpuE6ELNS1_3repE0EEENS1_48merge_mergepath_partition_config_static_selectorELNS0_4arch9wavefront6targetE1EEEvSH_
	.globl	_ZN7rocprim17ROCPRIM_400000_NS6detail17trampoline_kernelINS0_14default_configENS1_38merge_sort_block_merge_config_selectorIalEEZZNS1_27merge_sort_block_merge_implIS3_PaN6thrust23THRUST_200600_302600_NS10device_ptrIlEEjNS1_19radix_merge_compareILb0ELb1EaNS0_19identity_decomposerEEEEE10hipError_tT0_T1_T2_jT3_P12ihipStream_tbPNSt15iterator_traitsISG_E10value_typeEPNSM_ISH_E10value_typeEPSI_NS1_7vsmem_tEENKUlT_SG_SH_SI_E_clIS7_S7_SB_PlEESF_SV_SG_SH_SI_EUlSV_E_NS1_11comp_targetILNS1_3genE2ELNS1_11target_archE906ELNS1_3gpuE6ELNS1_3repE0EEENS1_48merge_mergepath_partition_config_static_selectorELNS0_4arch9wavefront6targetE1EEEvSH_
	.p2align	8
	.type	_ZN7rocprim17ROCPRIM_400000_NS6detail17trampoline_kernelINS0_14default_configENS1_38merge_sort_block_merge_config_selectorIalEEZZNS1_27merge_sort_block_merge_implIS3_PaN6thrust23THRUST_200600_302600_NS10device_ptrIlEEjNS1_19radix_merge_compareILb0ELb1EaNS0_19identity_decomposerEEEEE10hipError_tT0_T1_T2_jT3_P12ihipStream_tbPNSt15iterator_traitsISG_E10value_typeEPNSM_ISH_E10value_typeEPSI_NS1_7vsmem_tEENKUlT_SG_SH_SI_E_clIS7_S7_SB_PlEESF_SV_SG_SH_SI_EUlSV_E_NS1_11comp_targetILNS1_3genE2ELNS1_11target_archE906ELNS1_3gpuE6ELNS1_3repE0EEENS1_48merge_mergepath_partition_config_static_selectorELNS0_4arch9wavefront6targetE1EEEvSH_,@function
_ZN7rocprim17ROCPRIM_400000_NS6detail17trampoline_kernelINS0_14default_configENS1_38merge_sort_block_merge_config_selectorIalEEZZNS1_27merge_sort_block_merge_implIS3_PaN6thrust23THRUST_200600_302600_NS10device_ptrIlEEjNS1_19radix_merge_compareILb0ELb1EaNS0_19identity_decomposerEEEEE10hipError_tT0_T1_T2_jT3_P12ihipStream_tbPNSt15iterator_traitsISG_E10value_typeEPNSM_ISH_E10value_typeEPSI_NS1_7vsmem_tEENKUlT_SG_SH_SI_E_clIS7_S7_SB_PlEESF_SV_SG_SH_SI_EUlSV_E_NS1_11comp_targetILNS1_3genE2ELNS1_11target_archE906ELNS1_3gpuE6ELNS1_3repE0EEENS1_48merge_mergepath_partition_config_static_selectorELNS0_4arch9wavefront6targetE1EEEvSH_: ; @_ZN7rocprim17ROCPRIM_400000_NS6detail17trampoline_kernelINS0_14default_configENS1_38merge_sort_block_merge_config_selectorIalEEZZNS1_27merge_sort_block_merge_implIS3_PaN6thrust23THRUST_200600_302600_NS10device_ptrIlEEjNS1_19radix_merge_compareILb0ELb1EaNS0_19identity_decomposerEEEEE10hipError_tT0_T1_T2_jT3_P12ihipStream_tbPNSt15iterator_traitsISG_E10value_typeEPNSM_ISH_E10value_typeEPSI_NS1_7vsmem_tEENKUlT_SG_SH_SI_E_clIS7_S7_SB_PlEESF_SV_SG_SH_SI_EUlSV_E_NS1_11comp_targetILNS1_3genE2ELNS1_11target_archE906ELNS1_3gpuE6ELNS1_3repE0EEENS1_48merge_mergepath_partition_config_static_selectorELNS0_4arch9wavefront6targetE1EEEvSH_
; %bb.0:
	.section	.rodata,"a",@progbits
	.p2align	6, 0x0
	.amdhsa_kernel _ZN7rocprim17ROCPRIM_400000_NS6detail17trampoline_kernelINS0_14default_configENS1_38merge_sort_block_merge_config_selectorIalEEZZNS1_27merge_sort_block_merge_implIS3_PaN6thrust23THRUST_200600_302600_NS10device_ptrIlEEjNS1_19radix_merge_compareILb0ELb1EaNS0_19identity_decomposerEEEEE10hipError_tT0_T1_T2_jT3_P12ihipStream_tbPNSt15iterator_traitsISG_E10value_typeEPNSM_ISH_E10value_typeEPSI_NS1_7vsmem_tEENKUlT_SG_SH_SI_E_clIS7_S7_SB_PlEESF_SV_SG_SH_SI_EUlSV_E_NS1_11comp_targetILNS1_3genE2ELNS1_11target_archE906ELNS1_3gpuE6ELNS1_3repE0EEENS1_48merge_mergepath_partition_config_static_selectorELNS0_4arch9wavefront6targetE1EEEvSH_
		.amdhsa_group_segment_fixed_size 0
		.amdhsa_private_segment_fixed_size 0
		.amdhsa_kernarg_size 40
		.amdhsa_user_sgpr_count 6
		.amdhsa_user_sgpr_private_segment_buffer 1
		.amdhsa_user_sgpr_dispatch_ptr 0
		.amdhsa_user_sgpr_queue_ptr 0
		.amdhsa_user_sgpr_kernarg_segment_ptr 1
		.amdhsa_user_sgpr_dispatch_id 0
		.amdhsa_user_sgpr_flat_scratch_init 0
		.amdhsa_user_sgpr_kernarg_preload_length 0
		.amdhsa_user_sgpr_kernarg_preload_offset 0
		.amdhsa_user_sgpr_private_segment_size 0
		.amdhsa_uses_dynamic_stack 0
		.amdhsa_system_sgpr_private_segment_wavefront_offset 0
		.amdhsa_system_sgpr_workgroup_id_x 1
		.amdhsa_system_sgpr_workgroup_id_y 0
		.amdhsa_system_sgpr_workgroup_id_z 0
		.amdhsa_system_sgpr_workgroup_info 0
		.amdhsa_system_vgpr_workitem_id 0
		.amdhsa_next_free_vgpr 1
		.amdhsa_next_free_sgpr 0
		.amdhsa_accum_offset 4
		.amdhsa_reserve_vcc 0
		.amdhsa_reserve_flat_scratch 0
		.amdhsa_float_round_mode_32 0
		.amdhsa_float_round_mode_16_64 0
		.amdhsa_float_denorm_mode_32 3
		.amdhsa_float_denorm_mode_16_64 3
		.amdhsa_dx10_clamp 1
		.amdhsa_ieee_mode 1
		.amdhsa_fp16_overflow 0
		.amdhsa_tg_split 0
		.amdhsa_exception_fp_ieee_invalid_op 0
		.amdhsa_exception_fp_denorm_src 0
		.amdhsa_exception_fp_ieee_div_zero 0
		.amdhsa_exception_fp_ieee_overflow 0
		.amdhsa_exception_fp_ieee_underflow 0
		.amdhsa_exception_fp_ieee_inexact 0
		.amdhsa_exception_int_div_zero 0
	.end_amdhsa_kernel
	.section	.text._ZN7rocprim17ROCPRIM_400000_NS6detail17trampoline_kernelINS0_14default_configENS1_38merge_sort_block_merge_config_selectorIalEEZZNS1_27merge_sort_block_merge_implIS3_PaN6thrust23THRUST_200600_302600_NS10device_ptrIlEEjNS1_19radix_merge_compareILb0ELb1EaNS0_19identity_decomposerEEEEE10hipError_tT0_T1_T2_jT3_P12ihipStream_tbPNSt15iterator_traitsISG_E10value_typeEPNSM_ISH_E10value_typeEPSI_NS1_7vsmem_tEENKUlT_SG_SH_SI_E_clIS7_S7_SB_PlEESF_SV_SG_SH_SI_EUlSV_E_NS1_11comp_targetILNS1_3genE2ELNS1_11target_archE906ELNS1_3gpuE6ELNS1_3repE0EEENS1_48merge_mergepath_partition_config_static_selectorELNS0_4arch9wavefront6targetE1EEEvSH_,"axG",@progbits,_ZN7rocprim17ROCPRIM_400000_NS6detail17trampoline_kernelINS0_14default_configENS1_38merge_sort_block_merge_config_selectorIalEEZZNS1_27merge_sort_block_merge_implIS3_PaN6thrust23THRUST_200600_302600_NS10device_ptrIlEEjNS1_19radix_merge_compareILb0ELb1EaNS0_19identity_decomposerEEEEE10hipError_tT0_T1_T2_jT3_P12ihipStream_tbPNSt15iterator_traitsISG_E10value_typeEPNSM_ISH_E10value_typeEPSI_NS1_7vsmem_tEENKUlT_SG_SH_SI_E_clIS7_S7_SB_PlEESF_SV_SG_SH_SI_EUlSV_E_NS1_11comp_targetILNS1_3genE2ELNS1_11target_archE906ELNS1_3gpuE6ELNS1_3repE0EEENS1_48merge_mergepath_partition_config_static_selectorELNS0_4arch9wavefront6targetE1EEEvSH_,comdat
.Lfunc_end563:
	.size	_ZN7rocprim17ROCPRIM_400000_NS6detail17trampoline_kernelINS0_14default_configENS1_38merge_sort_block_merge_config_selectorIalEEZZNS1_27merge_sort_block_merge_implIS3_PaN6thrust23THRUST_200600_302600_NS10device_ptrIlEEjNS1_19radix_merge_compareILb0ELb1EaNS0_19identity_decomposerEEEEE10hipError_tT0_T1_T2_jT3_P12ihipStream_tbPNSt15iterator_traitsISG_E10value_typeEPNSM_ISH_E10value_typeEPSI_NS1_7vsmem_tEENKUlT_SG_SH_SI_E_clIS7_S7_SB_PlEESF_SV_SG_SH_SI_EUlSV_E_NS1_11comp_targetILNS1_3genE2ELNS1_11target_archE906ELNS1_3gpuE6ELNS1_3repE0EEENS1_48merge_mergepath_partition_config_static_selectorELNS0_4arch9wavefront6targetE1EEEvSH_, .Lfunc_end563-_ZN7rocprim17ROCPRIM_400000_NS6detail17trampoline_kernelINS0_14default_configENS1_38merge_sort_block_merge_config_selectorIalEEZZNS1_27merge_sort_block_merge_implIS3_PaN6thrust23THRUST_200600_302600_NS10device_ptrIlEEjNS1_19radix_merge_compareILb0ELb1EaNS0_19identity_decomposerEEEEE10hipError_tT0_T1_T2_jT3_P12ihipStream_tbPNSt15iterator_traitsISG_E10value_typeEPNSM_ISH_E10value_typeEPSI_NS1_7vsmem_tEENKUlT_SG_SH_SI_E_clIS7_S7_SB_PlEESF_SV_SG_SH_SI_EUlSV_E_NS1_11comp_targetILNS1_3genE2ELNS1_11target_archE906ELNS1_3gpuE6ELNS1_3repE0EEENS1_48merge_mergepath_partition_config_static_selectorELNS0_4arch9wavefront6targetE1EEEvSH_
                                        ; -- End function
	.section	.AMDGPU.csdata,"",@progbits
; Kernel info:
; codeLenInByte = 0
; NumSgprs: 4
; NumVgprs: 0
; NumAgprs: 0
; TotalNumVgprs: 0
; ScratchSize: 0
; MemoryBound: 0
; FloatMode: 240
; IeeeMode: 1
; LDSByteSize: 0 bytes/workgroup (compile time only)
; SGPRBlocks: 0
; VGPRBlocks: 0
; NumSGPRsForWavesPerEU: 4
; NumVGPRsForWavesPerEU: 1
; AccumOffset: 4
; Occupancy: 8
; WaveLimiterHint : 0
; COMPUTE_PGM_RSRC2:SCRATCH_EN: 0
; COMPUTE_PGM_RSRC2:USER_SGPR: 6
; COMPUTE_PGM_RSRC2:TRAP_HANDLER: 0
; COMPUTE_PGM_RSRC2:TGID_X_EN: 1
; COMPUTE_PGM_RSRC2:TGID_Y_EN: 0
; COMPUTE_PGM_RSRC2:TGID_Z_EN: 0
; COMPUTE_PGM_RSRC2:TIDIG_COMP_CNT: 0
; COMPUTE_PGM_RSRC3_GFX90A:ACCUM_OFFSET: 0
; COMPUTE_PGM_RSRC3_GFX90A:TG_SPLIT: 0
	.section	.text._ZN7rocprim17ROCPRIM_400000_NS6detail17trampoline_kernelINS0_14default_configENS1_38merge_sort_block_merge_config_selectorIalEEZZNS1_27merge_sort_block_merge_implIS3_PaN6thrust23THRUST_200600_302600_NS10device_ptrIlEEjNS1_19radix_merge_compareILb0ELb1EaNS0_19identity_decomposerEEEEE10hipError_tT0_T1_T2_jT3_P12ihipStream_tbPNSt15iterator_traitsISG_E10value_typeEPNSM_ISH_E10value_typeEPSI_NS1_7vsmem_tEENKUlT_SG_SH_SI_E_clIS7_S7_SB_PlEESF_SV_SG_SH_SI_EUlSV_E_NS1_11comp_targetILNS1_3genE9ELNS1_11target_archE1100ELNS1_3gpuE3ELNS1_3repE0EEENS1_48merge_mergepath_partition_config_static_selectorELNS0_4arch9wavefront6targetE1EEEvSH_,"axG",@progbits,_ZN7rocprim17ROCPRIM_400000_NS6detail17trampoline_kernelINS0_14default_configENS1_38merge_sort_block_merge_config_selectorIalEEZZNS1_27merge_sort_block_merge_implIS3_PaN6thrust23THRUST_200600_302600_NS10device_ptrIlEEjNS1_19radix_merge_compareILb0ELb1EaNS0_19identity_decomposerEEEEE10hipError_tT0_T1_T2_jT3_P12ihipStream_tbPNSt15iterator_traitsISG_E10value_typeEPNSM_ISH_E10value_typeEPSI_NS1_7vsmem_tEENKUlT_SG_SH_SI_E_clIS7_S7_SB_PlEESF_SV_SG_SH_SI_EUlSV_E_NS1_11comp_targetILNS1_3genE9ELNS1_11target_archE1100ELNS1_3gpuE3ELNS1_3repE0EEENS1_48merge_mergepath_partition_config_static_selectorELNS0_4arch9wavefront6targetE1EEEvSH_,comdat
	.protected	_ZN7rocprim17ROCPRIM_400000_NS6detail17trampoline_kernelINS0_14default_configENS1_38merge_sort_block_merge_config_selectorIalEEZZNS1_27merge_sort_block_merge_implIS3_PaN6thrust23THRUST_200600_302600_NS10device_ptrIlEEjNS1_19radix_merge_compareILb0ELb1EaNS0_19identity_decomposerEEEEE10hipError_tT0_T1_T2_jT3_P12ihipStream_tbPNSt15iterator_traitsISG_E10value_typeEPNSM_ISH_E10value_typeEPSI_NS1_7vsmem_tEENKUlT_SG_SH_SI_E_clIS7_S7_SB_PlEESF_SV_SG_SH_SI_EUlSV_E_NS1_11comp_targetILNS1_3genE9ELNS1_11target_archE1100ELNS1_3gpuE3ELNS1_3repE0EEENS1_48merge_mergepath_partition_config_static_selectorELNS0_4arch9wavefront6targetE1EEEvSH_ ; -- Begin function _ZN7rocprim17ROCPRIM_400000_NS6detail17trampoline_kernelINS0_14default_configENS1_38merge_sort_block_merge_config_selectorIalEEZZNS1_27merge_sort_block_merge_implIS3_PaN6thrust23THRUST_200600_302600_NS10device_ptrIlEEjNS1_19radix_merge_compareILb0ELb1EaNS0_19identity_decomposerEEEEE10hipError_tT0_T1_T2_jT3_P12ihipStream_tbPNSt15iterator_traitsISG_E10value_typeEPNSM_ISH_E10value_typeEPSI_NS1_7vsmem_tEENKUlT_SG_SH_SI_E_clIS7_S7_SB_PlEESF_SV_SG_SH_SI_EUlSV_E_NS1_11comp_targetILNS1_3genE9ELNS1_11target_archE1100ELNS1_3gpuE3ELNS1_3repE0EEENS1_48merge_mergepath_partition_config_static_selectorELNS0_4arch9wavefront6targetE1EEEvSH_
	.globl	_ZN7rocprim17ROCPRIM_400000_NS6detail17trampoline_kernelINS0_14default_configENS1_38merge_sort_block_merge_config_selectorIalEEZZNS1_27merge_sort_block_merge_implIS3_PaN6thrust23THRUST_200600_302600_NS10device_ptrIlEEjNS1_19radix_merge_compareILb0ELb1EaNS0_19identity_decomposerEEEEE10hipError_tT0_T1_T2_jT3_P12ihipStream_tbPNSt15iterator_traitsISG_E10value_typeEPNSM_ISH_E10value_typeEPSI_NS1_7vsmem_tEENKUlT_SG_SH_SI_E_clIS7_S7_SB_PlEESF_SV_SG_SH_SI_EUlSV_E_NS1_11comp_targetILNS1_3genE9ELNS1_11target_archE1100ELNS1_3gpuE3ELNS1_3repE0EEENS1_48merge_mergepath_partition_config_static_selectorELNS0_4arch9wavefront6targetE1EEEvSH_
	.p2align	8
	.type	_ZN7rocprim17ROCPRIM_400000_NS6detail17trampoline_kernelINS0_14default_configENS1_38merge_sort_block_merge_config_selectorIalEEZZNS1_27merge_sort_block_merge_implIS3_PaN6thrust23THRUST_200600_302600_NS10device_ptrIlEEjNS1_19radix_merge_compareILb0ELb1EaNS0_19identity_decomposerEEEEE10hipError_tT0_T1_T2_jT3_P12ihipStream_tbPNSt15iterator_traitsISG_E10value_typeEPNSM_ISH_E10value_typeEPSI_NS1_7vsmem_tEENKUlT_SG_SH_SI_E_clIS7_S7_SB_PlEESF_SV_SG_SH_SI_EUlSV_E_NS1_11comp_targetILNS1_3genE9ELNS1_11target_archE1100ELNS1_3gpuE3ELNS1_3repE0EEENS1_48merge_mergepath_partition_config_static_selectorELNS0_4arch9wavefront6targetE1EEEvSH_,@function
_ZN7rocprim17ROCPRIM_400000_NS6detail17trampoline_kernelINS0_14default_configENS1_38merge_sort_block_merge_config_selectorIalEEZZNS1_27merge_sort_block_merge_implIS3_PaN6thrust23THRUST_200600_302600_NS10device_ptrIlEEjNS1_19radix_merge_compareILb0ELb1EaNS0_19identity_decomposerEEEEE10hipError_tT0_T1_T2_jT3_P12ihipStream_tbPNSt15iterator_traitsISG_E10value_typeEPNSM_ISH_E10value_typeEPSI_NS1_7vsmem_tEENKUlT_SG_SH_SI_E_clIS7_S7_SB_PlEESF_SV_SG_SH_SI_EUlSV_E_NS1_11comp_targetILNS1_3genE9ELNS1_11target_archE1100ELNS1_3gpuE3ELNS1_3repE0EEENS1_48merge_mergepath_partition_config_static_selectorELNS0_4arch9wavefront6targetE1EEEvSH_: ; @_ZN7rocprim17ROCPRIM_400000_NS6detail17trampoline_kernelINS0_14default_configENS1_38merge_sort_block_merge_config_selectorIalEEZZNS1_27merge_sort_block_merge_implIS3_PaN6thrust23THRUST_200600_302600_NS10device_ptrIlEEjNS1_19radix_merge_compareILb0ELb1EaNS0_19identity_decomposerEEEEE10hipError_tT0_T1_T2_jT3_P12ihipStream_tbPNSt15iterator_traitsISG_E10value_typeEPNSM_ISH_E10value_typeEPSI_NS1_7vsmem_tEENKUlT_SG_SH_SI_E_clIS7_S7_SB_PlEESF_SV_SG_SH_SI_EUlSV_E_NS1_11comp_targetILNS1_3genE9ELNS1_11target_archE1100ELNS1_3gpuE3ELNS1_3repE0EEENS1_48merge_mergepath_partition_config_static_selectorELNS0_4arch9wavefront6targetE1EEEvSH_
; %bb.0:
	.section	.rodata,"a",@progbits
	.p2align	6, 0x0
	.amdhsa_kernel _ZN7rocprim17ROCPRIM_400000_NS6detail17trampoline_kernelINS0_14default_configENS1_38merge_sort_block_merge_config_selectorIalEEZZNS1_27merge_sort_block_merge_implIS3_PaN6thrust23THRUST_200600_302600_NS10device_ptrIlEEjNS1_19radix_merge_compareILb0ELb1EaNS0_19identity_decomposerEEEEE10hipError_tT0_T1_T2_jT3_P12ihipStream_tbPNSt15iterator_traitsISG_E10value_typeEPNSM_ISH_E10value_typeEPSI_NS1_7vsmem_tEENKUlT_SG_SH_SI_E_clIS7_S7_SB_PlEESF_SV_SG_SH_SI_EUlSV_E_NS1_11comp_targetILNS1_3genE9ELNS1_11target_archE1100ELNS1_3gpuE3ELNS1_3repE0EEENS1_48merge_mergepath_partition_config_static_selectorELNS0_4arch9wavefront6targetE1EEEvSH_
		.amdhsa_group_segment_fixed_size 0
		.amdhsa_private_segment_fixed_size 0
		.amdhsa_kernarg_size 40
		.amdhsa_user_sgpr_count 6
		.amdhsa_user_sgpr_private_segment_buffer 1
		.amdhsa_user_sgpr_dispatch_ptr 0
		.amdhsa_user_sgpr_queue_ptr 0
		.amdhsa_user_sgpr_kernarg_segment_ptr 1
		.amdhsa_user_sgpr_dispatch_id 0
		.amdhsa_user_sgpr_flat_scratch_init 0
		.amdhsa_user_sgpr_kernarg_preload_length 0
		.amdhsa_user_sgpr_kernarg_preload_offset 0
		.amdhsa_user_sgpr_private_segment_size 0
		.amdhsa_uses_dynamic_stack 0
		.amdhsa_system_sgpr_private_segment_wavefront_offset 0
		.amdhsa_system_sgpr_workgroup_id_x 1
		.amdhsa_system_sgpr_workgroup_id_y 0
		.amdhsa_system_sgpr_workgroup_id_z 0
		.amdhsa_system_sgpr_workgroup_info 0
		.amdhsa_system_vgpr_workitem_id 0
		.amdhsa_next_free_vgpr 1
		.amdhsa_next_free_sgpr 0
		.amdhsa_accum_offset 4
		.amdhsa_reserve_vcc 0
		.amdhsa_reserve_flat_scratch 0
		.amdhsa_float_round_mode_32 0
		.amdhsa_float_round_mode_16_64 0
		.amdhsa_float_denorm_mode_32 3
		.amdhsa_float_denorm_mode_16_64 3
		.amdhsa_dx10_clamp 1
		.amdhsa_ieee_mode 1
		.amdhsa_fp16_overflow 0
		.amdhsa_tg_split 0
		.amdhsa_exception_fp_ieee_invalid_op 0
		.amdhsa_exception_fp_denorm_src 0
		.amdhsa_exception_fp_ieee_div_zero 0
		.amdhsa_exception_fp_ieee_overflow 0
		.amdhsa_exception_fp_ieee_underflow 0
		.amdhsa_exception_fp_ieee_inexact 0
		.amdhsa_exception_int_div_zero 0
	.end_amdhsa_kernel
	.section	.text._ZN7rocprim17ROCPRIM_400000_NS6detail17trampoline_kernelINS0_14default_configENS1_38merge_sort_block_merge_config_selectorIalEEZZNS1_27merge_sort_block_merge_implIS3_PaN6thrust23THRUST_200600_302600_NS10device_ptrIlEEjNS1_19radix_merge_compareILb0ELb1EaNS0_19identity_decomposerEEEEE10hipError_tT0_T1_T2_jT3_P12ihipStream_tbPNSt15iterator_traitsISG_E10value_typeEPNSM_ISH_E10value_typeEPSI_NS1_7vsmem_tEENKUlT_SG_SH_SI_E_clIS7_S7_SB_PlEESF_SV_SG_SH_SI_EUlSV_E_NS1_11comp_targetILNS1_3genE9ELNS1_11target_archE1100ELNS1_3gpuE3ELNS1_3repE0EEENS1_48merge_mergepath_partition_config_static_selectorELNS0_4arch9wavefront6targetE1EEEvSH_,"axG",@progbits,_ZN7rocprim17ROCPRIM_400000_NS6detail17trampoline_kernelINS0_14default_configENS1_38merge_sort_block_merge_config_selectorIalEEZZNS1_27merge_sort_block_merge_implIS3_PaN6thrust23THRUST_200600_302600_NS10device_ptrIlEEjNS1_19radix_merge_compareILb0ELb1EaNS0_19identity_decomposerEEEEE10hipError_tT0_T1_T2_jT3_P12ihipStream_tbPNSt15iterator_traitsISG_E10value_typeEPNSM_ISH_E10value_typeEPSI_NS1_7vsmem_tEENKUlT_SG_SH_SI_E_clIS7_S7_SB_PlEESF_SV_SG_SH_SI_EUlSV_E_NS1_11comp_targetILNS1_3genE9ELNS1_11target_archE1100ELNS1_3gpuE3ELNS1_3repE0EEENS1_48merge_mergepath_partition_config_static_selectorELNS0_4arch9wavefront6targetE1EEEvSH_,comdat
.Lfunc_end564:
	.size	_ZN7rocprim17ROCPRIM_400000_NS6detail17trampoline_kernelINS0_14default_configENS1_38merge_sort_block_merge_config_selectorIalEEZZNS1_27merge_sort_block_merge_implIS3_PaN6thrust23THRUST_200600_302600_NS10device_ptrIlEEjNS1_19radix_merge_compareILb0ELb1EaNS0_19identity_decomposerEEEEE10hipError_tT0_T1_T2_jT3_P12ihipStream_tbPNSt15iterator_traitsISG_E10value_typeEPNSM_ISH_E10value_typeEPSI_NS1_7vsmem_tEENKUlT_SG_SH_SI_E_clIS7_S7_SB_PlEESF_SV_SG_SH_SI_EUlSV_E_NS1_11comp_targetILNS1_3genE9ELNS1_11target_archE1100ELNS1_3gpuE3ELNS1_3repE0EEENS1_48merge_mergepath_partition_config_static_selectorELNS0_4arch9wavefront6targetE1EEEvSH_, .Lfunc_end564-_ZN7rocprim17ROCPRIM_400000_NS6detail17trampoline_kernelINS0_14default_configENS1_38merge_sort_block_merge_config_selectorIalEEZZNS1_27merge_sort_block_merge_implIS3_PaN6thrust23THRUST_200600_302600_NS10device_ptrIlEEjNS1_19radix_merge_compareILb0ELb1EaNS0_19identity_decomposerEEEEE10hipError_tT0_T1_T2_jT3_P12ihipStream_tbPNSt15iterator_traitsISG_E10value_typeEPNSM_ISH_E10value_typeEPSI_NS1_7vsmem_tEENKUlT_SG_SH_SI_E_clIS7_S7_SB_PlEESF_SV_SG_SH_SI_EUlSV_E_NS1_11comp_targetILNS1_3genE9ELNS1_11target_archE1100ELNS1_3gpuE3ELNS1_3repE0EEENS1_48merge_mergepath_partition_config_static_selectorELNS0_4arch9wavefront6targetE1EEEvSH_
                                        ; -- End function
	.section	.AMDGPU.csdata,"",@progbits
; Kernel info:
; codeLenInByte = 0
; NumSgprs: 4
; NumVgprs: 0
; NumAgprs: 0
; TotalNumVgprs: 0
; ScratchSize: 0
; MemoryBound: 0
; FloatMode: 240
; IeeeMode: 1
; LDSByteSize: 0 bytes/workgroup (compile time only)
; SGPRBlocks: 0
; VGPRBlocks: 0
; NumSGPRsForWavesPerEU: 4
; NumVGPRsForWavesPerEU: 1
; AccumOffset: 4
; Occupancy: 8
; WaveLimiterHint : 0
; COMPUTE_PGM_RSRC2:SCRATCH_EN: 0
; COMPUTE_PGM_RSRC2:USER_SGPR: 6
; COMPUTE_PGM_RSRC2:TRAP_HANDLER: 0
; COMPUTE_PGM_RSRC2:TGID_X_EN: 1
; COMPUTE_PGM_RSRC2:TGID_Y_EN: 0
; COMPUTE_PGM_RSRC2:TGID_Z_EN: 0
; COMPUTE_PGM_RSRC2:TIDIG_COMP_CNT: 0
; COMPUTE_PGM_RSRC3_GFX90A:ACCUM_OFFSET: 0
; COMPUTE_PGM_RSRC3_GFX90A:TG_SPLIT: 0
	.section	.text._ZN7rocprim17ROCPRIM_400000_NS6detail17trampoline_kernelINS0_14default_configENS1_38merge_sort_block_merge_config_selectorIalEEZZNS1_27merge_sort_block_merge_implIS3_PaN6thrust23THRUST_200600_302600_NS10device_ptrIlEEjNS1_19radix_merge_compareILb0ELb1EaNS0_19identity_decomposerEEEEE10hipError_tT0_T1_T2_jT3_P12ihipStream_tbPNSt15iterator_traitsISG_E10value_typeEPNSM_ISH_E10value_typeEPSI_NS1_7vsmem_tEENKUlT_SG_SH_SI_E_clIS7_S7_SB_PlEESF_SV_SG_SH_SI_EUlSV_E_NS1_11comp_targetILNS1_3genE8ELNS1_11target_archE1030ELNS1_3gpuE2ELNS1_3repE0EEENS1_48merge_mergepath_partition_config_static_selectorELNS0_4arch9wavefront6targetE1EEEvSH_,"axG",@progbits,_ZN7rocprim17ROCPRIM_400000_NS6detail17trampoline_kernelINS0_14default_configENS1_38merge_sort_block_merge_config_selectorIalEEZZNS1_27merge_sort_block_merge_implIS3_PaN6thrust23THRUST_200600_302600_NS10device_ptrIlEEjNS1_19radix_merge_compareILb0ELb1EaNS0_19identity_decomposerEEEEE10hipError_tT0_T1_T2_jT3_P12ihipStream_tbPNSt15iterator_traitsISG_E10value_typeEPNSM_ISH_E10value_typeEPSI_NS1_7vsmem_tEENKUlT_SG_SH_SI_E_clIS7_S7_SB_PlEESF_SV_SG_SH_SI_EUlSV_E_NS1_11comp_targetILNS1_3genE8ELNS1_11target_archE1030ELNS1_3gpuE2ELNS1_3repE0EEENS1_48merge_mergepath_partition_config_static_selectorELNS0_4arch9wavefront6targetE1EEEvSH_,comdat
	.protected	_ZN7rocprim17ROCPRIM_400000_NS6detail17trampoline_kernelINS0_14default_configENS1_38merge_sort_block_merge_config_selectorIalEEZZNS1_27merge_sort_block_merge_implIS3_PaN6thrust23THRUST_200600_302600_NS10device_ptrIlEEjNS1_19radix_merge_compareILb0ELb1EaNS0_19identity_decomposerEEEEE10hipError_tT0_T1_T2_jT3_P12ihipStream_tbPNSt15iterator_traitsISG_E10value_typeEPNSM_ISH_E10value_typeEPSI_NS1_7vsmem_tEENKUlT_SG_SH_SI_E_clIS7_S7_SB_PlEESF_SV_SG_SH_SI_EUlSV_E_NS1_11comp_targetILNS1_3genE8ELNS1_11target_archE1030ELNS1_3gpuE2ELNS1_3repE0EEENS1_48merge_mergepath_partition_config_static_selectorELNS0_4arch9wavefront6targetE1EEEvSH_ ; -- Begin function _ZN7rocprim17ROCPRIM_400000_NS6detail17trampoline_kernelINS0_14default_configENS1_38merge_sort_block_merge_config_selectorIalEEZZNS1_27merge_sort_block_merge_implIS3_PaN6thrust23THRUST_200600_302600_NS10device_ptrIlEEjNS1_19radix_merge_compareILb0ELb1EaNS0_19identity_decomposerEEEEE10hipError_tT0_T1_T2_jT3_P12ihipStream_tbPNSt15iterator_traitsISG_E10value_typeEPNSM_ISH_E10value_typeEPSI_NS1_7vsmem_tEENKUlT_SG_SH_SI_E_clIS7_S7_SB_PlEESF_SV_SG_SH_SI_EUlSV_E_NS1_11comp_targetILNS1_3genE8ELNS1_11target_archE1030ELNS1_3gpuE2ELNS1_3repE0EEENS1_48merge_mergepath_partition_config_static_selectorELNS0_4arch9wavefront6targetE1EEEvSH_
	.globl	_ZN7rocprim17ROCPRIM_400000_NS6detail17trampoline_kernelINS0_14default_configENS1_38merge_sort_block_merge_config_selectorIalEEZZNS1_27merge_sort_block_merge_implIS3_PaN6thrust23THRUST_200600_302600_NS10device_ptrIlEEjNS1_19radix_merge_compareILb0ELb1EaNS0_19identity_decomposerEEEEE10hipError_tT0_T1_T2_jT3_P12ihipStream_tbPNSt15iterator_traitsISG_E10value_typeEPNSM_ISH_E10value_typeEPSI_NS1_7vsmem_tEENKUlT_SG_SH_SI_E_clIS7_S7_SB_PlEESF_SV_SG_SH_SI_EUlSV_E_NS1_11comp_targetILNS1_3genE8ELNS1_11target_archE1030ELNS1_3gpuE2ELNS1_3repE0EEENS1_48merge_mergepath_partition_config_static_selectorELNS0_4arch9wavefront6targetE1EEEvSH_
	.p2align	8
	.type	_ZN7rocprim17ROCPRIM_400000_NS6detail17trampoline_kernelINS0_14default_configENS1_38merge_sort_block_merge_config_selectorIalEEZZNS1_27merge_sort_block_merge_implIS3_PaN6thrust23THRUST_200600_302600_NS10device_ptrIlEEjNS1_19radix_merge_compareILb0ELb1EaNS0_19identity_decomposerEEEEE10hipError_tT0_T1_T2_jT3_P12ihipStream_tbPNSt15iterator_traitsISG_E10value_typeEPNSM_ISH_E10value_typeEPSI_NS1_7vsmem_tEENKUlT_SG_SH_SI_E_clIS7_S7_SB_PlEESF_SV_SG_SH_SI_EUlSV_E_NS1_11comp_targetILNS1_3genE8ELNS1_11target_archE1030ELNS1_3gpuE2ELNS1_3repE0EEENS1_48merge_mergepath_partition_config_static_selectorELNS0_4arch9wavefront6targetE1EEEvSH_,@function
_ZN7rocprim17ROCPRIM_400000_NS6detail17trampoline_kernelINS0_14default_configENS1_38merge_sort_block_merge_config_selectorIalEEZZNS1_27merge_sort_block_merge_implIS3_PaN6thrust23THRUST_200600_302600_NS10device_ptrIlEEjNS1_19radix_merge_compareILb0ELb1EaNS0_19identity_decomposerEEEEE10hipError_tT0_T1_T2_jT3_P12ihipStream_tbPNSt15iterator_traitsISG_E10value_typeEPNSM_ISH_E10value_typeEPSI_NS1_7vsmem_tEENKUlT_SG_SH_SI_E_clIS7_S7_SB_PlEESF_SV_SG_SH_SI_EUlSV_E_NS1_11comp_targetILNS1_3genE8ELNS1_11target_archE1030ELNS1_3gpuE2ELNS1_3repE0EEENS1_48merge_mergepath_partition_config_static_selectorELNS0_4arch9wavefront6targetE1EEEvSH_: ; @_ZN7rocprim17ROCPRIM_400000_NS6detail17trampoline_kernelINS0_14default_configENS1_38merge_sort_block_merge_config_selectorIalEEZZNS1_27merge_sort_block_merge_implIS3_PaN6thrust23THRUST_200600_302600_NS10device_ptrIlEEjNS1_19radix_merge_compareILb0ELb1EaNS0_19identity_decomposerEEEEE10hipError_tT0_T1_T2_jT3_P12ihipStream_tbPNSt15iterator_traitsISG_E10value_typeEPNSM_ISH_E10value_typeEPSI_NS1_7vsmem_tEENKUlT_SG_SH_SI_E_clIS7_S7_SB_PlEESF_SV_SG_SH_SI_EUlSV_E_NS1_11comp_targetILNS1_3genE8ELNS1_11target_archE1030ELNS1_3gpuE2ELNS1_3repE0EEENS1_48merge_mergepath_partition_config_static_selectorELNS0_4arch9wavefront6targetE1EEEvSH_
; %bb.0:
	.section	.rodata,"a",@progbits
	.p2align	6, 0x0
	.amdhsa_kernel _ZN7rocprim17ROCPRIM_400000_NS6detail17trampoline_kernelINS0_14default_configENS1_38merge_sort_block_merge_config_selectorIalEEZZNS1_27merge_sort_block_merge_implIS3_PaN6thrust23THRUST_200600_302600_NS10device_ptrIlEEjNS1_19radix_merge_compareILb0ELb1EaNS0_19identity_decomposerEEEEE10hipError_tT0_T1_T2_jT3_P12ihipStream_tbPNSt15iterator_traitsISG_E10value_typeEPNSM_ISH_E10value_typeEPSI_NS1_7vsmem_tEENKUlT_SG_SH_SI_E_clIS7_S7_SB_PlEESF_SV_SG_SH_SI_EUlSV_E_NS1_11comp_targetILNS1_3genE8ELNS1_11target_archE1030ELNS1_3gpuE2ELNS1_3repE0EEENS1_48merge_mergepath_partition_config_static_selectorELNS0_4arch9wavefront6targetE1EEEvSH_
		.amdhsa_group_segment_fixed_size 0
		.amdhsa_private_segment_fixed_size 0
		.amdhsa_kernarg_size 40
		.amdhsa_user_sgpr_count 6
		.amdhsa_user_sgpr_private_segment_buffer 1
		.amdhsa_user_sgpr_dispatch_ptr 0
		.amdhsa_user_sgpr_queue_ptr 0
		.amdhsa_user_sgpr_kernarg_segment_ptr 1
		.amdhsa_user_sgpr_dispatch_id 0
		.amdhsa_user_sgpr_flat_scratch_init 0
		.amdhsa_user_sgpr_kernarg_preload_length 0
		.amdhsa_user_sgpr_kernarg_preload_offset 0
		.amdhsa_user_sgpr_private_segment_size 0
		.amdhsa_uses_dynamic_stack 0
		.amdhsa_system_sgpr_private_segment_wavefront_offset 0
		.amdhsa_system_sgpr_workgroup_id_x 1
		.amdhsa_system_sgpr_workgroup_id_y 0
		.amdhsa_system_sgpr_workgroup_id_z 0
		.amdhsa_system_sgpr_workgroup_info 0
		.amdhsa_system_vgpr_workitem_id 0
		.amdhsa_next_free_vgpr 1
		.amdhsa_next_free_sgpr 0
		.amdhsa_accum_offset 4
		.amdhsa_reserve_vcc 0
		.amdhsa_reserve_flat_scratch 0
		.amdhsa_float_round_mode_32 0
		.amdhsa_float_round_mode_16_64 0
		.amdhsa_float_denorm_mode_32 3
		.amdhsa_float_denorm_mode_16_64 3
		.amdhsa_dx10_clamp 1
		.amdhsa_ieee_mode 1
		.amdhsa_fp16_overflow 0
		.amdhsa_tg_split 0
		.amdhsa_exception_fp_ieee_invalid_op 0
		.amdhsa_exception_fp_denorm_src 0
		.amdhsa_exception_fp_ieee_div_zero 0
		.amdhsa_exception_fp_ieee_overflow 0
		.amdhsa_exception_fp_ieee_underflow 0
		.amdhsa_exception_fp_ieee_inexact 0
		.amdhsa_exception_int_div_zero 0
	.end_amdhsa_kernel
	.section	.text._ZN7rocprim17ROCPRIM_400000_NS6detail17trampoline_kernelINS0_14default_configENS1_38merge_sort_block_merge_config_selectorIalEEZZNS1_27merge_sort_block_merge_implIS3_PaN6thrust23THRUST_200600_302600_NS10device_ptrIlEEjNS1_19radix_merge_compareILb0ELb1EaNS0_19identity_decomposerEEEEE10hipError_tT0_T1_T2_jT3_P12ihipStream_tbPNSt15iterator_traitsISG_E10value_typeEPNSM_ISH_E10value_typeEPSI_NS1_7vsmem_tEENKUlT_SG_SH_SI_E_clIS7_S7_SB_PlEESF_SV_SG_SH_SI_EUlSV_E_NS1_11comp_targetILNS1_3genE8ELNS1_11target_archE1030ELNS1_3gpuE2ELNS1_3repE0EEENS1_48merge_mergepath_partition_config_static_selectorELNS0_4arch9wavefront6targetE1EEEvSH_,"axG",@progbits,_ZN7rocprim17ROCPRIM_400000_NS6detail17trampoline_kernelINS0_14default_configENS1_38merge_sort_block_merge_config_selectorIalEEZZNS1_27merge_sort_block_merge_implIS3_PaN6thrust23THRUST_200600_302600_NS10device_ptrIlEEjNS1_19radix_merge_compareILb0ELb1EaNS0_19identity_decomposerEEEEE10hipError_tT0_T1_T2_jT3_P12ihipStream_tbPNSt15iterator_traitsISG_E10value_typeEPNSM_ISH_E10value_typeEPSI_NS1_7vsmem_tEENKUlT_SG_SH_SI_E_clIS7_S7_SB_PlEESF_SV_SG_SH_SI_EUlSV_E_NS1_11comp_targetILNS1_3genE8ELNS1_11target_archE1030ELNS1_3gpuE2ELNS1_3repE0EEENS1_48merge_mergepath_partition_config_static_selectorELNS0_4arch9wavefront6targetE1EEEvSH_,comdat
.Lfunc_end565:
	.size	_ZN7rocprim17ROCPRIM_400000_NS6detail17trampoline_kernelINS0_14default_configENS1_38merge_sort_block_merge_config_selectorIalEEZZNS1_27merge_sort_block_merge_implIS3_PaN6thrust23THRUST_200600_302600_NS10device_ptrIlEEjNS1_19radix_merge_compareILb0ELb1EaNS0_19identity_decomposerEEEEE10hipError_tT0_T1_T2_jT3_P12ihipStream_tbPNSt15iterator_traitsISG_E10value_typeEPNSM_ISH_E10value_typeEPSI_NS1_7vsmem_tEENKUlT_SG_SH_SI_E_clIS7_S7_SB_PlEESF_SV_SG_SH_SI_EUlSV_E_NS1_11comp_targetILNS1_3genE8ELNS1_11target_archE1030ELNS1_3gpuE2ELNS1_3repE0EEENS1_48merge_mergepath_partition_config_static_selectorELNS0_4arch9wavefront6targetE1EEEvSH_, .Lfunc_end565-_ZN7rocprim17ROCPRIM_400000_NS6detail17trampoline_kernelINS0_14default_configENS1_38merge_sort_block_merge_config_selectorIalEEZZNS1_27merge_sort_block_merge_implIS3_PaN6thrust23THRUST_200600_302600_NS10device_ptrIlEEjNS1_19radix_merge_compareILb0ELb1EaNS0_19identity_decomposerEEEEE10hipError_tT0_T1_T2_jT3_P12ihipStream_tbPNSt15iterator_traitsISG_E10value_typeEPNSM_ISH_E10value_typeEPSI_NS1_7vsmem_tEENKUlT_SG_SH_SI_E_clIS7_S7_SB_PlEESF_SV_SG_SH_SI_EUlSV_E_NS1_11comp_targetILNS1_3genE8ELNS1_11target_archE1030ELNS1_3gpuE2ELNS1_3repE0EEENS1_48merge_mergepath_partition_config_static_selectorELNS0_4arch9wavefront6targetE1EEEvSH_
                                        ; -- End function
	.section	.AMDGPU.csdata,"",@progbits
; Kernel info:
; codeLenInByte = 0
; NumSgprs: 4
; NumVgprs: 0
; NumAgprs: 0
; TotalNumVgprs: 0
; ScratchSize: 0
; MemoryBound: 0
; FloatMode: 240
; IeeeMode: 1
; LDSByteSize: 0 bytes/workgroup (compile time only)
; SGPRBlocks: 0
; VGPRBlocks: 0
; NumSGPRsForWavesPerEU: 4
; NumVGPRsForWavesPerEU: 1
; AccumOffset: 4
; Occupancy: 8
; WaveLimiterHint : 0
; COMPUTE_PGM_RSRC2:SCRATCH_EN: 0
; COMPUTE_PGM_RSRC2:USER_SGPR: 6
; COMPUTE_PGM_RSRC2:TRAP_HANDLER: 0
; COMPUTE_PGM_RSRC2:TGID_X_EN: 1
; COMPUTE_PGM_RSRC2:TGID_Y_EN: 0
; COMPUTE_PGM_RSRC2:TGID_Z_EN: 0
; COMPUTE_PGM_RSRC2:TIDIG_COMP_CNT: 0
; COMPUTE_PGM_RSRC3_GFX90A:ACCUM_OFFSET: 0
; COMPUTE_PGM_RSRC3_GFX90A:TG_SPLIT: 0
	.section	.text._ZN7rocprim17ROCPRIM_400000_NS6detail17trampoline_kernelINS0_14default_configENS1_38merge_sort_block_merge_config_selectorIalEEZZNS1_27merge_sort_block_merge_implIS3_PaN6thrust23THRUST_200600_302600_NS10device_ptrIlEEjNS1_19radix_merge_compareILb0ELb1EaNS0_19identity_decomposerEEEEE10hipError_tT0_T1_T2_jT3_P12ihipStream_tbPNSt15iterator_traitsISG_E10value_typeEPNSM_ISH_E10value_typeEPSI_NS1_7vsmem_tEENKUlT_SG_SH_SI_E_clIS7_S7_SB_PlEESF_SV_SG_SH_SI_EUlSV_E0_NS1_11comp_targetILNS1_3genE0ELNS1_11target_archE4294967295ELNS1_3gpuE0ELNS1_3repE0EEENS1_38merge_mergepath_config_static_selectorELNS0_4arch9wavefront6targetE1EEEvSH_,"axG",@progbits,_ZN7rocprim17ROCPRIM_400000_NS6detail17trampoline_kernelINS0_14default_configENS1_38merge_sort_block_merge_config_selectorIalEEZZNS1_27merge_sort_block_merge_implIS3_PaN6thrust23THRUST_200600_302600_NS10device_ptrIlEEjNS1_19radix_merge_compareILb0ELb1EaNS0_19identity_decomposerEEEEE10hipError_tT0_T1_T2_jT3_P12ihipStream_tbPNSt15iterator_traitsISG_E10value_typeEPNSM_ISH_E10value_typeEPSI_NS1_7vsmem_tEENKUlT_SG_SH_SI_E_clIS7_S7_SB_PlEESF_SV_SG_SH_SI_EUlSV_E0_NS1_11comp_targetILNS1_3genE0ELNS1_11target_archE4294967295ELNS1_3gpuE0ELNS1_3repE0EEENS1_38merge_mergepath_config_static_selectorELNS0_4arch9wavefront6targetE1EEEvSH_,comdat
	.protected	_ZN7rocprim17ROCPRIM_400000_NS6detail17trampoline_kernelINS0_14default_configENS1_38merge_sort_block_merge_config_selectorIalEEZZNS1_27merge_sort_block_merge_implIS3_PaN6thrust23THRUST_200600_302600_NS10device_ptrIlEEjNS1_19radix_merge_compareILb0ELb1EaNS0_19identity_decomposerEEEEE10hipError_tT0_T1_T2_jT3_P12ihipStream_tbPNSt15iterator_traitsISG_E10value_typeEPNSM_ISH_E10value_typeEPSI_NS1_7vsmem_tEENKUlT_SG_SH_SI_E_clIS7_S7_SB_PlEESF_SV_SG_SH_SI_EUlSV_E0_NS1_11comp_targetILNS1_3genE0ELNS1_11target_archE4294967295ELNS1_3gpuE0ELNS1_3repE0EEENS1_38merge_mergepath_config_static_selectorELNS0_4arch9wavefront6targetE1EEEvSH_ ; -- Begin function _ZN7rocprim17ROCPRIM_400000_NS6detail17trampoline_kernelINS0_14default_configENS1_38merge_sort_block_merge_config_selectorIalEEZZNS1_27merge_sort_block_merge_implIS3_PaN6thrust23THRUST_200600_302600_NS10device_ptrIlEEjNS1_19radix_merge_compareILb0ELb1EaNS0_19identity_decomposerEEEEE10hipError_tT0_T1_T2_jT3_P12ihipStream_tbPNSt15iterator_traitsISG_E10value_typeEPNSM_ISH_E10value_typeEPSI_NS1_7vsmem_tEENKUlT_SG_SH_SI_E_clIS7_S7_SB_PlEESF_SV_SG_SH_SI_EUlSV_E0_NS1_11comp_targetILNS1_3genE0ELNS1_11target_archE4294967295ELNS1_3gpuE0ELNS1_3repE0EEENS1_38merge_mergepath_config_static_selectorELNS0_4arch9wavefront6targetE1EEEvSH_
	.globl	_ZN7rocprim17ROCPRIM_400000_NS6detail17trampoline_kernelINS0_14default_configENS1_38merge_sort_block_merge_config_selectorIalEEZZNS1_27merge_sort_block_merge_implIS3_PaN6thrust23THRUST_200600_302600_NS10device_ptrIlEEjNS1_19radix_merge_compareILb0ELb1EaNS0_19identity_decomposerEEEEE10hipError_tT0_T1_T2_jT3_P12ihipStream_tbPNSt15iterator_traitsISG_E10value_typeEPNSM_ISH_E10value_typeEPSI_NS1_7vsmem_tEENKUlT_SG_SH_SI_E_clIS7_S7_SB_PlEESF_SV_SG_SH_SI_EUlSV_E0_NS1_11comp_targetILNS1_3genE0ELNS1_11target_archE4294967295ELNS1_3gpuE0ELNS1_3repE0EEENS1_38merge_mergepath_config_static_selectorELNS0_4arch9wavefront6targetE1EEEvSH_
	.p2align	8
	.type	_ZN7rocprim17ROCPRIM_400000_NS6detail17trampoline_kernelINS0_14default_configENS1_38merge_sort_block_merge_config_selectorIalEEZZNS1_27merge_sort_block_merge_implIS3_PaN6thrust23THRUST_200600_302600_NS10device_ptrIlEEjNS1_19radix_merge_compareILb0ELb1EaNS0_19identity_decomposerEEEEE10hipError_tT0_T1_T2_jT3_P12ihipStream_tbPNSt15iterator_traitsISG_E10value_typeEPNSM_ISH_E10value_typeEPSI_NS1_7vsmem_tEENKUlT_SG_SH_SI_E_clIS7_S7_SB_PlEESF_SV_SG_SH_SI_EUlSV_E0_NS1_11comp_targetILNS1_3genE0ELNS1_11target_archE4294967295ELNS1_3gpuE0ELNS1_3repE0EEENS1_38merge_mergepath_config_static_selectorELNS0_4arch9wavefront6targetE1EEEvSH_,@function
_ZN7rocprim17ROCPRIM_400000_NS6detail17trampoline_kernelINS0_14default_configENS1_38merge_sort_block_merge_config_selectorIalEEZZNS1_27merge_sort_block_merge_implIS3_PaN6thrust23THRUST_200600_302600_NS10device_ptrIlEEjNS1_19radix_merge_compareILb0ELb1EaNS0_19identity_decomposerEEEEE10hipError_tT0_T1_T2_jT3_P12ihipStream_tbPNSt15iterator_traitsISG_E10value_typeEPNSM_ISH_E10value_typeEPSI_NS1_7vsmem_tEENKUlT_SG_SH_SI_E_clIS7_S7_SB_PlEESF_SV_SG_SH_SI_EUlSV_E0_NS1_11comp_targetILNS1_3genE0ELNS1_11target_archE4294967295ELNS1_3gpuE0ELNS1_3repE0EEENS1_38merge_mergepath_config_static_selectorELNS0_4arch9wavefront6targetE1EEEvSH_: ; @_ZN7rocprim17ROCPRIM_400000_NS6detail17trampoline_kernelINS0_14default_configENS1_38merge_sort_block_merge_config_selectorIalEEZZNS1_27merge_sort_block_merge_implIS3_PaN6thrust23THRUST_200600_302600_NS10device_ptrIlEEjNS1_19radix_merge_compareILb0ELb1EaNS0_19identity_decomposerEEEEE10hipError_tT0_T1_T2_jT3_P12ihipStream_tbPNSt15iterator_traitsISG_E10value_typeEPNSM_ISH_E10value_typeEPSI_NS1_7vsmem_tEENKUlT_SG_SH_SI_E_clIS7_S7_SB_PlEESF_SV_SG_SH_SI_EUlSV_E0_NS1_11comp_targetILNS1_3genE0ELNS1_11target_archE4294967295ELNS1_3gpuE0ELNS1_3repE0EEENS1_38merge_mergepath_config_static_selectorELNS0_4arch9wavefront6targetE1EEEvSH_
; %bb.0:
	.section	.rodata,"a",@progbits
	.p2align	6, 0x0
	.amdhsa_kernel _ZN7rocprim17ROCPRIM_400000_NS6detail17trampoline_kernelINS0_14default_configENS1_38merge_sort_block_merge_config_selectorIalEEZZNS1_27merge_sort_block_merge_implIS3_PaN6thrust23THRUST_200600_302600_NS10device_ptrIlEEjNS1_19radix_merge_compareILb0ELb1EaNS0_19identity_decomposerEEEEE10hipError_tT0_T1_T2_jT3_P12ihipStream_tbPNSt15iterator_traitsISG_E10value_typeEPNSM_ISH_E10value_typeEPSI_NS1_7vsmem_tEENKUlT_SG_SH_SI_E_clIS7_S7_SB_PlEESF_SV_SG_SH_SI_EUlSV_E0_NS1_11comp_targetILNS1_3genE0ELNS1_11target_archE4294967295ELNS1_3gpuE0ELNS1_3repE0EEENS1_38merge_mergepath_config_static_selectorELNS0_4arch9wavefront6targetE1EEEvSH_
		.amdhsa_group_segment_fixed_size 0
		.amdhsa_private_segment_fixed_size 0
		.amdhsa_kernarg_size 64
		.amdhsa_user_sgpr_count 6
		.amdhsa_user_sgpr_private_segment_buffer 1
		.amdhsa_user_sgpr_dispatch_ptr 0
		.amdhsa_user_sgpr_queue_ptr 0
		.amdhsa_user_sgpr_kernarg_segment_ptr 1
		.amdhsa_user_sgpr_dispatch_id 0
		.amdhsa_user_sgpr_flat_scratch_init 0
		.amdhsa_user_sgpr_kernarg_preload_length 0
		.amdhsa_user_sgpr_kernarg_preload_offset 0
		.amdhsa_user_sgpr_private_segment_size 0
		.amdhsa_uses_dynamic_stack 0
		.amdhsa_system_sgpr_private_segment_wavefront_offset 0
		.amdhsa_system_sgpr_workgroup_id_x 1
		.amdhsa_system_sgpr_workgroup_id_y 0
		.amdhsa_system_sgpr_workgroup_id_z 0
		.amdhsa_system_sgpr_workgroup_info 0
		.amdhsa_system_vgpr_workitem_id 0
		.amdhsa_next_free_vgpr 1
		.amdhsa_next_free_sgpr 0
		.amdhsa_accum_offset 4
		.amdhsa_reserve_vcc 0
		.amdhsa_reserve_flat_scratch 0
		.amdhsa_float_round_mode_32 0
		.amdhsa_float_round_mode_16_64 0
		.amdhsa_float_denorm_mode_32 3
		.amdhsa_float_denorm_mode_16_64 3
		.amdhsa_dx10_clamp 1
		.amdhsa_ieee_mode 1
		.amdhsa_fp16_overflow 0
		.amdhsa_tg_split 0
		.amdhsa_exception_fp_ieee_invalid_op 0
		.amdhsa_exception_fp_denorm_src 0
		.amdhsa_exception_fp_ieee_div_zero 0
		.amdhsa_exception_fp_ieee_overflow 0
		.amdhsa_exception_fp_ieee_underflow 0
		.amdhsa_exception_fp_ieee_inexact 0
		.amdhsa_exception_int_div_zero 0
	.end_amdhsa_kernel
	.section	.text._ZN7rocprim17ROCPRIM_400000_NS6detail17trampoline_kernelINS0_14default_configENS1_38merge_sort_block_merge_config_selectorIalEEZZNS1_27merge_sort_block_merge_implIS3_PaN6thrust23THRUST_200600_302600_NS10device_ptrIlEEjNS1_19radix_merge_compareILb0ELb1EaNS0_19identity_decomposerEEEEE10hipError_tT0_T1_T2_jT3_P12ihipStream_tbPNSt15iterator_traitsISG_E10value_typeEPNSM_ISH_E10value_typeEPSI_NS1_7vsmem_tEENKUlT_SG_SH_SI_E_clIS7_S7_SB_PlEESF_SV_SG_SH_SI_EUlSV_E0_NS1_11comp_targetILNS1_3genE0ELNS1_11target_archE4294967295ELNS1_3gpuE0ELNS1_3repE0EEENS1_38merge_mergepath_config_static_selectorELNS0_4arch9wavefront6targetE1EEEvSH_,"axG",@progbits,_ZN7rocprim17ROCPRIM_400000_NS6detail17trampoline_kernelINS0_14default_configENS1_38merge_sort_block_merge_config_selectorIalEEZZNS1_27merge_sort_block_merge_implIS3_PaN6thrust23THRUST_200600_302600_NS10device_ptrIlEEjNS1_19radix_merge_compareILb0ELb1EaNS0_19identity_decomposerEEEEE10hipError_tT0_T1_T2_jT3_P12ihipStream_tbPNSt15iterator_traitsISG_E10value_typeEPNSM_ISH_E10value_typeEPSI_NS1_7vsmem_tEENKUlT_SG_SH_SI_E_clIS7_S7_SB_PlEESF_SV_SG_SH_SI_EUlSV_E0_NS1_11comp_targetILNS1_3genE0ELNS1_11target_archE4294967295ELNS1_3gpuE0ELNS1_3repE0EEENS1_38merge_mergepath_config_static_selectorELNS0_4arch9wavefront6targetE1EEEvSH_,comdat
.Lfunc_end566:
	.size	_ZN7rocprim17ROCPRIM_400000_NS6detail17trampoline_kernelINS0_14default_configENS1_38merge_sort_block_merge_config_selectorIalEEZZNS1_27merge_sort_block_merge_implIS3_PaN6thrust23THRUST_200600_302600_NS10device_ptrIlEEjNS1_19radix_merge_compareILb0ELb1EaNS0_19identity_decomposerEEEEE10hipError_tT0_T1_T2_jT3_P12ihipStream_tbPNSt15iterator_traitsISG_E10value_typeEPNSM_ISH_E10value_typeEPSI_NS1_7vsmem_tEENKUlT_SG_SH_SI_E_clIS7_S7_SB_PlEESF_SV_SG_SH_SI_EUlSV_E0_NS1_11comp_targetILNS1_3genE0ELNS1_11target_archE4294967295ELNS1_3gpuE0ELNS1_3repE0EEENS1_38merge_mergepath_config_static_selectorELNS0_4arch9wavefront6targetE1EEEvSH_, .Lfunc_end566-_ZN7rocprim17ROCPRIM_400000_NS6detail17trampoline_kernelINS0_14default_configENS1_38merge_sort_block_merge_config_selectorIalEEZZNS1_27merge_sort_block_merge_implIS3_PaN6thrust23THRUST_200600_302600_NS10device_ptrIlEEjNS1_19radix_merge_compareILb0ELb1EaNS0_19identity_decomposerEEEEE10hipError_tT0_T1_T2_jT3_P12ihipStream_tbPNSt15iterator_traitsISG_E10value_typeEPNSM_ISH_E10value_typeEPSI_NS1_7vsmem_tEENKUlT_SG_SH_SI_E_clIS7_S7_SB_PlEESF_SV_SG_SH_SI_EUlSV_E0_NS1_11comp_targetILNS1_3genE0ELNS1_11target_archE4294967295ELNS1_3gpuE0ELNS1_3repE0EEENS1_38merge_mergepath_config_static_selectorELNS0_4arch9wavefront6targetE1EEEvSH_
                                        ; -- End function
	.section	.AMDGPU.csdata,"",@progbits
; Kernel info:
; codeLenInByte = 0
; NumSgprs: 4
; NumVgprs: 0
; NumAgprs: 0
; TotalNumVgprs: 0
; ScratchSize: 0
; MemoryBound: 0
; FloatMode: 240
; IeeeMode: 1
; LDSByteSize: 0 bytes/workgroup (compile time only)
; SGPRBlocks: 0
; VGPRBlocks: 0
; NumSGPRsForWavesPerEU: 4
; NumVGPRsForWavesPerEU: 1
; AccumOffset: 4
; Occupancy: 8
; WaveLimiterHint : 0
; COMPUTE_PGM_RSRC2:SCRATCH_EN: 0
; COMPUTE_PGM_RSRC2:USER_SGPR: 6
; COMPUTE_PGM_RSRC2:TRAP_HANDLER: 0
; COMPUTE_PGM_RSRC2:TGID_X_EN: 1
; COMPUTE_PGM_RSRC2:TGID_Y_EN: 0
; COMPUTE_PGM_RSRC2:TGID_Z_EN: 0
; COMPUTE_PGM_RSRC2:TIDIG_COMP_CNT: 0
; COMPUTE_PGM_RSRC3_GFX90A:ACCUM_OFFSET: 0
; COMPUTE_PGM_RSRC3_GFX90A:TG_SPLIT: 0
	.section	.text._ZN7rocprim17ROCPRIM_400000_NS6detail17trampoline_kernelINS0_14default_configENS1_38merge_sort_block_merge_config_selectorIalEEZZNS1_27merge_sort_block_merge_implIS3_PaN6thrust23THRUST_200600_302600_NS10device_ptrIlEEjNS1_19radix_merge_compareILb0ELb1EaNS0_19identity_decomposerEEEEE10hipError_tT0_T1_T2_jT3_P12ihipStream_tbPNSt15iterator_traitsISG_E10value_typeEPNSM_ISH_E10value_typeEPSI_NS1_7vsmem_tEENKUlT_SG_SH_SI_E_clIS7_S7_SB_PlEESF_SV_SG_SH_SI_EUlSV_E0_NS1_11comp_targetILNS1_3genE10ELNS1_11target_archE1201ELNS1_3gpuE5ELNS1_3repE0EEENS1_38merge_mergepath_config_static_selectorELNS0_4arch9wavefront6targetE1EEEvSH_,"axG",@progbits,_ZN7rocprim17ROCPRIM_400000_NS6detail17trampoline_kernelINS0_14default_configENS1_38merge_sort_block_merge_config_selectorIalEEZZNS1_27merge_sort_block_merge_implIS3_PaN6thrust23THRUST_200600_302600_NS10device_ptrIlEEjNS1_19radix_merge_compareILb0ELb1EaNS0_19identity_decomposerEEEEE10hipError_tT0_T1_T2_jT3_P12ihipStream_tbPNSt15iterator_traitsISG_E10value_typeEPNSM_ISH_E10value_typeEPSI_NS1_7vsmem_tEENKUlT_SG_SH_SI_E_clIS7_S7_SB_PlEESF_SV_SG_SH_SI_EUlSV_E0_NS1_11comp_targetILNS1_3genE10ELNS1_11target_archE1201ELNS1_3gpuE5ELNS1_3repE0EEENS1_38merge_mergepath_config_static_selectorELNS0_4arch9wavefront6targetE1EEEvSH_,comdat
	.protected	_ZN7rocprim17ROCPRIM_400000_NS6detail17trampoline_kernelINS0_14default_configENS1_38merge_sort_block_merge_config_selectorIalEEZZNS1_27merge_sort_block_merge_implIS3_PaN6thrust23THRUST_200600_302600_NS10device_ptrIlEEjNS1_19radix_merge_compareILb0ELb1EaNS0_19identity_decomposerEEEEE10hipError_tT0_T1_T2_jT3_P12ihipStream_tbPNSt15iterator_traitsISG_E10value_typeEPNSM_ISH_E10value_typeEPSI_NS1_7vsmem_tEENKUlT_SG_SH_SI_E_clIS7_S7_SB_PlEESF_SV_SG_SH_SI_EUlSV_E0_NS1_11comp_targetILNS1_3genE10ELNS1_11target_archE1201ELNS1_3gpuE5ELNS1_3repE0EEENS1_38merge_mergepath_config_static_selectorELNS0_4arch9wavefront6targetE1EEEvSH_ ; -- Begin function _ZN7rocprim17ROCPRIM_400000_NS6detail17trampoline_kernelINS0_14default_configENS1_38merge_sort_block_merge_config_selectorIalEEZZNS1_27merge_sort_block_merge_implIS3_PaN6thrust23THRUST_200600_302600_NS10device_ptrIlEEjNS1_19radix_merge_compareILb0ELb1EaNS0_19identity_decomposerEEEEE10hipError_tT0_T1_T2_jT3_P12ihipStream_tbPNSt15iterator_traitsISG_E10value_typeEPNSM_ISH_E10value_typeEPSI_NS1_7vsmem_tEENKUlT_SG_SH_SI_E_clIS7_S7_SB_PlEESF_SV_SG_SH_SI_EUlSV_E0_NS1_11comp_targetILNS1_3genE10ELNS1_11target_archE1201ELNS1_3gpuE5ELNS1_3repE0EEENS1_38merge_mergepath_config_static_selectorELNS0_4arch9wavefront6targetE1EEEvSH_
	.globl	_ZN7rocprim17ROCPRIM_400000_NS6detail17trampoline_kernelINS0_14default_configENS1_38merge_sort_block_merge_config_selectorIalEEZZNS1_27merge_sort_block_merge_implIS3_PaN6thrust23THRUST_200600_302600_NS10device_ptrIlEEjNS1_19radix_merge_compareILb0ELb1EaNS0_19identity_decomposerEEEEE10hipError_tT0_T1_T2_jT3_P12ihipStream_tbPNSt15iterator_traitsISG_E10value_typeEPNSM_ISH_E10value_typeEPSI_NS1_7vsmem_tEENKUlT_SG_SH_SI_E_clIS7_S7_SB_PlEESF_SV_SG_SH_SI_EUlSV_E0_NS1_11comp_targetILNS1_3genE10ELNS1_11target_archE1201ELNS1_3gpuE5ELNS1_3repE0EEENS1_38merge_mergepath_config_static_selectorELNS0_4arch9wavefront6targetE1EEEvSH_
	.p2align	8
	.type	_ZN7rocprim17ROCPRIM_400000_NS6detail17trampoline_kernelINS0_14default_configENS1_38merge_sort_block_merge_config_selectorIalEEZZNS1_27merge_sort_block_merge_implIS3_PaN6thrust23THRUST_200600_302600_NS10device_ptrIlEEjNS1_19radix_merge_compareILb0ELb1EaNS0_19identity_decomposerEEEEE10hipError_tT0_T1_T2_jT3_P12ihipStream_tbPNSt15iterator_traitsISG_E10value_typeEPNSM_ISH_E10value_typeEPSI_NS1_7vsmem_tEENKUlT_SG_SH_SI_E_clIS7_S7_SB_PlEESF_SV_SG_SH_SI_EUlSV_E0_NS1_11comp_targetILNS1_3genE10ELNS1_11target_archE1201ELNS1_3gpuE5ELNS1_3repE0EEENS1_38merge_mergepath_config_static_selectorELNS0_4arch9wavefront6targetE1EEEvSH_,@function
_ZN7rocprim17ROCPRIM_400000_NS6detail17trampoline_kernelINS0_14default_configENS1_38merge_sort_block_merge_config_selectorIalEEZZNS1_27merge_sort_block_merge_implIS3_PaN6thrust23THRUST_200600_302600_NS10device_ptrIlEEjNS1_19radix_merge_compareILb0ELb1EaNS0_19identity_decomposerEEEEE10hipError_tT0_T1_T2_jT3_P12ihipStream_tbPNSt15iterator_traitsISG_E10value_typeEPNSM_ISH_E10value_typeEPSI_NS1_7vsmem_tEENKUlT_SG_SH_SI_E_clIS7_S7_SB_PlEESF_SV_SG_SH_SI_EUlSV_E0_NS1_11comp_targetILNS1_3genE10ELNS1_11target_archE1201ELNS1_3gpuE5ELNS1_3repE0EEENS1_38merge_mergepath_config_static_selectorELNS0_4arch9wavefront6targetE1EEEvSH_: ; @_ZN7rocprim17ROCPRIM_400000_NS6detail17trampoline_kernelINS0_14default_configENS1_38merge_sort_block_merge_config_selectorIalEEZZNS1_27merge_sort_block_merge_implIS3_PaN6thrust23THRUST_200600_302600_NS10device_ptrIlEEjNS1_19radix_merge_compareILb0ELb1EaNS0_19identity_decomposerEEEEE10hipError_tT0_T1_T2_jT3_P12ihipStream_tbPNSt15iterator_traitsISG_E10value_typeEPNSM_ISH_E10value_typeEPSI_NS1_7vsmem_tEENKUlT_SG_SH_SI_E_clIS7_S7_SB_PlEESF_SV_SG_SH_SI_EUlSV_E0_NS1_11comp_targetILNS1_3genE10ELNS1_11target_archE1201ELNS1_3gpuE5ELNS1_3repE0EEENS1_38merge_mergepath_config_static_selectorELNS0_4arch9wavefront6targetE1EEEvSH_
; %bb.0:
	.section	.rodata,"a",@progbits
	.p2align	6, 0x0
	.amdhsa_kernel _ZN7rocprim17ROCPRIM_400000_NS6detail17trampoline_kernelINS0_14default_configENS1_38merge_sort_block_merge_config_selectorIalEEZZNS1_27merge_sort_block_merge_implIS3_PaN6thrust23THRUST_200600_302600_NS10device_ptrIlEEjNS1_19radix_merge_compareILb0ELb1EaNS0_19identity_decomposerEEEEE10hipError_tT0_T1_T2_jT3_P12ihipStream_tbPNSt15iterator_traitsISG_E10value_typeEPNSM_ISH_E10value_typeEPSI_NS1_7vsmem_tEENKUlT_SG_SH_SI_E_clIS7_S7_SB_PlEESF_SV_SG_SH_SI_EUlSV_E0_NS1_11comp_targetILNS1_3genE10ELNS1_11target_archE1201ELNS1_3gpuE5ELNS1_3repE0EEENS1_38merge_mergepath_config_static_selectorELNS0_4arch9wavefront6targetE1EEEvSH_
		.amdhsa_group_segment_fixed_size 0
		.amdhsa_private_segment_fixed_size 0
		.amdhsa_kernarg_size 64
		.amdhsa_user_sgpr_count 6
		.amdhsa_user_sgpr_private_segment_buffer 1
		.amdhsa_user_sgpr_dispatch_ptr 0
		.amdhsa_user_sgpr_queue_ptr 0
		.amdhsa_user_sgpr_kernarg_segment_ptr 1
		.amdhsa_user_sgpr_dispatch_id 0
		.amdhsa_user_sgpr_flat_scratch_init 0
		.amdhsa_user_sgpr_kernarg_preload_length 0
		.amdhsa_user_sgpr_kernarg_preload_offset 0
		.amdhsa_user_sgpr_private_segment_size 0
		.amdhsa_uses_dynamic_stack 0
		.amdhsa_system_sgpr_private_segment_wavefront_offset 0
		.amdhsa_system_sgpr_workgroup_id_x 1
		.amdhsa_system_sgpr_workgroup_id_y 0
		.amdhsa_system_sgpr_workgroup_id_z 0
		.amdhsa_system_sgpr_workgroup_info 0
		.amdhsa_system_vgpr_workitem_id 0
		.amdhsa_next_free_vgpr 1
		.amdhsa_next_free_sgpr 0
		.amdhsa_accum_offset 4
		.amdhsa_reserve_vcc 0
		.amdhsa_reserve_flat_scratch 0
		.amdhsa_float_round_mode_32 0
		.amdhsa_float_round_mode_16_64 0
		.amdhsa_float_denorm_mode_32 3
		.amdhsa_float_denorm_mode_16_64 3
		.amdhsa_dx10_clamp 1
		.amdhsa_ieee_mode 1
		.amdhsa_fp16_overflow 0
		.amdhsa_tg_split 0
		.amdhsa_exception_fp_ieee_invalid_op 0
		.amdhsa_exception_fp_denorm_src 0
		.amdhsa_exception_fp_ieee_div_zero 0
		.amdhsa_exception_fp_ieee_overflow 0
		.amdhsa_exception_fp_ieee_underflow 0
		.amdhsa_exception_fp_ieee_inexact 0
		.amdhsa_exception_int_div_zero 0
	.end_amdhsa_kernel
	.section	.text._ZN7rocprim17ROCPRIM_400000_NS6detail17trampoline_kernelINS0_14default_configENS1_38merge_sort_block_merge_config_selectorIalEEZZNS1_27merge_sort_block_merge_implIS3_PaN6thrust23THRUST_200600_302600_NS10device_ptrIlEEjNS1_19radix_merge_compareILb0ELb1EaNS0_19identity_decomposerEEEEE10hipError_tT0_T1_T2_jT3_P12ihipStream_tbPNSt15iterator_traitsISG_E10value_typeEPNSM_ISH_E10value_typeEPSI_NS1_7vsmem_tEENKUlT_SG_SH_SI_E_clIS7_S7_SB_PlEESF_SV_SG_SH_SI_EUlSV_E0_NS1_11comp_targetILNS1_3genE10ELNS1_11target_archE1201ELNS1_3gpuE5ELNS1_3repE0EEENS1_38merge_mergepath_config_static_selectorELNS0_4arch9wavefront6targetE1EEEvSH_,"axG",@progbits,_ZN7rocprim17ROCPRIM_400000_NS6detail17trampoline_kernelINS0_14default_configENS1_38merge_sort_block_merge_config_selectorIalEEZZNS1_27merge_sort_block_merge_implIS3_PaN6thrust23THRUST_200600_302600_NS10device_ptrIlEEjNS1_19radix_merge_compareILb0ELb1EaNS0_19identity_decomposerEEEEE10hipError_tT0_T1_T2_jT3_P12ihipStream_tbPNSt15iterator_traitsISG_E10value_typeEPNSM_ISH_E10value_typeEPSI_NS1_7vsmem_tEENKUlT_SG_SH_SI_E_clIS7_S7_SB_PlEESF_SV_SG_SH_SI_EUlSV_E0_NS1_11comp_targetILNS1_3genE10ELNS1_11target_archE1201ELNS1_3gpuE5ELNS1_3repE0EEENS1_38merge_mergepath_config_static_selectorELNS0_4arch9wavefront6targetE1EEEvSH_,comdat
.Lfunc_end567:
	.size	_ZN7rocprim17ROCPRIM_400000_NS6detail17trampoline_kernelINS0_14default_configENS1_38merge_sort_block_merge_config_selectorIalEEZZNS1_27merge_sort_block_merge_implIS3_PaN6thrust23THRUST_200600_302600_NS10device_ptrIlEEjNS1_19radix_merge_compareILb0ELb1EaNS0_19identity_decomposerEEEEE10hipError_tT0_T1_T2_jT3_P12ihipStream_tbPNSt15iterator_traitsISG_E10value_typeEPNSM_ISH_E10value_typeEPSI_NS1_7vsmem_tEENKUlT_SG_SH_SI_E_clIS7_S7_SB_PlEESF_SV_SG_SH_SI_EUlSV_E0_NS1_11comp_targetILNS1_3genE10ELNS1_11target_archE1201ELNS1_3gpuE5ELNS1_3repE0EEENS1_38merge_mergepath_config_static_selectorELNS0_4arch9wavefront6targetE1EEEvSH_, .Lfunc_end567-_ZN7rocprim17ROCPRIM_400000_NS6detail17trampoline_kernelINS0_14default_configENS1_38merge_sort_block_merge_config_selectorIalEEZZNS1_27merge_sort_block_merge_implIS3_PaN6thrust23THRUST_200600_302600_NS10device_ptrIlEEjNS1_19radix_merge_compareILb0ELb1EaNS0_19identity_decomposerEEEEE10hipError_tT0_T1_T2_jT3_P12ihipStream_tbPNSt15iterator_traitsISG_E10value_typeEPNSM_ISH_E10value_typeEPSI_NS1_7vsmem_tEENKUlT_SG_SH_SI_E_clIS7_S7_SB_PlEESF_SV_SG_SH_SI_EUlSV_E0_NS1_11comp_targetILNS1_3genE10ELNS1_11target_archE1201ELNS1_3gpuE5ELNS1_3repE0EEENS1_38merge_mergepath_config_static_selectorELNS0_4arch9wavefront6targetE1EEEvSH_
                                        ; -- End function
	.section	.AMDGPU.csdata,"",@progbits
; Kernel info:
; codeLenInByte = 0
; NumSgprs: 4
; NumVgprs: 0
; NumAgprs: 0
; TotalNumVgprs: 0
; ScratchSize: 0
; MemoryBound: 0
; FloatMode: 240
; IeeeMode: 1
; LDSByteSize: 0 bytes/workgroup (compile time only)
; SGPRBlocks: 0
; VGPRBlocks: 0
; NumSGPRsForWavesPerEU: 4
; NumVGPRsForWavesPerEU: 1
; AccumOffset: 4
; Occupancy: 8
; WaveLimiterHint : 0
; COMPUTE_PGM_RSRC2:SCRATCH_EN: 0
; COMPUTE_PGM_RSRC2:USER_SGPR: 6
; COMPUTE_PGM_RSRC2:TRAP_HANDLER: 0
; COMPUTE_PGM_RSRC2:TGID_X_EN: 1
; COMPUTE_PGM_RSRC2:TGID_Y_EN: 0
; COMPUTE_PGM_RSRC2:TGID_Z_EN: 0
; COMPUTE_PGM_RSRC2:TIDIG_COMP_CNT: 0
; COMPUTE_PGM_RSRC3_GFX90A:ACCUM_OFFSET: 0
; COMPUTE_PGM_RSRC3_GFX90A:TG_SPLIT: 0
	.section	.text._ZN7rocprim17ROCPRIM_400000_NS6detail17trampoline_kernelINS0_14default_configENS1_38merge_sort_block_merge_config_selectorIalEEZZNS1_27merge_sort_block_merge_implIS3_PaN6thrust23THRUST_200600_302600_NS10device_ptrIlEEjNS1_19radix_merge_compareILb0ELb1EaNS0_19identity_decomposerEEEEE10hipError_tT0_T1_T2_jT3_P12ihipStream_tbPNSt15iterator_traitsISG_E10value_typeEPNSM_ISH_E10value_typeEPSI_NS1_7vsmem_tEENKUlT_SG_SH_SI_E_clIS7_S7_SB_PlEESF_SV_SG_SH_SI_EUlSV_E0_NS1_11comp_targetILNS1_3genE5ELNS1_11target_archE942ELNS1_3gpuE9ELNS1_3repE0EEENS1_38merge_mergepath_config_static_selectorELNS0_4arch9wavefront6targetE1EEEvSH_,"axG",@progbits,_ZN7rocprim17ROCPRIM_400000_NS6detail17trampoline_kernelINS0_14default_configENS1_38merge_sort_block_merge_config_selectorIalEEZZNS1_27merge_sort_block_merge_implIS3_PaN6thrust23THRUST_200600_302600_NS10device_ptrIlEEjNS1_19radix_merge_compareILb0ELb1EaNS0_19identity_decomposerEEEEE10hipError_tT0_T1_T2_jT3_P12ihipStream_tbPNSt15iterator_traitsISG_E10value_typeEPNSM_ISH_E10value_typeEPSI_NS1_7vsmem_tEENKUlT_SG_SH_SI_E_clIS7_S7_SB_PlEESF_SV_SG_SH_SI_EUlSV_E0_NS1_11comp_targetILNS1_3genE5ELNS1_11target_archE942ELNS1_3gpuE9ELNS1_3repE0EEENS1_38merge_mergepath_config_static_selectorELNS0_4arch9wavefront6targetE1EEEvSH_,comdat
	.protected	_ZN7rocprim17ROCPRIM_400000_NS6detail17trampoline_kernelINS0_14default_configENS1_38merge_sort_block_merge_config_selectorIalEEZZNS1_27merge_sort_block_merge_implIS3_PaN6thrust23THRUST_200600_302600_NS10device_ptrIlEEjNS1_19radix_merge_compareILb0ELb1EaNS0_19identity_decomposerEEEEE10hipError_tT0_T1_T2_jT3_P12ihipStream_tbPNSt15iterator_traitsISG_E10value_typeEPNSM_ISH_E10value_typeEPSI_NS1_7vsmem_tEENKUlT_SG_SH_SI_E_clIS7_S7_SB_PlEESF_SV_SG_SH_SI_EUlSV_E0_NS1_11comp_targetILNS1_3genE5ELNS1_11target_archE942ELNS1_3gpuE9ELNS1_3repE0EEENS1_38merge_mergepath_config_static_selectorELNS0_4arch9wavefront6targetE1EEEvSH_ ; -- Begin function _ZN7rocprim17ROCPRIM_400000_NS6detail17trampoline_kernelINS0_14default_configENS1_38merge_sort_block_merge_config_selectorIalEEZZNS1_27merge_sort_block_merge_implIS3_PaN6thrust23THRUST_200600_302600_NS10device_ptrIlEEjNS1_19radix_merge_compareILb0ELb1EaNS0_19identity_decomposerEEEEE10hipError_tT0_T1_T2_jT3_P12ihipStream_tbPNSt15iterator_traitsISG_E10value_typeEPNSM_ISH_E10value_typeEPSI_NS1_7vsmem_tEENKUlT_SG_SH_SI_E_clIS7_S7_SB_PlEESF_SV_SG_SH_SI_EUlSV_E0_NS1_11comp_targetILNS1_3genE5ELNS1_11target_archE942ELNS1_3gpuE9ELNS1_3repE0EEENS1_38merge_mergepath_config_static_selectorELNS0_4arch9wavefront6targetE1EEEvSH_
	.globl	_ZN7rocprim17ROCPRIM_400000_NS6detail17trampoline_kernelINS0_14default_configENS1_38merge_sort_block_merge_config_selectorIalEEZZNS1_27merge_sort_block_merge_implIS3_PaN6thrust23THRUST_200600_302600_NS10device_ptrIlEEjNS1_19radix_merge_compareILb0ELb1EaNS0_19identity_decomposerEEEEE10hipError_tT0_T1_T2_jT3_P12ihipStream_tbPNSt15iterator_traitsISG_E10value_typeEPNSM_ISH_E10value_typeEPSI_NS1_7vsmem_tEENKUlT_SG_SH_SI_E_clIS7_S7_SB_PlEESF_SV_SG_SH_SI_EUlSV_E0_NS1_11comp_targetILNS1_3genE5ELNS1_11target_archE942ELNS1_3gpuE9ELNS1_3repE0EEENS1_38merge_mergepath_config_static_selectorELNS0_4arch9wavefront6targetE1EEEvSH_
	.p2align	8
	.type	_ZN7rocprim17ROCPRIM_400000_NS6detail17trampoline_kernelINS0_14default_configENS1_38merge_sort_block_merge_config_selectorIalEEZZNS1_27merge_sort_block_merge_implIS3_PaN6thrust23THRUST_200600_302600_NS10device_ptrIlEEjNS1_19radix_merge_compareILb0ELb1EaNS0_19identity_decomposerEEEEE10hipError_tT0_T1_T2_jT3_P12ihipStream_tbPNSt15iterator_traitsISG_E10value_typeEPNSM_ISH_E10value_typeEPSI_NS1_7vsmem_tEENKUlT_SG_SH_SI_E_clIS7_S7_SB_PlEESF_SV_SG_SH_SI_EUlSV_E0_NS1_11comp_targetILNS1_3genE5ELNS1_11target_archE942ELNS1_3gpuE9ELNS1_3repE0EEENS1_38merge_mergepath_config_static_selectorELNS0_4arch9wavefront6targetE1EEEvSH_,@function
_ZN7rocprim17ROCPRIM_400000_NS6detail17trampoline_kernelINS0_14default_configENS1_38merge_sort_block_merge_config_selectorIalEEZZNS1_27merge_sort_block_merge_implIS3_PaN6thrust23THRUST_200600_302600_NS10device_ptrIlEEjNS1_19radix_merge_compareILb0ELb1EaNS0_19identity_decomposerEEEEE10hipError_tT0_T1_T2_jT3_P12ihipStream_tbPNSt15iterator_traitsISG_E10value_typeEPNSM_ISH_E10value_typeEPSI_NS1_7vsmem_tEENKUlT_SG_SH_SI_E_clIS7_S7_SB_PlEESF_SV_SG_SH_SI_EUlSV_E0_NS1_11comp_targetILNS1_3genE5ELNS1_11target_archE942ELNS1_3gpuE9ELNS1_3repE0EEENS1_38merge_mergepath_config_static_selectorELNS0_4arch9wavefront6targetE1EEEvSH_: ; @_ZN7rocprim17ROCPRIM_400000_NS6detail17trampoline_kernelINS0_14default_configENS1_38merge_sort_block_merge_config_selectorIalEEZZNS1_27merge_sort_block_merge_implIS3_PaN6thrust23THRUST_200600_302600_NS10device_ptrIlEEjNS1_19radix_merge_compareILb0ELb1EaNS0_19identity_decomposerEEEEE10hipError_tT0_T1_T2_jT3_P12ihipStream_tbPNSt15iterator_traitsISG_E10value_typeEPNSM_ISH_E10value_typeEPSI_NS1_7vsmem_tEENKUlT_SG_SH_SI_E_clIS7_S7_SB_PlEESF_SV_SG_SH_SI_EUlSV_E0_NS1_11comp_targetILNS1_3genE5ELNS1_11target_archE942ELNS1_3gpuE9ELNS1_3repE0EEENS1_38merge_mergepath_config_static_selectorELNS0_4arch9wavefront6targetE1EEEvSH_
; %bb.0:
	.section	.rodata,"a",@progbits
	.p2align	6, 0x0
	.amdhsa_kernel _ZN7rocprim17ROCPRIM_400000_NS6detail17trampoline_kernelINS0_14default_configENS1_38merge_sort_block_merge_config_selectorIalEEZZNS1_27merge_sort_block_merge_implIS3_PaN6thrust23THRUST_200600_302600_NS10device_ptrIlEEjNS1_19radix_merge_compareILb0ELb1EaNS0_19identity_decomposerEEEEE10hipError_tT0_T1_T2_jT3_P12ihipStream_tbPNSt15iterator_traitsISG_E10value_typeEPNSM_ISH_E10value_typeEPSI_NS1_7vsmem_tEENKUlT_SG_SH_SI_E_clIS7_S7_SB_PlEESF_SV_SG_SH_SI_EUlSV_E0_NS1_11comp_targetILNS1_3genE5ELNS1_11target_archE942ELNS1_3gpuE9ELNS1_3repE0EEENS1_38merge_mergepath_config_static_selectorELNS0_4arch9wavefront6targetE1EEEvSH_
		.amdhsa_group_segment_fixed_size 0
		.amdhsa_private_segment_fixed_size 0
		.amdhsa_kernarg_size 64
		.amdhsa_user_sgpr_count 6
		.amdhsa_user_sgpr_private_segment_buffer 1
		.amdhsa_user_sgpr_dispatch_ptr 0
		.amdhsa_user_sgpr_queue_ptr 0
		.amdhsa_user_sgpr_kernarg_segment_ptr 1
		.amdhsa_user_sgpr_dispatch_id 0
		.amdhsa_user_sgpr_flat_scratch_init 0
		.amdhsa_user_sgpr_kernarg_preload_length 0
		.amdhsa_user_sgpr_kernarg_preload_offset 0
		.amdhsa_user_sgpr_private_segment_size 0
		.amdhsa_uses_dynamic_stack 0
		.amdhsa_system_sgpr_private_segment_wavefront_offset 0
		.amdhsa_system_sgpr_workgroup_id_x 1
		.amdhsa_system_sgpr_workgroup_id_y 0
		.amdhsa_system_sgpr_workgroup_id_z 0
		.amdhsa_system_sgpr_workgroup_info 0
		.amdhsa_system_vgpr_workitem_id 0
		.amdhsa_next_free_vgpr 1
		.amdhsa_next_free_sgpr 0
		.amdhsa_accum_offset 4
		.amdhsa_reserve_vcc 0
		.amdhsa_reserve_flat_scratch 0
		.amdhsa_float_round_mode_32 0
		.amdhsa_float_round_mode_16_64 0
		.amdhsa_float_denorm_mode_32 3
		.amdhsa_float_denorm_mode_16_64 3
		.amdhsa_dx10_clamp 1
		.amdhsa_ieee_mode 1
		.amdhsa_fp16_overflow 0
		.amdhsa_tg_split 0
		.amdhsa_exception_fp_ieee_invalid_op 0
		.amdhsa_exception_fp_denorm_src 0
		.amdhsa_exception_fp_ieee_div_zero 0
		.amdhsa_exception_fp_ieee_overflow 0
		.amdhsa_exception_fp_ieee_underflow 0
		.amdhsa_exception_fp_ieee_inexact 0
		.amdhsa_exception_int_div_zero 0
	.end_amdhsa_kernel
	.section	.text._ZN7rocprim17ROCPRIM_400000_NS6detail17trampoline_kernelINS0_14default_configENS1_38merge_sort_block_merge_config_selectorIalEEZZNS1_27merge_sort_block_merge_implIS3_PaN6thrust23THRUST_200600_302600_NS10device_ptrIlEEjNS1_19radix_merge_compareILb0ELb1EaNS0_19identity_decomposerEEEEE10hipError_tT0_T1_T2_jT3_P12ihipStream_tbPNSt15iterator_traitsISG_E10value_typeEPNSM_ISH_E10value_typeEPSI_NS1_7vsmem_tEENKUlT_SG_SH_SI_E_clIS7_S7_SB_PlEESF_SV_SG_SH_SI_EUlSV_E0_NS1_11comp_targetILNS1_3genE5ELNS1_11target_archE942ELNS1_3gpuE9ELNS1_3repE0EEENS1_38merge_mergepath_config_static_selectorELNS0_4arch9wavefront6targetE1EEEvSH_,"axG",@progbits,_ZN7rocprim17ROCPRIM_400000_NS6detail17trampoline_kernelINS0_14default_configENS1_38merge_sort_block_merge_config_selectorIalEEZZNS1_27merge_sort_block_merge_implIS3_PaN6thrust23THRUST_200600_302600_NS10device_ptrIlEEjNS1_19radix_merge_compareILb0ELb1EaNS0_19identity_decomposerEEEEE10hipError_tT0_T1_T2_jT3_P12ihipStream_tbPNSt15iterator_traitsISG_E10value_typeEPNSM_ISH_E10value_typeEPSI_NS1_7vsmem_tEENKUlT_SG_SH_SI_E_clIS7_S7_SB_PlEESF_SV_SG_SH_SI_EUlSV_E0_NS1_11comp_targetILNS1_3genE5ELNS1_11target_archE942ELNS1_3gpuE9ELNS1_3repE0EEENS1_38merge_mergepath_config_static_selectorELNS0_4arch9wavefront6targetE1EEEvSH_,comdat
.Lfunc_end568:
	.size	_ZN7rocprim17ROCPRIM_400000_NS6detail17trampoline_kernelINS0_14default_configENS1_38merge_sort_block_merge_config_selectorIalEEZZNS1_27merge_sort_block_merge_implIS3_PaN6thrust23THRUST_200600_302600_NS10device_ptrIlEEjNS1_19radix_merge_compareILb0ELb1EaNS0_19identity_decomposerEEEEE10hipError_tT0_T1_T2_jT3_P12ihipStream_tbPNSt15iterator_traitsISG_E10value_typeEPNSM_ISH_E10value_typeEPSI_NS1_7vsmem_tEENKUlT_SG_SH_SI_E_clIS7_S7_SB_PlEESF_SV_SG_SH_SI_EUlSV_E0_NS1_11comp_targetILNS1_3genE5ELNS1_11target_archE942ELNS1_3gpuE9ELNS1_3repE0EEENS1_38merge_mergepath_config_static_selectorELNS0_4arch9wavefront6targetE1EEEvSH_, .Lfunc_end568-_ZN7rocprim17ROCPRIM_400000_NS6detail17trampoline_kernelINS0_14default_configENS1_38merge_sort_block_merge_config_selectorIalEEZZNS1_27merge_sort_block_merge_implIS3_PaN6thrust23THRUST_200600_302600_NS10device_ptrIlEEjNS1_19radix_merge_compareILb0ELb1EaNS0_19identity_decomposerEEEEE10hipError_tT0_T1_T2_jT3_P12ihipStream_tbPNSt15iterator_traitsISG_E10value_typeEPNSM_ISH_E10value_typeEPSI_NS1_7vsmem_tEENKUlT_SG_SH_SI_E_clIS7_S7_SB_PlEESF_SV_SG_SH_SI_EUlSV_E0_NS1_11comp_targetILNS1_3genE5ELNS1_11target_archE942ELNS1_3gpuE9ELNS1_3repE0EEENS1_38merge_mergepath_config_static_selectorELNS0_4arch9wavefront6targetE1EEEvSH_
                                        ; -- End function
	.section	.AMDGPU.csdata,"",@progbits
; Kernel info:
; codeLenInByte = 0
; NumSgprs: 4
; NumVgprs: 0
; NumAgprs: 0
; TotalNumVgprs: 0
; ScratchSize: 0
; MemoryBound: 0
; FloatMode: 240
; IeeeMode: 1
; LDSByteSize: 0 bytes/workgroup (compile time only)
; SGPRBlocks: 0
; VGPRBlocks: 0
; NumSGPRsForWavesPerEU: 4
; NumVGPRsForWavesPerEU: 1
; AccumOffset: 4
; Occupancy: 8
; WaveLimiterHint : 0
; COMPUTE_PGM_RSRC2:SCRATCH_EN: 0
; COMPUTE_PGM_RSRC2:USER_SGPR: 6
; COMPUTE_PGM_RSRC2:TRAP_HANDLER: 0
; COMPUTE_PGM_RSRC2:TGID_X_EN: 1
; COMPUTE_PGM_RSRC2:TGID_Y_EN: 0
; COMPUTE_PGM_RSRC2:TGID_Z_EN: 0
; COMPUTE_PGM_RSRC2:TIDIG_COMP_CNT: 0
; COMPUTE_PGM_RSRC3_GFX90A:ACCUM_OFFSET: 0
; COMPUTE_PGM_RSRC3_GFX90A:TG_SPLIT: 0
	.section	.text._ZN7rocprim17ROCPRIM_400000_NS6detail17trampoline_kernelINS0_14default_configENS1_38merge_sort_block_merge_config_selectorIalEEZZNS1_27merge_sort_block_merge_implIS3_PaN6thrust23THRUST_200600_302600_NS10device_ptrIlEEjNS1_19radix_merge_compareILb0ELb1EaNS0_19identity_decomposerEEEEE10hipError_tT0_T1_T2_jT3_P12ihipStream_tbPNSt15iterator_traitsISG_E10value_typeEPNSM_ISH_E10value_typeEPSI_NS1_7vsmem_tEENKUlT_SG_SH_SI_E_clIS7_S7_SB_PlEESF_SV_SG_SH_SI_EUlSV_E0_NS1_11comp_targetILNS1_3genE4ELNS1_11target_archE910ELNS1_3gpuE8ELNS1_3repE0EEENS1_38merge_mergepath_config_static_selectorELNS0_4arch9wavefront6targetE1EEEvSH_,"axG",@progbits,_ZN7rocprim17ROCPRIM_400000_NS6detail17trampoline_kernelINS0_14default_configENS1_38merge_sort_block_merge_config_selectorIalEEZZNS1_27merge_sort_block_merge_implIS3_PaN6thrust23THRUST_200600_302600_NS10device_ptrIlEEjNS1_19radix_merge_compareILb0ELb1EaNS0_19identity_decomposerEEEEE10hipError_tT0_T1_T2_jT3_P12ihipStream_tbPNSt15iterator_traitsISG_E10value_typeEPNSM_ISH_E10value_typeEPSI_NS1_7vsmem_tEENKUlT_SG_SH_SI_E_clIS7_S7_SB_PlEESF_SV_SG_SH_SI_EUlSV_E0_NS1_11comp_targetILNS1_3genE4ELNS1_11target_archE910ELNS1_3gpuE8ELNS1_3repE0EEENS1_38merge_mergepath_config_static_selectorELNS0_4arch9wavefront6targetE1EEEvSH_,comdat
	.protected	_ZN7rocprim17ROCPRIM_400000_NS6detail17trampoline_kernelINS0_14default_configENS1_38merge_sort_block_merge_config_selectorIalEEZZNS1_27merge_sort_block_merge_implIS3_PaN6thrust23THRUST_200600_302600_NS10device_ptrIlEEjNS1_19radix_merge_compareILb0ELb1EaNS0_19identity_decomposerEEEEE10hipError_tT0_T1_T2_jT3_P12ihipStream_tbPNSt15iterator_traitsISG_E10value_typeEPNSM_ISH_E10value_typeEPSI_NS1_7vsmem_tEENKUlT_SG_SH_SI_E_clIS7_S7_SB_PlEESF_SV_SG_SH_SI_EUlSV_E0_NS1_11comp_targetILNS1_3genE4ELNS1_11target_archE910ELNS1_3gpuE8ELNS1_3repE0EEENS1_38merge_mergepath_config_static_selectorELNS0_4arch9wavefront6targetE1EEEvSH_ ; -- Begin function _ZN7rocprim17ROCPRIM_400000_NS6detail17trampoline_kernelINS0_14default_configENS1_38merge_sort_block_merge_config_selectorIalEEZZNS1_27merge_sort_block_merge_implIS3_PaN6thrust23THRUST_200600_302600_NS10device_ptrIlEEjNS1_19radix_merge_compareILb0ELb1EaNS0_19identity_decomposerEEEEE10hipError_tT0_T1_T2_jT3_P12ihipStream_tbPNSt15iterator_traitsISG_E10value_typeEPNSM_ISH_E10value_typeEPSI_NS1_7vsmem_tEENKUlT_SG_SH_SI_E_clIS7_S7_SB_PlEESF_SV_SG_SH_SI_EUlSV_E0_NS1_11comp_targetILNS1_3genE4ELNS1_11target_archE910ELNS1_3gpuE8ELNS1_3repE0EEENS1_38merge_mergepath_config_static_selectorELNS0_4arch9wavefront6targetE1EEEvSH_
	.globl	_ZN7rocprim17ROCPRIM_400000_NS6detail17trampoline_kernelINS0_14default_configENS1_38merge_sort_block_merge_config_selectorIalEEZZNS1_27merge_sort_block_merge_implIS3_PaN6thrust23THRUST_200600_302600_NS10device_ptrIlEEjNS1_19radix_merge_compareILb0ELb1EaNS0_19identity_decomposerEEEEE10hipError_tT0_T1_T2_jT3_P12ihipStream_tbPNSt15iterator_traitsISG_E10value_typeEPNSM_ISH_E10value_typeEPSI_NS1_7vsmem_tEENKUlT_SG_SH_SI_E_clIS7_S7_SB_PlEESF_SV_SG_SH_SI_EUlSV_E0_NS1_11comp_targetILNS1_3genE4ELNS1_11target_archE910ELNS1_3gpuE8ELNS1_3repE0EEENS1_38merge_mergepath_config_static_selectorELNS0_4arch9wavefront6targetE1EEEvSH_
	.p2align	8
	.type	_ZN7rocprim17ROCPRIM_400000_NS6detail17trampoline_kernelINS0_14default_configENS1_38merge_sort_block_merge_config_selectorIalEEZZNS1_27merge_sort_block_merge_implIS3_PaN6thrust23THRUST_200600_302600_NS10device_ptrIlEEjNS1_19radix_merge_compareILb0ELb1EaNS0_19identity_decomposerEEEEE10hipError_tT0_T1_T2_jT3_P12ihipStream_tbPNSt15iterator_traitsISG_E10value_typeEPNSM_ISH_E10value_typeEPSI_NS1_7vsmem_tEENKUlT_SG_SH_SI_E_clIS7_S7_SB_PlEESF_SV_SG_SH_SI_EUlSV_E0_NS1_11comp_targetILNS1_3genE4ELNS1_11target_archE910ELNS1_3gpuE8ELNS1_3repE0EEENS1_38merge_mergepath_config_static_selectorELNS0_4arch9wavefront6targetE1EEEvSH_,@function
_ZN7rocprim17ROCPRIM_400000_NS6detail17trampoline_kernelINS0_14default_configENS1_38merge_sort_block_merge_config_selectorIalEEZZNS1_27merge_sort_block_merge_implIS3_PaN6thrust23THRUST_200600_302600_NS10device_ptrIlEEjNS1_19radix_merge_compareILb0ELb1EaNS0_19identity_decomposerEEEEE10hipError_tT0_T1_T2_jT3_P12ihipStream_tbPNSt15iterator_traitsISG_E10value_typeEPNSM_ISH_E10value_typeEPSI_NS1_7vsmem_tEENKUlT_SG_SH_SI_E_clIS7_S7_SB_PlEESF_SV_SG_SH_SI_EUlSV_E0_NS1_11comp_targetILNS1_3genE4ELNS1_11target_archE910ELNS1_3gpuE8ELNS1_3repE0EEENS1_38merge_mergepath_config_static_selectorELNS0_4arch9wavefront6targetE1EEEvSH_: ; @_ZN7rocprim17ROCPRIM_400000_NS6detail17trampoline_kernelINS0_14default_configENS1_38merge_sort_block_merge_config_selectorIalEEZZNS1_27merge_sort_block_merge_implIS3_PaN6thrust23THRUST_200600_302600_NS10device_ptrIlEEjNS1_19radix_merge_compareILb0ELb1EaNS0_19identity_decomposerEEEEE10hipError_tT0_T1_T2_jT3_P12ihipStream_tbPNSt15iterator_traitsISG_E10value_typeEPNSM_ISH_E10value_typeEPSI_NS1_7vsmem_tEENKUlT_SG_SH_SI_E_clIS7_S7_SB_PlEESF_SV_SG_SH_SI_EUlSV_E0_NS1_11comp_targetILNS1_3genE4ELNS1_11target_archE910ELNS1_3gpuE8ELNS1_3repE0EEENS1_38merge_mergepath_config_static_selectorELNS0_4arch9wavefront6targetE1EEEvSH_
; %bb.0:
	s_load_dwordx2 s[24:25], s[4:5], 0x40
	s_load_dword s0, s[4:5], 0x30
	s_add_u32 s22, s4, 64
	s_addc_u32 s23, s5, 0
	s_waitcnt lgkmcnt(0)
	s_mul_i32 s1, s25, s8
	s_add_i32 s1, s1, s7
	s_mul_i32 s1, s1, s24
	s_add_i32 s20, s1, s6
	s_cmp_ge_u32 s20, s0
	s_cbranch_scc1 .LBB569_53
; %bb.1:
	s_load_dwordx8 s[8:15], s[4:5], 0x10
	s_load_dwordx2 s[30:31], s[4:5], 0x8
	s_load_dwordx2 s[0:1], s[4:5], 0x38
	s_mov_b32 s21, 0
	v_mov_b32_e32 v1, 0
	s_waitcnt lgkmcnt(0)
	s_lshr_b32 s29, s14, 10
	s_cmp_lg_u32 s20, s29
	s_cselect_b64 s[18:19], -1, 0
	s_lshl_b64 s[2:3], s[20:21], 2
	s_add_u32 s0, s0, s2
	s_addc_u32 s1, s1, s3
	s_lshr_b32 s2, s15, 9
	s_and_b32 s2, s2, 0x7ffffe
	s_load_dwordx2 s[0:1], s[0:1], 0x0
	s_sub_i32 s3, 0, s2
	s_and_b32 s2, s20, s3
	s_lshl_b32 s7, s2, 10
	s_lshl_b32 s16, s20, 10
	;; [unrolled: 1-line block ×3, first 2 shown]
	s_sub_i32 s17, s16, s7
	s_add_i32 s25, s2, s15
	s_add_i32 s17, s25, s17
	s_waitcnt lgkmcnt(0)
	s_sub_i32 s2, s17, s0
	s_sub_i32 s17, s17, s1
	;; [unrolled: 1-line block ×3, first 2 shown]
	s_min_u32 s2, s14, s2
	s_addk_i32 s17, 0x400
	s_or_b32 s3, s20, s3
	s_min_u32 s25, s14, s7
	s_add_i32 s7, s7, s15
	s_cmp_eq_u32 s3, -1
	s_cselect_b32 s3, s7, s17
	s_cselect_b32 s1, s25, s1
	s_min_u32 s17, s3, s14
	s_sub_i32 s15, s1, s0
	s_add_u32 s26, s30, s0
	s_addc_u32 s28, s31, 0
	s_add_u32 s25, s30, s2
	s_addc_u32 s27, s31, 0
	s_cmp_lt_u32 s6, s24
	s_cselect_b32 s1, 12, 18
	global_load_dword v2, v1, s[22:23] offset:14
	s_add_u32 s6, s22, s1
	s_addc_u32 s7, s23, 0
	global_load_ushort v1, v1, s[6:7]
	s_mov_b32 s1, s21
	s_mov_b32 s3, s21
	s_cmp_eq_u32 s20, s29
	s_waitcnt vmcnt(1)
	v_lshrrev_b32_e32 v3, 16, v2
	v_and_b32_e32 v2, 0xffff, v2
	v_mul_lo_u32 v2, v2, v3
	s_waitcnt vmcnt(0)
	v_mul_lo_u32 v15, v2, v1
	v_add_u32_e32 v12, v15, v0
	v_add_u32_e32 v10, v12, v15
	s_cbranch_scc1 .LBB569_3
; %bb.2:
	v_mov_b32_e32 v1, s28
	v_add_co_u32_e32 v2, vcc, s26, v0
	v_addc_co_u32_e32 v1, vcc, 0, v1, vcc
	v_subrev_u32_e32 v3, s15, v0
	v_mov_b32_e32 v4, s27
	v_add_co_u32_e32 v5, vcc, s25, v3
	v_addc_co_u32_e32 v3, vcc, 0, v4, vcc
	v_cmp_gt_u32_e32 vcc, s15, v0
	v_cndmask_b32_e32 v3, v3, v1, vcc
	v_cndmask_b32_e32 v2, v5, v2, vcc
	v_mov_b32_e32 v1, s28
	v_add_co_u32_e32 v4, vcc, s26, v12
	v_addc_co_u32_e32 v1, vcc, 0, v1, vcc
	v_subrev_u32_e32 v5, s15, v12
	v_mov_b32_e32 v6, s27
	v_add_co_u32_e32 v7, vcc, s25, v5
	v_addc_co_u32_e32 v5, vcc, 0, v6, vcc
	v_cmp_gt_u32_e32 vcc, s15, v12
	v_cndmask_b32_e32 v5, v5, v1, vcc
	v_cndmask_b32_e32 v4, v7, v4, vcc
	v_mov_b32_e32 v1, s28
	v_add_co_u32_e32 v6, vcc, s26, v10
	v_addc_co_u32_e32 v1, vcc, 0, v1, vcc
	v_subrev_u32_e32 v7, s15, v10
	v_mov_b32_e32 v8, s27
	v_add_co_u32_e32 v9, vcc, s25, v7
	v_addc_co_u32_e32 v7, vcc, 0, v8, vcc
	v_cmp_gt_u32_e32 vcc, s15, v10
	v_cndmask_b32_e32 v7, v7, v1, vcc
	v_cndmask_b32_e32 v6, v9, v6, vcc
	global_load_ubyte v1, v[2:3], off
	global_load_ubyte v17, v[4:5], off
	;; [unrolled: 1-line block ×3, first 2 shown]
	v_add_u32_e32 v2, v10, v15
	s_mov_b64 s[6:7], -1
	s_sub_i32 s17, s17, s2
	s_cbranch_execz .LBB569_4
	s_branch .LBB569_11
.LBB569_3:
	s_mov_b64 s[6:7], 0
                                        ; implicit-def: $vgpr1
                                        ; implicit-def: $vgpr17
                                        ; implicit-def: $vgpr18
                                        ; implicit-def: $vgpr2
	s_sub_i32 s17, s17, s2
.LBB569_4:
	s_add_i32 s20, s17, s15
	v_cmp_gt_u32_e32 vcc, s20, v0
                                        ; implicit-def: $vgpr1
	s_and_saveexec_b64 s[6:7], vcc
	s_cbranch_execz .LBB569_6
; %bb.5:
	s_waitcnt vmcnt(2)
	v_mov_b32_e32 v1, s28
	v_add_co_u32_e32 v2, vcc, s26, v0
	v_addc_co_u32_e32 v1, vcc, 0, v1, vcc
	v_subrev_u32_e32 v3, s15, v0
	v_mov_b32_e32 v4, s27
	v_add_co_u32_e32 v5, vcc, s25, v3
	v_addc_co_u32_e32 v3, vcc, 0, v4, vcc
	v_cmp_gt_u32_e32 vcc, s15, v0
	v_cndmask_b32_e32 v3, v3, v1, vcc
	v_cndmask_b32_e32 v2, v5, v2, vcc
	global_load_ubyte v1, v[2:3], off
.LBB569_6:
	s_or_b64 exec, exec, s[6:7]
	v_cmp_gt_u32_e32 vcc, s20, v12
                                        ; implicit-def: $vgpr17
	s_and_saveexec_b64 s[6:7], vcc
	s_cbranch_execz .LBB569_8
; %bb.7:
	v_mov_b32_e32 v2, s28
	v_add_co_u32_e32 v4, vcc, s26, v12
	v_addc_co_u32_e32 v2, vcc, 0, v2, vcc
	v_subrev_u32_e32 v3, s15, v12
	v_mov_b32_e32 v5, s27
	v_add_co_u32_e32 v6, vcc, s25, v3
	v_addc_co_u32_e32 v3, vcc, 0, v5, vcc
	v_cmp_gt_u32_e32 vcc, s15, v12
	v_cndmask_b32_e32 v3, v3, v2, vcc
	v_cndmask_b32_e32 v2, v6, v4, vcc
	global_load_ubyte v17, v[2:3], off
.LBB569_8:
	s_or_b64 exec, exec, s[6:7]
	v_cmp_gt_u32_e32 vcc, s20, v10
                                        ; implicit-def: $vgpr18
	s_and_saveexec_b64 s[6:7], vcc
	s_cbranch_execz .LBB569_10
; %bb.9:
	v_mov_b32_e32 v2, s28
	v_add_co_u32_e32 v4, vcc, s26, v10
	v_addc_co_u32_e32 v2, vcc, 0, v2, vcc
	v_subrev_u32_e32 v3, s15, v10
	v_mov_b32_e32 v5, s27
	v_add_co_u32_e32 v6, vcc, s25, v3
	v_addc_co_u32_e32 v3, vcc, 0, v5, vcc
	v_cmp_gt_u32_e32 vcc, s15, v10
	v_cndmask_b32_e32 v3, v3, v2, vcc
	v_cndmask_b32_e32 v2, v6, v4, vcc
	global_load_ubyte v18, v[2:3], off
.LBB569_10:
	s_or_b64 exec, exec, s[6:7]
	v_add_u32_e32 v2, v10, v15
	v_cmp_gt_u32_e64 s[6:7], s20, v2
.LBB569_11:
                                        ; implicit-def: $vgpr19
	s_and_saveexec_b64 s[20:21], s[6:7]
	s_cbranch_execz .LBB569_13
; %bb.12:
	v_mov_b32_e32 v3, s28
	v_add_co_u32_e32 v4, vcc, s26, v2
	v_addc_co_u32_e32 v3, vcc, 0, v3, vcc
	v_subrev_u32_e32 v5, s15, v2
	v_mov_b32_e32 v6, s27
	v_add_co_u32_e32 v5, vcc, s25, v5
	v_addc_co_u32_e32 v6, vcc, 0, v6, vcc
	v_cmp_gt_u32_e32 vcc, s15, v2
	v_cndmask_b32_e32 v3, v6, v3, vcc
	v_cndmask_b32_e32 v2, v5, v4, vcc
	global_load_ubyte v19, v[2:3], off
.LBB569_13:
	s_or_b64 exec, exec, s[20:21]
	s_lshl_b64 s[0:1], s[0:1], 3
	s_add_u32 s6, s10, s0
	s_addc_u32 s7, s11, s1
	s_lshl_b64 s[0:1], s[2:3], 3
	s_add_u32 s10, s10, s0
	s_addc_u32 s11, s11, s1
	s_andn2_b64 vcc, exec, s[18:19]
	v_lshlrev_b32_e32 v16, 3, v0
	s_waitcnt vmcnt(0)
	ds_write_b8 v0, v1
	ds_write_b8 v0, v17 offset:256
	ds_write_b8 v0, v18 offset:512
	;; [unrolled: 1-line block ×3, first 2 shown]
	s_cbranch_vccnz .LBB569_15
; %bb.14:
	v_subrev_u32_e32 v6, s15, v0
	v_mov_b32_e32 v7, 0
	v_lshlrev_b64 v[2:3], 3, v[6:7]
	v_mov_b32_e32 v4, s11
	v_add_co_u32_e32 v2, vcc, s10, v2
	v_addc_co_u32_e32 v3, vcc, v4, v3, vcc
	v_mov_b32_e32 v4, s7
	v_add_co_u32_e32 v5, vcc, s6, v16
	v_addc_co_u32_e32 v4, vcc, 0, v4, vcc
	v_cmp_gt_u32_e32 vcc, s15, v0
	v_subrev_u32_e32 v6, s15, v12
	v_cndmask_b32_e32 v3, v3, v4, vcc
	v_cndmask_b32_e32 v2, v2, v5, vcc
	v_lshlrev_b64 v[4:5], 3, v[6:7]
	v_mov_b32_e32 v6, s11
	v_add_co_u32_e32 v8, vcc, s10, v4
	v_mov_b32_e32 v13, v7
	v_addc_co_u32_e32 v6, vcc, v6, v5, vcc
	v_lshlrev_b64 v[4:5], 3, v[12:13]
	v_mov_b32_e32 v9, s7
	v_add_co_u32_e32 v4, vcc, s6, v4
	v_addc_co_u32_e32 v5, vcc, v9, v5, vcc
	v_cmp_gt_u32_e32 vcc, s15, v12
	v_cndmask_b32_e32 v5, v6, v5, vcc
	v_subrev_u32_e32 v6, s15, v10
	v_cndmask_b32_e32 v4, v8, v4, vcc
	v_lshlrev_b64 v[8:9], 3, v[6:7]
	v_mov_b32_e32 v6, s11
	v_add_co_u32_e32 v8, vcc, s10, v8
	v_mov_b32_e32 v11, v7
	v_addc_co_u32_e32 v9, vcc, v6, v9, vcc
	v_lshlrev_b64 v[6:7], 3, v[10:11]
	v_mov_b32_e32 v11, s7
	v_add_co_u32_e32 v6, vcc, s6, v6
	v_addc_co_u32_e32 v7, vcc, v11, v7, vcc
	v_cmp_gt_u32_e32 vcc, s15, v10
	v_cndmask_b32_e32 v7, v9, v7, vcc
	v_cndmask_b32_e32 v6, v8, v6, vcc
	global_load_dwordx2 v[2:3], v[2:3], off
	v_add_u32_e32 v14, v10, v15
	global_load_dwordx2 v[4:5], v[4:5], off
	s_add_i32 s20, s17, s15
	global_load_dwordx2 v[6:7], v[6:7], off
	s_mov_b64 s[0:1], -1
	s_cbranch_execz .LBB569_16
	s_branch .LBB569_21
.LBB569_15:
	s_mov_b64 s[0:1], 0
                                        ; implicit-def: $vgpr14
                                        ; implicit-def: $vgpr2_vgpr3_vgpr4_vgpr5_vgpr6_vgpr7_vgpr8_vgpr9
                                        ; implicit-def: $sgpr20
.LBB569_16:
	s_add_i32 s20, s17, s15
	v_cmp_gt_u32_e32 vcc, s20, v0
                                        ; implicit-def: $vgpr2_vgpr3_vgpr4_vgpr5_vgpr6_vgpr7_vgpr8_vgpr9
	s_and_saveexec_b64 s[0:1], vcc
	s_cbranch_execz .LBB569_35
; %bb.17:
	s_waitcnt vmcnt(2)
	v_mov_b32_e32 v2, s7
	s_waitcnt vmcnt(1)
	v_add_co_u32_e32 v4, vcc, s6, v16
	v_mov_b32_e32 v3, 0
	v_addc_co_u32_e32 v5, vcc, 0, v2, vcc
	v_subrev_u32_e32 v2, s15, v0
	v_lshlrev_b64 v[2:3], 3, v[2:3]
	s_waitcnt vmcnt(0)
	v_mov_b32_e32 v6, s11
	v_add_co_u32_e32 v2, vcc, s10, v2
	v_addc_co_u32_e32 v3, vcc, v6, v3, vcc
	v_cmp_gt_u32_e32 vcc, s15, v0
	v_cndmask_b32_e32 v3, v3, v5, vcc
	v_cndmask_b32_e32 v2, v2, v4, vcc
	global_load_dwordx2 v[2:3], v[2:3], off
	s_or_b64 exec, exec, s[0:1]
	v_cmp_gt_u32_e32 vcc, s20, v12
	s_and_saveexec_b64 s[2:3], vcc
	s_cbranch_execnz .LBB569_36
.LBB569_18:
	s_or_b64 exec, exec, s[2:3]
	v_cmp_gt_u32_e32 vcc, s20, v10
	s_and_saveexec_b64 s[0:1], vcc
	s_cbranch_execz .LBB569_20
.LBB569_19:
	v_mov_b32_e32 v11, 0
	s_waitcnt vmcnt(0)
	v_lshlrev_b64 v[6:7], 3, v[10:11]
	v_mov_b32_e32 v12, s7
	v_add_co_u32_e32 v13, vcc, s6, v6
	v_addc_co_u32_e32 v12, vcc, v12, v7, vcc
	v_subrev_u32_e32 v6, s15, v10
	v_mov_b32_e32 v7, v11
	v_lshlrev_b64 v[6:7], 3, v[6:7]
	v_mov_b32_e32 v11, s11
	v_add_co_u32_e32 v6, vcc, s10, v6
	v_addc_co_u32_e32 v7, vcc, v11, v7, vcc
	v_cmp_gt_u32_e32 vcc, s15, v10
	v_cndmask_b32_e32 v7, v7, v12, vcc
	v_cndmask_b32_e32 v6, v6, v13, vcc
	global_load_dwordx2 v[6:7], v[6:7], off
.LBB569_20:
	s_or_b64 exec, exec, s[0:1]
	v_add_u32_e32 v14, v10, v15
	v_cmp_gt_u32_e64 s[0:1], s20, v14
.LBB569_21:
	v_mov_b32_e32 v10, s20
	s_and_saveexec_b64 s[2:3], s[0:1]
	s_cbranch_execz .LBB569_23
; %bb.22:
	v_subrev_u32_e32 v8, s15, v14
	v_mov_b32_e32 v9, 0
	v_lshlrev_b64 v[10:11], 3, v[8:9]
	v_mov_b32_e32 v8, s11
	v_add_co_u32_e32 v10, vcc, s10, v10
	v_mov_b32_e32 v15, v9
	v_addc_co_u32_e32 v11, vcc, v8, v11, vcc
	v_lshlrev_b64 v[8:9], 3, v[14:15]
	v_mov_b32_e32 v12, s7
	v_add_co_u32_e32 v8, vcc, s6, v8
	v_addc_co_u32_e32 v9, vcc, v12, v9, vcc
	v_cmp_gt_u32_e32 vcc, s15, v14
	v_cndmask_b32_e32 v9, v11, v9, vcc
	v_cndmask_b32_e32 v8, v10, v8, vcc
	global_load_dwordx2 v[8:9], v[8:9], off
	v_mov_b32_e32 v10, s20
.LBB569_23:
	s_or_b64 exec, exec, s[2:3]
	s_load_dword s10, s[4:5], 0x34
	v_lshlrev_b32_e32 v12, 2, v0
	v_min_u32_e32 v13, v10, v12
	v_sub_u32_e64 v11, v13, s17 clamp
	v_min_u32_e32 v14, s15, v13
	v_cmp_lt_u32_e32 vcc, v11, v14
	s_waitcnt lgkmcnt(0)
	s_barrier
	s_and_saveexec_b64 s[0:1], vcc
	s_cbranch_execz .LBB569_27
; %bb.24:
	v_add_u32_e32 v15, s15, v13
	s_mov_b64 s[2:3], 0
.LBB569_25:                             ; =>This Inner Loop Header: Depth=1
	v_add_u32_e32 v20, v14, v11
	v_lshrrev_b32_e32 v20, 1, v20
	v_xad_u32 v21, v20, -1, v15
	ds_read_u8 v22, v20
	ds_read_u8 v21, v21
	v_add_u32_e32 v23, 1, v20
	s_waitcnt lgkmcnt(1)
	v_and_b32_e32 v22, s10, v22
	s_waitcnt lgkmcnt(0)
	v_and_b32_e32 v21, s10, v21
	v_cmp_gt_i16_sdwa vcc, sext(v22), sext(v21) src0_sel:BYTE_0 src1_sel:BYTE_0
	v_cndmask_b32_e32 v14, v14, v20, vcc
	v_cndmask_b32_e32 v11, v23, v11, vcc
	v_cmp_ge_u32_e32 vcc, v11, v14
	s_or_b64 s[2:3], vcc, s[2:3]
	s_andn2_b64 exec, exec, s[2:3]
	s_cbranch_execnz .LBB569_25
; %bb.26:
	s_or_b64 exec, exec, s[2:3]
.LBB569_27:
	s_or_b64 exec, exec, s[0:1]
	v_sub_u32_e32 v13, v13, v11
	v_add_u32_e32 v14, s15, v13
	v_cmp_ge_u32_e32 vcc, s15, v11
	v_cmp_le_u32_e64 s[0:1], v14, v10
	s_or_b64 s[0:1], vcc, s[0:1]
                                        ; implicit-def: $vgpr21
                                        ; implicit-def: $vgpr20
                                        ; implicit-def: $vgpr15
                                        ; implicit-def: $vgpr13
	s_and_saveexec_b64 s[6:7], s[0:1]
	s_cbranch_execz .LBB569_33
; %bb.28:
	v_cmp_gt_u32_e32 vcc, s15, v11
                                        ; implicit-def: $vgpr1
	s_and_saveexec_b64 s[0:1], vcc
	s_cbranch_execz .LBB569_30
; %bb.29:
	ds_read_u8 v1, v11
.LBB569_30:
	s_or_b64 exec, exec, s[0:1]
	v_cmp_ge_u32_e64 s[0:1], v14, v10
	v_cmp_lt_u32_e64 s[2:3], v14, v10
                                        ; implicit-def: $vgpr17
	s_and_saveexec_b64 s[4:5], s[2:3]
	s_cbranch_execz .LBB569_32
; %bb.31:
	ds_read_u8 v17, v14
.LBB569_32:
	s_or_b64 exec, exec, s[4:5]
	s_waitcnt lgkmcnt(0)
	v_and_b32_e32 v13, s10, v17
	v_and_b32_e32 v15, s10, v1
	v_cmp_le_i16_sdwa s[2:3], sext(v15), sext(v13) src0_sel:BYTE_0 src1_sel:BYTE_0
	s_and_b64 s[2:3], vcc, s[2:3]
	s_or_b64 vcc, s[0:1], s[2:3]
	v_mov_b32_e32 v18, s15
	v_cndmask_b32_e32 v13, v14, v11, vcc
	v_cndmask_b32_e32 v15, v10, v18, vcc
	v_add_u32_e32 v19, 1, v13
	v_add_u32_e32 v15, -1, v15
	v_min_u32_e32 v15, v19, v15
	ds_read_u8 v15, v15
	v_cndmask_b32_e32 v14, v19, v14, vcc
	v_cndmask_b32_e32 v11, v11, v19, vcc
	v_cmp_gt_u32_e64 s[2:3], s15, v11
	v_cmp_ge_u32_e64 s[0:1], v14, v10
	s_waitcnt lgkmcnt(0)
	v_cndmask_b32_e32 v21, v15, v17, vcc
	v_cndmask_b32_e32 v22, v1, v15, vcc
	v_and_b32_e32 v15, s10, v21
	v_and_b32_e32 v19, s10, v22
	v_cmp_le_i16_sdwa s[4:5], sext(v19), sext(v15) src0_sel:BYTE_0 src1_sel:BYTE_0
	s_and_b64 s[2:3], s[2:3], s[4:5]
	s_or_b64 s[0:1], s[0:1], s[2:3]
	v_cndmask_b32_e64 v15, v14, v11, s[0:1]
	v_cndmask_b32_e64 v19, v10, v18, s[0:1]
	v_add_u32_e32 v20, 1, v15
	v_add_u32_e32 v19, -1, v19
	v_min_u32_e32 v19, v20, v19
	ds_read_u8 v19, v19
	v_cndmask_b32_e64 v14, v20, v14, s[0:1]
	v_cndmask_b32_e64 v11, v11, v20, s[0:1]
	v_cmp_gt_u32_e64 s[4:5], s15, v11
	v_cmp_ge_u32_e64 s[2:3], v14, v10
	s_waitcnt lgkmcnt(0)
	v_cndmask_b32_e64 v23, v19, v21, s[0:1]
	v_cndmask_b32_e64 v19, v22, v19, s[0:1]
	v_and_b32_e32 v20, s10, v23
	v_and_b32_e32 v24, s10, v19
	v_cmp_le_i16_sdwa s[20:21], sext(v24), sext(v20) src0_sel:BYTE_0 src1_sel:BYTE_0
	s_and_b64 s[4:5], s[4:5], s[20:21]
	s_or_b64 s[2:3], s[2:3], s[4:5]
	v_cndmask_b32_e64 v20, v14, v11, s[2:3]
	v_cndmask_b32_e64 v18, v10, v18, s[2:3]
	v_add_u32_e32 v24, 1, v20
	v_add_u32_e32 v18, -1, v18
	v_min_u32_e32 v18, v24, v18
	ds_read_u8 v25, v18
	v_cndmask_b32_e32 v1, v17, v1, vcc
	v_cndmask_b32_e64 v17, v21, v22, s[0:1]
	v_cndmask_b32_e64 v18, v23, v19, s[2:3]
	;; [unrolled: 1-line block ×3, first 2 shown]
	s_waitcnt lgkmcnt(0)
	v_cndmask_b32_e64 v22, v25, v23, s[2:3]
	v_cndmask_b32_e64 v19, v19, v25, s[2:3]
	;; [unrolled: 1-line block ×3, first 2 shown]
	v_cmp_ge_u32_e32 vcc, v14, v10
	v_and_b32_e32 v10, s10, v22
	v_and_b32_e32 v21, s10, v19
	v_cmp_gt_u32_e64 s[0:1], s15, v11
	v_cmp_le_i16_sdwa s[2:3], sext(v21), sext(v10) src0_sel:BYTE_0 src1_sel:BYTE_0
	s_and_b64 s[0:1], s[0:1], s[2:3]
	s_or_b64 vcc, vcc, s[0:1]
	v_cndmask_b32_e32 v21, v14, v11, vcc
	v_cndmask_b32_e32 v19, v22, v19, vcc
.LBB569_33:
	s_or_b64 exec, exec, s[6:7]
	v_mad_u32_u24 v14, v0, 7, v0
	s_barrier
	s_waitcnt vmcnt(0)
	ds_write2st64_b64 v14, v[2:3], v[4:5] offset1:4
	ds_write2st64_b64 v14, v[6:7], v[8:9] offset0:8 offset1:12
	v_lshlrev_b32_e32 v2, 3, v13
	v_lshlrev_b32_e32 v3, 3, v15
	;; [unrolled: 1-line block ×4, first 2 shown]
	s_waitcnt lgkmcnt(0)
	s_barrier
	ds_read_b64 v[6:7], v2
	ds_read_b64 v[8:9], v3
	;; [unrolled: 1-line block ×4, first 2 shown]
	v_lshlrev_b16_e32 v11, 8, v17
	v_lshrrev_b32_e32 v20, 3, v0
	v_or_b32_sdwa v1, v1, v11 dst_sel:DWORD dst_unused:UNUSED_PAD src0_sel:BYTE_0 src1_sel:DWORD
	v_lshlrev_b16_e32 v11, 8, v19
	s_add_u32 s0, s8, s16
	v_and_b32_e32 v10, 28, v20
	v_or_b32_sdwa v11, v18, v11 dst_sel:WORD_1 dst_unused:UNUSED_PAD src0_sel:BYTE_0 src1_sel:DWORD
	s_addc_u32 s1, s9, 0
	v_add_u32_e32 v10, v10, v12
	v_or_b32_sdwa v1, v1, v11 dst_sel:DWORD dst_unused:UNUSED_PAD src0_sel:WORD_0 src1_sel:DWORD
	v_or_b32_e32 v23, 0x100, v0
	v_or_b32_e32 v22, 0x200, v0
	;; [unrolled: 1-line block ×3, first 2 shown]
	s_waitcnt lgkmcnt(0)
	s_barrier
	s_barrier
	ds_write_b32 v10, v1
	v_lshrrev_b32_e32 v1, 5, v23
	v_lshrrev_b32_e32 v17, 5, v22
	;; [unrolled: 1-line block ×3, first 2 shown]
	v_mov_b32_e32 v11, s1
	v_add_co_u32_e32 v10, vcc, s0, v0
	v_lshrrev_b32_e32 v15, 5, v0
	v_and_b32_e32 v13, 12, v1
	v_and_b32_e32 v18, 20, v17
	;; [unrolled: 1-line block ×3, first 2 shown]
	v_addc_co_u32_e32 v11, vcc, 0, v11, vcc
	s_mov_b32 s17, 0
	v_and_b32_e32 v24, 4, v15
	s_and_b64 vcc, exec, s[18:19]
	v_add_u32_e32 v25, v0, v13
	v_add_u32_e32 v26, v0, v18
	;; [unrolled: 1-line block ×3, first 2 shown]
	v_lshlrev_b32_e32 v19, 3, v12
	v_lshl_add_u32 v1, v1, 3, v14
	v_lshl_add_u32 v17, v17, 3, v14
	;; [unrolled: 1-line block ×3, first 2 shown]
	s_waitcnt lgkmcnt(0)
	s_cbranch_vccz .LBB569_37
; %bb.34:
	v_add_u32_e32 v12, v0, v24
	s_barrier
	ds_read_u8 v12, v12
	ds_read_u8 v13, v25 offset:256
	ds_read_u8 v28, v26 offset:512
	;; [unrolled: 1-line block ×3, first 2 shown]
	s_lshl_b64 s[0:1], s[16:17], 3
	s_add_u32 s0, s12, s0
	s_waitcnt lgkmcnt(3)
	global_store_byte v[10:11], v12, off
	s_waitcnt lgkmcnt(2)
	global_store_byte v[10:11], v13, off offset:256
	s_waitcnt lgkmcnt(1)
	global_store_byte v[10:11], v28, off offset:512
	;; [unrolled: 2-line block ×3, first 2 shown]
	v_lshl_add_u32 v12, v20, 3, v19
	s_barrier
	ds_write2_b64 v12, v[6:7], v[8:9] offset1:1
	ds_write2_b64 v12, v[2:3], v[4:5] offset0:2 offset1:3
	v_lshl_add_u32 v12, v15, 3, v14
	s_addc_u32 s1, s13, s1
	s_waitcnt lgkmcnt(0)
	s_barrier
	ds_read_b64 v[28:29], v12
	ds_read_b64 v[30:31], v1 offset:2048
	ds_read_b64 v[32:33], v17 offset:4096
	;; [unrolled: 1-line block ×3, first 2 shown]
	v_mov_b32_e32 v34, s1
	v_add_co_u32_e32 v35, vcc, s0, v16
	v_addc_co_u32_e32 v34, vcc, 0, v34, vcc
	s_waitcnt lgkmcnt(3)
	global_store_dwordx2 v16, v[28:29], s[0:1]
	s_waitcnt lgkmcnt(2)
	global_store_dwordx2 v16, v[30:31], s[0:1] offset:2048
	v_add_co_u32_e32 v28, vcc, 0x1000, v35
	v_addc_co_u32_e32 v29, vcc, 0, v34, vcc
	s_waitcnt lgkmcnt(1)
	global_store_dwordx2 v[28:29], v[32:33], off
	s_mov_b64 s[6:7], -1
	s_cbranch_execz .LBB569_38
	s_branch .LBB569_51
.LBB569_35:
	s_or_b64 exec, exec, s[0:1]
	v_cmp_gt_u32_e32 vcc, s20, v12
	s_and_saveexec_b64 s[2:3], vcc
	s_cbranch_execz .LBB569_18
.LBB569_36:
	v_mov_b32_e32 v13, 0
	s_waitcnt vmcnt(1)
	v_lshlrev_b64 v[4:5], 3, v[12:13]
	v_mov_b32_e32 v11, s7
	v_add_co_u32_e32 v14, vcc, s6, v4
	v_addc_co_u32_e32 v11, vcc, v11, v5, vcc
	v_cmp_gt_u32_e32 vcc, s15, v12
	v_subrev_u32_e32 v12, s15, v12
	v_lshlrev_b64 v[4:5], 3, v[12:13]
	v_mov_b32_e32 v12, s11
	v_add_co_u32_e64 v4, s[0:1], s10, v4
	v_addc_co_u32_e64 v5, s[0:1], v12, v5, s[0:1]
	v_cndmask_b32_e32 v5, v5, v11, vcc
	v_cndmask_b32_e32 v4, v4, v14, vcc
	global_load_dwordx2 v[4:5], v[4:5], off
	s_or_b64 exec, exec, s[2:3]
	v_cmp_gt_u32_e32 vcc, s20, v10
	s_and_saveexec_b64 s[0:1], vcc
	s_cbranch_execnz .LBB569_19
	s_branch .LBB569_20
.LBB569_37:
	s_mov_b64 s[6:7], 0
                                        ; implicit-def: $vgpr12_vgpr13
.LBB569_38:
	s_barrier
	s_waitcnt lgkmcnt(0)
	ds_read_u8 v25, v25 offset:256
	ds_read_u8 v13, v26 offset:512
	;; [unrolled: 1-line block ×3, first 2 shown]
	s_sub_i32 s6, s14, s16
	v_cmp_gt_u32_e32 vcc, s6, v0
	s_and_saveexec_b64 s[0:1], vcc
	s_cbranch_execz .LBB569_42
; %bb.39:
	v_add_u32_e32 v0, v0, v24
	ds_read_u8 v0, v0
	s_waitcnt lgkmcnt(0)
	global_store_byte v[10:11], v0, off
	s_or_b64 exec, exec, s[0:1]
	v_cmp_gt_u32_e64 s[0:1], s6, v23
	s_and_saveexec_b64 s[2:3], s[0:1]
	s_cbranch_execnz .LBB569_43
.LBB569_40:
	s_or_b64 exec, exec, s[2:3]
	v_cmp_gt_u32_e64 s[2:3], s6, v22
	s_and_saveexec_b64 s[4:5], s[2:3]
	s_cbranch_execz .LBB569_44
.LBB569_41:
	s_waitcnt lgkmcnt(1)
	global_store_byte v[10:11], v13, off offset:512
	s_or_b64 exec, exec, s[4:5]
	v_cmp_gt_u32_e64 s[6:7], s6, v21
	s_and_saveexec_b64 s[4:5], s[6:7]
	s_cbranch_execnz .LBB569_45
	s_branch .LBB569_46
.LBB569_42:
	s_or_b64 exec, exec, s[0:1]
	v_cmp_gt_u32_e64 s[0:1], s6, v23
	s_and_saveexec_b64 s[2:3], s[0:1]
	s_cbranch_execz .LBB569_40
.LBB569_43:
	s_waitcnt lgkmcnt(2)
	global_store_byte v[10:11], v25, off offset:256
	s_or_b64 exec, exec, s[2:3]
	v_cmp_gt_u32_e64 s[2:3], s6, v22
	s_and_saveexec_b64 s[4:5], s[2:3]
	s_cbranch_execnz .LBB569_41
.LBB569_44:
	s_or_b64 exec, exec, s[4:5]
	v_cmp_gt_u32_e64 s[6:7], s6, v21
	s_and_saveexec_b64 s[4:5], s[6:7]
	s_cbranch_execz .LBB569_46
.LBB569_45:
	s_waitcnt lgkmcnt(0)
	global_store_byte v[10:11], v12, off offset:768
.LBB569_46:
	s_or_b64 exec, exec, s[4:5]
	v_lshl_add_u32 v0, v20, 3, v19
	s_waitcnt lgkmcnt(0)
	s_barrier
	ds_write2_b64 v0, v[6:7], v[8:9] offset1:1
	ds_write2_b64 v0, v[2:3], v[4:5] offset0:2 offset1:3
	s_waitcnt lgkmcnt(0)
	s_barrier
	ds_read_b64 v[4:5], v1 offset:2048
	ds_read_b64 v[0:1], v17 offset:4096
	;; [unrolled: 1-line block ×3, first 2 shown]
	s_lshl_b64 s[4:5], s[16:17], 3
	s_add_u32 s4, s12, s4
	s_addc_u32 s5, s13, s5
	v_mov_b32_e32 v3, s5
	v_add_co_u32_e64 v2, s[4:5], s4, v16
	v_addc_co_u32_e64 v3, s[4:5], 0, v3, s[4:5]
	s_and_saveexec_b64 s[4:5], vcc
	s_cbranch_execz .LBB569_54
; %bb.47:
	v_lshl_add_u32 v6, v15, 3, v14
	ds_read_b64 v[6:7], v6
	s_waitcnt lgkmcnt(0)
	global_store_dwordx2 v[2:3], v[6:7], off
	s_or_b64 exec, exec, s[4:5]
	s_and_saveexec_b64 s[4:5], s[0:1]
	s_cbranch_execnz .LBB569_55
.LBB569_48:
	s_or_b64 exec, exec, s[4:5]
	s_and_saveexec_b64 s[0:1], s[2:3]
	s_cbranch_execz .LBB569_50
.LBB569_49:
	v_add_co_u32_e32 v2, vcc, 0x1000, v2
	v_addc_co_u32_e32 v3, vcc, 0, v3, vcc
	s_waitcnt lgkmcnt(1)
	global_store_dwordx2 v[2:3], v[0:1], off
.LBB569_50:
	s_or_b64 exec, exec, s[0:1]
.LBB569_51:
	s_and_saveexec_b64 s[0:1], s[6:7]
	s_cbranch_execz .LBB569_53
; %bb.52:
	s_lshl_b64 s[0:1], s[16:17], 3
	s_add_u32 s0, s12, s0
	s_addc_u32 s1, s13, s1
	s_waitcnt lgkmcnt(1)
	v_mov_b32_e32 v0, s1
	v_add_co_u32_e32 v1, vcc, s0, v16
	v_addc_co_u32_e32 v2, vcc, 0, v0, vcc
	v_add_co_u32_e32 v0, vcc, 0x1000, v1
	v_addc_co_u32_e32 v1, vcc, 0, v2, vcc
	s_waitcnt lgkmcnt(0)
	global_store_dwordx2 v[0:1], v[12:13], off offset:2048
.LBB569_53:
	s_endpgm
.LBB569_54:
	s_or_b64 exec, exec, s[4:5]
	s_and_saveexec_b64 s[4:5], s[0:1]
	s_cbranch_execz .LBB569_48
.LBB569_55:
	s_waitcnt lgkmcnt(2)
	global_store_dwordx2 v[2:3], v[4:5], off offset:2048
	s_or_b64 exec, exec, s[4:5]
	s_and_saveexec_b64 s[0:1], s[2:3]
	s_cbranch_execnz .LBB569_49
	s_branch .LBB569_50
	.section	.rodata,"a",@progbits
	.p2align	6, 0x0
	.amdhsa_kernel _ZN7rocprim17ROCPRIM_400000_NS6detail17trampoline_kernelINS0_14default_configENS1_38merge_sort_block_merge_config_selectorIalEEZZNS1_27merge_sort_block_merge_implIS3_PaN6thrust23THRUST_200600_302600_NS10device_ptrIlEEjNS1_19radix_merge_compareILb0ELb1EaNS0_19identity_decomposerEEEEE10hipError_tT0_T1_T2_jT3_P12ihipStream_tbPNSt15iterator_traitsISG_E10value_typeEPNSM_ISH_E10value_typeEPSI_NS1_7vsmem_tEENKUlT_SG_SH_SI_E_clIS7_S7_SB_PlEESF_SV_SG_SH_SI_EUlSV_E0_NS1_11comp_targetILNS1_3genE4ELNS1_11target_archE910ELNS1_3gpuE8ELNS1_3repE0EEENS1_38merge_mergepath_config_static_selectorELNS0_4arch9wavefront6targetE1EEEvSH_
		.amdhsa_group_segment_fixed_size 8448
		.amdhsa_private_segment_fixed_size 0
		.amdhsa_kernarg_size 320
		.amdhsa_user_sgpr_count 6
		.amdhsa_user_sgpr_private_segment_buffer 1
		.amdhsa_user_sgpr_dispatch_ptr 0
		.amdhsa_user_sgpr_queue_ptr 0
		.amdhsa_user_sgpr_kernarg_segment_ptr 1
		.amdhsa_user_sgpr_dispatch_id 0
		.amdhsa_user_sgpr_flat_scratch_init 0
		.amdhsa_user_sgpr_kernarg_preload_length 0
		.amdhsa_user_sgpr_kernarg_preload_offset 0
		.amdhsa_user_sgpr_private_segment_size 0
		.amdhsa_uses_dynamic_stack 0
		.amdhsa_system_sgpr_private_segment_wavefront_offset 0
		.amdhsa_system_sgpr_workgroup_id_x 1
		.amdhsa_system_sgpr_workgroup_id_y 1
		.amdhsa_system_sgpr_workgroup_id_z 1
		.amdhsa_system_sgpr_workgroup_info 0
		.amdhsa_system_vgpr_workitem_id 0
		.amdhsa_next_free_vgpr 36
		.amdhsa_next_free_sgpr 32
		.amdhsa_accum_offset 36
		.amdhsa_reserve_vcc 1
		.amdhsa_reserve_flat_scratch 0
		.amdhsa_float_round_mode_32 0
		.amdhsa_float_round_mode_16_64 0
		.amdhsa_float_denorm_mode_32 3
		.amdhsa_float_denorm_mode_16_64 3
		.amdhsa_dx10_clamp 1
		.amdhsa_ieee_mode 1
		.amdhsa_fp16_overflow 0
		.amdhsa_tg_split 0
		.amdhsa_exception_fp_ieee_invalid_op 0
		.amdhsa_exception_fp_denorm_src 0
		.amdhsa_exception_fp_ieee_div_zero 0
		.amdhsa_exception_fp_ieee_overflow 0
		.amdhsa_exception_fp_ieee_underflow 0
		.amdhsa_exception_fp_ieee_inexact 0
		.amdhsa_exception_int_div_zero 0
	.end_amdhsa_kernel
	.section	.text._ZN7rocprim17ROCPRIM_400000_NS6detail17trampoline_kernelINS0_14default_configENS1_38merge_sort_block_merge_config_selectorIalEEZZNS1_27merge_sort_block_merge_implIS3_PaN6thrust23THRUST_200600_302600_NS10device_ptrIlEEjNS1_19radix_merge_compareILb0ELb1EaNS0_19identity_decomposerEEEEE10hipError_tT0_T1_T2_jT3_P12ihipStream_tbPNSt15iterator_traitsISG_E10value_typeEPNSM_ISH_E10value_typeEPSI_NS1_7vsmem_tEENKUlT_SG_SH_SI_E_clIS7_S7_SB_PlEESF_SV_SG_SH_SI_EUlSV_E0_NS1_11comp_targetILNS1_3genE4ELNS1_11target_archE910ELNS1_3gpuE8ELNS1_3repE0EEENS1_38merge_mergepath_config_static_selectorELNS0_4arch9wavefront6targetE1EEEvSH_,"axG",@progbits,_ZN7rocprim17ROCPRIM_400000_NS6detail17trampoline_kernelINS0_14default_configENS1_38merge_sort_block_merge_config_selectorIalEEZZNS1_27merge_sort_block_merge_implIS3_PaN6thrust23THRUST_200600_302600_NS10device_ptrIlEEjNS1_19radix_merge_compareILb0ELb1EaNS0_19identity_decomposerEEEEE10hipError_tT0_T1_T2_jT3_P12ihipStream_tbPNSt15iterator_traitsISG_E10value_typeEPNSM_ISH_E10value_typeEPSI_NS1_7vsmem_tEENKUlT_SG_SH_SI_E_clIS7_S7_SB_PlEESF_SV_SG_SH_SI_EUlSV_E0_NS1_11comp_targetILNS1_3genE4ELNS1_11target_archE910ELNS1_3gpuE8ELNS1_3repE0EEENS1_38merge_mergepath_config_static_selectorELNS0_4arch9wavefront6targetE1EEEvSH_,comdat
.Lfunc_end569:
	.size	_ZN7rocprim17ROCPRIM_400000_NS6detail17trampoline_kernelINS0_14default_configENS1_38merge_sort_block_merge_config_selectorIalEEZZNS1_27merge_sort_block_merge_implIS3_PaN6thrust23THRUST_200600_302600_NS10device_ptrIlEEjNS1_19radix_merge_compareILb0ELb1EaNS0_19identity_decomposerEEEEE10hipError_tT0_T1_T2_jT3_P12ihipStream_tbPNSt15iterator_traitsISG_E10value_typeEPNSM_ISH_E10value_typeEPSI_NS1_7vsmem_tEENKUlT_SG_SH_SI_E_clIS7_S7_SB_PlEESF_SV_SG_SH_SI_EUlSV_E0_NS1_11comp_targetILNS1_3genE4ELNS1_11target_archE910ELNS1_3gpuE8ELNS1_3repE0EEENS1_38merge_mergepath_config_static_selectorELNS0_4arch9wavefront6targetE1EEEvSH_, .Lfunc_end569-_ZN7rocprim17ROCPRIM_400000_NS6detail17trampoline_kernelINS0_14default_configENS1_38merge_sort_block_merge_config_selectorIalEEZZNS1_27merge_sort_block_merge_implIS3_PaN6thrust23THRUST_200600_302600_NS10device_ptrIlEEjNS1_19radix_merge_compareILb0ELb1EaNS0_19identity_decomposerEEEEE10hipError_tT0_T1_T2_jT3_P12ihipStream_tbPNSt15iterator_traitsISG_E10value_typeEPNSM_ISH_E10value_typeEPSI_NS1_7vsmem_tEENKUlT_SG_SH_SI_E_clIS7_S7_SB_PlEESF_SV_SG_SH_SI_EUlSV_E0_NS1_11comp_targetILNS1_3genE4ELNS1_11target_archE910ELNS1_3gpuE8ELNS1_3repE0EEENS1_38merge_mergepath_config_static_selectorELNS0_4arch9wavefront6targetE1EEEvSH_
                                        ; -- End function
	.section	.AMDGPU.csdata,"",@progbits
; Kernel info:
; codeLenInByte = 3156
; NumSgprs: 36
; NumVgprs: 36
; NumAgprs: 0
; TotalNumVgprs: 36
; ScratchSize: 0
; MemoryBound: 0
; FloatMode: 240
; IeeeMode: 1
; LDSByteSize: 8448 bytes/workgroup (compile time only)
; SGPRBlocks: 4
; VGPRBlocks: 4
; NumSGPRsForWavesPerEU: 36
; NumVGPRsForWavesPerEU: 36
; AccumOffset: 36
; Occupancy: 7
; WaveLimiterHint : 1
; COMPUTE_PGM_RSRC2:SCRATCH_EN: 0
; COMPUTE_PGM_RSRC2:USER_SGPR: 6
; COMPUTE_PGM_RSRC2:TRAP_HANDLER: 0
; COMPUTE_PGM_RSRC2:TGID_X_EN: 1
; COMPUTE_PGM_RSRC2:TGID_Y_EN: 1
; COMPUTE_PGM_RSRC2:TGID_Z_EN: 1
; COMPUTE_PGM_RSRC2:TIDIG_COMP_CNT: 0
; COMPUTE_PGM_RSRC3_GFX90A:ACCUM_OFFSET: 8
; COMPUTE_PGM_RSRC3_GFX90A:TG_SPLIT: 0
	.section	.text._ZN7rocprim17ROCPRIM_400000_NS6detail17trampoline_kernelINS0_14default_configENS1_38merge_sort_block_merge_config_selectorIalEEZZNS1_27merge_sort_block_merge_implIS3_PaN6thrust23THRUST_200600_302600_NS10device_ptrIlEEjNS1_19radix_merge_compareILb0ELb1EaNS0_19identity_decomposerEEEEE10hipError_tT0_T1_T2_jT3_P12ihipStream_tbPNSt15iterator_traitsISG_E10value_typeEPNSM_ISH_E10value_typeEPSI_NS1_7vsmem_tEENKUlT_SG_SH_SI_E_clIS7_S7_SB_PlEESF_SV_SG_SH_SI_EUlSV_E0_NS1_11comp_targetILNS1_3genE3ELNS1_11target_archE908ELNS1_3gpuE7ELNS1_3repE0EEENS1_38merge_mergepath_config_static_selectorELNS0_4arch9wavefront6targetE1EEEvSH_,"axG",@progbits,_ZN7rocprim17ROCPRIM_400000_NS6detail17trampoline_kernelINS0_14default_configENS1_38merge_sort_block_merge_config_selectorIalEEZZNS1_27merge_sort_block_merge_implIS3_PaN6thrust23THRUST_200600_302600_NS10device_ptrIlEEjNS1_19radix_merge_compareILb0ELb1EaNS0_19identity_decomposerEEEEE10hipError_tT0_T1_T2_jT3_P12ihipStream_tbPNSt15iterator_traitsISG_E10value_typeEPNSM_ISH_E10value_typeEPSI_NS1_7vsmem_tEENKUlT_SG_SH_SI_E_clIS7_S7_SB_PlEESF_SV_SG_SH_SI_EUlSV_E0_NS1_11comp_targetILNS1_3genE3ELNS1_11target_archE908ELNS1_3gpuE7ELNS1_3repE0EEENS1_38merge_mergepath_config_static_selectorELNS0_4arch9wavefront6targetE1EEEvSH_,comdat
	.protected	_ZN7rocprim17ROCPRIM_400000_NS6detail17trampoline_kernelINS0_14default_configENS1_38merge_sort_block_merge_config_selectorIalEEZZNS1_27merge_sort_block_merge_implIS3_PaN6thrust23THRUST_200600_302600_NS10device_ptrIlEEjNS1_19radix_merge_compareILb0ELb1EaNS0_19identity_decomposerEEEEE10hipError_tT0_T1_T2_jT3_P12ihipStream_tbPNSt15iterator_traitsISG_E10value_typeEPNSM_ISH_E10value_typeEPSI_NS1_7vsmem_tEENKUlT_SG_SH_SI_E_clIS7_S7_SB_PlEESF_SV_SG_SH_SI_EUlSV_E0_NS1_11comp_targetILNS1_3genE3ELNS1_11target_archE908ELNS1_3gpuE7ELNS1_3repE0EEENS1_38merge_mergepath_config_static_selectorELNS0_4arch9wavefront6targetE1EEEvSH_ ; -- Begin function _ZN7rocprim17ROCPRIM_400000_NS6detail17trampoline_kernelINS0_14default_configENS1_38merge_sort_block_merge_config_selectorIalEEZZNS1_27merge_sort_block_merge_implIS3_PaN6thrust23THRUST_200600_302600_NS10device_ptrIlEEjNS1_19radix_merge_compareILb0ELb1EaNS0_19identity_decomposerEEEEE10hipError_tT0_T1_T2_jT3_P12ihipStream_tbPNSt15iterator_traitsISG_E10value_typeEPNSM_ISH_E10value_typeEPSI_NS1_7vsmem_tEENKUlT_SG_SH_SI_E_clIS7_S7_SB_PlEESF_SV_SG_SH_SI_EUlSV_E0_NS1_11comp_targetILNS1_3genE3ELNS1_11target_archE908ELNS1_3gpuE7ELNS1_3repE0EEENS1_38merge_mergepath_config_static_selectorELNS0_4arch9wavefront6targetE1EEEvSH_
	.globl	_ZN7rocprim17ROCPRIM_400000_NS6detail17trampoline_kernelINS0_14default_configENS1_38merge_sort_block_merge_config_selectorIalEEZZNS1_27merge_sort_block_merge_implIS3_PaN6thrust23THRUST_200600_302600_NS10device_ptrIlEEjNS1_19radix_merge_compareILb0ELb1EaNS0_19identity_decomposerEEEEE10hipError_tT0_T1_T2_jT3_P12ihipStream_tbPNSt15iterator_traitsISG_E10value_typeEPNSM_ISH_E10value_typeEPSI_NS1_7vsmem_tEENKUlT_SG_SH_SI_E_clIS7_S7_SB_PlEESF_SV_SG_SH_SI_EUlSV_E0_NS1_11comp_targetILNS1_3genE3ELNS1_11target_archE908ELNS1_3gpuE7ELNS1_3repE0EEENS1_38merge_mergepath_config_static_selectorELNS0_4arch9wavefront6targetE1EEEvSH_
	.p2align	8
	.type	_ZN7rocprim17ROCPRIM_400000_NS6detail17trampoline_kernelINS0_14default_configENS1_38merge_sort_block_merge_config_selectorIalEEZZNS1_27merge_sort_block_merge_implIS3_PaN6thrust23THRUST_200600_302600_NS10device_ptrIlEEjNS1_19radix_merge_compareILb0ELb1EaNS0_19identity_decomposerEEEEE10hipError_tT0_T1_T2_jT3_P12ihipStream_tbPNSt15iterator_traitsISG_E10value_typeEPNSM_ISH_E10value_typeEPSI_NS1_7vsmem_tEENKUlT_SG_SH_SI_E_clIS7_S7_SB_PlEESF_SV_SG_SH_SI_EUlSV_E0_NS1_11comp_targetILNS1_3genE3ELNS1_11target_archE908ELNS1_3gpuE7ELNS1_3repE0EEENS1_38merge_mergepath_config_static_selectorELNS0_4arch9wavefront6targetE1EEEvSH_,@function
_ZN7rocprim17ROCPRIM_400000_NS6detail17trampoline_kernelINS0_14default_configENS1_38merge_sort_block_merge_config_selectorIalEEZZNS1_27merge_sort_block_merge_implIS3_PaN6thrust23THRUST_200600_302600_NS10device_ptrIlEEjNS1_19radix_merge_compareILb0ELb1EaNS0_19identity_decomposerEEEEE10hipError_tT0_T1_T2_jT3_P12ihipStream_tbPNSt15iterator_traitsISG_E10value_typeEPNSM_ISH_E10value_typeEPSI_NS1_7vsmem_tEENKUlT_SG_SH_SI_E_clIS7_S7_SB_PlEESF_SV_SG_SH_SI_EUlSV_E0_NS1_11comp_targetILNS1_3genE3ELNS1_11target_archE908ELNS1_3gpuE7ELNS1_3repE0EEENS1_38merge_mergepath_config_static_selectorELNS0_4arch9wavefront6targetE1EEEvSH_: ; @_ZN7rocprim17ROCPRIM_400000_NS6detail17trampoline_kernelINS0_14default_configENS1_38merge_sort_block_merge_config_selectorIalEEZZNS1_27merge_sort_block_merge_implIS3_PaN6thrust23THRUST_200600_302600_NS10device_ptrIlEEjNS1_19radix_merge_compareILb0ELb1EaNS0_19identity_decomposerEEEEE10hipError_tT0_T1_T2_jT3_P12ihipStream_tbPNSt15iterator_traitsISG_E10value_typeEPNSM_ISH_E10value_typeEPSI_NS1_7vsmem_tEENKUlT_SG_SH_SI_E_clIS7_S7_SB_PlEESF_SV_SG_SH_SI_EUlSV_E0_NS1_11comp_targetILNS1_3genE3ELNS1_11target_archE908ELNS1_3gpuE7ELNS1_3repE0EEENS1_38merge_mergepath_config_static_selectorELNS0_4arch9wavefront6targetE1EEEvSH_
; %bb.0:
	.section	.rodata,"a",@progbits
	.p2align	6, 0x0
	.amdhsa_kernel _ZN7rocprim17ROCPRIM_400000_NS6detail17trampoline_kernelINS0_14default_configENS1_38merge_sort_block_merge_config_selectorIalEEZZNS1_27merge_sort_block_merge_implIS3_PaN6thrust23THRUST_200600_302600_NS10device_ptrIlEEjNS1_19radix_merge_compareILb0ELb1EaNS0_19identity_decomposerEEEEE10hipError_tT0_T1_T2_jT3_P12ihipStream_tbPNSt15iterator_traitsISG_E10value_typeEPNSM_ISH_E10value_typeEPSI_NS1_7vsmem_tEENKUlT_SG_SH_SI_E_clIS7_S7_SB_PlEESF_SV_SG_SH_SI_EUlSV_E0_NS1_11comp_targetILNS1_3genE3ELNS1_11target_archE908ELNS1_3gpuE7ELNS1_3repE0EEENS1_38merge_mergepath_config_static_selectorELNS0_4arch9wavefront6targetE1EEEvSH_
		.amdhsa_group_segment_fixed_size 0
		.amdhsa_private_segment_fixed_size 0
		.amdhsa_kernarg_size 64
		.amdhsa_user_sgpr_count 6
		.amdhsa_user_sgpr_private_segment_buffer 1
		.amdhsa_user_sgpr_dispatch_ptr 0
		.amdhsa_user_sgpr_queue_ptr 0
		.amdhsa_user_sgpr_kernarg_segment_ptr 1
		.amdhsa_user_sgpr_dispatch_id 0
		.amdhsa_user_sgpr_flat_scratch_init 0
		.amdhsa_user_sgpr_kernarg_preload_length 0
		.amdhsa_user_sgpr_kernarg_preload_offset 0
		.amdhsa_user_sgpr_private_segment_size 0
		.amdhsa_uses_dynamic_stack 0
		.amdhsa_system_sgpr_private_segment_wavefront_offset 0
		.amdhsa_system_sgpr_workgroup_id_x 1
		.amdhsa_system_sgpr_workgroup_id_y 0
		.amdhsa_system_sgpr_workgroup_id_z 0
		.amdhsa_system_sgpr_workgroup_info 0
		.amdhsa_system_vgpr_workitem_id 0
		.amdhsa_next_free_vgpr 1
		.amdhsa_next_free_sgpr 0
		.amdhsa_accum_offset 4
		.amdhsa_reserve_vcc 0
		.amdhsa_reserve_flat_scratch 0
		.amdhsa_float_round_mode_32 0
		.amdhsa_float_round_mode_16_64 0
		.amdhsa_float_denorm_mode_32 3
		.amdhsa_float_denorm_mode_16_64 3
		.amdhsa_dx10_clamp 1
		.amdhsa_ieee_mode 1
		.amdhsa_fp16_overflow 0
		.amdhsa_tg_split 0
		.amdhsa_exception_fp_ieee_invalid_op 0
		.amdhsa_exception_fp_denorm_src 0
		.amdhsa_exception_fp_ieee_div_zero 0
		.amdhsa_exception_fp_ieee_overflow 0
		.amdhsa_exception_fp_ieee_underflow 0
		.amdhsa_exception_fp_ieee_inexact 0
		.amdhsa_exception_int_div_zero 0
	.end_amdhsa_kernel
	.section	.text._ZN7rocprim17ROCPRIM_400000_NS6detail17trampoline_kernelINS0_14default_configENS1_38merge_sort_block_merge_config_selectorIalEEZZNS1_27merge_sort_block_merge_implIS3_PaN6thrust23THRUST_200600_302600_NS10device_ptrIlEEjNS1_19radix_merge_compareILb0ELb1EaNS0_19identity_decomposerEEEEE10hipError_tT0_T1_T2_jT3_P12ihipStream_tbPNSt15iterator_traitsISG_E10value_typeEPNSM_ISH_E10value_typeEPSI_NS1_7vsmem_tEENKUlT_SG_SH_SI_E_clIS7_S7_SB_PlEESF_SV_SG_SH_SI_EUlSV_E0_NS1_11comp_targetILNS1_3genE3ELNS1_11target_archE908ELNS1_3gpuE7ELNS1_3repE0EEENS1_38merge_mergepath_config_static_selectorELNS0_4arch9wavefront6targetE1EEEvSH_,"axG",@progbits,_ZN7rocprim17ROCPRIM_400000_NS6detail17trampoline_kernelINS0_14default_configENS1_38merge_sort_block_merge_config_selectorIalEEZZNS1_27merge_sort_block_merge_implIS3_PaN6thrust23THRUST_200600_302600_NS10device_ptrIlEEjNS1_19radix_merge_compareILb0ELb1EaNS0_19identity_decomposerEEEEE10hipError_tT0_T1_T2_jT3_P12ihipStream_tbPNSt15iterator_traitsISG_E10value_typeEPNSM_ISH_E10value_typeEPSI_NS1_7vsmem_tEENKUlT_SG_SH_SI_E_clIS7_S7_SB_PlEESF_SV_SG_SH_SI_EUlSV_E0_NS1_11comp_targetILNS1_3genE3ELNS1_11target_archE908ELNS1_3gpuE7ELNS1_3repE0EEENS1_38merge_mergepath_config_static_selectorELNS0_4arch9wavefront6targetE1EEEvSH_,comdat
.Lfunc_end570:
	.size	_ZN7rocprim17ROCPRIM_400000_NS6detail17trampoline_kernelINS0_14default_configENS1_38merge_sort_block_merge_config_selectorIalEEZZNS1_27merge_sort_block_merge_implIS3_PaN6thrust23THRUST_200600_302600_NS10device_ptrIlEEjNS1_19radix_merge_compareILb0ELb1EaNS0_19identity_decomposerEEEEE10hipError_tT0_T1_T2_jT3_P12ihipStream_tbPNSt15iterator_traitsISG_E10value_typeEPNSM_ISH_E10value_typeEPSI_NS1_7vsmem_tEENKUlT_SG_SH_SI_E_clIS7_S7_SB_PlEESF_SV_SG_SH_SI_EUlSV_E0_NS1_11comp_targetILNS1_3genE3ELNS1_11target_archE908ELNS1_3gpuE7ELNS1_3repE0EEENS1_38merge_mergepath_config_static_selectorELNS0_4arch9wavefront6targetE1EEEvSH_, .Lfunc_end570-_ZN7rocprim17ROCPRIM_400000_NS6detail17trampoline_kernelINS0_14default_configENS1_38merge_sort_block_merge_config_selectorIalEEZZNS1_27merge_sort_block_merge_implIS3_PaN6thrust23THRUST_200600_302600_NS10device_ptrIlEEjNS1_19radix_merge_compareILb0ELb1EaNS0_19identity_decomposerEEEEE10hipError_tT0_T1_T2_jT3_P12ihipStream_tbPNSt15iterator_traitsISG_E10value_typeEPNSM_ISH_E10value_typeEPSI_NS1_7vsmem_tEENKUlT_SG_SH_SI_E_clIS7_S7_SB_PlEESF_SV_SG_SH_SI_EUlSV_E0_NS1_11comp_targetILNS1_3genE3ELNS1_11target_archE908ELNS1_3gpuE7ELNS1_3repE0EEENS1_38merge_mergepath_config_static_selectorELNS0_4arch9wavefront6targetE1EEEvSH_
                                        ; -- End function
	.section	.AMDGPU.csdata,"",@progbits
; Kernel info:
; codeLenInByte = 0
; NumSgprs: 4
; NumVgprs: 0
; NumAgprs: 0
; TotalNumVgprs: 0
; ScratchSize: 0
; MemoryBound: 0
; FloatMode: 240
; IeeeMode: 1
; LDSByteSize: 0 bytes/workgroup (compile time only)
; SGPRBlocks: 0
; VGPRBlocks: 0
; NumSGPRsForWavesPerEU: 4
; NumVGPRsForWavesPerEU: 1
; AccumOffset: 4
; Occupancy: 8
; WaveLimiterHint : 0
; COMPUTE_PGM_RSRC2:SCRATCH_EN: 0
; COMPUTE_PGM_RSRC2:USER_SGPR: 6
; COMPUTE_PGM_RSRC2:TRAP_HANDLER: 0
; COMPUTE_PGM_RSRC2:TGID_X_EN: 1
; COMPUTE_PGM_RSRC2:TGID_Y_EN: 0
; COMPUTE_PGM_RSRC2:TGID_Z_EN: 0
; COMPUTE_PGM_RSRC2:TIDIG_COMP_CNT: 0
; COMPUTE_PGM_RSRC3_GFX90A:ACCUM_OFFSET: 0
; COMPUTE_PGM_RSRC3_GFX90A:TG_SPLIT: 0
	.section	.text._ZN7rocprim17ROCPRIM_400000_NS6detail17trampoline_kernelINS0_14default_configENS1_38merge_sort_block_merge_config_selectorIalEEZZNS1_27merge_sort_block_merge_implIS3_PaN6thrust23THRUST_200600_302600_NS10device_ptrIlEEjNS1_19radix_merge_compareILb0ELb1EaNS0_19identity_decomposerEEEEE10hipError_tT0_T1_T2_jT3_P12ihipStream_tbPNSt15iterator_traitsISG_E10value_typeEPNSM_ISH_E10value_typeEPSI_NS1_7vsmem_tEENKUlT_SG_SH_SI_E_clIS7_S7_SB_PlEESF_SV_SG_SH_SI_EUlSV_E0_NS1_11comp_targetILNS1_3genE2ELNS1_11target_archE906ELNS1_3gpuE6ELNS1_3repE0EEENS1_38merge_mergepath_config_static_selectorELNS0_4arch9wavefront6targetE1EEEvSH_,"axG",@progbits,_ZN7rocprim17ROCPRIM_400000_NS6detail17trampoline_kernelINS0_14default_configENS1_38merge_sort_block_merge_config_selectorIalEEZZNS1_27merge_sort_block_merge_implIS3_PaN6thrust23THRUST_200600_302600_NS10device_ptrIlEEjNS1_19radix_merge_compareILb0ELb1EaNS0_19identity_decomposerEEEEE10hipError_tT0_T1_T2_jT3_P12ihipStream_tbPNSt15iterator_traitsISG_E10value_typeEPNSM_ISH_E10value_typeEPSI_NS1_7vsmem_tEENKUlT_SG_SH_SI_E_clIS7_S7_SB_PlEESF_SV_SG_SH_SI_EUlSV_E0_NS1_11comp_targetILNS1_3genE2ELNS1_11target_archE906ELNS1_3gpuE6ELNS1_3repE0EEENS1_38merge_mergepath_config_static_selectorELNS0_4arch9wavefront6targetE1EEEvSH_,comdat
	.protected	_ZN7rocprim17ROCPRIM_400000_NS6detail17trampoline_kernelINS0_14default_configENS1_38merge_sort_block_merge_config_selectorIalEEZZNS1_27merge_sort_block_merge_implIS3_PaN6thrust23THRUST_200600_302600_NS10device_ptrIlEEjNS1_19radix_merge_compareILb0ELb1EaNS0_19identity_decomposerEEEEE10hipError_tT0_T1_T2_jT3_P12ihipStream_tbPNSt15iterator_traitsISG_E10value_typeEPNSM_ISH_E10value_typeEPSI_NS1_7vsmem_tEENKUlT_SG_SH_SI_E_clIS7_S7_SB_PlEESF_SV_SG_SH_SI_EUlSV_E0_NS1_11comp_targetILNS1_3genE2ELNS1_11target_archE906ELNS1_3gpuE6ELNS1_3repE0EEENS1_38merge_mergepath_config_static_selectorELNS0_4arch9wavefront6targetE1EEEvSH_ ; -- Begin function _ZN7rocprim17ROCPRIM_400000_NS6detail17trampoline_kernelINS0_14default_configENS1_38merge_sort_block_merge_config_selectorIalEEZZNS1_27merge_sort_block_merge_implIS3_PaN6thrust23THRUST_200600_302600_NS10device_ptrIlEEjNS1_19radix_merge_compareILb0ELb1EaNS0_19identity_decomposerEEEEE10hipError_tT0_T1_T2_jT3_P12ihipStream_tbPNSt15iterator_traitsISG_E10value_typeEPNSM_ISH_E10value_typeEPSI_NS1_7vsmem_tEENKUlT_SG_SH_SI_E_clIS7_S7_SB_PlEESF_SV_SG_SH_SI_EUlSV_E0_NS1_11comp_targetILNS1_3genE2ELNS1_11target_archE906ELNS1_3gpuE6ELNS1_3repE0EEENS1_38merge_mergepath_config_static_selectorELNS0_4arch9wavefront6targetE1EEEvSH_
	.globl	_ZN7rocprim17ROCPRIM_400000_NS6detail17trampoline_kernelINS0_14default_configENS1_38merge_sort_block_merge_config_selectorIalEEZZNS1_27merge_sort_block_merge_implIS3_PaN6thrust23THRUST_200600_302600_NS10device_ptrIlEEjNS1_19radix_merge_compareILb0ELb1EaNS0_19identity_decomposerEEEEE10hipError_tT0_T1_T2_jT3_P12ihipStream_tbPNSt15iterator_traitsISG_E10value_typeEPNSM_ISH_E10value_typeEPSI_NS1_7vsmem_tEENKUlT_SG_SH_SI_E_clIS7_S7_SB_PlEESF_SV_SG_SH_SI_EUlSV_E0_NS1_11comp_targetILNS1_3genE2ELNS1_11target_archE906ELNS1_3gpuE6ELNS1_3repE0EEENS1_38merge_mergepath_config_static_selectorELNS0_4arch9wavefront6targetE1EEEvSH_
	.p2align	8
	.type	_ZN7rocprim17ROCPRIM_400000_NS6detail17trampoline_kernelINS0_14default_configENS1_38merge_sort_block_merge_config_selectorIalEEZZNS1_27merge_sort_block_merge_implIS3_PaN6thrust23THRUST_200600_302600_NS10device_ptrIlEEjNS1_19radix_merge_compareILb0ELb1EaNS0_19identity_decomposerEEEEE10hipError_tT0_T1_T2_jT3_P12ihipStream_tbPNSt15iterator_traitsISG_E10value_typeEPNSM_ISH_E10value_typeEPSI_NS1_7vsmem_tEENKUlT_SG_SH_SI_E_clIS7_S7_SB_PlEESF_SV_SG_SH_SI_EUlSV_E0_NS1_11comp_targetILNS1_3genE2ELNS1_11target_archE906ELNS1_3gpuE6ELNS1_3repE0EEENS1_38merge_mergepath_config_static_selectorELNS0_4arch9wavefront6targetE1EEEvSH_,@function
_ZN7rocprim17ROCPRIM_400000_NS6detail17trampoline_kernelINS0_14default_configENS1_38merge_sort_block_merge_config_selectorIalEEZZNS1_27merge_sort_block_merge_implIS3_PaN6thrust23THRUST_200600_302600_NS10device_ptrIlEEjNS1_19radix_merge_compareILb0ELb1EaNS0_19identity_decomposerEEEEE10hipError_tT0_T1_T2_jT3_P12ihipStream_tbPNSt15iterator_traitsISG_E10value_typeEPNSM_ISH_E10value_typeEPSI_NS1_7vsmem_tEENKUlT_SG_SH_SI_E_clIS7_S7_SB_PlEESF_SV_SG_SH_SI_EUlSV_E0_NS1_11comp_targetILNS1_3genE2ELNS1_11target_archE906ELNS1_3gpuE6ELNS1_3repE0EEENS1_38merge_mergepath_config_static_selectorELNS0_4arch9wavefront6targetE1EEEvSH_: ; @_ZN7rocprim17ROCPRIM_400000_NS6detail17trampoline_kernelINS0_14default_configENS1_38merge_sort_block_merge_config_selectorIalEEZZNS1_27merge_sort_block_merge_implIS3_PaN6thrust23THRUST_200600_302600_NS10device_ptrIlEEjNS1_19radix_merge_compareILb0ELb1EaNS0_19identity_decomposerEEEEE10hipError_tT0_T1_T2_jT3_P12ihipStream_tbPNSt15iterator_traitsISG_E10value_typeEPNSM_ISH_E10value_typeEPSI_NS1_7vsmem_tEENKUlT_SG_SH_SI_E_clIS7_S7_SB_PlEESF_SV_SG_SH_SI_EUlSV_E0_NS1_11comp_targetILNS1_3genE2ELNS1_11target_archE906ELNS1_3gpuE6ELNS1_3repE0EEENS1_38merge_mergepath_config_static_selectorELNS0_4arch9wavefront6targetE1EEEvSH_
; %bb.0:
	.section	.rodata,"a",@progbits
	.p2align	6, 0x0
	.amdhsa_kernel _ZN7rocprim17ROCPRIM_400000_NS6detail17trampoline_kernelINS0_14default_configENS1_38merge_sort_block_merge_config_selectorIalEEZZNS1_27merge_sort_block_merge_implIS3_PaN6thrust23THRUST_200600_302600_NS10device_ptrIlEEjNS1_19radix_merge_compareILb0ELb1EaNS0_19identity_decomposerEEEEE10hipError_tT0_T1_T2_jT3_P12ihipStream_tbPNSt15iterator_traitsISG_E10value_typeEPNSM_ISH_E10value_typeEPSI_NS1_7vsmem_tEENKUlT_SG_SH_SI_E_clIS7_S7_SB_PlEESF_SV_SG_SH_SI_EUlSV_E0_NS1_11comp_targetILNS1_3genE2ELNS1_11target_archE906ELNS1_3gpuE6ELNS1_3repE0EEENS1_38merge_mergepath_config_static_selectorELNS0_4arch9wavefront6targetE1EEEvSH_
		.amdhsa_group_segment_fixed_size 0
		.amdhsa_private_segment_fixed_size 0
		.amdhsa_kernarg_size 64
		.amdhsa_user_sgpr_count 6
		.amdhsa_user_sgpr_private_segment_buffer 1
		.amdhsa_user_sgpr_dispatch_ptr 0
		.amdhsa_user_sgpr_queue_ptr 0
		.amdhsa_user_sgpr_kernarg_segment_ptr 1
		.amdhsa_user_sgpr_dispatch_id 0
		.amdhsa_user_sgpr_flat_scratch_init 0
		.amdhsa_user_sgpr_kernarg_preload_length 0
		.amdhsa_user_sgpr_kernarg_preload_offset 0
		.amdhsa_user_sgpr_private_segment_size 0
		.amdhsa_uses_dynamic_stack 0
		.amdhsa_system_sgpr_private_segment_wavefront_offset 0
		.amdhsa_system_sgpr_workgroup_id_x 1
		.amdhsa_system_sgpr_workgroup_id_y 0
		.amdhsa_system_sgpr_workgroup_id_z 0
		.amdhsa_system_sgpr_workgroup_info 0
		.amdhsa_system_vgpr_workitem_id 0
		.amdhsa_next_free_vgpr 1
		.amdhsa_next_free_sgpr 0
		.amdhsa_accum_offset 4
		.amdhsa_reserve_vcc 0
		.amdhsa_reserve_flat_scratch 0
		.amdhsa_float_round_mode_32 0
		.amdhsa_float_round_mode_16_64 0
		.amdhsa_float_denorm_mode_32 3
		.amdhsa_float_denorm_mode_16_64 3
		.amdhsa_dx10_clamp 1
		.amdhsa_ieee_mode 1
		.amdhsa_fp16_overflow 0
		.amdhsa_tg_split 0
		.amdhsa_exception_fp_ieee_invalid_op 0
		.amdhsa_exception_fp_denorm_src 0
		.amdhsa_exception_fp_ieee_div_zero 0
		.amdhsa_exception_fp_ieee_overflow 0
		.amdhsa_exception_fp_ieee_underflow 0
		.amdhsa_exception_fp_ieee_inexact 0
		.amdhsa_exception_int_div_zero 0
	.end_amdhsa_kernel
	.section	.text._ZN7rocprim17ROCPRIM_400000_NS6detail17trampoline_kernelINS0_14default_configENS1_38merge_sort_block_merge_config_selectorIalEEZZNS1_27merge_sort_block_merge_implIS3_PaN6thrust23THRUST_200600_302600_NS10device_ptrIlEEjNS1_19radix_merge_compareILb0ELb1EaNS0_19identity_decomposerEEEEE10hipError_tT0_T1_T2_jT3_P12ihipStream_tbPNSt15iterator_traitsISG_E10value_typeEPNSM_ISH_E10value_typeEPSI_NS1_7vsmem_tEENKUlT_SG_SH_SI_E_clIS7_S7_SB_PlEESF_SV_SG_SH_SI_EUlSV_E0_NS1_11comp_targetILNS1_3genE2ELNS1_11target_archE906ELNS1_3gpuE6ELNS1_3repE0EEENS1_38merge_mergepath_config_static_selectorELNS0_4arch9wavefront6targetE1EEEvSH_,"axG",@progbits,_ZN7rocprim17ROCPRIM_400000_NS6detail17trampoline_kernelINS0_14default_configENS1_38merge_sort_block_merge_config_selectorIalEEZZNS1_27merge_sort_block_merge_implIS3_PaN6thrust23THRUST_200600_302600_NS10device_ptrIlEEjNS1_19radix_merge_compareILb0ELb1EaNS0_19identity_decomposerEEEEE10hipError_tT0_T1_T2_jT3_P12ihipStream_tbPNSt15iterator_traitsISG_E10value_typeEPNSM_ISH_E10value_typeEPSI_NS1_7vsmem_tEENKUlT_SG_SH_SI_E_clIS7_S7_SB_PlEESF_SV_SG_SH_SI_EUlSV_E0_NS1_11comp_targetILNS1_3genE2ELNS1_11target_archE906ELNS1_3gpuE6ELNS1_3repE0EEENS1_38merge_mergepath_config_static_selectorELNS0_4arch9wavefront6targetE1EEEvSH_,comdat
.Lfunc_end571:
	.size	_ZN7rocprim17ROCPRIM_400000_NS6detail17trampoline_kernelINS0_14default_configENS1_38merge_sort_block_merge_config_selectorIalEEZZNS1_27merge_sort_block_merge_implIS3_PaN6thrust23THRUST_200600_302600_NS10device_ptrIlEEjNS1_19radix_merge_compareILb0ELb1EaNS0_19identity_decomposerEEEEE10hipError_tT0_T1_T2_jT3_P12ihipStream_tbPNSt15iterator_traitsISG_E10value_typeEPNSM_ISH_E10value_typeEPSI_NS1_7vsmem_tEENKUlT_SG_SH_SI_E_clIS7_S7_SB_PlEESF_SV_SG_SH_SI_EUlSV_E0_NS1_11comp_targetILNS1_3genE2ELNS1_11target_archE906ELNS1_3gpuE6ELNS1_3repE0EEENS1_38merge_mergepath_config_static_selectorELNS0_4arch9wavefront6targetE1EEEvSH_, .Lfunc_end571-_ZN7rocprim17ROCPRIM_400000_NS6detail17trampoline_kernelINS0_14default_configENS1_38merge_sort_block_merge_config_selectorIalEEZZNS1_27merge_sort_block_merge_implIS3_PaN6thrust23THRUST_200600_302600_NS10device_ptrIlEEjNS1_19radix_merge_compareILb0ELb1EaNS0_19identity_decomposerEEEEE10hipError_tT0_T1_T2_jT3_P12ihipStream_tbPNSt15iterator_traitsISG_E10value_typeEPNSM_ISH_E10value_typeEPSI_NS1_7vsmem_tEENKUlT_SG_SH_SI_E_clIS7_S7_SB_PlEESF_SV_SG_SH_SI_EUlSV_E0_NS1_11comp_targetILNS1_3genE2ELNS1_11target_archE906ELNS1_3gpuE6ELNS1_3repE0EEENS1_38merge_mergepath_config_static_selectorELNS0_4arch9wavefront6targetE1EEEvSH_
                                        ; -- End function
	.section	.AMDGPU.csdata,"",@progbits
; Kernel info:
; codeLenInByte = 0
; NumSgprs: 4
; NumVgprs: 0
; NumAgprs: 0
; TotalNumVgprs: 0
; ScratchSize: 0
; MemoryBound: 0
; FloatMode: 240
; IeeeMode: 1
; LDSByteSize: 0 bytes/workgroup (compile time only)
; SGPRBlocks: 0
; VGPRBlocks: 0
; NumSGPRsForWavesPerEU: 4
; NumVGPRsForWavesPerEU: 1
; AccumOffset: 4
; Occupancy: 8
; WaveLimiterHint : 0
; COMPUTE_PGM_RSRC2:SCRATCH_EN: 0
; COMPUTE_PGM_RSRC2:USER_SGPR: 6
; COMPUTE_PGM_RSRC2:TRAP_HANDLER: 0
; COMPUTE_PGM_RSRC2:TGID_X_EN: 1
; COMPUTE_PGM_RSRC2:TGID_Y_EN: 0
; COMPUTE_PGM_RSRC2:TGID_Z_EN: 0
; COMPUTE_PGM_RSRC2:TIDIG_COMP_CNT: 0
; COMPUTE_PGM_RSRC3_GFX90A:ACCUM_OFFSET: 0
; COMPUTE_PGM_RSRC3_GFX90A:TG_SPLIT: 0
	.section	.text._ZN7rocprim17ROCPRIM_400000_NS6detail17trampoline_kernelINS0_14default_configENS1_38merge_sort_block_merge_config_selectorIalEEZZNS1_27merge_sort_block_merge_implIS3_PaN6thrust23THRUST_200600_302600_NS10device_ptrIlEEjNS1_19radix_merge_compareILb0ELb1EaNS0_19identity_decomposerEEEEE10hipError_tT0_T1_T2_jT3_P12ihipStream_tbPNSt15iterator_traitsISG_E10value_typeEPNSM_ISH_E10value_typeEPSI_NS1_7vsmem_tEENKUlT_SG_SH_SI_E_clIS7_S7_SB_PlEESF_SV_SG_SH_SI_EUlSV_E0_NS1_11comp_targetILNS1_3genE9ELNS1_11target_archE1100ELNS1_3gpuE3ELNS1_3repE0EEENS1_38merge_mergepath_config_static_selectorELNS0_4arch9wavefront6targetE1EEEvSH_,"axG",@progbits,_ZN7rocprim17ROCPRIM_400000_NS6detail17trampoline_kernelINS0_14default_configENS1_38merge_sort_block_merge_config_selectorIalEEZZNS1_27merge_sort_block_merge_implIS3_PaN6thrust23THRUST_200600_302600_NS10device_ptrIlEEjNS1_19radix_merge_compareILb0ELb1EaNS0_19identity_decomposerEEEEE10hipError_tT0_T1_T2_jT3_P12ihipStream_tbPNSt15iterator_traitsISG_E10value_typeEPNSM_ISH_E10value_typeEPSI_NS1_7vsmem_tEENKUlT_SG_SH_SI_E_clIS7_S7_SB_PlEESF_SV_SG_SH_SI_EUlSV_E0_NS1_11comp_targetILNS1_3genE9ELNS1_11target_archE1100ELNS1_3gpuE3ELNS1_3repE0EEENS1_38merge_mergepath_config_static_selectorELNS0_4arch9wavefront6targetE1EEEvSH_,comdat
	.protected	_ZN7rocprim17ROCPRIM_400000_NS6detail17trampoline_kernelINS0_14default_configENS1_38merge_sort_block_merge_config_selectorIalEEZZNS1_27merge_sort_block_merge_implIS3_PaN6thrust23THRUST_200600_302600_NS10device_ptrIlEEjNS1_19radix_merge_compareILb0ELb1EaNS0_19identity_decomposerEEEEE10hipError_tT0_T1_T2_jT3_P12ihipStream_tbPNSt15iterator_traitsISG_E10value_typeEPNSM_ISH_E10value_typeEPSI_NS1_7vsmem_tEENKUlT_SG_SH_SI_E_clIS7_S7_SB_PlEESF_SV_SG_SH_SI_EUlSV_E0_NS1_11comp_targetILNS1_3genE9ELNS1_11target_archE1100ELNS1_3gpuE3ELNS1_3repE0EEENS1_38merge_mergepath_config_static_selectorELNS0_4arch9wavefront6targetE1EEEvSH_ ; -- Begin function _ZN7rocprim17ROCPRIM_400000_NS6detail17trampoline_kernelINS0_14default_configENS1_38merge_sort_block_merge_config_selectorIalEEZZNS1_27merge_sort_block_merge_implIS3_PaN6thrust23THRUST_200600_302600_NS10device_ptrIlEEjNS1_19radix_merge_compareILb0ELb1EaNS0_19identity_decomposerEEEEE10hipError_tT0_T1_T2_jT3_P12ihipStream_tbPNSt15iterator_traitsISG_E10value_typeEPNSM_ISH_E10value_typeEPSI_NS1_7vsmem_tEENKUlT_SG_SH_SI_E_clIS7_S7_SB_PlEESF_SV_SG_SH_SI_EUlSV_E0_NS1_11comp_targetILNS1_3genE9ELNS1_11target_archE1100ELNS1_3gpuE3ELNS1_3repE0EEENS1_38merge_mergepath_config_static_selectorELNS0_4arch9wavefront6targetE1EEEvSH_
	.globl	_ZN7rocprim17ROCPRIM_400000_NS6detail17trampoline_kernelINS0_14default_configENS1_38merge_sort_block_merge_config_selectorIalEEZZNS1_27merge_sort_block_merge_implIS3_PaN6thrust23THRUST_200600_302600_NS10device_ptrIlEEjNS1_19radix_merge_compareILb0ELb1EaNS0_19identity_decomposerEEEEE10hipError_tT0_T1_T2_jT3_P12ihipStream_tbPNSt15iterator_traitsISG_E10value_typeEPNSM_ISH_E10value_typeEPSI_NS1_7vsmem_tEENKUlT_SG_SH_SI_E_clIS7_S7_SB_PlEESF_SV_SG_SH_SI_EUlSV_E0_NS1_11comp_targetILNS1_3genE9ELNS1_11target_archE1100ELNS1_3gpuE3ELNS1_3repE0EEENS1_38merge_mergepath_config_static_selectorELNS0_4arch9wavefront6targetE1EEEvSH_
	.p2align	8
	.type	_ZN7rocprim17ROCPRIM_400000_NS6detail17trampoline_kernelINS0_14default_configENS1_38merge_sort_block_merge_config_selectorIalEEZZNS1_27merge_sort_block_merge_implIS3_PaN6thrust23THRUST_200600_302600_NS10device_ptrIlEEjNS1_19radix_merge_compareILb0ELb1EaNS0_19identity_decomposerEEEEE10hipError_tT0_T1_T2_jT3_P12ihipStream_tbPNSt15iterator_traitsISG_E10value_typeEPNSM_ISH_E10value_typeEPSI_NS1_7vsmem_tEENKUlT_SG_SH_SI_E_clIS7_S7_SB_PlEESF_SV_SG_SH_SI_EUlSV_E0_NS1_11comp_targetILNS1_3genE9ELNS1_11target_archE1100ELNS1_3gpuE3ELNS1_3repE0EEENS1_38merge_mergepath_config_static_selectorELNS0_4arch9wavefront6targetE1EEEvSH_,@function
_ZN7rocprim17ROCPRIM_400000_NS6detail17trampoline_kernelINS0_14default_configENS1_38merge_sort_block_merge_config_selectorIalEEZZNS1_27merge_sort_block_merge_implIS3_PaN6thrust23THRUST_200600_302600_NS10device_ptrIlEEjNS1_19radix_merge_compareILb0ELb1EaNS0_19identity_decomposerEEEEE10hipError_tT0_T1_T2_jT3_P12ihipStream_tbPNSt15iterator_traitsISG_E10value_typeEPNSM_ISH_E10value_typeEPSI_NS1_7vsmem_tEENKUlT_SG_SH_SI_E_clIS7_S7_SB_PlEESF_SV_SG_SH_SI_EUlSV_E0_NS1_11comp_targetILNS1_3genE9ELNS1_11target_archE1100ELNS1_3gpuE3ELNS1_3repE0EEENS1_38merge_mergepath_config_static_selectorELNS0_4arch9wavefront6targetE1EEEvSH_: ; @_ZN7rocprim17ROCPRIM_400000_NS6detail17trampoline_kernelINS0_14default_configENS1_38merge_sort_block_merge_config_selectorIalEEZZNS1_27merge_sort_block_merge_implIS3_PaN6thrust23THRUST_200600_302600_NS10device_ptrIlEEjNS1_19radix_merge_compareILb0ELb1EaNS0_19identity_decomposerEEEEE10hipError_tT0_T1_T2_jT3_P12ihipStream_tbPNSt15iterator_traitsISG_E10value_typeEPNSM_ISH_E10value_typeEPSI_NS1_7vsmem_tEENKUlT_SG_SH_SI_E_clIS7_S7_SB_PlEESF_SV_SG_SH_SI_EUlSV_E0_NS1_11comp_targetILNS1_3genE9ELNS1_11target_archE1100ELNS1_3gpuE3ELNS1_3repE0EEENS1_38merge_mergepath_config_static_selectorELNS0_4arch9wavefront6targetE1EEEvSH_
; %bb.0:
	.section	.rodata,"a",@progbits
	.p2align	6, 0x0
	.amdhsa_kernel _ZN7rocprim17ROCPRIM_400000_NS6detail17trampoline_kernelINS0_14default_configENS1_38merge_sort_block_merge_config_selectorIalEEZZNS1_27merge_sort_block_merge_implIS3_PaN6thrust23THRUST_200600_302600_NS10device_ptrIlEEjNS1_19radix_merge_compareILb0ELb1EaNS0_19identity_decomposerEEEEE10hipError_tT0_T1_T2_jT3_P12ihipStream_tbPNSt15iterator_traitsISG_E10value_typeEPNSM_ISH_E10value_typeEPSI_NS1_7vsmem_tEENKUlT_SG_SH_SI_E_clIS7_S7_SB_PlEESF_SV_SG_SH_SI_EUlSV_E0_NS1_11comp_targetILNS1_3genE9ELNS1_11target_archE1100ELNS1_3gpuE3ELNS1_3repE0EEENS1_38merge_mergepath_config_static_selectorELNS0_4arch9wavefront6targetE1EEEvSH_
		.amdhsa_group_segment_fixed_size 0
		.amdhsa_private_segment_fixed_size 0
		.amdhsa_kernarg_size 64
		.amdhsa_user_sgpr_count 6
		.amdhsa_user_sgpr_private_segment_buffer 1
		.amdhsa_user_sgpr_dispatch_ptr 0
		.amdhsa_user_sgpr_queue_ptr 0
		.amdhsa_user_sgpr_kernarg_segment_ptr 1
		.amdhsa_user_sgpr_dispatch_id 0
		.amdhsa_user_sgpr_flat_scratch_init 0
		.amdhsa_user_sgpr_kernarg_preload_length 0
		.amdhsa_user_sgpr_kernarg_preload_offset 0
		.amdhsa_user_sgpr_private_segment_size 0
		.amdhsa_uses_dynamic_stack 0
		.amdhsa_system_sgpr_private_segment_wavefront_offset 0
		.amdhsa_system_sgpr_workgroup_id_x 1
		.amdhsa_system_sgpr_workgroup_id_y 0
		.amdhsa_system_sgpr_workgroup_id_z 0
		.amdhsa_system_sgpr_workgroup_info 0
		.amdhsa_system_vgpr_workitem_id 0
		.amdhsa_next_free_vgpr 1
		.amdhsa_next_free_sgpr 0
		.amdhsa_accum_offset 4
		.amdhsa_reserve_vcc 0
		.amdhsa_reserve_flat_scratch 0
		.amdhsa_float_round_mode_32 0
		.amdhsa_float_round_mode_16_64 0
		.amdhsa_float_denorm_mode_32 3
		.amdhsa_float_denorm_mode_16_64 3
		.amdhsa_dx10_clamp 1
		.amdhsa_ieee_mode 1
		.amdhsa_fp16_overflow 0
		.amdhsa_tg_split 0
		.amdhsa_exception_fp_ieee_invalid_op 0
		.amdhsa_exception_fp_denorm_src 0
		.amdhsa_exception_fp_ieee_div_zero 0
		.amdhsa_exception_fp_ieee_overflow 0
		.amdhsa_exception_fp_ieee_underflow 0
		.amdhsa_exception_fp_ieee_inexact 0
		.amdhsa_exception_int_div_zero 0
	.end_amdhsa_kernel
	.section	.text._ZN7rocprim17ROCPRIM_400000_NS6detail17trampoline_kernelINS0_14default_configENS1_38merge_sort_block_merge_config_selectorIalEEZZNS1_27merge_sort_block_merge_implIS3_PaN6thrust23THRUST_200600_302600_NS10device_ptrIlEEjNS1_19radix_merge_compareILb0ELb1EaNS0_19identity_decomposerEEEEE10hipError_tT0_T1_T2_jT3_P12ihipStream_tbPNSt15iterator_traitsISG_E10value_typeEPNSM_ISH_E10value_typeEPSI_NS1_7vsmem_tEENKUlT_SG_SH_SI_E_clIS7_S7_SB_PlEESF_SV_SG_SH_SI_EUlSV_E0_NS1_11comp_targetILNS1_3genE9ELNS1_11target_archE1100ELNS1_3gpuE3ELNS1_3repE0EEENS1_38merge_mergepath_config_static_selectorELNS0_4arch9wavefront6targetE1EEEvSH_,"axG",@progbits,_ZN7rocprim17ROCPRIM_400000_NS6detail17trampoline_kernelINS0_14default_configENS1_38merge_sort_block_merge_config_selectorIalEEZZNS1_27merge_sort_block_merge_implIS3_PaN6thrust23THRUST_200600_302600_NS10device_ptrIlEEjNS1_19radix_merge_compareILb0ELb1EaNS0_19identity_decomposerEEEEE10hipError_tT0_T1_T2_jT3_P12ihipStream_tbPNSt15iterator_traitsISG_E10value_typeEPNSM_ISH_E10value_typeEPSI_NS1_7vsmem_tEENKUlT_SG_SH_SI_E_clIS7_S7_SB_PlEESF_SV_SG_SH_SI_EUlSV_E0_NS1_11comp_targetILNS1_3genE9ELNS1_11target_archE1100ELNS1_3gpuE3ELNS1_3repE0EEENS1_38merge_mergepath_config_static_selectorELNS0_4arch9wavefront6targetE1EEEvSH_,comdat
.Lfunc_end572:
	.size	_ZN7rocprim17ROCPRIM_400000_NS6detail17trampoline_kernelINS0_14default_configENS1_38merge_sort_block_merge_config_selectorIalEEZZNS1_27merge_sort_block_merge_implIS3_PaN6thrust23THRUST_200600_302600_NS10device_ptrIlEEjNS1_19radix_merge_compareILb0ELb1EaNS0_19identity_decomposerEEEEE10hipError_tT0_T1_T2_jT3_P12ihipStream_tbPNSt15iterator_traitsISG_E10value_typeEPNSM_ISH_E10value_typeEPSI_NS1_7vsmem_tEENKUlT_SG_SH_SI_E_clIS7_S7_SB_PlEESF_SV_SG_SH_SI_EUlSV_E0_NS1_11comp_targetILNS1_3genE9ELNS1_11target_archE1100ELNS1_3gpuE3ELNS1_3repE0EEENS1_38merge_mergepath_config_static_selectorELNS0_4arch9wavefront6targetE1EEEvSH_, .Lfunc_end572-_ZN7rocprim17ROCPRIM_400000_NS6detail17trampoline_kernelINS0_14default_configENS1_38merge_sort_block_merge_config_selectorIalEEZZNS1_27merge_sort_block_merge_implIS3_PaN6thrust23THRUST_200600_302600_NS10device_ptrIlEEjNS1_19radix_merge_compareILb0ELb1EaNS0_19identity_decomposerEEEEE10hipError_tT0_T1_T2_jT3_P12ihipStream_tbPNSt15iterator_traitsISG_E10value_typeEPNSM_ISH_E10value_typeEPSI_NS1_7vsmem_tEENKUlT_SG_SH_SI_E_clIS7_S7_SB_PlEESF_SV_SG_SH_SI_EUlSV_E0_NS1_11comp_targetILNS1_3genE9ELNS1_11target_archE1100ELNS1_3gpuE3ELNS1_3repE0EEENS1_38merge_mergepath_config_static_selectorELNS0_4arch9wavefront6targetE1EEEvSH_
                                        ; -- End function
	.section	.AMDGPU.csdata,"",@progbits
; Kernel info:
; codeLenInByte = 0
; NumSgprs: 4
; NumVgprs: 0
; NumAgprs: 0
; TotalNumVgprs: 0
; ScratchSize: 0
; MemoryBound: 0
; FloatMode: 240
; IeeeMode: 1
; LDSByteSize: 0 bytes/workgroup (compile time only)
; SGPRBlocks: 0
; VGPRBlocks: 0
; NumSGPRsForWavesPerEU: 4
; NumVGPRsForWavesPerEU: 1
; AccumOffset: 4
; Occupancy: 8
; WaveLimiterHint : 0
; COMPUTE_PGM_RSRC2:SCRATCH_EN: 0
; COMPUTE_PGM_RSRC2:USER_SGPR: 6
; COMPUTE_PGM_RSRC2:TRAP_HANDLER: 0
; COMPUTE_PGM_RSRC2:TGID_X_EN: 1
; COMPUTE_PGM_RSRC2:TGID_Y_EN: 0
; COMPUTE_PGM_RSRC2:TGID_Z_EN: 0
; COMPUTE_PGM_RSRC2:TIDIG_COMP_CNT: 0
; COMPUTE_PGM_RSRC3_GFX90A:ACCUM_OFFSET: 0
; COMPUTE_PGM_RSRC3_GFX90A:TG_SPLIT: 0
	.section	.text._ZN7rocprim17ROCPRIM_400000_NS6detail17trampoline_kernelINS0_14default_configENS1_38merge_sort_block_merge_config_selectorIalEEZZNS1_27merge_sort_block_merge_implIS3_PaN6thrust23THRUST_200600_302600_NS10device_ptrIlEEjNS1_19radix_merge_compareILb0ELb1EaNS0_19identity_decomposerEEEEE10hipError_tT0_T1_T2_jT3_P12ihipStream_tbPNSt15iterator_traitsISG_E10value_typeEPNSM_ISH_E10value_typeEPSI_NS1_7vsmem_tEENKUlT_SG_SH_SI_E_clIS7_S7_SB_PlEESF_SV_SG_SH_SI_EUlSV_E0_NS1_11comp_targetILNS1_3genE8ELNS1_11target_archE1030ELNS1_3gpuE2ELNS1_3repE0EEENS1_38merge_mergepath_config_static_selectorELNS0_4arch9wavefront6targetE1EEEvSH_,"axG",@progbits,_ZN7rocprim17ROCPRIM_400000_NS6detail17trampoline_kernelINS0_14default_configENS1_38merge_sort_block_merge_config_selectorIalEEZZNS1_27merge_sort_block_merge_implIS3_PaN6thrust23THRUST_200600_302600_NS10device_ptrIlEEjNS1_19radix_merge_compareILb0ELb1EaNS0_19identity_decomposerEEEEE10hipError_tT0_T1_T2_jT3_P12ihipStream_tbPNSt15iterator_traitsISG_E10value_typeEPNSM_ISH_E10value_typeEPSI_NS1_7vsmem_tEENKUlT_SG_SH_SI_E_clIS7_S7_SB_PlEESF_SV_SG_SH_SI_EUlSV_E0_NS1_11comp_targetILNS1_3genE8ELNS1_11target_archE1030ELNS1_3gpuE2ELNS1_3repE0EEENS1_38merge_mergepath_config_static_selectorELNS0_4arch9wavefront6targetE1EEEvSH_,comdat
	.protected	_ZN7rocprim17ROCPRIM_400000_NS6detail17trampoline_kernelINS0_14default_configENS1_38merge_sort_block_merge_config_selectorIalEEZZNS1_27merge_sort_block_merge_implIS3_PaN6thrust23THRUST_200600_302600_NS10device_ptrIlEEjNS1_19radix_merge_compareILb0ELb1EaNS0_19identity_decomposerEEEEE10hipError_tT0_T1_T2_jT3_P12ihipStream_tbPNSt15iterator_traitsISG_E10value_typeEPNSM_ISH_E10value_typeEPSI_NS1_7vsmem_tEENKUlT_SG_SH_SI_E_clIS7_S7_SB_PlEESF_SV_SG_SH_SI_EUlSV_E0_NS1_11comp_targetILNS1_3genE8ELNS1_11target_archE1030ELNS1_3gpuE2ELNS1_3repE0EEENS1_38merge_mergepath_config_static_selectorELNS0_4arch9wavefront6targetE1EEEvSH_ ; -- Begin function _ZN7rocprim17ROCPRIM_400000_NS6detail17trampoline_kernelINS0_14default_configENS1_38merge_sort_block_merge_config_selectorIalEEZZNS1_27merge_sort_block_merge_implIS3_PaN6thrust23THRUST_200600_302600_NS10device_ptrIlEEjNS1_19radix_merge_compareILb0ELb1EaNS0_19identity_decomposerEEEEE10hipError_tT0_T1_T2_jT3_P12ihipStream_tbPNSt15iterator_traitsISG_E10value_typeEPNSM_ISH_E10value_typeEPSI_NS1_7vsmem_tEENKUlT_SG_SH_SI_E_clIS7_S7_SB_PlEESF_SV_SG_SH_SI_EUlSV_E0_NS1_11comp_targetILNS1_3genE8ELNS1_11target_archE1030ELNS1_3gpuE2ELNS1_3repE0EEENS1_38merge_mergepath_config_static_selectorELNS0_4arch9wavefront6targetE1EEEvSH_
	.globl	_ZN7rocprim17ROCPRIM_400000_NS6detail17trampoline_kernelINS0_14default_configENS1_38merge_sort_block_merge_config_selectorIalEEZZNS1_27merge_sort_block_merge_implIS3_PaN6thrust23THRUST_200600_302600_NS10device_ptrIlEEjNS1_19radix_merge_compareILb0ELb1EaNS0_19identity_decomposerEEEEE10hipError_tT0_T1_T2_jT3_P12ihipStream_tbPNSt15iterator_traitsISG_E10value_typeEPNSM_ISH_E10value_typeEPSI_NS1_7vsmem_tEENKUlT_SG_SH_SI_E_clIS7_S7_SB_PlEESF_SV_SG_SH_SI_EUlSV_E0_NS1_11comp_targetILNS1_3genE8ELNS1_11target_archE1030ELNS1_3gpuE2ELNS1_3repE0EEENS1_38merge_mergepath_config_static_selectorELNS0_4arch9wavefront6targetE1EEEvSH_
	.p2align	8
	.type	_ZN7rocprim17ROCPRIM_400000_NS6detail17trampoline_kernelINS0_14default_configENS1_38merge_sort_block_merge_config_selectorIalEEZZNS1_27merge_sort_block_merge_implIS3_PaN6thrust23THRUST_200600_302600_NS10device_ptrIlEEjNS1_19radix_merge_compareILb0ELb1EaNS0_19identity_decomposerEEEEE10hipError_tT0_T1_T2_jT3_P12ihipStream_tbPNSt15iterator_traitsISG_E10value_typeEPNSM_ISH_E10value_typeEPSI_NS1_7vsmem_tEENKUlT_SG_SH_SI_E_clIS7_S7_SB_PlEESF_SV_SG_SH_SI_EUlSV_E0_NS1_11comp_targetILNS1_3genE8ELNS1_11target_archE1030ELNS1_3gpuE2ELNS1_3repE0EEENS1_38merge_mergepath_config_static_selectorELNS0_4arch9wavefront6targetE1EEEvSH_,@function
_ZN7rocprim17ROCPRIM_400000_NS6detail17trampoline_kernelINS0_14default_configENS1_38merge_sort_block_merge_config_selectorIalEEZZNS1_27merge_sort_block_merge_implIS3_PaN6thrust23THRUST_200600_302600_NS10device_ptrIlEEjNS1_19radix_merge_compareILb0ELb1EaNS0_19identity_decomposerEEEEE10hipError_tT0_T1_T2_jT3_P12ihipStream_tbPNSt15iterator_traitsISG_E10value_typeEPNSM_ISH_E10value_typeEPSI_NS1_7vsmem_tEENKUlT_SG_SH_SI_E_clIS7_S7_SB_PlEESF_SV_SG_SH_SI_EUlSV_E0_NS1_11comp_targetILNS1_3genE8ELNS1_11target_archE1030ELNS1_3gpuE2ELNS1_3repE0EEENS1_38merge_mergepath_config_static_selectorELNS0_4arch9wavefront6targetE1EEEvSH_: ; @_ZN7rocprim17ROCPRIM_400000_NS6detail17trampoline_kernelINS0_14default_configENS1_38merge_sort_block_merge_config_selectorIalEEZZNS1_27merge_sort_block_merge_implIS3_PaN6thrust23THRUST_200600_302600_NS10device_ptrIlEEjNS1_19radix_merge_compareILb0ELb1EaNS0_19identity_decomposerEEEEE10hipError_tT0_T1_T2_jT3_P12ihipStream_tbPNSt15iterator_traitsISG_E10value_typeEPNSM_ISH_E10value_typeEPSI_NS1_7vsmem_tEENKUlT_SG_SH_SI_E_clIS7_S7_SB_PlEESF_SV_SG_SH_SI_EUlSV_E0_NS1_11comp_targetILNS1_3genE8ELNS1_11target_archE1030ELNS1_3gpuE2ELNS1_3repE0EEENS1_38merge_mergepath_config_static_selectorELNS0_4arch9wavefront6targetE1EEEvSH_
; %bb.0:
	.section	.rodata,"a",@progbits
	.p2align	6, 0x0
	.amdhsa_kernel _ZN7rocprim17ROCPRIM_400000_NS6detail17trampoline_kernelINS0_14default_configENS1_38merge_sort_block_merge_config_selectorIalEEZZNS1_27merge_sort_block_merge_implIS3_PaN6thrust23THRUST_200600_302600_NS10device_ptrIlEEjNS1_19radix_merge_compareILb0ELb1EaNS0_19identity_decomposerEEEEE10hipError_tT0_T1_T2_jT3_P12ihipStream_tbPNSt15iterator_traitsISG_E10value_typeEPNSM_ISH_E10value_typeEPSI_NS1_7vsmem_tEENKUlT_SG_SH_SI_E_clIS7_S7_SB_PlEESF_SV_SG_SH_SI_EUlSV_E0_NS1_11comp_targetILNS1_3genE8ELNS1_11target_archE1030ELNS1_3gpuE2ELNS1_3repE0EEENS1_38merge_mergepath_config_static_selectorELNS0_4arch9wavefront6targetE1EEEvSH_
		.amdhsa_group_segment_fixed_size 0
		.amdhsa_private_segment_fixed_size 0
		.amdhsa_kernarg_size 64
		.amdhsa_user_sgpr_count 6
		.amdhsa_user_sgpr_private_segment_buffer 1
		.amdhsa_user_sgpr_dispatch_ptr 0
		.amdhsa_user_sgpr_queue_ptr 0
		.amdhsa_user_sgpr_kernarg_segment_ptr 1
		.amdhsa_user_sgpr_dispatch_id 0
		.amdhsa_user_sgpr_flat_scratch_init 0
		.amdhsa_user_sgpr_kernarg_preload_length 0
		.amdhsa_user_sgpr_kernarg_preload_offset 0
		.amdhsa_user_sgpr_private_segment_size 0
		.amdhsa_uses_dynamic_stack 0
		.amdhsa_system_sgpr_private_segment_wavefront_offset 0
		.amdhsa_system_sgpr_workgroup_id_x 1
		.amdhsa_system_sgpr_workgroup_id_y 0
		.amdhsa_system_sgpr_workgroup_id_z 0
		.amdhsa_system_sgpr_workgroup_info 0
		.amdhsa_system_vgpr_workitem_id 0
		.amdhsa_next_free_vgpr 1
		.amdhsa_next_free_sgpr 0
		.amdhsa_accum_offset 4
		.amdhsa_reserve_vcc 0
		.amdhsa_reserve_flat_scratch 0
		.amdhsa_float_round_mode_32 0
		.amdhsa_float_round_mode_16_64 0
		.amdhsa_float_denorm_mode_32 3
		.amdhsa_float_denorm_mode_16_64 3
		.amdhsa_dx10_clamp 1
		.amdhsa_ieee_mode 1
		.amdhsa_fp16_overflow 0
		.amdhsa_tg_split 0
		.amdhsa_exception_fp_ieee_invalid_op 0
		.amdhsa_exception_fp_denorm_src 0
		.amdhsa_exception_fp_ieee_div_zero 0
		.amdhsa_exception_fp_ieee_overflow 0
		.amdhsa_exception_fp_ieee_underflow 0
		.amdhsa_exception_fp_ieee_inexact 0
		.amdhsa_exception_int_div_zero 0
	.end_amdhsa_kernel
	.section	.text._ZN7rocprim17ROCPRIM_400000_NS6detail17trampoline_kernelINS0_14default_configENS1_38merge_sort_block_merge_config_selectorIalEEZZNS1_27merge_sort_block_merge_implIS3_PaN6thrust23THRUST_200600_302600_NS10device_ptrIlEEjNS1_19radix_merge_compareILb0ELb1EaNS0_19identity_decomposerEEEEE10hipError_tT0_T1_T2_jT3_P12ihipStream_tbPNSt15iterator_traitsISG_E10value_typeEPNSM_ISH_E10value_typeEPSI_NS1_7vsmem_tEENKUlT_SG_SH_SI_E_clIS7_S7_SB_PlEESF_SV_SG_SH_SI_EUlSV_E0_NS1_11comp_targetILNS1_3genE8ELNS1_11target_archE1030ELNS1_3gpuE2ELNS1_3repE0EEENS1_38merge_mergepath_config_static_selectorELNS0_4arch9wavefront6targetE1EEEvSH_,"axG",@progbits,_ZN7rocprim17ROCPRIM_400000_NS6detail17trampoline_kernelINS0_14default_configENS1_38merge_sort_block_merge_config_selectorIalEEZZNS1_27merge_sort_block_merge_implIS3_PaN6thrust23THRUST_200600_302600_NS10device_ptrIlEEjNS1_19radix_merge_compareILb0ELb1EaNS0_19identity_decomposerEEEEE10hipError_tT0_T1_T2_jT3_P12ihipStream_tbPNSt15iterator_traitsISG_E10value_typeEPNSM_ISH_E10value_typeEPSI_NS1_7vsmem_tEENKUlT_SG_SH_SI_E_clIS7_S7_SB_PlEESF_SV_SG_SH_SI_EUlSV_E0_NS1_11comp_targetILNS1_3genE8ELNS1_11target_archE1030ELNS1_3gpuE2ELNS1_3repE0EEENS1_38merge_mergepath_config_static_selectorELNS0_4arch9wavefront6targetE1EEEvSH_,comdat
.Lfunc_end573:
	.size	_ZN7rocprim17ROCPRIM_400000_NS6detail17trampoline_kernelINS0_14default_configENS1_38merge_sort_block_merge_config_selectorIalEEZZNS1_27merge_sort_block_merge_implIS3_PaN6thrust23THRUST_200600_302600_NS10device_ptrIlEEjNS1_19radix_merge_compareILb0ELb1EaNS0_19identity_decomposerEEEEE10hipError_tT0_T1_T2_jT3_P12ihipStream_tbPNSt15iterator_traitsISG_E10value_typeEPNSM_ISH_E10value_typeEPSI_NS1_7vsmem_tEENKUlT_SG_SH_SI_E_clIS7_S7_SB_PlEESF_SV_SG_SH_SI_EUlSV_E0_NS1_11comp_targetILNS1_3genE8ELNS1_11target_archE1030ELNS1_3gpuE2ELNS1_3repE0EEENS1_38merge_mergepath_config_static_selectorELNS0_4arch9wavefront6targetE1EEEvSH_, .Lfunc_end573-_ZN7rocprim17ROCPRIM_400000_NS6detail17trampoline_kernelINS0_14default_configENS1_38merge_sort_block_merge_config_selectorIalEEZZNS1_27merge_sort_block_merge_implIS3_PaN6thrust23THRUST_200600_302600_NS10device_ptrIlEEjNS1_19radix_merge_compareILb0ELb1EaNS0_19identity_decomposerEEEEE10hipError_tT0_T1_T2_jT3_P12ihipStream_tbPNSt15iterator_traitsISG_E10value_typeEPNSM_ISH_E10value_typeEPSI_NS1_7vsmem_tEENKUlT_SG_SH_SI_E_clIS7_S7_SB_PlEESF_SV_SG_SH_SI_EUlSV_E0_NS1_11comp_targetILNS1_3genE8ELNS1_11target_archE1030ELNS1_3gpuE2ELNS1_3repE0EEENS1_38merge_mergepath_config_static_selectorELNS0_4arch9wavefront6targetE1EEEvSH_
                                        ; -- End function
	.section	.AMDGPU.csdata,"",@progbits
; Kernel info:
; codeLenInByte = 0
; NumSgprs: 4
; NumVgprs: 0
; NumAgprs: 0
; TotalNumVgprs: 0
; ScratchSize: 0
; MemoryBound: 0
; FloatMode: 240
; IeeeMode: 1
; LDSByteSize: 0 bytes/workgroup (compile time only)
; SGPRBlocks: 0
; VGPRBlocks: 0
; NumSGPRsForWavesPerEU: 4
; NumVGPRsForWavesPerEU: 1
; AccumOffset: 4
; Occupancy: 8
; WaveLimiterHint : 0
; COMPUTE_PGM_RSRC2:SCRATCH_EN: 0
; COMPUTE_PGM_RSRC2:USER_SGPR: 6
; COMPUTE_PGM_RSRC2:TRAP_HANDLER: 0
; COMPUTE_PGM_RSRC2:TGID_X_EN: 1
; COMPUTE_PGM_RSRC2:TGID_Y_EN: 0
; COMPUTE_PGM_RSRC2:TGID_Z_EN: 0
; COMPUTE_PGM_RSRC2:TIDIG_COMP_CNT: 0
; COMPUTE_PGM_RSRC3_GFX90A:ACCUM_OFFSET: 0
; COMPUTE_PGM_RSRC3_GFX90A:TG_SPLIT: 0
	.section	.text._ZN7rocprim17ROCPRIM_400000_NS6detail17trampoline_kernelINS0_14default_configENS1_38merge_sort_block_merge_config_selectorIalEEZZNS1_27merge_sort_block_merge_implIS3_PaN6thrust23THRUST_200600_302600_NS10device_ptrIlEEjNS1_19radix_merge_compareILb0ELb1EaNS0_19identity_decomposerEEEEE10hipError_tT0_T1_T2_jT3_P12ihipStream_tbPNSt15iterator_traitsISG_E10value_typeEPNSM_ISH_E10value_typeEPSI_NS1_7vsmem_tEENKUlT_SG_SH_SI_E_clIS7_S7_SB_PlEESF_SV_SG_SH_SI_EUlSV_E1_NS1_11comp_targetILNS1_3genE0ELNS1_11target_archE4294967295ELNS1_3gpuE0ELNS1_3repE0EEENS1_36merge_oddeven_config_static_selectorELNS0_4arch9wavefront6targetE1EEEvSH_,"axG",@progbits,_ZN7rocprim17ROCPRIM_400000_NS6detail17trampoline_kernelINS0_14default_configENS1_38merge_sort_block_merge_config_selectorIalEEZZNS1_27merge_sort_block_merge_implIS3_PaN6thrust23THRUST_200600_302600_NS10device_ptrIlEEjNS1_19radix_merge_compareILb0ELb1EaNS0_19identity_decomposerEEEEE10hipError_tT0_T1_T2_jT3_P12ihipStream_tbPNSt15iterator_traitsISG_E10value_typeEPNSM_ISH_E10value_typeEPSI_NS1_7vsmem_tEENKUlT_SG_SH_SI_E_clIS7_S7_SB_PlEESF_SV_SG_SH_SI_EUlSV_E1_NS1_11comp_targetILNS1_3genE0ELNS1_11target_archE4294967295ELNS1_3gpuE0ELNS1_3repE0EEENS1_36merge_oddeven_config_static_selectorELNS0_4arch9wavefront6targetE1EEEvSH_,comdat
	.protected	_ZN7rocprim17ROCPRIM_400000_NS6detail17trampoline_kernelINS0_14default_configENS1_38merge_sort_block_merge_config_selectorIalEEZZNS1_27merge_sort_block_merge_implIS3_PaN6thrust23THRUST_200600_302600_NS10device_ptrIlEEjNS1_19radix_merge_compareILb0ELb1EaNS0_19identity_decomposerEEEEE10hipError_tT0_T1_T2_jT3_P12ihipStream_tbPNSt15iterator_traitsISG_E10value_typeEPNSM_ISH_E10value_typeEPSI_NS1_7vsmem_tEENKUlT_SG_SH_SI_E_clIS7_S7_SB_PlEESF_SV_SG_SH_SI_EUlSV_E1_NS1_11comp_targetILNS1_3genE0ELNS1_11target_archE4294967295ELNS1_3gpuE0ELNS1_3repE0EEENS1_36merge_oddeven_config_static_selectorELNS0_4arch9wavefront6targetE1EEEvSH_ ; -- Begin function _ZN7rocprim17ROCPRIM_400000_NS6detail17trampoline_kernelINS0_14default_configENS1_38merge_sort_block_merge_config_selectorIalEEZZNS1_27merge_sort_block_merge_implIS3_PaN6thrust23THRUST_200600_302600_NS10device_ptrIlEEjNS1_19radix_merge_compareILb0ELb1EaNS0_19identity_decomposerEEEEE10hipError_tT0_T1_T2_jT3_P12ihipStream_tbPNSt15iterator_traitsISG_E10value_typeEPNSM_ISH_E10value_typeEPSI_NS1_7vsmem_tEENKUlT_SG_SH_SI_E_clIS7_S7_SB_PlEESF_SV_SG_SH_SI_EUlSV_E1_NS1_11comp_targetILNS1_3genE0ELNS1_11target_archE4294967295ELNS1_3gpuE0ELNS1_3repE0EEENS1_36merge_oddeven_config_static_selectorELNS0_4arch9wavefront6targetE1EEEvSH_
	.globl	_ZN7rocprim17ROCPRIM_400000_NS6detail17trampoline_kernelINS0_14default_configENS1_38merge_sort_block_merge_config_selectorIalEEZZNS1_27merge_sort_block_merge_implIS3_PaN6thrust23THRUST_200600_302600_NS10device_ptrIlEEjNS1_19radix_merge_compareILb0ELb1EaNS0_19identity_decomposerEEEEE10hipError_tT0_T1_T2_jT3_P12ihipStream_tbPNSt15iterator_traitsISG_E10value_typeEPNSM_ISH_E10value_typeEPSI_NS1_7vsmem_tEENKUlT_SG_SH_SI_E_clIS7_S7_SB_PlEESF_SV_SG_SH_SI_EUlSV_E1_NS1_11comp_targetILNS1_3genE0ELNS1_11target_archE4294967295ELNS1_3gpuE0ELNS1_3repE0EEENS1_36merge_oddeven_config_static_selectorELNS0_4arch9wavefront6targetE1EEEvSH_
	.p2align	8
	.type	_ZN7rocprim17ROCPRIM_400000_NS6detail17trampoline_kernelINS0_14default_configENS1_38merge_sort_block_merge_config_selectorIalEEZZNS1_27merge_sort_block_merge_implIS3_PaN6thrust23THRUST_200600_302600_NS10device_ptrIlEEjNS1_19radix_merge_compareILb0ELb1EaNS0_19identity_decomposerEEEEE10hipError_tT0_T1_T2_jT3_P12ihipStream_tbPNSt15iterator_traitsISG_E10value_typeEPNSM_ISH_E10value_typeEPSI_NS1_7vsmem_tEENKUlT_SG_SH_SI_E_clIS7_S7_SB_PlEESF_SV_SG_SH_SI_EUlSV_E1_NS1_11comp_targetILNS1_3genE0ELNS1_11target_archE4294967295ELNS1_3gpuE0ELNS1_3repE0EEENS1_36merge_oddeven_config_static_selectorELNS0_4arch9wavefront6targetE1EEEvSH_,@function
_ZN7rocprim17ROCPRIM_400000_NS6detail17trampoline_kernelINS0_14default_configENS1_38merge_sort_block_merge_config_selectorIalEEZZNS1_27merge_sort_block_merge_implIS3_PaN6thrust23THRUST_200600_302600_NS10device_ptrIlEEjNS1_19radix_merge_compareILb0ELb1EaNS0_19identity_decomposerEEEEE10hipError_tT0_T1_T2_jT3_P12ihipStream_tbPNSt15iterator_traitsISG_E10value_typeEPNSM_ISH_E10value_typeEPSI_NS1_7vsmem_tEENKUlT_SG_SH_SI_E_clIS7_S7_SB_PlEESF_SV_SG_SH_SI_EUlSV_E1_NS1_11comp_targetILNS1_3genE0ELNS1_11target_archE4294967295ELNS1_3gpuE0ELNS1_3repE0EEENS1_36merge_oddeven_config_static_selectorELNS0_4arch9wavefront6targetE1EEEvSH_: ; @_ZN7rocprim17ROCPRIM_400000_NS6detail17trampoline_kernelINS0_14default_configENS1_38merge_sort_block_merge_config_selectorIalEEZZNS1_27merge_sort_block_merge_implIS3_PaN6thrust23THRUST_200600_302600_NS10device_ptrIlEEjNS1_19radix_merge_compareILb0ELb1EaNS0_19identity_decomposerEEEEE10hipError_tT0_T1_T2_jT3_P12ihipStream_tbPNSt15iterator_traitsISG_E10value_typeEPNSM_ISH_E10value_typeEPSI_NS1_7vsmem_tEENKUlT_SG_SH_SI_E_clIS7_S7_SB_PlEESF_SV_SG_SH_SI_EUlSV_E1_NS1_11comp_targetILNS1_3genE0ELNS1_11target_archE4294967295ELNS1_3gpuE0ELNS1_3repE0EEENS1_36merge_oddeven_config_static_selectorELNS0_4arch9wavefront6targetE1EEEvSH_
; %bb.0:
	.section	.rodata,"a",@progbits
	.p2align	6, 0x0
	.amdhsa_kernel _ZN7rocprim17ROCPRIM_400000_NS6detail17trampoline_kernelINS0_14default_configENS1_38merge_sort_block_merge_config_selectorIalEEZZNS1_27merge_sort_block_merge_implIS3_PaN6thrust23THRUST_200600_302600_NS10device_ptrIlEEjNS1_19radix_merge_compareILb0ELb1EaNS0_19identity_decomposerEEEEE10hipError_tT0_T1_T2_jT3_P12ihipStream_tbPNSt15iterator_traitsISG_E10value_typeEPNSM_ISH_E10value_typeEPSI_NS1_7vsmem_tEENKUlT_SG_SH_SI_E_clIS7_S7_SB_PlEESF_SV_SG_SH_SI_EUlSV_E1_NS1_11comp_targetILNS1_3genE0ELNS1_11target_archE4294967295ELNS1_3gpuE0ELNS1_3repE0EEENS1_36merge_oddeven_config_static_selectorELNS0_4arch9wavefront6targetE1EEEvSH_
		.amdhsa_group_segment_fixed_size 0
		.amdhsa_private_segment_fixed_size 0
		.amdhsa_kernarg_size 48
		.amdhsa_user_sgpr_count 6
		.amdhsa_user_sgpr_private_segment_buffer 1
		.amdhsa_user_sgpr_dispatch_ptr 0
		.amdhsa_user_sgpr_queue_ptr 0
		.amdhsa_user_sgpr_kernarg_segment_ptr 1
		.amdhsa_user_sgpr_dispatch_id 0
		.amdhsa_user_sgpr_flat_scratch_init 0
		.amdhsa_user_sgpr_kernarg_preload_length 0
		.amdhsa_user_sgpr_kernarg_preload_offset 0
		.amdhsa_user_sgpr_private_segment_size 0
		.amdhsa_uses_dynamic_stack 0
		.amdhsa_system_sgpr_private_segment_wavefront_offset 0
		.amdhsa_system_sgpr_workgroup_id_x 1
		.amdhsa_system_sgpr_workgroup_id_y 0
		.amdhsa_system_sgpr_workgroup_id_z 0
		.amdhsa_system_sgpr_workgroup_info 0
		.amdhsa_system_vgpr_workitem_id 0
		.amdhsa_next_free_vgpr 1
		.amdhsa_next_free_sgpr 0
		.amdhsa_accum_offset 4
		.amdhsa_reserve_vcc 0
		.amdhsa_reserve_flat_scratch 0
		.amdhsa_float_round_mode_32 0
		.amdhsa_float_round_mode_16_64 0
		.amdhsa_float_denorm_mode_32 3
		.amdhsa_float_denorm_mode_16_64 3
		.amdhsa_dx10_clamp 1
		.amdhsa_ieee_mode 1
		.amdhsa_fp16_overflow 0
		.amdhsa_tg_split 0
		.amdhsa_exception_fp_ieee_invalid_op 0
		.amdhsa_exception_fp_denorm_src 0
		.amdhsa_exception_fp_ieee_div_zero 0
		.amdhsa_exception_fp_ieee_overflow 0
		.amdhsa_exception_fp_ieee_underflow 0
		.amdhsa_exception_fp_ieee_inexact 0
		.amdhsa_exception_int_div_zero 0
	.end_amdhsa_kernel
	.section	.text._ZN7rocprim17ROCPRIM_400000_NS6detail17trampoline_kernelINS0_14default_configENS1_38merge_sort_block_merge_config_selectorIalEEZZNS1_27merge_sort_block_merge_implIS3_PaN6thrust23THRUST_200600_302600_NS10device_ptrIlEEjNS1_19radix_merge_compareILb0ELb1EaNS0_19identity_decomposerEEEEE10hipError_tT0_T1_T2_jT3_P12ihipStream_tbPNSt15iterator_traitsISG_E10value_typeEPNSM_ISH_E10value_typeEPSI_NS1_7vsmem_tEENKUlT_SG_SH_SI_E_clIS7_S7_SB_PlEESF_SV_SG_SH_SI_EUlSV_E1_NS1_11comp_targetILNS1_3genE0ELNS1_11target_archE4294967295ELNS1_3gpuE0ELNS1_3repE0EEENS1_36merge_oddeven_config_static_selectorELNS0_4arch9wavefront6targetE1EEEvSH_,"axG",@progbits,_ZN7rocprim17ROCPRIM_400000_NS6detail17trampoline_kernelINS0_14default_configENS1_38merge_sort_block_merge_config_selectorIalEEZZNS1_27merge_sort_block_merge_implIS3_PaN6thrust23THRUST_200600_302600_NS10device_ptrIlEEjNS1_19radix_merge_compareILb0ELb1EaNS0_19identity_decomposerEEEEE10hipError_tT0_T1_T2_jT3_P12ihipStream_tbPNSt15iterator_traitsISG_E10value_typeEPNSM_ISH_E10value_typeEPSI_NS1_7vsmem_tEENKUlT_SG_SH_SI_E_clIS7_S7_SB_PlEESF_SV_SG_SH_SI_EUlSV_E1_NS1_11comp_targetILNS1_3genE0ELNS1_11target_archE4294967295ELNS1_3gpuE0ELNS1_3repE0EEENS1_36merge_oddeven_config_static_selectorELNS0_4arch9wavefront6targetE1EEEvSH_,comdat
.Lfunc_end574:
	.size	_ZN7rocprim17ROCPRIM_400000_NS6detail17trampoline_kernelINS0_14default_configENS1_38merge_sort_block_merge_config_selectorIalEEZZNS1_27merge_sort_block_merge_implIS3_PaN6thrust23THRUST_200600_302600_NS10device_ptrIlEEjNS1_19radix_merge_compareILb0ELb1EaNS0_19identity_decomposerEEEEE10hipError_tT0_T1_T2_jT3_P12ihipStream_tbPNSt15iterator_traitsISG_E10value_typeEPNSM_ISH_E10value_typeEPSI_NS1_7vsmem_tEENKUlT_SG_SH_SI_E_clIS7_S7_SB_PlEESF_SV_SG_SH_SI_EUlSV_E1_NS1_11comp_targetILNS1_3genE0ELNS1_11target_archE4294967295ELNS1_3gpuE0ELNS1_3repE0EEENS1_36merge_oddeven_config_static_selectorELNS0_4arch9wavefront6targetE1EEEvSH_, .Lfunc_end574-_ZN7rocprim17ROCPRIM_400000_NS6detail17trampoline_kernelINS0_14default_configENS1_38merge_sort_block_merge_config_selectorIalEEZZNS1_27merge_sort_block_merge_implIS3_PaN6thrust23THRUST_200600_302600_NS10device_ptrIlEEjNS1_19radix_merge_compareILb0ELb1EaNS0_19identity_decomposerEEEEE10hipError_tT0_T1_T2_jT3_P12ihipStream_tbPNSt15iterator_traitsISG_E10value_typeEPNSM_ISH_E10value_typeEPSI_NS1_7vsmem_tEENKUlT_SG_SH_SI_E_clIS7_S7_SB_PlEESF_SV_SG_SH_SI_EUlSV_E1_NS1_11comp_targetILNS1_3genE0ELNS1_11target_archE4294967295ELNS1_3gpuE0ELNS1_3repE0EEENS1_36merge_oddeven_config_static_selectorELNS0_4arch9wavefront6targetE1EEEvSH_
                                        ; -- End function
	.section	.AMDGPU.csdata,"",@progbits
; Kernel info:
; codeLenInByte = 0
; NumSgprs: 4
; NumVgprs: 0
; NumAgprs: 0
; TotalNumVgprs: 0
; ScratchSize: 0
; MemoryBound: 0
; FloatMode: 240
; IeeeMode: 1
; LDSByteSize: 0 bytes/workgroup (compile time only)
; SGPRBlocks: 0
; VGPRBlocks: 0
; NumSGPRsForWavesPerEU: 4
; NumVGPRsForWavesPerEU: 1
; AccumOffset: 4
; Occupancy: 8
; WaveLimiterHint : 0
; COMPUTE_PGM_RSRC2:SCRATCH_EN: 0
; COMPUTE_PGM_RSRC2:USER_SGPR: 6
; COMPUTE_PGM_RSRC2:TRAP_HANDLER: 0
; COMPUTE_PGM_RSRC2:TGID_X_EN: 1
; COMPUTE_PGM_RSRC2:TGID_Y_EN: 0
; COMPUTE_PGM_RSRC2:TGID_Z_EN: 0
; COMPUTE_PGM_RSRC2:TIDIG_COMP_CNT: 0
; COMPUTE_PGM_RSRC3_GFX90A:ACCUM_OFFSET: 0
; COMPUTE_PGM_RSRC3_GFX90A:TG_SPLIT: 0
	.section	.text._ZN7rocprim17ROCPRIM_400000_NS6detail17trampoline_kernelINS0_14default_configENS1_38merge_sort_block_merge_config_selectorIalEEZZNS1_27merge_sort_block_merge_implIS3_PaN6thrust23THRUST_200600_302600_NS10device_ptrIlEEjNS1_19radix_merge_compareILb0ELb1EaNS0_19identity_decomposerEEEEE10hipError_tT0_T1_T2_jT3_P12ihipStream_tbPNSt15iterator_traitsISG_E10value_typeEPNSM_ISH_E10value_typeEPSI_NS1_7vsmem_tEENKUlT_SG_SH_SI_E_clIS7_S7_SB_PlEESF_SV_SG_SH_SI_EUlSV_E1_NS1_11comp_targetILNS1_3genE10ELNS1_11target_archE1201ELNS1_3gpuE5ELNS1_3repE0EEENS1_36merge_oddeven_config_static_selectorELNS0_4arch9wavefront6targetE1EEEvSH_,"axG",@progbits,_ZN7rocprim17ROCPRIM_400000_NS6detail17trampoline_kernelINS0_14default_configENS1_38merge_sort_block_merge_config_selectorIalEEZZNS1_27merge_sort_block_merge_implIS3_PaN6thrust23THRUST_200600_302600_NS10device_ptrIlEEjNS1_19radix_merge_compareILb0ELb1EaNS0_19identity_decomposerEEEEE10hipError_tT0_T1_T2_jT3_P12ihipStream_tbPNSt15iterator_traitsISG_E10value_typeEPNSM_ISH_E10value_typeEPSI_NS1_7vsmem_tEENKUlT_SG_SH_SI_E_clIS7_S7_SB_PlEESF_SV_SG_SH_SI_EUlSV_E1_NS1_11comp_targetILNS1_3genE10ELNS1_11target_archE1201ELNS1_3gpuE5ELNS1_3repE0EEENS1_36merge_oddeven_config_static_selectorELNS0_4arch9wavefront6targetE1EEEvSH_,comdat
	.protected	_ZN7rocprim17ROCPRIM_400000_NS6detail17trampoline_kernelINS0_14default_configENS1_38merge_sort_block_merge_config_selectorIalEEZZNS1_27merge_sort_block_merge_implIS3_PaN6thrust23THRUST_200600_302600_NS10device_ptrIlEEjNS1_19radix_merge_compareILb0ELb1EaNS0_19identity_decomposerEEEEE10hipError_tT0_T1_T2_jT3_P12ihipStream_tbPNSt15iterator_traitsISG_E10value_typeEPNSM_ISH_E10value_typeEPSI_NS1_7vsmem_tEENKUlT_SG_SH_SI_E_clIS7_S7_SB_PlEESF_SV_SG_SH_SI_EUlSV_E1_NS1_11comp_targetILNS1_3genE10ELNS1_11target_archE1201ELNS1_3gpuE5ELNS1_3repE0EEENS1_36merge_oddeven_config_static_selectorELNS0_4arch9wavefront6targetE1EEEvSH_ ; -- Begin function _ZN7rocprim17ROCPRIM_400000_NS6detail17trampoline_kernelINS0_14default_configENS1_38merge_sort_block_merge_config_selectorIalEEZZNS1_27merge_sort_block_merge_implIS3_PaN6thrust23THRUST_200600_302600_NS10device_ptrIlEEjNS1_19radix_merge_compareILb0ELb1EaNS0_19identity_decomposerEEEEE10hipError_tT0_T1_T2_jT3_P12ihipStream_tbPNSt15iterator_traitsISG_E10value_typeEPNSM_ISH_E10value_typeEPSI_NS1_7vsmem_tEENKUlT_SG_SH_SI_E_clIS7_S7_SB_PlEESF_SV_SG_SH_SI_EUlSV_E1_NS1_11comp_targetILNS1_3genE10ELNS1_11target_archE1201ELNS1_3gpuE5ELNS1_3repE0EEENS1_36merge_oddeven_config_static_selectorELNS0_4arch9wavefront6targetE1EEEvSH_
	.globl	_ZN7rocprim17ROCPRIM_400000_NS6detail17trampoline_kernelINS0_14default_configENS1_38merge_sort_block_merge_config_selectorIalEEZZNS1_27merge_sort_block_merge_implIS3_PaN6thrust23THRUST_200600_302600_NS10device_ptrIlEEjNS1_19radix_merge_compareILb0ELb1EaNS0_19identity_decomposerEEEEE10hipError_tT0_T1_T2_jT3_P12ihipStream_tbPNSt15iterator_traitsISG_E10value_typeEPNSM_ISH_E10value_typeEPSI_NS1_7vsmem_tEENKUlT_SG_SH_SI_E_clIS7_S7_SB_PlEESF_SV_SG_SH_SI_EUlSV_E1_NS1_11comp_targetILNS1_3genE10ELNS1_11target_archE1201ELNS1_3gpuE5ELNS1_3repE0EEENS1_36merge_oddeven_config_static_selectorELNS0_4arch9wavefront6targetE1EEEvSH_
	.p2align	8
	.type	_ZN7rocprim17ROCPRIM_400000_NS6detail17trampoline_kernelINS0_14default_configENS1_38merge_sort_block_merge_config_selectorIalEEZZNS1_27merge_sort_block_merge_implIS3_PaN6thrust23THRUST_200600_302600_NS10device_ptrIlEEjNS1_19radix_merge_compareILb0ELb1EaNS0_19identity_decomposerEEEEE10hipError_tT0_T1_T2_jT3_P12ihipStream_tbPNSt15iterator_traitsISG_E10value_typeEPNSM_ISH_E10value_typeEPSI_NS1_7vsmem_tEENKUlT_SG_SH_SI_E_clIS7_S7_SB_PlEESF_SV_SG_SH_SI_EUlSV_E1_NS1_11comp_targetILNS1_3genE10ELNS1_11target_archE1201ELNS1_3gpuE5ELNS1_3repE0EEENS1_36merge_oddeven_config_static_selectorELNS0_4arch9wavefront6targetE1EEEvSH_,@function
_ZN7rocprim17ROCPRIM_400000_NS6detail17trampoline_kernelINS0_14default_configENS1_38merge_sort_block_merge_config_selectorIalEEZZNS1_27merge_sort_block_merge_implIS3_PaN6thrust23THRUST_200600_302600_NS10device_ptrIlEEjNS1_19radix_merge_compareILb0ELb1EaNS0_19identity_decomposerEEEEE10hipError_tT0_T1_T2_jT3_P12ihipStream_tbPNSt15iterator_traitsISG_E10value_typeEPNSM_ISH_E10value_typeEPSI_NS1_7vsmem_tEENKUlT_SG_SH_SI_E_clIS7_S7_SB_PlEESF_SV_SG_SH_SI_EUlSV_E1_NS1_11comp_targetILNS1_3genE10ELNS1_11target_archE1201ELNS1_3gpuE5ELNS1_3repE0EEENS1_36merge_oddeven_config_static_selectorELNS0_4arch9wavefront6targetE1EEEvSH_: ; @_ZN7rocprim17ROCPRIM_400000_NS6detail17trampoline_kernelINS0_14default_configENS1_38merge_sort_block_merge_config_selectorIalEEZZNS1_27merge_sort_block_merge_implIS3_PaN6thrust23THRUST_200600_302600_NS10device_ptrIlEEjNS1_19radix_merge_compareILb0ELb1EaNS0_19identity_decomposerEEEEE10hipError_tT0_T1_T2_jT3_P12ihipStream_tbPNSt15iterator_traitsISG_E10value_typeEPNSM_ISH_E10value_typeEPSI_NS1_7vsmem_tEENKUlT_SG_SH_SI_E_clIS7_S7_SB_PlEESF_SV_SG_SH_SI_EUlSV_E1_NS1_11comp_targetILNS1_3genE10ELNS1_11target_archE1201ELNS1_3gpuE5ELNS1_3repE0EEENS1_36merge_oddeven_config_static_selectorELNS0_4arch9wavefront6targetE1EEEvSH_
; %bb.0:
	.section	.rodata,"a",@progbits
	.p2align	6, 0x0
	.amdhsa_kernel _ZN7rocprim17ROCPRIM_400000_NS6detail17trampoline_kernelINS0_14default_configENS1_38merge_sort_block_merge_config_selectorIalEEZZNS1_27merge_sort_block_merge_implIS3_PaN6thrust23THRUST_200600_302600_NS10device_ptrIlEEjNS1_19radix_merge_compareILb0ELb1EaNS0_19identity_decomposerEEEEE10hipError_tT0_T1_T2_jT3_P12ihipStream_tbPNSt15iterator_traitsISG_E10value_typeEPNSM_ISH_E10value_typeEPSI_NS1_7vsmem_tEENKUlT_SG_SH_SI_E_clIS7_S7_SB_PlEESF_SV_SG_SH_SI_EUlSV_E1_NS1_11comp_targetILNS1_3genE10ELNS1_11target_archE1201ELNS1_3gpuE5ELNS1_3repE0EEENS1_36merge_oddeven_config_static_selectorELNS0_4arch9wavefront6targetE1EEEvSH_
		.amdhsa_group_segment_fixed_size 0
		.amdhsa_private_segment_fixed_size 0
		.amdhsa_kernarg_size 48
		.amdhsa_user_sgpr_count 6
		.amdhsa_user_sgpr_private_segment_buffer 1
		.amdhsa_user_sgpr_dispatch_ptr 0
		.amdhsa_user_sgpr_queue_ptr 0
		.amdhsa_user_sgpr_kernarg_segment_ptr 1
		.amdhsa_user_sgpr_dispatch_id 0
		.amdhsa_user_sgpr_flat_scratch_init 0
		.amdhsa_user_sgpr_kernarg_preload_length 0
		.amdhsa_user_sgpr_kernarg_preload_offset 0
		.amdhsa_user_sgpr_private_segment_size 0
		.amdhsa_uses_dynamic_stack 0
		.amdhsa_system_sgpr_private_segment_wavefront_offset 0
		.amdhsa_system_sgpr_workgroup_id_x 1
		.amdhsa_system_sgpr_workgroup_id_y 0
		.amdhsa_system_sgpr_workgroup_id_z 0
		.amdhsa_system_sgpr_workgroup_info 0
		.amdhsa_system_vgpr_workitem_id 0
		.amdhsa_next_free_vgpr 1
		.amdhsa_next_free_sgpr 0
		.amdhsa_accum_offset 4
		.amdhsa_reserve_vcc 0
		.amdhsa_reserve_flat_scratch 0
		.amdhsa_float_round_mode_32 0
		.amdhsa_float_round_mode_16_64 0
		.amdhsa_float_denorm_mode_32 3
		.amdhsa_float_denorm_mode_16_64 3
		.amdhsa_dx10_clamp 1
		.amdhsa_ieee_mode 1
		.amdhsa_fp16_overflow 0
		.amdhsa_tg_split 0
		.amdhsa_exception_fp_ieee_invalid_op 0
		.amdhsa_exception_fp_denorm_src 0
		.amdhsa_exception_fp_ieee_div_zero 0
		.amdhsa_exception_fp_ieee_overflow 0
		.amdhsa_exception_fp_ieee_underflow 0
		.amdhsa_exception_fp_ieee_inexact 0
		.amdhsa_exception_int_div_zero 0
	.end_amdhsa_kernel
	.section	.text._ZN7rocprim17ROCPRIM_400000_NS6detail17trampoline_kernelINS0_14default_configENS1_38merge_sort_block_merge_config_selectorIalEEZZNS1_27merge_sort_block_merge_implIS3_PaN6thrust23THRUST_200600_302600_NS10device_ptrIlEEjNS1_19radix_merge_compareILb0ELb1EaNS0_19identity_decomposerEEEEE10hipError_tT0_T1_T2_jT3_P12ihipStream_tbPNSt15iterator_traitsISG_E10value_typeEPNSM_ISH_E10value_typeEPSI_NS1_7vsmem_tEENKUlT_SG_SH_SI_E_clIS7_S7_SB_PlEESF_SV_SG_SH_SI_EUlSV_E1_NS1_11comp_targetILNS1_3genE10ELNS1_11target_archE1201ELNS1_3gpuE5ELNS1_3repE0EEENS1_36merge_oddeven_config_static_selectorELNS0_4arch9wavefront6targetE1EEEvSH_,"axG",@progbits,_ZN7rocprim17ROCPRIM_400000_NS6detail17trampoline_kernelINS0_14default_configENS1_38merge_sort_block_merge_config_selectorIalEEZZNS1_27merge_sort_block_merge_implIS3_PaN6thrust23THRUST_200600_302600_NS10device_ptrIlEEjNS1_19radix_merge_compareILb0ELb1EaNS0_19identity_decomposerEEEEE10hipError_tT0_T1_T2_jT3_P12ihipStream_tbPNSt15iterator_traitsISG_E10value_typeEPNSM_ISH_E10value_typeEPSI_NS1_7vsmem_tEENKUlT_SG_SH_SI_E_clIS7_S7_SB_PlEESF_SV_SG_SH_SI_EUlSV_E1_NS1_11comp_targetILNS1_3genE10ELNS1_11target_archE1201ELNS1_3gpuE5ELNS1_3repE0EEENS1_36merge_oddeven_config_static_selectorELNS0_4arch9wavefront6targetE1EEEvSH_,comdat
.Lfunc_end575:
	.size	_ZN7rocprim17ROCPRIM_400000_NS6detail17trampoline_kernelINS0_14default_configENS1_38merge_sort_block_merge_config_selectorIalEEZZNS1_27merge_sort_block_merge_implIS3_PaN6thrust23THRUST_200600_302600_NS10device_ptrIlEEjNS1_19radix_merge_compareILb0ELb1EaNS0_19identity_decomposerEEEEE10hipError_tT0_T1_T2_jT3_P12ihipStream_tbPNSt15iterator_traitsISG_E10value_typeEPNSM_ISH_E10value_typeEPSI_NS1_7vsmem_tEENKUlT_SG_SH_SI_E_clIS7_S7_SB_PlEESF_SV_SG_SH_SI_EUlSV_E1_NS1_11comp_targetILNS1_3genE10ELNS1_11target_archE1201ELNS1_3gpuE5ELNS1_3repE0EEENS1_36merge_oddeven_config_static_selectorELNS0_4arch9wavefront6targetE1EEEvSH_, .Lfunc_end575-_ZN7rocprim17ROCPRIM_400000_NS6detail17trampoline_kernelINS0_14default_configENS1_38merge_sort_block_merge_config_selectorIalEEZZNS1_27merge_sort_block_merge_implIS3_PaN6thrust23THRUST_200600_302600_NS10device_ptrIlEEjNS1_19radix_merge_compareILb0ELb1EaNS0_19identity_decomposerEEEEE10hipError_tT0_T1_T2_jT3_P12ihipStream_tbPNSt15iterator_traitsISG_E10value_typeEPNSM_ISH_E10value_typeEPSI_NS1_7vsmem_tEENKUlT_SG_SH_SI_E_clIS7_S7_SB_PlEESF_SV_SG_SH_SI_EUlSV_E1_NS1_11comp_targetILNS1_3genE10ELNS1_11target_archE1201ELNS1_3gpuE5ELNS1_3repE0EEENS1_36merge_oddeven_config_static_selectorELNS0_4arch9wavefront6targetE1EEEvSH_
                                        ; -- End function
	.section	.AMDGPU.csdata,"",@progbits
; Kernel info:
; codeLenInByte = 0
; NumSgprs: 4
; NumVgprs: 0
; NumAgprs: 0
; TotalNumVgprs: 0
; ScratchSize: 0
; MemoryBound: 0
; FloatMode: 240
; IeeeMode: 1
; LDSByteSize: 0 bytes/workgroup (compile time only)
; SGPRBlocks: 0
; VGPRBlocks: 0
; NumSGPRsForWavesPerEU: 4
; NumVGPRsForWavesPerEU: 1
; AccumOffset: 4
; Occupancy: 8
; WaveLimiterHint : 0
; COMPUTE_PGM_RSRC2:SCRATCH_EN: 0
; COMPUTE_PGM_RSRC2:USER_SGPR: 6
; COMPUTE_PGM_RSRC2:TRAP_HANDLER: 0
; COMPUTE_PGM_RSRC2:TGID_X_EN: 1
; COMPUTE_PGM_RSRC2:TGID_Y_EN: 0
; COMPUTE_PGM_RSRC2:TGID_Z_EN: 0
; COMPUTE_PGM_RSRC2:TIDIG_COMP_CNT: 0
; COMPUTE_PGM_RSRC3_GFX90A:ACCUM_OFFSET: 0
; COMPUTE_PGM_RSRC3_GFX90A:TG_SPLIT: 0
	.section	.text._ZN7rocprim17ROCPRIM_400000_NS6detail17trampoline_kernelINS0_14default_configENS1_38merge_sort_block_merge_config_selectorIalEEZZNS1_27merge_sort_block_merge_implIS3_PaN6thrust23THRUST_200600_302600_NS10device_ptrIlEEjNS1_19radix_merge_compareILb0ELb1EaNS0_19identity_decomposerEEEEE10hipError_tT0_T1_T2_jT3_P12ihipStream_tbPNSt15iterator_traitsISG_E10value_typeEPNSM_ISH_E10value_typeEPSI_NS1_7vsmem_tEENKUlT_SG_SH_SI_E_clIS7_S7_SB_PlEESF_SV_SG_SH_SI_EUlSV_E1_NS1_11comp_targetILNS1_3genE5ELNS1_11target_archE942ELNS1_3gpuE9ELNS1_3repE0EEENS1_36merge_oddeven_config_static_selectorELNS0_4arch9wavefront6targetE1EEEvSH_,"axG",@progbits,_ZN7rocprim17ROCPRIM_400000_NS6detail17trampoline_kernelINS0_14default_configENS1_38merge_sort_block_merge_config_selectorIalEEZZNS1_27merge_sort_block_merge_implIS3_PaN6thrust23THRUST_200600_302600_NS10device_ptrIlEEjNS1_19radix_merge_compareILb0ELb1EaNS0_19identity_decomposerEEEEE10hipError_tT0_T1_T2_jT3_P12ihipStream_tbPNSt15iterator_traitsISG_E10value_typeEPNSM_ISH_E10value_typeEPSI_NS1_7vsmem_tEENKUlT_SG_SH_SI_E_clIS7_S7_SB_PlEESF_SV_SG_SH_SI_EUlSV_E1_NS1_11comp_targetILNS1_3genE5ELNS1_11target_archE942ELNS1_3gpuE9ELNS1_3repE0EEENS1_36merge_oddeven_config_static_selectorELNS0_4arch9wavefront6targetE1EEEvSH_,comdat
	.protected	_ZN7rocprim17ROCPRIM_400000_NS6detail17trampoline_kernelINS0_14default_configENS1_38merge_sort_block_merge_config_selectorIalEEZZNS1_27merge_sort_block_merge_implIS3_PaN6thrust23THRUST_200600_302600_NS10device_ptrIlEEjNS1_19radix_merge_compareILb0ELb1EaNS0_19identity_decomposerEEEEE10hipError_tT0_T1_T2_jT3_P12ihipStream_tbPNSt15iterator_traitsISG_E10value_typeEPNSM_ISH_E10value_typeEPSI_NS1_7vsmem_tEENKUlT_SG_SH_SI_E_clIS7_S7_SB_PlEESF_SV_SG_SH_SI_EUlSV_E1_NS1_11comp_targetILNS1_3genE5ELNS1_11target_archE942ELNS1_3gpuE9ELNS1_3repE0EEENS1_36merge_oddeven_config_static_selectorELNS0_4arch9wavefront6targetE1EEEvSH_ ; -- Begin function _ZN7rocprim17ROCPRIM_400000_NS6detail17trampoline_kernelINS0_14default_configENS1_38merge_sort_block_merge_config_selectorIalEEZZNS1_27merge_sort_block_merge_implIS3_PaN6thrust23THRUST_200600_302600_NS10device_ptrIlEEjNS1_19radix_merge_compareILb0ELb1EaNS0_19identity_decomposerEEEEE10hipError_tT0_T1_T2_jT3_P12ihipStream_tbPNSt15iterator_traitsISG_E10value_typeEPNSM_ISH_E10value_typeEPSI_NS1_7vsmem_tEENKUlT_SG_SH_SI_E_clIS7_S7_SB_PlEESF_SV_SG_SH_SI_EUlSV_E1_NS1_11comp_targetILNS1_3genE5ELNS1_11target_archE942ELNS1_3gpuE9ELNS1_3repE0EEENS1_36merge_oddeven_config_static_selectorELNS0_4arch9wavefront6targetE1EEEvSH_
	.globl	_ZN7rocprim17ROCPRIM_400000_NS6detail17trampoline_kernelINS0_14default_configENS1_38merge_sort_block_merge_config_selectorIalEEZZNS1_27merge_sort_block_merge_implIS3_PaN6thrust23THRUST_200600_302600_NS10device_ptrIlEEjNS1_19radix_merge_compareILb0ELb1EaNS0_19identity_decomposerEEEEE10hipError_tT0_T1_T2_jT3_P12ihipStream_tbPNSt15iterator_traitsISG_E10value_typeEPNSM_ISH_E10value_typeEPSI_NS1_7vsmem_tEENKUlT_SG_SH_SI_E_clIS7_S7_SB_PlEESF_SV_SG_SH_SI_EUlSV_E1_NS1_11comp_targetILNS1_3genE5ELNS1_11target_archE942ELNS1_3gpuE9ELNS1_3repE0EEENS1_36merge_oddeven_config_static_selectorELNS0_4arch9wavefront6targetE1EEEvSH_
	.p2align	8
	.type	_ZN7rocprim17ROCPRIM_400000_NS6detail17trampoline_kernelINS0_14default_configENS1_38merge_sort_block_merge_config_selectorIalEEZZNS1_27merge_sort_block_merge_implIS3_PaN6thrust23THRUST_200600_302600_NS10device_ptrIlEEjNS1_19radix_merge_compareILb0ELb1EaNS0_19identity_decomposerEEEEE10hipError_tT0_T1_T2_jT3_P12ihipStream_tbPNSt15iterator_traitsISG_E10value_typeEPNSM_ISH_E10value_typeEPSI_NS1_7vsmem_tEENKUlT_SG_SH_SI_E_clIS7_S7_SB_PlEESF_SV_SG_SH_SI_EUlSV_E1_NS1_11comp_targetILNS1_3genE5ELNS1_11target_archE942ELNS1_3gpuE9ELNS1_3repE0EEENS1_36merge_oddeven_config_static_selectorELNS0_4arch9wavefront6targetE1EEEvSH_,@function
_ZN7rocprim17ROCPRIM_400000_NS6detail17trampoline_kernelINS0_14default_configENS1_38merge_sort_block_merge_config_selectorIalEEZZNS1_27merge_sort_block_merge_implIS3_PaN6thrust23THRUST_200600_302600_NS10device_ptrIlEEjNS1_19radix_merge_compareILb0ELb1EaNS0_19identity_decomposerEEEEE10hipError_tT0_T1_T2_jT3_P12ihipStream_tbPNSt15iterator_traitsISG_E10value_typeEPNSM_ISH_E10value_typeEPSI_NS1_7vsmem_tEENKUlT_SG_SH_SI_E_clIS7_S7_SB_PlEESF_SV_SG_SH_SI_EUlSV_E1_NS1_11comp_targetILNS1_3genE5ELNS1_11target_archE942ELNS1_3gpuE9ELNS1_3repE0EEENS1_36merge_oddeven_config_static_selectorELNS0_4arch9wavefront6targetE1EEEvSH_: ; @_ZN7rocprim17ROCPRIM_400000_NS6detail17trampoline_kernelINS0_14default_configENS1_38merge_sort_block_merge_config_selectorIalEEZZNS1_27merge_sort_block_merge_implIS3_PaN6thrust23THRUST_200600_302600_NS10device_ptrIlEEjNS1_19radix_merge_compareILb0ELb1EaNS0_19identity_decomposerEEEEE10hipError_tT0_T1_T2_jT3_P12ihipStream_tbPNSt15iterator_traitsISG_E10value_typeEPNSM_ISH_E10value_typeEPSI_NS1_7vsmem_tEENKUlT_SG_SH_SI_E_clIS7_S7_SB_PlEESF_SV_SG_SH_SI_EUlSV_E1_NS1_11comp_targetILNS1_3genE5ELNS1_11target_archE942ELNS1_3gpuE9ELNS1_3repE0EEENS1_36merge_oddeven_config_static_selectorELNS0_4arch9wavefront6targetE1EEEvSH_
; %bb.0:
	.section	.rodata,"a",@progbits
	.p2align	6, 0x0
	.amdhsa_kernel _ZN7rocprim17ROCPRIM_400000_NS6detail17trampoline_kernelINS0_14default_configENS1_38merge_sort_block_merge_config_selectorIalEEZZNS1_27merge_sort_block_merge_implIS3_PaN6thrust23THRUST_200600_302600_NS10device_ptrIlEEjNS1_19radix_merge_compareILb0ELb1EaNS0_19identity_decomposerEEEEE10hipError_tT0_T1_T2_jT3_P12ihipStream_tbPNSt15iterator_traitsISG_E10value_typeEPNSM_ISH_E10value_typeEPSI_NS1_7vsmem_tEENKUlT_SG_SH_SI_E_clIS7_S7_SB_PlEESF_SV_SG_SH_SI_EUlSV_E1_NS1_11comp_targetILNS1_3genE5ELNS1_11target_archE942ELNS1_3gpuE9ELNS1_3repE0EEENS1_36merge_oddeven_config_static_selectorELNS0_4arch9wavefront6targetE1EEEvSH_
		.amdhsa_group_segment_fixed_size 0
		.amdhsa_private_segment_fixed_size 0
		.amdhsa_kernarg_size 48
		.amdhsa_user_sgpr_count 6
		.amdhsa_user_sgpr_private_segment_buffer 1
		.amdhsa_user_sgpr_dispatch_ptr 0
		.amdhsa_user_sgpr_queue_ptr 0
		.amdhsa_user_sgpr_kernarg_segment_ptr 1
		.amdhsa_user_sgpr_dispatch_id 0
		.amdhsa_user_sgpr_flat_scratch_init 0
		.amdhsa_user_sgpr_kernarg_preload_length 0
		.amdhsa_user_sgpr_kernarg_preload_offset 0
		.amdhsa_user_sgpr_private_segment_size 0
		.amdhsa_uses_dynamic_stack 0
		.amdhsa_system_sgpr_private_segment_wavefront_offset 0
		.amdhsa_system_sgpr_workgroup_id_x 1
		.amdhsa_system_sgpr_workgroup_id_y 0
		.amdhsa_system_sgpr_workgroup_id_z 0
		.amdhsa_system_sgpr_workgroup_info 0
		.amdhsa_system_vgpr_workitem_id 0
		.amdhsa_next_free_vgpr 1
		.amdhsa_next_free_sgpr 0
		.amdhsa_accum_offset 4
		.amdhsa_reserve_vcc 0
		.amdhsa_reserve_flat_scratch 0
		.amdhsa_float_round_mode_32 0
		.amdhsa_float_round_mode_16_64 0
		.amdhsa_float_denorm_mode_32 3
		.amdhsa_float_denorm_mode_16_64 3
		.amdhsa_dx10_clamp 1
		.amdhsa_ieee_mode 1
		.amdhsa_fp16_overflow 0
		.amdhsa_tg_split 0
		.amdhsa_exception_fp_ieee_invalid_op 0
		.amdhsa_exception_fp_denorm_src 0
		.amdhsa_exception_fp_ieee_div_zero 0
		.amdhsa_exception_fp_ieee_overflow 0
		.amdhsa_exception_fp_ieee_underflow 0
		.amdhsa_exception_fp_ieee_inexact 0
		.amdhsa_exception_int_div_zero 0
	.end_amdhsa_kernel
	.section	.text._ZN7rocprim17ROCPRIM_400000_NS6detail17trampoline_kernelINS0_14default_configENS1_38merge_sort_block_merge_config_selectorIalEEZZNS1_27merge_sort_block_merge_implIS3_PaN6thrust23THRUST_200600_302600_NS10device_ptrIlEEjNS1_19radix_merge_compareILb0ELb1EaNS0_19identity_decomposerEEEEE10hipError_tT0_T1_T2_jT3_P12ihipStream_tbPNSt15iterator_traitsISG_E10value_typeEPNSM_ISH_E10value_typeEPSI_NS1_7vsmem_tEENKUlT_SG_SH_SI_E_clIS7_S7_SB_PlEESF_SV_SG_SH_SI_EUlSV_E1_NS1_11comp_targetILNS1_3genE5ELNS1_11target_archE942ELNS1_3gpuE9ELNS1_3repE0EEENS1_36merge_oddeven_config_static_selectorELNS0_4arch9wavefront6targetE1EEEvSH_,"axG",@progbits,_ZN7rocprim17ROCPRIM_400000_NS6detail17trampoline_kernelINS0_14default_configENS1_38merge_sort_block_merge_config_selectorIalEEZZNS1_27merge_sort_block_merge_implIS3_PaN6thrust23THRUST_200600_302600_NS10device_ptrIlEEjNS1_19radix_merge_compareILb0ELb1EaNS0_19identity_decomposerEEEEE10hipError_tT0_T1_T2_jT3_P12ihipStream_tbPNSt15iterator_traitsISG_E10value_typeEPNSM_ISH_E10value_typeEPSI_NS1_7vsmem_tEENKUlT_SG_SH_SI_E_clIS7_S7_SB_PlEESF_SV_SG_SH_SI_EUlSV_E1_NS1_11comp_targetILNS1_3genE5ELNS1_11target_archE942ELNS1_3gpuE9ELNS1_3repE0EEENS1_36merge_oddeven_config_static_selectorELNS0_4arch9wavefront6targetE1EEEvSH_,comdat
.Lfunc_end576:
	.size	_ZN7rocprim17ROCPRIM_400000_NS6detail17trampoline_kernelINS0_14default_configENS1_38merge_sort_block_merge_config_selectorIalEEZZNS1_27merge_sort_block_merge_implIS3_PaN6thrust23THRUST_200600_302600_NS10device_ptrIlEEjNS1_19radix_merge_compareILb0ELb1EaNS0_19identity_decomposerEEEEE10hipError_tT0_T1_T2_jT3_P12ihipStream_tbPNSt15iterator_traitsISG_E10value_typeEPNSM_ISH_E10value_typeEPSI_NS1_7vsmem_tEENKUlT_SG_SH_SI_E_clIS7_S7_SB_PlEESF_SV_SG_SH_SI_EUlSV_E1_NS1_11comp_targetILNS1_3genE5ELNS1_11target_archE942ELNS1_3gpuE9ELNS1_3repE0EEENS1_36merge_oddeven_config_static_selectorELNS0_4arch9wavefront6targetE1EEEvSH_, .Lfunc_end576-_ZN7rocprim17ROCPRIM_400000_NS6detail17trampoline_kernelINS0_14default_configENS1_38merge_sort_block_merge_config_selectorIalEEZZNS1_27merge_sort_block_merge_implIS3_PaN6thrust23THRUST_200600_302600_NS10device_ptrIlEEjNS1_19radix_merge_compareILb0ELb1EaNS0_19identity_decomposerEEEEE10hipError_tT0_T1_T2_jT3_P12ihipStream_tbPNSt15iterator_traitsISG_E10value_typeEPNSM_ISH_E10value_typeEPSI_NS1_7vsmem_tEENKUlT_SG_SH_SI_E_clIS7_S7_SB_PlEESF_SV_SG_SH_SI_EUlSV_E1_NS1_11comp_targetILNS1_3genE5ELNS1_11target_archE942ELNS1_3gpuE9ELNS1_3repE0EEENS1_36merge_oddeven_config_static_selectorELNS0_4arch9wavefront6targetE1EEEvSH_
                                        ; -- End function
	.section	.AMDGPU.csdata,"",@progbits
; Kernel info:
; codeLenInByte = 0
; NumSgprs: 4
; NumVgprs: 0
; NumAgprs: 0
; TotalNumVgprs: 0
; ScratchSize: 0
; MemoryBound: 0
; FloatMode: 240
; IeeeMode: 1
; LDSByteSize: 0 bytes/workgroup (compile time only)
; SGPRBlocks: 0
; VGPRBlocks: 0
; NumSGPRsForWavesPerEU: 4
; NumVGPRsForWavesPerEU: 1
; AccumOffset: 4
; Occupancy: 8
; WaveLimiterHint : 0
; COMPUTE_PGM_RSRC2:SCRATCH_EN: 0
; COMPUTE_PGM_RSRC2:USER_SGPR: 6
; COMPUTE_PGM_RSRC2:TRAP_HANDLER: 0
; COMPUTE_PGM_RSRC2:TGID_X_EN: 1
; COMPUTE_PGM_RSRC2:TGID_Y_EN: 0
; COMPUTE_PGM_RSRC2:TGID_Z_EN: 0
; COMPUTE_PGM_RSRC2:TIDIG_COMP_CNT: 0
; COMPUTE_PGM_RSRC3_GFX90A:ACCUM_OFFSET: 0
; COMPUTE_PGM_RSRC3_GFX90A:TG_SPLIT: 0
	.section	.text._ZN7rocprim17ROCPRIM_400000_NS6detail17trampoline_kernelINS0_14default_configENS1_38merge_sort_block_merge_config_selectorIalEEZZNS1_27merge_sort_block_merge_implIS3_PaN6thrust23THRUST_200600_302600_NS10device_ptrIlEEjNS1_19radix_merge_compareILb0ELb1EaNS0_19identity_decomposerEEEEE10hipError_tT0_T1_T2_jT3_P12ihipStream_tbPNSt15iterator_traitsISG_E10value_typeEPNSM_ISH_E10value_typeEPSI_NS1_7vsmem_tEENKUlT_SG_SH_SI_E_clIS7_S7_SB_PlEESF_SV_SG_SH_SI_EUlSV_E1_NS1_11comp_targetILNS1_3genE4ELNS1_11target_archE910ELNS1_3gpuE8ELNS1_3repE0EEENS1_36merge_oddeven_config_static_selectorELNS0_4arch9wavefront6targetE1EEEvSH_,"axG",@progbits,_ZN7rocprim17ROCPRIM_400000_NS6detail17trampoline_kernelINS0_14default_configENS1_38merge_sort_block_merge_config_selectorIalEEZZNS1_27merge_sort_block_merge_implIS3_PaN6thrust23THRUST_200600_302600_NS10device_ptrIlEEjNS1_19radix_merge_compareILb0ELb1EaNS0_19identity_decomposerEEEEE10hipError_tT0_T1_T2_jT3_P12ihipStream_tbPNSt15iterator_traitsISG_E10value_typeEPNSM_ISH_E10value_typeEPSI_NS1_7vsmem_tEENKUlT_SG_SH_SI_E_clIS7_S7_SB_PlEESF_SV_SG_SH_SI_EUlSV_E1_NS1_11comp_targetILNS1_3genE4ELNS1_11target_archE910ELNS1_3gpuE8ELNS1_3repE0EEENS1_36merge_oddeven_config_static_selectorELNS0_4arch9wavefront6targetE1EEEvSH_,comdat
	.protected	_ZN7rocprim17ROCPRIM_400000_NS6detail17trampoline_kernelINS0_14default_configENS1_38merge_sort_block_merge_config_selectorIalEEZZNS1_27merge_sort_block_merge_implIS3_PaN6thrust23THRUST_200600_302600_NS10device_ptrIlEEjNS1_19radix_merge_compareILb0ELb1EaNS0_19identity_decomposerEEEEE10hipError_tT0_T1_T2_jT3_P12ihipStream_tbPNSt15iterator_traitsISG_E10value_typeEPNSM_ISH_E10value_typeEPSI_NS1_7vsmem_tEENKUlT_SG_SH_SI_E_clIS7_S7_SB_PlEESF_SV_SG_SH_SI_EUlSV_E1_NS1_11comp_targetILNS1_3genE4ELNS1_11target_archE910ELNS1_3gpuE8ELNS1_3repE0EEENS1_36merge_oddeven_config_static_selectorELNS0_4arch9wavefront6targetE1EEEvSH_ ; -- Begin function _ZN7rocprim17ROCPRIM_400000_NS6detail17trampoline_kernelINS0_14default_configENS1_38merge_sort_block_merge_config_selectorIalEEZZNS1_27merge_sort_block_merge_implIS3_PaN6thrust23THRUST_200600_302600_NS10device_ptrIlEEjNS1_19radix_merge_compareILb0ELb1EaNS0_19identity_decomposerEEEEE10hipError_tT0_T1_T2_jT3_P12ihipStream_tbPNSt15iterator_traitsISG_E10value_typeEPNSM_ISH_E10value_typeEPSI_NS1_7vsmem_tEENKUlT_SG_SH_SI_E_clIS7_S7_SB_PlEESF_SV_SG_SH_SI_EUlSV_E1_NS1_11comp_targetILNS1_3genE4ELNS1_11target_archE910ELNS1_3gpuE8ELNS1_3repE0EEENS1_36merge_oddeven_config_static_selectorELNS0_4arch9wavefront6targetE1EEEvSH_
	.globl	_ZN7rocprim17ROCPRIM_400000_NS6detail17trampoline_kernelINS0_14default_configENS1_38merge_sort_block_merge_config_selectorIalEEZZNS1_27merge_sort_block_merge_implIS3_PaN6thrust23THRUST_200600_302600_NS10device_ptrIlEEjNS1_19radix_merge_compareILb0ELb1EaNS0_19identity_decomposerEEEEE10hipError_tT0_T1_T2_jT3_P12ihipStream_tbPNSt15iterator_traitsISG_E10value_typeEPNSM_ISH_E10value_typeEPSI_NS1_7vsmem_tEENKUlT_SG_SH_SI_E_clIS7_S7_SB_PlEESF_SV_SG_SH_SI_EUlSV_E1_NS1_11comp_targetILNS1_3genE4ELNS1_11target_archE910ELNS1_3gpuE8ELNS1_3repE0EEENS1_36merge_oddeven_config_static_selectorELNS0_4arch9wavefront6targetE1EEEvSH_
	.p2align	8
	.type	_ZN7rocprim17ROCPRIM_400000_NS6detail17trampoline_kernelINS0_14default_configENS1_38merge_sort_block_merge_config_selectorIalEEZZNS1_27merge_sort_block_merge_implIS3_PaN6thrust23THRUST_200600_302600_NS10device_ptrIlEEjNS1_19radix_merge_compareILb0ELb1EaNS0_19identity_decomposerEEEEE10hipError_tT0_T1_T2_jT3_P12ihipStream_tbPNSt15iterator_traitsISG_E10value_typeEPNSM_ISH_E10value_typeEPSI_NS1_7vsmem_tEENKUlT_SG_SH_SI_E_clIS7_S7_SB_PlEESF_SV_SG_SH_SI_EUlSV_E1_NS1_11comp_targetILNS1_3genE4ELNS1_11target_archE910ELNS1_3gpuE8ELNS1_3repE0EEENS1_36merge_oddeven_config_static_selectorELNS0_4arch9wavefront6targetE1EEEvSH_,@function
_ZN7rocprim17ROCPRIM_400000_NS6detail17trampoline_kernelINS0_14default_configENS1_38merge_sort_block_merge_config_selectorIalEEZZNS1_27merge_sort_block_merge_implIS3_PaN6thrust23THRUST_200600_302600_NS10device_ptrIlEEjNS1_19radix_merge_compareILb0ELb1EaNS0_19identity_decomposerEEEEE10hipError_tT0_T1_T2_jT3_P12ihipStream_tbPNSt15iterator_traitsISG_E10value_typeEPNSM_ISH_E10value_typeEPSI_NS1_7vsmem_tEENKUlT_SG_SH_SI_E_clIS7_S7_SB_PlEESF_SV_SG_SH_SI_EUlSV_E1_NS1_11comp_targetILNS1_3genE4ELNS1_11target_archE910ELNS1_3gpuE8ELNS1_3repE0EEENS1_36merge_oddeven_config_static_selectorELNS0_4arch9wavefront6targetE1EEEvSH_: ; @_ZN7rocprim17ROCPRIM_400000_NS6detail17trampoline_kernelINS0_14default_configENS1_38merge_sort_block_merge_config_selectorIalEEZZNS1_27merge_sort_block_merge_implIS3_PaN6thrust23THRUST_200600_302600_NS10device_ptrIlEEjNS1_19radix_merge_compareILb0ELb1EaNS0_19identity_decomposerEEEEE10hipError_tT0_T1_T2_jT3_P12ihipStream_tbPNSt15iterator_traitsISG_E10value_typeEPNSM_ISH_E10value_typeEPSI_NS1_7vsmem_tEENKUlT_SG_SH_SI_E_clIS7_S7_SB_PlEESF_SV_SG_SH_SI_EUlSV_E1_NS1_11comp_targetILNS1_3genE4ELNS1_11target_archE910ELNS1_3gpuE8ELNS1_3repE0EEENS1_36merge_oddeven_config_static_selectorELNS0_4arch9wavefront6targetE1EEEvSH_
; %bb.0:
	s_load_dword s21, s[4:5], 0x20
	s_waitcnt lgkmcnt(0)
	s_lshr_b32 s2, s21, 8
	s_cmp_lg_u32 s6, s2
	s_cselect_b64 s[0:1], -1, 0
	s_cmp_eq_u32 s6, s2
	s_cselect_b64 s[16:17], -1, 0
	s_lshl_b32 s18, s6, 8
	s_sub_i32 s2, s21, s18
	v_cmp_gt_u32_e64 s[2:3], s2, v0
	s_or_b64 s[0:1], s[0:1], s[2:3]
	s_and_saveexec_b64 s[8:9], s[0:1]
	s_cbranch_execz .LBB577_26
; %bb.1:
	s_load_dwordx8 s[8:15], s[4:5], 0x0
	s_mov_b32 s19, 0
	v_lshlrev_b32_e32 v1, 3, v0
	v_add_u32_e32 v4, s18, v0
	s_waitcnt lgkmcnt(0)
	s_add_u32 s0, s8, s18
	s_addc_u32 s1, s9, 0
	s_lshl_b64 s[22:23], s[18:19], 3
	s_add_u32 s12, s12, s22
	s_addc_u32 s13, s13, s23
	global_load_dwordx2 v[2:3], v1, s[12:13]
	global_load_ubyte v6, v0, s[0:1]
	s_load_dword s22, s[4:5], 0x24
	s_waitcnt lgkmcnt(0)
	s_lshr_b32 s0, s22, 8
	s_sub_i32 s1, 0, s0
	s_and_b32 s1, s6, s1
	s_and_b32 s0, s1, s0
	s_lshl_b32 s23, s1, 8
	s_sub_i32 s12, 0, s22
	s_cmp_eq_u32 s0, 0
	s_cselect_b64 s[0:1], -1, 0
	s_and_b64 s[6:7], s[0:1], exec
	s_cselect_b32 s20, s22, s12
	s_add_i32 s20, s20, s23
	s_cmp_lt_u32 s20, s21
	s_cbranch_scc1 .LBB577_6
; %bb.2:
	s_and_b64 vcc, exec, s[16:17]
	s_cbranch_vccz .LBB577_7
; %bb.3:
	v_cmp_gt_u32_e32 vcc, s21, v4
	s_mov_b64 s[12:13], 0
	s_mov_b64 s[6:7], 0
                                        ; implicit-def: $vgpr0_vgpr1
	s_and_saveexec_b64 s[18:19], vcc
	s_cbranch_execz .LBB577_5
; %bb.4:
	v_mov_b32_e32 v5, 0
	v_lshlrev_b64 v[0:1], 3, v[4:5]
	v_mov_b32_e32 v5, s15
	v_add_co_u32_e32 v0, vcc, s14, v0
	s_mov_b64 s[6:7], exec
	v_addc_co_u32_e32 v1, vcc, v5, v1, vcc
	s_waitcnt vmcnt(0)
	global_store_byte v4, v6, s[10:11]
.LBB577_5:
	s_or_b64 exec, exec, s[18:19]
	s_and_b64 vcc, exec, s[12:13]
	s_cbranch_vccnz .LBB577_8
	s_branch .LBB577_9
.LBB577_6:
	s_mov_b64 s[6:7], 0
                                        ; implicit-def: $vgpr0_vgpr1
	s_cbranch_execnz .LBB577_10
	s_branch .LBB577_24
.LBB577_7:
	s_mov_b64 s[6:7], 0
                                        ; implicit-def: $vgpr0_vgpr1
	s_cbranch_execz .LBB577_9
.LBB577_8:
	v_mov_b32_e32 v5, 0
	v_lshlrev_b64 v[0:1], 3, v[4:5]
	v_mov_b32_e32 v5, s15
	v_add_co_u32_e32 v0, vcc, s14, v0
	v_addc_co_u32_e32 v1, vcc, v5, v1, vcc
	s_or_b64 s[6:7], s[6:7], exec
	s_waitcnt vmcnt(0)
	global_store_byte v4, v6, s[10:11]
.LBB577_9:
	s_branch .LBB577_24
.LBB577_10:
	s_load_dword s12, s[4:5], 0x28
	s_min_u32 s13, s20, s21
	s_add_i32 s4, s13, s22
	s_min_u32 s18, s4, s21
	s_min_u32 s4, s23, s13
	s_add_i32 s23, s23, s13
	v_subrev_u32_e32 v0, s23, v4
	v_add_u32_e32 v4, s4, v0
	s_and_b64 vcc, exec, s[16:17]
	s_cbranch_vccz .LBB577_18
; %bb.11:
                                        ; implicit-def: $vgpr0_vgpr1
	s_and_saveexec_b64 s[4:5], s[2:3]
	s_cbranch_execz .LBB577_17
; %bb.12:
	s_cmp_ge_u32 s20, s18
	v_mov_b32_e32 v0, s13
	s_cbranch_scc1 .LBB577_16
; %bb.13:
	s_waitcnt vmcnt(0) lgkmcnt(0)
	v_and_b32_e32 v1, s12, v6
	s_mov_b64 s[2:3], 0
	v_mov_b32_e32 v5, s18
	v_mov_b32_e32 v0, s13
.LBB577_14:                             ; =>This Inner Loop Header: Depth=1
	v_add_u32_e32 v7, v0, v5
	v_lshrrev_b32_e32 v7, 1, v7
	global_load_ubyte v8, v7, s[8:9]
	v_add_u32_e32 v9, 1, v7
	s_waitcnt vmcnt(0)
	v_and_b32_e32 v8, s12, v8
	v_bfe_i32 v8, v8, 0, 8
	v_cmp_gt_i16_sdwa s[16:17], sext(v1), v8 src0_sel:BYTE_0 src1_sel:DWORD
	v_cndmask_b32_e64 v10, 0, 1, s[16:17]
	v_cmp_le_i16_sdwa s[16:17], v8, sext(v1) src0_sel:DWORD src1_sel:BYTE_0
	v_cndmask_b32_e64 v8, 0, 1, s[16:17]
	v_cndmask_b32_e64 v8, v8, v10, s[0:1]
	v_and_b32_e32 v8, 1, v8
	v_cmp_eq_u32_e32 vcc, 1, v8
	v_cndmask_b32_e32 v5, v7, v5, vcc
	v_cndmask_b32_e32 v0, v0, v9, vcc
	v_cmp_ge_u32_e32 vcc, v0, v5
	s_or_b64 s[2:3], vcc, s[2:3]
	s_andn2_b64 exec, exec, s[2:3]
	s_cbranch_execnz .LBB577_14
; %bb.15:
	s_or_b64 exec, exec, s[2:3]
.LBB577_16:
	v_add_u32_e32 v0, v0, v4
	v_mov_b32_e32 v1, 0
	s_waitcnt vmcnt(0)
	global_store_byte v0, v6, s[10:11]
	v_lshlrev_b64 v[0:1], 3, v[0:1]
	v_mov_b32_e32 v5, s15
	v_add_co_u32_e32 v0, vcc, s14, v0
	v_addc_co_u32_e32 v1, vcc, v5, v1, vcc
	s_or_b64 s[6:7], s[6:7], exec
.LBB577_17:
	s_or_b64 exec, exec, s[4:5]
	s_branch .LBB577_24
.LBB577_18:
                                        ; implicit-def: $vgpr0_vgpr1
	s_cbranch_execz .LBB577_24
; %bb.19:
	s_cmp_ge_u32 s20, s18
	v_mov_b32_e32 v0, s13
	s_cbranch_scc1 .LBB577_23
; %bb.20:
	s_waitcnt vmcnt(0) lgkmcnt(0)
	v_and_b32_e32 v1, s12, v6
	s_mov_b64 s[2:3], 0
	v_mov_b32_e32 v5, s18
	v_mov_b32_e32 v0, s13
.LBB577_21:                             ; =>This Inner Loop Header: Depth=1
	v_add_u32_e32 v7, v0, v5
	v_lshrrev_b32_e32 v7, 1, v7
	global_load_ubyte v8, v7, s[8:9]
	v_add_u32_e32 v9, 1, v7
	s_waitcnt vmcnt(0)
	v_and_b32_e32 v8, s12, v8
	v_bfe_i32 v8, v8, 0, 8
	v_cmp_gt_i16_sdwa s[4:5], sext(v1), v8 src0_sel:BYTE_0 src1_sel:DWORD
	v_cndmask_b32_e64 v10, 0, 1, s[4:5]
	v_cmp_le_i16_sdwa s[4:5], v8, sext(v1) src0_sel:DWORD src1_sel:BYTE_0
	v_cndmask_b32_e64 v8, 0, 1, s[4:5]
	v_cndmask_b32_e64 v8, v8, v10, s[0:1]
	v_and_b32_e32 v8, 1, v8
	v_cmp_eq_u32_e32 vcc, 1, v8
	v_cndmask_b32_e32 v5, v7, v5, vcc
	v_cndmask_b32_e32 v0, v0, v9, vcc
	v_cmp_ge_u32_e32 vcc, v0, v5
	s_or_b64 s[2:3], vcc, s[2:3]
	s_andn2_b64 exec, exec, s[2:3]
	s_cbranch_execnz .LBB577_21
; %bb.22:
	s_or_b64 exec, exec, s[2:3]
.LBB577_23:
	v_add_u32_e32 v0, v0, v4
	v_mov_b32_e32 v1, 0
	s_waitcnt vmcnt(0)
	global_store_byte v0, v6, s[10:11]
	v_lshlrev_b64 v[0:1], 3, v[0:1]
	v_mov_b32_e32 v4, s15
	v_add_co_u32_e32 v0, vcc, s14, v0
	v_addc_co_u32_e32 v1, vcc, v4, v1, vcc
	s_mov_b64 s[6:7], -1
.LBB577_24:
	s_and_b64 exec, exec, s[6:7]
	s_cbranch_execz .LBB577_26
; %bb.25:
	s_waitcnt vmcnt(1)
	global_store_dwordx2 v[0:1], v[2:3], off
.LBB577_26:
	s_endpgm
	.section	.rodata,"a",@progbits
	.p2align	6, 0x0
	.amdhsa_kernel _ZN7rocprim17ROCPRIM_400000_NS6detail17trampoline_kernelINS0_14default_configENS1_38merge_sort_block_merge_config_selectorIalEEZZNS1_27merge_sort_block_merge_implIS3_PaN6thrust23THRUST_200600_302600_NS10device_ptrIlEEjNS1_19radix_merge_compareILb0ELb1EaNS0_19identity_decomposerEEEEE10hipError_tT0_T1_T2_jT3_P12ihipStream_tbPNSt15iterator_traitsISG_E10value_typeEPNSM_ISH_E10value_typeEPSI_NS1_7vsmem_tEENKUlT_SG_SH_SI_E_clIS7_S7_SB_PlEESF_SV_SG_SH_SI_EUlSV_E1_NS1_11comp_targetILNS1_3genE4ELNS1_11target_archE910ELNS1_3gpuE8ELNS1_3repE0EEENS1_36merge_oddeven_config_static_selectorELNS0_4arch9wavefront6targetE1EEEvSH_
		.amdhsa_group_segment_fixed_size 0
		.amdhsa_private_segment_fixed_size 0
		.amdhsa_kernarg_size 48
		.amdhsa_user_sgpr_count 6
		.amdhsa_user_sgpr_private_segment_buffer 1
		.amdhsa_user_sgpr_dispatch_ptr 0
		.amdhsa_user_sgpr_queue_ptr 0
		.amdhsa_user_sgpr_kernarg_segment_ptr 1
		.amdhsa_user_sgpr_dispatch_id 0
		.amdhsa_user_sgpr_flat_scratch_init 0
		.amdhsa_user_sgpr_kernarg_preload_length 0
		.amdhsa_user_sgpr_kernarg_preload_offset 0
		.amdhsa_user_sgpr_private_segment_size 0
		.amdhsa_uses_dynamic_stack 0
		.amdhsa_system_sgpr_private_segment_wavefront_offset 0
		.amdhsa_system_sgpr_workgroup_id_x 1
		.amdhsa_system_sgpr_workgroup_id_y 0
		.amdhsa_system_sgpr_workgroup_id_z 0
		.amdhsa_system_sgpr_workgroup_info 0
		.amdhsa_system_vgpr_workitem_id 0
		.amdhsa_next_free_vgpr 11
		.amdhsa_next_free_sgpr 24
		.amdhsa_accum_offset 12
		.amdhsa_reserve_vcc 1
		.amdhsa_reserve_flat_scratch 0
		.amdhsa_float_round_mode_32 0
		.amdhsa_float_round_mode_16_64 0
		.amdhsa_float_denorm_mode_32 3
		.amdhsa_float_denorm_mode_16_64 3
		.amdhsa_dx10_clamp 1
		.amdhsa_ieee_mode 1
		.amdhsa_fp16_overflow 0
		.amdhsa_tg_split 0
		.amdhsa_exception_fp_ieee_invalid_op 0
		.amdhsa_exception_fp_denorm_src 0
		.amdhsa_exception_fp_ieee_div_zero 0
		.amdhsa_exception_fp_ieee_overflow 0
		.amdhsa_exception_fp_ieee_underflow 0
		.amdhsa_exception_fp_ieee_inexact 0
		.amdhsa_exception_int_div_zero 0
	.end_amdhsa_kernel
	.section	.text._ZN7rocprim17ROCPRIM_400000_NS6detail17trampoline_kernelINS0_14default_configENS1_38merge_sort_block_merge_config_selectorIalEEZZNS1_27merge_sort_block_merge_implIS3_PaN6thrust23THRUST_200600_302600_NS10device_ptrIlEEjNS1_19radix_merge_compareILb0ELb1EaNS0_19identity_decomposerEEEEE10hipError_tT0_T1_T2_jT3_P12ihipStream_tbPNSt15iterator_traitsISG_E10value_typeEPNSM_ISH_E10value_typeEPSI_NS1_7vsmem_tEENKUlT_SG_SH_SI_E_clIS7_S7_SB_PlEESF_SV_SG_SH_SI_EUlSV_E1_NS1_11comp_targetILNS1_3genE4ELNS1_11target_archE910ELNS1_3gpuE8ELNS1_3repE0EEENS1_36merge_oddeven_config_static_selectorELNS0_4arch9wavefront6targetE1EEEvSH_,"axG",@progbits,_ZN7rocprim17ROCPRIM_400000_NS6detail17trampoline_kernelINS0_14default_configENS1_38merge_sort_block_merge_config_selectorIalEEZZNS1_27merge_sort_block_merge_implIS3_PaN6thrust23THRUST_200600_302600_NS10device_ptrIlEEjNS1_19radix_merge_compareILb0ELb1EaNS0_19identity_decomposerEEEEE10hipError_tT0_T1_T2_jT3_P12ihipStream_tbPNSt15iterator_traitsISG_E10value_typeEPNSM_ISH_E10value_typeEPSI_NS1_7vsmem_tEENKUlT_SG_SH_SI_E_clIS7_S7_SB_PlEESF_SV_SG_SH_SI_EUlSV_E1_NS1_11comp_targetILNS1_3genE4ELNS1_11target_archE910ELNS1_3gpuE8ELNS1_3repE0EEENS1_36merge_oddeven_config_static_selectorELNS0_4arch9wavefront6targetE1EEEvSH_,comdat
.Lfunc_end577:
	.size	_ZN7rocprim17ROCPRIM_400000_NS6detail17trampoline_kernelINS0_14default_configENS1_38merge_sort_block_merge_config_selectorIalEEZZNS1_27merge_sort_block_merge_implIS3_PaN6thrust23THRUST_200600_302600_NS10device_ptrIlEEjNS1_19radix_merge_compareILb0ELb1EaNS0_19identity_decomposerEEEEE10hipError_tT0_T1_T2_jT3_P12ihipStream_tbPNSt15iterator_traitsISG_E10value_typeEPNSM_ISH_E10value_typeEPSI_NS1_7vsmem_tEENKUlT_SG_SH_SI_E_clIS7_S7_SB_PlEESF_SV_SG_SH_SI_EUlSV_E1_NS1_11comp_targetILNS1_3genE4ELNS1_11target_archE910ELNS1_3gpuE8ELNS1_3repE0EEENS1_36merge_oddeven_config_static_selectorELNS0_4arch9wavefront6targetE1EEEvSH_, .Lfunc_end577-_ZN7rocprim17ROCPRIM_400000_NS6detail17trampoline_kernelINS0_14default_configENS1_38merge_sort_block_merge_config_selectorIalEEZZNS1_27merge_sort_block_merge_implIS3_PaN6thrust23THRUST_200600_302600_NS10device_ptrIlEEjNS1_19radix_merge_compareILb0ELb1EaNS0_19identity_decomposerEEEEE10hipError_tT0_T1_T2_jT3_P12ihipStream_tbPNSt15iterator_traitsISG_E10value_typeEPNSM_ISH_E10value_typeEPSI_NS1_7vsmem_tEENKUlT_SG_SH_SI_E_clIS7_S7_SB_PlEESF_SV_SG_SH_SI_EUlSV_E1_NS1_11comp_targetILNS1_3genE4ELNS1_11target_archE910ELNS1_3gpuE8ELNS1_3repE0EEENS1_36merge_oddeven_config_static_selectorELNS0_4arch9wavefront6targetE1EEEvSH_
                                        ; -- End function
	.section	.AMDGPU.csdata,"",@progbits
; Kernel info:
; codeLenInByte = 796
; NumSgprs: 28
; NumVgprs: 11
; NumAgprs: 0
; TotalNumVgprs: 11
; ScratchSize: 0
; MemoryBound: 0
; FloatMode: 240
; IeeeMode: 1
; LDSByteSize: 0 bytes/workgroup (compile time only)
; SGPRBlocks: 3
; VGPRBlocks: 1
; NumSGPRsForWavesPerEU: 28
; NumVGPRsForWavesPerEU: 11
; AccumOffset: 12
; Occupancy: 8
; WaveLimiterHint : 0
; COMPUTE_PGM_RSRC2:SCRATCH_EN: 0
; COMPUTE_PGM_RSRC2:USER_SGPR: 6
; COMPUTE_PGM_RSRC2:TRAP_HANDLER: 0
; COMPUTE_PGM_RSRC2:TGID_X_EN: 1
; COMPUTE_PGM_RSRC2:TGID_Y_EN: 0
; COMPUTE_PGM_RSRC2:TGID_Z_EN: 0
; COMPUTE_PGM_RSRC2:TIDIG_COMP_CNT: 0
; COMPUTE_PGM_RSRC3_GFX90A:ACCUM_OFFSET: 2
; COMPUTE_PGM_RSRC3_GFX90A:TG_SPLIT: 0
	.section	.text._ZN7rocprim17ROCPRIM_400000_NS6detail17trampoline_kernelINS0_14default_configENS1_38merge_sort_block_merge_config_selectorIalEEZZNS1_27merge_sort_block_merge_implIS3_PaN6thrust23THRUST_200600_302600_NS10device_ptrIlEEjNS1_19radix_merge_compareILb0ELb1EaNS0_19identity_decomposerEEEEE10hipError_tT0_T1_T2_jT3_P12ihipStream_tbPNSt15iterator_traitsISG_E10value_typeEPNSM_ISH_E10value_typeEPSI_NS1_7vsmem_tEENKUlT_SG_SH_SI_E_clIS7_S7_SB_PlEESF_SV_SG_SH_SI_EUlSV_E1_NS1_11comp_targetILNS1_3genE3ELNS1_11target_archE908ELNS1_3gpuE7ELNS1_3repE0EEENS1_36merge_oddeven_config_static_selectorELNS0_4arch9wavefront6targetE1EEEvSH_,"axG",@progbits,_ZN7rocprim17ROCPRIM_400000_NS6detail17trampoline_kernelINS0_14default_configENS1_38merge_sort_block_merge_config_selectorIalEEZZNS1_27merge_sort_block_merge_implIS3_PaN6thrust23THRUST_200600_302600_NS10device_ptrIlEEjNS1_19radix_merge_compareILb0ELb1EaNS0_19identity_decomposerEEEEE10hipError_tT0_T1_T2_jT3_P12ihipStream_tbPNSt15iterator_traitsISG_E10value_typeEPNSM_ISH_E10value_typeEPSI_NS1_7vsmem_tEENKUlT_SG_SH_SI_E_clIS7_S7_SB_PlEESF_SV_SG_SH_SI_EUlSV_E1_NS1_11comp_targetILNS1_3genE3ELNS1_11target_archE908ELNS1_3gpuE7ELNS1_3repE0EEENS1_36merge_oddeven_config_static_selectorELNS0_4arch9wavefront6targetE1EEEvSH_,comdat
	.protected	_ZN7rocprim17ROCPRIM_400000_NS6detail17trampoline_kernelINS0_14default_configENS1_38merge_sort_block_merge_config_selectorIalEEZZNS1_27merge_sort_block_merge_implIS3_PaN6thrust23THRUST_200600_302600_NS10device_ptrIlEEjNS1_19radix_merge_compareILb0ELb1EaNS0_19identity_decomposerEEEEE10hipError_tT0_T1_T2_jT3_P12ihipStream_tbPNSt15iterator_traitsISG_E10value_typeEPNSM_ISH_E10value_typeEPSI_NS1_7vsmem_tEENKUlT_SG_SH_SI_E_clIS7_S7_SB_PlEESF_SV_SG_SH_SI_EUlSV_E1_NS1_11comp_targetILNS1_3genE3ELNS1_11target_archE908ELNS1_3gpuE7ELNS1_3repE0EEENS1_36merge_oddeven_config_static_selectorELNS0_4arch9wavefront6targetE1EEEvSH_ ; -- Begin function _ZN7rocprim17ROCPRIM_400000_NS6detail17trampoline_kernelINS0_14default_configENS1_38merge_sort_block_merge_config_selectorIalEEZZNS1_27merge_sort_block_merge_implIS3_PaN6thrust23THRUST_200600_302600_NS10device_ptrIlEEjNS1_19radix_merge_compareILb0ELb1EaNS0_19identity_decomposerEEEEE10hipError_tT0_T1_T2_jT3_P12ihipStream_tbPNSt15iterator_traitsISG_E10value_typeEPNSM_ISH_E10value_typeEPSI_NS1_7vsmem_tEENKUlT_SG_SH_SI_E_clIS7_S7_SB_PlEESF_SV_SG_SH_SI_EUlSV_E1_NS1_11comp_targetILNS1_3genE3ELNS1_11target_archE908ELNS1_3gpuE7ELNS1_3repE0EEENS1_36merge_oddeven_config_static_selectorELNS0_4arch9wavefront6targetE1EEEvSH_
	.globl	_ZN7rocprim17ROCPRIM_400000_NS6detail17trampoline_kernelINS0_14default_configENS1_38merge_sort_block_merge_config_selectorIalEEZZNS1_27merge_sort_block_merge_implIS3_PaN6thrust23THRUST_200600_302600_NS10device_ptrIlEEjNS1_19radix_merge_compareILb0ELb1EaNS0_19identity_decomposerEEEEE10hipError_tT0_T1_T2_jT3_P12ihipStream_tbPNSt15iterator_traitsISG_E10value_typeEPNSM_ISH_E10value_typeEPSI_NS1_7vsmem_tEENKUlT_SG_SH_SI_E_clIS7_S7_SB_PlEESF_SV_SG_SH_SI_EUlSV_E1_NS1_11comp_targetILNS1_3genE3ELNS1_11target_archE908ELNS1_3gpuE7ELNS1_3repE0EEENS1_36merge_oddeven_config_static_selectorELNS0_4arch9wavefront6targetE1EEEvSH_
	.p2align	8
	.type	_ZN7rocprim17ROCPRIM_400000_NS6detail17trampoline_kernelINS0_14default_configENS1_38merge_sort_block_merge_config_selectorIalEEZZNS1_27merge_sort_block_merge_implIS3_PaN6thrust23THRUST_200600_302600_NS10device_ptrIlEEjNS1_19radix_merge_compareILb0ELb1EaNS0_19identity_decomposerEEEEE10hipError_tT0_T1_T2_jT3_P12ihipStream_tbPNSt15iterator_traitsISG_E10value_typeEPNSM_ISH_E10value_typeEPSI_NS1_7vsmem_tEENKUlT_SG_SH_SI_E_clIS7_S7_SB_PlEESF_SV_SG_SH_SI_EUlSV_E1_NS1_11comp_targetILNS1_3genE3ELNS1_11target_archE908ELNS1_3gpuE7ELNS1_3repE0EEENS1_36merge_oddeven_config_static_selectorELNS0_4arch9wavefront6targetE1EEEvSH_,@function
_ZN7rocprim17ROCPRIM_400000_NS6detail17trampoline_kernelINS0_14default_configENS1_38merge_sort_block_merge_config_selectorIalEEZZNS1_27merge_sort_block_merge_implIS3_PaN6thrust23THRUST_200600_302600_NS10device_ptrIlEEjNS1_19radix_merge_compareILb0ELb1EaNS0_19identity_decomposerEEEEE10hipError_tT0_T1_T2_jT3_P12ihipStream_tbPNSt15iterator_traitsISG_E10value_typeEPNSM_ISH_E10value_typeEPSI_NS1_7vsmem_tEENKUlT_SG_SH_SI_E_clIS7_S7_SB_PlEESF_SV_SG_SH_SI_EUlSV_E1_NS1_11comp_targetILNS1_3genE3ELNS1_11target_archE908ELNS1_3gpuE7ELNS1_3repE0EEENS1_36merge_oddeven_config_static_selectorELNS0_4arch9wavefront6targetE1EEEvSH_: ; @_ZN7rocprim17ROCPRIM_400000_NS6detail17trampoline_kernelINS0_14default_configENS1_38merge_sort_block_merge_config_selectorIalEEZZNS1_27merge_sort_block_merge_implIS3_PaN6thrust23THRUST_200600_302600_NS10device_ptrIlEEjNS1_19radix_merge_compareILb0ELb1EaNS0_19identity_decomposerEEEEE10hipError_tT0_T1_T2_jT3_P12ihipStream_tbPNSt15iterator_traitsISG_E10value_typeEPNSM_ISH_E10value_typeEPSI_NS1_7vsmem_tEENKUlT_SG_SH_SI_E_clIS7_S7_SB_PlEESF_SV_SG_SH_SI_EUlSV_E1_NS1_11comp_targetILNS1_3genE3ELNS1_11target_archE908ELNS1_3gpuE7ELNS1_3repE0EEENS1_36merge_oddeven_config_static_selectorELNS0_4arch9wavefront6targetE1EEEvSH_
; %bb.0:
	.section	.rodata,"a",@progbits
	.p2align	6, 0x0
	.amdhsa_kernel _ZN7rocprim17ROCPRIM_400000_NS6detail17trampoline_kernelINS0_14default_configENS1_38merge_sort_block_merge_config_selectorIalEEZZNS1_27merge_sort_block_merge_implIS3_PaN6thrust23THRUST_200600_302600_NS10device_ptrIlEEjNS1_19radix_merge_compareILb0ELb1EaNS0_19identity_decomposerEEEEE10hipError_tT0_T1_T2_jT3_P12ihipStream_tbPNSt15iterator_traitsISG_E10value_typeEPNSM_ISH_E10value_typeEPSI_NS1_7vsmem_tEENKUlT_SG_SH_SI_E_clIS7_S7_SB_PlEESF_SV_SG_SH_SI_EUlSV_E1_NS1_11comp_targetILNS1_3genE3ELNS1_11target_archE908ELNS1_3gpuE7ELNS1_3repE0EEENS1_36merge_oddeven_config_static_selectorELNS0_4arch9wavefront6targetE1EEEvSH_
		.amdhsa_group_segment_fixed_size 0
		.amdhsa_private_segment_fixed_size 0
		.amdhsa_kernarg_size 48
		.amdhsa_user_sgpr_count 6
		.amdhsa_user_sgpr_private_segment_buffer 1
		.amdhsa_user_sgpr_dispatch_ptr 0
		.amdhsa_user_sgpr_queue_ptr 0
		.amdhsa_user_sgpr_kernarg_segment_ptr 1
		.amdhsa_user_sgpr_dispatch_id 0
		.amdhsa_user_sgpr_flat_scratch_init 0
		.amdhsa_user_sgpr_kernarg_preload_length 0
		.amdhsa_user_sgpr_kernarg_preload_offset 0
		.amdhsa_user_sgpr_private_segment_size 0
		.amdhsa_uses_dynamic_stack 0
		.amdhsa_system_sgpr_private_segment_wavefront_offset 0
		.amdhsa_system_sgpr_workgroup_id_x 1
		.amdhsa_system_sgpr_workgroup_id_y 0
		.amdhsa_system_sgpr_workgroup_id_z 0
		.amdhsa_system_sgpr_workgroup_info 0
		.amdhsa_system_vgpr_workitem_id 0
		.amdhsa_next_free_vgpr 1
		.amdhsa_next_free_sgpr 0
		.amdhsa_accum_offset 4
		.amdhsa_reserve_vcc 0
		.amdhsa_reserve_flat_scratch 0
		.amdhsa_float_round_mode_32 0
		.amdhsa_float_round_mode_16_64 0
		.amdhsa_float_denorm_mode_32 3
		.amdhsa_float_denorm_mode_16_64 3
		.amdhsa_dx10_clamp 1
		.amdhsa_ieee_mode 1
		.amdhsa_fp16_overflow 0
		.amdhsa_tg_split 0
		.amdhsa_exception_fp_ieee_invalid_op 0
		.amdhsa_exception_fp_denorm_src 0
		.amdhsa_exception_fp_ieee_div_zero 0
		.amdhsa_exception_fp_ieee_overflow 0
		.amdhsa_exception_fp_ieee_underflow 0
		.amdhsa_exception_fp_ieee_inexact 0
		.amdhsa_exception_int_div_zero 0
	.end_amdhsa_kernel
	.section	.text._ZN7rocprim17ROCPRIM_400000_NS6detail17trampoline_kernelINS0_14default_configENS1_38merge_sort_block_merge_config_selectorIalEEZZNS1_27merge_sort_block_merge_implIS3_PaN6thrust23THRUST_200600_302600_NS10device_ptrIlEEjNS1_19radix_merge_compareILb0ELb1EaNS0_19identity_decomposerEEEEE10hipError_tT0_T1_T2_jT3_P12ihipStream_tbPNSt15iterator_traitsISG_E10value_typeEPNSM_ISH_E10value_typeEPSI_NS1_7vsmem_tEENKUlT_SG_SH_SI_E_clIS7_S7_SB_PlEESF_SV_SG_SH_SI_EUlSV_E1_NS1_11comp_targetILNS1_3genE3ELNS1_11target_archE908ELNS1_3gpuE7ELNS1_3repE0EEENS1_36merge_oddeven_config_static_selectorELNS0_4arch9wavefront6targetE1EEEvSH_,"axG",@progbits,_ZN7rocprim17ROCPRIM_400000_NS6detail17trampoline_kernelINS0_14default_configENS1_38merge_sort_block_merge_config_selectorIalEEZZNS1_27merge_sort_block_merge_implIS3_PaN6thrust23THRUST_200600_302600_NS10device_ptrIlEEjNS1_19radix_merge_compareILb0ELb1EaNS0_19identity_decomposerEEEEE10hipError_tT0_T1_T2_jT3_P12ihipStream_tbPNSt15iterator_traitsISG_E10value_typeEPNSM_ISH_E10value_typeEPSI_NS1_7vsmem_tEENKUlT_SG_SH_SI_E_clIS7_S7_SB_PlEESF_SV_SG_SH_SI_EUlSV_E1_NS1_11comp_targetILNS1_3genE3ELNS1_11target_archE908ELNS1_3gpuE7ELNS1_3repE0EEENS1_36merge_oddeven_config_static_selectorELNS0_4arch9wavefront6targetE1EEEvSH_,comdat
.Lfunc_end578:
	.size	_ZN7rocprim17ROCPRIM_400000_NS6detail17trampoline_kernelINS0_14default_configENS1_38merge_sort_block_merge_config_selectorIalEEZZNS1_27merge_sort_block_merge_implIS3_PaN6thrust23THRUST_200600_302600_NS10device_ptrIlEEjNS1_19radix_merge_compareILb0ELb1EaNS0_19identity_decomposerEEEEE10hipError_tT0_T1_T2_jT3_P12ihipStream_tbPNSt15iterator_traitsISG_E10value_typeEPNSM_ISH_E10value_typeEPSI_NS1_7vsmem_tEENKUlT_SG_SH_SI_E_clIS7_S7_SB_PlEESF_SV_SG_SH_SI_EUlSV_E1_NS1_11comp_targetILNS1_3genE3ELNS1_11target_archE908ELNS1_3gpuE7ELNS1_3repE0EEENS1_36merge_oddeven_config_static_selectorELNS0_4arch9wavefront6targetE1EEEvSH_, .Lfunc_end578-_ZN7rocprim17ROCPRIM_400000_NS6detail17trampoline_kernelINS0_14default_configENS1_38merge_sort_block_merge_config_selectorIalEEZZNS1_27merge_sort_block_merge_implIS3_PaN6thrust23THRUST_200600_302600_NS10device_ptrIlEEjNS1_19radix_merge_compareILb0ELb1EaNS0_19identity_decomposerEEEEE10hipError_tT0_T1_T2_jT3_P12ihipStream_tbPNSt15iterator_traitsISG_E10value_typeEPNSM_ISH_E10value_typeEPSI_NS1_7vsmem_tEENKUlT_SG_SH_SI_E_clIS7_S7_SB_PlEESF_SV_SG_SH_SI_EUlSV_E1_NS1_11comp_targetILNS1_3genE3ELNS1_11target_archE908ELNS1_3gpuE7ELNS1_3repE0EEENS1_36merge_oddeven_config_static_selectorELNS0_4arch9wavefront6targetE1EEEvSH_
                                        ; -- End function
	.section	.AMDGPU.csdata,"",@progbits
; Kernel info:
; codeLenInByte = 0
; NumSgprs: 4
; NumVgprs: 0
; NumAgprs: 0
; TotalNumVgprs: 0
; ScratchSize: 0
; MemoryBound: 0
; FloatMode: 240
; IeeeMode: 1
; LDSByteSize: 0 bytes/workgroup (compile time only)
; SGPRBlocks: 0
; VGPRBlocks: 0
; NumSGPRsForWavesPerEU: 4
; NumVGPRsForWavesPerEU: 1
; AccumOffset: 4
; Occupancy: 8
; WaveLimiterHint : 0
; COMPUTE_PGM_RSRC2:SCRATCH_EN: 0
; COMPUTE_PGM_RSRC2:USER_SGPR: 6
; COMPUTE_PGM_RSRC2:TRAP_HANDLER: 0
; COMPUTE_PGM_RSRC2:TGID_X_EN: 1
; COMPUTE_PGM_RSRC2:TGID_Y_EN: 0
; COMPUTE_PGM_RSRC2:TGID_Z_EN: 0
; COMPUTE_PGM_RSRC2:TIDIG_COMP_CNT: 0
; COMPUTE_PGM_RSRC3_GFX90A:ACCUM_OFFSET: 0
; COMPUTE_PGM_RSRC3_GFX90A:TG_SPLIT: 0
	.section	.text._ZN7rocprim17ROCPRIM_400000_NS6detail17trampoline_kernelINS0_14default_configENS1_38merge_sort_block_merge_config_selectorIalEEZZNS1_27merge_sort_block_merge_implIS3_PaN6thrust23THRUST_200600_302600_NS10device_ptrIlEEjNS1_19radix_merge_compareILb0ELb1EaNS0_19identity_decomposerEEEEE10hipError_tT0_T1_T2_jT3_P12ihipStream_tbPNSt15iterator_traitsISG_E10value_typeEPNSM_ISH_E10value_typeEPSI_NS1_7vsmem_tEENKUlT_SG_SH_SI_E_clIS7_S7_SB_PlEESF_SV_SG_SH_SI_EUlSV_E1_NS1_11comp_targetILNS1_3genE2ELNS1_11target_archE906ELNS1_3gpuE6ELNS1_3repE0EEENS1_36merge_oddeven_config_static_selectorELNS0_4arch9wavefront6targetE1EEEvSH_,"axG",@progbits,_ZN7rocprim17ROCPRIM_400000_NS6detail17trampoline_kernelINS0_14default_configENS1_38merge_sort_block_merge_config_selectorIalEEZZNS1_27merge_sort_block_merge_implIS3_PaN6thrust23THRUST_200600_302600_NS10device_ptrIlEEjNS1_19radix_merge_compareILb0ELb1EaNS0_19identity_decomposerEEEEE10hipError_tT0_T1_T2_jT3_P12ihipStream_tbPNSt15iterator_traitsISG_E10value_typeEPNSM_ISH_E10value_typeEPSI_NS1_7vsmem_tEENKUlT_SG_SH_SI_E_clIS7_S7_SB_PlEESF_SV_SG_SH_SI_EUlSV_E1_NS1_11comp_targetILNS1_3genE2ELNS1_11target_archE906ELNS1_3gpuE6ELNS1_3repE0EEENS1_36merge_oddeven_config_static_selectorELNS0_4arch9wavefront6targetE1EEEvSH_,comdat
	.protected	_ZN7rocprim17ROCPRIM_400000_NS6detail17trampoline_kernelINS0_14default_configENS1_38merge_sort_block_merge_config_selectorIalEEZZNS1_27merge_sort_block_merge_implIS3_PaN6thrust23THRUST_200600_302600_NS10device_ptrIlEEjNS1_19radix_merge_compareILb0ELb1EaNS0_19identity_decomposerEEEEE10hipError_tT0_T1_T2_jT3_P12ihipStream_tbPNSt15iterator_traitsISG_E10value_typeEPNSM_ISH_E10value_typeEPSI_NS1_7vsmem_tEENKUlT_SG_SH_SI_E_clIS7_S7_SB_PlEESF_SV_SG_SH_SI_EUlSV_E1_NS1_11comp_targetILNS1_3genE2ELNS1_11target_archE906ELNS1_3gpuE6ELNS1_3repE0EEENS1_36merge_oddeven_config_static_selectorELNS0_4arch9wavefront6targetE1EEEvSH_ ; -- Begin function _ZN7rocprim17ROCPRIM_400000_NS6detail17trampoline_kernelINS0_14default_configENS1_38merge_sort_block_merge_config_selectorIalEEZZNS1_27merge_sort_block_merge_implIS3_PaN6thrust23THRUST_200600_302600_NS10device_ptrIlEEjNS1_19radix_merge_compareILb0ELb1EaNS0_19identity_decomposerEEEEE10hipError_tT0_T1_T2_jT3_P12ihipStream_tbPNSt15iterator_traitsISG_E10value_typeEPNSM_ISH_E10value_typeEPSI_NS1_7vsmem_tEENKUlT_SG_SH_SI_E_clIS7_S7_SB_PlEESF_SV_SG_SH_SI_EUlSV_E1_NS1_11comp_targetILNS1_3genE2ELNS1_11target_archE906ELNS1_3gpuE6ELNS1_3repE0EEENS1_36merge_oddeven_config_static_selectorELNS0_4arch9wavefront6targetE1EEEvSH_
	.globl	_ZN7rocprim17ROCPRIM_400000_NS6detail17trampoline_kernelINS0_14default_configENS1_38merge_sort_block_merge_config_selectorIalEEZZNS1_27merge_sort_block_merge_implIS3_PaN6thrust23THRUST_200600_302600_NS10device_ptrIlEEjNS1_19radix_merge_compareILb0ELb1EaNS0_19identity_decomposerEEEEE10hipError_tT0_T1_T2_jT3_P12ihipStream_tbPNSt15iterator_traitsISG_E10value_typeEPNSM_ISH_E10value_typeEPSI_NS1_7vsmem_tEENKUlT_SG_SH_SI_E_clIS7_S7_SB_PlEESF_SV_SG_SH_SI_EUlSV_E1_NS1_11comp_targetILNS1_3genE2ELNS1_11target_archE906ELNS1_3gpuE6ELNS1_3repE0EEENS1_36merge_oddeven_config_static_selectorELNS0_4arch9wavefront6targetE1EEEvSH_
	.p2align	8
	.type	_ZN7rocprim17ROCPRIM_400000_NS6detail17trampoline_kernelINS0_14default_configENS1_38merge_sort_block_merge_config_selectorIalEEZZNS1_27merge_sort_block_merge_implIS3_PaN6thrust23THRUST_200600_302600_NS10device_ptrIlEEjNS1_19radix_merge_compareILb0ELb1EaNS0_19identity_decomposerEEEEE10hipError_tT0_T1_T2_jT3_P12ihipStream_tbPNSt15iterator_traitsISG_E10value_typeEPNSM_ISH_E10value_typeEPSI_NS1_7vsmem_tEENKUlT_SG_SH_SI_E_clIS7_S7_SB_PlEESF_SV_SG_SH_SI_EUlSV_E1_NS1_11comp_targetILNS1_3genE2ELNS1_11target_archE906ELNS1_3gpuE6ELNS1_3repE0EEENS1_36merge_oddeven_config_static_selectorELNS0_4arch9wavefront6targetE1EEEvSH_,@function
_ZN7rocprim17ROCPRIM_400000_NS6detail17trampoline_kernelINS0_14default_configENS1_38merge_sort_block_merge_config_selectorIalEEZZNS1_27merge_sort_block_merge_implIS3_PaN6thrust23THRUST_200600_302600_NS10device_ptrIlEEjNS1_19radix_merge_compareILb0ELb1EaNS0_19identity_decomposerEEEEE10hipError_tT0_T1_T2_jT3_P12ihipStream_tbPNSt15iterator_traitsISG_E10value_typeEPNSM_ISH_E10value_typeEPSI_NS1_7vsmem_tEENKUlT_SG_SH_SI_E_clIS7_S7_SB_PlEESF_SV_SG_SH_SI_EUlSV_E1_NS1_11comp_targetILNS1_3genE2ELNS1_11target_archE906ELNS1_3gpuE6ELNS1_3repE0EEENS1_36merge_oddeven_config_static_selectorELNS0_4arch9wavefront6targetE1EEEvSH_: ; @_ZN7rocprim17ROCPRIM_400000_NS6detail17trampoline_kernelINS0_14default_configENS1_38merge_sort_block_merge_config_selectorIalEEZZNS1_27merge_sort_block_merge_implIS3_PaN6thrust23THRUST_200600_302600_NS10device_ptrIlEEjNS1_19radix_merge_compareILb0ELb1EaNS0_19identity_decomposerEEEEE10hipError_tT0_T1_T2_jT3_P12ihipStream_tbPNSt15iterator_traitsISG_E10value_typeEPNSM_ISH_E10value_typeEPSI_NS1_7vsmem_tEENKUlT_SG_SH_SI_E_clIS7_S7_SB_PlEESF_SV_SG_SH_SI_EUlSV_E1_NS1_11comp_targetILNS1_3genE2ELNS1_11target_archE906ELNS1_3gpuE6ELNS1_3repE0EEENS1_36merge_oddeven_config_static_selectorELNS0_4arch9wavefront6targetE1EEEvSH_
; %bb.0:
	.section	.rodata,"a",@progbits
	.p2align	6, 0x0
	.amdhsa_kernel _ZN7rocprim17ROCPRIM_400000_NS6detail17trampoline_kernelINS0_14default_configENS1_38merge_sort_block_merge_config_selectorIalEEZZNS1_27merge_sort_block_merge_implIS3_PaN6thrust23THRUST_200600_302600_NS10device_ptrIlEEjNS1_19radix_merge_compareILb0ELb1EaNS0_19identity_decomposerEEEEE10hipError_tT0_T1_T2_jT3_P12ihipStream_tbPNSt15iterator_traitsISG_E10value_typeEPNSM_ISH_E10value_typeEPSI_NS1_7vsmem_tEENKUlT_SG_SH_SI_E_clIS7_S7_SB_PlEESF_SV_SG_SH_SI_EUlSV_E1_NS1_11comp_targetILNS1_3genE2ELNS1_11target_archE906ELNS1_3gpuE6ELNS1_3repE0EEENS1_36merge_oddeven_config_static_selectorELNS0_4arch9wavefront6targetE1EEEvSH_
		.amdhsa_group_segment_fixed_size 0
		.amdhsa_private_segment_fixed_size 0
		.amdhsa_kernarg_size 48
		.amdhsa_user_sgpr_count 6
		.amdhsa_user_sgpr_private_segment_buffer 1
		.amdhsa_user_sgpr_dispatch_ptr 0
		.amdhsa_user_sgpr_queue_ptr 0
		.amdhsa_user_sgpr_kernarg_segment_ptr 1
		.amdhsa_user_sgpr_dispatch_id 0
		.amdhsa_user_sgpr_flat_scratch_init 0
		.amdhsa_user_sgpr_kernarg_preload_length 0
		.amdhsa_user_sgpr_kernarg_preload_offset 0
		.amdhsa_user_sgpr_private_segment_size 0
		.amdhsa_uses_dynamic_stack 0
		.amdhsa_system_sgpr_private_segment_wavefront_offset 0
		.amdhsa_system_sgpr_workgroup_id_x 1
		.amdhsa_system_sgpr_workgroup_id_y 0
		.amdhsa_system_sgpr_workgroup_id_z 0
		.amdhsa_system_sgpr_workgroup_info 0
		.amdhsa_system_vgpr_workitem_id 0
		.amdhsa_next_free_vgpr 1
		.amdhsa_next_free_sgpr 0
		.amdhsa_accum_offset 4
		.amdhsa_reserve_vcc 0
		.amdhsa_reserve_flat_scratch 0
		.amdhsa_float_round_mode_32 0
		.amdhsa_float_round_mode_16_64 0
		.amdhsa_float_denorm_mode_32 3
		.amdhsa_float_denorm_mode_16_64 3
		.amdhsa_dx10_clamp 1
		.amdhsa_ieee_mode 1
		.amdhsa_fp16_overflow 0
		.amdhsa_tg_split 0
		.amdhsa_exception_fp_ieee_invalid_op 0
		.amdhsa_exception_fp_denorm_src 0
		.amdhsa_exception_fp_ieee_div_zero 0
		.amdhsa_exception_fp_ieee_overflow 0
		.amdhsa_exception_fp_ieee_underflow 0
		.amdhsa_exception_fp_ieee_inexact 0
		.amdhsa_exception_int_div_zero 0
	.end_amdhsa_kernel
	.section	.text._ZN7rocprim17ROCPRIM_400000_NS6detail17trampoline_kernelINS0_14default_configENS1_38merge_sort_block_merge_config_selectorIalEEZZNS1_27merge_sort_block_merge_implIS3_PaN6thrust23THRUST_200600_302600_NS10device_ptrIlEEjNS1_19radix_merge_compareILb0ELb1EaNS0_19identity_decomposerEEEEE10hipError_tT0_T1_T2_jT3_P12ihipStream_tbPNSt15iterator_traitsISG_E10value_typeEPNSM_ISH_E10value_typeEPSI_NS1_7vsmem_tEENKUlT_SG_SH_SI_E_clIS7_S7_SB_PlEESF_SV_SG_SH_SI_EUlSV_E1_NS1_11comp_targetILNS1_3genE2ELNS1_11target_archE906ELNS1_3gpuE6ELNS1_3repE0EEENS1_36merge_oddeven_config_static_selectorELNS0_4arch9wavefront6targetE1EEEvSH_,"axG",@progbits,_ZN7rocprim17ROCPRIM_400000_NS6detail17trampoline_kernelINS0_14default_configENS1_38merge_sort_block_merge_config_selectorIalEEZZNS1_27merge_sort_block_merge_implIS3_PaN6thrust23THRUST_200600_302600_NS10device_ptrIlEEjNS1_19radix_merge_compareILb0ELb1EaNS0_19identity_decomposerEEEEE10hipError_tT0_T1_T2_jT3_P12ihipStream_tbPNSt15iterator_traitsISG_E10value_typeEPNSM_ISH_E10value_typeEPSI_NS1_7vsmem_tEENKUlT_SG_SH_SI_E_clIS7_S7_SB_PlEESF_SV_SG_SH_SI_EUlSV_E1_NS1_11comp_targetILNS1_3genE2ELNS1_11target_archE906ELNS1_3gpuE6ELNS1_3repE0EEENS1_36merge_oddeven_config_static_selectorELNS0_4arch9wavefront6targetE1EEEvSH_,comdat
.Lfunc_end579:
	.size	_ZN7rocprim17ROCPRIM_400000_NS6detail17trampoline_kernelINS0_14default_configENS1_38merge_sort_block_merge_config_selectorIalEEZZNS1_27merge_sort_block_merge_implIS3_PaN6thrust23THRUST_200600_302600_NS10device_ptrIlEEjNS1_19radix_merge_compareILb0ELb1EaNS0_19identity_decomposerEEEEE10hipError_tT0_T1_T2_jT3_P12ihipStream_tbPNSt15iterator_traitsISG_E10value_typeEPNSM_ISH_E10value_typeEPSI_NS1_7vsmem_tEENKUlT_SG_SH_SI_E_clIS7_S7_SB_PlEESF_SV_SG_SH_SI_EUlSV_E1_NS1_11comp_targetILNS1_3genE2ELNS1_11target_archE906ELNS1_3gpuE6ELNS1_3repE0EEENS1_36merge_oddeven_config_static_selectorELNS0_4arch9wavefront6targetE1EEEvSH_, .Lfunc_end579-_ZN7rocprim17ROCPRIM_400000_NS6detail17trampoline_kernelINS0_14default_configENS1_38merge_sort_block_merge_config_selectorIalEEZZNS1_27merge_sort_block_merge_implIS3_PaN6thrust23THRUST_200600_302600_NS10device_ptrIlEEjNS1_19radix_merge_compareILb0ELb1EaNS0_19identity_decomposerEEEEE10hipError_tT0_T1_T2_jT3_P12ihipStream_tbPNSt15iterator_traitsISG_E10value_typeEPNSM_ISH_E10value_typeEPSI_NS1_7vsmem_tEENKUlT_SG_SH_SI_E_clIS7_S7_SB_PlEESF_SV_SG_SH_SI_EUlSV_E1_NS1_11comp_targetILNS1_3genE2ELNS1_11target_archE906ELNS1_3gpuE6ELNS1_3repE0EEENS1_36merge_oddeven_config_static_selectorELNS0_4arch9wavefront6targetE1EEEvSH_
                                        ; -- End function
	.section	.AMDGPU.csdata,"",@progbits
; Kernel info:
; codeLenInByte = 0
; NumSgprs: 4
; NumVgprs: 0
; NumAgprs: 0
; TotalNumVgprs: 0
; ScratchSize: 0
; MemoryBound: 0
; FloatMode: 240
; IeeeMode: 1
; LDSByteSize: 0 bytes/workgroup (compile time only)
; SGPRBlocks: 0
; VGPRBlocks: 0
; NumSGPRsForWavesPerEU: 4
; NumVGPRsForWavesPerEU: 1
; AccumOffset: 4
; Occupancy: 8
; WaveLimiterHint : 0
; COMPUTE_PGM_RSRC2:SCRATCH_EN: 0
; COMPUTE_PGM_RSRC2:USER_SGPR: 6
; COMPUTE_PGM_RSRC2:TRAP_HANDLER: 0
; COMPUTE_PGM_RSRC2:TGID_X_EN: 1
; COMPUTE_PGM_RSRC2:TGID_Y_EN: 0
; COMPUTE_PGM_RSRC2:TGID_Z_EN: 0
; COMPUTE_PGM_RSRC2:TIDIG_COMP_CNT: 0
; COMPUTE_PGM_RSRC3_GFX90A:ACCUM_OFFSET: 0
; COMPUTE_PGM_RSRC3_GFX90A:TG_SPLIT: 0
	.section	.text._ZN7rocprim17ROCPRIM_400000_NS6detail17trampoline_kernelINS0_14default_configENS1_38merge_sort_block_merge_config_selectorIalEEZZNS1_27merge_sort_block_merge_implIS3_PaN6thrust23THRUST_200600_302600_NS10device_ptrIlEEjNS1_19radix_merge_compareILb0ELb1EaNS0_19identity_decomposerEEEEE10hipError_tT0_T1_T2_jT3_P12ihipStream_tbPNSt15iterator_traitsISG_E10value_typeEPNSM_ISH_E10value_typeEPSI_NS1_7vsmem_tEENKUlT_SG_SH_SI_E_clIS7_S7_SB_PlEESF_SV_SG_SH_SI_EUlSV_E1_NS1_11comp_targetILNS1_3genE9ELNS1_11target_archE1100ELNS1_3gpuE3ELNS1_3repE0EEENS1_36merge_oddeven_config_static_selectorELNS0_4arch9wavefront6targetE1EEEvSH_,"axG",@progbits,_ZN7rocprim17ROCPRIM_400000_NS6detail17trampoline_kernelINS0_14default_configENS1_38merge_sort_block_merge_config_selectorIalEEZZNS1_27merge_sort_block_merge_implIS3_PaN6thrust23THRUST_200600_302600_NS10device_ptrIlEEjNS1_19radix_merge_compareILb0ELb1EaNS0_19identity_decomposerEEEEE10hipError_tT0_T1_T2_jT3_P12ihipStream_tbPNSt15iterator_traitsISG_E10value_typeEPNSM_ISH_E10value_typeEPSI_NS1_7vsmem_tEENKUlT_SG_SH_SI_E_clIS7_S7_SB_PlEESF_SV_SG_SH_SI_EUlSV_E1_NS1_11comp_targetILNS1_3genE9ELNS1_11target_archE1100ELNS1_3gpuE3ELNS1_3repE0EEENS1_36merge_oddeven_config_static_selectorELNS0_4arch9wavefront6targetE1EEEvSH_,comdat
	.protected	_ZN7rocprim17ROCPRIM_400000_NS6detail17trampoline_kernelINS0_14default_configENS1_38merge_sort_block_merge_config_selectorIalEEZZNS1_27merge_sort_block_merge_implIS3_PaN6thrust23THRUST_200600_302600_NS10device_ptrIlEEjNS1_19radix_merge_compareILb0ELb1EaNS0_19identity_decomposerEEEEE10hipError_tT0_T1_T2_jT3_P12ihipStream_tbPNSt15iterator_traitsISG_E10value_typeEPNSM_ISH_E10value_typeEPSI_NS1_7vsmem_tEENKUlT_SG_SH_SI_E_clIS7_S7_SB_PlEESF_SV_SG_SH_SI_EUlSV_E1_NS1_11comp_targetILNS1_3genE9ELNS1_11target_archE1100ELNS1_3gpuE3ELNS1_3repE0EEENS1_36merge_oddeven_config_static_selectorELNS0_4arch9wavefront6targetE1EEEvSH_ ; -- Begin function _ZN7rocprim17ROCPRIM_400000_NS6detail17trampoline_kernelINS0_14default_configENS1_38merge_sort_block_merge_config_selectorIalEEZZNS1_27merge_sort_block_merge_implIS3_PaN6thrust23THRUST_200600_302600_NS10device_ptrIlEEjNS1_19radix_merge_compareILb0ELb1EaNS0_19identity_decomposerEEEEE10hipError_tT0_T1_T2_jT3_P12ihipStream_tbPNSt15iterator_traitsISG_E10value_typeEPNSM_ISH_E10value_typeEPSI_NS1_7vsmem_tEENKUlT_SG_SH_SI_E_clIS7_S7_SB_PlEESF_SV_SG_SH_SI_EUlSV_E1_NS1_11comp_targetILNS1_3genE9ELNS1_11target_archE1100ELNS1_3gpuE3ELNS1_3repE0EEENS1_36merge_oddeven_config_static_selectorELNS0_4arch9wavefront6targetE1EEEvSH_
	.globl	_ZN7rocprim17ROCPRIM_400000_NS6detail17trampoline_kernelINS0_14default_configENS1_38merge_sort_block_merge_config_selectorIalEEZZNS1_27merge_sort_block_merge_implIS3_PaN6thrust23THRUST_200600_302600_NS10device_ptrIlEEjNS1_19radix_merge_compareILb0ELb1EaNS0_19identity_decomposerEEEEE10hipError_tT0_T1_T2_jT3_P12ihipStream_tbPNSt15iterator_traitsISG_E10value_typeEPNSM_ISH_E10value_typeEPSI_NS1_7vsmem_tEENKUlT_SG_SH_SI_E_clIS7_S7_SB_PlEESF_SV_SG_SH_SI_EUlSV_E1_NS1_11comp_targetILNS1_3genE9ELNS1_11target_archE1100ELNS1_3gpuE3ELNS1_3repE0EEENS1_36merge_oddeven_config_static_selectorELNS0_4arch9wavefront6targetE1EEEvSH_
	.p2align	8
	.type	_ZN7rocprim17ROCPRIM_400000_NS6detail17trampoline_kernelINS0_14default_configENS1_38merge_sort_block_merge_config_selectorIalEEZZNS1_27merge_sort_block_merge_implIS3_PaN6thrust23THRUST_200600_302600_NS10device_ptrIlEEjNS1_19radix_merge_compareILb0ELb1EaNS0_19identity_decomposerEEEEE10hipError_tT0_T1_T2_jT3_P12ihipStream_tbPNSt15iterator_traitsISG_E10value_typeEPNSM_ISH_E10value_typeEPSI_NS1_7vsmem_tEENKUlT_SG_SH_SI_E_clIS7_S7_SB_PlEESF_SV_SG_SH_SI_EUlSV_E1_NS1_11comp_targetILNS1_3genE9ELNS1_11target_archE1100ELNS1_3gpuE3ELNS1_3repE0EEENS1_36merge_oddeven_config_static_selectorELNS0_4arch9wavefront6targetE1EEEvSH_,@function
_ZN7rocprim17ROCPRIM_400000_NS6detail17trampoline_kernelINS0_14default_configENS1_38merge_sort_block_merge_config_selectorIalEEZZNS1_27merge_sort_block_merge_implIS3_PaN6thrust23THRUST_200600_302600_NS10device_ptrIlEEjNS1_19radix_merge_compareILb0ELb1EaNS0_19identity_decomposerEEEEE10hipError_tT0_T1_T2_jT3_P12ihipStream_tbPNSt15iterator_traitsISG_E10value_typeEPNSM_ISH_E10value_typeEPSI_NS1_7vsmem_tEENKUlT_SG_SH_SI_E_clIS7_S7_SB_PlEESF_SV_SG_SH_SI_EUlSV_E1_NS1_11comp_targetILNS1_3genE9ELNS1_11target_archE1100ELNS1_3gpuE3ELNS1_3repE0EEENS1_36merge_oddeven_config_static_selectorELNS0_4arch9wavefront6targetE1EEEvSH_: ; @_ZN7rocprim17ROCPRIM_400000_NS6detail17trampoline_kernelINS0_14default_configENS1_38merge_sort_block_merge_config_selectorIalEEZZNS1_27merge_sort_block_merge_implIS3_PaN6thrust23THRUST_200600_302600_NS10device_ptrIlEEjNS1_19radix_merge_compareILb0ELb1EaNS0_19identity_decomposerEEEEE10hipError_tT0_T1_T2_jT3_P12ihipStream_tbPNSt15iterator_traitsISG_E10value_typeEPNSM_ISH_E10value_typeEPSI_NS1_7vsmem_tEENKUlT_SG_SH_SI_E_clIS7_S7_SB_PlEESF_SV_SG_SH_SI_EUlSV_E1_NS1_11comp_targetILNS1_3genE9ELNS1_11target_archE1100ELNS1_3gpuE3ELNS1_3repE0EEENS1_36merge_oddeven_config_static_selectorELNS0_4arch9wavefront6targetE1EEEvSH_
; %bb.0:
	.section	.rodata,"a",@progbits
	.p2align	6, 0x0
	.amdhsa_kernel _ZN7rocprim17ROCPRIM_400000_NS6detail17trampoline_kernelINS0_14default_configENS1_38merge_sort_block_merge_config_selectorIalEEZZNS1_27merge_sort_block_merge_implIS3_PaN6thrust23THRUST_200600_302600_NS10device_ptrIlEEjNS1_19radix_merge_compareILb0ELb1EaNS0_19identity_decomposerEEEEE10hipError_tT0_T1_T2_jT3_P12ihipStream_tbPNSt15iterator_traitsISG_E10value_typeEPNSM_ISH_E10value_typeEPSI_NS1_7vsmem_tEENKUlT_SG_SH_SI_E_clIS7_S7_SB_PlEESF_SV_SG_SH_SI_EUlSV_E1_NS1_11comp_targetILNS1_3genE9ELNS1_11target_archE1100ELNS1_3gpuE3ELNS1_3repE0EEENS1_36merge_oddeven_config_static_selectorELNS0_4arch9wavefront6targetE1EEEvSH_
		.amdhsa_group_segment_fixed_size 0
		.amdhsa_private_segment_fixed_size 0
		.amdhsa_kernarg_size 48
		.amdhsa_user_sgpr_count 6
		.amdhsa_user_sgpr_private_segment_buffer 1
		.amdhsa_user_sgpr_dispatch_ptr 0
		.amdhsa_user_sgpr_queue_ptr 0
		.amdhsa_user_sgpr_kernarg_segment_ptr 1
		.amdhsa_user_sgpr_dispatch_id 0
		.amdhsa_user_sgpr_flat_scratch_init 0
		.amdhsa_user_sgpr_kernarg_preload_length 0
		.amdhsa_user_sgpr_kernarg_preload_offset 0
		.amdhsa_user_sgpr_private_segment_size 0
		.amdhsa_uses_dynamic_stack 0
		.amdhsa_system_sgpr_private_segment_wavefront_offset 0
		.amdhsa_system_sgpr_workgroup_id_x 1
		.amdhsa_system_sgpr_workgroup_id_y 0
		.amdhsa_system_sgpr_workgroup_id_z 0
		.amdhsa_system_sgpr_workgroup_info 0
		.amdhsa_system_vgpr_workitem_id 0
		.amdhsa_next_free_vgpr 1
		.amdhsa_next_free_sgpr 0
		.amdhsa_accum_offset 4
		.amdhsa_reserve_vcc 0
		.amdhsa_reserve_flat_scratch 0
		.amdhsa_float_round_mode_32 0
		.amdhsa_float_round_mode_16_64 0
		.amdhsa_float_denorm_mode_32 3
		.amdhsa_float_denorm_mode_16_64 3
		.amdhsa_dx10_clamp 1
		.amdhsa_ieee_mode 1
		.amdhsa_fp16_overflow 0
		.amdhsa_tg_split 0
		.amdhsa_exception_fp_ieee_invalid_op 0
		.amdhsa_exception_fp_denorm_src 0
		.amdhsa_exception_fp_ieee_div_zero 0
		.amdhsa_exception_fp_ieee_overflow 0
		.amdhsa_exception_fp_ieee_underflow 0
		.amdhsa_exception_fp_ieee_inexact 0
		.amdhsa_exception_int_div_zero 0
	.end_amdhsa_kernel
	.section	.text._ZN7rocprim17ROCPRIM_400000_NS6detail17trampoline_kernelINS0_14default_configENS1_38merge_sort_block_merge_config_selectorIalEEZZNS1_27merge_sort_block_merge_implIS3_PaN6thrust23THRUST_200600_302600_NS10device_ptrIlEEjNS1_19radix_merge_compareILb0ELb1EaNS0_19identity_decomposerEEEEE10hipError_tT0_T1_T2_jT3_P12ihipStream_tbPNSt15iterator_traitsISG_E10value_typeEPNSM_ISH_E10value_typeEPSI_NS1_7vsmem_tEENKUlT_SG_SH_SI_E_clIS7_S7_SB_PlEESF_SV_SG_SH_SI_EUlSV_E1_NS1_11comp_targetILNS1_3genE9ELNS1_11target_archE1100ELNS1_3gpuE3ELNS1_3repE0EEENS1_36merge_oddeven_config_static_selectorELNS0_4arch9wavefront6targetE1EEEvSH_,"axG",@progbits,_ZN7rocprim17ROCPRIM_400000_NS6detail17trampoline_kernelINS0_14default_configENS1_38merge_sort_block_merge_config_selectorIalEEZZNS1_27merge_sort_block_merge_implIS3_PaN6thrust23THRUST_200600_302600_NS10device_ptrIlEEjNS1_19radix_merge_compareILb0ELb1EaNS0_19identity_decomposerEEEEE10hipError_tT0_T1_T2_jT3_P12ihipStream_tbPNSt15iterator_traitsISG_E10value_typeEPNSM_ISH_E10value_typeEPSI_NS1_7vsmem_tEENKUlT_SG_SH_SI_E_clIS7_S7_SB_PlEESF_SV_SG_SH_SI_EUlSV_E1_NS1_11comp_targetILNS1_3genE9ELNS1_11target_archE1100ELNS1_3gpuE3ELNS1_3repE0EEENS1_36merge_oddeven_config_static_selectorELNS0_4arch9wavefront6targetE1EEEvSH_,comdat
.Lfunc_end580:
	.size	_ZN7rocprim17ROCPRIM_400000_NS6detail17trampoline_kernelINS0_14default_configENS1_38merge_sort_block_merge_config_selectorIalEEZZNS1_27merge_sort_block_merge_implIS3_PaN6thrust23THRUST_200600_302600_NS10device_ptrIlEEjNS1_19radix_merge_compareILb0ELb1EaNS0_19identity_decomposerEEEEE10hipError_tT0_T1_T2_jT3_P12ihipStream_tbPNSt15iterator_traitsISG_E10value_typeEPNSM_ISH_E10value_typeEPSI_NS1_7vsmem_tEENKUlT_SG_SH_SI_E_clIS7_S7_SB_PlEESF_SV_SG_SH_SI_EUlSV_E1_NS1_11comp_targetILNS1_3genE9ELNS1_11target_archE1100ELNS1_3gpuE3ELNS1_3repE0EEENS1_36merge_oddeven_config_static_selectorELNS0_4arch9wavefront6targetE1EEEvSH_, .Lfunc_end580-_ZN7rocprim17ROCPRIM_400000_NS6detail17trampoline_kernelINS0_14default_configENS1_38merge_sort_block_merge_config_selectorIalEEZZNS1_27merge_sort_block_merge_implIS3_PaN6thrust23THRUST_200600_302600_NS10device_ptrIlEEjNS1_19radix_merge_compareILb0ELb1EaNS0_19identity_decomposerEEEEE10hipError_tT0_T1_T2_jT3_P12ihipStream_tbPNSt15iterator_traitsISG_E10value_typeEPNSM_ISH_E10value_typeEPSI_NS1_7vsmem_tEENKUlT_SG_SH_SI_E_clIS7_S7_SB_PlEESF_SV_SG_SH_SI_EUlSV_E1_NS1_11comp_targetILNS1_3genE9ELNS1_11target_archE1100ELNS1_3gpuE3ELNS1_3repE0EEENS1_36merge_oddeven_config_static_selectorELNS0_4arch9wavefront6targetE1EEEvSH_
                                        ; -- End function
	.section	.AMDGPU.csdata,"",@progbits
; Kernel info:
; codeLenInByte = 0
; NumSgprs: 4
; NumVgprs: 0
; NumAgprs: 0
; TotalNumVgprs: 0
; ScratchSize: 0
; MemoryBound: 0
; FloatMode: 240
; IeeeMode: 1
; LDSByteSize: 0 bytes/workgroup (compile time only)
; SGPRBlocks: 0
; VGPRBlocks: 0
; NumSGPRsForWavesPerEU: 4
; NumVGPRsForWavesPerEU: 1
; AccumOffset: 4
; Occupancy: 8
; WaveLimiterHint : 0
; COMPUTE_PGM_RSRC2:SCRATCH_EN: 0
; COMPUTE_PGM_RSRC2:USER_SGPR: 6
; COMPUTE_PGM_RSRC2:TRAP_HANDLER: 0
; COMPUTE_PGM_RSRC2:TGID_X_EN: 1
; COMPUTE_PGM_RSRC2:TGID_Y_EN: 0
; COMPUTE_PGM_RSRC2:TGID_Z_EN: 0
; COMPUTE_PGM_RSRC2:TIDIG_COMP_CNT: 0
; COMPUTE_PGM_RSRC3_GFX90A:ACCUM_OFFSET: 0
; COMPUTE_PGM_RSRC3_GFX90A:TG_SPLIT: 0
	.section	.text._ZN7rocprim17ROCPRIM_400000_NS6detail17trampoline_kernelINS0_14default_configENS1_38merge_sort_block_merge_config_selectorIalEEZZNS1_27merge_sort_block_merge_implIS3_PaN6thrust23THRUST_200600_302600_NS10device_ptrIlEEjNS1_19radix_merge_compareILb0ELb1EaNS0_19identity_decomposerEEEEE10hipError_tT0_T1_T2_jT3_P12ihipStream_tbPNSt15iterator_traitsISG_E10value_typeEPNSM_ISH_E10value_typeEPSI_NS1_7vsmem_tEENKUlT_SG_SH_SI_E_clIS7_S7_SB_PlEESF_SV_SG_SH_SI_EUlSV_E1_NS1_11comp_targetILNS1_3genE8ELNS1_11target_archE1030ELNS1_3gpuE2ELNS1_3repE0EEENS1_36merge_oddeven_config_static_selectorELNS0_4arch9wavefront6targetE1EEEvSH_,"axG",@progbits,_ZN7rocprim17ROCPRIM_400000_NS6detail17trampoline_kernelINS0_14default_configENS1_38merge_sort_block_merge_config_selectorIalEEZZNS1_27merge_sort_block_merge_implIS3_PaN6thrust23THRUST_200600_302600_NS10device_ptrIlEEjNS1_19radix_merge_compareILb0ELb1EaNS0_19identity_decomposerEEEEE10hipError_tT0_T1_T2_jT3_P12ihipStream_tbPNSt15iterator_traitsISG_E10value_typeEPNSM_ISH_E10value_typeEPSI_NS1_7vsmem_tEENKUlT_SG_SH_SI_E_clIS7_S7_SB_PlEESF_SV_SG_SH_SI_EUlSV_E1_NS1_11comp_targetILNS1_3genE8ELNS1_11target_archE1030ELNS1_3gpuE2ELNS1_3repE0EEENS1_36merge_oddeven_config_static_selectorELNS0_4arch9wavefront6targetE1EEEvSH_,comdat
	.protected	_ZN7rocprim17ROCPRIM_400000_NS6detail17trampoline_kernelINS0_14default_configENS1_38merge_sort_block_merge_config_selectorIalEEZZNS1_27merge_sort_block_merge_implIS3_PaN6thrust23THRUST_200600_302600_NS10device_ptrIlEEjNS1_19radix_merge_compareILb0ELb1EaNS0_19identity_decomposerEEEEE10hipError_tT0_T1_T2_jT3_P12ihipStream_tbPNSt15iterator_traitsISG_E10value_typeEPNSM_ISH_E10value_typeEPSI_NS1_7vsmem_tEENKUlT_SG_SH_SI_E_clIS7_S7_SB_PlEESF_SV_SG_SH_SI_EUlSV_E1_NS1_11comp_targetILNS1_3genE8ELNS1_11target_archE1030ELNS1_3gpuE2ELNS1_3repE0EEENS1_36merge_oddeven_config_static_selectorELNS0_4arch9wavefront6targetE1EEEvSH_ ; -- Begin function _ZN7rocprim17ROCPRIM_400000_NS6detail17trampoline_kernelINS0_14default_configENS1_38merge_sort_block_merge_config_selectorIalEEZZNS1_27merge_sort_block_merge_implIS3_PaN6thrust23THRUST_200600_302600_NS10device_ptrIlEEjNS1_19radix_merge_compareILb0ELb1EaNS0_19identity_decomposerEEEEE10hipError_tT0_T1_T2_jT3_P12ihipStream_tbPNSt15iterator_traitsISG_E10value_typeEPNSM_ISH_E10value_typeEPSI_NS1_7vsmem_tEENKUlT_SG_SH_SI_E_clIS7_S7_SB_PlEESF_SV_SG_SH_SI_EUlSV_E1_NS1_11comp_targetILNS1_3genE8ELNS1_11target_archE1030ELNS1_3gpuE2ELNS1_3repE0EEENS1_36merge_oddeven_config_static_selectorELNS0_4arch9wavefront6targetE1EEEvSH_
	.globl	_ZN7rocprim17ROCPRIM_400000_NS6detail17trampoline_kernelINS0_14default_configENS1_38merge_sort_block_merge_config_selectorIalEEZZNS1_27merge_sort_block_merge_implIS3_PaN6thrust23THRUST_200600_302600_NS10device_ptrIlEEjNS1_19radix_merge_compareILb0ELb1EaNS0_19identity_decomposerEEEEE10hipError_tT0_T1_T2_jT3_P12ihipStream_tbPNSt15iterator_traitsISG_E10value_typeEPNSM_ISH_E10value_typeEPSI_NS1_7vsmem_tEENKUlT_SG_SH_SI_E_clIS7_S7_SB_PlEESF_SV_SG_SH_SI_EUlSV_E1_NS1_11comp_targetILNS1_3genE8ELNS1_11target_archE1030ELNS1_3gpuE2ELNS1_3repE0EEENS1_36merge_oddeven_config_static_selectorELNS0_4arch9wavefront6targetE1EEEvSH_
	.p2align	8
	.type	_ZN7rocprim17ROCPRIM_400000_NS6detail17trampoline_kernelINS0_14default_configENS1_38merge_sort_block_merge_config_selectorIalEEZZNS1_27merge_sort_block_merge_implIS3_PaN6thrust23THRUST_200600_302600_NS10device_ptrIlEEjNS1_19radix_merge_compareILb0ELb1EaNS0_19identity_decomposerEEEEE10hipError_tT0_T1_T2_jT3_P12ihipStream_tbPNSt15iterator_traitsISG_E10value_typeEPNSM_ISH_E10value_typeEPSI_NS1_7vsmem_tEENKUlT_SG_SH_SI_E_clIS7_S7_SB_PlEESF_SV_SG_SH_SI_EUlSV_E1_NS1_11comp_targetILNS1_3genE8ELNS1_11target_archE1030ELNS1_3gpuE2ELNS1_3repE0EEENS1_36merge_oddeven_config_static_selectorELNS0_4arch9wavefront6targetE1EEEvSH_,@function
_ZN7rocprim17ROCPRIM_400000_NS6detail17trampoline_kernelINS0_14default_configENS1_38merge_sort_block_merge_config_selectorIalEEZZNS1_27merge_sort_block_merge_implIS3_PaN6thrust23THRUST_200600_302600_NS10device_ptrIlEEjNS1_19radix_merge_compareILb0ELb1EaNS0_19identity_decomposerEEEEE10hipError_tT0_T1_T2_jT3_P12ihipStream_tbPNSt15iterator_traitsISG_E10value_typeEPNSM_ISH_E10value_typeEPSI_NS1_7vsmem_tEENKUlT_SG_SH_SI_E_clIS7_S7_SB_PlEESF_SV_SG_SH_SI_EUlSV_E1_NS1_11comp_targetILNS1_3genE8ELNS1_11target_archE1030ELNS1_3gpuE2ELNS1_3repE0EEENS1_36merge_oddeven_config_static_selectorELNS0_4arch9wavefront6targetE1EEEvSH_: ; @_ZN7rocprim17ROCPRIM_400000_NS6detail17trampoline_kernelINS0_14default_configENS1_38merge_sort_block_merge_config_selectorIalEEZZNS1_27merge_sort_block_merge_implIS3_PaN6thrust23THRUST_200600_302600_NS10device_ptrIlEEjNS1_19radix_merge_compareILb0ELb1EaNS0_19identity_decomposerEEEEE10hipError_tT0_T1_T2_jT3_P12ihipStream_tbPNSt15iterator_traitsISG_E10value_typeEPNSM_ISH_E10value_typeEPSI_NS1_7vsmem_tEENKUlT_SG_SH_SI_E_clIS7_S7_SB_PlEESF_SV_SG_SH_SI_EUlSV_E1_NS1_11comp_targetILNS1_3genE8ELNS1_11target_archE1030ELNS1_3gpuE2ELNS1_3repE0EEENS1_36merge_oddeven_config_static_selectorELNS0_4arch9wavefront6targetE1EEEvSH_
; %bb.0:
	.section	.rodata,"a",@progbits
	.p2align	6, 0x0
	.amdhsa_kernel _ZN7rocprim17ROCPRIM_400000_NS6detail17trampoline_kernelINS0_14default_configENS1_38merge_sort_block_merge_config_selectorIalEEZZNS1_27merge_sort_block_merge_implIS3_PaN6thrust23THRUST_200600_302600_NS10device_ptrIlEEjNS1_19radix_merge_compareILb0ELb1EaNS0_19identity_decomposerEEEEE10hipError_tT0_T1_T2_jT3_P12ihipStream_tbPNSt15iterator_traitsISG_E10value_typeEPNSM_ISH_E10value_typeEPSI_NS1_7vsmem_tEENKUlT_SG_SH_SI_E_clIS7_S7_SB_PlEESF_SV_SG_SH_SI_EUlSV_E1_NS1_11comp_targetILNS1_3genE8ELNS1_11target_archE1030ELNS1_3gpuE2ELNS1_3repE0EEENS1_36merge_oddeven_config_static_selectorELNS0_4arch9wavefront6targetE1EEEvSH_
		.amdhsa_group_segment_fixed_size 0
		.amdhsa_private_segment_fixed_size 0
		.amdhsa_kernarg_size 48
		.amdhsa_user_sgpr_count 6
		.amdhsa_user_sgpr_private_segment_buffer 1
		.amdhsa_user_sgpr_dispatch_ptr 0
		.amdhsa_user_sgpr_queue_ptr 0
		.amdhsa_user_sgpr_kernarg_segment_ptr 1
		.amdhsa_user_sgpr_dispatch_id 0
		.amdhsa_user_sgpr_flat_scratch_init 0
		.amdhsa_user_sgpr_kernarg_preload_length 0
		.amdhsa_user_sgpr_kernarg_preload_offset 0
		.amdhsa_user_sgpr_private_segment_size 0
		.amdhsa_uses_dynamic_stack 0
		.amdhsa_system_sgpr_private_segment_wavefront_offset 0
		.amdhsa_system_sgpr_workgroup_id_x 1
		.amdhsa_system_sgpr_workgroup_id_y 0
		.amdhsa_system_sgpr_workgroup_id_z 0
		.amdhsa_system_sgpr_workgroup_info 0
		.amdhsa_system_vgpr_workitem_id 0
		.amdhsa_next_free_vgpr 1
		.amdhsa_next_free_sgpr 0
		.amdhsa_accum_offset 4
		.amdhsa_reserve_vcc 0
		.amdhsa_reserve_flat_scratch 0
		.amdhsa_float_round_mode_32 0
		.amdhsa_float_round_mode_16_64 0
		.amdhsa_float_denorm_mode_32 3
		.amdhsa_float_denorm_mode_16_64 3
		.amdhsa_dx10_clamp 1
		.amdhsa_ieee_mode 1
		.amdhsa_fp16_overflow 0
		.amdhsa_tg_split 0
		.amdhsa_exception_fp_ieee_invalid_op 0
		.amdhsa_exception_fp_denorm_src 0
		.amdhsa_exception_fp_ieee_div_zero 0
		.amdhsa_exception_fp_ieee_overflow 0
		.amdhsa_exception_fp_ieee_underflow 0
		.amdhsa_exception_fp_ieee_inexact 0
		.amdhsa_exception_int_div_zero 0
	.end_amdhsa_kernel
	.section	.text._ZN7rocprim17ROCPRIM_400000_NS6detail17trampoline_kernelINS0_14default_configENS1_38merge_sort_block_merge_config_selectorIalEEZZNS1_27merge_sort_block_merge_implIS3_PaN6thrust23THRUST_200600_302600_NS10device_ptrIlEEjNS1_19radix_merge_compareILb0ELb1EaNS0_19identity_decomposerEEEEE10hipError_tT0_T1_T2_jT3_P12ihipStream_tbPNSt15iterator_traitsISG_E10value_typeEPNSM_ISH_E10value_typeEPSI_NS1_7vsmem_tEENKUlT_SG_SH_SI_E_clIS7_S7_SB_PlEESF_SV_SG_SH_SI_EUlSV_E1_NS1_11comp_targetILNS1_3genE8ELNS1_11target_archE1030ELNS1_3gpuE2ELNS1_3repE0EEENS1_36merge_oddeven_config_static_selectorELNS0_4arch9wavefront6targetE1EEEvSH_,"axG",@progbits,_ZN7rocprim17ROCPRIM_400000_NS6detail17trampoline_kernelINS0_14default_configENS1_38merge_sort_block_merge_config_selectorIalEEZZNS1_27merge_sort_block_merge_implIS3_PaN6thrust23THRUST_200600_302600_NS10device_ptrIlEEjNS1_19radix_merge_compareILb0ELb1EaNS0_19identity_decomposerEEEEE10hipError_tT0_T1_T2_jT3_P12ihipStream_tbPNSt15iterator_traitsISG_E10value_typeEPNSM_ISH_E10value_typeEPSI_NS1_7vsmem_tEENKUlT_SG_SH_SI_E_clIS7_S7_SB_PlEESF_SV_SG_SH_SI_EUlSV_E1_NS1_11comp_targetILNS1_3genE8ELNS1_11target_archE1030ELNS1_3gpuE2ELNS1_3repE0EEENS1_36merge_oddeven_config_static_selectorELNS0_4arch9wavefront6targetE1EEEvSH_,comdat
.Lfunc_end581:
	.size	_ZN7rocprim17ROCPRIM_400000_NS6detail17trampoline_kernelINS0_14default_configENS1_38merge_sort_block_merge_config_selectorIalEEZZNS1_27merge_sort_block_merge_implIS3_PaN6thrust23THRUST_200600_302600_NS10device_ptrIlEEjNS1_19radix_merge_compareILb0ELb1EaNS0_19identity_decomposerEEEEE10hipError_tT0_T1_T2_jT3_P12ihipStream_tbPNSt15iterator_traitsISG_E10value_typeEPNSM_ISH_E10value_typeEPSI_NS1_7vsmem_tEENKUlT_SG_SH_SI_E_clIS7_S7_SB_PlEESF_SV_SG_SH_SI_EUlSV_E1_NS1_11comp_targetILNS1_3genE8ELNS1_11target_archE1030ELNS1_3gpuE2ELNS1_3repE0EEENS1_36merge_oddeven_config_static_selectorELNS0_4arch9wavefront6targetE1EEEvSH_, .Lfunc_end581-_ZN7rocprim17ROCPRIM_400000_NS6detail17trampoline_kernelINS0_14default_configENS1_38merge_sort_block_merge_config_selectorIalEEZZNS1_27merge_sort_block_merge_implIS3_PaN6thrust23THRUST_200600_302600_NS10device_ptrIlEEjNS1_19radix_merge_compareILb0ELb1EaNS0_19identity_decomposerEEEEE10hipError_tT0_T1_T2_jT3_P12ihipStream_tbPNSt15iterator_traitsISG_E10value_typeEPNSM_ISH_E10value_typeEPSI_NS1_7vsmem_tEENKUlT_SG_SH_SI_E_clIS7_S7_SB_PlEESF_SV_SG_SH_SI_EUlSV_E1_NS1_11comp_targetILNS1_3genE8ELNS1_11target_archE1030ELNS1_3gpuE2ELNS1_3repE0EEENS1_36merge_oddeven_config_static_selectorELNS0_4arch9wavefront6targetE1EEEvSH_
                                        ; -- End function
	.section	.AMDGPU.csdata,"",@progbits
; Kernel info:
; codeLenInByte = 0
; NumSgprs: 4
; NumVgprs: 0
; NumAgprs: 0
; TotalNumVgprs: 0
; ScratchSize: 0
; MemoryBound: 0
; FloatMode: 240
; IeeeMode: 1
; LDSByteSize: 0 bytes/workgroup (compile time only)
; SGPRBlocks: 0
; VGPRBlocks: 0
; NumSGPRsForWavesPerEU: 4
; NumVGPRsForWavesPerEU: 1
; AccumOffset: 4
; Occupancy: 8
; WaveLimiterHint : 0
; COMPUTE_PGM_RSRC2:SCRATCH_EN: 0
; COMPUTE_PGM_RSRC2:USER_SGPR: 6
; COMPUTE_PGM_RSRC2:TRAP_HANDLER: 0
; COMPUTE_PGM_RSRC2:TGID_X_EN: 1
; COMPUTE_PGM_RSRC2:TGID_Y_EN: 0
; COMPUTE_PGM_RSRC2:TGID_Z_EN: 0
; COMPUTE_PGM_RSRC2:TIDIG_COMP_CNT: 0
; COMPUTE_PGM_RSRC3_GFX90A:ACCUM_OFFSET: 0
; COMPUTE_PGM_RSRC3_GFX90A:TG_SPLIT: 0
	.section	.text._ZN7rocprim17ROCPRIM_400000_NS6detail17trampoline_kernelINS0_14default_configENS1_35radix_sort_onesweep_config_selectorIalEEZNS1_34radix_sort_onesweep_global_offsetsIS3_Lb0EPaN6thrust23THRUST_200600_302600_NS10device_ptrIlEEjNS0_19identity_decomposerEEE10hipError_tT1_T2_PT3_SG_jT4_jjP12ihipStream_tbEUlT_E_NS1_11comp_targetILNS1_3genE0ELNS1_11target_archE4294967295ELNS1_3gpuE0ELNS1_3repE0EEENS1_52radix_sort_onesweep_histogram_config_static_selectorELNS0_4arch9wavefront6targetE1EEEvSE_,"axG",@progbits,_ZN7rocprim17ROCPRIM_400000_NS6detail17trampoline_kernelINS0_14default_configENS1_35radix_sort_onesweep_config_selectorIalEEZNS1_34radix_sort_onesweep_global_offsetsIS3_Lb0EPaN6thrust23THRUST_200600_302600_NS10device_ptrIlEEjNS0_19identity_decomposerEEE10hipError_tT1_T2_PT3_SG_jT4_jjP12ihipStream_tbEUlT_E_NS1_11comp_targetILNS1_3genE0ELNS1_11target_archE4294967295ELNS1_3gpuE0ELNS1_3repE0EEENS1_52radix_sort_onesweep_histogram_config_static_selectorELNS0_4arch9wavefront6targetE1EEEvSE_,comdat
	.protected	_ZN7rocprim17ROCPRIM_400000_NS6detail17trampoline_kernelINS0_14default_configENS1_35radix_sort_onesweep_config_selectorIalEEZNS1_34radix_sort_onesweep_global_offsetsIS3_Lb0EPaN6thrust23THRUST_200600_302600_NS10device_ptrIlEEjNS0_19identity_decomposerEEE10hipError_tT1_T2_PT3_SG_jT4_jjP12ihipStream_tbEUlT_E_NS1_11comp_targetILNS1_3genE0ELNS1_11target_archE4294967295ELNS1_3gpuE0ELNS1_3repE0EEENS1_52radix_sort_onesweep_histogram_config_static_selectorELNS0_4arch9wavefront6targetE1EEEvSE_ ; -- Begin function _ZN7rocprim17ROCPRIM_400000_NS6detail17trampoline_kernelINS0_14default_configENS1_35radix_sort_onesweep_config_selectorIalEEZNS1_34radix_sort_onesweep_global_offsetsIS3_Lb0EPaN6thrust23THRUST_200600_302600_NS10device_ptrIlEEjNS0_19identity_decomposerEEE10hipError_tT1_T2_PT3_SG_jT4_jjP12ihipStream_tbEUlT_E_NS1_11comp_targetILNS1_3genE0ELNS1_11target_archE4294967295ELNS1_3gpuE0ELNS1_3repE0EEENS1_52radix_sort_onesweep_histogram_config_static_selectorELNS0_4arch9wavefront6targetE1EEEvSE_
	.globl	_ZN7rocprim17ROCPRIM_400000_NS6detail17trampoline_kernelINS0_14default_configENS1_35radix_sort_onesweep_config_selectorIalEEZNS1_34radix_sort_onesweep_global_offsetsIS3_Lb0EPaN6thrust23THRUST_200600_302600_NS10device_ptrIlEEjNS0_19identity_decomposerEEE10hipError_tT1_T2_PT3_SG_jT4_jjP12ihipStream_tbEUlT_E_NS1_11comp_targetILNS1_3genE0ELNS1_11target_archE4294967295ELNS1_3gpuE0ELNS1_3repE0EEENS1_52radix_sort_onesweep_histogram_config_static_selectorELNS0_4arch9wavefront6targetE1EEEvSE_
	.p2align	8
	.type	_ZN7rocprim17ROCPRIM_400000_NS6detail17trampoline_kernelINS0_14default_configENS1_35radix_sort_onesweep_config_selectorIalEEZNS1_34radix_sort_onesweep_global_offsetsIS3_Lb0EPaN6thrust23THRUST_200600_302600_NS10device_ptrIlEEjNS0_19identity_decomposerEEE10hipError_tT1_T2_PT3_SG_jT4_jjP12ihipStream_tbEUlT_E_NS1_11comp_targetILNS1_3genE0ELNS1_11target_archE4294967295ELNS1_3gpuE0ELNS1_3repE0EEENS1_52radix_sort_onesweep_histogram_config_static_selectorELNS0_4arch9wavefront6targetE1EEEvSE_,@function
_ZN7rocprim17ROCPRIM_400000_NS6detail17trampoline_kernelINS0_14default_configENS1_35radix_sort_onesweep_config_selectorIalEEZNS1_34radix_sort_onesweep_global_offsetsIS3_Lb0EPaN6thrust23THRUST_200600_302600_NS10device_ptrIlEEjNS0_19identity_decomposerEEE10hipError_tT1_T2_PT3_SG_jT4_jjP12ihipStream_tbEUlT_E_NS1_11comp_targetILNS1_3genE0ELNS1_11target_archE4294967295ELNS1_3gpuE0ELNS1_3repE0EEENS1_52radix_sort_onesweep_histogram_config_static_selectorELNS0_4arch9wavefront6targetE1EEEvSE_: ; @_ZN7rocprim17ROCPRIM_400000_NS6detail17trampoline_kernelINS0_14default_configENS1_35radix_sort_onesweep_config_selectorIalEEZNS1_34radix_sort_onesweep_global_offsetsIS3_Lb0EPaN6thrust23THRUST_200600_302600_NS10device_ptrIlEEjNS0_19identity_decomposerEEE10hipError_tT1_T2_PT3_SG_jT4_jjP12ihipStream_tbEUlT_E_NS1_11comp_targetILNS1_3genE0ELNS1_11target_archE4294967295ELNS1_3gpuE0ELNS1_3repE0EEENS1_52radix_sort_onesweep_histogram_config_static_selectorELNS0_4arch9wavefront6targetE1EEEvSE_
; %bb.0:
	.section	.rodata,"a",@progbits
	.p2align	6, 0x0
	.amdhsa_kernel _ZN7rocprim17ROCPRIM_400000_NS6detail17trampoline_kernelINS0_14default_configENS1_35radix_sort_onesweep_config_selectorIalEEZNS1_34radix_sort_onesweep_global_offsetsIS3_Lb0EPaN6thrust23THRUST_200600_302600_NS10device_ptrIlEEjNS0_19identity_decomposerEEE10hipError_tT1_T2_PT3_SG_jT4_jjP12ihipStream_tbEUlT_E_NS1_11comp_targetILNS1_3genE0ELNS1_11target_archE4294967295ELNS1_3gpuE0ELNS1_3repE0EEENS1_52radix_sort_onesweep_histogram_config_static_selectorELNS0_4arch9wavefront6targetE1EEEvSE_
		.amdhsa_group_segment_fixed_size 0
		.amdhsa_private_segment_fixed_size 0
		.amdhsa_kernarg_size 40
		.amdhsa_user_sgpr_count 6
		.amdhsa_user_sgpr_private_segment_buffer 1
		.amdhsa_user_sgpr_dispatch_ptr 0
		.amdhsa_user_sgpr_queue_ptr 0
		.amdhsa_user_sgpr_kernarg_segment_ptr 1
		.amdhsa_user_sgpr_dispatch_id 0
		.amdhsa_user_sgpr_flat_scratch_init 0
		.amdhsa_user_sgpr_kernarg_preload_length 0
		.amdhsa_user_sgpr_kernarg_preload_offset 0
		.amdhsa_user_sgpr_private_segment_size 0
		.amdhsa_uses_dynamic_stack 0
		.amdhsa_system_sgpr_private_segment_wavefront_offset 0
		.amdhsa_system_sgpr_workgroup_id_x 1
		.amdhsa_system_sgpr_workgroup_id_y 0
		.amdhsa_system_sgpr_workgroup_id_z 0
		.amdhsa_system_sgpr_workgroup_info 0
		.amdhsa_system_vgpr_workitem_id 0
		.amdhsa_next_free_vgpr 1
		.amdhsa_next_free_sgpr 0
		.amdhsa_accum_offset 4
		.amdhsa_reserve_vcc 0
		.amdhsa_reserve_flat_scratch 0
		.amdhsa_float_round_mode_32 0
		.amdhsa_float_round_mode_16_64 0
		.amdhsa_float_denorm_mode_32 3
		.amdhsa_float_denorm_mode_16_64 3
		.amdhsa_dx10_clamp 1
		.amdhsa_ieee_mode 1
		.amdhsa_fp16_overflow 0
		.amdhsa_tg_split 0
		.amdhsa_exception_fp_ieee_invalid_op 0
		.amdhsa_exception_fp_denorm_src 0
		.amdhsa_exception_fp_ieee_div_zero 0
		.amdhsa_exception_fp_ieee_overflow 0
		.amdhsa_exception_fp_ieee_underflow 0
		.amdhsa_exception_fp_ieee_inexact 0
		.amdhsa_exception_int_div_zero 0
	.end_amdhsa_kernel
	.section	.text._ZN7rocprim17ROCPRIM_400000_NS6detail17trampoline_kernelINS0_14default_configENS1_35radix_sort_onesweep_config_selectorIalEEZNS1_34radix_sort_onesweep_global_offsetsIS3_Lb0EPaN6thrust23THRUST_200600_302600_NS10device_ptrIlEEjNS0_19identity_decomposerEEE10hipError_tT1_T2_PT3_SG_jT4_jjP12ihipStream_tbEUlT_E_NS1_11comp_targetILNS1_3genE0ELNS1_11target_archE4294967295ELNS1_3gpuE0ELNS1_3repE0EEENS1_52radix_sort_onesweep_histogram_config_static_selectorELNS0_4arch9wavefront6targetE1EEEvSE_,"axG",@progbits,_ZN7rocprim17ROCPRIM_400000_NS6detail17trampoline_kernelINS0_14default_configENS1_35radix_sort_onesweep_config_selectorIalEEZNS1_34radix_sort_onesweep_global_offsetsIS3_Lb0EPaN6thrust23THRUST_200600_302600_NS10device_ptrIlEEjNS0_19identity_decomposerEEE10hipError_tT1_T2_PT3_SG_jT4_jjP12ihipStream_tbEUlT_E_NS1_11comp_targetILNS1_3genE0ELNS1_11target_archE4294967295ELNS1_3gpuE0ELNS1_3repE0EEENS1_52radix_sort_onesweep_histogram_config_static_selectorELNS0_4arch9wavefront6targetE1EEEvSE_,comdat
.Lfunc_end582:
	.size	_ZN7rocprim17ROCPRIM_400000_NS6detail17trampoline_kernelINS0_14default_configENS1_35radix_sort_onesweep_config_selectorIalEEZNS1_34radix_sort_onesweep_global_offsetsIS3_Lb0EPaN6thrust23THRUST_200600_302600_NS10device_ptrIlEEjNS0_19identity_decomposerEEE10hipError_tT1_T2_PT3_SG_jT4_jjP12ihipStream_tbEUlT_E_NS1_11comp_targetILNS1_3genE0ELNS1_11target_archE4294967295ELNS1_3gpuE0ELNS1_3repE0EEENS1_52radix_sort_onesweep_histogram_config_static_selectorELNS0_4arch9wavefront6targetE1EEEvSE_, .Lfunc_end582-_ZN7rocprim17ROCPRIM_400000_NS6detail17trampoline_kernelINS0_14default_configENS1_35radix_sort_onesweep_config_selectorIalEEZNS1_34radix_sort_onesweep_global_offsetsIS3_Lb0EPaN6thrust23THRUST_200600_302600_NS10device_ptrIlEEjNS0_19identity_decomposerEEE10hipError_tT1_T2_PT3_SG_jT4_jjP12ihipStream_tbEUlT_E_NS1_11comp_targetILNS1_3genE0ELNS1_11target_archE4294967295ELNS1_3gpuE0ELNS1_3repE0EEENS1_52radix_sort_onesweep_histogram_config_static_selectorELNS0_4arch9wavefront6targetE1EEEvSE_
                                        ; -- End function
	.section	.AMDGPU.csdata,"",@progbits
; Kernel info:
; codeLenInByte = 0
; NumSgprs: 4
; NumVgprs: 0
; NumAgprs: 0
; TotalNumVgprs: 0
; ScratchSize: 0
; MemoryBound: 0
; FloatMode: 240
; IeeeMode: 1
; LDSByteSize: 0 bytes/workgroup (compile time only)
; SGPRBlocks: 0
; VGPRBlocks: 0
; NumSGPRsForWavesPerEU: 4
; NumVGPRsForWavesPerEU: 1
; AccumOffset: 4
; Occupancy: 8
; WaveLimiterHint : 0
; COMPUTE_PGM_RSRC2:SCRATCH_EN: 0
; COMPUTE_PGM_RSRC2:USER_SGPR: 6
; COMPUTE_PGM_RSRC2:TRAP_HANDLER: 0
; COMPUTE_PGM_RSRC2:TGID_X_EN: 1
; COMPUTE_PGM_RSRC2:TGID_Y_EN: 0
; COMPUTE_PGM_RSRC2:TGID_Z_EN: 0
; COMPUTE_PGM_RSRC2:TIDIG_COMP_CNT: 0
; COMPUTE_PGM_RSRC3_GFX90A:ACCUM_OFFSET: 0
; COMPUTE_PGM_RSRC3_GFX90A:TG_SPLIT: 0
	.section	.text._ZN7rocprim17ROCPRIM_400000_NS6detail17trampoline_kernelINS0_14default_configENS1_35radix_sort_onesweep_config_selectorIalEEZNS1_34radix_sort_onesweep_global_offsetsIS3_Lb0EPaN6thrust23THRUST_200600_302600_NS10device_ptrIlEEjNS0_19identity_decomposerEEE10hipError_tT1_T2_PT3_SG_jT4_jjP12ihipStream_tbEUlT_E_NS1_11comp_targetILNS1_3genE6ELNS1_11target_archE950ELNS1_3gpuE13ELNS1_3repE0EEENS1_52radix_sort_onesweep_histogram_config_static_selectorELNS0_4arch9wavefront6targetE1EEEvSE_,"axG",@progbits,_ZN7rocprim17ROCPRIM_400000_NS6detail17trampoline_kernelINS0_14default_configENS1_35radix_sort_onesweep_config_selectorIalEEZNS1_34radix_sort_onesweep_global_offsetsIS3_Lb0EPaN6thrust23THRUST_200600_302600_NS10device_ptrIlEEjNS0_19identity_decomposerEEE10hipError_tT1_T2_PT3_SG_jT4_jjP12ihipStream_tbEUlT_E_NS1_11comp_targetILNS1_3genE6ELNS1_11target_archE950ELNS1_3gpuE13ELNS1_3repE0EEENS1_52radix_sort_onesweep_histogram_config_static_selectorELNS0_4arch9wavefront6targetE1EEEvSE_,comdat
	.protected	_ZN7rocprim17ROCPRIM_400000_NS6detail17trampoline_kernelINS0_14default_configENS1_35radix_sort_onesweep_config_selectorIalEEZNS1_34radix_sort_onesweep_global_offsetsIS3_Lb0EPaN6thrust23THRUST_200600_302600_NS10device_ptrIlEEjNS0_19identity_decomposerEEE10hipError_tT1_T2_PT3_SG_jT4_jjP12ihipStream_tbEUlT_E_NS1_11comp_targetILNS1_3genE6ELNS1_11target_archE950ELNS1_3gpuE13ELNS1_3repE0EEENS1_52radix_sort_onesweep_histogram_config_static_selectorELNS0_4arch9wavefront6targetE1EEEvSE_ ; -- Begin function _ZN7rocprim17ROCPRIM_400000_NS6detail17trampoline_kernelINS0_14default_configENS1_35radix_sort_onesweep_config_selectorIalEEZNS1_34radix_sort_onesweep_global_offsetsIS3_Lb0EPaN6thrust23THRUST_200600_302600_NS10device_ptrIlEEjNS0_19identity_decomposerEEE10hipError_tT1_T2_PT3_SG_jT4_jjP12ihipStream_tbEUlT_E_NS1_11comp_targetILNS1_3genE6ELNS1_11target_archE950ELNS1_3gpuE13ELNS1_3repE0EEENS1_52radix_sort_onesweep_histogram_config_static_selectorELNS0_4arch9wavefront6targetE1EEEvSE_
	.globl	_ZN7rocprim17ROCPRIM_400000_NS6detail17trampoline_kernelINS0_14default_configENS1_35radix_sort_onesweep_config_selectorIalEEZNS1_34radix_sort_onesweep_global_offsetsIS3_Lb0EPaN6thrust23THRUST_200600_302600_NS10device_ptrIlEEjNS0_19identity_decomposerEEE10hipError_tT1_T2_PT3_SG_jT4_jjP12ihipStream_tbEUlT_E_NS1_11comp_targetILNS1_3genE6ELNS1_11target_archE950ELNS1_3gpuE13ELNS1_3repE0EEENS1_52radix_sort_onesweep_histogram_config_static_selectorELNS0_4arch9wavefront6targetE1EEEvSE_
	.p2align	8
	.type	_ZN7rocprim17ROCPRIM_400000_NS6detail17trampoline_kernelINS0_14default_configENS1_35radix_sort_onesweep_config_selectorIalEEZNS1_34radix_sort_onesweep_global_offsetsIS3_Lb0EPaN6thrust23THRUST_200600_302600_NS10device_ptrIlEEjNS0_19identity_decomposerEEE10hipError_tT1_T2_PT3_SG_jT4_jjP12ihipStream_tbEUlT_E_NS1_11comp_targetILNS1_3genE6ELNS1_11target_archE950ELNS1_3gpuE13ELNS1_3repE0EEENS1_52radix_sort_onesweep_histogram_config_static_selectorELNS0_4arch9wavefront6targetE1EEEvSE_,@function
_ZN7rocprim17ROCPRIM_400000_NS6detail17trampoline_kernelINS0_14default_configENS1_35radix_sort_onesweep_config_selectorIalEEZNS1_34radix_sort_onesweep_global_offsetsIS3_Lb0EPaN6thrust23THRUST_200600_302600_NS10device_ptrIlEEjNS0_19identity_decomposerEEE10hipError_tT1_T2_PT3_SG_jT4_jjP12ihipStream_tbEUlT_E_NS1_11comp_targetILNS1_3genE6ELNS1_11target_archE950ELNS1_3gpuE13ELNS1_3repE0EEENS1_52radix_sort_onesweep_histogram_config_static_selectorELNS0_4arch9wavefront6targetE1EEEvSE_: ; @_ZN7rocprim17ROCPRIM_400000_NS6detail17trampoline_kernelINS0_14default_configENS1_35radix_sort_onesweep_config_selectorIalEEZNS1_34radix_sort_onesweep_global_offsetsIS3_Lb0EPaN6thrust23THRUST_200600_302600_NS10device_ptrIlEEjNS0_19identity_decomposerEEE10hipError_tT1_T2_PT3_SG_jT4_jjP12ihipStream_tbEUlT_E_NS1_11comp_targetILNS1_3genE6ELNS1_11target_archE950ELNS1_3gpuE13ELNS1_3repE0EEENS1_52radix_sort_onesweep_histogram_config_static_selectorELNS0_4arch9wavefront6targetE1EEEvSE_
; %bb.0:
	.section	.rodata,"a",@progbits
	.p2align	6, 0x0
	.amdhsa_kernel _ZN7rocprim17ROCPRIM_400000_NS6detail17trampoline_kernelINS0_14default_configENS1_35radix_sort_onesweep_config_selectorIalEEZNS1_34radix_sort_onesweep_global_offsetsIS3_Lb0EPaN6thrust23THRUST_200600_302600_NS10device_ptrIlEEjNS0_19identity_decomposerEEE10hipError_tT1_T2_PT3_SG_jT4_jjP12ihipStream_tbEUlT_E_NS1_11comp_targetILNS1_3genE6ELNS1_11target_archE950ELNS1_3gpuE13ELNS1_3repE0EEENS1_52radix_sort_onesweep_histogram_config_static_selectorELNS0_4arch9wavefront6targetE1EEEvSE_
		.amdhsa_group_segment_fixed_size 0
		.amdhsa_private_segment_fixed_size 0
		.amdhsa_kernarg_size 40
		.amdhsa_user_sgpr_count 6
		.amdhsa_user_sgpr_private_segment_buffer 1
		.amdhsa_user_sgpr_dispatch_ptr 0
		.amdhsa_user_sgpr_queue_ptr 0
		.amdhsa_user_sgpr_kernarg_segment_ptr 1
		.amdhsa_user_sgpr_dispatch_id 0
		.amdhsa_user_sgpr_flat_scratch_init 0
		.amdhsa_user_sgpr_kernarg_preload_length 0
		.amdhsa_user_sgpr_kernarg_preload_offset 0
		.amdhsa_user_sgpr_private_segment_size 0
		.amdhsa_uses_dynamic_stack 0
		.amdhsa_system_sgpr_private_segment_wavefront_offset 0
		.amdhsa_system_sgpr_workgroup_id_x 1
		.amdhsa_system_sgpr_workgroup_id_y 0
		.amdhsa_system_sgpr_workgroup_id_z 0
		.amdhsa_system_sgpr_workgroup_info 0
		.amdhsa_system_vgpr_workitem_id 0
		.amdhsa_next_free_vgpr 1
		.amdhsa_next_free_sgpr 0
		.amdhsa_accum_offset 4
		.amdhsa_reserve_vcc 0
		.amdhsa_reserve_flat_scratch 0
		.amdhsa_float_round_mode_32 0
		.amdhsa_float_round_mode_16_64 0
		.amdhsa_float_denorm_mode_32 3
		.amdhsa_float_denorm_mode_16_64 3
		.amdhsa_dx10_clamp 1
		.amdhsa_ieee_mode 1
		.amdhsa_fp16_overflow 0
		.amdhsa_tg_split 0
		.amdhsa_exception_fp_ieee_invalid_op 0
		.amdhsa_exception_fp_denorm_src 0
		.amdhsa_exception_fp_ieee_div_zero 0
		.amdhsa_exception_fp_ieee_overflow 0
		.amdhsa_exception_fp_ieee_underflow 0
		.amdhsa_exception_fp_ieee_inexact 0
		.amdhsa_exception_int_div_zero 0
	.end_amdhsa_kernel
	.section	.text._ZN7rocprim17ROCPRIM_400000_NS6detail17trampoline_kernelINS0_14default_configENS1_35radix_sort_onesweep_config_selectorIalEEZNS1_34radix_sort_onesweep_global_offsetsIS3_Lb0EPaN6thrust23THRUST_200600_302600_NS10device_ptrIlEEjNS0_19identity_decomposerEEE10hipError_tT1_T2_PT3_SG_jT4_jjP12ihipStream_tbEUlT_E_NS1_11comp_targetILNS1_3genE6ELNS1_11target_archE950ELNS1_3gpuE13ELNS1_3repE0EEENS1_52radix_sort_onesweep_histogram_config_static_selectorELNS0_4arch9wavefront6targetE1EEEvSE_,"axG",@progbits,_ZN7rocprim17ROCPRIM_400000_NS6detail17trampoline_kernelINS0_14default_configENS1_35radix_sort_onesweep_config_selectorIalEEZNS1_34radix_sort_onesweep_global_offsetsIS3_Lb0EPaN6thrust23THRUST_200600_302600_NS10device_ptrIlEEjNS0_19identity_decomposerEEE10hipError_tT1_T2_PT3_SG_jT4_jjP12ihipStream_tbEUlT_E_NS1_11comp_targetILNS1_3genE6ELNS1_11target_archE950ELNS1_3gpuE13ELNS1_3repE0EEENS1_52radix_sort_onesweep_histogram_config_static_selectorELNS0_4arch9wavefront6targetE1EEEvSE_,comdat
.Lfunc_end583:
	.size	_ZN7rocprim17ROCPRIM_400000_NS6detail17trampoline_kernelINS0_14default_configENS1_35radix_sort_onesweep_config_selectorIalEEZNS1_34radix_sort_onesweep_global_offsetsIS3_Lb0EPaN6thrust23THRUST_200600_302600_NS10device_ptrIlEEjNS0_19identity_decomposerEEE10hipError_tT1_T2_PT3_SG_jT4_jjP12ihipStream_tbEUlT_E_NS1_11comp_targetILNS1_3genE6ELNS1_11target_archE950ELNS1_3gpuE13ELNS1_3repE0EEENS1_52radix_sort_onesweep_histogram_config_static_selectorELNS0_4arch9wavefront6targetE1EEEvSE_, .Lfunc_end583-_ZN7rocprim17ROCPRIM_400000_NS6detail17trampoline_kernelINS0_14default_configENS1_35radix_sort_onesweep_config_selectorIalEEZNS1_34radix_sort_onesweep_global_offsetsIS3_Lb0EPaN6thrust23THRUST_200600_302600_NS10device_ptrIlEEjNS0_19identity_decomposerEEE10hipError_tT1_T2_PT3_SG_jT4_jjP12ihipStream_tbEUlT_E_NS1_11comp_targetILNS1_3genE6ELNS1_11target_archE950ELNS1_3gpuE13ELNS1_3repE0EEENS1_52radix_sort_onesweep_histogram_config_static_selectorELNS0_4arch9wavefront6targetE1EEEvSE_
                                        ; -- End function
	.section	.AMDGPU.csdata,"",@progbits
; Kernel info:
; codeLenInByte = 0
; NumSgprs: 4
; NumVgprs: 0
; NumAgprs: 0
; TotalNumVgprs: 0
; ScratchSize: 0
; MemoryBound: 0
; FloatMode: 240
; IeeeMode: 1
; LDSByteSize: 0 bytes/workgroup (compile time only)
; SGPRBlocks: 0
; VGPRBlocks: 0
; NumSGPRsForWavesPerEU: 4
; NumVGPRsForWavesPerEU: 1
; AccumOffset: 4
; Occupancy: 8
; WaveLimiterHint : 0
; COMPUTE_PGM_RSRC2:SCRATCH_EN: 0
; COMPUTE_PGM_RSRC2:USER_SGPR: 6
; COMPUTE_PGM_RSRC2:TRAP_HANDLER: 0
; COMPUTE_PGM_RSRC2:TGID_X_EN: 1
; COMPUTE_PGM_RSRC2:TGID_Y_EN: 0
; COMPUTE_PGM_RSRC2:TGID_Z_EN: 0
; COMPUTE_PGM_RSRC2:TIDIG_COMP_CNT: 0
; COMPUTE_PGM_RSRC3_GFX90A:ACCUM_OFFSET: 0
; COMPUTE_PGM_RSRC3_GFX90A:TG_SPLIT: 0
	.section	.text._ZN7rocprim17ROCPRIM_400000_NS6detail17trampoline_kernelINS0_14default_configENS1_35radix_sort_onesweep_config_selectorIalEEZNS1_34radix_sort_onesweep_global_offsetsIS3_Lb0EPaN6thrust23THRUST_200600_302600_NS10device_ptrIlEEjNS0_19identity_decomposerEEE10hipError_tT1_T2_PT3_SG_jT4_jjP12ihipStream_tbEUlT_E_NS1_11comp_targetILNS1_3genE5ELNS1_11target_archE942ELNS1_3gpuE9ELNS1_3repE0EEENS1_52radix_sort_onesweep_histogram_config_static_selectorELNS0_4arch9wavefront6targetE1EEEvSE_,"axG",@progbits,_ZN7rocprim17ROCPRIM_400000_NS6detail17trampoline_kernelINS0_14default_configENS1_35radix_sort_onesweep_config_selectorIalEEZNS1_34radix_sort_onesweep_global_offsetsIS3_Lb0EPaN6thrust23THRUST_200600_302600_NS10device_ptrIlEEjNS0_19identity_decomposerEEE10hipError_tT1_T2_PT3_SG_jT4_jjP12ihipStream_tbEUlT_E_NS1_11comp_targetILNS1_3genE5ELNS1_11target_archE942ELNS1_3gpuE9ELNS1_3repE0EEENS1_52radix_sort_onesweep_histogram_config_static_selectorELNS0_4arch9wavefront6targetE1EEEvSE_,comdat
	.protected	_ZN7rocprim17ROCPRIM_400000_NS6detail17trampoline_kernelINS0_14default_configENS1_35radix_sort_onesweep_config_selectorIalEEZNS1_34radix_sort_onesweep_global_offsetsIS3_Lb0EPaN6thrust23THRUST_200600_302600_NS10device_ptrIlEEjNS0_19identity_decomposerEEE10hipError_tT1_T2_PT3_SG_jT4_jjP12ihipStream_tbEUlT_E_NS1_11comp_targetILNS1_3genE5ELNS1_11target_archE942ELNS1_3gpuE9ELNS1_3repE0EEENS1_52radix_sort_onesweep_histogram_config_static_selectorELNS0_4arch9wavefront6targetE1EEEvSE_ ; -- Begin function _ZN7rocprim17ROCPRIM_400000_NS6detail17trampoline_kernelINS0_14default_configENS1_35radix_sort_onesweep_config_selectorIalEEZNS1_34radix_sort_onesweep_global_offsetsIS3_Lb0EPaN6thrust23THRUST_200600_302600_NS10device_ptrIlEEjNS0_19identity_decomposerEEE10hipError_tT1_T2_PT3_SG_jT4_jjP12ihipStream_tbEUlT_E_NS1_11comp_targetILNS1_3genE5ELNS1_11target_archE942ELNS1_3gpuE9ELNS1_3repE0EEENS1_52radix_sort_onesweep_histogram_config_static_selectorELNS0_4arch9wavefront6targetE1EEEvSE_
	.globl	_ZN7rocprim17ROCPRIM_400000_NS6detail17trampoline_kernelINS0_14default_configENS1_35radix_sort_onesweep_config_selectorIalEEZNS1_34radix_sort_onesweep_global_offsetsIS3_Lb0EPaN6thrust23THRUST_200600_302600_NS10device_ptrIlEEjNS0_19identity_decomposerEEE10hipError_tT1_T2_PT3_SG_jT4_jjP12ihipStream_tbEUlT_E_NS1_11comp_targetILNS1_3genE5ELNS1_11target_archE942ELNS1_3gpuE9ELNS1_3repE0EEENS1_52radix_sort_onesweep_histogram_config_static_selectorELNS0_4arch9wavefront6targetE1EEEvSE_
	.p2align	8
	.type	_ZN7rocprim17ROCPRIM_400000_NS6detail17trampoline_kernelINS0_14default_configENS1_35radix_sort_onesweep_config_selectorIalEEZNS1_34radix_sort_onesweep_global_offsetsIS3_Lb0EPaN6thrust23THRUST_200600_302600_NS10device_ptrIlEEjNS0_19identity_decomposerEEE10hipError_tT1_T2_PT3_SG_jT4_jjP12ihipStream_tbEUlT_E_NS1_11comp_targetILNS1_3genE5ELNS1_11target_archE942ELNS1_3gpuE9ELNS1_3repE0EEENS1_52radix_sort_onesweep_histogram_config_static_selectorELNS0_4arch9wavefront6targetE1EEEvSE_,@function
_ZN7rocprim17ROCPRIM_400000_NS6detail17trampoline_kernelINS0_14default_configENS1_35radix_sort_onesweep_config_selectorIalEEZNS1_34radix_sort_onesweep_global_offsetsIS3_Lb0EPaN6thrust23THRUST_200600_302600_NS10device_ptrIlEEjNS0_19identity_decomposerEEE10hipError_tT1_T2_PT3_SG_jT4_jjP12ihipStream_tbEUlT_E_NS1_11comp_targetILNS1_3genE5ELNS1_11target_archE942ELNS1_3gpuE9ELNS1_3repE0EEENS1_52radix_sort_onesweep_histogram_config_static_selectorELNS0_4arch9wavefront6targetE1EEEvSE_: ; @_ZN7rocprim17ROCPRIM_400000_NS6detail17trampoline_kernelINS0_14default_configENS1_35radix_sort_onesweep_config_selectorIalEEZNS1_34radix_sort_onesweep_global_offsetsIS3_Lb0EPaN6thrust23THRUST_200600_302600_NS10device_ptrIlEEjNS0_19identity_decomposerEEE10hipError_tT1_T2_PT3_SG_jT4_jjP12ihipStream_tbEUlT_E_NS1_11comp_targetILNS1_3genE5ELNS1_11target_archE942ELNS1_3gpuE9ELNS1_3repE0EEENS1_52radix_sort_onesweep_histogram_config_static_selectorELNS0_4arch9wavefront6targetE1EEEvSE_
; %bb.0:
	.section	.rodata,"a",@progbits
	.p2align	6, 0x0
	.amdhsa_kernel _ZN7rocprim17ROCPRIM_400000_NS6detail17trampoline_kernelINS0_14default_configENS1_35radix_sort_onesweep_config_selectorIalEEZNS1_34radix_sort_onesweep_global_offsetsIS3_Lb0EPaN6thrust23THRUST_200600_302600_NS10device_ptrIlEEjNS0_19identity_decomposerEEE10hipError_tT1_T2_PT3_SG_jT4_jjP12ihipStream_tbEUlT_E_NS1_11comp_targetILNS1_3genE5ELNS1_11target_archE942ELNS1_3gpuE9ELNS1_3repE0EEENS1_52radix_sort_onesweep_histogram_config_static_selectorELNS0_4arch9wavefront6targetE1EEEvSE_
		.amdhsa_group_segment_fixed_size 0
		.amdhsa_private_segment_fixed_size 0
		.amdhsa_kernarg_size 40
		.amdhsa_user_sgpr_count 6
		.amdhsa_user_sgpr_private_segment_buffer 1
		.amdhsa_user_sgpr_dispatch_ptr 0
		.amdhsa_user_sgpr_queue_ptr 0
		.amdhsa_user_sgpr_kernarg_segment_ptr 1
		.amdhsa_user_sgpr_dispatch_id 0
		.amdhsa_user_sgpr_flat_scratch_init 0
		.amdhsa_user_sgpr_kernarg_preload_length 0
		.amdhsa_user_sgpr_kernarg_preload_offset 0
		.amdhsa_user_sgpr_private_segment_size 0
		.amdhsa_uses_dynamic_stack 0
		.amdhsa_system_sgpr_private_segment_wavefront_offset 0
		.amdhsa_system_sgpr_workgroup_id_x 1
		.amdhsa_system_sgpr_workgroup_id_y 0
		.amdhsa_system_sgpr_workgroup_id_z 0
		.amdhsa_system_sgpr_workgroup_info 0
		.amdhsa_system_vgpr_workitem_id 0
		.amdhsa_next_free_vgpr 1
		.amdhsa_next_free_sgpr 0
		.amdhsa_accum_offset 4
		.amdhsa_reserve_vcc 0
		.amdhsa_reserve_flat_scratch 0
		.amdhsa_float_round_mode_32 0
		.amdhsa_float_round_mode_16_64 0
		.amdhsa_float_denorm_mode_32 3
		.amdhsa_float_denorm_mode_16_64 3
		.amdhsa_dx10_clamp 1
		.amdhsa_ieee_mode 1
		.amdhsa_fp16_overflow 0
		.amdhsa_tg_split 0
		.amdhsa_exception_fp_ieee_invalid_op 0
		.amdhsa_exception_fp_denorm_src 0
		.amdhsa_exception_fp_ieee_div_zero 0
		.amdhsa_exception_fp_ieee_overflow 0
		.amdhsa_exception_fp_ieee_underflow 0
		.amdhsa_exception_fp_ieee_inexact 0
		.amdhsa_exception_int_div_zero 0
	.end_amdhsa_kernel
	.section	.text._ZN7rocprim17ROCPRIM_400000_NS6detail17trampoline_kernelINS0_14default_configENS1_35radix_sort_onesweep_config_selectorIalEEZNS1_34radix_sort_onesweep_global_offsetsIS3_Lb0EPaN6thrust23THRUST_200600_302600_NS10device_ptrIlEEjNS0_19identity_decomposerEEE10hipError_tT1_T2_PT3_SG_jT4_jjP12ihipStream_tbEUlT_E_NS1_11comp_targetILNS1_3genE5ELNS1_11target_archE942ELNS1_3gpuE9ELNS1_3repE0EEENS1_52radix_sort_onesweep_histogram_config_static_selectorELNS0_4arch9wavefront6targetE1EEEvSE_,"axG",@progbits,_ZN7rocprim17ROCPRIM_400000_NS6detail17trampoline_kernelINS0_14default_configENS1_35radix_sort_onesweep_config_selectorIalEEZNS1_34radix_sort_onesweep_global_offsetsIS3_Lb0EPaN6thrust23THRUST_200600_302600_NS10device_ptrIlEEjNS0_19identity_decomposerEEE10hipError_tT1_T2_PT3_SG_jT4_jjP12ihipStream_tbEUlT_E_NS1_11comp_targetILNS1_3genE5ELNS1_11target_archE942ELNS1_3gpuE9ELNS1_3repE0EEENS1_52radix_sort_onesweep_histogram_config_static_selectorELNS0_4arch9wavefront6targetE1EEEvSE_,comdat
.Lfunc_end584:
	.size	_ZN7rocprim17ROCPRIM_400000_NS6detail17trampoline_kernelINS0_14default_configENS1_35radix_sort_onesweep_config_selectorIalEEZNS1_34radix_sort_onesweep_global_offsetsIS3_Lb0EPaN6thrust23THRUST_200600_302600_NS10device_ptrIlEEjNS0_19identity_decomposerEEE10hipError_tT1_T2_PT3_SG_jT4_jjP12ihipStream_tbEUlT_E_NS1_11comp_targetILNS1_3genE5ELNS1_11target_archE942ELNS1_3gpuE9ELNS1_3repE0EEENS1_52radix_sort_onesweep_histogram_config_static_selectorELNS0_4arch9wavefront6targetE1EEEvSE_, .Lfunc_end584-_ZN7rocprim17ROCPRIM_400000_NS6detail17trampoline_kernelINS0_14default_configENS1_35radix_sort_onesweep_config_selectorIalEEZNS1_34radix_sort_onesweep_global_offsetsIS3_Lb0EPaN6thrust23THRUST_200600_302600_NS10device_ptrIlEEjNS0_19identity_decomposerEEE10hipError_tT1_T2_PT3_SG_jT4_jjP12ihipStream_tbEUlT_E_NS1_11comp_targetILNS1_3genE5ELNS1_11target_archE942ELNS1_3gpuE9ELNS1_3repE0EEENS1_52radix_sort_onesweep_histogram_config_static_selectorELNS0_4arch9wavefront6targetE1EEEvSE_
                                        ; -- End function
	.section	.AMDGPU.csdata,"",@progbits
; Kernel info:
; codeLenInByte = 0
; NumSgprs: 4
; NumVgprs: 0
; NumAgprs: 0
; TotalNumVgprs: 0
; ScratchSize: 0
; MemoryBound: 0
; FloatMode: 240
; IeeeMode: 1
; LDSByteSize: 0 bytes/workgroup (compile time only)
; SGPRBlocks: 0
; VGPRBlocks: 0
; NumSGPRsForWavesPerEU: 4
; NumVGPRsForWavesPerEU: 1
; AccumOffset: 4
; Occupancy: 8
; WaveLimiterHint : 0
; COMPUTE_PGM_RSRC2:SCRATCH_EN: 0
; COMPUTE_PGM_RSRC2:USER_SGPR: 6
; COMPUTE_PGM_RSRC2:TRAP_HANDLER: 0
; COMPUTE_PGM_RSRC2:TGID_X_EN: 1
; COMPUTE_PGM_RSRC2:TGID_Y_EN: 0
; COMPUTE_PGM_RSRC2:TGID_Z_EN: 0
; COMPUTE_PGM_RSRC2:TIDIG_COMP_CNT: 0
; COMPUTE_PGM_RSRC3_GFX90A:ACCUM_OFFSET: 0
; COMPUTE_PGM_RSRC3_GFX90A:TG_SPLIT: 0
	.section	.text._ZN7rocprim17ROCPRIM_400000_NS6detail17trampoline_kernelINS0_14default_configENS1_35radix_sort_onesweep_config_selectorIalEEZNS1_34radix_sort_onesweep_global_offsetsIS3_Lb0EPaN6thrust23THRUST_200600_302600_NS10device_ptrIlEEjNS0_19identity_decomposerEEE10hipError_tT1_T2_PT3_SG_jT4_jjP12ihipStream_tbEUlT_E_NS1_11comp_targetILNS1_3genE2ELNS1_11target_archE906ELNS1_3gpuE6ELNS1_3repE0EEENS1_52radix_sort_onesweep_histogram_config_static_selectorELNS0_4arch9wavefront6targetE1EEEvSE_,"axG",@progbits,_ZN7rocprim17ROCPRIM_400000_NS6detail17trampoline_kernelINS0_14default_configENS1_35radix_sort_onesweep_config_selectorIalEEZNS1_34radix_sort_onesweep_global_offsetsIS3_Lb0EPaN6thrust23THRUST_200600_302600_NS10device_ptrIlEEjNS0_19identity_decomposerEEE10hipError_tT1_T2_PT3_SG_jT4_jjP12ihipStream_tbEUlT_E_NS1_11comp_targetILNS1_3genE2ELNS1_11target_archE906ELNS1_3gpuE6ELNS1_3repE0EEENS1_52radix_sort_onesweep_histogram_config_static_selectorELNS0_4arch9wavefront6targetE1EEEvSE_,comdat
	.protected	_ZN7rocprim17ROCPRIM_400000_NS6detail17trampoline_kernelINS0_14default_configENS1_35radix_sort_onesweep_config_selectorIalEEZNS1_34radix_sort_onesweep_global_offsetsIS3_Lb0EPaN6thrust23THRUST_200600_302600_NS10device_ptrIlEEjNS0_19identity_decomposerEEE10hipError_tT1_T2_PT3_SG_jT4_jjP12ihipStream_tbEUlT_E_NS1_11comp_targetILNS1_3genE2ELNS1_11target_archE906ELNS1_3gpuE6ELNS1_3repE0EEENS1_52radix_sort_onesweep_histogram_config_static_selectorELNS0_4arch9wavefront6targetE1EEEvSE_ ; -- Begin function _ZN7rocprim17ROCPRIM_400000_NS6detail17trampoline_kernelINS0_14default_configENS1_35radix_sort_onesweep_config_selectorIalEEZNS1_34radix_sort_onesweep_global_offsetsIS3_Lb0EPaN6thrust23THRUST_200600_302600_NS10device_ptrIlEEjNS0_19identity_decomposerEEE10hipError_tT1_T2_PT3_SG_jT4_jjP12ihipStream_tbEUlT_E_NS1_11comp_targetILNS1_3genE2ELNS1_11target_archE906ELNS1_3gpuE6ELNS1_3repE0EEENS1_52radix_sort_onesweep_histogram_config_static_selectorELNS0_4arch9wavefront6targetE1EEEvSE_
	.globl	_ZN7rocprim17ROCPRIM_400000_NS6detail17trampoline_kernelINS0_14default_configENS1_35radix_sort_onesweep_config_selectorIalEEZNS1_34radix_sort_onesweep_global_offsetsIS3_Lb0EPaN6thrust23THRUST_200600_302600_NS10device_ptrIlEEjNS0_19identity_decomposerEEE10hipError_tT1_T2_PT3_SG_jT4_jjP12ihipStream_tbEUlT_E_NS1_11comp_targetILNS1_3genE2ELNS1_11target_archE906ELNS1_3gpuE6ELNS1_3repE0EEENS1_52radix_sort_onesweep_histogram_config_static_selectorELNS0_4arch9wavefront6targetE1EEEvSE_
	.p2align	8
	.type	_ZN7rocprim17ROCPRIM_400000_NS6detail17trampoline_kernelINS0_14default_configENS1_35radix_sort_onesweep_config_selectorIalEEZNS1_34radix_sort_onesweep_global_offsetsIS3_Lb0EPaN6thrust23THRUST_200600_302600_NS10device_ptrIlEEjNS0_19identity_decomposerEEE10hipError_tT1_T2_PT3_SG_jT4_jjP12ihipStream_tbEUlT_E_NS1_11comp_targetILNS1_3genE2ELNS1_11target_archE906ELNS1_3gpuE6ELNS1_3repE0EEENS1_52radix_sort_onesweep_histogram_config_static_selectorELNS0_4arch9wavefront6targetE1EEEvSE_,@function
_ZN7rocprim17ROCPRIM_400000_NS6detail17trampoline_kernelINS0_14default_configENS1_35radix_sort_onesweep_config_selectorIalEEZNS1_34radix_sort_onesweep_global_offsetsIS3_Lb0EPaN6thrust23THRUST_200600_302600_NS10device_ptrIlEEjNS0_19identity_decomposerEEE10hipError_tT1_T2_PT3_SG_jT4_jjP12ihipStream_tbEUlT_E_NS1_11comp_targetILNS1_3genE2ELNS1_11target_archE906ELNS1_3gpuE6ELNS1_3repE0EEENS1_52radix_sort_onesweep_histogram_config_static_selectorELNS0_4arch9wavefront6targetE1EEEvSE_: ; @_ZN7rocprim17ROCPRIM_400000_NS6detail17trampoline_kernelINS0_14default_configENS1_35radix_sort_onesweep_config_selectorIalEEZNS1_34radix_sort_onesweep_global_offsetsIS3_Lb0EPaN6thrust23THRUST_200600_302600_NS10device_ptrIlEEjNS0_19identity_decomposerEEE10hipError_tT1_T2_PT3_SG_jT4_jjP12ihipStream_tbEUlT_E_NS1_11comp_targetILNS1_3genE2ELNS1_11target_archE906ELNS1_3gpuE6ELNS1_3repE0EEENS1_52radix_sort_onesweep_histogram_config_static_selectorELNS0_4arch9wavefront6targetE1EEEvSE_
; %bb.0:
	.section	.rodata,"a",@progbits
	.p2align	6, 0x0
	.amdhsa_kernel _ZN7rocprim17ROCPRIM_400000_NS6detail17trampoline_kernelINS0_14default_configENS1_35radix_sort_onesweep_config_selectorIalEEZNS1_34radix_sort_onesweep_global_offsetsIS3_Lb0EPaN6thrust23THRUST_200600_302600_NS10device_ptrIlEEjNS0_19identity_decomposerEEE10hipError_tT1_T2_PT3_SG_jT4_jjP12ihipStream_tbEUlT_E_NS1_11comp_targetILNS1_3genE2ELNS1_11target_archE906ELNS1_3gpuE6ELNS1_3repE0EEENS1_52radix_sort_onesweep_histogram_config_static_selectorELNS0_4arch9wavefront6targetE1EEEvSE_
		.amdhsa_group_segment_fixed_size 0
		.amdhsa_private_segment_fixed_size 0
		.amdhsa_kernarg_size 40
		.amdhsa_user_sgpr_count 6
		.amdhsa_user_sgpr_private_segment_buffer 1
		.amdhsa_user_sgpr_dispatch_ptr 0
		.amdhsa_user_sgpr_queue_ptr 0
		.amdhsa_user_sgpr_kernarg_segment_ptr 1
		.amdhsa_user_sgpr_dispatch_id 0
		.amdhsa_user_sgpr_flat_scratch_init 0
		.amdhsa_user_sgpr_kernarg_preload_length 0
		.amdhsa_user_sgpr_kernarg_preload_offset 0
		.amdhsa_user_sgpr_private_segment_size 0
		.amdhsa_uses_dynamic_stack 0
		.amdhsa_system_sgpr_private_segment_wavefront_offset 0
		.amdhsa_system_sgpr_workgroup_id_x 1
		.amdhsa_system_sgpr_workgroup_id_y 0
		.amdhsa_system_sgpr_workgroup_id_z 0
		.amdhsa_system_sgpr_workgroup_info 0
		.amdhsa_system_vgpr_workitem_id 0
		.amdhsa_next_free_vgpr 1
		.amdhsa_next_free_sgpr 0
		.amdhsa_accum_offset 4
		.amdhsa_reserve_vcc 0
		.amdhsa_reserve_flat_scratch 0
		.amdhsa_float_round_mode_32 0
		.amdhsa_float_round_mode_16_64 0
		.amdhsa_float_denorm_mode_32 3
		.amdhsa_float_denorm_mode_16_64 3
		.amdhsa_dx10_clamp 1
		.amdhsa_ieee_mode 1
		.amdhsa_fp16_overflow 0
		.amdhsa_tg_split 0
		.amdhsa_exception_fp_ieee_invalid_op 0
		.amdhsa_exception_fp_denorm_src 0
		.amdhsa_exception_fp_ieee_div_zero 0
		.amdhsa_exception_fp_ieee_overflow 0
		.amdhsa_exception_fp_ieee_underflow 0
		.amdhsa_exception_fp_ieee_inexact 0
		.amdhsa_exception_int_div_zero 0
	.end_amdhsa_kernel
	.section	.text._ZN7rocprim17ROCPRIM_400000_NS6detail17trampoline_kernelINS0_14default_configENS1_35radix_sort_onesweep_config_selectorIalEEZNS1_34radix_sort_onesweep_global_offsetsIS3_Lb0EPaN6thrust23THRUST_200600_302600_NS10device_ptrIlEEjNS0_19identity_decomposerEEE10hipError_tT1_T2_PT3_SG_jT4_jjP12ihipStream_tbEUlT_E_NS1_11comp_targetILNS1_3genE2ELNS1_11target_archE906ELNS1_3gpuE6ELNS1_3repE0EEENS1_52radix_sort_onesweep_histogram_config_static_selectorELNS0_4arch9wavefront6targetE1EEEvSE_,"axG",@progbits,_ZN7rocprim17ROCPRIM_400000_NS6detail17trampoline_kernelINS0_14default_configENS1_35radix_sort_onesweep_config_selectorIalEEZNS1_34radix_sort_onesweep_global_offsetsIS3_Lb0EPaN6thrust23THRUST_200600_302600_NS10device_ptrIlEEjNS0_19identity_decomposerEEE10hipError_tT1_T2_PT3_SG_jT4_jjP12ihipStream_tbEUlT_E_NS1_11comp_targetILNS1_3genE2ELNS1_11target_archE906ELNS1_3gpuE6ELNS1_3repE0EEENS1_52radix_sort_onesweep_histogram_config_static_selectorELNS0_4arch9wavefront6targetE1EEEvSE_,comdat
.Lfunc_end585:
	.size	_ZN7rocprim17ROCPRIM_400000_NS6detail17trampoline_kernelINS0_14default_configENS1_35radix_sort_onesweep_config_selectorIalEEZNS1_34radix_sort_onesweep_global_offsetsIS3_Lb0EPaN6thrust23THRUST_200600_302600_NS10device_ptrIlEEjNS0_19identity_decomposerEEE10hipError_tT1_T2_PT3_SG_jT4_jjP12ihipStream_tbEUlT_E_NS1_11comp_targetILNS1_3genE2ELNS1_11target_archE906ELNS1_3gpuE6ELNS1_3repE0EEENS1_52radix_sort_onesweep_histogram_config_static_selectorELNS0_4arch9wavefront6targetE1EEEvSE_, .Lfunc_end585-_ZN7rocprim17ROCPRIM_400000_NS6detail17trampoline_kernelINS0_14default_configENS1_35radix_sort_onesweep_config_selectorIalEEZNS1_34radix_sort_onesweep_global_offsetsIS3_Lb0EPaN6thrust23THRUST_200600_302600_NS10device_ptrIlEEjNS0_19identity_decomposerEEE10hipError_tT1_T2_PT3_SG_jT4_jjP12ihipStream_tbEUlT_E_NS1_11comp_targetILNS1_3genE2ELNS1_11target_archE906ELNS1_3gpuE6ELNS1_3repE0EEENS1_52radix_sort_onesweep_histogram_config_static_selectorELNS0_4arch9wavefront6targetE1EEEvSE_
                                        ; -- End function
	.section	.AMDGPU.csdata,"",@progbits
; Kernel info:
; codeLenInByte = 0
; NumSgprs: 4
; NumVgprs: 0
; NumAgprs: 0
; TotalNumVgprs: 0
; ScratchSize: 0
; MemoryBound: 0
; FloatMode: 240
; IeeeMode: 1
; LDSByteSize: 0 bytes/workgroup (compile time only)
; SGPRBlocks: 0
; VGPRBlocks: 0
; NumSGPRsForWavesPerEU: 4
; NumVGPRsForWavesPerEU: 1
; AccumOffset: 4
; Occupancy: 8
; WaveLimiterHint : 0
; COMPUTE_PGM_RSRC2:SCRATCH_EN: 0
; COMPUTE_PGM_RSRC2:USER_SGPR: 6
; COMPUTE_PGM_RSRC2:TRAP_HANDLER: 0
; COMPUTE_PGM_RSRC2:TGID_X_EN: 1
; COMPUTE_PGM_RSRC2:TGID_Y_EN: 0
; COMPUTE_PGM_RSRC2:TGID_Z_EN: 0
; COMPUTE_PGM_RSRC2:TIDIG_COMP_CNT: 0
; COMPUTE_PGM_RSRC3_GFX90A:ACCUM_OFFSET: 0
; COMPUTE_PGM_RSRC3_GFX90A:TG_SPLIT: 0
	.section	.text._ZN7rocprim17ROCPRIM_400000_NS6detail17trampoline_kernelINS0_14default_configENS1_35radix_sort_onesweep_config_selectorIalEEZNS1_34radix_sort_onesweep_global_offsetsIS3_Lb0EPaN6thrust23THRUST_200600_302600_NS10device_ptrIlEEjNS0_19identity_decomposerEEE10hipError_tT1_T2_PT3_SG_jT4_jjP12ihipStream_tbEUlT_E_NS1_11comp_targetILNS1_3genE4ELNS1_11target_archE910ELNS1_3gpuE8ELNS1_3repE0EEENS1_52radix_sort_onesweep_histogram_config_static_selectorELNS0_4arch9wavefront6targetE1EEEvSE_,"axG",@progbits,_ZN7rocprim17ROCPRIM_400000_NS6detail17trampoline_kernelINS0_14default_configENS1_35radix_sort_onesweep_config_selectorIalEEZNS1_34radix_sort_onesweep_global_offsetsIS3_Lb0EPaN6thrust23THRUST_200600_302600_NS10device_ptrIlEEjNS0_19identity_decomposerEEE10hipError_tT1_T2_PT3_SG_jT4_jjP12ihipStream_tbEUlT_E_NS1_11comp_targetILNS1_3genE4ELNS1_11target_archE910ELNS1_3gpuE8ELNS1_3repE0EEENS1_52radix_sort_onesweep_histogram_config_static_selectorELNS0_4arch9wavefront6targetE1EEEvSE_,comdat
	.protected	_ZN7rocprim17ROCPRIM_400000_NS6detail17trampoline_kernelINS0_14default_configENS1_35radix_sort_onesweep_config_selectorIalEEZNS1_34radix_sort_onesweep_global_offsetsIS3_Lb0EPaN6thrust23THRUST_200600_302600_NS10device_ptrIlEEjNS0_19identity_decomposerEEE10hipError_tT1_T2_PT3_SG_jT4_jjP12ihipStream_tbEUlT_E_NS1_11comp_targetILNS1_3genE4ELNS1_11target_archE910ELNS1_3gpuE8ELNS1_3repE0EEENS1_52radix_sort_onesweep_histogram_config_static_selectorELNS0_4arch9wavefront6targetE1EEEvSE_ ; -- Begin function _ZN7rocprim17ROCPRIM_400000_NS6detail17trampoline_kernelINS0_14default_configENS1_35radix_sort_onesweep_config_selectorIalEEZNS1_34radix_sort_onesweep_global_offsetsIS3_Lb0EPaN6thrust23THRUST_200600_302600_NS10device_ptrIlEEjNS0_19identity_decomposerEEE10hipError_tT1_T2_PT3_SG_jT4_jjP12ihipStream_tbEUlT_E_NS1_11comp_targetILNS1_3genE4ELNS1_11target_archE910ELNS1_3gpuE8ELNS1_3repE0EEENS1_52radix_sort_onesweep_histogram_config_static_selectorELNS0_4arch9wavefront6targetE1EEEvSE_
	.globl	_ZN7rocprim17ROCPRIM_400000_NS6detail17trampoline_kernelINS0_14default_configENS1_35radix_sort_onesweep_config_selectorIalEEZNS1_34radix_sort_onesweep_global_offsetsIS3_Lb0EPaN6thrust23THRUST_200600_302600_NS10device_ptrIlEEjNS0_19identity_decomposerEEE10hipError_tT1_T2_PT3_SG_jT4_jjP12ihipStream_tbEUlT_E_NS1_11comp_targetILNS1_3genE4ELNS1_11target_archE910ELNS1_3gpuE8ELNS1_3repE0EEENS1_52radix_sort_onesweep_histogram_config_static_selectorELNS0_4arch9wavefront6targetE1EEEvSE_
	.p2align	8
	.type	_ZN7rocprim17ROCPRIM_400000_NS6detail17trampoline_kernelINS0_14default_configENS1_35radix_sort_onesweep_config_selectorIalEEZNS1_34radix_sort_onesweep_global_offsetsIS3_Lb0EPaN6thrust23THRUST_200600_302600_NS10device_ptrIlEEjNS0_19identity_decomposerEEE10hipError_tT1_T2_PT3_SG_jT4_jjP12ihipStream_tbEUlT_E_NS1_11comp_targetILNS1_3genE4ELNS1_11target_archE910ELNS1_3gpuE8ELNS1_3repE0EEENS1_52radix_sort_onesweep_histogram_config_static_selectorELNS0_4arch9wavefront6targetE1EEEvSE_,@function
_ZN7rocprim17ROCPRIM_400000_NS6detail17trampoline_kernelINS0_14default_configENS1_35radix_sort_onesweep_config_selectorIalEEZNS1_34radix_sort_onesweep_global_offsetsIS3_Lb0EPaN6thrust23THRUST_200600_302600_NS10device_ptrIlEEjNS0_19identity_decomposerEEE10hipError_tT1_T2_PT3_SG_jT4_jjP12ihipStream_tbEUlT_E_NS1_11comp_targetILNS1_3genE4ELNS1_11target_archE910ELNS1_3gpuE8ELNS1_3repE0EEENS1_52radix_sort_onesweep_histogram_config_static_selectorELNS0_4arch9wavefront6targetE1EEEvSE_: ; @_ZN7rocprim17ROCPRIM_400000_NS6detail17trampoline_kernelINS0_14default_configENS1_35radix_sort_onesweep_config_selectorIalEEZNS1_34radix_sort_onesweep_global_offsetsIS3_Lb0EPaN6thrust23THRUST_200600_302600_NS10device_ptrIlEEjNS0_19identity_decomposerEEE10hipError_tT1_T2_PT3_SG_jT4_jjP12ihipStream_tbEUlT_E_NS1_11comp_targetILNS1_3genE4ELNS1_11target_archE910ELNS1_3gpuE8ELNS1_3repE0EEENS1_52radix_sort_onesweep_histogram_config_static_selectorELNS0_4arch9wavefront6targetE1EEEvSE_
; %bb.0:
	s_load_dword s2, s[4:5], 0x14
	s_load_dwordx4 s[16:19], s[4:5], 0x0
	s_load_dwordx2 s[20:21], s[4:5], 0x1c
	s_lshl_b32 s26, s6, 13
	s_mov_b64 s[0:1], -1
	s_waitcnt lgkmcnt(0)
	s_cmp_ge_u32 s6, s2
	s_cbranch_scc0 .LBB586_39
; %bb.1:
	s_load_dword s0, s[4:5], 0x10
	s_lshl_b32 s1, s2, 13
                                        ; implicit-def: $vgpr1
	s_waitcnt lgkmcnt(0)
	s_sub_i32 s24, s0, s1
	s_add_u32 s22, s16, s26
	v_cmp_le_u32_e32 vcc, s24, v0
	s_addc_u32 s23, s17, 0
	v_cmp_gt_u32_e64 s[0:1], s24, v0
	s_and_saveexec_b64 s[2:3], s[0:1]
	s_cbranch_execz .LBB586_3
; %bb.2:
	global_load_ubyte v1, v0, s[22:23]
.LBB586_3:
	s_or_b64 exec, exec, s[2:3]
	v_or_b32_e32 v2, 0x400, v0
	v_cmp_le_u32_e64 s[0:1], s24, v2
	v_cmp_gt_u32_e64 s[2:3], s24, v2
                                        ; implicit-def: $vgpr2
	s_and_saveexec_b64 s[4:5], s[2:3]
	s_cbranch_execz .LBB586_5
; %bb.4:
	global_load_ubyte v2, v0, s[22:23] offset:1024
.LBB586_5:
	s_or_b64 exec, exec, s[4:5]
	v_or_b32_e32 v3, 0x800, v0
	v_cmp_le_u32_e64 s[2:3], s24, v3
	v_cmp_gt_u32_e64 s[4:5], s24, v3
                                        ; implicit-def: $vgpr3
	s_and_saveexec_b64 s[6:7], s[4:5]
	s_cbranch_execz .LBB586_7
; %bb.6:
	global_load_ubyte v3, v0, s[22:23] offset:2048
.LBB586_7:
	s_or_b64 exec, exec, s[6:7]
	v_or_b32_e32 v4, 0xc00, v0
	v_cmp_le_u32_e64 s[4:5], s24, v4
	v_cmp_gt_u32_e64 s[6:7], s24, v4
                                        ; implicit-def: $vgpr4
	s_and_saveexec_b64 s[8:9], s[6:7]
	s_cbranch_execz .LBB586_9
; %bb.8:
	global_load_ubyte v4, v0, s[22:23] offset:3072
.LBB586_9:
	s_or_b64 exec, exec, s[8:9]
	v_or_b32_e32 v6, 0x1000, v0
	v_cmp_le_u32_e64 s[6:7], s24, v6
	v_cmp_gt_u32_e64 s[8:9], s24, v6
                                        ; implicit-def: $vgpr5
	s_and_saveexec_b64 s[10:11], s[8:9]
	s_cbranch_execz .LBB586_11
; %bb.10:
	global_load_ubyte v5, v6, s[22:23]
.LBB586_11:
	s_or_b64 exec, exec, s[10:11]
	v_or_b32_e32 v7, 0x1400, v0
	v_cmp_le_u32_e64 s[8:9], s24, v7
	v_cmp_gt_u32_e64 s[10:11], s24, v7
                                        ; implicit-def: $vgpr6
	s_and_saveexec_b64 s[12:13], s[10:11]
	s_cbranch_execz .LBB586_13
; %bb.12:
	global_load_ubyte v6, v7, s[22:23]
.LBB586_13:
	s_or_b64 exec, exec, s[12:13]
	v_or_b32_e32 v8, 0x1800, v0
	v_cmp_le_u32_e64 s[10:11], s24, v8
	v_cmp_gt_u32_e64 s[12:13], s24, v8
                                        ; implicit-def: $vgpr7
	s_and_saveexec_b64 s[14:15], s[12:13]
	s_cbranch_execz .LBB586_15
; %bb.14:
	global_load_ubyte v7, v8, s[22:23]
.LBB586_15:
	s_or_b64 exec, exec, s[14:15]
	v_or_b32_e32 v9, 0x1c00, v0
	v_cmp_le_u32_e64 s[12:13], s24, v9
	v_cmp_gt_u32_e64 s[14:15], s24, v9
                                        ; implicit-def: $vgpr8
	s_and_saveexec_b64 s[24:25], s[14:15]
	s_cbranch_execz .LBB586_17
; %bb.16:
	global_load_ubyte v8, v9, s[22:23]
.LBB586_17:
	s_or_b64 exec, exec, s[24:25]
	s_cmp_le_u32 s21, s20
	s_cselect_b64 s[22:23], -1, 0
	s_cmp_gt_u32 s21, s20
	s_cselect_b64 s[14:15], -1, 0
	s_sub_i32 s24, s21, s20
	s_min_u32 s24, s24, 8
	s_lshl_b32 s24, -1, s24
	v_and_b32_e32 v9, 3, v0
	s_not_b32 s27, s24
	s_or_b64 s[24:25], s[22:23], vcc
	v_lshlrev_b32_e32 v10, 2, v0
	v_mov_b32_e32 v11, 0
	s_xor_b64 s[28:29], s[24:25], -1
	v_lshlrev_b32_e32 v9, 2, v9
	ds_write_b32 v10, v11
	s_waitcnt lgkmcnt(0)
	s_barrier
	s_and_saveexec_b64 s[24:25], s[28:29]
	s_cbranch_execz .LBB586_19
; %bb.18:
	s_waitcnt vmcnt(0)
	v_xor_b32_e32 v1, 0x80, v1
	v_lshrrev_b32_sdwa v1, s20, v1 dst_sel:DWORD dst_unused:UNUSED_PAD src0_sel:DWORD src1_sel:BYTE_0
	v_and_b32_e32 v1, s27, v1
	v_lshl_or_b32 v1, v1, 4, v9
	v_mov_b32_e32 v10, 1
	ds_add_u32 v1, v10
.LBB586_19:
	s_or_b64 exec, exec, s[24:25]
	s_or_b64 s[0:1], s[22:23], s[0:1]
	s_xor_b64 s[24:25], s[0:1], -1
	s_and_saveexec_b64 s[0:1], s[24:25]
	s_cbranch_execz .LBB586_21
; %bb.20:
	s_waitcnt vmcnt(0)
	v_xor_b32_e32 v1, 0x80, v2
	v_lshrrev_b32_sdwa v1, s20, v1 dst_sel:DWORD dst_unused:UNUSED_PAD src0_sel:DWORD src1_sel:BYTE_0
	v_and_b32_e32 v1, s27, v1
	v_lshl_or_b32 v1, v1, 4, v9
	v_mov_b32_e32 v2, 1
	ds_add_u32 v1, v2
.LBB586_21:
	s_or_b64 exec, exec, s[0:1]
	s_or_b64 s[0:1], s[22:23], s[2:3]
	s_xor_b64 s[2:3], s[0:1], -1
	;; [unrolled: 14-line block ×7, first 2 shown]
	s_and_saveexec_b64 s[0:1], s[2:3]
	s_cbranch_execz .LBB586_33
; %bb.32:
	s_waitcnt vmcnt(0)
	v_xor_b32_e32 v1, 0x80, v8
	v_lshrrev_b32_sdwa v1, s20, v1 dst_sel:DWORD dst_unused:UNUSED_PAD src0_sel:DWORD src1_sel:BYTE_0
	v_and_b32_e32 v1, s27, v1
	v_lshl_or_b32 v1, v1, 4, v9
	v_mov_b32_e32 v2, 1
	ds_add_u32 v1, v2
.LBB586_33:
	s_or_b64 exec, exec, s[0:1]
	s_and_b64 vcc, exec, s[14:15]
	s_waitcnt lgkmcnt(0)
	s_barrier
	s_cbranch_vccz .LBB586_38
; %bb.34:
	s_movk_i32 s0, 0x100
	v_cmp_gt_u32_e32 vcc, s0, v0
	s_waitcnt vmcnt(0)
	v_lshlrev_b32_e32 v1, 4, v0
	v_mov_b32_e32 v3, 0
	v_mov_b32_e32 v2, v0
	s_mov_b32 s4, s20
	s_branch .LBB586_36
.LBB586_35:                             ;   in Loop: Header=BB586_36 Depth=1
	s_or_b64 exec, exec, s[2:3]
	s_add_i32 s4, s4, 8
	v_add_u32_e32 v2, 0x100, v2
	s_cmp_lt_u32 s4, s21
	v_add_u32_e32 v1, 0x1000, v1
	s_cbranch_scc0 .LBB586_38
.LBB586_36:                             ; =>This Inner Loop Header: Depth=1
	s_and_saveexec_b64 s[2:3], vcc
	s_cbranch_execz .LBB586_35
; %bb.37:                               ;   in Loop: Header=BB586_36 Depth=1
	ds_read2_b32 v[4:5], v1 offset1:1
	ds_read2_b32 v[6:7], v1 offset0:2 offset1:3
	v_lshlrev_b64 v[8:9], 2, v[2:3]
	v_mov_b32_e32 v10, s19
	s_waitcnt lgkmcnt(1)
	v_add_u32_e32 v4, v5, v4
	s_waitcnt lgkmcnt(0)
	v_add3_u32 v6, v4, v6, v7
	v_add_co_u32_e64 v4, s[0:1], s18, v8
	v_addc_co_u32_e64 v5, s[0:1], v10, v9, s[0:1]
	global_atomic_add v[4:5], v6, off
	s_branch .LBB586_35
.LBB586_38:
	s_mov_b64 s[0:1], 0
.LBB586_39:
	s_and_b64 vcc, exec, s[0:1]
	s_cbranch_vccz .LBB586_52
; %bb.40:
	s_cmp_lg_u32 s20, 0
	s_cselect_b64 s[0:1], -1, 0
	s_cmp_lg_u32 s21, 8
	s_cselect_b64 s[2:3], -1, 0
	s_or_b64 s[2:3], s[0:1], s[2:3]
	s_add_u32 s0, s16, s26
	s_addc_u32 s1, s17, 0
	s_waitcnt vmcnt(0)
	v_mov_b32_e32 v1, s1
	v_add_co_u32_e32 v2, vcc, s0, v0
	v_addc_co_u32_e32 v1, vcc, 0, v1, vcc
	v_add_co_u32_e32 v2, vcc, 0x1000, v2
	v_addc_co_u32_e32 v3, vcc, 0, v1, vcc
	global_load_ubyte v4, v0, s[0:1] offset:1024
	global_load_ubyte v5, v0, s[0:1] offset:2048
	;; [unrolled: 1-line block ×3, first 2 shown]
	global_load_ubyte v7, v[2:3], off
	global_load_ubyte v8, v[2:3], off offset:1024
	global_load_ubyte v9, v[2:3], off offset:2048
	global_load_ubyte v11, v0, s[0:1]
	global_load_ubyte v10, v[2:3], off offset:3072
	v_mov_b32_e32 v2, 0
	v_lshlrev_b32_e32 v1, 2, v0
	s_mov_b64 s[0:1], -1
	s_and_b64 vcc, exec, s[2:3]
	ds_write_b32 v1, v2
	s_waitcnt lgkmcnt(0)
	s_cbranch_vccz .LBB586_49
; %bb.41:
	s_cmp_gt_u32 s21, s20
	s_cselect_b64 s[0:1], -1, 0
	s_and_b64 vcc, exec, s[0:1]
	s_barrier
	s_cbranch_vccz .LBB586_43
; %bb.42:
	s_sub_i32 s2, s21, s20
	s_min_u32 s2, s2, 8
	s_lshl_b32 s2, -1, s2
	s_waitcnt vmcnt(1)
	v_xor_b32_e32 v18, 0x80, v11
	s_not_b32 s2, s2
	v_and_b32_e32 v2, 3, v0
	v_xor_b32_e32 v17, 0x80, v4
	v_lshrrev_b32_sdwa v18, s20, v18 dst_sel:DWORD dst_unused:UNUSED_PAD src0_sel:DWORD src1_sel:BYTE_0
	v_xor_b32_e32 v16, 0x80, v5
	v_and_b32_e32 v18, s2, v18
	v_lshlrev_b32_e32 v2, 2, v2
	v_lshrrev_b32_sdwa v17, s20, v17 dst_sel:DWORD dst_unused:UNUSED_PAD src0_sel:DWORD src1_sel:BYTE_0
	v_xor_b32_e32 v15, 0x80, v6
	v_lshl_or_b32 v18, v18, 4, v2
	v_mov_b32_e32 v19, 1
	v_and_b32_e32 v17, s2, v17
	v_lshrrev_b32_sdwa v16, s20, v16 dst_sel:DWORD dst_unused:UNUSED_PAD src0_sel:DWORD src1_sel:BYTE_0
	v_xor_b32_e32 v14, 0x80, v7
	ds_add_u32 v18, v19
	v_lshl_or_b32 v17, v17, 4, v2
	v_and_b32_e32 v16, s2, v16
	v_lshrrev_b32_sdwa v15, s20, v15 dst_sel:DWORD dst_unused:UNUSED_PAD src0_sel:DWORD src1_sel:BYTE_0
	v_xor_b32_e32 v13, 0x80, v8
	ds_add_u32 v17, v19
	v_lshl_or_b32 v16, v16, 4, v2
	;; [unrolled: 5-line block ×3, first 2 shown]
	v_and_b32_e32 v14, s2, v14
	v_lshrrev_b32_sdwa v13, s20, v13 dst_sel:DWORD dst_unused:UNUSED_PAD src0_sel:DWORD src1_sel:BYTE_0
	s_waitcnt vmcnt(0)
	v_xor_b32_e32 v3, 0x80, v10
	ds_add_u32 v15, v19
	v_lshl_or_b32 v14, v14, 4, v2
	v_and_b32_e32 v13, s2, v13
	v_lshrrev_b32_sdwa v12, s20, v12 dst_sel:DWORD dst_unused:UNUSED_PAD src0_sel:DWORD src1_sel:BYTE_0
	ds_add_u32 v14, v19
	v_lshl_or_b32 v13, v13, 4, v2
	v_and_b32_e32 v12, s2, v12
	v_lshrrev_b32_sdwa v3, s20, v3 dst_sel:DWORD dst_unused:UNUSED_PAD src0_sel:DWORD src1_sel:BYTE_0
	ds_add_u32 v13, v19
	v_lshl_or_b32 v12, v12, 4, v2
	v_and_b32_e32 v3, s2, v3
	ds_add_u32 v12, v19
	v_lshl_or_b32 v2, v3, 4, v2
	ds_add_u32 v2, v19
.LBB586_43:
	s_and_b64 vcc, exec, s[0:1]
	s_waitcnt lgkmcnt(0)
	s_barrier
	s_cbranch_vccz .LBB586_48
; %bb.44:
	s_movk_i32 s0, 0x100
	v_cmp_gt_u32_e32 vcc, s0, v0
	v_lshlrev_b32_e32 v12, 4, v0
	v_mov_b32_e32 v3, 0
	v_mov_b32_e32 v2, v0
	s_branch .LBB586_46
.LBB586_45:                             ;   in Loop: Header=BB586_46 Depth=1
	s_or_b64 exec, exec, s[2:3]
	s_add_i32 s20, s20, 8
	v_add_u32_e32 v2, 0x100, v2
	s_cmp_ge_u32 s20, s21
	v_add_u32_e32 v12, 0x1000, v12
	s_cbranch_scc1 .LBB586_48
.LBB586_46:                             ; =>This Inner Loop Header: Depth=1
	s_and_saveexec_b64 s[2:3], vcc
	s_cbranch_execz .LBB586_45
; %bb.47:                               ;   in Loop: Header=BB586_46 Depth=1
	ds_read2_b32 v[14:15], v12 offset1:1
	ds_read2_b32 v[16:17], v12 offset0:2 offset1:3
	v_lshlrev_b64 v[18:19], 2, v[2:3]
	v_mov_b32_e32 v13, s19
	s_waitcnt lgkmcnt(1)
	v_add_u32_e32 v14, v15, v14
	s_waitcnt lgkmcnt(0)
	v_add3_u32 v16, v14, v16, v17
	v_add_co_u32_e64 v14, s[0:1], s18, v18
	v_addc_co_u32_e64 v15, s[0:1], v13, v19, s[0:1]
	global_atomic_add v[14:15], v16, off
	s_branch .LBB586_45
.LBB586_48:
	s_mov_b64 s[0:1], 0
.LBB586_49:
	s_and_b64 vcc, exec, s[0:1]
	s_cbranch_vccz .LBB586_52
; %bb.50:
	s_waitcnt vmcnt(1)
	v_xor_b32_e32 v2, 0x80, v11
	v_xor_b32_e32 v3, 0x80, v4
	;; [unrolled: 1-line block ×7, first 2 shown]
	s_waitcnt vmcnt(0)
	v_xor_b32_e32 v9, 0x80, v10
	v_and_b32_e32 v10, 3, v0
	v_and_b32_e32 v2, 0xff, v2
	v_lshlrev_b32_e32 v10, 2, v10
	v_lshl_or_b32 v2, v2, 4, v10
	v_mov_b32_e32 v11, 1
	s_barrier
	ds_add_u32 v2, v11
	v_and_b32_e32 v2, 0xff, v3
	v_lshl_or_b32 v2, v2, 4, v10
	ds_add_u32 v2, v11
	v_and_b32_e32 v2, 0xff, v4
	v_lshl_or_b32 v2, v2, 4, v10
	;; [unrolled: 3-line block ×7, first 2 shown]
	ds_add_u32 v2, v11
	s_movk_i32 s0, 0x100
	v_cmp_gt_u32_e32 vcc, s0, v0
	s_waitcnt lgkmcnt(0)
	s_barrier
	s_and_saveexec_b64 s[0:1], vcc
	s_cbranch_execz .LBB586_52
; %bb.51:
	v_mad_u32_u24 v1, v0, 12, v1
	ds_read2_b32 v[2:3], v1 offset1:1
	ds_read2_b32 v[4:5], v1 offset0:2 offset1:3
	v_lshlrev_b32_e32 v0, 2, v0
	s_waitcnt lgkmcnt(1)
	v_add_u32_e32 v1, v3, v2
	s_waitcnt lgkmcnt(0)
	v_add3_u32 v1, v1, v4, v5
	global_atomic_add v0, v1, s[18:19]
.LBB586_52:
	s_endpgm
	.section	.rodata,"a",@progbits
	.p2align	6, 0x0
	.amdhsa_kernel _ZN7rocprim17ROCPRIM_400000_NS6detail17trampoline_kernelINS0_14default_configENS1_35radix_sort_onesweep_config_selectorIalEEZNS1_34radix_sort_onesweep_global_offsetsIS3_Lb0EPaN6thrust23THRUST_200600_302600_NS10device_ptrIlEEjNS0_19identity_decomposerEEE10hipError_tT1_T2_PT3_SG_jT4_jjP12ihipStream_tbEUlT_E_NS1_11comp_targetILNS1_3genE4ELNS1_11target_archE910ELNS1_3gpuE8ELNS1_3repE0EEENS1_52radix_sort_onesweep_histogram_config_static_selectorELNS0_4arch9wavefront6targetE1EEEvSE_
		.amdhsa_group_segment_fixed_size 4096
		.amdhsa_private_segment_fixed_size 0
		.amdhsa_kernarg_size 40
		.amdhsa_user_sgpr_count 6
		.amdhsa_user_sgpr_private_segment_buffer 1
		.amdhsa_user_sgpr_dispatch_ptr 0
		.amdhsa_user_sgpr_queue_ptr 0
		.amdhsa_user_sgpr_kernarg_segment_ptr 1
		.amdhsa_user_sgpr_dispatch_id 0
		.amdhsa_user_sgpr_flat_scratch_init 0
		.amdhsa_user_sgpr_kernarg_preload_length 0
		.amdhsa_user_sgpr_kernarg_preload_offset 0
		.amdhsa_user_sgpr_private_segment_size 0
		.amdhsa_uses_dynamic_stack 0
		.amdhsa_system_sgpr_private_segment_wavefront_offset 0
		.amdhsa_system_sgpr_workgroup_id_x 1
		.amdhsa_system_sgpr_workgroup_id_y 0
		.amdhsa_system_sgpr_workgroup_id_z 0
		.amdhsa_system_sgpr_workgroup_info 0
		.amdhsa_system_vgpr_workitem_id 0
		.amdhsa_next_free_vgpr 20
		.amdhsa_next_free_sgpr 30
		.amdhsa_accum_offset 20
		.amdhsa_reserve_vcc 1
		.amdhsa_reserve_flat_scratch 0
		.amdhsa_float_round_mode_32 0
		.amdhsa_float_round_mode_16_64 0
		.amdhsa_float_denorm_mode_32 3
		.amdhsa_float_denorm_mode_16_64 3
		.amdhsa_dx10_clamp 1
		.amdhsa_ieee_mode 1
		.amdhsa_fp16_overflow 0
		.amdhsa_tg_split 0
		.amdhsa_exception_fp_ieee_invalid_op 0
		.amdhsa_exception_fp_denorm_src 0
		.amdhsa_exception_fp_ieee_div_zero 0
		.amdhsa_exception_fp_ieee_overflow 0
		.amdhsa_exception_fp_ieee_underflow 0
		.amdhsa_exception_fp_ieee_inexact 0
		.amdhsa_exception_int_div_zero 0
	.end_amdhsa_kernel
	.section	.text._ZN7rocprim17ROCPRIM_400000_NS6detail17trampoline_kernelINS0_14default_configENS1_35radix_sort_onesweep_config_selectorIalEEZNS1_34radix_sort_onesweep_global_offsetsIS3_Lb0EPaN6thrust23THRUST_200600_302600_NS10device_ptrIlEEjNS0_19identity_decomposerEEE10hipError_tT1_T2_PT3_SG_jT4_jjP12ihipStream_tbEUlT_E_NS1_11comp_targetILNS1_3genE4ELNS1_11target_archE910ELNS1_3gpuE8ELNS1_3repE0EEENS1_52radix_sort_onesweep_histogram_config_static_selectorELNS0_4arch9wavefront6targetE1EEEvSE_,"axG",@progbits,_ZN7rocprim17ROCPRIM_400000_NS6detail17trampoline_kernelINS0_14default_configENS1_35radix_sort_onesweep_config_selectorIalEEZNS1_34radix_sort_onesweep_global_offsetsIS3_Lb0EPaN6thrust23THRUST_200600_302600_NS10device_ptrIlEEjNS0_19identity_decomposerEEE10hipError_tT1_T2_PT3_SG_jT4_jjP12ihipStream_tbEUlT_E_NS1_11comp_targetILNS1_3genE4ELNS1_11target_archE910ELNS1_3gpuE8ELNS1_3repE0EEENS1_52radix_sort_onesweep_histogram_config_static_selectorELNS0_4arch9wavefront6targetE1EEEvSE_,comdat
.Lfunc_end586:
	.size	_ZN7rocprim17ROCPRIM_400000_NS6detail17trampoline_kernelINS0_14default_configENS1_35radix_sort_onesweep_config_selectorIalEEZNS1_34radix_sort_onesweep_global_offsetsIS3_Lb0EPaN6thrust23THRUST_200600_302600_NS10device_ptrIlEEjNS0_19identity_decomposerEEE10hipError_tT1_T2_PT3_SG_jT4_jjP12ihipStream_tbEUlT_E_NS1_11comp_targetILNS1_3genE4ELNS1_11target_archE910ELNS1_3gpuE8ELNS1_3repE0EEENS1_52radix_sort_onesweep_histogram_config_static_selectorELNS0_4arch9wavefront6targetE1EEEvSE_, .Lfunc_end586-_ZN7rocprim17ROCPRIM_400000_NS6detail17trampoline_kernelINS0_14default_configENS1_35radix_sort_onesweep_config_selectorIalEEZNS1_34radix_sort_onesweep_global_offsetsIS3_Lb0EPaN6thrust23THRUST_200600_302600_NS10device_ptrIlEEjNS0_19identity_decomposerEEE10hipError_tT1_T2_PT3_SG_jT4_jjP12ihipStream_tbEUlT_E_NS1_11comp_targetILNS1_3genE4ELNS1_11target_archE910ELNS1_3gpuE8ELNS1_3repE0EEENS1_52radix_sort_onesweep_histogram_config_static_selectorELNS0_4arch9wavefront6targetE1EEEvSE_
                                        ; -- End function
	.section	.AMDGPU.csdata,"",@progbits
; Kernel info:
; codeLenInByte = 2192
; NumSgprs: 34
; NumVgprs: 20
; NumAgprs: 0
; TotalNumVgprs: 20
; ScratchSize: 0
; MemoryBound: 0
; FloatMode: 240
; IeeeMode: 1
; LDSByteSize: 4096 bytes/workgroup (compile time only)
; SGPRBlocks: 4
; VGPRBlocks: 2
; NumSGPRsForWavesPerEU: 34
; NumVGPRsForWavesPerEU: 20
; AccumOffset: 20
; Occupancy: 8
; WaveLimiterHint : 1
; COMPUTE_PGM_RSRC2:SCRATCH_EN: 0
; COMPUTE_PGM_RSRC2:USER_SGPR: 6
; COMPUTE_PGM_RSRC2:TRAP_HANDLER: 0
; COMPUTE_PGM_RSRC2:TGID_X_EN: 1
; COMPUTE_PGM_RSRC2:TGID_Y_EN: 0
; COMPUTE_PGM_RSRC2:TGID_Z_EN: 0
; COMPUTE_PGM_RSRC2:TIDIG_COMP_CNT: 0
; COMPUTE_PGM_RSRC3_GFX90A:ACCUM_OFFSET: 4
; COMPUTE_PGM_RSRC3_GFX90A:TG_SPLIT: 0
	.section	.text._ZN7rocprim17ROCPRIM_400000_NS6detail17trampoline_kernelINS0_14default_configENS1_35radix_sort_onesweep_config_selectorIalEEZNS1_34radix_sort_onesweep_global_offsetsIS3_Lb0EPaN6thrust23THRUST_200600_302600_NS10device_ptrIlEEjNS0_19identity_decomposerEEE10hipError_tT1_T2_PT3_SG_jT4_jjP12ihipStream_tbEUlT_E_NS1_11comp_targetILNS1_3genE3ELNS1_11target_archE908ELNS1_3gpuE7ELNS1_3repE0EEENS1_52radix_sort_onesweep_histogram_config_static_selectorELNS0_4arch9wavefront6targetE1EEEvSE_,"axG",@progbits,_ZN7rocprim17ROCPRIM_400000_NS6detail17trampoline_kernelINS0_14default_configENS1_35radix_sort_onesweep_config_selectorIalEEZNS1_34radix_sort_onesweep_global_offsetsIS3_Lb0EPaN6thrust23THRUST_200600_302600_NS10device_ptrIlEEjNS0_19identity_decomposerEEE10hipError_tT1_T2_PT3_SG_jT4_jjP12ihipStream_tbEUlT_E_NS1_11comp_targetILNS1_3genE3ELNS1_11target_archE908ELNS1_3gpuE7ELNS1_3repE0EEENS1_52radix_sort_onesweep_histogram_config_static_selectorELNS0_4arch9wavefront6targetE1EEEvSE_,comdat
	.protected	_ZN7rocprim17ROCPRIM_400000_NS6detail17trampoline_kernelINS0_14default_configENS1_35radix_sort_onesweep_config_selectorIalEEZNS1_34radix_sort_onesweep_global_offsetsIS3_Lb0EPaN6thrust23THRUST_200600_302600_NS10device_ptrIlEEjNS0_19identity_decomposerEEE10hipError_tT1_T2_PT3_SG_jT4_jjP12ihipStream_tbEUlT_E_NS1_11comp_targetILNS1_3genE3ELNS1_11target_archE908ELNS1_3gpuE7ELNS1_3repE0EEENS1_52radix_sort_onesweep_histogram_config_static_selectorELNS0_4arch9wavefront6targetE1EEEvSE_ ; -- Begin function _ZN7rocprim17ROCPRIM_400000_NS6detail17trampoline_kernelINS0_14default_configENS1_35radix_sort_onesweep_config_selectorIalEEZNS1_34radix_sort_onesweep_global_offsetsIS3_Lb0EPaN6thrust23THRUST_200600_302600_NS10device_ptrIlEEjNS0_19identity_decomposerEEE10hipError_tT1_T2_PT3_SG_jT4_jjP12ihipStream_tbEUlT_E_NS1_11comp_targetILNS1_3genE3ELNS1_11target_archE908ELNS1_3gpuE7ELNS1_3repE0EEENS1_52radix_sort_onesweep_histogram_config_static_selectorELNS0_4arch9wavefront6targetE1EEEvSE_
	.globl	_ZN7rocprim17ROCPRIM_400000_NS6detail17trampoline_kernelINS0_14default_configENS1_35radix_sort_onesweep_config_selectorIalEEZNS1_34radix_sort_onesweep_global_offsetsIS3_Lb0EPaN6thrust23THRUST_200600_302600_NS10device_ptrIlEEjNS0_19identity_decomposerEEE10hipError_tT1_T2_PT3_SG_jT4_jjP12ihipStream_tbEUlT_E_NS1_11comp_targetILNS1_3genE3ELNS1_11target_archE908ELNS1_3gpuE7ELNS1_3repE0EEENS1_52radix_sort_onesweep_histogram_config_static_selectorELNS0_4arch9wavefront6targetE1EEEvSE_
	.p2align	8
	.type	_ZN7rocprim17ROCPRIM_400000_NS6detail17trampoline_kernelINS0_14default_configENS1_35radix_sort_onesweep_config_selectorIalEEZNS1_34radix_sort_onesweep_global_offsetsIS3_Lb0EPaN6thrust23THRUST_200600_302600_NS10device_ptrIlEEjNS0_19identity_decomposerEEE10hipError_tT1_T2_PT3_SG_jT4_jjP12ihipStream_tbEUlT_E_NS1_11comp_targetILNS1_3genE3ELNS1_11target_archE908ELNS1_3gpuE7ELNS1_3repE0EEENS1_52radix_sort_onesweep_histogram_config_static_selectorELNS0_4arch9wavefront6targetE1EEEvSE_,@function
_ZN7rocprim17ROCPRIM_400000_NS6detail17trampoline_kernelINS0_14default_configENS1_35radix_sort_onesweep_config_selectorIalEEZNS1_34radix_sort_onesweep_global_offsetsIS3_Lb0EPaN6thrust23THRUST_200600_302600_NS10device_ptrIlEEjNS0_19identity_decomposerEEE10hipError_tT1_T2_PT3_SG_jT4_jjP12ihipStream_tbEUlT_E_NS1_11comp_targetILNS1_3genE3ELNS1_11target_archE908ELNS1_3gpuE7ELNS1_3repE0EEENS1_52radix_sort_onesweep_histogram_config_static_selectorELNS0_4arch9wavefront6targetE1EEEvSE_: ; @_ZN7rocprim17ROCPRIM_400000_NS6detail17trampoline_kernelINS0_14default_configENS1_35radix_sort_onesweep_config_selectorIalEEZNS1_34radix_sort_onesweep_global_offsetsIS3_Lb0EPaN6thrust23THRUST_200600_302600_NS10device_ptrIlEEjNS0_19identity_decomposerEEE10hipError_tT1_T2_PT3_SG_jT4_jjP12ihipStream_tbEUlT_E_NS1_11comp_targetILNS1_3genE3ELNS1_11target_archE908ELNS1_3gpuE7ELNS1_3repE0EEENS1_52radix_sort_onesweep_histogram_config_static_selectorELNS0_4arch9wavefront6targetE1EEEvSE_
; %bb.0:
	.section	.rodata,"a",@progbits
	.p2align	6, 0x0
	.amdhsa_kernel _ZN7rocprim17ROCPRIM_400000_NS6detail17trampoline_kernelINS0_14default_configENS1_35radix_sort_onesweep_config_selectorIalEEZNS1_34radix_sort_onesweep_global_offsetsIS3_Lb0EPaN6thrust23THRUST_200600_302600_NS10device_ptrIlEEjNS0_19identity_decomposerEEE10hipError_tT1_T2_PT3_SG_jT4_jjP12ihipStream_tbEUlT_E_NS1_11comp_targetILNS1_3genE3ELNS1_11target_archE908ELNS1_3gpuE7ELNS1_3repE0EEENS1_52radix_sort_onesweep_histogram_config_static_selectorELNS0_4arch9wavefront6targetE1EEEvSE_
		.amdhsa_group_segment_fixed_size 0
		.amdhsa_private_segment_fixed_size 0
		.amdhsa_kernarg_size 40
		.amdhsa_user_sgpr_count 6
		.amdhsa_user_sgpr_private_segment_buffer 1
		.amdhsa_user_sgpr_dispatch_ptr 0
		.amdhsa_user_sgpr_queue_ptr 0
		.amdhsa_user_sgpr_kernarg_segment_ptr 1
		.amdhsa_user_sgpr_dispatch_id 0
		.amdhsa_user_sgpr_flat_scratch_init 0
		.amdhsa_user_sgpr_kernarg_preload_length 0
		.amdhsa_user_sgpr_kernarg_preload_offset 0
		.amdhsa_user_sgpr_private_segment_size 0
		.amdhsa_uses_dynamic_stack 0
		.amdhsa_system_sgpr_private_segment_wavefront_offset 0
		.amdhsa_system_sgpr_workgroup_id_x 1
		.amdhsa_system_sgpr_workgroup_id_y 0
		.amdhsa_system_sgpr_workgroup_id_z 0
		.amdhsa_system_sgpr_workgroup_info 0
		.amdhsa_system_vgpr_workitem_id 0
		.amdhsa_next_free_vgpr 1
		.amdhsa_next_free_sgpr 0
		.amdhsa_accum_offset 4
		.amdhsa_reserve_vcc 0
		.amdhsa_reserve_flat_scratch 0
		.amdhsa_float_round_mode_32 0
		.amdhsa_float_round_mode_16_64 0
		.amdhsa_float_denorm_mode_32 3
		.amdhsa_float_denorm_mode_16_64 3
		.amdhsa_dx10_clamp 1
		.amdhsa_ieee_mode 1
		.amdhsa_fp16_overflow 0
		.amdhsa_tg_split 0
		.amdhsa_exception_fp_ieee_invalid_op 0
		.amdhsa_exception_fp_denorm_src 0
		.amdhsa_exception_fp_ieee_div_zero 0
		.amdhsa_exception_fp_ieee_overflow 0
		.amdhsa_exception_fp_ieee_underflow 0
		.amdhsa_exception_fp_ieee_inexact 0
		.amdhsa_exception_int_div_zero 0
	.end_amdhsa_kernel
	.section	.text._ZN7rocprim17ROCPRIM_400000_NS6detail17trampoline_kernelINS0_14default_configENS1_35radix_sort_onesweep_config_selectorIalEEZNS1_34radix_sort_onesweep_global_offsetsIS3_Lb0EPaN6thrust23THRUST_200600_302600_NS10device_ptrIlEEjNS0_19identity_decomposerEEE10hipError_tT1_T2_PT3_SG_jT4_jjP12ihipStream_tbEUlT_E_NS1_11comp_targetILNS1_3genE3ELNS1_11target_archE908ELNS1_3gpuE7ELNS1_3repE0EEENS1_52radix_sort_onesweep_histogram_config_static_selectorELNS0_4arch9wavefront6targetE1EEEvSE_,"axG",@progbits,_ZN7rocprim17ROCPRIM_400000_NS6detail17trampoline_kernelINS0_14default_configENS1_35radix_sort_onesweep_config_selectorIalEEZNS1_34radix_sort_onesweep_global_offsetsIS3_Lb0EPaN6thrust23THRUST_200600_302600_NS10device_ptrIlEEjNS0_19identity_decomposerEEE10hipError_tT1_T2_PT3_SG_jT4_jjP12ihipStream_tbEUlT_E_NS1_11comp_targetILNS1_3genE3ELNS1_11target_archE908ELNS1_3gpuE7ELNS1_3repE0EEENS1_52radix_sort_onesweep_histogram_config_static_selectorELNS0_4arch9wavefront6targetE1EEEvSE_,comdat
.Lfunc_end587:
	.size	_ZN7rocprim17ROCPRIM_400000_NS6detail17trampoline_kernelINS0_14default_configENS1_35radix_sort_onesweep_config_selectorIalEEZNS1_34radix_sort_onesweep_global_offsetsIS3_Lb0EPaN6thrust23THRUST_200600_302600_NS10device_ptrIlEEjNS0_19identity_decomposerEEE10hipError_tT1_T2_PT3_SG_jT4_jjP12ihipStream_tbEUlT_E_NS1_11comp_targetILNS1_3genE3ELNS1_11target_archE908ELNS1_3gpuE7ELNS1_3repE0EEENS1_52radix_sort_onesweep_histogram_config_static_selectorELNS0_4arch9wavefront6targetE1EEEvSE_, .Lfunc_end587-_ZN7rocprim17ROCPRIM_400000_NS6detail17trampoline_kernelINS0_14default_configENS1_35radix_sort_onesweep_config_selectorIalEEZNS1_34radix_sort_onesweep_global_offsetsIS3_Lb0EPaN6thrust23THRUST_200600_302600_NS10device_ptrIlEEjNS0_19identity_decomposerEEE10hipError_tT1_T2_PT3_SG_jT4_jjP12ihipStream_tbEUlT_E_NS1_11comp_targetILNS1_3genE3ELNS1_11target_archE908ELNS1_3gpuE7ELNS1_3repE0EEENS1_52radix_sort_onesweep_histogram_config_static_selectorELNS0_4arch9wavefront6targetE1EEEvSE_
                                        ; -- End function
	.section	.AMDGPU.csdata,"",@progbits
; Kernel info:
; codeLenInByte = 0
; NumSgprs: 4
; NumVgprs: 0
; NumAgprs: 0
; TotalNumVgprs: 0
; ScratchSize: 0
; MemoryBound: 0
; FloatMode: 240
; IeeeMode: 1
; LDSByteSize: 0 bytes/workgroup (compile time only)
; SGPRBlocks: 0
; VGPRBlocks: 0
; NumSGPRsForWavesPerEU: 4
; NumVGPRsForWavesPerEU: 1
; AccumOffset: 4
; Occupancy: 8
; WaveLimiterHint : 0
; COMPUTE_PGM_RSRC2:SCRATCH_EN: 0
; COMPUTE_PGM_RSRC2:USER_SGPR: 6
; COMPUTE_PGM_RSRC2:TRAP_HANDLER: 0
; COMPUTE_PGM_RSRC2:TGID_X_EN: 1
; COMPUTE_PGM_RSRC2:TGID_Y_EN: 0
; COMPUTE_PGM_RSRC2:TGID_Z_EN: 0
; COMPUTE_PGM_RSRC2:TIDIG_COMP_CNT: 0
; COMPUTE_PGM_RSRC3_GFX90A:ACCUM_OFFSET: 0
; COMPUTE_PGM_RSRC3_GFX90A:TG_SPLIT: 0
	.section	.text._ZN7rocprim17ROCPRIM_400000_NS6detail17trampoline_kernelINS0_14default_configENS1_35radix_sort_onesweep_config_selectorIalEEZNS1_34radix_sort_onesweep_global_offsetsIS3_Lb0EPaN6thrust23THRUST_200600_302600_NS10device_ptrIlEEjNS0_19identity_decomposerEEE10hipError_tT1_T2_PT3_SG_jT4_jjP12ihipStream_tbEUlT_E_NS1_11comp_targetILNS1_3genE10ELNS1_11target_archE1201ELNS1_3gpuE5ELNS1_3repE0EEENS1_52radix_sort_onesweep_histogram_config_static_selectorELNS0_4arch9wavefront6targetE1EEEvSE_,"axG",@progbits,_ZN7rocprim17ROCPRIM_400000_NS6detail17trampoline_kernelINS0_14default_configENS1_35radix_sort_onesweep_config_selectorIalEEZNS1_34radix_sort_onesweep_global_offsetsIS3_Lb0EPaN6thrust23THRUST_200600_302600_NS10device_ptrIlEEjNS0_19identity_decomposerEEE10hipError_tT1_T2_PT3_SG_jT4_jjP12ihipStream_tbEUlT_E_NS1_11comp_targetILNS1_3genE10ELNS1_11target_archE1201ELNS1_3gpuE5ELNS1_3repE0EEENS1_52radix_sort_onesweep_histogram_config_static_selectorELNS0_4arch9wavefront6targetE1EEEvSE_,comdat
	.protected	_ZN7rocprim17ROCPRIM_400000_NS6detail17trampoline_kernelINS0_14default_configENS1_35radix_sort_onesweep_config_selectorIalEEZNS1_34radix_sort_onesweep_global_offsetsIS3_Lb0EPaN6thrust23THRUST_200600_302600_NS10device_ptrIlEEjNS0_19identity_decomposerEEE10hipError_tT1_T2_PT3_SG_jT4_jjP12ihipStream_tbEUlT_E_NS1_11comp_targetILNS1_3genE10ELNS1_11target_archE1201ELNS1_3gpuE5ELNS1_3repE0EEENS1_52radix_sort_onesweep_histogram_config_static_selectorELNS0_4arch9wavefront6targetE1EEEvSE_ ; -- Begin function _ZN7rocprim17ROCPRIM_400000_NS6detail17trampoline_kernelINS0_14default_configENS1_35radix_sort_onesweep_config_selectorIalEEZNS1_34radix_sort_onesweep_global_offsetsIS3_Lb0EPaN6thrust23THRUST_200600_302600_NS10device_ptrIlEEjNS0_19identity_decomposerEEE10hipError_tT1_T2_PT3_SG_jT4_jjP12ihipStream_tbEUlT_E_NS1_11comp_targetILNS1_3genE10ELNS1_11target_archE1201ELNS1_3gpuE5ELNS1_3repE0EEENS1_52radix_sort_onesweep_histogram_config_static_selectorELNS0_4arch9wavefront6targetE1EEEvSE_
	.globl	_ZN7rocprim17ROCPRIM_400000_NS6detail17trampoline_kernelINS0_14default_configENS1_35radix_sort_onesweep_config_selectorIalEEZNS1_34radix_sort_onesweep_global_offsetsIS3_Lb0EPaN6thrust23THRUST_200600_302600_NS10device_ptrIlEEjNS0_19identity_decomposerEEE10hipError_tT1_T2_PT3_SG_jT4_jjP12ihipStream_tbEUlT_E_NS1_11comp_targetILNS1_3genE10ELNS1_11target_archE1201ELNS1_3gpuE5ELNS1_3repE0EEENS1_52radix_sort_onesweep_histogram_config_static_selectorELNS0_4arch9wavefront6targetE1EEEvSE_
	.p2align	8
	.type	_ZN7rocprim17ROCPRIM_400000_NS6detail17trampoline_kernelINS0_14default_configENS1_35radix_sort_onesweep_config_selectorIalEEZNS1_34radix_sort_onesweep_global_offsetsIS3_Lb0EPaN6thrust23THRUST_200600_302600_NS10device_ptrIlEEjNS0_19identity_decomposerEEE10hipError_tT1_T2_PT3_SG_jT4_jjP12ihipStream_tbEUlT_E_NS1_11comp_targetILNS1_3genE10ELNS1_11target_archE1201ELNS1_3gpuE5ELNS1_3repE0EEENS1_52radix_sort_onesweep_histogram_config_static_selectorELNS0_4arch9wavefront6targetE1EEEvSE_,@function
_ZN7rocprim17ROCPRIM_400000_NS6detail17trampoline_kernelINS0_14default_configENS1_35radix_sort_onesweep_config_selectorIalEEZNS1_34radix_sort_onesweep_global_offsetsIS3_Lb0EPaN6thrust23THRUST_200600_302600_NS10device_ptrIlEEjNS0_19identity_decomposerEEE10hipError_tT1_T2_PT3_SG_jT4_jjP12ihipStream_tbEUlT_E_NS1_11comp_targetILNS1_3genE10ELNS1_11target_archE1201ELNS1_3gpuE5ELNS1_3repE0EEENS1_52radix_sort_onesweep_histogram_config_static_selectorELNS0_4arch9wavefront6targetE1EEEvSE_: ; @_ZN7rocprim17ROCPRIM_400000_NS6detail17trampoline_kernelINS0_14default_configENS1_35radix_sort_onesweep_config_selectorIalEEZNS1_34radix_sort_onesweep_global_offsetsIS3_Lb0EPaN6thrust23THRUST_200600_302600_NS10device_ptrIlEEjNS0_19identity_decomposerEEE10hipError_tT1_T2_PT3_SG_jT4_jjP12ihipStream_tbEUlT_E_NS1_11comp_targetILNS1_3genE10ELNS1_11target_archE1201ELNS1_3gpuE5ELNS1_3repE0EEENS1_52radix_sort_onesweep_histogram_config_static_selectorELNS0_4arch9wavefront6targetE1EEEvSE_
; %bb.0:
	.section	.rodata,"a",@progbits
	.p2align	6, 0x0
	.amdhsa_kernel _ZN7rocprim17ROCPRIM_400000_NS6detail17trampoline_kernelINS0_14default_configENS1_35radix_sort_onesweep_config_selectorIalEEZNS1_34radix_sort_onesweep_global_offsetsIS3_Lb0EPaN6thrust23THRUST_200600_302600_NS10device_ptrIlEEjNS0_19identity_decomposerEEE10hipError_tT1_T2_PT3_SG_jT4_jjP12ihipStream_tbEUlT_E_NS1_11comp_targetILNS1_3genE10ELNS1_11target_archE1201ELNS1_3gpuE5ELNS1_3repE0EEENS1_52radix_sort_onesweep_histogram_config_static_selectorELNS0_4arch9wavefront6targetE1EEEvSE_
		.amdhsa_group_segment_fixed_size 0
		.amdhsa_private_segment_fixed_size 0
		.amdhsa_kernarg_size 40
		.amdhsa_user_sgpr_count 6
		.amdhsa_user_sgpr_private_segment_buffer 1
		.amdhsa_user_sgpr_dispatch_ptr 0
		.amdhsa_user_sgpr_queue_ptr 0
		.amdhsa_user_sgpr_kernarg_segment_ptr 1
		.amdhsa_user_sgpr_dispatch_id 0
		.amdhsa_user_sgpr_flat_scratch_init 0
		.amdhsa_user_sgpr_kernarg_preload_length 0
		.amdhsa_user_sgpr_kernarg_preload_offset 0
		.amdhsa_user_sgpr_private_segment_size 0
		.amdhsa_uses_dynamic_stack 0
		.amdhsa_system_sgpr_private_segment_wavefront_offset 0
		.amdhsa_system_sgpr_workgroup_id_x 1
		.amdhsa_system_sgpr_workgroup_id_y 0
		.amdhsa_system_sgpr_workgroup_id_z 0
		.amdhsa_system_sgpr_workgroup_info 0
		.amdhsa_system_vgpr_workitem_id 0
		.amdhsa_next_free_vgpr 1
		.amdhsa_next_free_sgpr 0
		.amdhsa_accum_offset 4
		.amdhsa_reserve_vcc 0
		.amdhsa_reserve_flat_scratch 0
		.amdhsa_float_round_mode_32 0
		.amdhsa_float_round_mode_16_64 0
		.amdhsa_float_denorm_mode_32 3
		.amdhsa_float_denorm_mode_16_64 3
		.amdhsa_dx10_clamp 1
		.amdhsa_ieee_mode 1
		.amdhsa_fp16_overflow 0
		.amdhsa_tg_split 0
		.amdhsa_exception_fp_ieee_invalid_op 0
		.amdhsa_exception_fp_denorm_src 0
		.amdhsa_exception_fp_ieee_div_zero 0
		.amdhsa_exception_fp_ieee_overflow 0
		.amdhsa_exception_fp_ieee_underflow 0
		.amdhsa_exception_fp_ieee_inexact 0
		.amdhsa_exception_int_div_zero 0
	.end_amdhsa_kernel
	.section	.text._ZN7rocprim17ROCPRIM_400000_NS6detail17trampoline_kernelINS0_14default_configENS1_35radix_sort_onesweep_config_selectorIalEEZNS1_34radix_sort_onesweep_global_offsetsIS3_Lb0EPaN6thrust23THRUST_200600_302600_NS10device_ptrIlEEjNS0_19identity_decomposerEEE10hipError_tT1_T2_PT3_SG_jT4_jjP12ihipStream_tbEUlT_E_NS1_11comp_targetILNS1_3genE10ELNS1_11target_archE1201ELNS1_3gpuE5ELNS1_3repE0EEENS1_52radix_sort_onesweep_histogram_config_static_selectorELNS0_4arch9wavefront6targetE1EEEvSE_,"axG",@progbits,_ZN7rocprim17ROCPRIM_400000_NS6detail17trampoline_kernelINS0_14default_configENS1_35radix_sort_onesweep_config_selectorIalEEZNS1_34radix_sort_onesweep_global_offsetsIS3_Lb0EPaN6thrust23THRUST_200600_302600_NS10device_ptrIlEEjNS0_19identity_decomposerEEE10hipError_tT1_T2_PT3_SG_jT4_jjP12ihipStream_tbEUlT_E_NS1_11comp_targetILNS1_3genE10ELNS1_11target_archE1201ELNS1_3gpuE5ELNS1_3repE0EEENS1_52radix_sort_onesweep_histogram_config_static_selectorELNS0_4arch9wavefront6targetE1EEEvSE_,comdat
.Lfunc_end588:
	.size	_ZN7rocprim17ROCPRIM_400000_NS6detail17trampoline_kernelINS0_14default_configENS1_35radix_sort_onesweep_config_selectorIalEEZNS1_34radix_sort_onesweep_global_offsetsIS3_Lb0EPaN6thrust23THRUST_200600_302600_NS10device_ptrIlEEjNS0_19identity_decomposerEEE10hipError_tT1_T2_PT3_SG_jT4_jjP12ihipStream_tbEUlT_E_NS1_11comp_targetILNS1_3genE10ELNS1_11target_archE1201ELNS1_3gpuE5ELNS1_3repE0EEENS1_52radix_sort_onesweep_histogram_config_static_selectorELNS0_4arch9wavefront6targetE1EEEvSE_, .Lfunc_end588-_ZN7rocprim17ROCPRIM_400000_NS6detail17trampoline_kernelINS0_14default_configENS1_35radix_sort_onesweep_config_selectorIalEEZNS1_34radix_sort_onesweep_global_offsetsIS3_Lb0EPaN6thrust23THRUST_200600_302600_NS10device_ptrIlEEjNS0_19identity_decomposerEEE10hipError_tT1_T2_PT3_SG_jT4_jjP12ihipStream_tbEUlT_E_NS1_11comp_targetILNS1_3genE10ELNS1_11target_archE1201ELNS1_3gpuE5ELNS1_3repE0EEENS1_52radix_sort_onesweep_histogram_config_static_selectorELNS0_4arch9wavefront6targetE1EEEvSE_
                                        ; -- End function
	.section	.AMDGPU.csdata,"",@progbits
; Kernel info:
; codeLenInByte = 0
; NumSgprs: 4
; NumVgprs: 0
; NumAgprs: 0
; TotalNumVgprs: 0
; ScratchSize: 0
; MemoryBound: 0
; FloatMode: 240
; IeeeMode: 1
; LDSByteSize: 0 bytes/workgroup (compile time only)
; SGPRBlocks: 0
; VGPRBlocks: 0
; NumSGPRsForWavesPerEU: 4
; NumVGPRsForWavesPerEU: 1
; AccumOffset: 4
; Occupancy: 8
; WaveLimiterHint : 0
; COMPUTE_PGM_RSRC2:SCRATCH_EN: 0
; COMPUTE_PGM_RSRC2:USER_SGPR: 6
; COMPUTE_PGM_RSRC2:TRAP_HANDLER: 0
; COMPUTE_PGM_RSRC2:TGID_X_EN: 1
; COMPUTE_PGM_RSRC2:TGID_Y_EN: 0
; COMPUTE_PGM_RSRC2:TGID_Z_EN: 0
; COMPUTE_PGM_RSRC2:TIDIG_COMP_CNT: 0
; COMPUTE_PGM_RSRC3_GFX90A:ACCUM_OFFSET: 0
; COMPUTE_PGM_RSRC3_GFX90A:TG_SPLIT: 0
	.section	.text._ZN7rocprim17ROCPRIM_400000_NS6detail17trampoline_kernelINS0_14default_configENS1_35radix_sort_onesweep_config_selectorIalEEZNS1_34radix_sort_onesweep_global_offsetsIS3_Lb0EPaN6thrust23THRUST_200600_302600_NS10device_ptrIlEEjNS0_19identity_decomposerEEE10hipError_tT1_T2_PT3_SG_jT4_jjP12ihipStream_tbEUlT_E_NS1_11comp_targetILNS1_3genE9ELNS1_11target_archE1100ELNS1_3gpuE3ELNS1_3repE0EEENS1_52radix_sort_onesweep_histogram_config_static_selectorELNS0_4arch9wavefront6targetE1EEEvSE_,"axG",@progbits,_ZN7rocprim17ROCPRIM_400000_NS6detail17trampoline_kernelINS0_14default_configENS1_35radix_sort_onesweep_config_selectorIalEEZNS1_34radix_sort_onesweep_global_offsetsIS3_Lb0EPaN6thrust23THRUST_200600_302600_NS10device_ptrIlEEjNS0_19identity_decomposerEEE10hipError_tT1_T2_PT3_SG_jT4_jjP12ihipStream_tbEUlT_E_NS1_11comp_targetILNS1_3genE9ELNS1_11target_archE1100ELNS1_3gpuE3ELNS1_3repE0EEENS1_52radix_sort_onesweep_histogram_config_static_selectorELNS0_4arch9wavefront6targetE1EEEvSE_,comdat
	.protected	_ZN7rocprim17ROCPRIM_400000_NS6detail17trampoline_kernelINS0_14default_configENS1_35radix_sort_onesweep_config_selectorIalEEZNS1_34radix_sort_onesweep_global_offsetsIS3_Lb0EPaN6thrust23THRUST_200600_302600_NS10device_ptrIlEEjNS0_19identity_decomposerEEE10hipError_tT1_T2_PT3_SG_jT4_jjP12ihipStream_tbEUlT_E_NS1_11comp_targetILNS1_3genE9ELNS1_11target_archE1100ELNS1_3gpuE3ELNS1_3repE0EEENS1_52radix_sort_onesweep_histogram_config_static_selectorELNS0_4arch9wavefront6targetE1EEEvSE_ ; -- Begin function _ZN7rocprim17ROCPRIM_400000_NS6detail17trampoline_kernelINS0_14default_configENS1_35radix_sort_onesweep_config_selectorIalEEZNS1_34radix_sort_onesweep_global_offsetsIS3_Lb0EPaN6thrust23THRUST_200600_302600_NS10device_ptrIlEEjNS0_19identity_decomposerEEE10hipError_tT1_T2_PT3_SG_jT4_jjP12ihipStream_tbEUlT_E_NS1_11comp_targetILNS1_3genE9ELNS1_11target_archE1100ELNS1_3gpuE3ELNS1_3repE0EEENS1_52radix_sort_onesweep_histogram_config_static_selectorELNS0_4arch9wavefront6targetE1EEEvSE_
	.globl	_ZN7rocprim17ROCPRIM_400000_NS6detail17trampoline_kernelINS0_14default_configENS1_35radix_sort_onesweep_config_selectorIalEEZNS1_34radix_sort_onesweep_global_offsetsIS3_Lb0EPaN6thrust23THRUST_200600_302600_NS10device_ptrIlEEjNS0_19identity_decomposerEEE10hipError_tT1_T2_PT3_SG_jT4_jjP12ihipStream_tbEUlT_E_NS1_11comp_targetILNS1_3genE9ELNS1_11target_archE1100ELNS1_3gpuE3ELNS1_3repE0EEENS1_52radix_sort_onesweep_histogram_config_static_selectorELNS0_4arch9wavefront6targetE1EEEvSE_
	.p2align	8
	.type	_ZN7rocprim17ROCPRIM_400000_NS6detail17trampoline_kernelINS0_14default_configENS1_35radix_sort_onesweep_config_selectorIalEEZNS1_34radix_sort_onesweep_global_offsetsIS3_Lb0EPaN6thrust23THRUST_200600_302600_NS10device_ptrIlEEjNS0_19identity_decomposerEEE10hipError_tT1_T2_PT3_SG_jT4_jjP12ihipStream_tbEUlT_E_NS1_11comp_targetILNS1_3genE9ELNS1_11target_archE1100ELNS1_3gpuE3ELNS1_3repE0EEENS1_52radix_sort_onesweep_histogram_config_static_selectorELNS0_4arch9wavefront6targetE1EEEvSE_,@function
_ZN7rocprim17ROCPRIM_400000_NS6detail17trampoline_kernelINS0_14default_configENS1_35radix_sort_onesweep_config_selectorIalEEZNS1_34radix_sort_onesweep_global_offsetsIS3_Lb0EPaN6thrust23THRUST_200600_302600_NS10device_ptrIlEEjNS0_19identity_decomposerEEE10hipError_tT1_T2_PT3_SG_jT4_jjP12ihipStream_tbEUlT_E_NS1_11comp_targetILNS1_3genE9ELNS1_11target_archE1100ELNS1_3gpuE3ELNS1_3repE0EEENS1_52radix_sort_onesweep_histogram_config_static_selectorELNS0_4arch9wavefront6targetE1EEEvSE_: ; @_ZN7rocprim17ROCPRIM_400000_NS6detail17trampoline_kernelINS0_14default_configENS1_35radix_sort_onesweep_config_selectorIalEEZNS1_34radix_sort_onesweep_global_offsetsIS3_Lb0EPaN6thrust23THRUST_200600_302600_NS10device_ptrIlEEjNS0_19identity_decomposerEEE10hipError_tT1_T2_PT3_SG_jT4_jjP12ihipStream_tbEUlT_E_NS1_11comp_targetILNS1_3genE9ELNS1_11target_archE1100ELNS1_3gpuE3ELNS1_3repE0EEENS1_52radix_sort_onesweep_histogram_config_static_selectorELNS0_4arch9wavefront6targetE1EEEvSE_
; %bb.0:
	.section	.rodata,"a",@progbits
	.p2align	6, 0x0
	.amdhsa_kernel _ZN7rocprim17ROCPRIM_400000_NS6detail17trampoline_kernelINS0_14default_configENS1_35radix_sort_onesweep_config_selectorIalEEZNS1_34radix_sort_onesweep_global_offsetsIS3_Lb0EPaN6thrust23THRUST_200600_302600_NS10device_ptrIlEEjNS0_19identity_decomposerEEE10hipError_tT1_T2_PT3_SG_jT4_jjP12ihipStream_tbEUlT_E_NS1_11comp_targetILNS1_3genE9ELNS1_11target_archE1100ELNS1_3gpuE3ELNS1_3repE0EEENS1_52radix_sort_onesweep_histogram_config_static_selectorELNS0_4arch9wavefront6targetE1EEEvSE_
		.amdhsa_group_segment_fixed_size 0
		.amdhsa_private_segment_fixed_size 0
		.amdhsa_kernarg_size 40
		.amdhsa_user_sgpr_count 6
		.amdhsa_user_sgpr_private_segment_buffer 1
		.amdhsa_user_sgpr_dispatch_ptr 0
		.amdhsa_user_sgpr_queue_ptr 0
		.amdhsa_user_sgpr_kernarg_segment_ptr 1
		.amdhsa_user_sgpr_dispatch_id 0
		.amdhsa_user_sgpr_flat_scratch_init 0
		.amdhsa_user_sgpr_kernarg_preload_length 0
		.amdhsa_user_sgpr_kernarg_preload_offset 0
		.amdhsa_user_sgpr_private_segment_size 0
		.amdhsa_uses_dynamic_stack 0
		.amdhsa_system_sgpr_private_segment_wavefront_offset 0
		.amdhsa_system_sgpr_workgroup_id_x 1
		.amdhsa_system_sgpr_workgroup_id_y 0
		.amdhsa_system_sgpr_workgroup_id_z 0
		.amdhsa_system_sgpr_workgroup_info 0
		.amdhsa_system_vgpr_workitem_id 0
		.amdhsa_next_free_vgpr 1
		.amdhsa_next_free_sgpr 0
		.amdhsa_accum_offset 4
		.amdhsa_reserve_vcc 0
		.amdhsa_reserve_flat_scratch 0
		.amdhsa_float_round_mode_32 0
		.amdhsa_float_round_mode_16_64 0
		.amdhsa_float_denorm_mode_32 3
		.amdhsa_float_denorm_mode_16_64 3
		.amdhsa_dx10_clamp 1
		.amdhsa_ieee_mode 1
		.amdhsa_fp16_overflow 0
		.amdhsa_tg_split 0
		.amdhsa_exception_fp_ieee_invalid_op 0
		.amdhsa_exception_fp_denorm_src 0
		.amdhsa_exception_fp_ieee_div_zero 0
		.amdhsa_exception_fp_ieee_overflow 0
		.amdhsa_exception_fp_ieee_underflow 0
		.amdhsa_exception_fp_ieee_inexact 0
		.amdhsa_exception_int_div_zero 0
	.end_amdhsa_kernel
	.section	.text._ZN7rocprim17ROCPRIM_400000_NS6detail17trampoline_kernelINS0_14default_configENS1_35radix_sort_onesweep_config_selectorIalEEZNS1_34radix_sort_onesweep_global_offsetsIS3_Lb0EPaN6thrust23THRUST_200600_302600_NS10device_ptrIlEEjNS0_19identity_decomposerEEE10hipError_tT1_T2_PT3_SG_jT4_jjP12ihipStream_tbEUlT_E_NS1_11comp_targetILNS1_3genE9ELNS1_11target_archE1100ELNS1_3gpuE3ELNS1_3repE0EEENS1_52radix_sort_onesweep_histogram_config_static_selectorELNS0_4arch9wavefront6targetE1EEEvSE_,"axG",@progbits,_ZN7rocprim17ROCPRIM_400000_NS6detail17trampoline_kernelINS0_14default_configENS1_35radix_sort_onesweep_config_selectorIalEEZNS1_34radix_sort_onesweep_global_offsetsIS3_Lb0EPaN6thrust23THRUST_200600_302600_NS10device_ptrIlEEjNS0_19identity_decomposerEEE10hipError_tT1_T2_PT3_SG_jT4_jjP12ihipStream_tbEUlT_E_NS1_11comp_targetILNS1_3genE9ELNS1_11target_archE1100ELNS1_3gpuE3ELNS1_3repE0EEENS1_52radix_sort_onesweep_histogram_config_static_selectorELNS0_4arch9wavefront6targetE1EEEvSE_,comdat
.Lfunc_end589:
	.size	_ZN7rocprim17ROCPRIM_400000_NS6detail17trampoline_kernelINS0_14default_configENS1_35radix_sort_onesweep_config_selectorIalEEZNS1_34radix_sort_onesweep_global_offsetsIS3_Lb0EPaN6thrust23THRUST_200600_302600_NS10device_ptrIlEEjNS0_19identity_decomposerEEE10hipError_tT1_T2_PT3_SG_jT4_jjP12ihipStream_tbEUlT_E_NS1_11comp_targetILNS1_3genE9ELNS1_11target_archE1100ELNS1_3gpuE3ELNS1_3repE0EEENS1_52radix_sort_onesweep_histogram_config_static_selectorELNS0_4arch9wavefront6targetE1EEEvSE_, .Lfunc_end589-_ZN7rocprim17ROCPRIM_400000_NS6detail17trampoline_kernelINS0_14default_configENS1_35radix_sort_onesweep_config_selectorIalEEZNS1_34radix_sort_onesweep_global_offsetsIS3_Lb0EPaN6thrust23THRUST_200600_302600_NS10device_ptrIlEEjNS0_19identity_decomposerEEE10hipError_tT1_T2_PT3_SG_jT4_jjP12ihipStream_tbEUlT_E_NS1_11comp_targetILNS1_3genE9ELNS1_11target_archE1100ELNS1_3gpuE3ELNS1_3repE0EEENS1_52radix_sort_onesweep_histogram_config_static_selectorELNS0_4arch9wavefront6targetE1EEEvSE_
                                        ; -- End function
	.section	.AMDGPU.csdata,"",@progbits
; Kernel info:
; codeLenInByte = 0
; NumSgprs: 4
; NumVgprs: 0
; NumAgprs: 0
; TotalNumVgprs: 0
; ScratchSize: 0
; MemoryBound: 0
; FloatMode: 240
; IeeeMode: 1
; LDSByteSize: 0 bytes/workgroup (compile time only)
; SGPRBlocks: 0
; VGPRBlocks: 0
; NumSGPRsForWavesPerEU: 4
; NumVGPRsForWavesPerEU: 1
; AccumOffset: 4
; Occupancy: 8
; WaveLimiterHint : 0
; COMPUTE_PGM_RSRC2:SCRATCH_EN: 0
; COMPUTE_PGM_RSRC2:USER_SGPR: 6
; COMPUTE_PGM_RSRC2:TRAP_HANDLER: 0
; COMPUTE_PGM_RSRC2:TGID_X_EN: 1
; COMPUTE_PGM_RSRC2:TGID_Y_EN: 0
; COMPUTE_PGM_RSRC2:TGID_Z_EN: 0
; COMPUTE_PGM_RSRC2:TIDIG_COMP_CNT: 0
; COMPUTE_PGM_RSRC3_GFX90A:ACCUM_OFFSET: 0
; COMPUTE_PGM_RSRC3_GFX90A:TG_SPLIT: 0
	.section	.text._ZN7rocprim17ROCPRIM_400000_NS6detail17trampoline_kernelINS0_14default_configENS1_35radix_sort_onesweep_config_selectorIalEEZNS1_34radix_sort_onesweep_global_offsetsIS3_Lb0EPaN6thrust23THRUST_200600_302600_NS10device_ptrIlEEjNS0_19identity_decomposerEEE10hipError_tT1_T2_PT3_SG_jT4_jjP12ihipStream_tbEUlT_E_NS1_11comp_targetILNS1_3genE8ELNS1_11target_archE1030ELNS1_3gpuE2ELNS1_3repE0EEENS1_52radix_sort_onesweep_histogram_config_static_selectorELNS0_4arch9wavefront6targetE1EEEvSE_,"axG",@progbits,_ZN7rocprim17ROCPRIM_400000_NS6detail17trampoline_kernelINS0_14default_configENS1_35radix_sort_onesweep_config_selectorIalEEZNS1_34radix_sort_onesweep_global_offsetsIS3_Lb0EPaN6thrust23THRUST_200600_302600_NS10device_ptrIlEEjNS0_19identity_decomposerEEE10hipError_tT1_T2_PT3_SG_jT4_jjP12ihipStream_tbEUlT_E_NS1_11comp_targetILNS1_3genE8ELNS1_11target_archE1030ELNS1_3gpuE2ELNS1_3repE0EEENS1_52radix_sort_onesweep_histogram_config_static_selectorELNS0_4arch9wavefront6targetE1EEEvSE_,comdat
	.protected	_ZN7rocprim17ROCPRIM_400000_NS6detail17trampoline_kernelINS0_14default_configENS1_35radix_sort_onesweep_config_selectorIalEEZNS1_34radix_sort_onesweep_global_offsetsIS3_Lb0EPaN6thrust23THRUST_200600_302600_NS10device_ptrIlEEjNS0_19identity_decomposerEEE10hipError_tT1_T2_PT3_SG_jT4_jjP12ihipStream_tbEUlT_E_NS1_11comp_targetILNS1_3genE8ELNS1_11target_archE1030ELNS1_3gpuE2ELNS1_3repE0EEENS1_52radix_sort_onesweep_histogram_config_static_selectorELNS0_4arch9wavefront6targetE1EEEvSE_ ; -- Begin function _ZN7rocprim17ROCPRIM_400000_NS6detail17trampoline_kernelINS0_14default_configENS1_35radix_sort_onesweep_config_selectorIalEEZNS1_34radix_sort_onesweep_global_offsetsIS3_Lb0EPaN6thrust23THRUST_200600_302600_NS10device_ptrIlEEjNS0_19identity_decomposerEEE10hipError_tT1_T2_PT3_SG_jT4_jjP12ihipStream_tbEUlT_E_NS1_11comp_targetILNS1_3genE8ELNS1_11target_archE1030ELNS1_3gpuE2ELNS1_3repE0EEENS1_52radix_sort_onesweep_histogram_config_static_selectorELNS0_4arch9wavefront6targetE1EEEvSE_
	.globl	_ZN7rocprim17ROCPRIM_400000_NS6detail17trampoline_kernelINS0_14default_configENS1_35radix_sort_onesweep_config_selectorIalEEZNS1_34radix_sort_onesweep_global_offsetsIS3_Lb0EPaN6thrust23THRUST_200600_302600_NS10device_ptrIlEEjNS0_19identity_decomposerEEE10hipError_tT1_T2_PT3_SG_jT4_jjP12ihipStream_tbEUlT_E_NS1_11comp_targetILNS1_3genE8ELNS1_11target_archE1030ELNS1_3gpuE2ELNS1_3repE0EEENS1_52radix_sort_onesweep_histogram_config_static_selectorELNS0_4arch9wavefront6targetE1EEEvSE_
	.p2align	8
	.type	_ZN7rocprim17ROCPRIM_400000_NS6detail17trampoline_kernelINS0_14default_configENS1_35radix_sort_onesweep_config_selectorIalEEZNS1_34radix_sort_onesweep_global_offsetsIS3_Lb0EPaN6thrust23THRUST_200600_302600_NS10device_ptrIlEEjNS0_19identity_decomposerEEE10hipError_tT1_T2_PT3_SG_jT4_jjP12ihipStream_tbEUlT_E_NS1_11comp_targetILNS1_3genE8ELNS1_11target_archE1030ELNS1_3gpuE2ELNS1_3repE0EEENS1_52radix_sort_onesweep_histogram_config_static_selectorELNS0_4arch9wavefront6targetE1EEEvSE_,@function
_ZN7rocprim17ROCPRIM_400000_NS6detail17trampoline_kernelINS0_14default_configENS1_35radix_sort_onesweep_config_selectorIalEEZNS1_34radix_sort_onesweep_global_offsetsIS3_Lb0EPaN6thrust23THRUST_200600_302600_NS10device_ptrIlEEjNS0_19identity_decomposerEEE10hipError_tT1_T2_PT3_SG_jT4_jjP12ihipStream_tbEUlT_E_NS1_11comp_targetILNS1_3genE8ELNS1_11target_archE1030ELNS1_3gpuE2ELNS1_3repE0EEENS1_52radix_sort_onesweep_histogram_config_static_selectorELNS0_4arch9wavefront6targetE1EEEvSE_: ; @_ZN7rocprim17ROCPRIM_400000_NS6detail17trampoline_kernelINS0_14default_configENS1_35radix_sort_onesweep_config_selectorIalEEZNS1_34radix_sort_onesweep_global_offsetsIS3_Lb0EPaN6thrust23THRUST_200600_302600_NS10device_ptrIlEEjNS0_19identity_decomposerEEE10hipError_tT1_T2_PT3_SG_jT4_jjP12ihipStream_tbEUlT_E_NS1_11comp_targetILNS1_3genE8ELNS1_11target_archE1030ELNS1_3gpuE2ELNS1_3repE0EEENS1_52radix_sort_onesweep_histogram_config_static_selectorELNS0_4arch9wavefront6targetE1EEEvSE_
; %bb.0:
	.section	.rodata,"a",@progbits
	.p2align	6, 0x0
	.amdhsa_kernel _ZN7rocprim17ROCPRIM_400000_NS6detail17trampoline_kernelINS0_14default_configENS1_35radix_sort_onesweep_config_selectorIalEEZNS1_34radix_sort_onesweep_global_offsetsIS3_Lb0EPaN6thrust23THRUST_200600_302600_NS10device_ptrIlEEjNS0_19identity_decomposerEEE10hipError_tT1_T2_PT3_SG_jT4_jjP12ihipStream_tbEUlT_E_NS1_11comp_targetILNS1_3genE8ELNS1_11target_archE1030ELNS1_3gpuE2ELNS1_3repE0EEENS1_52radix_sort_onesweep_histogram_config_static_selectorELNS0_4arch9wavefront6targetE1EEEvSE_
		.amdhsa_group_segment_fixed_size 0
		.amdhsa_private_segment_fixed_size 0
		.amdhsa_kernarg_size 40
		.amdhsa_user_sgpr_count 6
		.amdhsa_user_sgpr_private_segment_buffer 1
		.amdhsa_user_sgpr_dispatch_ptr 0
		.amdhsa_user_sgpr_queue_ptr 0
		.amdhsa_user_sgpr_kernarg_segment_ptr 1
		.amdhsa_user_sgpr_dispatch_id 0
		.amdhsa_user_sgpr_flat_scratch_init 0
		.amdhsa_user_sgpr_kernarg_preload_length 0
		.amdhsa_user_sgpr_kernarg_preload_offset 0
		.amdhsa_user_sgpr_private_segment_size 0
		.amdhsa_uses_dynamic_stack 0
		.amdhsa_system_sgpr_private_segment_wavefront_offset 0
		.amdhsa_system_sgpr_workgroup_id_x 1
		.amdhsa_system_sgpr_workgroup_id_y 0
		.amdhsa_system_sgpr_workgroup_id_z 0
		.amdhsa_system_sgpr_workgroup_info 0
		.amdhsa_system_vgpr_workitem_id 0
		.amdhsa_next_free_vgpr 1
		.amdhsa_next_free_sgpr 0
		.amdhsa_accum_offset 4
		.amdhsa_reserve_vcc 0
		.amdhsa_reserve_flat_scratch 0
		.amdhsa_float_round_mode_32 0
		.amdhsa_float_round_mode_16_64 0
		.amdhsa_float_denorm_mode_32 3
		.amdhsa_float_denorm_mode_16_64 3
		.amdhsa_dx10_clamp 1
		.amdhsa_ieee_mode 1
		.amdhsa_fp16_overflow 0
		.amdhsa_tg_split 0
		.amdhsa_exception_fp_ieee_invalid_op 0
		.amdhsa_exception_fp_denorm_src 0
		.amdhsa_exception_fp_ieee_div_zero 0
		.amdhsa_exception_fp_ieee_overflow 0
		.amdhsa_exception_fp_ieee_underflow 0
		.amdhsa_exception_fp_ieee_inexact 0
		.amdhsa_exception_int_div_zero 0
	.end_amdhsa_kernel
	.section	.text._ZN7rocprim17ROCPRIM_400000_NS6detail17trampoline_kernelINS0_14default_configENS1_35radix_sort_onesweep_config_selectorIalEEZNS1_34radix_sort_onesweep_global_offsetsIS3_Lb0EPaN6thrust23THRUST_200600_302600_NS10device_ptrIlEEjNS0_19identity_decomposerEEE10hipError_tT1_T2_PT3_SG_jT4_jjP12ihipStream_tbEUlT_E_NS1_11comp_targetILNS1_3genE8ELNS1_11target_archE1030ELNS1_3gpuE2ELNS1_3repE0EEENS1_52radix_sort_onesweep_histogram_config_static_selectorELNS0_4arch9wavefront6targetE1EEEvSE_,"axG",@progbits,_ZN7rocprim17ROCPRIM_400000_NS6detail17trampoline_kernelINS0_14default_configENS1_35radix_sort_onesweep_config_selectorIalEEZNS1_34radix_sort_onesweep_global_offsetsIS3_Lb0EPaN6thrust23THRUST_200600_302600_NS10device_ptrIlEEjNS0_19identity_decomposerEEE10hipError_tT1_T2_PT3_SG_jT4_jjP12ihipStream_tbEUlT_E_NS1_11comp_targetILNS1_3genE8ELNS1_11target_archE1030ELNS1_3gpuE2ELNS1_3repE0EEENS1_52radix_sort_onesweep_histogram_config_static_selectorELNS0_4arch9wavefront6targetE1EEEvSE_,comdat
.Lfunc_end590:
	.size	_ZN7rocprim17ROCPRIM_400000_NS6detail17trampoline_kernelINS0_14default_configENS1_35radix_sort_onesweep_config_selectorIalEEZNS1_34radix_sort_onesweep_global_offsetsIS3_Lb0EPaN6thrust23THRUST_200600_302600_NS10device_ptrIlEEjNS0_19identity_decomposerEEE10hipError_tT1_T2_PT3_SG_jT4_jjP12ihipStream_tbEUlT_E_NS1_11comp_targetILNS1_3genE8ELNS1_11target_archE1030ELNS1_3gpuE2ELNS1_3repE0EEENS1_52radix_sort_onesweep_histogram_config_static_selectorELNS0_4arch9wavefront6targetE1EEEvSE_, .Lfunc_end590-_ZN7rocprim17ROCPRIM_400000_NS6detail17trampoline_kernelINS0_14default_configENS1_35radix_sort_onesweep_config_selectorIalEEZNS1_34radix_sort_onesweep_global_offsetsIS3_Lb0EPaN6thrust23THRUST_200600_302600_NS10device_ptrIlEEjNS0_19identity_decomposerEEE10hipError_tT1_T2_PT3_SG_jT4_jjP12ihipStream_tbEUlT_E_NS1_11comp_targetILNS1_3genE8ELNS1_11target_archE1030ELNS1_3gpuE2ELNS1_3repE0EEENS1_52radix_sort_onesweep_histogram_config_static_selectorELNS0_4arch9wavefront6targetE1EEEvSE_
                                        ; -- End function
	.section	.AMDGPU.csdata,"",@progbits
; Kernel info:
; codeLenInByte = 0
; NumSgprs: 4
; NumVgprs: 0
; NumAgprs: 0
; TotalNumVgprs: 0
; ScratchSize: 0
; MemoryBound: 0
; FloatMode: 240
; IeeeMode: 1
; LDSByteSize: 0 bytes/workgroup (compile time only)
; SGPRBlocks: 0
; VGPRBlocks: 0
; NumSGPRsForWavesPerEU: 4
; NumVGPRsForWavesPerEU: 1
; AccumOffset: 4
; Occupancy: 8
; WaveLimiterHint : 0
; COMPUTE_PGM_RSRC2:SCRATCH_EN: 0
; COMPUTE_PGM_RSRC2:USER_SGPR: 6
; COMPUTE_PGM_RSRC2:TRAP_HANDLER: 0
; COMPUTE_PGM_RSRC2:TGID_X_EN: 1
; COMPUTE_PGM_RSRC2:TGID_Y_EN: 0
; COMPUTE_PGM_RSRC2:TGID_Z_EN: 0
; COMPUTE_PGM_RSRC2:TIDIG_COMP_CNT: 0
; COMPUTE_PGM_RSRC3_GFX90A:ACCUM_OFFSET: 0
; COMPUTE_PGM_RSRC3_GFX90A:TG_SPLIT: 0
	.section	.text._ZN7rocprim17ROCPRIM_400000_NS6detail17trampoline_kernelINS0_14default_configENS1_35radix_sort_onesweep_config_selectorIalEEZNS1_34radix_sort_onesweep_global_offsetsIS3_Lb0EPaN6thrust23THRUST_200600_302600_NS10device_ptrIlEEjNS0_19identity_decomposerEEE10hipError_tT1_T2_PT3_SG_jT4_jjP12ihipStream_tbEUlT_E0_NS1_11comp_targetILNS1_3genE0ELNS1_11target_archE4294967295ELNS1_3gpuE0ELNS1_3repE0EEENS1_52radix_sort_onesweep_histogram_config_static_selectorELNS0_4arch9wavefront6targetE1EEEvSE_,"axG",@progbits,_ZN7rocprim17ROCPRIM_400000_NS6detail17trampoline_kernelINS0_14default_configENS1_35radix_sort_onesweep_config_selectorIalEEZNS1_34radix_sort_onesweep_global_offsetsIS3_Lb0EPaN6thrust23THRUST_200600_302600_NS10device_ptrIlEEjNS0_19identity_decomposerEEE10hipError_tT1_T2_PT3_SG_jT4_jjP12ihipStream_tbEUlT_E0_NS1_11comp_targetILNS1_3genE0ELNS1_11target_archE4294967295ELNS1_3gpuE0ELNS1_3repE0EEENS1_52radix_sort_onesweep_histogram_config_static_selectorELNS0_4arch9wavefront6targetE1EEEvSE_,comdat
	.protected	_ZN7rocprim17ROCPRIM_400000_NS6detail17trampoline_kernelINS0_14default_configENS1_35radix_sort_onesweep_config_selectorIalEEZNS1_34radix_sort_onesweep_global_offsetsIS3_Lb0EPaN6thrust23THRUST_200600_302600_NS10device_ptrIlEEjNS0_19identity_decomposerEEE10hipError_tT1_T2_PT3_SG_jT4_jjP12ihipStream_tbEUlT_E0_NS1_11comp_targetILNS1_3genE0ELNS1_11target_archE4294967295ELNS1_3gpuE0ELNS1_3repE0EEENS1_52radix_sort_onesweep_histogram_config_static_selectorELNS0_4arch9wavefront6targetE1EEEvSE_ ; -- Begin function _ZN7rocprim17ROCPRIM_400000_NS6detail17trampoline_kernelINS0_14default_configENS1_35radix_sort_onesweep_config_selectorIalEEZNS1_34radix_sort_onesweep_global_offsetsIS3_Lb0EPaN6thrust23THRUST_200600_302600_NS10device_ptrIlEEjNS0_19identity_decomposerEEE10hipError_tT1_T2_PT3_SG_jT4_jjP12ihipStream_tbEUlT_E0_NS1_11comp_targetILNS1_3genE0ELNS1_11target_archE4294967295ELNS1_3gpuE0ELNS1_3repE0EEENS1_52radix_sort_onesweep_histogram_config_static_selectorELNS0_4arch9wavefront6targetE1EEEvSE_
	.globl	_ZN7rocprim17ROCPRIM_400000_NS6detail17trampoline_kernelINS0_14default_configENS1_35radix_sort_onesweep_config_selectorIalEEZNS1_34radix_sort_onesweep_global_offsetsIS3_Lb0EPaN6thrust23THRUST_200600_302600_NS10device_ptrIlEEjNS0_19identity_decomposerEEE10hipError_tT1_T2_PT3_SG_jT4_jjP12ihipStream_tbEUlT_E0_NS1_11comp_targetILNS1_3genE0ELNS1_11target_archE4294967295ELNS1_3gpuE0ELNS1_3repE0EEENS1_52radix_sort_onesweep_histogram_config_static_selectorELNS0_4arch9wavefront6targetE1EEEvSE_
	.p2align	8
	.type	_ZN7rocprim17ROCPRIM_400000_NS6detail17trampoline_kernelINS0_14default_configENS1_35radix_sort_onesweep_config_selectorIalEEZNS1_34radix_sort_onesweep_global_offsetsIS3_Lb0EPaN6thrust23THRUST_200600_302600_NS10device_ptrIlEEjNS0_19identity_decomposerEEE10hipError_tT1_T2_PT3_SG_jT4_jjP12ihipStream_tbEUlT_E0_NS1_11comp_targetILNS1_3genE0ELNS1_11target_archE4294967295ELNS1_3gpuE0ELNS1_3repE0EEENS1_52radix_sort_onesweep_histogram_config_static_selectorELNS0_4arch9wavefront6targetE1EEEvSE_,@function
_ZN7rocprim17ROCPRIM_400000_NS6detail17trampoline_kernelINS0_14default_configENS1_35radix_sort_onesweep_config_selectorIalEEZNS1_34radix_sort_onesweep_global_offsetsIS3_Lb0EPaN6thrust23THRUST_200600_302600_NS10device_ptrIlEEjNS0_19identity_decomposerEEE10hipError_tT1_T2_PT3_SG_jT4_jjP12ihipStream_tbEUlT_E0_NS1_11comp_targetILNS1_3genE0ELNS1_11target_archE4294967295ELNS1_3gpuE0ELNS1_3repE0EEENS1_52radix_sort_onesweep_histogram_config_static_selectorELNS0_4arch9wavefront6targetE1EEEvSE_: ; @_ZN7rocprim17ROCPRIM_400000_NS6detail17trampoline_kernelINS0_14default_configENS1_35radix_sort_onesweep_config_selectorIalEEZNS1_34radix_sort_onesweep_global_offsetsIS3_Lb0EPaN6thrust23THRUST_200600_302600_NS10device_ptrIlEEjNS0_19identity_decomposerEEE10hipError_tT1_T2_PT3_SG_jT4_jjP12ihipStream_tbEUlT_E0_NS1_11comp_targetILNS1_3genE0ELNS1_11target_archE4294967295ELNS1_3gpuE0ELNS1_3repE0EEENS1_52radix_sort_onesweep_histogram_config_static_selectorELNS0_4arch9wavefront6targetE1EEEvSE_
; %bb.0:
	.section	.rodata,"a",@progbits
	.p2align	6, 0x0
	.amdhsa_kernel _ZN7rocprim17ROCPRIM_400000_NS6detail17trampoline_kernelINS0_14default_configENS1_35radix_sort_onesweep_config_selectorIalEEZNS1_34radix_sort_onesweep_global_offsetsIS3_Lb0EPaN6thrust23THRUST_200600_302600_NS10device_ptrIlEEjNS0_19identity_decomposerEEE10hipError_tT1_T2_PT3_SG_jT4_jjP12ihipStream_tbEUlT_E0_NS1_11comp_targetILNS1_3genE0ELNS1_11target_archE4294967295ELNS1_3gpuE0ELNS1_3repE0EEENS1_52radix_sort_onesweep_histogram_config_static_selectorELNS0_4arch9wavefront6targetE1EEEvSE_
		.amdhsa_group_segment_fixed_size 0
		.amdhsa_private_segment_fixed_size 0
		.amdhsa_kernarg_size 8
		.amdhsa_user_sgpr_count 6
		.amdhsa_user_sgpr_private_segment_buffer 1
		.amdhsa_user_sgpr_dispatch_ptr 0
		.amdhsa_user_sgpr_queue_ptr 0
		.amdhsa_user_sgpr_kernarg_segment_ptr 1
		.amdhsa_user_sgpr_dispatch_id 0
		.amdhsa_user_sgpr_flat_scratch_init 0
		.amdhsa_user_sgpr_kernarg_preload_length 0
		.amdhsa_user_sgpr_kernarg_preload_offset 0
		.amdhsa_user_sgpr_private_segment_size 0
		.amdhsa_uses_dynamic_stack 0
		.amdhsa_system_sgpr_private_segment_wavefront_offset 0
		.amdhsa_system_sgpr_workgroup_id_x 1
		.amdhsa_system_sgpr_workgroup_id_y 0
		.amdhsa_system_sgpr_workgroup_id_z 0
		.amdhsa_system_sgpr_workgroup_info 0
		.amdhsa_system_vgpr_workitem_id 0
		.amdhsa_next_free_vgpr 1
		.amdhsa_next_free_sgpr 0
		.amdhsa_accum_offset 4
		.amdhsa_reserve_vcc 0
		.amdhsa_reserve_flat_scratch 0
		.amdhsa_float_round_mode_32 0
		.amdhsa_float_round_mode_16_64 0
		.amdhsa_float_denorm_mode_32 3
		.amdhsa_float_denorm_mode_16_64 3
		.amdhsa_dx10_clamp 1
		.amdhsa_ieee_mode 1
		.amdhsa_fp16_overflow 0
		.amdhsa_tg_split 0
		.amdhsa_exception_fp_ieee_invalid_op 0
		.amdhsa_exception_fp_denorm_src 0
		.amdhsa_exception_fp_ieee_div_zero 0
		.amdhsa_exception_fp_ieee_overflow 0
		.amdhsa_exception_fp_ieee_underflow 0
		.amdhsa_exception_fp_ieee_inexact 0
		.amdhsa_exception_int_div_zero 0
	.end_amdhsa_kernel
	.section	.text._ZN7rocprim17ROCPRIM_400000_NS6detail17trampoline_kernelINS0_14default_configENS1_35radix_sort_onesweep_config_selectorIalEEZNS1_34radix_sort_onesweep_global_offsetsIS3_Lb0EPaN6thrust23THRUST_200600_302600_NS10device_ptrIlEEjNS0_19identity_decomposerEEE10hipError_tT1_T2_PT3_SG_jT4_jjP12ihipStream_tbEUlT_E0_NS1_11comp_targetILNS1_3genE0ELNS1_11target_archE4294967295ELNS1_3gpuE0ELNS1_3repE0EEENS1_52radix_sort_onesweep_histogram_config_static_selectorELNS0_4arch9wavefront6targetE1EEEvSE_,"axG",@progbits,_ZN7rocprim17ROCPRIM_400000_NS6detail17trampoline_kernelINS0_14default_configENS1_35radix_sort_onesweep_config_selectorIalEEZNS1_34radix_sort_onesweep_global_offsetsIS3_Lb0EPaN6thrust23THRUST_200600_302600_NS10device_ptrIlEEjNS0_19identity_decomposerEEE10hipError_tT1_T2_PT3_SG_jT4_jjP12ihipStream_tbEUlT_E0_NS1_11comp_targetILNS1_3genE0ELNS1_11target_archE4294967295ELNS1_3gpuE0ELNS1_3repE0EEENS1_52radix_sort_onesweep_histogram_config_static_selectorELNS0_4arch9wavefront6targetE1EEEvSE_,comdat
.Lfunc_end591:
	.size	_ZN7rocprim17ROCPRIM_400000_NS6detail17trampoline_kernelINS0_14default_configENS1_35radix_sort_onesweep_config_selectorIalEEZNS1_34radix_sort_onesweep_global_offsetsIS3_Lb0EPaN6thrust23THRUST_200600_302600_NS10device_ptrIlEEjNS0_19identity_decomposerEEE10hipError_tT1_T2_PT3_SG_jT4_jjP12ihipStream_tbEUlT_E0_NS1_11comp_targetILNS1_3genE0ELNS1_11target_archE4294967295ELNS1_3gpuE0ELNS1_3repE0EEENS1_52radix_sort_onesweep_histogram_config_static_selectorELNS0_4arch9wavefront6targetE1EEEvSE_, .Lfunc_end591-_ZN7rocprim17ROCPRIM_400000_NS6detail17trampoline_kernelINS0_14default_configENS1_35radix_sort_onesweep_config_selectorIalEEZNS1_34radix_sort_onesweep_global_offsetsIS3_Lb0EPaN6thrust23THRUST_200600_302600_NS10device_ptrIlEEjNS0_19identity_decomposerEEE10hipError_tT1_T2_PT3_SG_jT4_jjP12ihipStream_tbEUlT_E0_NS1_11comp_targetILNS1_3genE0ELNS1_11target_archE4294967295ELNS1_3gpuE0ELNS1_3repE0EEENS1_52radix_sort_onesweep_histogram_config_static_selectorELNS0_4arch9wavefront6targetE1EEEvSE_
                                        ; -- End function
	.section	.AMDGPU.csdata,"",@progbits
; Kernel info:
; codeLenInByte = 0
; NumSgprs: 4
; NumVgprs: 0
; NumAgprs: 0
; TotalNumVgprs: 0
; ScratchSize: 0
; MemoryBound: 0
; FloatMode: 240
; IeeeMode: 1
; LDSByteSize: 0 bytes/workgroup (compile time only)
; SGPRBlocks: 0
; VGPRBlocks: 0
; NumSGPRsForWavesPerEU: 4
; NumVGPRsForWavesPerEU: 1
; AccumOffset: 4
; Occupancy: 8
; WaveLimiterHint : 0
; COMPUTE_PGM_RSRC2:SCRATCH_EN: 0
; COMPUTE_PGM_RSRC2:USER_SGPR: 6
; COMPUTE_PGM_RSRC2:TRAP_HANDLER: 0
; COMPUTE_PGM_RSRC2:TGID_X_EN: 1
; COMPUTE_PGM_RSRC2:TGID_Y_EN: 0
; COMPUTE_PGM_RSRC2:TGID_Z_EN: 0
; COMPUTE_PGM_RSRC2:TIDIG_COMP_CNT: 0
; COMPUTE_PGM_RSRC3_GFX90A:ACCUM_OFFSET: 0
; COMPUTE_PGM_RSRC3_GFX90A:TG_SPLIT: 0
	.section	.text._ZN7rocprim17ROCPRIM_400000_NS6detail17trampoline_kernelINS0_14default_configENS1_35radix_sort_onesweep_config_selectorIalEEZNS1_34radix_sort_onesweep_global_offsetsIS3_Lb0EPaN6thrust23THRUST_200600_302600_NS10device_ptrIlEEjNS0_19identity_decomposerEEE10hipError_tT1_T2_PT3_SG_jT4_jjP12ihipStream_tbEUlT_E0_NS1_11comp_targetILNS1_3genE6ELNS1_11target_archE950ELNS1_3gpuE13ELNS1_3repE0EEENS1_52radix_sort_onesweep_histogram_config_static_selectorELNS0_4arch9wavefront6targetE1EEEvSE_,"axG",@progbits,_ZN7rocprim17ROCPRIM_400000_NS6detail17trampoline_kernelINS0_14default_configENS1_35radix_sort_onesweep_config_selectorIalEEZNS1_34radix_sort_onesweep_global_offsetsIS3_Lb0EPaN6thrust23THRUST_200600_302600_NS10device_ptrIlEEjNS0_19identity_decomposerEEE10hipError_tT1_T2_PT3_SG_jT4_jjP12ihipStream_tbEUlT_E0_NS1_11comp_targetILNS1_3genE6ELNS1_11target_archE950ELNS1_3gpuE13ELNS1_3repE0EEENS1_52radix_sort_onesweep_histogram_config_static_selectorELNS0_4arch9wavefront6targetE1EEEvSE_,comdat
	.protected	_ZN7rocprim17ROCPRIM_400000_NS6detail17trampoline_kernelINS0_14default_configENS1_35radix_sort_onesweep_config_selectorIalEEZNS1_34radix_sort_onesweep_global_offsetsIS3_Lb0EPaN6thrust23THRUST_200600_302600_NS10device_ptrIlEEjNS0_19identity_decomposerEEE10hipError_tT1_T2_PT3_SG_jT4_jjP12ihipStream_tbEUlT_E0_NS1_11comp_targetILNS1_3genE6ELNS1_11target_archE950ELNS1_3gpuE13ELNS1_3repE0EEENS1_52radix_sort_onesweep_histogram_config_static_selectorELNS0_4arch9wavefront6targetE1EEEvSE_ ; -- Begin function _ZN7rocprim17ROCPRIM_400000_NS6detail17trampoline_kernelINS0_14default_configENS1_35radix_sort_onesweep_config_selectorIalEEZNS1_34radix_sort_onesweep_global_offsetsIS3_Lb0EPaN6thrust23THRUST_200600_302600_NS10device_ptrIlEEjNS0_19identity_decomposerEEE10hipError_tT1_T2_PT3_SG_jT4_jjP12ihipStream_tbEUlT_E0_NS1_11comp_targetILNS1_3genE6ELNS1_11target_archE950ELNS1_3gpuE13ELNS1_3repE0EEENS1_52radix_sort_onesweep_histogram_config_static_selectorELNS0_4arch9wavefront6targetE1EEEvSE_
	.globl	_ZN7rocprim17ROCPRIM_400000_NS6detail17trampoline_kernelINS0_14default_configENS1_35radix_sort_onesweep_config_selectorIalEEZNS1_34radix_sort_onesweep_global_offsetsIS3_Lb0EPaN6thrust23THRUST_200600_302600_NS10device_ptrIlEEjNS0_19identity_decomposerEEE10hipError_tT1_T2_PT3_SG_jT4_jjP12ihipStream_tbEUlT_E0_NS1_11comp_targetILNS1_3genE6ELNS1_11target_archE950ELNS1_3gpuE13ELNS1_3repE0EEENS1_52radix_sort_onesweep_histogram_config_static_selectorELNS0_4arch9wavefront6targetE1EEEvSE_
	.p2align	8
	.type	_ZN7rocprim17ROCPRIM_400000_NS6detail17trampoline_kernelINS0_14default_configENS1_35radix_sort_onesweep_config_selectorIalEEZNS1_34radix_sort_onesweep_global_offsetsIS3_Lb0EPaN6thrust23THRUST_200600_302600_NS10device_ptrIlEEjNS0_19identity_decomposerEEE10hipError_tT1_T2_PT3_SG_jT4_jjP12ihipStream_tbEUlT_E0_NS1_11comp_targetILNS1_3genE6ELNS1_11target_archE950ELNS1_3gpuE13ELNS1_3repE0EEENS1_52radix_sort_onesweep_histogram_config_static_selectorELNS0_4arch9wavefront6targetE1EEEvSE_,@function
_ZN7rocprim17ROCPRIM_400000_NS6detail17trampoline_kernelINS0_14default_configENS1_35radix_sort_onesweep_config_selectorIalEEZNS1_34radix_sort_onesweep_global_offsetsIS3_Lb0EPaN6thrust23THRUST_200600_302600_NS10device_ptrIlEEjNS0_19identity_decomposerEEE10hipError_tT1_T2_PT3_SG_jT4_jjP12ihipStream_tbEUlT_E0_NS1_11comp_targetILNS1_3genE6ELNS1_11target_archE950ELNS1_3gpuE13ELNS1_3repE0EEENS1_52radix_sort_onesweep_histogram_config_static_selectorELNS0_4arch9wavefront6targetE1EEEvSE_: ; @_ZN7rocprim17ROCPRIM_400000_NS6detail17trampoline_kernelINS0_14default_configENS1_35radix_sort_onesweep_config_selectorIalEEZNS1_34radix_sort_onesweep_global_offsetsIS3_Lb0EPaN6thrust23THRUST_200600_302600_NS10device_ptrIlEEjNS0_19identity_decomposerEEE10hipError_tT1_T2_PT3_SG_jT4_jjP12ihipStream_tbEUlT_E0_NS1_11comp_targetILNS1_3genE6ELNS1_11target_archE950ELNS1_3gpuE13ELNS1_3repE0EEENS1_52radix_sort_onesweep_histogram_config_static_selectorELNS0_4arch9wavefront6targetE1EEEvSE_
; %bb.0:
	.section	.rodata,"a",@progbits
	.p2align	6, 0x0
	.amdhsa_kernel _ZN7rocprim17ROCPRIM_400000_NS6detail17trampoline_kernelINS0_14default_configENS1_35radix_sort_onesweep_config_selectorIalEEZNS1_34radix_sort_onesweep_global_offsetsIS3_Lb0EPaN6thrust23THRUST_200600_302600_NS10device_ptrIlEEjNS0_19identity_decomposerEEE10hipError_tT1_T2_PT3_SG_jT4_jjP12ihipStream_tbEUlT_E0_NS1_11comp_targetILNS1_3genE6ELNS1_11target_archE950ELNS1_3gpuE13ELNS1_3repE0EEENS1_52radix_sort_onesweep_histogram_config_static_selectorELNS0_4arch9wavefront6targetE1EEEvSE_
		.amdhsa_group_segment_fixed_size 0
		.amdhsa_private_segment_fixed_size 0
		.amdhsa_kernarg_size 8
		.amdhsa_user_sgpr_count 6
		.amdhsa_user_sgpr_private_segment_buffer 1
		.amdhsa_user_sgpr_dispatch_ptr 0
		.amdhsa_user_sgpr_queue_ptr 0
		.amdhsa_user_sgpr_kernarg_segment_ptr 1
		.amdhsa_user_sgpr_dispatch_id 0
		.amdhsa_user_sgpr_flat_scratch_init 0
		.amdhsa_user_sgpr_kernarg_preload_length 0
		.amdhsa_user_sgpr_kernarg_preload_offset 0
		.amdhsa_user_sgpr_private_segment_size 0
		.amdhsa_uses_dynamic_stack 0
		.amdhsa_system_sgpr_private_segment_wavefront_offset 0
		.amdhsa_system_sgpr_workgroup_id_x 1
		.amdhsa_system_sgpr_workgroup_id_y 0
		.amdhsa_system_sgpr_workgroup_id_z 0
		.amdhsa_system_sgpr_workgroup_info 0
		.amdhsa_system_vgpr_workitem_id 0
		.amdhsa_next_free_vgpr 1
		.amdhsa_next_free_sgpr 0
		.amdhsa_accum_offset 4
		.amdhsa_reserve_vcc 0
		.amdhsa_reserve_flat_scratch 0
		.amdhsa_float_round_mode_32 0
		.amdhsa_float_round_mode_16_64 0
		.amdhsa_float_denorm_mode_32 3
		.amdhsa_float_denorm_mode_16_64 3
		.amdhsa_dx10_clamp 1
		.amdhsa_ieee_mode 1
		.amdhsa_fp16_overflow 0
		.amdhsa_tg_split 0
		.amdhsa_exception_fp_ieee_invalid_op 0
		.amdhsa_exception_fp_denorm_src 0
		.amdhsa_exception_fp_ieee_div_zero 0
		.amdhsa_exception_fp_ieee_overflow 0
		.amdhsa_exception_fp_ieee_underflow 0
		.amdhsa_exception_fp_ieee_inexact 0
		.amdhsa_exception_int_div_zero 0
	.end_amdhsa_kernel
	.section	.text._ZN7rocprim17ROCPRIM_400000_NS6detail17trampoline_kernelINS0_14default_configENS1_35radix_sort_onesweep_config_selectorIalEEZNS1_34radix_sort_onesweep_global_offsetsIS3_Lb0EPaN6thrust23THRUST_200600_302600_NS10device_ptrIlEEjNS0_19identity_decomposerEEE10hipError_tT1_T2_PT3_SG_jT4_jjP12ihipStream_tbEUlT_E0_NS1_11comp_targetILNS1_3genE6ELNS1_11target_archE950ELNS1_3gpuE13ELNS1_3repE0EEENS1_52radix_sort_onesweep_histogram_config_static_selectorELNS0_4arch9wavefront6targetE1EEEvSE_,"axG",@progbits,_ZN7rocprim17ROCPRIM_400000_NS6detail17trampoline_kernelINS0_14default_configENS1_35radix_sort_onesweep_config_selectorIalEEZNS1_34radix_sort_onesweep_global_offsetsIS3_Lb0EPaN6thrust23THRUST_200600_302600_NS10device_ptrIlEEjNS0_19identity_decomposerEEE10hipError_tT1_T2_PT3_SG_jT4_jjP12ihipStream_tbEUlT_E0_NS1_11comp_targetILNS1_3genE6ELNS1_11target_archE950ELNS1_3gpuE13ELNS1_3repE0EEENS1_52radix_sort_onesweep_histogram_config_static_selectorELNS0_4arch9wavefront6targetE1EEEvSE_,comdat
.Lfunc_end592:
	.size	_ZN7rocprim17ROCPRIM_400000_NS6detail17trampoline_kernelINS0_14default_configENS1_35radix_sort_onesweep_config_selectorIalEEZNS1_34radix_sort_onesweep_global_offsetsIS3_Lb0EPaN6thrust23THRUST_200600_302600_NS10device_ptrIlEEjNS0_19identity_decomposerEEE10hipError_tT1_T2_PT3_SG_jT4_jjP12ihipStream_tbEUlT_E0_NS1_11comp_targetILNS1_3genE6ELNS1_11target_archE950ELNS1_3gpuE13ELNS1_3repE0EEENS1_52radix_sort_onesweep_histogram_config_static_selectorELNS0_4arch9wavefront6targetE1EEEvSE_, .Lfunc_end592-_ZN7rocprim17ROCPRIM_400000_NS6detail17trampoline_kernelINS0_14default_configENS1_35radix_sort_onesweep_config_selectorIalEEZNS1_34radix_sort_onesweep_global_offsetsIS3_Lb0EPaN6thrust23THRUST_200600_302600_NS10device_ptrIlEEjNS0_19identity_decomposerEEE10hipError_tT1_T2_PT3_SG_jT4_jjP12ihipStream_tbEUlT_E0_NS1_11comp_targetILNS1_3genE6ELNS1_11target_archE950ELNS1_3gpuE13ELNS1_3repE0EEENS1_52radix_sort_onesweep_histogram_config_static_selectorELNS0_4arch9wavefront6targetE1EEEvSE_
                                        ; -- End function
	.section	.AMDGPU.csdata,"",@progbits
; Kernel info:
; codeLenInByte = 0
; NumSgprs: 4
; NumVgprs: 0
; NumAgprs: 0
; TotalNumVgprs: 0
; ScratchSize: 0
; MemoryBound: 0
; FloatMode: 240
; IeeeMode: 1
; LDSByteSize: 0 bytes/workgroup (compile time only)
; SGPRBlocks: 0
; VGPRBlocks: 0
; NumSGPRsForWavesPerEU: 4
; NumVGPRsForWavesPerEU: 1
; AccumOffset: 4
; Occupancy: 8
; WaveLimiterHint : 0
; COMPUTE_PGM_RSRC2:SCRATCH_EN: 0
; COMPUTE_PGM_RSRC2:USER_SGPR: 6
; COMPUTE_PGM_RSRC2:TRAP_HANDLER: 0
; COMPUTE_PGM_RSRC2:TGID_X_EN: 1
; COMPUTE_PGM_RSRC2:TGID_Y_EN: 0
; COMPUTE_PGM_RSRC2:TGID_Z_EN: 0
; COMPUTE_PGM_RSRC2:TIDIG_COMP_CNT: 0
; COMPUTE_PGM_RSRC3_GFX90A:ACCUM_OFFSET: 0
; COMPUTE_PGM_RSRC3_GFX90A:TG_SPLIT: 0
	.section	.text._ZN7rocprim17ROCPRIM_400000_NS6detail17trampoline_kernelINS0_14default_configENS1_35radix_sort_onesweep_config_selectorIalEEZNS1_34radix_sort_onesweep_global_offsetsIS3_Lb0EPaN6thrust23THRUST_200600_302600_NS10device_ptrIlEEjNS0_19identity_decomposerEEE10hipError_tT1_T2_PT3_SG_jT4_jjP12ihipStream_tbEUlT_E0_NS1_11comp_targetILNS1_3genE5ELNS1_11target_archE942ELNS1_3gpuE9ELNS1_3repE0EEENS1_52radix_sort_onesweep_histogram_config_static_selectorELNS0_4arch9wavefront6targetE1EEEvSE_,"axG",@progbits,_ZN7rocprim17ROCPRIM_400000_NS6detail17trampoline_kernelINS0_14default_configENS1_35radix_sort_onesweep_config_selectorIalEEZNS1_34radix_sort_onesweep_global_offsetsIS3_Lb0EPaN6thrust23THRUST_200600_302600_NS10device_ptrIlEEjNS0_19identity_decomposerEEE10hipError_tT1_T2_PT3_SG_jT4_jjP12ihipStream_tbEUlT_E0_NS1_11comp_targetILNS1_3genE5ELNS1_11target_archE942ELNS1_3gpuE9ELNS1_3repE0EEENS1_52radix_sort_onesweep_histogram_config_static_selectorELNS0_4arch9wavefront6targetE1EEEvSE_,comdat
	.protected	_ZN7rocprim17ROCPRIM_400000_NS6detail17trampoline_kernelINS0_14default_configENS1_35radix_sort_onesweep_config_selectorIalEEZNS1_34radix_sort_onesweep_global_offsetsIS3_Lb0EPaN6thrust23THRUST_200600_302600_NS10device_ptrIlEEjNS0_19identity_decomposerEEE10hipError_tT1_T2_PT3_SG_jT4_jjP12ihipStream_tbEUlT_E0_NS1_11comp_targetILNS1_3genE5ELNS1_11target_archE942ELNS1_3gpuE9ELNS1_3repE0EEENS1_52radix_sort_onesweep_histogram_config_static_selectorELNS0_4arch9wavefront6targetE1EEEvSE_ ; -- Begin function _ZN7rocprim17ROCPRIM_400000_NS6detail17trampoline_kernelINS0_14default_configENS1_35radix_sort_onesweep_config_selectorIalEEZNS1_34radix_sort_onesweep_global_offsetsIS3_Lb0EPaN6thrust23THRUST_200600_302600_NS10device_ptrIlEEjNS0_19identity_decomposerEEE10hipError_tT1_T2_PT3_SG_jT4_jjP12ihipStream_tbEUlT_E0_NS1_11comp_targetILNS1_3genE5ELNS1_11target_archE942ELNS1_3gpuE9ELNS1_3repE0EEENS1_52radix_sort_onesweep_histogram_config_static_selectorELNS0_4arch9wavefront6targetE1EEEvSE_
	.globl	_ZN7rocprim17ROCPRIM_400000_NS6detail17trampoline_kernelINS0_14default_configENS1_35radix_sort_onesweep_config_selectorIalEEZNS1_34radix_sort_onesweep_global_offsetsIS3_Lb0EPaN6thrust23THRUST_200600_302600_NS10device_ptrIlEEjNS0_19identity_decomposerEEE10hipError_tT1_T2_PT3_SG_jT4_jjP12ihipStream_tbEUlT_E0_NS1_11comp_targetILNS1_3genE5ELNS1_11target_archE942ELNS1_3gpuE9ELNS1_3repE0EEENS1_52radix_sort_onesweep_histogram_config_static_selectorELNS0_4arch9wavefront6targetE1EEEvSE_
	.p2align	8
	.type	_ZN7rocprim17ROCPRIM_400000_NS6detail17trampoline_kernelINS0_14default_configENS1_35radix_sort_onesweep_config_selectorIalEEZNS1_34radix_sort_onesweep_global_offsetsIS3_Lb0EPaN6thrust23THRUST_200600_302600_NS10device_ptrIlEEjNS0_19identity_decomposerEEE10hipError_tT1_T2_PT3_SG_jT4_jjP12ihipStream_tbEUlT_E0_NS1_11comp_targetILNS1_3genE5ELNS1_11target_archE942ELNS1_3gpuE9ELNS1_3repE0EEENS1_52radix_sort_onesweep_histogram_config_static_selectorELNS0_4arch9wavefront6targetE1EEEvSE_,@function
_ZN7rocprim17ROCPRIM_400000_NS6detail17trampoline_kernelINS0_14default_configENS1_35radix_sort_onesweep_config_selectorIalEEZNS1_34radix_sort_onesweep_global_offsetsIS3_Lb0EPaN6thrust23THRUST_200600_302600_NS10device_ptrIlEEjNS0_19identity_decomposerEEE10hipError_tT1_T2_PT3_SG_jT4_jjP12ihipStream_tbEUlT_E0_NS1_11comp_targetILNS1_3genE5ELNS1_11target_archE942ELNS1_3gpuE9ELNS1_3repE0EEENS1_52radix_sort_onesweep_histogram_config_static_selectorELNS0_4arch9wavefront6targetE1EEEvSE_: ; @_ZN7rocprim17ROCPRIM_400000_NS6detail17trampoline_kernelINS0_14default_configENS1_35radix_sort_onesweep_config_selectorIalEEZNS1_34radix_sort_onesweep_global_offsetsIS3_Lb0EPaN6thrust23THRUST_200600_302600_NS10device_ptrIlEEjNS0_19identity_decomposerEEE10hipError_tT1_T2_PT3_SG_jT4_jjP12ihipStream_tbEUlT_E0_NS1_11comp_targetILNS1_3genE5ELNS1_11target_archE942ELNS1_3gpuE9ELNS1_3repE0EEENS1_52radix_sort_onesweep_histogram_config_static_selectorELNS0_4arch9wavefront6targetE1EEEvSE_
; %bb.0:
	.section	.rodata,"a",@progbits
	.p2align	6, 0x0
	.amdhsa_kernel _ZN7rocprim17ROCPRIM_400000_NS6detail17trampoline_kernelINS0_14default_configENS1_35radix_sort_onesweep_config_selectorIalEEZNS1_34radix_sort_onesweep_global_offsetsIS3_Lb0EPaN6thrust23THRUST_200600_302600_NS10device_ptrIlEEjNS0_19identity_decomposerEEE10hipError_tT1_T2_PT3_SG_jT4_jjP12ihipStream_tbEUlT_E0_NS1_11comp_targetILNS1_3genE5ELNS1_11target_archE942ELNS1_3gpuE9ELNS1_3repE0EEENS1_52radix_sort_onesweep_histogram_config_static_selectorELNS0_4arch9wavefront6targetE1EEEvSE_
		.amdhsa_group_segment_fixed_size 0
		.amdhsa_private_segment_fixed_size 0
		.amdhsa_kernarg_size 8
		.amdhsa_user_sgpr_count 6
		.amdhsa_user_sgpr_private_segment_buffer 1
		.amdhsa_user_sgpr_dispatch_ptr 0
		.amdhsa_user_sgpr_queue_ptr 0
		.amdhsa_user_sgpr_kernarg_segment_ptr 1
		.amdhsa_user_sgpr_dispatch_id 0
		.amdhsa_user_sgpr_flat_scratch_init 0
		.amdhsa_user_sgpr_kernarg_preload_length 0
		.amdhsa_user_sgpr_kernarg_preload_offset 0
		.amdhsa_user_sgpr_private_segment_size 0
		.amdhsa_uses_dynamic_stack 0
		.amdhsa_system_sgpr_private_segment_wavefront_offset 0
		.amdhsa_system_sgpr_workgroup_id_x 1
		.amdhsa_system_sgpr_workgroup_id_y 0
		.amdhsa_system_sgpr_workgroup_id_z 0
		.amdhsa_system_sgpr_workgroup_info 0
		.amdhsa_system_vgpr_workitem_id 0
		.amdhsa_next_free_vgpr 1
		.amdhsa_next_free_sgpr 0
		.amdhsa_accum_offset 4
		.amdhsa_reserve_vcc 0
		.amdhsa_reserve_flat_scratch 0
		.amdhsa_float_round_mode_32 0
		.amdhsa_float_round_mode_16_64 0
		.amdhsa_float_denorm_mode_32 3
		.amdhsa_float_denorm_mode_16_64 3
		.amdhsa_dx10_clamp 1
		.amdhsa_ieee_mode 1
		.amdhsa_fp16_overflow 0
		.amdhsa_tg_split 0
		.amdhsa_exception_fp_ieee_invalid_op 0
		.amdhsa_exception_fp_denorm_src 0
		.amdhsa_exception_fp_ieee_div_zero 0
		.amdhsa_exception_fp_ieee_overflow 0
		.amdhsa_exception_fp_ieee_underflow 0
		.amdhsa_exception_fp_ieee_inexact 0
		.amdhsa_exception_int_div_zero 0
	.end_amdhsa_kernel
	.section	.text._ZN7rocprim17ROCPRIM_400000_NS6detail17trampoline_kernelINS0_14default_configENS1_35radix_sort_onesweep_config_selectorIalEEZNS1_34radix_sort_onesweep_global_offsetsIS3_Lb0EPaN6thrust23THRUST_200600_302600_NS10device_ptrIlEEjNS0_19identity_decomposerEEE10hipError_tT1_T2_PT3_SG_jT4_jjP12ihipStream_tbEUlT_E0_NS1_11comp_targetILNS1_3genE5ELNS1_11target_archE942ELNS1_3gpuE9ELNS1_3repE0EEENS1_52radix_sort_onesweep_histogram_config_static_selectorELNS0_4arch9wavefront6targetE1EEEvSE_,"axG",@progbits,_ZN7rocprim17ROCPRIM_400000_NS6detail17trampoline_kernelINS0_14default_configENS1_35radix_sort_onesweep_config_selectorIalEEZNS1_34radix_sort_onesweep_global_offsetsIS3_Lb0EPaN6thrust23THRUST_200600_302600_NS10device_ptrIlEEjNS0_19identity_decomposerEEE10hipError_tT1_T2_PT3_SG_jT4_jjP12ihipStream_tbEUlT_E0_NS1_11comp_targetILNS1_3genE5ELNS1_11target_archE942ELNS1_3gpuE9ELNS1_3repE0EEENS1_52radix_sort_onesweep_histogram_config_static_selectorELNS0_4arch9wavefront6targetE1EEEvSE_,comdat
.Lfunc_end593:
	.size	_ZN7rocprim17ROCPRIM_400000_NS6detail17trampoline_kernelINS0_14default_configENS1_35radix_sort_onesweep_config_selectorIalEEZNS1_34radix_sort_onesweep_global_offsetsIS3_Lb0EPaN6thrust23THRUST_200600_302600_NS10device_ptrIlEEjNS0_19identity_decomposerEEE10hipError_tT1_T2_PT3_SG_jT4_jjP12ihipStream_tbEUlT_E0_NS1_11comp_targetILNS1_3genE5ELNS1_11target_archE942ELNS1_3gpuE9ELNS1_3repE0EEENS1_52radix_sort_onesweep_histogram_config_static_selectorELNS0_4arch9wavefront6targetE1EEEvSE_, .Lfunc_end593-_ZN7rocprim17ROCPRIM_400000_NS6detail17trampoline_kernelINS0_14default_configENS1_35radix_sort_onesweep_config_selectorIalEEZNS1_34radix_sort_onesweep_global_offsetsIS3_Lb0EPaN6thrust23THRUST_200600_302600_NS10device_ptrIlEEjNS0_19identity_decomposerEEE10hipError_tT1_T2_PT3_SG_jT4_jjP12ihipStream_tbEUlT_E0_NS1_11comp_targetILNS1_3genE5ELNS1_11target_archE942ELNS1_3gpuE9ELNS1_3repE0EEENS1_52radix_sort_onesweep_histogram_config_static_selectorELNS0_4arch9wavefront6targetE1EEEvSE_
                                        ; -- End function
	.section	.AMDGPU.csdata,"",@progbits
; Kernel info:
; codeLenInByte = 0
; NumSgprs: 4
; NumVgprs: 0
; NumAgprs: 0
; TotalNumVgprs: 0
; ScratchSize: 0
; MemoryBound: 0
; FloatMode: 240
; IeeeMode: 1
; LDSByteSize: 0 bytes/workgroup (compile time only)
; SGPRBlocks: 0
; VGPRBlocks: 0
; NumSGPRsForWavesPerEU: 4
; NumVGPRsForWavesPerEU: 1
; AccumOffset: 4
; Occupancy: 8
; WaveLimiterHint : 0
; COMPUTE_PGM_RSRC2:SCRATCH_EN: 0
; COMPUTE_PGM_RSRC2:USER_SGPR: 6
; COMPUTE_PGM_RSRC2:TRAP_HANDLER: 0
; COMPUTE_PGM_RSRC2:TGID_X_EN: 1
; COMPUTE_PGM_RSRC2:TGID_Y_EN: 0
; COMPUTE_PGM_RSRC2:TGID_Z_EN: 0
; COMPUTE_PGM_RSRC2:TIDIG_COMP_CNT: 0
; COMPUTE_PGM_RSRC3_GFX90A:ACCUM_OFFSET: 0
; COMPUTE_PGM_RSRC3_GFX90A:TG_SPLIT: 0
	.section	.text._ZN7rocprim17ROCPRIM_400000_NS6detail17trampoline_kernelINS0_14default_configENS1_35radix_sort_onesweep_config_selectorIalEEZNS1_34radix_sort_onesweep_global_offsetsIS3_Lb0EPaN6thrust23THRUST_200600_302600_NS10device_ptrIlEEjNS0_19identity_decomposerEEE10hipError_tT1_T2_PT3_SG_jT4_jjP12ihipStream_tbEUlT_E0_NS1_11comp_targetILNS1_3genE2ELNS1_11target_archE906ELNS1_3gpuE6ELNS1_3repE0EEENS1_52radix_sort_onesweep_histogram_config_static_selectorELNS0_4arch9wavefront6targetE1EEEvSE_,"axG",@progbits,_ZN7rocprim17ROCPRIM_400000_NS6detail17trampoline_kernelINS0_14default_configENS1_35radix_sort_onesweep_config_selectorIalEEZNS1_34radix_sort_onesweep_global_offsetsIS3_Lb0EPaN6thrust23THRUST_200600_302600_NS10device_ptrIlEEjNS0_19identity_decomposerEEE10hipError_tT1_T2_PT3_SG_jT4_jjP12ihipStream_tbEUlT_E0_NS1_11comp_targetILNS1_3genE2ELNS1_11target_archE906ELNS1_3gpuE6ELNS1_3repE0EEENS1_52radix_sort_onesweep_histogram_config_static_selectorELNS0_4arch9wavefront6targetE1EEEvSE_,comdat
	.protected	_ZN7rocprim17ROCPRIM_400000_NS6detail17trampoline_kernelINS0_14default_configENS1_35radix_sort_onesweep_config_selectorIalEEZNS1_34radix_sort_onesweep_global_offsetsIS3_Lb0EPaN6thrust23THRUST_200600_302600_NS10device_ptrIlEEjNS0_19identity_decomposerEEE10hipError_tT1_T2_PT3_SG_jT4_jjP12ihipStream_tbEUlT_E0_NS1_11comp_targetILNS1_3genE2ELNS1_11target_archE906ELNS1_3gpuE6ELNS1_3repE0EEENS1_52radix_sort_onesweep_histogram_config_static_selectorELNS0_4arch9wavefront6targetE1EEEvSE_ ; -- Begin function _ZN7rocprim17ROCPRIM_400000_NS6detail17trampoline_kernelINS0_14default_configENS1_35radix_sort_onesweep_config_selectorIalEEZNS1_34radix_sort_onesweep_global_offsetsIS3_Lb0EPaN6thrust23THRUST_200600_302600_NS10device_ptrIlEEjNS0_19identity_decomposerEEE10hipError_tT1_T2_PT3_SG_jT4_jjP12ihipStream_tbEUlT_E0_NS1_11comp_targetILNS1_3genE2ELNS1_11target_archE906ELNS1_3gpuE6ELNS1_3repE0EEENS1_52radix_sort_onesweep_histogram_config_static_selectorELNS0_4arch9wavefront6targetE1EEEvSE_
	.globl	_ZN7rocprim17ROCPRIM_400000_NS6detail17trampoline_kernelINS0_14default_configENS1_35radix_sort_onesweep_config_selectorIalEEZNS1_34radix_sort_onesweep_global_offsetsIS3_Lb0EPaN6thrust23THRUST_200600_302600_NS10device_ptrIlEEjNS0_19identity_decomposerEEE10hipError_tT1_T2_PT3_SG_jT4_jjP12ihipStream_tbEUlT_E0_NS1_11comp_targetILNS1_3genE2ELNS1_11target_archE906ELNS1_3gpuE6ELNS1_3repE0EEENS1_52radix_sort_onesweep_histogram_config_static_selectorELNS0_4arch9wavefront6targetE1EEEvSE_
	.p2align	8
	.type	_ZN7rocprim17ROCPRIM_400000_NS6detail17trampoline_kernelINS0_14default_configENS1_35radix_sort_onesweep_config_selectorIalEEZNS1_34radix_sort_onesweep_global_offsetsIS3_Lb0EPaN6thrust23THRUST_200600_302600_NS10device_ptrIlEEjNS0_19identity_decomposerEEE10hipError_tT1_T2_PT3_SG_jT4_jjP12ihipStream_tbEUlT_E0_NS1_11comp_targetILNS1_3genE2ELNS1_11target_archE906ELNS1_3gpuE6ELNS1_3repE0EEENS1_52radix_sort_onesweep_histogram_config_static_selectorELNS0_4arch9wavefront6targetE1EEEvSE_,@function
_ZN7rocprim17ROCPRIM_400000_NS6detail17trampoline_kernelINS0_14default_configENS1_35radix_sort_onesweep_config_selectorIalEEZNS1_34radix_sort_onesweep_global_offsetsIS3_Lb0EPaN6thrust23THRUST_200600_302600_NS10device_ptrIlEEjNS0_19identity_decomposerEEE10hipError_tT1_T2_PT3_SG_jT4_jjP12ihipStream_tbEUlT_E0_NS1_11comp_targetILNS1_3genE2ELNS1_11target_archE906ELNS1_3gpuE6ELNS1_3repE0EEENS1_52radix_sort_onesweep_histogram_config_static_selectorELNS0_4arch9wavefront6targetE1EEEvSE_: ; @_ZN7rocprim17ROCPRIM_400000_NS6detail17trampoline_kernelINS0_14default_configENS1_35radix_sort_onesweep_config_selectorIalEEZNS1_34radix_sort_onesweep_global_offsetsIS3_Lb0EPaN6thrust23THRUST_200600_302600_NS10device_ptrIlEEjNS0_19identity_decomposerEEE10hipError_tT1_T2_PT3_SG_jT4_jjP12ihipStream_tbEUlT_E0_NS1_11comp_targetILNS1_3genE2ELNS1_11target_archE906ELNS1_3gpuE6ELNS1_3repE0EEENS1_52radix_sort_onesweep_histogram_config_static_selectorELNS0_4arch9wavefront6targetE1EEEvSE_
; %bb.0:
	.section	.rodata,"a",@progbits
	.p2align	6, 0x0
	.amdhsa_kernel _ZN7rocprim17ROCPRIM_400000_NS6detail17trampoline_kernelINS0_14default_configENS1_35radix_sort_onesweep_config_selectorIalEEZNS1_34radix_sort_onesweep_global_offsetsIS3_Lb0EPaN6thrust23THRUST_200600_302600_NS10device_ptrIlEEjNS0_19identity_decomposerEEE10hipError_tT1_T2_PT3_SG_jT4_jjP12ihipStream_tbEUlT_E0_NS1_11comp_targetILNS1_3genE2ELNS1_11target_archE906ELNS1_3gpuE6ELNS1_3repE0EEENS1_52radix_sort_onesweep_histogram_config_static_selectorELNS0_4arch9wavefront6targetE1EEEvSE_
		.amdhsa_group_segment_fixed_size 0
		.amdhsa_private_segment_fixed_size 0
		.amdhsa_kernarg_size 8
		.amdhsa_user_sgpr_count 6
		.amdhsa_user_sgpr_private_segment_buffer 1
		.amdhsa_user_sgpr_dispatch_ptr 0
		.amdhsa_user_sgpr_queue_ptr 0
		.amdhsa_user_sgpr_kernarg_segment_ptr 1
		.amdhsa_user_sgpr_dispatch_id 0
		.amdhsa_user_sgpr_flat_scratch_init 0
		.amdhsa_user_sgpr_kernarg_preload_length 0
		.amdhsa_user_sgpr_kernarg_preload_offset 0
		.amdhsa_user_sgpr_private_segment_size 0
		.amdhsa_uses_dynamic_stack 0
		.amdhsa_system_sgpr_private_segment_wavefront_offset 0
		.amdhsa_system_sgpr_workgroup_id_x 1
		.amdhsa_system_sgpr_workgroup_id_y 0
		.amdhsa_system_sgpr_workgroup_id_z 0
		.amdhsa_system_sgpr_workgroup_info 0
		.amdhsa_system_vgpr_workitem_id 0
		.amdhsa_next_free_vgpr 1
		.amdhsa_next_free_sgpr 0
		.amdhsa_accum_offset 4
		.amdhsa_reserve_vcc 0
		.amdhsa_reserve_flat_scratch 0
		.amdhsa_float_round_mode_32 0
		.amdhsa_float_round_mode_16_64 0
		.amdhsa_float_denorm_mode_32 3
		.amdhsa_float_denorm_mode_16_64 3
		.amdhsa_dx10_clamp 1
		.amdhsa_ieee_mode 1
		.amdhsa_fp16_overflow 0
		.amdhsa_tg_split 0
		.amdhsa_exception_fp_ieee_invalid_op 0
		.amdhsa_exception_fp_denorm_src 0
		.amdhsa_exception_fp_ieee_div_zero 0
		.amdhsa_exception_fp_ieee_overflow 0
		.amdhsa_exception_fp_ieee_underflow 0
		.amdhsa_exception_fp_ieee_inexact 0
		.amdhsa_exception_int_div_zero 0
	.end_amdhsa_kernel
	.section	.text._ZN7rocprim17ROCPRIM_400000_NS6detail17trampoline_kernelINS0_14default_configENS1_35radix_sort_onesweep_config_selectorIalEEZNS1_34radix_sort_onesweep_global_offsetsIS3_Lb0EPaN6thrust23THRUST_200600_302600_NS10device_ptrIlEEjNS0_19identity_decomposerEEE10hipError_tT1_T2_PT3_SG_jT4_jjP12ihipStream_tbEUlT_E0_NS1_11comp_targetILNS1_3genE2ELNS1_11target_archE906ELNS1_3gpuE6ELNS1_3repE0EEENS1_52radix_sort_onesweep_histogram_config_static_selectorELNS0_4arch9wavefront6targetE1EEEvSE_,"axG",@progbits,_ZN7rocprim17ROCPRIM_400000_NS6detail17trampoline_kernelINS0_14default_configENS1_35radix_sort_onesweep_config_selectorIalEEZNS1_34radix_sort_onesweep_global_offsetsIS3_Lb0EPaN6thrust23THRUST_200600_302600_NS10device_ptrIlEEjNS0_19identity_decomposerEEE10hipError_tT1_T2_PT3_SG_jT4_jjP12ihipStream_tbEUlT_E0_NS1_11comp_targetILNS1_3genE2ELNS1_11target_archE906ELNS1_3gpuE6ELNS1_3repE0EEENS1_52radix_sort_onesweep_histogram_config_static_selectorELNS0_4arch9wavefront6targetE1EEEvSE_,comdat
.Lfunc_end594:
	.size	_ZN7rocprim17ROCPRIM_400000_NS6detail17trampoline_kernelINS0_14default_configENS1_35radix_sort_onesweep_config_selectorIalEEZNS1_34radix_sort_onesweep_global_offsetsIS3_Lb0EPaN6thrust23THRUST_200600_302600_NS10device_ptrIlEEjNS0_19identity_decomposerEEE10hipError_tT1_T2_PT3_SG_jT4_jjP12ihipStream_tbEUlT_E0_NS1_11comp_targetILNS1_3genE2ELNS1_11target_archE906ELNS1_3gpuE6ELNS1_3repE0EEENS1_52radix_sort_onesweep_histogram_config_static_selectorELNS0_4arch9wavefront6targetE1EEEvSE_, .Lfunc_end594-_ZN7rocprim17ROCPRIM_400000_NS6detail17trampoline_kernelINS0_14default_configENS1_35radix_sort_onesweep_config_selectorIalEEZNS1_34radix_sort_onesweep_global_offsetsIS3_Lb0EPaN6thrust23THRUST_200600_302600_NS10device_ptrIlEEjNS0_19identity_decomposerEEE10hipError_tT1_T2_PT3_SG_jT4_jjP12ihipStream_tbEUlT_E0_NS1_11comp_targetILNS1_3genE2ELNS1_11target_archE906ELNS1_3gpuE6ELNS1_3repE0EEENS1_52radix_sort_onesweep_histogram_config_static_selectorELNS0_4arch9wavefront6targetE1EEEvSE_
                                        ; -- End function
	.section	.AMDGPU.csdata,"",@progbits
; Kernel info:
; codeLenInByte = 0
; NumSgprs: 4
; NumVgprs: 0
; NumAgprs: 0
; TotalNumVgprs: 0
; ScratchSize: 0
; MemoryBound: 0
; FloatMode: 240
; IeeeMode: 1
; LDSByteSize: 0 bytes/workgroup (compile time only)
; SGPRBlocks: 0
; VGPRBlocks: 0
; NumSGPRsForWavesPerEU: 4
; NumVGPRsForWavesPerEU: 1
; AccumOffset: 4
; Occupancy: 8
; WaveLimiterHint : 0
; COMPUTE_PGM_RSRC2:SCRATCH_EN: 0
; COMPUTE_PGM_RSRC2:USER_SGPR: 6
; COMPUTE_PGM_RSRC2:TRAP_HANDLER: 0
; COMPUTE_PGM_RSRC2:TGID_X_EN: 1
; COMPUTE_PGM_RSRC2:TGID_Y_EN: 0
; COMPUTE_PGM_RSRC2:TGID_Z_EN: 0
; COMPUTE_PGM_RSRC2:TIDIG_COMP_CNT: 0
; COMPUTE_PGM_RSRC3_GFX90A:ACCUM_OFFSET: 0
; COMPUTE_PGM_RSRC3_GFX90A:TG_SPLIT: 0
	.section	.text._ZN7rocprim17ROCPRIM_400000_NS6detail17trampoline_kernelINS0_14default_configENS1_35radix_sort_onesweep_config_selectorIalEEZNS1_34radix_sort_onesweep_global_offsetsIS3_Lb0EPaN6thrust23THRUST_200600_302600_NS10device_ptrIlEEjNS0_19identity_decomposerEEE10hipError_tT1_T2_PT3_SG_jT4_jjP12ihipStream_tbEUlT_E0_NS1_11comp_targetILNS1_3genE4ELNS1_11target_archE910ELNS1_3gpuE8ELNS1_3repE0EEENS1_52radix_sort_onesweep_histogram_config_static_selectorELNS0_4arch9wavefront6targetE1EEEvSE_,"axG",@progbits,_ZN7rocprim17ROCPRIM_400000_NS6detail17trampoline_kernelINS0_14default_configENS1_35radix_sort_onesweep_config_selectorIalEEZNS1_34radix_sort_onesweep_global_offsetsIS3_Lb0EPaN6thrust23THRUST_200600_302600_NS10device_ptrIlEEjNS0_19identity_decomposerEEE10hipError_tT1_T2_PT3_SG_jT4_jjP12ihipStream_tbEUlT_E0_NS1_11comp_targetILNS1_3genE4ELNS1_11target_archE910ELNS1_3gpuE8ELNS1_3repE0EEENS1_52radix_sort_onesweep_histogram_config_static_selectorELNS0_4arch9wavefront6targetE1EEEvSE_,comdat
	.protected	_ZN7rocprim17ROCPRIM_400000_NS6detail17trampoline_kernelINS0_14default_configENS1_35radix_sort_onesweep_config_selectorIalEEZNS1_34radix_sort_onesweep_global_offsetsIS3_Lb0EPaN6thrust23THRUST_200600_302600_NS10device_ptrIlEEjNS0_19identity_decomposerEEE10hipError_tT1_T2_PT3_SG_jT4_jjP12ihipStream_tbEUlT_E0_NS1_11comp_targetILNS1_3genE4ELNS1_11target_archE910ELNS1_3gpuE8ELNS1_3repE0EEENS1_52radix_sort_onesweep_histogram_config_static_selectorELNS0_4arch9wavefront6targetE1EEEvSE_ ; -- Begin function _ZN7rocprim17ROCPRIM_400000_NS6detail17trampoline_kernelINS0_14default_configENS1_35radix_sort_onesweep_config_selectorIalEEZNS1_34radix_sort_onesweep_global_offsetsIS3_Lb0EPaN6thrust23THRUST_200600_302600_NS10device_ptrIlEEjNS0_19identity_decomposerEEE10hipError_tT1_T2_PT3_SG_jT4_jjP12ihipStream_tbEUlT_E0_NS1_11comp_targetILNS1_3genE4ELNS1_11target_archE910ELNS1_3gpuE8ELNS1_3repE0EEENS1_52radix_sort_onesweep_histogram_config_static_selectorELNS0_4arch9wavefront6targetE1EEEvSE_
	.globl	_ZN7rocprim17ROCPRIM_400000_NS6detail17trampoline_kernelINS0_14default_configENS1_35radix_sort_onesweep_config_selectorIalEEZNS1_34radix_sort_onesweep_global_offsetsIS3_Lb0EPaN6thrust23THRUST_200600_302600_NS10device_ptrIlEEjNS0_19identity_decomposerEEE10hipError_tT1_T2_PT3_SG_jT4_jjP12ihipStream_tbEUlT_E0_NS1_11comp_targetILNS1_3genE4ELNS1_11target_archE910ELNS1_3gpuE8ELNS1_3repE0EEENS1_52radix_sort_onesweep_histogram_config_static_selectorELNS0_4arch9wavefront6targetE1EEEvSE_
	.p2align	8
	.type	_ZN7rocprim17ROCPRIM_400000_NS6detail17trampoline_kernelINS0_14default_configENS1_35radix_sort_onesweep_config_selectorIalEEZNS1_34radix_sort_onesweep_global_offsetsIS3_Lb0EPaN6thrust23THRUST_200600_302600_NS10device_ptrIlEEjNS0_19identity_decomposerEEE10hipError_tT1_T2_PT3_SG_jT4_jjP12ihipStream_tbEUlT_E0_NS1_11comp_targetILNS1_3genE4ELNS1_11target_archE910ELNS1_3gpuE8ELNS1_3repE0EEENS1_52radix_sort_onesweep_histogram_config_static_selectorELNS0_4arch9wavefront6targetE1EEEvSE_,@function
_ZN7rocprim17ROCPRIM_400000_NS6detail17trampoline_kernelINS0_14default_configENS1_35radix_sort_onesweep_config_selectorIalEEZNS1_34radix_sort_onesweep_global_offsetsIS3_Lb0EPaN6thrust23THRUST_200600_302600_NS10device_ptrIlEEjNS0_19identity_decomposerEEE10hipError_tT1_T2_PT3_SG_jT4_jjP12ihipStream_tbEUlT_E0_NS1_11comp_targetILNS1_3genE4ELNS1_11target_archE910ELNS1_3gpuE8ELNS1_3repE0EEENS1_52radix_sort_onesweep_histogram_config_static_selectorELNS0_4arch9wavefront6targetE1EEEvSE_: ; @_ZN7rocprim17ROCPRIM_400000_NS6detail17trampoline_kernelINS0_14default_configENS1_35radix_sort_onesweep_config_selectorIalEEZNS1_34radix_sort_onesweep_global_offsetsIS3_Lb0EPaN6thrust23THRUST_200600_302600_NS10device_ptrIlEEjNS0_19identity_decomposerEEE10hipError_tT1_T2_PT3_SG_jT4_jjP12ihipStream_tbEUlT_E0_NS1_11comp_targetILNS1_3genE4ELNS1_11target_archE910ELNS1_3gpuE8ELNS1_3repE0EEENS1_52radix_sort_onesweep_histogram_config_static_selectorELNS0_4arch9wavefront6targetE1EEEvSE_
; %bb.0:
	s_load_dwordx2 s[0:1], s[4:5], 0x0
	s_lshl_b32 s2, s6, 8
	s_mov_b32 s3, 0
	s_lshl_b64 s[2:3], s[2:3], 2
	v_lshlrev_b32_e32 v1, 2, v0
	s_waitcnt lgkmcnt(0)
	s_add_u32 s10, s0, s2
	s_movk_i32 s0, 0x100
	s_addc_u32 s11, s1, s3
	v_cmp_gt_u32_e32 vcc, s0, v0
                                        ; implicit-def: $vgpr3
	s_and_saveexec_b64 s[0:1], vcc
	s_cbranch_execz .LBB595_2
; %bb.1:
	global_load_dword v3, v1, s[10:11]
.LBB595_2:
	s_or_b64 exec, exec, s[0:1]
	v_mbcnt_lo_u32_b32 v2, -1, 0
	v_mbcnt_hi_u32_b32 v2, -1, v2
	v_and_b32_e32 v4, 15, v2
	s_waitcnt vmcnt(0)
	v_mov_b32_dpp v5, v3 row_shr:1 row_mask:0xf bank_mask:0xf
	v_cmp_eq_u32_e64 s[0:1], 0, v4
	v_cndmask_b32_e64 v5, v5, 0, s[0:1]
	v_add_u32_e32 v3, v5, v3
	v_cmp_lt_u32_e64 s[2:3], 1, v4
	v_cmp_lt_u32_e64 s[4:5], 3, v4
	v_mov_b32_dpp v5, v3 row_shr:2 row_mask:0xf bank_mask:0xf
	v_cndmask_b32_e64 v5, 0, v5, s[2:3]
	v_add_u32_e32 v3, v3, v5
	v_cmp_lt_u32_e64 s[6:7], 7, v4
	v_cmp_lt_u32_e64 s[8:9], 31, v2
	v_mov_b32_dpp v5, v3 row_shr:4 row_mask:0xf bank_mask:0xf
	v_cndmask_b32_e64 v5, 0, v5, s[4:5]
	v_add_u32_e32 v3, v3, v5
	s_nop 1
	v_mov_b32_dpp v5, v3 row_shr:8 row_mask:0xf bank_mask:0xf
	v_cndmask_b32_e64 v4, 0, v5, s[6:7]
	v_add_u32_e32 v3, v3, v4
	v_bfe_i32 v5, v2, 4, 1
	s_nop 0
	v_mov_b32_dpp v4, v3 row_bcast:15 row_mask:0xf bank_mask:0xf
	v_and_b32_e32 v4, v5, v4
	v_add_u32_e32 v3, v3, v4
	v_and_b32_e32 v5, 63, v0
	s_nop 0
	v_mov_b32_dpp v4, v3 row_bcast:31 row_mask:0xf bank_mask:0xf
	v_cndmask_b32_e64 v4, 0, v4, s[8:9]
	v_add_u32_e32 v3, v3, v4
	v_lshrrev_b32_e32 v4, 6, v0
	v_cmp_eq_u32_e64 s[8:9], 63, v5
	s_and_saveexec_b64 s[12:13], s[8:9]
	s_cbranch_execz .LBB595_4
; %bb.3:
	v_lshlrev_b32_e32 v5, 2, v4
	ds_write_b32 v5, v3
.LBB595_4:
	s_or_b64 exec, exec, s[12:13]
	v_cmp_gt_u32_e64 s[8:9], 16, v0
	s_waitcnt lgkmcnt(0)
	s_barrier
	s_and_saveexec_b64 s[12:13], s[8:9]
	s_cbranch_execz .LBB595_6
; %bb.5:
	ds_read_b32 v5, v1
	s_waitcnt lgkmcnt(0)
	s_nop 0
	v_mov_b32_dpp v6, v5 row_shr:1 row_mask:0xf bank_mask:0xf
	v_cndmask_b32_e64 v6, v6, 0, s[0:1]
	v_add_u32_e32 v5, v6, v5
	s_nop 1
	v_mov_b32_dpp v6, v5 row_shr:2 row_mask:0xf bank_mask:0xf
	v_cndmask_b32_e64 v6, 0, v6, s[2:3]
	v_add_u32_e32 v5, v5, v6
	s_nop 1
	v_mov_b32_dpp v6, v5 row_shr:4 row_mask:0xf bank_mask:0xf
	v_cndmask_b32_e64 v6, 0, v6, s[4:5]
	v_add_u32_e32 v5, v5, v6
	s_nop 1
	v_mov_b32_dpp v6, v5 row_shr:8 row_mask:0xf bank_mask:0xf
	v_cndmask_b32_e64 v6, 0, v6, s[6:7]
	v_add_u32_e32 v5, v5, v6
	ds_write_b32 v1, v5
.LBB595_6:
	s_or_b64 exec, exec, s[12:13]
	v_cmp_lt_u32_e64 s[0:1], 63, v0
	v_mov_b32_e32 v0, 0
	s_waitcnt lgkmcnt(0)
	s_barrier
	s_and_saveexec_b64 s[2:3], s[0:1]
	s_cbranch_execz .LBB595_8
; %bb.7:
	v_lshl_add_u32 v0, v4, 2, -4
	ds_read_b32 v0, v0
.LBB595_8:
	s_or_b64 exec, exec, s[2:3]
	v_add_u32_e32 v4, -1, v2
	v_and_b32_e32 v5, 64, v2
	v_cmp_lt_i32_e64 s[0:1], v4, v5
	v_cndmask_b32_e64 v4, v4, v2, s[0:1]
	s_waitcnt lgkmcnt(0)
	v_add_u32_e32 v3, v0, v3
	v_lshlrev_b32_e32 v4, 2, v4
	ds_bpermute_b32 v3, v4, v3
	s_and_saveexec_b64 s[0:1], vcc
	s_cbranch_execz .LBB595_10
; %bb.9:
	v_cmp_eq_u32_e32 vcc, 0, v2
	s_waitcnt lgkmcnt(0)
	v_cndmask_b32_e32 v0, v3, v0, vcc
	global_store_dword v1, v0, s[10:11]
.LBB595_10:
	s_endpgm
	.section	.rodata,"a",@progbits
	.p2align	6, 0x0
	.amdhsa_kernel _ZN7rocprim17ROCPRIM_400000_NS6detail17trampoline_kernelINS0_14default_configENS1_35radix_sort_onesweep_config_selectorIalEEZNS1_34radix_sort_onesweep_global_offsetsIS3_Lb0EPaN6thrust23THRUST_200600_302600_NS10device_ptrIlEEjNS0_19identity_decomposerEEE10hipError_tT1_T2_PT3_SG_jT4_jjP12ihipStream_tbEUlT_E0_NS1_11comp_targetILNS1_3genE4ELNS1_11target_archE910ELNS1_3gpuE8ELNS1_3repE0EEENS1_52radix_sort_onesweep_histogram_config_static_selectorELNS0_4arch9wavefront6targetE1EEEvSE_
		.amdhsa_group_segment_fixed_size 64
		.amdhsa_private_segment_fixed_size 0
		.amdhsa_kernarg_size 8
		.amdhsa_user_sgpr_count 6
		.amdhsa_user_sgpr_private_segment_buffer 1
		.amdhsa_user_sgpr_dispatch_ptr 0
		.amdhsa_user_sgpr_queue_ptr 0
		.amdhsa_user_sgpr_kernarg_segment_ptr 1
		.amdhsa_user_sgpr_dispatch_id 0
		.amdhsa_user_sgpr_flat_scratch_init 0
		.amdhsa_user_sgpr_kernarg_preload_length 0
		.amdhsa_user_sgpr_kernarg_preload_offset 0
		.amdhsa_user_sgpr_private_segment_size 0
		.amdhsa_uses_dynamic_stack 0
		.amdhsa_system_sgpr_private_segment_wavefront_offset 0
		.amdhsa_system_sgpr_workgroup_id_x 1
		.amdhsa_system_sgpr_workgroup_id_y 0
		.amdhsa_system_sgpr_workgroup_id_z 0
		.amdhsa_system_sgpr_workgroup_info 0
		.amdhsa_system_vgpr_workitem_id 0
		.amdhsa_next_free_vgpr 7
		.amdhsa_next_free_sgpr 14
		.amdhsa_accum_offset 8
		.amdhsa_reserve_vcc 1
		.amdhsa_reserve_flat_scratch 0
		.amdhsa_float_round_mode_32 0
		.amdhsa_float_round_mode_16_64 0
		.amdhsa_float_denorm_mode_32 3
		.amdhsa_float_denorm_mode_16_64 3
		.amdhsa_dx10_clamp 1
		.amdhsa_ieee_mode 1
		.amdhsa_fp16_overflow 0
		.amdhsa_tg_split 0
		.amdhsa_exception_fp_ieee_invalid_op 0
		.amdhsa_exception_fp_denorm_src 0
		.amdhsa_exception_fp_ieee_div_zero 0
		.amdhsa_exception_fp_ieee_overflow 0
		.amdhsa_exception_fp_ieee_underflow 0
		.amdhsa_exception_fp_ieee_inexact 0
		.amdhsa_exception_int_div_zero 0
	.end_amdhsa_kernel
	.section	.text._ZN7rocprim17ROCPRIM_400000_NS6detail17trampoline_kernelINS0_14default_configENS1_35radix_sort_onesweep_config_selectorIalEEZNS1_34radix_sort_onesweep_global_offsetsIS3_Lb0EPaN6thrust23THRUST_200600_302600_NS10device_ptrIlEEjNS0_19identity_decomposerEEE10hipError_tT1_T2_PT3_SG_jT4_jjP12ihipStream_tbEUlT_E0_NS1_11comp_targetILNS1_3genE4ELNS1_11target_archE910ELNS1_3gpuE8ELNS1_3repE0EEENS1_52radix_sort_onesweep_histogram_config_static_selectorELNS0_4arch9wavefront6targetE1EEEvSE_,"axG",@progbits,_ZN7rocprim17ROCPRIM_400000_NS6detail17trampoline_kernelINS0_14default_configENS1_35radix_sort_onesweep_config_selectorIalEEZNS1_34radix_sort_onesweep_global_offsetsIS3_Lb0EPaN6thrust23THRUST_200600_302600_NS10device_ptrIlEEjNS0_19identity_decomposerEEE10hipError_tT1_T2_PT3_SG_jT4_jjP12ihipStream_tbEUlT_E0_NS1_11comp_targetILNS1_3genE4ELNS1_11target_archE910ELNS1_3gpuE8ELNS1_3repE0EEENS1_52radix_sort_onesweep_histogram_config_static_selectorELNS0_4arch9wavefront6targetE1EEEvSE_,comdat
.Lfunc_end595:
	.size	_ZN7rocprim17ROCPRIM_400000_NS6detail17trampoline_kernelINS0_14default_configENS1_35radix_sort_onesweep_config_selectorIalEEZNS1_34radix_sort_onesweep_global_offsetsIS3_Lb0EPaN6thrust23THRUST_200600_302600_NS10device_ptrIlEEjNS0_19identity_decomposerEEE10hipError_tT1_T2_PT3_SG_jT4_jjP12ihipStream_tbEUlT_E0_NS1_11comp_targetILNS1_3genE4ELNS1_11target_archE910ELNS1_3gpuE8ELNS1_3repE0EEENS1_52radix_sort_onesweep_histogram_config_static_selectorELNS0_4arch9wavefront6targetE1EEEvSE_, .Lfunc_end595-_ZN7rocprim17ROCPRIM_400000_NS6detail17trampoline_kernelINS0_14default_configENS1_35radix_sort_onesweep_config_selectorIalEEZNS1_34radix_sort_onesweep_global_offsetsIS3_Lb0EPaN6thrust23THRUST_200600_302600_NS10device_ptrIlEEjNS0_19identity_decomposerEEE10hipError_tT1_T2_PT3_SG_jT4_jjP12ihipStream_tbEUlT_E0_NS1_11comp_targetILNS1_3genE4ELNS1_11target_archE910ELNS1_3gpuE8ELNS1_3repE0EEENS1_52radix_sort_onesweep_histogram_config_static_selectorELNS0_4arch9wavefront6targetE1EEEvSE_
                                        ; -- End function
	.section	.AMDGPU.csdata,"",@progbits
; Kernel info:
; codeLenInByte = 572
; NumSgprs: 18
; NumVgprs: 7
; NumAgprs: 0
; TotalNumVgprs: 7
; ScratchSize: 0
; MemoryBound: 0
; FloatMode: 240
; IeeeMode: 1
; LDSByteSize: 64 bytes/workgroup (compile time only)
; SGPRBlocks: 2
; VGPRBlocks: 0
; NumSGPRsForWavesPerEU: 18
; NumVGPRsForWavesPerEU: 7
; AccumOffset: 8
; Occupancy: 8
; WaveLimiterHint : 0
; COMPUTE_PGM_RSRC2:SCRATCH_EN: 0
; COMPUTE_PGM_RSRC2:USER_SGPR: 6
; COMPUTE_PGM_RSRC2:TRAP_HANDLER: 0
; COMPUTE_PGM_RSRC2:TGID_X_EN: 1
; COMPUTE_PGM_RSRC2:TGID_Y_EN: 0
; COMPUTE_PGM_RSRC2:TGID_Z_EN: 0
; COMPUTE_PGM_RSRC2:TIDIG_COMP_CNT: 0
; COMPUTE_PGM_RSRC3_GFX90A:ACCUM_OFFSET: 1
; COMPUTE_PGM_RSRC3_GFX90A:TG_SPLIT: 0
	.section	.text._ZN7rocprim17ROCPRIM_400000_NS6detail17trampoline_kernelINS0_14default_configENS1_35radix_sort_onesweep_config_selectorIalEEZNS1_34radix_sort_onesweep_global_offsetsIS3_Lb0EPaN6thrust23THRUST_200600_302600_NS10device_ptrIlEEjNS0_19identity_decomposerEEE10hipError_tT1_T2_PT3_SG_jT4_jjP12ihipStream_tbEUlT_E0_NS1_11comp_targetILNS1_3genE3ELNS1_11target_archE908ELNS1_3gpuE7ELNS1_3repE0EEENS1_52radix_sort_onesweep_histogram_config_static_selectorELNS0_4arch9wavefront6targetE1EEEvSE_,"axG",@progbits,_ZN7rocprim17ROCPRIM_400000_NS6detail17trampoline_kernelINS0_14default_configENS1_35radix_sort_onesweep_config_selectorIalEEZNS1_34radix_sort_onesweep_global_offsetsIS3_Lb0EPaN6thrust23THRUST_200600_302600_NS10device_ptrIlEEjNS0_19identity_decomposerEEE10hipError_tT1_T2_PT3_SG_jT4_jjP12ihipStream_tbEUlT_E0_NS1_11comp_targetILNS1_3genE3ELNS1_11target_archE908ELNS1_3gpuE7ELNS1_3repE0EEENS1_52radix_sort_onesweep_histogram_config_static_selectorELNS0_4arch9wavefront6targetE1EEEvSE_,comdat
	.protected	_ZN7rocprim17ROCPRIM_400000_NS6detail17trampoline_kernelINS0_14default_configENS1_35radix_sort_onesweep_config_selectorIalEEZNS1_34radix_sort_onesweep_global_offsetsIS3_Lb0EPaN6thrust23THRUST_200600_302600_NS10device_ptrIlEEjNS0_19identity_decomposerEEE10hipError_tT1_T2_PT3_SG_jT4_jjP12ihipStream_tbEUlT_E0_NS1_11comp_targetILNS1_3genE3ELNS1_11target_archE908ELNS1_3gpuE7ELNS1_3repE0EEENS1_52radix_sort_onesweep_histogram_config_static_selectorELNS0_4arch9wavefront6targetE1EEEvSE_ ; -- Begin function _ZN7rocprim17ROCPRIM_400000_NS6detail17trampoline_kernelINS0_14default_configENS1_35radix_sort_onesweep_config_selectorIalEEZNS1_34radix_sort_onesweep_global_offsetsIS3_Lb0EPaN6thrust23THRUST_200600_302600_NS10device_ptrIlEEjNS0_19identity_decomposerEEE10hipError_tT1_T2_PT3_SG_jT4_jjP12ihipStream_tbEUlT_E0_NS1_11comp_targetILNS1_3genE3ELNS1_11target_archE908ELNS1_3gpuE7ELNS1_3repE0EEENS1_52radix_sort_onesweep_histogram_config_static_selectorELNS0_4arch9wavefront6targetE1EEEvSE_
	.globl	_ZN7rocprim17ROCPRIM_400000_NS6detail17trampoline_kernelINS0_14default_configENS1_35radix_sort_onesweep_config_selectorIalEEZNS1_34radix_sort_onesweep_global_offsetsIS3_Lb0EPaN6thrust23THRUST_200600_302600_NS10device_ptrIlEEjNS0_19identity_decomposerEEE10hipError_tT1_T2_PT3_SG_jT4_jjP12ihipStream_tbEUlT_E0_NS1_11comp_targetILNS1_3genE3ELNS1_11target_archE908ELNS1_3gpuE7ELNS1_3repE0EEENS1_52radix_sort_onesweep_histogram_config_static_selectorELNS0_4arch9wavefront6targetE1EEEvSE_
	.p2align	8
	.type	_ZN7rocprim17ROCPRIM_400000_NS6detail17trampoline_kernelINS0_14default_configENS1_35radix_sort_onesweep_config_selectorIalEEZNS1_34radix_sort_onesweep_global_offsetsIS3_Lb0EPaN6thrust23THRUST_200600_302600_NS10device_ptrIlEEjNS0_19identity_decomposerEEE10hipError_tT1_T2_PT3_SG_jT4_jjP12ihipStream_tbEUlT_E0_NS1_11comp_targetILNS1_3genE3ELNS1_11target_archE908ELNS1_3gpuE7ELNS1_3repE0EEENS1_52radix_sort_onesweep_histogram_config_static_selectorELNS0_4arch9wavefront6targetE1EEEvSE_,@function
_ZN7rocprim17ROCPRIM_400000_NS6detail17trampoline_kernelINS0_14default_configENS1_35radix_sort_onesweep_config_selectorIalEEZNS1_34radix_sort_onesweep_global_offsetsIS3_Lb0EPaN6thrust23THRUST_200600_302600_NS10device_ptrIlEEjNS0_19identity_decomposerEEE10hipError_tT1_T2_PT3_SG_jT4_jjP12ihipStream_tbEUlT_E0_NS1_11comp_targetILNS1_3genE3ELNS1_11target_archE908ELNS1_3gpuE7ELNS1_3repE0EEENS1_52radix_sort_onesweep_histogram_config_static_selectorELNS0_4arch9wavefront6targetE1EEEvSE_: ; @_ZN7rocprim17ROCPRIM_400000_NS6detail17trampoline_kernelINS0_14default_configENS1_35radix_sort_onesweep_config_selectorIalEEZNS1_34radix_sort_onesweep_global_offsetsIS3_Lb0EPaN6thrust23THRUST_200600_302600_NS10device_ptrIlEEjNS0_19identity_decomposerEEE10hipError_tT1_T2_PT3_SG_jT4_jjP12ihipStream_tbEUlT_E0_NS1_11comp_targetILNS1_3genE3ELNS1_11target_archE908ELNS1_3gpuE7ELNS1_3repE0EEENS1_52radix_sort_onesweep_histogram_config_static_selectorELNS0_4arch9wavefront6targetE1EEEvSE_
; %bb.0:
	.section	.rodata,"a",@progbits
	.p2align	6, 0x0
	.amdhsa_kernel _ZN7rocprim17ROCPRIM_400000_NS6detail17trampoline_kernelINS0_14default_configENS1_35radix_sort_onesweep_config_selectorIalEEZNS1_34radix_sort_onesweep_global_offsetsIS3_Lb0EPaN6thrust23THRUST_200600_302600_NS10device_ptrIlEEjNS0_19identity_decomposerEEE10hipError_tT1_T2_PT3_SG_jT4_jjP12ihipStream_tbEUlT_E0_NS1_11comp_targetILNS1_3genE3ELNS1_11target_archE908ELNS1_3gpuE7ELNS1_3repE0EEENS1_52radix_sort_onesweep_histogram_config_static_selectorELNS0_4arch9wavefront6targetE1EEEvSE_
		.amdhsa_group_segment_fixed_size 0
		.amdhsa_private_segment_fixed_size 0
		.amdhsa_kernarg_size 8
		.amdhsa_user_sgpr_count 6
		.amdhsa_user_sgpr_private_segment_buffer 1
		.amdhsa_user_sgpr_dispatch_ptr 0
		.amdhsa_user_sgpr_queue_ptr 0
		.amdhsa_user_sgpr_kernarg_segment_ptr 1
		.amdhsa_user_sgpr_dispatch_id 0
		.amdhsa_user_sgpr_flat_scratch_init 0
		.amdhsa_user_sgpr_kernarg_preload_length 0
		.amdhsa_user_sgpr_kernarg_preload_offset 0
		.amdhsa_user_sgpr_private_segment_size 0
		.amdhsa_uses_dynamic_stack 0
		.amdhsa_system_sgpr_private_segment_wavefront_offset 0
		.amdhsa_system_sgpr_workgroup_id_x 1
		.amdhsa_system_sgpr_workgroup_id_y 0
		.amdhsa_system_sgpr_workgroup_id_z 0
		.amdhsa_system_sgpr_workgroup_info 0
		.amdhsa_system_vgpr_workitem_id 0
		.amdhsa_next_free_vgpr 1
		.amdhsa_next_free_sgpr 0
		.amdhsa_accum_offset 4
		.amdhsa_reserve_vcc 0
		.amdhsa_reserve_flat_scratch 0
		.amdhsa_float_round_mode_32 0
		.amdhsa_float_round_mode_16_64 0
		.amdhsa_float_denorm_mode_32 3
		.amdhsa_float_denorm_mode_16_64 3
		.amdhsa_dx10_clamp 1
		.amdhsa_ieee_mode 1
		.amdhsa_fp16_overflow 0
		.amdhsa_tg_split 0
		.amdhsa_exception_fp_ieee_invalid_op 0
		.amdhsa_exception_fp_denorm_src 0
		.amdhsa_exception_fp_ieee_div_zero 0
		.amdhsa_exception_fp_ieee_overflow 0
		.amdhsa_exception_fp_ieee_underflow 0
		.amdhsa_exception_fp_ieee_inexact 0
		.amdhsa_exception_int_div_zero 0
	.end_amdhsa_kernel
	.section	.text._ZN7rocprim17ROCPRIM_400000_NS6detail17trampoline_kernelINS0_14default_configENS1_35radix_sort_onesweep_config_selectorIalEEZNS1_34radix_sort_onesweep_global_offsetsIS3_Lb0EPaN6thrust23THRUST_200600_302600_NS10device_ptrIlEEjNS0_19identity_decomposerEEE10hipError_tT1_T2_PT3_SG_jT4_jjP12ihipStream_tbEUlT_E0_NS1_11comp_targetILNS1_3genE3ELNS1_11target_archE908ELNS1_3gpuE7ELNS1_3repE0EEENS1_52radix_sort_onesweep_histogram_config_static_selectorELNS0_4arch9wavefront6targetE1EEEvSE_,"axG",@progbits,_ZN7rocprim17ROCPRIM_400000_NS6detail17trampoline_kernelINS0_14default_configENS1_35radix_sort_onesweep_config_selectorIalEEZNS1_34radix_sort_onesweep_global_offsetsIS3_Lb0EPaN6thrust23THRUST_200600_302600_NS10device_ptrIlEEjNS0_19identity_decomposerEEE10hipError_tT1_T2_PT3_SG_jT4_jjP12ihipStream_tbEUlT_E0_NS1_11comp_targetILNS1_3genE3ELNS1_11target_archE908ELNS1_3gpuE7ELNS1_3repE0EEENS1_52radix_sort_onesweep_histogram_config_static_selectorELNS0_4arch9wavefront6targetE1EEEvSE_,comdat
.Lfunc_end596:
	.size	_ZN7rocprim17ROCPRIM_400000_NS6detail17trampoline_kernelINS0_14default_configENS1_35radix_sort_onesweep_config_selectorIalEEZNS1_34radix_sort_onesweep_global_offsetsIS3_Lb0EPaN6thrust23THRUST_200600_302600_NS10device_ptrIlEEjNS0_19identity_decomposerEEE10hipError_tT1_T2_PT3_SG_jT4_jjP12ihipStream_tbEUlT_E0_NS1_11comp_targetILNS1_3genE3ELNS1_11target_archE908ELNS1_3gpuE7ELNS1_3repE0EEENS1_52radix_sort_onesweep_histogram_config_static_selectorELNS0_4arch9wavefront6targetE1EEEvSE_, .Lfunc_end596-_ZN7rocprim17ROCPRIM_400000_NS6detail17trampoline_kernelINS0_14default_configENS1_35radix_sort_onesweep_config_selectorIalEEZNS1_34radix_sort_onesweep_global_offsetsIS3_Lb0EPaN6thrust23THRUST_200600_302600_NS10device_ptrIlEEjNS0_19identity_decomposerEEE10hipError_tT1_T2_PT3_SG_jT4_jjP12ihipStream_tbEUlT_E0_NS1_11comp_targetILNS1_3genE3ELNS1_11target_archE908ELNS1_3gpuE7ELNS1_3repE0EEENS1_52radix_sort_onesweep_histogram_config_static_selectorELNS0_4arch9wavefront6targetE1EEEvSE_
                                        ; -- End function
	.section	.AMDGPU.csdata,"",@progbits
; Kernel info:
; codeLenInByte = 0
; NumSgprs: 4
; NumVgprs: 0
; NumAgprs: 0
; TotalNumVgprs: 0
; ScratchSize: 0
; MemoryBound: 0
; FloatMode: 240
; IeeeMode: 1
; LDSByteSize: 0 bytes/workgroup (compile time only)
; SGPRBlocks: 0
; VGPRBlocks: 0
; NumSGPRsForWavesPerEU: 4
; NumVGPRsForWavesPerEU: 1
; AccumOffset: 4
; Occupancy: 8
; WaveLimiterHint : 0
; COMPUTE_PGM_RSRC2:SCRATCH_EN: 0
; COMPUTE_PGM_RSRC2:USER_SGPR: 6
; COMPUTE_PGM_RSRC2:TRAP_HANDLER: 0
; COMPUTE_PGM_RSRC2:TGID_X_EN: 1
; COMPUTE_PGM_RSRC2:TGID_Y_EN: 0
; COMPUTE_PGM_RSRC2:TGID_Z_EN: 0
; COMPUTE_PGM_RSRC2:TIDIG_COMP_CNT: 0
; COMPUTE_PGM_RSRC3_GFX90A:ACCUM_OFFSET: 0
; COMPUTE_PGM_RSRC3_GFX90A:TG_SPLIT: 0
	.section	.text._ZN7rocprim17ROCPRIM_400000_NS6detail17trampoline_kernelINS0_14default_configENS1_35radix_sort_onesweep_config_selectorIalEEZNS1_34radix_sort_onesweep_global_offsetsIS3_Lb0EPaN6thrust23THRUST_200600_302600_NS10device_ptrIlEEjNS0_19identity_decomposerEEE10hipError_tT1_T2_PT3_SG_jT4_jjP12ihipStream_tbEUlT_E0_NS1_11comp_targetILNS1_3genE10ELNS1_11target_archE1201ELNS1_3gpuE5ELNS1_3repE0EEENS1_52radix_sort_onesweep_histogram_config_static_selectorELNS0_4arch9wavefront6targetE1EEEvSE_,"axG",@progbits,_ZN7rocprim17ROCPRIM_400000_NS6detail17trampoline_kernelINS0_14default_configENS1_35radix_sort_onesweep_config_selectorIalEEZNS1_34radix_sort_onesweep_global_offsetsIS3_Lb0EPaN6thrust23THRUST_200600_302600_NS10device_ptrIlEEjNS0_19identity_decomposerEEE10hipError_tT1_T2_PT3_SG_jT4_jjP12ihipStream_tbEUlT_E0_NS1_11comp_targetILNS1_3genE10ELNS1_11target_archE1201ELNS1_3gpuE5ELNS1_3repE0EEENS1_52radix_sort_onesweep_histogram_config_static_selectorELNS0_4arch9wavefront6targetE1EEEvSE_,comdat
	.protected	_ZN7rocprim17ROCPRIM_400000_NS6detail17trampoline_kernelINS0_14default_configENS1_35radix_sort_onesweep_config_selectorIalEEZNS1_34radix_sort_onesweep_global_offsetsIS3_Lb0EPaN6thrust23THRUST_200600_302600_NS10device_ptrIlEEjNS0_19identity_decomposerEEE10hipError_tT1_T2_PT3_SG_jT4_jjP12ihipStream_tbEUlT_E0_NS1_11comp_targetILNS1_3genE10ELNS1_11target_archE1201ELNS1_3gpuE5ELNS1_3repE0EEENS1_52radix_sort_onesweep_histogram_config_static_selectorELNS0_4arch9wavefront6targetE1EEEvSE_ ; -- Begin function _ZN7rocprim17ROCPRIM_400000_NS6detail17trampoline_kernelINS0_14default_configENS1_35radix_sort_onesweep_config_selectorIalEEZNS1_34radix_sort_onesweep_global_offsetsIS3_Lb0EPaN6thrust23THRUST_200600_302600_NS10device_ptrIlEEjNS0_19identity_decomposerEEE10hipError_tT1_T2_PT3_SG_jT4_jjP12ihipStream_tbEUlT_E0_NS1_11comp_targetILNS1_3genE10ELNS1_11target_archE1201ELNS1_3gpuE5ELNS1_3repE0EEENS1_52radix_sort_onesweep_histogram_config_static_selectorELNS0_4arch9wavefront6targetE1EEEvSE_
	.globl	_ZN7rocprim17ROCPRIM_400000_NS6detail17trampoline_kernelINS0_14default_configENS1_35radix_sort_onesweep_config_selectorIalEEZNS1_34radix_sort_onesweep_global_offsetsIS3_Lb0EPaN6thrust23THRUST_200600_302600_NS10device_ptrIlEEjNS0_19identity_decomposerEEE10hipError_tT1_T2_PT3_SG_jT4_jjP12ihipStream_tbEUlT_E0_NS1_11comp_targetILNS1_3genE10ELNS1_11target_archE1201ELNS1_3gpuE5ELNS1_3repE0EEENS1_52radix_sort_onesweep_histogram_config_static_selectorELNS0_4arch9wavefront6targetE1EEEvSE_
	.p2align	8
	.type	_ZN7rocprim17ROCPRIM_400000_NS6detail17trampoline_kernelINS0_14default_configENS1_35radix_sort_onesweep_config_selectorIalEEZNS1_34radix_sort_onesweep_global_offsetsIS3_Lb0EPaN6thrust23THRUST_200600_302600_NS10device_ptrIlEEjNS0_19identity_decomposerEEE10hipError_tT1_T2_PT3_SG_jT4_jjP12ihipStream_tbEUlT_E0_NS1_11comp_targetILNS1_3genE10ELNS1_11target_archE1201ELNS1_3gpuE5ELNS1_3repE0EEENS1_52radix_sort_onesweep_histogram_config_static_selectorELNS0_4arch9wavefront6targetE1EEEvSE_,@function
_ZN7rocprim17ROCPRIM_400000_NS6detail17trampoline_kernelINS0_14default_configENS1_35radix_sort_onesweep_config_selectorIalEEZNS1_34radix_sort_onesweep_global_offsetsIS3_Lb0EPaN6thrust23THRUST_200600_302600_NS10device_ptrIlEEjNS0_19identity_decomposerEEE10hipError_tT1_T2_PT3_SG_jT4_jjP12ihipStream_tbEUlT_E0_NS1_11comp_targetILNS1_3genE10ELNS1_11target_archE1201ELNS1_3gpuE5ELNS1_3repE0EEENS1_52radix_sort_onesweep_histogram_config_static_selectorELNS0_4arch9wavefront6targetE1EEEvSE_: ; @_ZN7rocprim17ROCPRIM_400000_NS6detail17trampoline_kernelINS0_14default_configENS1_35radix_sort_onesweep_config_selectorIalEEZNS1_34radix_sort_onesweep_global_offsetsIS3_Lb0EPaN6thrust23THRUST_200600_302600_NS10device_ptrIlEEjNS0_19identity_decomposerEEE10hipError_tT1_T2_PT3_SG_jT4_jjP12ihipStream_tbEUlT_E0_NS1_11comp_targetILNS1_3genE10ELNS1_11target_archE1201ELNS1_3gpuE5ELNS1_3repE0EEENS1_52radix_sort_onesweep_histogram_config_static_selectorELNS0_4arch9wavefront6targetE1EEEvSE_
; %bb.0:
	.section	.rodata,"a",@progbits
	.p2align	6, 0x0
	.amdhsa_kernel _ZN7rocprim17ROCPRIM_400000_NS6detail17trampoline_kernelINS0_14default_configENS1_35radix_sort_onesweep_config_selectorIalEEZNS1_34radix_sort_onesweep_global_offsetsIS3_Lb0EPaN6thrust23THRUST_200600_302600_NS10device_ptrIlEEjNS0_19identity_decomposerEEE10hipError_tT1_T2_PT3_SG_jT4_jjP12ihipStream_tbEUlT_E0_NS1_11comp_targetILNS1_3genE10ELNS1_11target_archE1201ELNS1_3gpuE5ELNS1_3repE0EEENS1_52radix_sort_onesweep_histogram_config_static_selectorELNS0_4arch9wavefront6targetE1EEEvSE_
		.amdhsa_group_segment_fixed_size 0
		.amdhsa_private_segment_fixed_size 0
		.amdhsa_kernarg_size 8
		.amdhsa_user_sgpr_count 6
		.amdhsa_user_sgpr_private_segment_buffer 1
		.amdhsa_user_sgpr_dispatch_ptr 0
		.amdhsa_user_sgpr_queue_ptr 0
		.amdhsa_user_sgpr_kernarg_segment_ptr 1
		.amdhsa_user_sgpr_dispatch_id 0
		.amdhsa_user_sgpr_flat_scratch_init 0
		.amdhsa_user_sgpr_kernarg_preload_length 0
		.amdhsa_user_sgpr_kernarg_preload_offset 0
		.amdhsa_user_sgpr_private_segment_size 0
		.amdhsa_uses_dynamic_stack 0
		.amdhsa_system_sgpr_private_segment_wavefront_offset 0
		.amdhsa_system_sgpr_workgroup_id_x 1
		.amdhsa_system_sgpr_workgroup_id_y 0
		.amdhsa_system_sgpr_workgroup_id_z 0
		.amdhsa_system_sgpr_workgroup_info 0
		.amdhsa_system_vgpr_workitem_id 0
		.amdhsa_next_free_vgpr 1
		.amdhsa_next_free_sgpr 0
		.amdhsa_accum_offset 4
		.amdhsa_reserve_vcc 0
		.amdhsa_reserve_flat_scratch 0
		.amdhsa_float_round_mode_32 0
		.amdhsa_float_round_mode_16_64 0
		.amdhsa_float_denorm_mode_32 3
		.amdhsa_float_denorm_mode_16_64 3
		.amdhsa_dx10_clamp 1
		.amdhsa_ieee_mode 1
		.amdhsa_fp16_overflow 0
		.amdhsa_tg_split 0
		.amdhsa_exception_fp_ieee_invalid_op 0
		.amdhsa_exception_fp_denorm_src 0
		.amdhsa_exception_fp_ieee_div_zero 0
		.amdhsa_exception_fp_ieee_overflow 0
		.amdhsa_exception_fp_ieee_underflow 0
		.amdhsa_exception_fp_ieee_inexact 0
		.amdhsa_exception_int_div_zero 0
	.end_amdhsa_kernel
	.section	.text._ZN7rocprim17ROCPRIM_400000_NS6detail17trampoline_kernelINS0_14default_configENS1_35radix_sort_onesweep_config_selectorIalEEZNS1_34radix_sort_onesweep_global_offsetsIS3_Lb0EPaN6thrust23THRUST_200600_302600_NS10device_ptrIlEEjNS0_19identity_decomposerEEE10hipError_tT1_T2_PT3_SG_jT4_jjP12ihipStream_tbEUlT_E0_NS1_11comp_targetILNS1_3genE10ELNS1_11target_archE1201ELNS1_3gpuE5ELNS1_3repE0EEENS1_52radix_sort_onesweep_histogram_config_static_selectorELNS0_4arch9wavefront6targetE1EEEvSE_,"axG",@progbits,_ZN7rocprim17ROCPRIM_400000_NS6detail17trampoline_kernelINS0_14default_configENS1_35radix_sort_onesweep_config_selectorIalEEZNS1_34radix_sort_onesweep_global_offsetsIS3_Lb0EPaN6thrust23THRUST_200600_302600_NS10device_ptrIlEEjNS0_19identity_decomposerEEE10hipError_tT1_T2_PT3_SG_jT4_jjP12ihipStream_tbEUlT_E0_NS1_11comp_targetILNS1_3genE10ELNS1_11target_archE1201ELNS1_3gpuE5ELNS1_3repE0EEENS1_52radix_sort_onesweep_histogram_config_static_selectorELNS0_4arch9wavefront6targetE1EEEvSE_,comdat
.Lfunc_end597:
	.size	_ZN7rocprim17ROCPRIM_400000_NS6detail17trampoline_kernelINS0_14default_configENS1_35radix_sort_onesweep_config_selectorIalEEZNS1_34radix_sort_onesweep_global_offsetsIS3_Lb0EPaN6thrust23THRUST_200600_302600_NS10device_ptrIlEEjNS0_19identity_decomposerEEE10hipError_tT1_T2_PT3_SG_jT4_jjP12ihipStream_tbEUlT_E0_NS1_11comp_targetILNS1_3genE10ELNS1_11target_archE1201ELNS1_3gpuE5ELNS1_3repE0EEENS1_52radix_sort_onesweep_histogram_config_static_selectorELNS0_4arch9wavefront6targetE1EEEvSE_, .Lfunc_end597-_ZN7rocprim17ROCPRIM_400000_NS6detail17trampoline_kernelINS0_14default_configENS1_35radix_sort_onesweep_config_selectorIalEEZNS1_34radix_sort_onesweep_global_offsetsIS3_Lb0EPaN6thrust23THRUST_200600_302600_NS10device_ptrIlEEjNS0_19identity_decomposerEEE10hipError_tT1_T2_PT3_SG_jT4_jjP12ihipStream_tbEUlT_E0_NS1_11comp_targetILNS1_3genE10ELNS1_11target_archE1201ELNS1_3gpuE5ELNS1_3repE0EEENS1_52radix_sort_onesweep_histogram_config_static_selectorELNS0_4arch9wavefront6targetE1EEEvSE_
                                        ; -- End function
	.section	.AMDGPU.csdata,"",@progbits
; Kernel info:
; codeLenInByte = 0
; NumSgprs: 4
; NumVgprs: 0
; NumAgprs: 0
; TotalNumVgprs: 0
; ScratchSize: 0
; MemoryBound: 0
; FloatMode: 240
; IeeeMode: 1
; LDSByteSize: 0 bytes/workgroup (compile time only)
; SGPRBlocks: 0
; VGPRBlocks: 0
; NumSGPRsForWavesPerEU: 4
; NumVGPRsForWavesPerEU: 1
; AccumOffset: 4
; Occupancy: 8
; WaveLimiterHint : 0
; COMPUTE_PGM_RSRC2:SCRATCH_EN: 0
; COMPUTE_PGM_RSRC2:USER_SGPR: 6
; COMPUTE_PGM_RSRC2:TRAP_HANDLER: 0
; COMPUTE_PGM_RSRC2:TGID_X_EN: 1
; COMPUTE_PGM_RSRC2:TGID_Y_EN: 0
; COMPUTE_PGM_RSRC2:TGID_Z_EN: 0
; COMPUTE_PGM_RSRC2:TIDIG_COMP_CNT: 0
; COMPUTE_PGM_RSRC3_GFX90A:ACCUM_OFFSET: 0
; COMPUTE_PGM_RSRC3_GFX90A:TG_SPLIT: 0
	.section	.text._ZN7rocprim17ROCPRIM_400000_NS6detail17trampoline_kernelINS0_14default_configENS1_35radix_sort_onesweep_config_selectorIalEEZNS1_34radix_sort_onesweep_global_offsetsIS3_Lb0EPaN6thrust23THRUST_200600_302600_NS10device_ptrIlEEjNS0_19identity_decomposerEEE10hipError_tT1_T2_PT3_SG_jT4_jjP12ihipStream_tbEUlT_E0_NS1_11comp_targetILNS1_3genE9ELNS1_11target_archE1100ELNS1_3gpuE3ELNS1_3repE0EEENS1_52radix_sort_onesweep_histogram_config_static_selectorELNS0_4arch9wavefront6targetE1EEEvSE_,"axG",@progbits,_ZN7rocprim17ROCPRIM_400000_NS6detail17trampoline_kernelINS0_14default_configENS1_35radix_sort_onesweep_config_selectorIalEEZNS1_34radix_sort_onesweep_global_offsetsIS3_Lb0EPaN6thrust23THRUST_200600_302600_NS10device_ptrIlEEjNS0_19identity_decomposerEEE10hipError_tT1_T2_PT3_SG_jT4_jjP12ihipStream_tbEUlT_E0_NS1_11comp_targetILNS1_3genE9ELNS1_11target_archE1100ELNS1_3gpuE3ELNS1_3repE0EEENS1_52radix_sort_onesweep_histogram_config_static_selectorELNS0_4arch9wavefront6targetE1EEEvSE_,comdat
	.protected	_ZN7rocprim17ROCPRIM_400000_NS6detail17trampoline_kernelINS0_14default_configENS1_35radix_sort_onesweep_config_selectorIalEEZNS1_34radix_sort_onesweep_global_offsetsIS3_Lb0EPaN6thrust23THRUST_200600_302600_NS10device_ptrIlEEjNS0_19identity_decomposerEEE10hipError_tT1_T2_PT3_SG_jT4_jjP12ihipStream_tbEUlT_E0_NS1_11comp_targetILNS1_3genE9ELNS1_11target_archE1100ELNS1_3gpuE3ELNS1_3repE0EEENS1_52radix_sort_onesweep_histogram_config_static_selectorELNS0_4arch9wavefront6targetE1EEEvSE_ ; -- Begin function _ZN7rocprim17ROCPRIM_400000_NS6detail17trampoline_kernelINS0_14default_configENS1_35radix_sort_onesweep_config_selectorIalEEZNS1_34radix_sort_onesweep_global_offsetsIS3_Lb0EPaN6thrust23THRUST_200600_302600_NS10device_ptrIlEEjNS0_19identity_decomposerEEE10hipError_tT1_T2_PT3_SG_jT4_jjP12ihipStream_tbEUlT_E0_NS1_11comp_targetILNS1_3genE9ELNS1_11target_archE1100ELNS1_3gpuE3ELNS1_3repE0EEENS1_52radix_sort_onesweep_histogram_config_static_selectorELNS0_4arch9wavefront6targetE1EEEvSE_
	.globl	_ZN7rocprim17ROCPRIM_400000_NS6detail17trampoline_kernelINS0_14default_configENS1_35radix_sort_onesweep_config_selectorIalEEZNS1_34radix_sort_onesweep_global_offsetsIS3_Lb0EPaN6thrust23THRUST_200600_302600_NS10device_ptrIlEEjNS0_19identity_decomposerEEE10hipError_tT1_T2_PT3_SG_jT4_jjP12ihipStream_tbEUlT_E0_NS1_11comp_targetILNS1_3genE9ELNS1_11target_archE1100ELNS1_3gpuE3ELNS1_3repE0EEENS1_52radix_sort_onesweep_histogram_config_static_selectorELNS0_4arch9wavefront6targetE1EEEvSE_
	.p2align	8
	.type	_ZN7rocprim17ROCPRIM_400000_NS6detail17trampoline_kernelINS0_14default_configENS1_35radix_sort_onesweep_config_selectorIalEEZNS1_34radix_sort_onesweep_global_offsetsIS3_Lb0EPaN6thrust23THRUST_200600_302600_NS10device_ptrIlEEjNS0_19identity_decomposerEEE10hipError_tT1_T2_PT3_SG_jT4_jjP12ihipStream_tbEUlT_E0_NS1_11comp_targetILNS1_3genE9ELNS1_11target_archE1100ELNS1_3gpuE3ELNS1_3repE0EEENS1_52radix_sort_onesweep_histogram_config_static_selectorELNS0_4arch9wavefront6targetE1EEEvSE_,@function
_ZN7rocprim17ROCPRIM_400000_NS6detail17trampoline_kernelINS0_14default_configENS1_35radix_sort_onesweep_config_selectorIalEEZNS1_34radix_sort_onesweep_global_offsetsIS3_Lb0EPaN6thrust23THRUST_200600_302600_NS10device_ptrIlEEjNS0_19identity_decomposerEEE10hipError_tT1_T2_PT3_SG_jT4_jjP12ihipStream_tbEUlT_E0_NS1_11comp_targetILNS1_3genE9ELNS1_11target_archE1100ELNS1_3gpuE3ELNS1_3repE0EEENS1_52radix_sort_onesweep_histogram_config_static_selectorELNS0_4arch9wavefront6targetE1EEEvSE_: ; @_ZN7rocprim17ROCPRIM_400000_NS6detail17trampoline_kernelINS0_14default_configENS1_35radix_sort_onesweep_config_selectorIalEEZNS1_34radix_sort_onesweep_global_offsetsIS3_Lb0EPaN6thrust23THRUST_200600_302600_NS10device_ptrIlEEjNS0_19identity_decomposerEEE10hipError_tT1_T2_PT3_SG_jT4_jjP12ihipStream_tbEUlT_E0_NS1_11comp_targetILNS1_3genE9ELNS1_11target_archE1100ELNS1_3gpuE3ELNS1_3repE0EEENS1_52radix_sort_onesweep_histogram_config_static_selectorELNS0_4arch9wavefront6targetE1EEEvSE_
; %bb.0:
	.section	.rodata,"a",@progbits
	.p2align	6, 0x0
	.amdhsa_kernel _ZN7rocprim17ROCPRIM_400000_NS6detail17trampoline_kernelINS0_14default_configENS1_35radix_sort_onesweep_config_selectorIalEEZNS1_34radix_sort_onesweep_global_offsetsIS3_Lb0EPaN6thrust23THRUST_200600_302600_NS10device_ptrIlEEjNS0_19identity_decomposerEEE10hipError_tT1_T2_PT3_SG_jT4_jjP12ihipStream_tbEUlT_E0_NS1_11comp_targetILNS1_3genE9ELNS1_11target_archE1100ELNS1_3gpuE3ELNS1_3repE0EEENS1_52radix_sort_onesweep_histogram_config_static_selectorELNS0_4arch9wavefront6targetE1EEEvSE_
		.amdhsa_group_segment_fixed_size 0
		.amdhsa_private_segment_fixed_size 0
		.amdhsa_kernarg_size 8
		.amdhsa_user_sgpr_count 6
		.amdhsa_user_sgpr_private_segment_buffer 1
		.amdhsa_user_sgpr_dispatch_ptr 0
		.amdhsa_user_sgpr_queue_ptr 0
		.amdhsa_user_sgpr_kernarg_segment_ptr 1
		.amdhsa_user_sgpr_dispatch_id 0
		.amdhsa_user_sgpr_flat_scratch_init 0
		.amdhsa_user_sgpr_kernarg_preload_length 0
		.amdhsa_user_sgpr_kernarg_preload_offset 0
		.amdhsa_user_sgpr_private_segment_size 0
		.amdhsa_uses_dynamic_stack 0
		.amdhsa_system_sgpr_private_segment_wavefront_offset 0
		.amdhsa_system_sgpr_workgroup_id_x 1
		.amdhsa_system_sgpr_workgroup_id_y 0
		.amdhsa_system_sgpr_workgroup_id_z 0
		.amdhsa_system_sgpr_workgroup_info 0
		.amdhsa_system_vgpr_workitem_id 0
		.amdhsa_next_free_vgpr 1
		.amdhsa_next_free_sgpr 0
		.amdhsa_accum_offset 4
		.amdhsa_reserve_vcc 0
		.amdhsa_reserve_flat_scratch 0
		.amdhsa_float_round_mode_32 0
		.amdhsa_float_round_mode_16_64 0
		.amdhsa_float_denorm_mode_32 3
		.amdhsa_float_denorm_mode_16_64 3
		.amdhsa_dx10_clamp 1
		.amdhsa_ieee_mode 1
		.amdhsa_fp16_overflow 0
		.amdhsa_tg_split 0
		.amdhsa_exception_fp_ieee_invalid_op 0
		.amdhsa_exception_fp_denorm_src 0
		.amdhsa_exception_fp_ieee_div_zero 0
		.amdhsa_exception_fp_ieee_overflow 0
		.amdhsa_exception_fp_ieee_underflow 0
		.amdhsa_exception_fp_ieee_inexact 0
		.amdhsa_exception_int_div_zero 0
	.end_amdhsa_kernel
	.section	.text._ZN7rocprim17ROCPRIM_400000_NS6detail17trampoline_kernelINS0_14default_configENS1_35radix_sort_onesweep_config_selectorIalEEZNS1_34radix_sort_onesweep_global_offsetsIS3_Lb0EPaN6thrust23THRUST_200600_302600_NS10device_ptrIlEEjNS0_19identity_decomposerEEE10hipError_tT1_T2_PT3_SG_jT4_jjP12ihipStream_tbEUlT_E0_NS1_11comp_targetILNS1_3genE9ELNS1_11target_archE1100ELNS1_3gpuE3ELNS1_3repE0EEENS1_52radix_sort_onesweep_histogram_config_static_selectorELNS0_4arch9wavefront6targetE1EEEvSE_,"axG",@progbits,_ZN7rocprim17ROCPRIM_400000_NS6detail17trampoline_kernelINS0_14default_configENS1_35radix_sort_onesweep_config_selectorIalEEZNS1_34radix_sort_onesweep_global_offsetsIS3_Lb0EPaN6thrust23THRUST_200600_302600_NS10device_ptrIlEEjNS0_19identity_decomposerEEE10hipError_tT1_T2_PT3_SG_jT4_jjP12ihipStream_tbEUlT_E0_NS1_11comp_targetILNS1_3genE9ELNS1_11target_archE1100ELNS1_3gpuE3ELNS1_3repE0EEENS1_52radix_sort_onesweep_histogram_config_static_selectorELNS0_4arch9wavefront6targetE1EEEvSE_,comdat
.Lfunc_end598:
	.size	_ZN7rocprim17ROCPRIM_400000_NS6detail17trampoline_kernelINS0_14default_configENS1_35radix_sort_onesweep_config_selectorIalEEZNS1_34radix_sort_onesweep_global_offsetsIS3_Lb0EPaN6thrust23THRUST_200600_302600_NS10device_ptrIlEEjNS0_19identity_decomposerEEE10hipError_tT1_T2_PT3_SG_jT4_jjP12ihipStream_tbEUlT_E0_NS1_11comp_targetILNS1_3genE9ELNS1_11target_archE1100ELNS1_3gpuE3ELNS1_3repE0EEENS1_52radix_sort_onesweep_histogram_config_static_selectorELNS0_4arch9wavefront6targetE1EEEvSE_, .Lfunc_end598-_ZN7rocprim17ROCPRIM_400000_NS6detail17trampoline_kernelINS0_14default_configENS1_35radix_sort_onesweep_config_selectorIalEEZNS1_34radix_sort_onesweep_global_offsetsIS3_Lb0EPaN6thrust23THRUST_200600_302600_NS10device_ptrIlEEjNS0_19identity_decomposerEEE10hipError_tT1_T2_PT3_SG_jT4_jjP12ihipStream_tbEUlT_E0_NS1_11comp_targetILNS1_3genE9ELNS1_11target_archE1100ELNS1_3gpuE3ELNS1_3repE0EEENS1_52radix_sort_onesweep_histogram_config_static_selectorELNS0_4arch9wavefront6targetE1EEEvSE_
                                        ; -- End function
	.section	.AMDGPU.csdata,"",@progbits
; Kernel info:
; codeLenInByte = 0
; NumSgprs: 4
; NumVgprs: 0
; NumAgprs: 0
; TotalNumVgprs: 0
; ScratchSize: 0
; MemoryBound: 0
; FloatMode: 240
; IeeeMode: 1
; LDSByteSize: 0 bytes/workgroup (compile time only)
; SGPRBlocks: 0
; VGPRBlocks: 0
; NumSGPRsForWavesPerEU: 4
; NumVGPRsForWavesPerEU: 1
; AccumOffset: 4
; Occupancy: 8
; WaveLimiterHint : 0
; COMPUTE_PGM_RSRC2:SCRATCH_EN: 0
; COMPUTE_PGM_RSRC2:USER_SGPR: 6
; COMPUTE_PGM_RSRC2:TRAP_HANDLER: 0
; COMPUTE_PGM_RSRC2:TGID_X_EN: 1
; COMPUTE_PGM_RSRC2:TGID_Y_EN: 0
; COMPUTE_PGM_RSRC2:TGID_Z_EN: 0
; COMPUTE_PGM_RSRC2:TIDIG_COMP_CNT: 0
; COMPUTE_PGM_RSRC3_GFX90A:ACCUM_OFFSET: 0
; COMPUTE_PGM_RSRC3_GFX90A:TG_SPLIT: 0
	.section	.text._ZN7rocprim17ROCPRIM_400000_NS6detail17trampoline_kernelINS0_14default_configENS1_35radix_sort_onesweep_config_selectorIalEEZNS1_34radix_sort_onesweep_global_offsetsIS3_Lb0EPaN6thrust23THRUST_200600_302600_NS10device_ptrIlEEjNS0_19identity_decomposerEEE10hipError_tT1_T2_PT3_SG_jT4_jjP12ihipStream_tbEUlT_E0_NS1_11comp_targetILNS1_3genE8ELNS1_11target_archE1030ELNS1_3gpuE2ELNS1_3repE0EEENS1_52radix_sort_onesweep_histogram_config_static_selectorELNS0_4arch9wavefront6targetE1EEEvSE_,"axG",@progbits,_ZN7rocprim17ROCPRIM_400000_NS6detail17trampoline_kernelINS0_14default_configENS1_35radix_sort_onesweep_config_selectorIalEEZNS1_34radix_sort_onesweep_global_offsetsIS3_Lb0EPaN6thrust23THRUST_200600_302600_NS10device_ptrIlEEjNS0_19identity_decomposerEEE10hipError_tT1_T2_PT3_SG_jT4_jjP12ihipStream_tbEUlT_E0_NS1_11comp_targetILNS1_3genE8ELNS1_11target_archE1030ELNS1_3gpuE2ELNS1_3repE0EEENS1_52radix_sort_onesweep_histogram_config_static_selectorELNS0_4arch9wavefront6targetE1EEEvSE_,comdat
	.protected	_ZN7rocprim17ROCPRIM_400000_NS6detail17trampoline_kernelINS0_14default_configENS1_35radix_sort_onesweep_config_selectorIalEEZNS1_34radix_sort_onesweep_global_offsetsIS3_Lb0EPaN6thrust23THRUST_200600_302600_NS10device_ptrIlEEjNS0_19identity_decomposerEEE10hipError_tT1_T2_PT3_SG_jT4_jjP12ihipStream_tbEUlT_E0_NS1_11comp_targetILNS1_3genE8ELNS1_11target_archE1030ELNS1_3gpuE2ELNS1_3repE0EEENS1_52radix_sort_onesweep_histogram_config_static_selectorELNS0_4arch9wavefront6targetE1EEEvSE_ ; -- Begin function _ZN7rocprim17ROCPRIM_400000_NS6detail17trampoline_kernelINS0_14default_configENS1_35radix_sort_onesweep_config_selectorIalEEZNS1_34radix_sort_onesweep_global_offsetsIS3_Lb0EPaN6thrust23THRUST_200600_302600_NS10device_ptrIlEEjNS0_19identity_decomposerEEE10hipError_tT1_T2_PT3_SG_jT4_jjP12ihipStream_tbEUlT_E0_NS1_11comp_targetILNS1_3genE8ELNS1_11target_archE1030ELNS1_3gpuE2ELNS1_3repE0EEENS1_52radix_sort_onesweep_histogram_config_static_selectorELNS0_4arch9wavefront6targetE1EEEvSE_
	.globl	_ZN7rocprim17ROCPRIM_400000_NS6detail17trampoline_kernelINS0_14default_configENS1_35radix_sort_onesweep_config_selectorIalEEZNS1_34radix_sort_onesweep_global_offsetsIS3_Lb0EPaN6thrust23THRUST_200600_302600_NS10device_ptrIlEEjNS0_19identity_decomposerEEE10hipError_tT1_T2_PT3_SG_jT4_jjP12ihipStream_tbEUlT_E0_NS1_11comp_targetILNS1_3genE8ELNS1_11target_archE1030ELNS1_3gpuE2ELNS1_3repE0EEENS1_52radix_sort_onesweep_histogram_config_static_selectorELNS0_4arch9wavefront6targetE1EEEvSE_
	.p2align	8
	.type	_ZN7rocprim17ROCPRIM_400000_NS6detail17trampoline_kernelINS0_14default_configENS1_35radix_sort_onesweep_config_selectorIalEEZNS1_34radix_sort_onesweep_global_offsetsIS3_Lb0EPaN6thrust23THRUST_200600_302600_NS10device_ptrIlEEjNS0_19identity_decomposerEEE10hipError_tT1_T2_PT3_SG_jT4_jjP12ihipStream_tbEUlT_E0_NS1_11comp_targetILNS1_3genE8ELNS1_11target_archE1030ELNS1_3gpuE2ELNS1_3repE0EEENS1_52radix_sort_onesweep_histogram_config_static_selectorELNS0_4arch9wavefront6targetE1EEEvSE_,@function
_ZN7rocprim17ROCPRIM_400000_NS6detail17trampoline_kernelINS0_14default_configENS1_35radix_sort_onesweep_config_selectorIalEEZNS1_34radix_sort_onesweep_global_offsetsIS3_Lb0EPaN6thrust23THRUST_200600_302600_NS10device_ptrIlEEjNS0_19identity_decomposerEEE10hipError_tT1_T2_PT3_SG_jT4_jjP12ihipStream_tbEUlT_E0_NS1_11comp_targetILNS1_3genE8ELNS1_11target_archE1030ELNS1_3gpuE2ELNS1_3repE0EEENS1_52radix_sort_onesweep_histogram_config_static_selectorELNS0_4arch9wavefront6targetE1EEEvSE_: ; @_ZN7rocprim17ROCPRIM_400000_NS6detail17trampoline_kernelINS0_14default_configENS1_35radix_sort_onesweep_config_selectorIalEEZNS1_34radix_sort_onesweep_global_offsetsIS3_Lb0EPaN6thrust23THRUST_200600_302600_NS10device_ptrIlEEjNS0_19identity_decomposerEEE10hipError_tT1_T2_PT3_SG_jT4_jjP12ihipStream_tbEUlT_E0_NS1_11comp_targetILNS1_3genE8ELNS1_11target_archE1030ELNS1_3gpuE2ELNS1_3repE0EEENS1_52radix_sort_onesweep_histogram_config_static_selectorELNS0_4arch9wavefront6targetE1EEEvSE_
; %bb.0:
	.section	.rodata,"a",@progbits
	.p2align	6, 0x0
	.amdhsa_kernel _ZN7rocprim17ROCPRIM_400000_NS6detail17trampoline_kernelINS0_14default_configENS1_35radix_sort_onesweep_config_selectorIalEEZNS1_34radix_sort_onesweep_global_offsetsIS3_Lb0EPaN6thrust23THRUST_200600_302600_NS10device_ptrIlEEjNS0_19identity_decomposerEEE10hipError_tT1_T2_PT3_SG_jT4_jjP12ihipStream_tbEUlT_E0_NS1_11comp_targetILNS1_3genE8ELNS1_11target_archE1030ELNS1_3gpuE2ELNS1_3repE0EEENS1_52radix_sort_onesweep_histogram_config_static_selectorELNS0_4arch9wavefront6targetE1EEEvSE_
		.amdhsa_group_segment_fixed_size 0
		.amdhsa_private_segment_fixed_size 0
		.amdhsa_kernarg_size 8
		.amdhsa_user_sgpr_count 6
		.amdhsa_user_sgpr_private_segment_buffer 1
		.amdhsa_user_sgpr_dispatch_ptr 0
		.amdhsa_user_sgpr_queue_ptr 0
		.amdhsa_user_sgpr_kernarg_segment_ptr 1
		.amdhsa_user_sgpr_dispatch_id 0
		.amdhsa_user_sgpr_flat_scratch_init 0
		.amdhsa_user_sgpr_kernarg_preload_length 0
		.amdhsa_user_sgpr_kernarg_preload_offset 0
		.amdhsa_user_sgpr_private_segment_size 0
		.amdhsa_uses_dynamic_stack 0
		.amdhsa_system_sgpr_private_segment_wavefront_offset 0
		.amdhsa_system_sgpr_workgroup_id_x 1
		.amdhsa_system_sgpr_workgroup_id_y 0
		.amdhsa_system_sgpr_workgroup_id_z 0
		.amdhsa_system_sgpr_workgroup_info 0
		.amdhsa_system_vgpr_workitem_id 0
		.amdhsa_next_free_vgpr 1
		.amdhsa_next_free_sgpr 0
		.amdhsa_accum_offset 4
		.amdhsa_reserve_vcc 0
		.amdhsa_reserve_flat_scratch 0
		.amdhsa_float_round_mode_32 0
		.amdhsa_float_round_mode_16_64 0
		.amdhsa_float_denorm_mode_32 3
		.amdhsa_float_denorm_mode_16_64 3
		.amdhsa_dx10_clamp 1
		.amdhsa_ieee_mode 1
		.amdhsa_fp16_overflow 0
		.amdhsa_tg_split 0
		.amdhsa_exception_fp_ieee_invalid_op 0
		.amdhsa_exception_fp_denorm_src 0
		.amdhsa_exception_fp_ieee_div_zero 0
		.amdhsa_exception_fp_ieee_overflow 0
		.amdhsa_exception_fp_ieee_underflow 0
		.amdhsa_exception_fp_ieee_inexact 0
		.amdhsa_exception_int_div_zero 0
	.end_amdhsa_kernel
	.section	.text._ZN7rocprim17ROCPRIM_400000_NS6detail17trampoline_kernelINS0_14default_configENS1_35radix_sort_onesweep_config_selectorIalEEZNS1_34radix_sort_onesweep_global_offsetsIS3_Lb0EPaN6thrust23THRUST_200600_302600_NS10device_ptrIlEEjNS0_19identity_decomposerEEE10hipError_tT1_T2_PT3_SG_jT4_jjP12ihipStream_tbEUlT_E0_NS1_11comp_targetILNS1_3genE8ELNS1_11target_archE1030ELNS1_3gpuE2ELNS1_3repE0EEENS1_52radix_sort_onesweep_histogram_config_static_selectorELNS0_4arch9wavefront6targetE1EEEvSE_,"axG",@progbits,_ZN7rocprim17ROCPRIM_400000_NS6detail17trampoline_kernelINS0_14default_configENS1_35radix_sort_onesweep_config_selectorIalEEZNS1_34radix_sort_onesweep_global_offsetsIS3_Lb0EPaN6thrust23THRUST_200600_302600_NS10device_ptrIlEEjNS0_19identity_decomposerEEE10hipError_tT1_T2_PT3_SG_jT4_jjP12ihipStream_tbEUlT_E0_NS1_11comp_targetILNS1_3genE8ELNS1_11target_archE1030ELNS1_3gpuE2ELNS1_3repE0EEENS1_52radix_sort_onesweep_histogram_config_static_selectorELNS0_4arch9wavefront6targetE1EEEvSE_,comdat
.Lfunc_end599:
	.size	_ZN7rocprim17ROCPRIM_400000_NS6detail17trampoline_kernelINS0_14default_configENS1_35radix_sort_onesweep_config_selectorIalEEZNS1_34radix_sort_onesweep_global_offsetsIS3_Lb0EPaN6thrust23THRUST_200600_302600_NS10device_ptrIlEEjNS0_19identity_decomposerEEE10hipError_tT1_T2_PT3_SG_jT4_jjP12ihipStream_tbEUlT_E0_NS1_11comp_targetILNS1_3genE8ELNS1_11target_archE1030ELNS1_3gpuE2ELNS1_3repE0EEENS1_52radix_sort_onesweep_histogram_config_static_selectorELNS0_4arch9wavefront6targetE1EEEvSE_, .Lfunc_end599-_ZN7rocprim17ROCPRIM_400000_NS6detail17trampoline_kernelINS0_14default_configENS1_35radix_sort_onesweep_config_selectorIalEEZNS1_34radix_sort_onesweep_global_offsetsIS3_Lb0EPaN6thrust23THRUST_200600_302600_NS10device_ptrIlEEjNS0_19identity_decomposerEEE10hipError_tT1_T2_PT3_SG_jT4_jjP12ihipStream_tbEUlT_E0_NS1_11comp_targetILNS1_3genE8ELNS1_11target_archE1030ELNS1_3gpuE2ELNS1_3repE0EEENS1_52radix_sort_onesweep_histogram_config_static_selectorELNS0_4arch9wavefront6targetE1EEEvSE_
                                        ; -- End function
	.section	.AMDGPU.csdata,"",@progbits
; Kernel info:
; codeLenInByte = 0
; NumSgprs: 4
; NumVgprs: 0
; NumAgprs: 0
; TotalNumVgprs: 0
; ScratchSize: 0
; MemoryBound: 0
; FloatMode: 240
; IeeeMode: 1
; LDSByteSize: 0 bytes/workgroup (compile time only)
; SGPRBlocks: 0
; VGPRBlocks: 0
; NumSGPRsForWavesPerEU: 4
; NumVGPRsForWavesPerEU: 1
; AccumOffset: 4
; Occupancy: 8
; WaveLimiterHint : 0
; COMPUTE_PGM_RSRC2:SCRATCH_EN: 0
; COMPUTE_PGM_RSRC2:USER_SGPR: 6
; COMPUTE_PGM_RSRC2:TRAP_HANDLER: 0
; COMPUTE_PGM_RSRC2:TGID_X_EN: 1
; COMPUTE_PGM_RSRC2:TGID_Y_EN: 0
; COMPUTE_PGM_RSRC2:TGID_Z_EN: 0
; COMPUTE_PGM_RSRC2:TIDIG_COMP_CNT: 0
; COMPUTE_PGM_RSRC3_GFX90A:ACCUM_OFFSET: 0
; COMPUTE_PGM_RSRC3_GFX90A:TG_SPLIT: 0
	.section	.text._ZN7rocprim17ROCPRIM_400000_NS6detail17trampoline_kernelINS0_14default_configENS1_35radix_sort_onesweep_config_selectorIalEEZZNS1_29radix_sort_onesweep_iterationIS3_Lb0EPaS7_N6thrust23THRUST_200600_302600_NS10device_ptrIlEESB_jNS0_19identity_decomposerENS1_16block_id_wrapperIjLb1EEEEE10hipError_tT1_PNSt15iterator_traitsISG_E10value_typeET2_T3_PNSH_ISM_E10value_typeET4_T5_PSR_SS_PNS1_23onesweep_lookback_stateEbbT6_jjT7_P12ihipStream_tbENKUlT_T0_SG_SL_E_clIS7_S7_SB_SB_EEDaSZ_S10_SG_SL_EUlSZ_E_NS1_11comp_targetILNS1_3genE0ELNS1_11target_archE4294967295ELNS1_3gpuE0ELNS1_3repE0EEENS1_47radix_sort_onesweep_sort_config_static_selectorELNS0_4arch9wavefront6targetE1EEEvSG_,"axG",@progbits,_ZN7rocprim17ROCPRIM_400000_NS6detail17trampoline_kernelINS0_14default_configENS1_35radix_sort_onesweep_config_selectorIalEEZZNS1_29radix_sort_onesweep_iterationIS3_Lb0EPaS7_N6thrust23THRUST_200600_302600_NS10device_ptrIlEESB_jNS0_19identity_decomposerENS1_16block_id_wrapperIjLb1EEEEE10hipError_tT1_PNSt15iterator_traitsISG_E10value_typeET2_T3_PNSH_ISM_E10value_typeET4_T5_PSR_SS_PNS1_23onesweep_lookback_stateEbbT6_jjT7_P12ihipStream_tbENKUlT_T0_SG_SL_E_clIS7_S7_SB_SB_EEDaSZ_S10_SG_SL_EUlSZ_E_NS1_11comp_targetILNS1_3genE0ELNS1_11target_archE4294967295ELNS1_3gpuE0ELNS1_3repE0EEENS1_47radix_sort_onesweep_sort_config_static_selectorELNS0_4arch9wavefront6targetE1EEEvSG_,comdat
	.protected	_ZN7rocprim17ROCPRIM_400000_NS6detail17trampoline_kernelINS0_14default_configENS1_35radix_sort_onesweep_config_selectorIalEEZZNS1_29radix_sort_onesweep_iterationIS3_Lb0EPaS7_N6thrust23THRUST_200600_302600_NS10device_ptrIlEESB_jNS0_19identity_decomposerENS1_16block_id_wrapperIjLb1EEEEE10hipError_tT1_PNSt15iterator_traitsISG_E10value_typeET2_T3_PNSH_ISM_E10value_typeET4_T5_PSR_SS_PNS1_23onesweep_lookback_stateEbbT6_jjT7_P12ihipStream_tbENKUlT_T0_SG_SL_E_clIS7_S7_SB_SB_EEDaSZ_S10_SG_SL_EUlSZ_E_NS1_11comp_targetILNS1_3genE0ELNS1_11target_archE4294967295ELNS1_3gpuE0ELNS1_3repE0EEENS1_47radix_sort_onesweep_sort_config_static_selectorELNS0_4arch9wavefront6targetE1EEEvSG_ ; -- Begin function _ZN7rocprim17ROCPRIM_400000_NS6detail17trampoline_kernelINS0_14default_configENS1_35radix_sort_onesweep_config_selectorIalEEZZNS1_29radix_sort_onesweep_iterationIS3_Lb0EPaS7_N6thrust23THRUST_200600_302600_NS10device_ptrIlEESB_jNS0_19identity_decomposerENS1_16block_id_wrapperIjLb1EEEEE10hipError_tT1_PNSt15iterator_traitsISG_E10value_typeET2_T3_PNSH_ISM_E10value_typeET4_T5_PSR_SS_PNS1_23onesweep_lookback_stateEbbT6_jjT7_P12ihipStream_tbENKUlT_T0_SG_SL_E_clIS7_S7_SB_SB_EEDaSZ_S10_SG_SL_EUlSZ_E_NS1_11comp_targetILNS1_3genE0ELNS1_11target_archE4294967295ELNS1_3gpuE0ELNS1_3repE0EEENS1_47radix_sort_onesweep_sort_config_static_selectorELNS0_4arch9wavefront6targetE1EEEvSG_
	.globl	_ZN7rocprim17ROCPRIM_400000_NS6detail17trampoline_kernelINS0_14default_configENS1_35radix_sort_onesweep_config_selectorIalEEZZNS1_29radix_sort_onesweep_iterationIS3_Lb0EPaS7_N6thrust23THRUST_200600_302600_NS10device_ptrIlEESB_jNS0_19identity_decomposerENS1_16block_id_wrapperIjLb1EEEEE10hipError_tT1_PNSt15iterator_traitsISG_E10value_typeET2_T3_PNSH_ISM_E10value_typeET4_T5_PSR_SS_PNS1_23onesweep_lookback_stateEbbT6_jjT7_P12ihipStream_tbENKUlT_T0_SG_SL_E_clIS7_S7_SB_SB_EEDaSZ_S10_SG_SL_EUlSZ_E_NS1_11comp_targetILNS1_3genE0ELNS1_11target_archE4294967295ELNS1_3gpuE0ELNS1_3repE0EEENS1_47radix_sort_onesweep_sort_config_static_selectorELNS0_4arch9wavefront6targetE1EEEvSG_
	.p2align	8
	.type	_ZN7rocprim17ROCPRIM_400000_NS6detail17trampoline_kernelINS0_14default_configENS1_35radix_sort_onesweep_config_selectorIalEEZZNS1_29radix_sort_onesweep_iterationIS3_Lb0EPaS7_N6thrust23THRUST_200600_302600_NS10device_ptrIlEESB_jNS0_19identity_decomposerENS1_16block_id_wrapperIjLb1EEEEE10hipError_tT1_PNSt15iterator_traitsISG_E10value_typeET2_T3_PNSH_ISM_E10value_typeET4_T5_PSR_SS_PNS1_23onesweep_lookback_stateEbbT6_jjT7_P12ihipStream_tbENKUlT_T0_SG_SL_E_clIS7_S7_SB_SB_EEDaSZ_S10_SG_SL_EUlSZ_E_NS1_11comp_targetILNS1_3genE0ELNS1_11target_archE4294967295ELNS1_3gpuE0ELNS1_3repE0EEENS1_47radix_sort_onesweep_sort_config_static_selectorELNS0_4arch9wavefront6targetE1EEEvSG_,@function
_ZN7rocprim17ROCPRIM_400000_NS6detail17trampoline_kernelINS0_14default_configENS1_35radix_sort_onesweep_config_selectorIalEEZZNS1_29radix_sort_onesweep_iterationIS3_Lb0EPaS7_N6thrust23THRUST_200600_302600_NS10device_ptrIlEESB_jNS0_19identity_decomposerENS1_16block_id_wrapperIjLb1EEEEE10hipError_tT1_PNSt15iterator_traitsISG_E10value_typeET2_T3_PNSH_ISM_E10value_typeET4_T5_PSR_SS_PNS1_23onesweep_lookback_stateEbbT6_jjT7_P12ihipStream_tbENKUlT_T0_SG_SL_E_clIS7_S7_SB_SB_EEDaSZ_S10_SG_SL_EUlSZ_E_NS1_11comp_targetILNS1_3genE0ELNS1_11target_archE4294967295ELNS1_3gpuE0ELNS1_3repE0EEENS1_47radix_sort_onesweep_sort_config_static_selectorELNS0_4arch9wavefront6targetE1EEEvSG_: ; @_ZN7rocprim17ROCPRIM_400000_NS6detail17trampoline_kernelINS0_14default_configENS1_35radix_sort_onesweep_config_selectorIalEEZZNS1_29radix_sort_onesweep_iterationIS3_Lb0EPaS7_N6thrust23THRUST_200600_302600_NS10device_ptrIlEESB_jNS0_19identity_decomposerENS1_16block_id_wrapperIjLb1EEEEE10hipError_tT1_PNSt15iterator_traitsISG_E10value_typeET2_T3_PNSH_ISM_E10value_typeET4_T5_PSR_SS_PNS1_23onesweep_lookback_stateEbbT6_jjT7_P12ihipStream_tbENKUlT_T0_SG_SL_E_clIS7_S7_SB_SB_EEDaSZ_S10_SG_SL_EUlSZ_E_NS1_11comp_targetILNS1_3genE0ELNS1_11target_archE4294967295ELNS1_3gpuE0ELNS1_3repE0EEENS1_47radix_sort_onesweep_sort_config_static_selectorELNS0_4arch9wavefront6targetE1EEEvSG_
; %bb.0:
	.section	.rodata,"a",@progbits
	.p2align	6, 0x0
	.amdhsa_kernel _ZN7rocprim17ROCPRIM_400000_NS6detail17trampoline_kernelINS0_14default_configENS1_35radix_sort_onesweep_config_selectorIalEEZZNS1_29radix_sort_onesweep_iterationIS3_Lb0EPaS7_N6thrust23THRUST_200600_302600_NS10device_ptrIlEESB_jNS0_19identity_decomposerENS1_16block_id_wrapperIjLb1EEEEE10hipError_tT1_PNSt15iterator_traitsISG_E10value_typeET2_T3_PNSH_ISM_E10value_typeET4_T5_PSR_SS_PNS1_23onesweep_lookback_stateEbbT6_jjT7_P12ihipStream_tbENKUlT_T0_SG_SL_E_clIS7_S7_SB_SB_EEDaSZ_S10_SG_SL_EUlSZ_E_NS1_11comp_targetILNS1_3genE0ELNS1_11target_archE4294967295ELNS1_3gpuE0ELNS1_3repE0EEENS1_47radix_sort_onesweep_sort_config_static_selectorELNS0_4arch9wavefront6targetE1EEEvSG_
		.amdhsa_group_segment_fixed_size 0
		.amdhsa_private_segment_fixed_size 0
		.amdhsa_kernarg_size 88
		.amdhsa_user_sgpr_count 6
		.amdhsa_user_sgpr_private_segment_buffer 1
		.amdhsa_user_sgpr_dispatch_ptr 0
		.amdhsa_user_sgpr_queue_ptr 0
		.amdhsa_user_sgpr_kernarg_segment_ptr 1
		.amdhsa_user_sgpr_dispatch_id 0
		.amdhsa_user_sgpr_flat_scratch_init 0
		.amdhsa_user_sgpr_kernarg_preload_length 0
		.amdhsa_user_sgpr_kernarg_preload_offset 0
		.amdhsa_user_sgpr_private_segment_size 0
		.amdhsa_uses_dynamic_stack 0
		.amdhsa_system_sgpr_private_segment_wavefront_offset 0
		.amdhsa_system_sgpr_workgroup_id_x 1
		.amdhsa_system_sgpr_workgroup_id_y 0
		.amdhsa_system_sgpr_workgroup_id_z 0
		.amdhsa_system_sgpr_workgroup_info 0
		.amdhsa_system_vgpr_workitem_id 0
		.amdhsa_next_free_vgpr 1
		.amdhsa_next_free_sgpr 0
		.amdhsa_accum_offset 4
		.amdhsa_reserve_vcc 0
		.amdhsa_reserve_flat_scratch 0
		.amdhsa_float_round_mode_32 0
		.amdhsa_float_round_mode_16_64 0
		.amdhsa_float_denorm_mode_32 3
		.amdhsa_float_denorm_mode_16_64 3
		.amdhsa_dx10_clamp 1
		.amdhsa_ieee_mode 1
		.amdhsa_fp16_overflow 0
		.amdhsa_tg_split 0
		.amdhsa_exception_fp_ieee_invalid_op 0
		.amdhsa_exception_fp_denorm_src 0
		.amdhsa_exception_fp_ieee_div_zero 0
		.amdhsa_exception_fp_ieee_overflow 0
		.amdhsa_exception_fp_ieee_underflow 0
		.amdhsa_exception_fp_ieee_inexact 0
		.amdhsa_exception_int_div_zero 0
	.end_amdhsa_kernel
	.section	.text._ZN7rocprim17ROCPRIM_400000_NS6detail17trampoline_kernelINS0_14default_configENS1_35radix_sort_onesweep_config_selectorIalEEZZNS1_29radix_sort_onesweep_iterationIS3_Lb0EPaS7_N6thrust23THRUST_200600_302600_NS10device_ptrIlEESB_jNS0_19identity_decomposerENS1_16block_id_wrapperIjLb1EEEEE10hipError_tT1_PNSt15iterator_traitsISG_E10value_typeET2_T3_PNSH_ISM_E10value_typeET4_T5_PSR_SS_PNS1_23onesweep_lookback_stateEbbT6_jjT7_P12ihipStream_tbENKUlT_T0_SG_SL_E_clIS7_S7_SB_SB_EEDaSZ_S10_SG_SL_EUlSZ_E_NS1_11comp_targetILNS1_3genE0ELNS1_11target_archE4294967295ELNS1_3gpuE0ELNS1_3repE0EEENS1_47radix_sort_onesweep_sort_config_static_selectorELNS0_4arch9wavefront6targetE1EEEvSG_,"axG",@progbits,_ZN7rocprim17ROCPRIM_400000_NS6detail17trampoline_kernelINS0_14default_configENS1_35radix_sort_onesweep_config_selectorIalEEZZNS1_29radix_sort_onesweep_iterationIS3_Lb0EPaS7_N6thrust23THRUST_200600_302600_NS10device_ptrIlEESB_jNS0_19identity_decomposerENS1_16block_id_wrapperIjLb1EEEEE10hipError_tT1_PNSt15iterator_traitsISG_E10value_typeET2_T3_PNSH_ISM_E10value_typeET4_T5_PSR_SS_PNS1_23onesweep_lookback_stateEbbT6_jjT7_P12ihipStream_tbENKUlT_T0_SG_SL_E_clIS7_S7_SB_SB_EEDaSZ_S10_SG_SL_EUlSZ_E_NS1_11comp_targetILNS1_3genE0ELNS1_11target_archE4294967295ELNS1_3gpuE0ELNS1_3repE0EEENS1_47radix_sort_onesweep_sort_config_static_selectorELNS0_4arch9wavefront6targetE1EEEvSG_,comdat
.Lfunc_end600:
	.size	_ZN7rocprim17ROCPRIM_400000_NS6detail17trampoline_kernelINS0_14default_configENS1_35radix_sort_onesweep_config_selectorIalEEZZNS1_29radix_sort_onesweep_iterationIS3_Lb0EPaS7_N6thrust23THRUST_200600_302600_NS10device_ptrIlEESB_jNS0_19identity_decomposerENS1_16block_id_wrapperIjLb1EEEEE10hipError_tT1_PNSt15iterator_traitsISG_E10value_typeET2_T3_PNSH_ISM_E10value_typeET4_T5_PSR_SS_PNS1_23onesweep_lookback_stateEbbT6_jjT7_P12ihipStream_tbENKUlT_T0_SG_SL_E_clIS7_S7_SB_SB_EEDaSZ_S10_SG_SL_EUlSZ_E_NS1_11comp_targetILNS1_3genE0ELNS1_11target_archE4294967295ELNS1_3gpuE0ELNS1_3repE0EEENS1_47radix_sort_onesweep_sort_config_static_selectorELNS0_4arch9wavefront6targetE1EEEvSG_, .Lfunc_end600-_ZN7rocprim17ROCPRIM_400000_NS6detail17trampoline_kernelINS0_14default_configENS1_35radix_sort_onesweep_config_selectorIalEEZZNS1_29radix_sort_onesweep_iterationIS3_Lb0EPaS7_N6thrust23THRUST_200600_302600_NS10device_ptrIlEESB_jNS0_19identity_decomposerENS1_16block_id_wrapperIjLb1EEEEE10hipError_tT1_PNSt15iterator_traitsISG_E10value_typeET2_T3_PNSH_ISM_E10value_typeET4_T5_PSR_SS_PNS1_23onesweep_lookback_stateEbbT6_jjT7_P12ihipStream_tbENKUlT_T0_SG_SL_E_clIS7_S7_SB_SB_EEDaSZ_S10_SG_SL_EUlSZ_E_NS1_11comp_targetILNS1_3genE0ELNS1_11target_archE4294967295ELNS1_3gpuE0ELNS1_3repE0EEENS1_47radix_sort_onesweep_sort_config_static_selectorELNS0_4arch9wavefront6targetE1EEEvSG_
                                        ; -- End function
	.section	.AMDGPU.csdata,"",@progbits
; Kernel info:
; codeLenInByte = 0
; NumSgprs: 4
; NumVgprs: 0
; NumAgprs: 0
; TotalNumVgprs: 0
; ScratchSize: 0
; MemoryBound: 0
; FloatMode: 240
; IeeeMode: 1
; LDSByteSize: 0 bytes/workgroup (compile time only)
; SGPRBlocks: 0
; VGPRBlocks: 0
; NumSGPRsForWavesPerEU: 4
; NumVGPRsForWavesPerEU: 1
; AccumOffset: 4
; Occupancy: 8
; WaveLimiterHint : 0
; COMPUTE_PGM_RSRC2:SCRATCH_EN: 0
; COMPUTE_PGM_RSRC2:USER_SGPR: 6
; COMPUTE_PGM_RSRC2:TRAP_HANDLER: 0
; COMPUTE_PGM_RSRC2:TGID_X_EN: 1
; COMPUTE_PGM_RSRC2:TGID_Y_EN: 0
; COMPUTE_PGM_RSRC2:TGID_Z_EN: 0
; COMPUTE_PGM_RSRC2:TIDIG_COMP_CNT: 0
; COMPUTE_PGM_RSRC3_GFX90A:ACCUM_OFFSET: 0
; COMPUTE_PGM_RSRC3_GFX90A:TG_SPLIT: 0
	.section	.text._ZN7rocprim17ROCPRIM_400000_NS6detail17trampoline_kernelINS0_14default_configENS1_35radix_sort_onesweep_config_selectorIalEEZZNS1_29radix_sort_onesweep_iterationIS3_Lb0EPaS7_N6thrust23THRUST_200600_302600_NS10device_ptrIlEESB_jNS0_19identity_decomposerENS1_16block_id_wrapperIjLb1EEEEE10hipError_tT1_PNSt15iterator_traitsISG_E10value_typeET2_T3_PNSH_ISM_E10value_typeET4_T5_PSR_SS_PNS1_23onesweep_lookback_stateEbbT6_jjT7_P12ihipStream_tbENKUlT_T0_SG_SL_E_clIS7_S7_SB_SB_EEDaSZ_S10_SG_SL_EUlSZ_E_NS1_11comp_targetILNS1_3genE6ELNS1_11target_archE950ELNS1_3gpuE13ELNS1_3repE0EEENS1_47radix_sort_onesweep_sort_config_static_selectorELNS0_4arch9wavefront6targetE1EEEvSG_,"axG",@progbits,_ZN7rocprim17ROCPRIM_400000_NS6detail17trampoline_kernelINS0_14default_configENS1_35radix_sort_onesweep_config_selectorIalEEZZNS1_29radix_sort_onesweep_iterationIS3_Lb0EPaS7_N6thrust23THRUST_200600_302600_NS10device_ptrIlEESB_jNS0_19identity_decomposerENS1_16block_id_wrapperIjLb1EEEEE10hipError_tT1_PNSt15iterator_traitsISG_E10value_typeET2_T3_PNSH_ISM_E10value_typeET4_T5_PSR_SS_PNS1_23onesweep_lookback_stateEbbT6_jjT7_P12ihipStream_tbENKUlT_T0_SG_SL_E_clIS7_S7_SB_SB_EEDaSZ_S10_SG_SL_EUlSZ_E_NS1_11comp_targetILNS1_3genE6ELNS1_11target_archE950ELNS1_3gpuE13ELNS1_3repE0EEENS1_47radix_sort_onesweep_sort_config_static_selectorELNS0_4arch9wavefront6targetE1EEEvSG_,comdat
	.protected	_ZN7rocprim17ROCPRIM_400000_NS6detail17trampoline_kernelINS0_14default_configENS1_35radix_sort_onesweep_config_selectorIalEEZZNS1_29radix_sort_onesweep_iterationIS3_Lb0EPaS7_N6thrust23THRUST_200600_302600_NS10device_ptrIlEESB_jNS0_19identity_decomposerENS1_16block_id_wrapperIjLb1EEEEE10hipError_tT1_PNSt15iterator_traitsISG_E10value_typeET2_T3_PNSH_ISM_E10value_typeET4_T5_PSR_SS_PNS1_23onesweep_lookback_stateEbbT6_jjT7_P12ihipStream_tbENKUlT_T0_SG_SL_E_clIS7_S7_SB_SB_EEDaSZ_S10_SG_SL_EUlSZ_E_NS1_11comp_targetILNS1_3genE6ELNS1_11target_archE950ELNS1_3gpuE13ELNS1_3repE0EEENS1_47radix_sort_onesweep_sort_config_static_selectorELNS0_4arch9wavefront6targetE1EEEvSG_ ; -- Begin function _ZN7rocprim17ROCPRIM_400000_NS6detail17trampoline_kernelINS0_14default_configENS1_35radix_sort_onesweep_config_selectorIalEEZZNS1_29radix_sort_onesweep_iterationIS3_Lb0EPaS7_N6thrust23THRUST_200600_302600_NS10device_ptrIlEESB_jNS0_19identity_decomposerENS1_16block_id_wrapperIjLb1EEEEE10hipError_tT1_PNSt15iterator_traitsISG_E10value_typeET2_T3_PNSH_ISM_E10value_typeET4_T5_PSR_SS_PNS1_23onesweep_lookback_stateEbbT6_jjT7_P12ihipStream_tbENKUlT_T0_SG_SL_E_clIS7_S7_SB_SB_EEDaSZ_S10_SG_SL_EUlSZ_E_NS1_11comp_targetILNS1_3genE6ELNS1_11target_archE950ELNS1_3gpuE13ELNS1_3repE0EEENS1_47radix_sort_onesweep_sort_config_static_selectorELNS0_4arch9wavefront6targetE1EEEvSG_
	.globl	_ZN7rocprim17ROCPRIM_400000_NS6detail17trampoline_kernelINS0_14default_configENS1_35radix_sort_onesweep_config_selectorIalEEZZNS1_29radix_sort_onesweep_iterationIS3_Lb0EPaS7_N6thrust23THRUST_200600_302600_NS10device_ptrIlEESB_jNS0_19identity_decomposerENS1_16block_id_wrapperIjLb1EEEEE10hipError_tT1_PNSt15iterator_traitsISG_E10value_typeET2_T3_PNSH_ISM_E10value_typeET4_T5_PSR_SS_PNS1_23onesweep_lookback_stateEbbT6_jjT7_P12ihipStream_tbENKUlT_T0_SG_SL_E_clIS7_S7_SB_SB_EEDaSZ_S10_SG_SL_EUlSZ_E_NS1_11comp_targetILNS1_3genE6ELNS1_11target_archE950ELNS1_3gpuE13ELNS1_3repE0EEENS1_47radix_sort_onesweep_sort_config_static_selectorELNS0_4arch9wavefront6targetE1EEEvSG_
	.p2align	8
	.type	_ZN7rocprim17ROCPRIM_400000_NS6detail17trampoline_kernelINS0_14default_configENS1_35radix_sort_onesweep_config_selectorIalEEZZNS1_29radix_sort_onesweep_iterationIS3_Lb0EPaS7_N6thrust23THRUST_200600_302600_NS10device_ptrIlEESB_jNS0_19identity_decomposerENS1_16block_id_wrapperIjLb1EEEEE10hipError_tT1_PNSt15iterator_traitsISG_E10value_typeET2_T3_PNSH_ISM_E10value_typeET4_T5_PSR_SS_PNS1_23onesweep_lookback_stateEbbT6_jjT7_P12ihipStream_tbENKUlT_T0_SG_SL_E_clIS7_S7_SB_SB_EEDaSZ_S10_SG_SL_EUlSZ_E_NS1_11comp_targetILNS1_3genE6ELNS1_11target_archE950ELNS1_3gpuE13ELNS1_3repE0EEENS1_47radix_sort_onesweep_sort_config_static_selectorELNS0_4arch9wavefront6targetE1EEEvSG_,@function
_ZN7rocprim17ROCPRIM_400000_NS6detail17trampoline_kernelINS0_14default_configENS1_35radix_sort_onesweep_config_selectorIalEEZZNS1_29radix_sort_onesweep_iterationIS3_Lb0EPaS7_N6thrust23THRUST_200600_302600_NS10device_ptrIlEESB_jNS0_19identity_decomposerENS1_16block_id_wrapperIjLb1EEEEE10hipError_tT1_PNSt15iterator_traitsISG_E10value_typeET2_T3_PNSH_ISM_E10value_typeET4_T5_PSR_SS_PNS1_23onesweep_lookback_stateEbbT6_jjT7_P12ihipStream_tbENKUlT_T0_SG_SL_E_clIS7_S7_SB_SB_EEDaSZ_S10_SG_SL_EUlSZ_E_NS1_11comp_targetILNS1_3genE6ELNS1_11target_archE950ELNS1_3gpuE13ELNS1_3repE0EEENS1_47radix_sort_onesweep_sort_config_static_selectorELNS0_4arch9wavefront6targetE1EEEvSG_: ; @_ZN7rocprim17ROCPRIM_400000_NS6detail17trampoline_kernelINS0_14default_configENS1_35radix_sort_onesweep_config_selectorIalEEZZNS1_29radix_sort_onesweep_iterationIS3_Lb0EPaS7_N6thrust23THRUST_200600_302600_NS10device_ptrIlEESB_jNS0_19identity_decomposerENS1_16block_id_wrapperIjLb1EEEEE10hipError_tT1_PNSt15iterator_traitsISG_E10value_typeET2_T3_PNSH_ISM_E10value_typeET4_T5_PSR_SS_PNS1_23onesweep_lookback_stateEbbT6_jjT7_P12ihipStream_tbENKUlT_T0_SG_SL_E_clIS7_S7_SB_SB_EEDaSZ_S10_SG_SL_EUlSZ_E_NS1_11comp_targetILNS1_3genE6ELNS1_11target_archE950ELNS1_3gpuE13ELNS1_3repE0EEENS1_47radix_sort_onesweep_sort_config_static_selectorELNS0_4arch9wavefront6targetE1EEEvSG_
; %bb.0:
	.section	.rodata,"a",@progbits
	.p2align	6, 0x0
	.amdhsa_kernel _ZN7rocprim17ROCPRIM_400000_NS6detail17trampoline_kernelINS0_14default_configENS1_35radix_sort_onesweep_config_selectorIalEEZZNS1_29radix_sort_onesweep_iterationIS3_Lb0EPaS7_N6thrust23THRUST_200600_302600_NS10device_ptrIlEESB_jNS0_19identity_decomposerENS1_16block_id_wrapperIjLb1EEEEE10hipError_tT1_PNSt15iterator_traitsISG_E10value_typeET2_T3_PNSH_ISM_E10value_typeET4_T5_PSR_SS_PNS1_23onesweep_lookback_stateEbbT6_jjT7_P12ihipStream_tbENKUlT_T0_SG_SL_E_clIS7_S7_SB_SB_EEDaSZ_S10_SG_SL_EUlSZ_E_NS1_11comp_targetILNS1_3genE6ELNS1_11target_archE950ELNS1_3gpuE13ELNS1_3repE0EEENS1_47radix_sort_onesweep_sort_config_static_selectorELNS0_4arch9wavefront6targetE1EEEvSG_
		.amdhsa_group_segment_fixed_size 0
		.amdhsa_private_segment_fixed_size 0
		.amdhsa_kernarg_size 88
		.amdhsa_user_sgpr_count 6
		.amdhsa_user_sgpr_private_segment_buffer 1
		.amdhsa_user_sgpr_dispatch_ptr 0
		.amdhsa_user_sgpr_queue_ptr 0
		.amdhsa_user_sgpr_kernarg_segment_ptr 1
		.amdhsa_user_sgpr_dispatch_id 0
		.amdhsa_user_sgpr_flat_scratch_init 0
		.amdhsa_user_sgpr_kernarg_preload_length 0
		.amdhsa_user_sgpr_kernarg_preload_offset 0
		.amdhsa_user_sgpr_private_segment_size 0
		.amdhsa_uses_dynamic_stack 0
		.amdhsa_system_sgpr_private_segment_wavefront_offset 0
		.amdhsa_system_sgpr_workgroup_id_x 1
		.amdhsa_system_sgpr_workgroup_id_y 0
		.amdhsa_system_sgpr_workgroup_id_z 0
		.amdhsa_system_sgpr_workgroup_info 0
		.amdhsa_system_vgpr_workitem_id 0
		.amdhsa_next_free_vgpr 1
		.amdhsa_next_free_sgpr 0
		.amdhsa_accum_offset 4
		.amdhsa_reserve_vcc 0
		.amdhsa_reserve_flat_scratch 0
		.amdhsa_float_round_mode_32 0
		.amdhsa_float_round_mode_16_64 0
		.amdhsa_float_denorm_mode_32 3
		.amdhsa_float_denorm_mode_16_64 3
		.amdhsa_dx10_clamp 1
		.amdhsa_ieee_mode 1
		.amdhsa_fp16_overflow 0
		.amdhsa_tg_split 0
		.amdhsa_exception_fp_ieee_invalid_op 0
		.amdhsa_exception_fp_denorm_src 0
		.amdhsa_exception_fp_ieee_div_zero 0
		.amdhsa_exception_fp_ieee_overflow 0
		.amdhsa_exception_fp_ieee_underflow 0
		.amdhsa_exception_fp_ieee_inexact 0
		.amdhsa_exception_int_div_zero 0
	.end_amdhsa_kernel
	.section	.text._ZN7rocprim17ROCPRIM_400000_NS6detail17trampoline_kernelINS0_14default_configENS1_35radix_sort_onesweep_config_selectorIalEEZZNS1_29radix_sort_onesweep_iterationIS3_Lb0EPaS7_N6thrust23THRUST_200600_302600_NS10device_ptrIlEESB_jNS0_19identity_decomposerENS1_16block_id_wrapperIjLb1EEEEE10hipError_tT1_PNSt15iterator_traitsISG_E10value_typeET2_T3_PNSH_ISM_E10value_typeET4_T5_PSR_SS_PNS1_23onesweep_lookback_stateEbbT6_jjT7_P12ihipStream_tbENKUlT_T0_SG_SL_E_clIS7_S7_SB_SB_EEDaSZ_S10_SG_SL_EUlSZ_E_NS1_11comp_targetILNS1_3genE6ELNS1_11target_archE950ELNS1_3gpuE13ELNS1_3repE0EEENS1_47radix_sort_onesweep_sort_config_static_selectorELNS0_4arch9wavefront6targetE1EEEvSG_,"axG",@progbits,_ZN7rocprim17ROCPRIM_400000_NS6detail17trampoline_kernelINS0_14default_configENS1_35radix_sort_onesweep_config_selectorIalEEZZNS1_29radix_sort_onesweep_iterationIS3_Lb0EPaS7_N6thrust23THRUST_200600_302600_NS10device_ptrIlEESB_jNS0_19identity_decomposerENS1_16block_id_wrapperIjLb1EEEEE10hipError_tT1_PNSt15iterator_traitsISG_E10value_typeET2_T3_PNSH_ISM_E10value_typeET4_T5_PSR_SS_PNS1_23onesweep_lookback_stateEbbT6_jjT7_P12ihipStream_tbENKUlT_T0_SG_SL_E_clIS7_S7_SB_SB_EEDaSZ_S10_SG_SL_EUlSZ_E_NS1_11comp_targetILNS1_3genE6ELNS1_11target_archE950ELNS1_3gpuE13ELNS1_3repE0EEENS1_47radix_sort_onesweep_sort_config_static_selectorELNS0_4arch9wavefront6targetE1EEEvSG_,comdat
.Lfunc_end601:
	.size	_ZN7rocprim17ROCPRIM_400000_NS6detail17trampoline_kernelINS0_14default_configENS1_35radix_sort_onesweep_config_selectorIalEEZZNS1_29radix_sort_onesweep_iterationIS3_Lb0EPaS7_N6thrust23THRUST_200600_302600_NS10device_ptrIlEESB_jNS0_19identity_decomposerENS1_16block_id_wrapperIjLb1EEEEE10hipError_tT1_PNSt15iterator_traitsISG_E10value_typeET2_T3_PNSH_ISM_E10value_typeET4_T5_PSR_SS_PNS1_23onesweep_lookback_stateEbbT6_jjT7_P12ihipStream_tbENKUlT_T0_SG_SL_E_clIS7_S7_SB_SB_EEDaSZ_S10_SG_SL_EUlSZ_E_NS1_11comp_targetILNS1_3genE6ELNS1_11target_archE950ELNS1_3gpuE13ELNS1_3repE0EEENS1_47radix_sort_onesweep_sort_config_static_selectorELNS0_4arch9wavefront6targetE1EEEvSG_, .Lfunc_end601-_ZN7rocprim17ROCPRIM_400000_NS6detail17trampoline_kernelINS0_14default_configENS1_35radix_sort_onesweep_config_selectorIalEEZZNS1_29radix_sort_onesweep_iterationIS3_Lb0EPaS7_N6thrust23THRUST_200600_302600_NS10device_ptrIlEESB_jNS0_19identity_decomposerENS1_16block_id_wrapperIjLb1EEEEE10hipError_tT1_PNSt15iterator_traitsISG_E10value_typeET2_T3_PNSH_ISM_E10value_typeET4_T5_PSR_SS_PNS1_23onesweep_lookback_stateEbbT6_jjT7_P12ihipStream_tbENKUlT_T0_SG_SL_E_clIS7_S7_SB_SB_EEDaSZ_S10_SG_SL_EUlSZ_E_NS1_11comp_targetILNS1_3genE6ELNS1_11target_archE950ELNS1_3gpuE13ELNS1_3repE0EEENS1_47radix_sort_onesweep_sort_config_static_selectorELNS0_4arch9wavefront6targetE1EEEvSG_
                                        ; -- End function
	.section	.AMDGPU.csdata,"",@progbits
; Kernel info:
; codeLenInByte = 0
; NumSgprs: 4
; NumVgprs: 0
; NumAgprs: 0
; TotalNumVgprs: 0
; ScratchSize: 0
; MemoryBound: 0
; FloatMode: 240
; IeeeMode: 1
; LDSByteSize: 0 bytes/workgroup (compile time only)
; SGPRBlocks: 0
; VGPRBlocks: 0
; NumSGPRsForWavesPerEU: 4
; NumVGPRsForWavesPerEU: 1
; AccumOffset: 4
; Occupancy: 8
; WaveLimiterHint : 0
; COMPUTE_PGM_RSRC2:SCRATCH_EN: 0
; COMPUTE_PGM_RSRC2:USER_SGPR: 6
; COMPUTE_PGM_RSRC2:TRAP_HANDLER: 0
; COMPUTE_PGM_RSRC2:TGID_X_EN: 1
; COMPUTE_PGM_RSRC2:TGID_Y_EN: 0
; COMPUTE_PGM_RSRC2:TGID_Z_EN: 0
; COMPUTE_PGM_RSRC2:TIDIG_COMP_CNT: 0
; COMPUTE_PGM_RSRC3_GFX90A:ACCUM_OFFSET: 0
; COMPUTE_PGM_RSRC3_GFX90A:TG_SPLIT: 0
	.section	.text._ZN7rocprim17ROCPRIM_400000_NS6detail17trampoline_kernelINS0_14default_configENS1_35radix_sort_onesweep_config_selectorIalEEZZNS1_29radix_sort_onesweep_iterationIS3_Lb0EPaS7_N6thrust23THRUST_200600_302600_NS10device_ptrIlEESB_jNS0_19identity_decomposerENS1_16block_id_wrapperIjLb1EEEEE10hipError_tT1_PNSt15iterator_traitsISG_E10value_typeET2_T3_PNSH_ISM_E10value_typeET4_T5_PSR_SS_PNS1_23onesweep_lookback_stateEbbT6_jjT7_P12ihipStream_tbENKUlT_T0_SG_SL_E_clIS7_S7_SB_SB_EEDaSZ_S10_SG_SL_EUlSZ_E_NS1_11comp_targetILNS1_3genE5ELNS1_11target_archE942ELNS1_3gpuE9ELNS1_3repE0EEENS1_47radix_sort_onesweep_sort_config_static_selectorELNS0_4arch9wavefront6targetE1EEEvSG_,"axG",@progbits,_ZN7rocprim17ROCPRIM_400000_NS6detail17trampoline_kernelINS0_14default_configENS1_35radix_sort_onesweep_config_selectorIalEEZZNS1_29radix_sort_onesweep_iterationIS3_Lb0EPaS7_N6thrust23THRUST_200600_302600_NS10device_ptrIlEESB_jNS0_19identity_decomposerENS1_16block_id_wrapperIjLb1EEEEE10hipError_tT1_PNSt15iterator_traitsISG_E10value_typeET2_T3_PNSH_ISM_E10value_typeET4_T5_PSR_SS_PNS1_23onesweep_lookback_stateEbbT6_jjT7_P12ihipStream_tbENKUlT_T0_SG_SL_E_clIS7_S7_SB_SB_EEDaSZ_S10_SG_SL_EUlSZ_E_NS1_11comp_targetILNS1_3genE5ELNS1_11target_archE942ELNS1_3gpuE9ELNS1_3repE0EEENS1_47radix_sort_onesweep_sort_config_static_selectorELNS0_4arch9wavefront6targetE1EEEvSG_,comdat
	.protected	_ZN7rocprim17ROCPRIM_400000_NS6detail17trampoline_kernelINS0_14default_configENS1_35radix_sort_onesweep_config_selectorIalEEZZNS1_29radix_sort_onesweep_iterationIS3_Lb0EPaS7_N6thrust23THRUST_200600_302600_NS10device_ptrIlEESB_jNS0_19identity_decomposerENS1_16block_id_wrapperIjLb1EEEEE10hipError_tT1_PNSt15iterator_traitsISG_E10value_typeET2_T3_PNSH_ISM_E10value_typeET4_T5_PSR_SS_PNS1_23onesweep_lookback_stateEbbT6_jjT7_P12ihipStream_tbENKUlT_T0_SG_SL_E_clIS7_S7_SB_SB_EEDaSZ_S10_SG_SL_EUlSZ_E_NS1_11comp_targetILNS1_3genE5ELNS1_11target_archE942ELNS1_3gpuE9ELNS1_3repE0EEENS1_47radix_sort_onesweep_sort_config_static_selectorELNS0_4arch9wavefront6targetE1EEEvSG_ ; -- Begin function _ZN7rocprim17ROCPRIM_400000_NS6detail17trampoline_kernelINS0_14default_configENS1_35radix_sort_onesweep_config_selectorIalEEZZNS1_29radix_sort_onesweep_iterationIS3_Lb0EPaS7_N6thrust23THRUST_200600_302600_NS10device_ptrIlEESB_jNS0_19identity_decomposerENS1_16block_id_wrapperIjLb1EEEEE10hipError_tT1_PNSt15iterator_traitsISG_E10value_typeET2_T3_PNSH_ISM_E10value_typeET4_T5_PSR_SS_PNS1_23onesweep_lookback_stateEbbT6_jjT7_P12ihipStream_tbENKUlT_T0_SG_SL_E_clIS7_S7_SB_SB_EEDaSZ_S10_SG_SL_EUlSZ_E_NS1_11comp_targetILNS1_3genE5ELNS1_11target_archE942ELNS1_3gpuE9ELNS1_3repE0EEENS1_47radix_sort_onesweep_sort_config_static_selectorELNS0_4arch9wavefront6targetE1EEEvSG_
	.globl	_ZN7rocprim17ROCPRIM_400000_NS6detail17trampoline_kernelINS0_14default_configENS1_35radix_sort_onesweep_config_selectorIalEEZZNS1_29radix_sort_onesweep_iterationIS3_Lb0EPaS7_N6thrust23THRUST_200600_302600_NS10device_ptrIlEESB_jNS0_19identity_decomposerENS1_16block_id_wrapperIjLb1EEEEE10hipError_tT1_PNSt15iterator_traitsISG_E10value_typeET2_T3_PNSH_ISM_E10value_typeET4_T5_PSR_SS_PNS1_23onesweep_lookback_stateEbbT6_jjT7_P12ihipStream_tbENKUlT_T0_SG_SL_E_clIS7_S7_SB_SB_EEDaSZ_S10_SG_SL_EUlSZ_E_NS1_11comp_targetILNS1_3genE5ELNS1_11target_archE942ELNS1_3gpuE9ELNS1_3repE0EEENS1_47radix_sort_onesweep_sort_config_static_selectorELNS0_4arch9wavefront6targetE1EEEvSG_
	.p2align	8
	.type	_ZN7rocprim17ROCPRIM_400000_NS6detail17trampoline_kernelINS0_14default_configENS1_35radix_sort_onesweep_config_selectorIalEEZZNS1_29radix_sort_onesweep_iterationIS3_Lb0EPaS7_N6thrust23THRUST_200600_302600_NS10device_ptrIlEESB_jNS0_19identity_decomposerENS1_16block_id_wrapperIjLb1EEEEE10hipError_tT1_PNSt15iterator_traitsISG_E10value_typeET2_T3_PNSH_ISM_E10value_typeET4_T5_PSR_SS_PNS1_23onesweep_lookback_stateEbbT6_jjT7_P12ihipStream_tbENKUlT_T0_SG_SL_E_clIS7_S7_SB_SB_EEDaSZ_S10_SG_SL_EUlSZ_E_NS1_11comp_targetILNS1_3genE5ELNS1_11target_archE942ELNS1_3gpuE9ELNS1_3repE0EEENS1_47radix_sort_onesweep_sort_config_static_selectorELNS0_4arch9wavefront6targetE1EEEvSG_,@function
_ZN7rocprim17ROCPRIM_400000_NS6detail17trampoline_kernelINS0_14default_configENS1_35radix_sort_onesweep_config_selectorIalEEZZNS1_29radix_sort_onesweep_iterationIS3_Lb0EPaS7_N6thrust23THRUST_200600_302600_NS10device_ptrIlEESB_jNS0_19identity_decomposerENS1_16block_id_wrapperIjLb1EEEEE10hipError_tT1_PNSt15iterator_traitsISG_E10value_typeET2_T3_PNSH_ISM_E10value_typeET4_T5_PSR_SS_PNS1_23onesweep_lookback_stateEbbT6_jjT7_P12ihipStream_tbENKUlT_T0_SG_SL_E_clIS7_S7_SB_SB_EEDaSZ_S10_SG_SL_EUlSZ_E_NS1_11comp_targetILNS1_3genE5ELNS1_11target_archE942ELNS1_3gpuE9ELNS1_3repE0EEENS1_47radix_sort_onesweep_sort_config_static_selectorELNS0_4arch9wavefront6targetE1EEEvSG_: ; @_ZN7rocprim17ROCPRIM_400000_NS6detail17trampoline_kernelINS0_14default_configENS1_35radix_sort_onesweep_config_selectorIalEEZZNS1_29radix_sort_onesweep_iterationIS3_Lb0EPaS7_N6thrust23THRUST_200600_302600_NS10device_ptrIlEESB_jNS0_19identity_decomposerENS1_16block_id_wrapperIjLb1EEEEE10hipError_tT1_PNSt15iterator_traitsISG_E10value_typeET2_T3_PNSH_ISM_E10value_typeET4_T5_PSR_SS_PNS1_23onesweep_lookback_stateEbbT6_jjT7_P12ihipStream_tbENKUlT_T0_SG_SL_E_clIS7_S7_SB_SB_EEDaSZ_S10_SG_SL_EUlSZ_E_NS1_11comp_targetILNS1_3genE5ELNS1_11target_archE942ELNS1_3gpuE9ELNS1_3repE0EEENS1_47radix_sort_onesweep_sort_config_static_selectorELNS0_4arch9wavefront6targetE1EEEvSG_
; %bb.0:
	.section	.rodata,"a",@progbits
	.p2align	6, 0x0
	.amdhsa_kernel _ZN7rocprim17ROCPRIM_400000_NS6detail17trampoline_kernelINS0_14default_configENS1_35radix_sort_onesweep_config_selectorIalEEZZNS1_29radix_sort_onesweep_iterationIS3_Lb0EPaS7_N6thrust23THRUST_200600_302600_NS10device_ptrIlEESB_jNS0_19identity_decomposerENS1_16block_id_wrapperIjLb1EEEEE10hipError_tT1_PNSt15iterator_traitsISG_E10value_typeET2_T3_PNSH_ISM_E10value_typeET4_T5_PSR_SS_PNS1_23onesweep_lookback_stateEbbT6_jjT7_P12ihipStream_tbENKUlT_T0_SG_SL_E_clIS7_S7_SB_SB_EEDaSZ_S10_SG_SL_EUlSZ_E_NS1_11comp_targetILNS1_3genE5ELNS1_11target_archE942ELNS1_3gpuE9ELNS1_3repE0EEENS1_47radix_sort_onesweep_sort_config_static_selectorELNS0_4arch9wavefront6targetE1EEEvSG_
		.amdhsa_group_segment_fixed_size 0
		.amdhsa_private_segment_fixed_size 0
		.amdhsa_kernarg_size 88
		.amdhsa_user_sgpr_count 6
		.amdhsa_user_sgpr_private_segment_buffer 1
		.amdhsa_user_sgpr_dispatch_ptr 0
		.amdhsa_user_sgpr_queue_ptr 0
		.amdhsa_user_sgpr_kernarg_segment_ptr 1
		.amdhsa_user_sgpr_dispatch_id 0
		.amdhsa_user_sgpr_flat_scratch_init 0
		.amdhsa_user_sgpr_kernarg_preload_length 0
		.amdhsa_user_sgpr_kernarg_preload_offset 0
		.amdhsa_user_sgpr_private_segment_size 0
		.amdhsa_uses_dynamic_stack 0
		.amdhsa_system_sgpr_private_segment_wavefront_offset 0
		.amdhsa_system_sgpr_workgroup_id_x 1
		.amdhsa_system_sgpr_workgroup_id_y 0
		.amdhsa_system_sgpr_workgroup_id_z 0
		.amdhsa_system_sgpr_workgroup_info 0
		.amdhsa_system_vgpr_workitem_id 0
		.amdhsa_next_free_vgpr 1
		.amdhsa_next_free_sgpr 0
		.amdhsa_accum_offset 4
		.amdhsa_reserve_vcc 0
		.amdhsa_reserve_flat_scratch 0
		.amdhsa_float_round_mode_32 0
		.amdhsa_float_round_mode_16_64 0
		.amdhsa_float_denorm_mode_32 3
		.amdhsa_float_denorm_mode_16_64 3
		.amdhsa_dx10_clamp 1
		.amdhsa_ieee_mode 1
		.amdhsa_fp16_overflow 0
		.amdhsa_tg_split 0
		.amdhsa_exception_fp_ieee_invalid_op 0
		.amdhsa_exception_fp_denorm_src 0
		.amdhsa_exception_fp_ieee_div_zero 0
		.amdhsa_exception_fp_ieee_overflow 0
		.amdhsa_exception_fp_ieee_underflow 0
		.amdhsa_exception_fp_ieee_inexact 0
		.amdhsa_exception_int_div_zero 0
	.end_amdhsa_kernel
	.section	.text._ZN7rocprim17ROCPRIM_400000_NS6detail17trampoline_kernelINS0_14default_configENS1_35radix_sort_onesweep_config_selectorIalEEZZNS1_29radix_sort_onesweep_iterationIS3_Lb0EPaS7_N6thrust23THRUST_200600_302600_NS10device_ptrIlEESB_jNS0_19identity_decomposerENS1_16block_id_wrapperIjLb1EEEEE10hipError_tT1_PNSt15iterator_traitsISG_E10value_typeET2_T3_PNSH_ISM_E10value_typeET4_T5_PSR_SS_PNS1_23onesweep_lookback_stateEbbT6_jjT7_P12ihipStream_tbENKUlT_T0_SG_SL_E_clIS7_S7_SB_SB_EEDaSZ_S10_SG_SL_EUlSZ_E_NS1_11comp_targetILNS1_3genE5ELNS1_11target_archE942ELNS1_3gpuE9ELNS1_3repE0EEENS1_47radix_sort_onesweep_sort_config_static_selectorELNS0_4arch9wavefront6targetE1EEEvSG_,"axG",@progbits,_ZN7rocprim17ROCPRIM_400000_NS6detail17trampoline_kernelINS0_14default_configENS1_35radix_sort_onesweep_config_selectorIalEEZZNS1_29radix_sort_onesweep_iterationIS3_Lb0EPaS7_N6thrust23THRUST_200600_302600_NS10device_ptrIlEESB_jNS0_19identity_decomposerENS1_16block_id_wrapperIjLb1EEEEE10hipError_tT1_PNSt15iterator_traitsISG_E10value_typeET2_T3_PNSH_ISM_E10value_typeET4_T5_PSR_SS_PNS1_23onesweep_lookback_stateEbbT6_jjT7_P12ihipStream_tbENKUlT_T0_SG_SL_E_clIS7_S7_SB_SB_EEDaSZ_S10_SG_SL_EUlSZ_E_NS1_11comp_targetILNS1_3genE5ELNS1_11target_archE942ELNS1_3gpuE9ELNS1_3repE0EEENS1_47radix_sort_onesweep_sort_config_static_selectorELNS0_4arch9wavefront6targetE1EEEvSG_,comdat
.Lfunc_end602:
	.size	_ZN7rocprim17ROCPRIM_400000_NS6detail17trampoline_kernelINS0_14default_configENS1_35radix_sort_onesweep_config_selectorIalEEZZNS1_29radix_sort_onesweep_iterationIS3_Lb0EPaS7_N6thrust23THRUST_200600_302600_NS10device_ptrIlEESB_jNS0_19identity_decomposerENS1_16block_id_wrapperIjLb1EEEEE10hipError_tT1_PNSt15iterator_traitsISG_E10value_typeET2_T3_PNSH_ISM_E10value_typeET4_T5_PSR_SS_PNS1_23onesweep_lookback_stateEbbT6_jjT7_P12ihipStream_tbENKUlT_T0_SG_SL_E_clIS7_S7_SB_SB_EEDaSZ_S10_SG_SL_EUlSZ_E_NS1_11comp_targetILNS1_3genE5ELNS1_11target_archE942ELNS1_3gpuE9ELNS1_3repE0EEENS1_47radix_sort_onesweep_sort_config_static_selectorELNS0_4arch9wavefront6targetE1EEEvSG_, .Lfunc_end602-_ZN7rocprim17ROCPRIM_400000_NS6detail17trampoline_kernelINS0_14default_configENS1_35radix_sort_onesweep_config_selectorIalEEZZNS1_29radix_sort_onesweep_iterationIS3_Lb0EPaS7_N6thrust23THRUST_200600_302600_NS10device_ptrIlEESB_jNS0_19identity_decomposerENS1_16block_id_wrapperIjLb1EEEEE10hipError_tT1_PNSt15iterator_traitsISG_E10value_typeET2_T3_PNSH_ISM_E10value_typeET4_T5_PSR_SS_PNS1_23onesweep_lookback_stateEbbT6_jjT7_P12ihipStream_tbENKUlT_T0_SG_SL_E_clIS7_S7_SB_SB_EEDaSZ_S10_SG_SL_EUlSZ_E_NS1_11comp_targetILNS1_3genE5ELNS1_11target_archE942ELNS1_3gpuE9ELNS1_3repE0EEENS1_47radix_sort_onesweep_sort_config_static_selectorELNS0_4arch9wavefront6targetE1EEEvSG_
                                        ; -- End function
	.section	.AMDGPU.csdata,"",@progbits
; Kernel info:
; codeLenInByte = 0
; NumSgprs: 4
; NumVgprs: 0
; NumAgprs: 0
; TotalNumVgprs: 0
; ScratchSize: 0
; MemoryBound: 0
; FloatMode: 240
; IeeeMode: 1
; LDSByteSize: 0 bytes/workgroup (compile time only)
; SGPRBlocks: 0
; VGPRBlocks: 0
; NumSGPRsForWavesPerEU: 4
; NumVGPRsForWavesPerEU: 1
; AccumOffset: 4
; Occupancy: 8
; WaveLimiterHint : 0
; COMPUTE_PGM_RSRC2:SCRATCH_EN: 0
; COMPUTE_PGM_RSRC2:USER_SGPR: 6
; COMPUTE_PGM_RSRC2:TRAP_HANDLER: 0
; COMPUTE_PGM_RSRC2:TGID_X_EN: 1
; COMPUTE_PGM_RSRC2:TGID_Y_EN: 0
; COMPUTE_PGM_RSRC2:TGID_Z_EN: 0
; COMPUTE_PGM_RSRC2:TIDIG_COMP_CNT: 0
; COMPUTE_PGM_RSRC3_GFX90A:ACCUM_OFFSET: 0
; COMPUTE_PGM_RSRC3_GFX90A:TG_SPLIT: 0
	.section	.text._ZN7rocprim17ROCPRIM_400000_NS6detail17trampoline_kernelINS0_14default_configENS1_35radix_sort_onesweep_config_selectorIalEEZZNS1_29radix_sort_onesweep_iterationIS3_Lb0EPaS7_N6thrust23THRUST_200600_302600_NS10device_ptrIlEESB_jNS0_19identity_decomposerENS1_16block_id_wrapperIjLb1EEEEE10hipError_tT1_PNSt15iterator_traitsISG_E10value_typeET2_T3_PNSH_ISM_E10value_typeET4_T5_PSR_SS_PNS1_23onesweep_lookback_stateEbbT6_jjT7_P12ihipStream_tbENKUlT_T0_SG_SL_E_clIS7_S7_SB_SB_EEDaSZ_S10_SG_SL_EUlSZ_E_NS1_11comp_targetILNS1_3genE2ELNS1_11target_archE906ELNS1_3gpuE6ELNS1_3repE0EEENS1_47radix_sort_onesweep_sort_config_static_selectorELNS0_4arch9wavefront6targetE1EEEvSG_,"axG",@progbits,_ZN7rocprim17ROCPRIM_400000_NS6detail17trampoline_kernelINS0_14default_configENS1_35radix_sort_onesweep_config_selectorIalEEZZNS1_29radix_sort_onesweep_iterationIS3_Lb0EPaS7_N6thrust23THRUST_200600_302600_NS10device_ptrIlEESB_jNS0_19identity_decomposerENS1_16block_id_wrapperIjLb1EEEEE10hipError_tT1_PNSt15iterator_traitsISG_E10value_typeET2_T3_PNSH_ISM_E10value_typeET4_T5_PSR_SS_PNS1_23onesweep_lookback_stateEbbT6_jjT7_P12ihipStream_tbENKUlT_T0_SG_SL_E_clIS7_S7_SB_SB_EEDaSZ_S10_SG_SL_EUlSZ_E_NS1_11comp_targetILNS1_3genE2ELNS1_11target_archE906ELNS1_3gpuE6ELNS1_3repE0EEENS1_47radix_sort_onesweep_sort_config_static_selectorELNS0_4arch9wavefront6targetE1EEEvSG_,comdat
	.protected	_ZN7rocprim17ROCPRIM_400000_NS6detail17trampoline_kernelINS0_14default_configENS1_35radix_sort_onesweep_config_selectorIalEEZZNS1_29radix_sort_onesweep_iterationIS3_Lb0EPaS7_N6thrust23THRUST_200600_302600_NS10device_ptrIlEESB_jNS0_19identity_decomposerENS1_16block_id_wrapperIjLb1EEEEE10hipError_tT1_PNSt15iterator_traitsISG_E10value_typeET2_T3_PNSH_ISM_E10value_typeET4_T5_PSR_SS_PNS1_23onesweep_lookback_stateEbbT6_jjT7_P12ihipStream_tbENKUlT_T0_SG_SL_E_clIS7_S7_SB_SB_EEDaSZ_S10_SG_SL_EUlSZ_E_NS1_11comp_targetILNS1_3genE2ELNS1_11target_archE906ELNS1_3gpuE6ELNS1_3repE0EEENS1_47radix_sort_onesweep_sort_config_static_selectorELNS0_4arch9wavefront6targetE1EEEvSG_ ; -- Begin function _ZN7rocprim17ROCPRIM_400000_NS6detail17trampoline_kernelINS0_14default_configENS1_35radix_sort_onesweep_config_selectorIalEEZZNS1_29radix_sort_onesweep_iterationIS3_Lb0EPaS7_N6thrust23THRUST_200600_302600_NS10device_ptrIlEESB_jNS0_19identity_decomposerENS1_16block_id_wrapperIjLb1EEEEE10hipError_tT1_PNSt15iterator_traitsISG_E10value_typeET2_T3_PNSH_ISM_E10value_typeET4_T5_PSR_SS_PNS1_23onesweep_lookback_stateEbbT6_jjT7_P12ihipStream_tbENKUlT_T0_SG_SL_E_clIS7_S7_SB_SB_EEDaSZ_S10_SG_SL_EUlSZ_E_NS1_11comp_targetILNS1_3genE2ELNS1_11target_archE906ELNS1_3gpuE6ELNS1_3repE0EEENS1_47radix_sort_onesweep_sort_config_static_selectorELNS0_4arch9wavefront6targetE1EEEvSG_
	.globl	_ZN7rocprim17ROCPRIM_400000_NS6detail17trampoline_kernelINS0_14default_configENS1_35radix_sort_onesweep_config_selectorIalEEZZNS1_29radix_sort_onesweep_iterationIS3_Lb0EPaS7_N6thrust23THRUST_200600_302600_NS10device_ptrIlEESB_jNS0_19identity_decomposerENS1_16block_id_wrapperIjLb1EEEEE10hipError_tT1_PNSt15iterator_traitsISG_E10value_typeET2_T3_PNSH_ISM_E10value_typeET4_T5_PSR_SS_PNS1_23onesweep_lookback_stateEbbT6_jjT7_P12ihipStream_tbENKUlT_T0_SG_SL_E_clIS7_S7_SB_SB_EEDaSZ_S10_SG_SL_EUlSZ_E_NS1_11comp_targetILNS1_3genE2ELNS1_11target_archE906ELNS1_3gpuE6ELNS1_3repE0EEENS1_47radix_sort_onesweep_sort_config_static_selectorELNS0_4arch9wavefront6targetE1EEEvSG_
	.p2align	8
	.type	_ZN7rocprim17ROCPRIM_400000_NS6detail17trampoline_kernelINS0_14default_configENS1_35radix_sort_onesweep_config_selectorIalEEZZNS1_29radix_sort_onesweep_iterationIS3_Lb0EPaS7_N6thrust23THRUST_200600_302600_NS10device_ptrIlEESB_jNS0_19identity_decomposerENS1_16block_id_wrapperIjLb1EEEEE10hipError_tT1_PNSt15iterator_traitsISG_E10value_typeET2_T3_PNSH_ISM_E10value_typeET4_T5_PSR_SS_PNS1_23onesweep_lookback_stateEbbT6_jjT7_P12ihipStream_tbENKUlT_T0_SG_SL_E_clIS7_S7_SB_SB_EEDaSZ_S10_SG_SL_EUlSZ_E_NS1_11comp_targetILNS1_3genE2ELNS1_11target_archE906ELNS1_3gpuE6ELNS1_3repE0EEENS1_47radix_sort_onesweep_sort_config_static_selectorELNS0_4arch9wavefront6targetE1EEEvSG_,@function
_ZN7rocprim17ROCPRIM_400000_NS6detail17trampoline_kernelINS0_14default_configENS1_35radix_sort_onesweep_config_selectorIalEEZZNS1_29radix_sort_onesweep_iterationIS3_Lb0EPaS7_N6thrust23THRUST_200600_302600_NS10device_ptrIlEESB_jNS0_19identity_decomposerENS1_16block_id_wrapperIjLb1EEEEE10hipError_tT1_PNSt15iterator_traitsISG_E10value_typeET2_T3_PNSH_ISM_E10value_typeET4_T5_PSR_SS_PNS1_23onesweep_lookback_stateEbbT6_jjT7_P12ihipStream_tbENKUlT_T0_SG_SL_E_clIS7_S7_SB_SB_EEDaSZ_S10_SG_SL_EUlSZ_E_NS1_11comp_targetILNS1_3genE2ELNS1_11target_archE906ELNS1_3gpuE6ELNS1_3repE0EEENS1_47radix_sort_onesweep_sort_config_static_selectorELNS0_4arch9wavefront6targetE1EEEvSG_: ; @_ZN7rocprim17ROCPRIM_400000_NS6detail17trampoline_kernelINS0_14default_configENS1_35radix_sort_onesweep_config_selectorIalEEZZNS1_29radix_sort_onesweep_iterationIS3_Lb0EPaS7_N6thrust23THRUST_200600_302600_NS10device_ptrIlEESB_jNS0_19identity_decomposerENS1_16block_id_wrapperIjLb1EEEEE10hipError_tT1_PNSt15iterator_traitsISG_E10value_typeET2_T3_PNSH_ISM_E10value_typeET4_T5_PSR_SS_PNS1_23onesweep_lookback_stateEbbT6_jjT7_P12ihipStream_tbENKUlT_T0_SG_SL_E_clIS7_S7_SB_SB_EEDaSZ_S10_SG_SL_EUlSZ_E_NS1_11comp_targetILNS1_3genE2ELNS1_11target_archE906ELNS1_3gpuE6ELNS1_3repE0EEENS1_47radix_sort_onesweep_sort_config_static_selectorELNS0_4arch9wavefront6targetE1EEEvSG_
; %bb.0:
	.section	.rodata,"a",@progbits
	.p2align	6, 0x0
	.amdhsa_kernel _ZN7rocprim17ROCPRIM_400000_NS6detail17trampoline_kernelINS0_14default_configENS1_35radix_sort_onesweep_config_selectorIalEEZZNS1_29radix_sort_onesweep_iterationIS3_Lb0EPaS7_N6thrust23THRUST_200600_302600_NS10device_ptrIlEESB_jNS0_19identity_decomposerENS1_16block_id_wrapperIjLb1EEEEE10hipError_tT1_PNSt15iterator_traitsISG_E10value_typeET2_T3_PNSH_ISM_E10value_typeET4_T5_PSR_SS_PNS1_23onesweep_lookback_stateEbbT6_jjT7_P12ihipStream_tbENKUlT_T0_SG_SL_E_clIS7_S7_SB_SB_EEDaSZ_S10_SG_SL_EUlSZ_E_NS1_11comp_targetILNS1_3genE2ELNS1_11target_archE906ELNS1_3gpuE6ELNS1_3repE0EEENS1_47radix_sort_onesweep_sort_config_static_selectorELNS0_4arch9wavefront6targetE1EEEvSG_
		.amdhsa_group_segment_fixed_size 0
		.amdhsa_private_segment_fixed_size 0
		.amdhsa_kernarg_size 88
		.amdhsa_user_sgpr_count 6
		.amdhsa_user_sgpr_private_segment_buffer 1
		.amdhsa_user_sgpr_dispatch_ptr 0
		.amdhsa_user_sgpr_queue_ptr 0
		.amdhsa_user_sgpr_kernarg_segment_ptr 1
		.amdhsa_user_sgpr_dispatch_id 0
		.amdhsa_user_sgpr_flat_scratch_init 0
		.amdhsa_user_sgpr_kernarg_preload_length 0
		.amdhsa_user_sgpr_kernarg_preload_offset 0
		.amdhsa_user_sgpr_private_segment_size 0
		.amdhsa_uses_dynamic_stack 0
		.amdhsa_system_sgpr_private_segment_wavefront_offset 0
		.amdhsa_system_sgpr_workgroup_id_x 1
		.amdhsa_system_sgpr_workgroup_id_y 0
		.amdhsa_system_sgpr_workgroup_id_z 0
		.amdhsa_system_sgpr_workgroup_info 0
		.amdhsa_system_vgpr_workitem_id 0
		.amdhsa_next_free_vgpr 1
		.amdhsa_next_free_sgpr 0
		.amdhsa_accum_offset 4
		.amdhsa_reserve_vcc 0
		.amdhsa_reserve_flat_scratch 0
		.amdhsa_float_round_mode_32 0
		.amdhsa_float_round_mode_16_64 0
		.amdhsa_float_denorm_mode_32 3
		.amdhsa_float_denorm_mode_16_64 3
		.amdhsa_dx10_clamp 1
		.amdhsa_ieee_mode 1
		.amdhsa_fp16_overflow 0
		.amdhsa_tg_split 0
		.amdhsa_exception_fp_ieee_invalid_op 0
		.amdhsa_exception_fp_denorm_src 0
		.amdhsa_exception_fp_ieee_div_zero 0
		.amdhsa_exception_fp_ieee_overflow 0
		.amdhsa_exception_fp_ieee_underflow 0
		.amdhsa_exception_fp_ieee_inexact 0
		.amdhsa_exception_int_div_zero 0
	.end_amdhsa_kernel
	.section	.text._ZN7rocprim17ROCPRIM_400000_NS6detail17trampoline_kernelINS0_14default_configENS1_35radix_sort_onesweep_config_selectorIalEEZZNS1_29radix_sort_onesweep_iterationIS3_Lb0EPaS7_N6thrust23THRUST_200600_302600_NS10device_ptrIlEESB_jNS0_19identity_decomposerENS1_16block_id_wrapperIjLb1EEEEE10hipError_tT1_PNSt15iterator_traitsISG_E10value_typeET2_T3_PNSH_ISM_E10value_typeET4_T5_PSR_SS_PNS1_23onesweep_lookback_stateEbbT6_jjT7_P12ihipStream_tbENKUlT_T0_SG_SL_E_clIS7_S7_SB_SB_EEDaSZ_S10_SG_SL_EUlSZ_E_NS1_11comp_targetILNS1_3genE2ELNS1_11target_archE906ELNS1_3gpuE6ELNS1_3repE0EEENS1_47radix_sort_onesweep_sort_config_static_selectorELNS0_4arch9wavefront6targetE1EEEvSG_,"axG",@progbits,_ZN7rocprim17ROCPRIM_400000_NS6detail17trampoline_kernelINS0_14default_configENS1_35radix_sort_onesweep_config_selectorIalEEZZNS1_29radix_sort_onesweep_iterationIS3_Lb0EPaS7_N6thrust23THRUST_200600_302600_NS10device_ptrIlEESB_jNS0_19identity_decomposerENS1_16block_id_wrapperIjLb1EEEEE10hipError_tT1_PNSt15iterator_traitsISG_E10value_typeET2_T3_PNSH_ISM_E10value_typeET4_T5_PSR_SS_PNS1_23onesweep_lookback_stateEbbT6_jjT7_P12ihipStream_tbENKUlT_T0_SG_SL_E_clIS7_S7_SB_SB_EEDaSZ_S10_SG_SL_EUlSZ_E_NS1_11comp_targetILNS1_3genE2ELNS1_11target_archE906ELNS1_3gpuE6ELNS1_3repE0EEENS1_47radix_sort_onesweep_sort_config_static_selectorELNS0_4arch9wavefront6targetE1EEEvSG_,comdat
.Lfunc_end603:
	.size	_ZN7rocprim17ROCPRIM_400000_NS6detail17trampoline_kernelINS0_14default_configENS1_35radix_sort_onesweep_config_selectorIalEEZZNS1_29radix_sort_onesweep_iterationIS3_Lb0EPaS7_N6thrust23THRUST_200600_302600_NS10device_ptrIlEESB_jNS0_19identity_decomposerENS1_16block_id_wrapperIjLb1EEEEE10hipError_tT1_PNSt15iterator_traitsISG_E10value_typeET2_T3_PNSH_ISM_E10value_typeET4_T5_PSR_SS_PNS1_23onesweep_lookback_stateEbbT6_jjT7_P12ihipStream_tbENKUlT_T0_SG_SL_E_clIS7_S7_SB_SB_EEDaSZ_S10_SG_SL_EUlSZ_E_NS1_11comp_targetILNS1_3genE2ELNS1_11target_archE906ELNS1_3gpuE6ELNS1_3repE0EEENS1_47radix_sort_onesweep_sort_config_static_selectorELNS0_4arch9wavefront6targetE1EEEvSG_, .Lfunc_end603-_ZN7rocprim17ROCPRIM_400000_NS6detail17trampoline_kernelINS0_14default_configENS1_35radix_sort_onesweep_config_selectorIalEEZZNS1_29radix_sort_onesweep_iterationIS3_Lb0EPaS7_N6thrust23THRUST_200600_302600_NS10device_ptrIlEESB_jNS0_19identity_decomposerENS1_16block_id_wrapperIjLb1EEEEE10hipError_tT1_PNSt15iterator_traitsISG_E10value_typeET2_T3_PNSH_ISM_E10value_typeET4_T5_PSR_SS_PNS1_23onesweep_lookback_stateEbbT6_jjT7_P12ihipStream_tbENKUlT_T0_SG_SL_E_clIS7_S7_SB_SB_EEDaSZ_S10_SG_SL_EUlSZ_E_NS1_11comp_targetILNS1_3genE2ELNS1_11target_archE906ELNS1_3gpuE6ELNS1_3repE0EEENS1_47radix_sort_onesweep_sort_config_static_selectorELNS0_4arch9wavefront6targetE1EEEvSG_
                                        ; -- End function
	.section	.AMDGPU.csdata,"",@progbits
; Kernel info:
; codeLenInByte = 0
; NumSgprs: 4
; NumVgprs: 0
; NumAgprs: 0
; TotalNumVgprs: 0
; ScratchSize: 0
; MemoryBound: 0
; FloatMode: 240
; IeeeMode: 1
; LDSByteSize: 0 bytes/workgroup (compile time only)
; SGPRBlocks: 0
; VGPRBlocks: 0
; NumSGPRsForWavesPerEU: 4
; NumVGPRsForWavesPerEU: 1
; AccumOffset: 4
; Occupancy: 8
; WaveLimiterHint : 0
; COMPUTE_PGM_RSRC2:SCRATCH_EN: 0
; COMPUTE_PGM_RSRC2:USER_SGPR: 6
; COMPUTE_PGM_RSRC2:TRAP_HANDLER: 0
; COMPUTE_PGM_RSRC2:TGID_X_EN: 1
; COMPUTE_PGM_RSRC2:TGID_Y_EN: 0
; COMPUTE_PGM_RSRC2:TGID_Z_EN: 0
; COMPUTE_PGM_RSRC2:TIDIG_COMP_CNT: 0
; COMPUTE_PGM_RSRC3_GFX90A:ACCUM_OFFSET: 0
; COMPUTE_PGM_RSRC3_GFX90A:TG_SPLIT: 0
	.section	.text._ZN7rocprim17ROCPRIM_400000_NS6detail17trampoline_kernelINS0_14default_configENS1_35radix_sort_onesweep_config_selectorIalEEZZNS1_29radix_sort_onesweep_iterationIS3_Lb0EPaS7_N6thrust23THRUST_200600_302600_NS10device_ptrIlEESB_jNS0_19identity_decomposerENS1_16block_id_wrapperIjLb1EEEEE10hipError_tT1_PNSt15iterator_traitsISG_E10value_typeET2_T3_PNSH_ISM_E10value_typeET4_T5_PSR_SS_PNS1_23onesweep_lookback_stateEbbT6_jjT7_P12ihipStream_tbENKUlT_T0_SG_SL_E_clIS7_S7_SB_SB_EEDaSZ_S10_SG_SL_EUlSZ_E_NS1_11comp_targetILNS1_3genE4ELNS1_11target_archE910ELNS1_3gpuE8ELNS1_3repE0EEENS1_47radix_sort_onesweep_sort_config_static_selectorELNS0_4arch9wavefront6targetE1EEEvSG_,"axG",@progbits,_ZN7rocprim17ROCPRIM_400000_NS6detail17trampoline_kernelINS0_14default_configENS1_35radix_sort_onesweep_config_selectorIalEEZZNS1_29radix_sort_onesweep_iterationIS3_Lb0EPaS7_N6thrust23THRUST_200600_302600_NS10device_ptrIlEESB_jNS0_19identity_decomposerENS1_16block_id_wrapperIjLb1EEEEE10hipError_tT1_PNSt15iterator_traitsISG_E10value_typeET2_T3_PNSH_ISM_E10value_typeET4_T5_PSR_SS_PNS1_23onesweep_lookback_stateEbbT6_jjT7_P12ihipStream_tbENKUlT_T0_SG_SL_E_clIS7_S7_SB_SB_EEDaSZ_S10_SG_SL_EUlSZ_E_NS1_11comp_targetILNS1_3genE4ELNS1_11target_archE910ELNS1_3gpuE8ELNS1_3repE0EEENS1_47radix_sort_onesweep_sort_config_static_selectorELNS0_4arch9wavefront6targetE1EEEvSG_,comdat
	.protected	_ZN7rocprim17ROCPRIM_400000_NS6detail17trampoline_kernelINS0_14default_configENS1_35radix_sort_onesweep_config_selectorIalEEZZNS1_29radix_sort_onesweep_iterationIS3_Lb0EPaS7_N6thrust23THRUST_200600_302600_NS10device_ptrIlEESB_jNS0_19identity_decomposerENS1_16block_id_wrapperIjLb1EEEEE10hipError_tT1_PNSt15iterator_traitsISG_E10value_typeET2_T3_PNSH_ISM_E10value_typeET4_T5_PSR_SS_PNS1_23onesweep_lookback_stateEbbT6_jjT7_P12ihipStream_tbENKUlT_T0_SG_SL_E_clIS7_S7_SB_SB_EEDaSZ_S10_SG_SL_EUlSZ_E_NS1_11comp_targetILNS1_3genE4ELNS1_11target_archE910ELNS1_3gpuE8ELNS1_3repE0EEENS1_47radix_sort_onesweep_sort_config_static_selectorELNS0_4arch9wavefront6targetE1EEEvSG_ ; -- Begin function _ZN7rocprim17ROCPRIM_400000_NS6detail17trampoline_kernelINS0_14default_configENS1_35radix_sort_onesweep_config_selectorIalEEZZNS1_29radix_sort_onesweep_iterationIS3_Lb0EPaS7_N6thrust23THRUST_200600_302600_NS10device_ptrIlEESB_jNS0_19identity_decomposerENS1_16block_id_wrapperIjLb1EEEEE10hipError_tT1_PNSt15iterator_traitsISG_E10value_typeET2_T3_PNSH_ISM_E10value_typeET4_T5_PSR_SS_PNS1_23onesweep_lookback_stateEbbT6_jjT7_P12ihipStream_tbENKUlT_T0_SG_SL_E_clIS7_S7_SB_SB_EEDaSZ_S10_SG_SL_EUlSZ_E_NS1_11comp_targetILNS1_3genE4ELNS1_11target_archE910ELNS1_3gpuE8ELNS1_3repE0EEENS1_47radix_sort_onesweep_sort_config_static_selectorELNS0_4arch9wavefront6targetE1EEEvSG_
	.globl	_ZN7rocprim17ROCPRIM_400000_NS6detail17trampoline_kernelINS0_14default_configENS1_35radix_sort_onesweep_config_selectorIalEEZZNS1_29radix_sort_onesweep_iterationIS3_Lb0EPaS7_N6thrust23THRUST_200600_302600_NS10device_ptrIlEESB_jNS0_19identity_decomposerENS1_16block_id_wrapperIjLb1EEEEE10hipError_tT1_PNSt15iterator_traitsISG_E10value_typeET2_T3_PNSH_ISM_E10value_typeET4_T5_PSR_SS_PNS1_23onesweep_lookback_stateEbbT6_jjT7_P12ihipStream_tbENKUlT_T0_SG_SL_E_clIS7_S7_SB_SB_EEDaSZ_S10_SG_SL_EUlSZ_E_NS1_11comp_targetILNS1_3genE4ELNS1_11target_archE910ELNS1_3gpuE8ELNS1_3repE0EEENS1_47radix_sort_onesweep_sort_config_static_selectorELNS0_4arch9wavefront6targetE1EEEvSG_
	.p2align	8
	.type	_ZN7rocprim17ROCPRIM_400000_NS6detail17trampoline_kernelINS0_14default_configENS1_35radix_sort_onesweep_config_selectorIalEEZZNS1_29radix_sort_onesweep_iterationIS3_Lb0EPaS7_N6thrust23THRUST_200600_302600_NS10device_ptrIlEESB_jNS0_19identity_decomposerENS1_16block_id_wrapperIjLb1EEEEE10hipError_tT1_PNSt15iterator_traitsISG_E10value_typeET2_T3_PNSH_ISM_E10value_typeET4_T5_PSR_SS_PNS1_23onesweep_lookback_stateEbbT6_jjT7_P12ihipStream_tbENKUlT_T0_SG_SL_E_clIS7_S7_SB_SB_EEDaSZ_S10_SG_SL_EUlSZ_E_NS1_11comp_targetILNS1_3genE4ELNS1_11target_archE910ELNS1_3gpuE8ELNS1_3repE0EEENS1_47radix_sort_onesweep_sort_config_static_selectorELNS0_4arch9wavefront6targetE1EEEvSG_,@function
_ZN7rocprim17ROCPRIM_400000_NS6detail17trampoline_kernelINS0_14default_configENS1_35radix_sort_onesweep_config_selectorIalEEZZNS1_29radix_sort_onesweep_iterationIS3_Lb0EPaS7_N6thrust23THRUST_200600_302600_NS10device_ptrIlEESB_jNS0_19identity_decomposerENS1_16block_id_wrapperIjLb1EEEEE10hipError_tT1_PNSt15iterator_traitsISG_E10value_typeET2_T3_PNSH_ISM_E10value_typeET4_T5_PSR_SS_PNS1_23onesweep_lookback_stateEbbT6_jjT7_P12ihipStream_tbENKUlT_T0_SG_SL_E_clIS7_S7_SB_SB_EEDaSZ_S10_SG_SL_EUlSZ_E_NS1_11comp_targetILNS1_3genE4ELNS1_11target_archE910ELNS1_3gpuE8ELNS1_3repE0EEENS1_47radix_sort_onesweep_sort_config_static_selectorELNS0_4arch9wavefront6targetE1EEEvSG_: ; @_ZN7rocprim17ROCPRIM_400000_NS6detail17trampoline_kernelINS0_14default_configENS1_35radix_sort_onesweep_config_selectorIalEEZZNS1_29radix_sort_onesweep_iterationIS3_Lb0EPaS7_N6thrust23THRUST_200600_302600_NS10device_ptrIlEESB_jNS0_19identity_decomposerENS1_16block_id_wrapperIjLb1EEEEE10hipError_tT1_PNSt15iterator_traitsISG_E10value_typeET2_T3_PNSH_ISM_E10value_typeET4_T5_PSR_SS_PNS1_23onesweep_lookback_stateEbbT6_jjT7_P12ihipStream_tbENKUlT_T0_SG_SL_E_clIS7_S7_SB_SB_EEDaSZ_S10_SG_SL_EUlSZ_E_NS1_11comp_targetILNS1_3genE4ELNS1_11target_archE910ELNS1_3gpuE8ELNS1_3repE0EEENS1_47radix_sort_onesweep_sort_config_static_selectorELNS0_4arch9wavefront6targetE1EEEvSG_
; %bb.0:
	s_load_dwordx4 s[44:47], s[4:5], 0x28
	s_load_dwordx2 s[30:31], s[4:5], 0x38
	s_load_dwordx4 s[48:51], s[4:5], 0x44
	v_and_b32_e32 v10, 0x3ff, v0
	v_cmp_eq_u32_e64 s[0:1], 0, v10
	s_and_saveexec_b64 s[2:3], s[0:1]
	s_cbranch_execz .LBB604_4
; %bb.1:
	s_mov_b64 s[10:11], exec
	v_mbcnt_lo_u32_b32 v1, s10, 0
	v_mbcnt_hi_u32_b32 v1, s11, v1
	v_cmp_eq_u32_e32 vcc, 0, v1
                                        ; implicit-def: $vgpr2
	s_and_saveexec_b64 s[8:9], vcc
	s_cbranch_execz .LBB604_3
; %bb.2:
	s_load_dwordx2 s[12:13], s[4:5], 0x50
	s_bcnt1_i32_b64 s7, s[10:11]
	v_mov_b32_e32 v2, 0
	v_mov_b32_e32 v3, s7
	s_waitcnt lgkmcnt(0)
	global_atomic_add v2, v2, v3, s[12:13] glc
.LBB604_3:
	s_or_b64 exec, exec, s[8:9]
	s_waitcnt vmcnt(0)
	v_readfirstlane_b32 s7, v2
	v_add_u32_e32 v1, s7, v1
	v_mov_b32_e32 v2, 0
	ds_write_b32 v2, v1 offset:20544
.LBB604_4:
	s_or_b64 exec, exec, s[2:3]
	v_mov_b32_e32 v1, 0
	s_load_dwordx8 s[36:43], s[4:5], 0x0
	s_load_dword s2, s[4:5], 0x20
	s_waitcnt lgkmcnt(0)
	s_barrier
	ds_read_b32 v1, v1 offset:20544
	v_mbcnt_lo_u32_b32 v30, -1, 0
	s_waitcnt lgkmcnt(0)
	s_barrier
	v_cmp_le_u32_e32 vcc, s50, v1
	v_readfirstlane_b32 s33, v1
	v_lshlrev_b32_e32 v1, 3, v10
	s_cbranch_vccz .LBB604_88
; %bb.5:
	s_lshl_b32 s3, s50, 13
	s_sub_i32 s7, s2, s3
	s_lshl_b32 s34, s33, 13
	s_add_u32 s2, s36, s34
	v_mbcnt_hi_u32_b32 v6, -1, v30
	s_addc_u32 s3, s37, 0
	v_and_b32_e32 v14, 63, v6
	v_mov_b32_e32 v2, s3
	v_add_co_u32_e32 v3, vcc, s2, v14
	v_and_b32_e32 v12, 0x1e00, v1
	v_addc_co_u32_e32 v4, vcc, 0, v2, vcc
	v_add_co_u32_e32 v2, vcc, v3, v12
	v_addc_co_u32_e32 v3, vcc, 0, v4, vcc
	v_or_b32_e32 v5, v14, v12
	s_mov_b32 s35, 0
	v_cmp_gt_u32_e32 vcc, s7, v5
	v_mov_b32_e32 v4, 0x7f
	v_mov_b32_e32 v7, 0x7f
	;; [unrolled: 1-line block ×8, first 2 shown]
	s_and_saveexec_b64 s[2:3], vcc
	s_cbranch_execz .LBB604_7
; %bb.6:
	global_load_ubyte v4, v[2:3], off
	v_mov_b32_e32 v11, 0x7f
	v_mov_b32_e32 v21, 0x7f
	;; [unrolled: 1-line block ×7, first 2 shown]
.LBB604_7:
	s_or_b64 exec, exec, s[2:3]
	v_or_b32_e32 v8, 64, v5
	v_cmp_gt_u32_e64 s[2:3], s7, v8
	s_and_saveexec_b64 s[8:9], s[2:3]
	s_cbranch_execz .LBB604_9
; %bb.8:
	global_load_ubyte v11, v[2:3], off offset:64
.LBB604_9:
	s_or_b64 exec, exec, s[8:9]
	v_or_b32_e32 v8, 0x80, v5
	v_cmp_gt_u32_e64 s[26:27], s7, v8
	s_and_saveexec_b64 s[8:9], s[26:27]
	s_cbranch_execz .LBB604_11
; %bb.10:
	global_load_ubyte v21, v[2:3], off offset:128
.LBB604_11:
	;; [unrolled: 8-line block ×7, first 2 shown]
	s_or_b64 exec, exec, s[18:19]
	s_load_dword s18, s[4:5], 0x64
	s_load_dword s52, s[4:5], 0x58
	s_add_u32 s19, s4, 0x58
	s_addc_u32 s20, s5, 0
	v_mov_b32_e32 v2, 0
	s_waitcnt lgkmcnt(0)
	s_lshr_b32 s21, s18, 16
	s_cmp_lt_u32 s6, s52
	s_cselect_b32 s18, 12, 18
	s_add_u32 s18, s19, s18
	s_addc_u32 s19, s20, 0
	global_load_ushort v5, v2, s[18:19]
	s_waitcnt vmcnt(1)
	v_xor_b32_e32 v8, 0xffffff80, v4
	s_lshl_b32 s18, -1, s49
	v_lshrrev_b32_sdwa v15, s48, v8 dst_sel:DWORD dst_unused:UNUSED_PAD src0_sel:DWORD src1_sel:BYTE_0
	s_not_b32 s53, s18
	v_and_b32_e32 v15, s53, v15
	v_and_b32_e32 v18, 1, v15
	v_bfe_u32 v3, v0, 10, 10
	v_bfe_u32 v4, v0, 20, 10
	v_add_co_u32_e64 v19, s[18:19], -1, v18
	v_mad_u32_u24 v4, v4, s21, v3
	v_lshlrev_b32_e32 v3, 30, v15
	v_addc_co_u32_e64 v22, s[18:19], 0, -1, s[18:19]
	v_cmp_ne_u32_e64 s[18:19], 0, v18
	v_cmp_gt_i64_e64 s[20:21], 0, v[2:3]
	v_not_b32_e32 v18, v3
	v_lshlrev_b32_e32 v3, 29, v15
	v_xor_b32_e32 v22, s19, v22
	v_xor_b32_e32 v19, s18, v19
	v_ashrrev_i32_e32 v18, 31, v18
	v_cmp_gt_i64_e64 s[18:19], 0, v[2:3]
	v_not_b32_e32 v24, v3
	v_lshlrev_b32_e32 v3, 28, v15
	v_and_b32_e32 v22, exec_hi, v22
	v_and_b32_e32 v19, exec_lo, v19
	v_xor_b32_e32 v25, s21, v18
	v_xor_b32_e32 v18, s20, v18
	v_ashrrev_i32_e32 v24, 31, v24
	v_cmp_gt_i64_e64 s[20:21], 0, v[2:3]
	v_not_b32_e32 v26, v3
	v_lshlrev_b32_e32 v3, 27, v15
	v_and_b32_e32 v22, v22, v25
	v_and_b32_e32 v18, v19, v18
	v_xor_b32_e32 v19, s19, v24
	v_xor_b32_e32 v24, s18, v24
	v_ashrrev_i32_e32 v25, 31, v26
	v_cmp_gt_i64_e64 s[18:19], 0, v[2:3]
	v_not_b32_e32 v26, v3
	v_lshlrev_b32_e32 v3, 26, v15
	v_and_b32_e32 v19, v22, v19
	v_and_b32_e32 v18, v18, v24
	;; [unrolled: 8-line block ×3, first 2 shown]
	v_xor_b32_e32 v22, s19, v25
	v_xor_b32_e32 v24, s18, v25
	v_ashrrev_i32_e32 v25, 31, v26
	v_cmp_gt_i64_e64 s[18:19], 0, v[2:3]
	v_not_b32_e32 v26, v3
	v_lshlrev_b32_e32 v3, 24, v15
	v_mul_u32_u24_e32 v17, 17, v15
	v_and_b32_e32 v15, v19, v22
	v_and_b32_e32 v18, v18, v24
	v_xor_b32_e32 v19, s21, v25
	v_xor_b32_e32 v22, s20, v25
	v_ashrrev_i32_e32 v24, 31, v26
	v_cmp_gt_i64_e64 s[20:21], 0, v[2:3]
	v_not_b32_e32 v3, v3
	v_and_b32_e32 v15, v15, v19
	v_and_b32_e32 v18, v18, v22
	v_xor_b32_e32 v19, s19, v24
	v_xor_b32_e32 v22, s18, v24
	v_ashrrev_i32_e32 v3, 31, v3
	v_and_b32_e32 v15, v15, v19
	v_and_b32_e32 v19, v18, v22
	v_mul_u32_u24_e32 v13, 5, v10
	v_lshlrev_b32_e32 v13, 2, v13
	ds_write2_b32 v13, v2, v2 offset0:16 offset1:17
	ds_write2_b32 v13, v2, v2 offset0:18 offset1:19
	ds_write_b32 v13, v2 offset:80
	s_waitcnt lgkmcnt(0)
	s_barrier
	s_waitcnt lgkmcnt(0)
	; wave barrier
	s_waitcnt vmcnt(0)
	v_mad_u64_u32 v[4:5], s[18:19], v4, v5, v[10:11]
	v_lshrrev_b32_e32 v24, 6, v4
	v_xor_b32_e32 v4, s21, v3
	v_xor_b32_e32 v3, s20, v3
	v_and_b32_e32 v5, v15, v4
	v_and_b32_e32 v4, v19, v3
	v_mbcnt_lo_u32_b32 v3, v4, 0
	v_mbcnt_hi_u32_b32 v15, v5, v3
	v_cmp_eq_u32_e64 s[18:19], 0, v15
	v_cmp_ne_u64_e64 s[20:21], 0, v[4:5]
	v_add_lshl_u32 v18, v24, v17, 2
	s_and_b64 s[20:21], s[20:21], s[18:19]
	s_and_saveexec_b64 s[18:19], s[20:21]
	s_cbranch_execz .LBB604_23
; %bb.22:
	v_bcnt_u32_b32 v3, v4, 0
	v_bcnt_u32_b32 v3, v5, v3
	ds_write_b32 v18, v3 offset:64
.LBB604_23:
	s_or_b64 exec, exec, s[18:19]
	v_xor_b32_e32 v17, 0xffffff80, v11
	v_lshrrev_b32_sdwa v3, s48, v17 dst_sel:DWORD dst_unused:UNUSED_PAD src0_sel:DWORD src1_sel:BYTE_0
	v_and_b32_e32 v4, s53, v3
	v_mul_u32_u24_e32 v3, 17, v4
	v_add_lshl_u32 v19, v24, v3, 2
	v_and_b32_e32 v3, 1, v4
	v_add_co_u32_e64 v5, s[18:19], -1, v3
	v_addc_co_u32_e64 v22, s[18:19], 0, -1, s[18:19]
	v_cmp_ne_u32_e64 s[18:19], 0, v3
	v_xor_b32_e32 v3, s19, v22
	v_and_b32_e32 v22, exec_hi, v3
	v_lshlrev_b32_e32 v3, 30, v4
	v_xor_b32_e32 v5, s18, v5
	v_cmp_gt_i64_e64 s[18:19], 0, v[2:3]
	v_not_b32_e32 v3, v3
	v_ashrrev_i32_e32 v3, 31, v3
	v_and_b32_e32 v5, exec_lo, v5
	v_xor_b32_e32 v25, s19, v3
	v_xor_b32_e32 v3, s18, v3
	v_and_b32_e32 v5, v5, v3
	v_lshlrev_b32_e32 v3, 29, v4
	v_cmp_gt_i64_e64 s[18:19], 0, v[2:3]
	v_not_b32_e32 v3, v3
	v_ashrrev_i32_e32 v3, 31, v3
	v_and_b32_e32 v22, v22, v25
	v_xor_b32_e32 v25, s19, v3
	v_xor_b32_e32 v3, s18, v3
	v_and_b32_e32 v5, v5, v3
	v_lshlrev_b32_e32 v3, 28, v4
	v_cmp_gt_i64_e64 s[18:19], 0, v[2:3]
	v_not_b32_e32 v3, v3
	v_ashrrev_i32_e32 v3, 31, v3
	v_and_b32_e32 v22, v22, v25
	;; [unrolled: 8-line block ×5, first 2 shown]
	v_xor_b32_e32 v25, s19, v3
	v_xor_b32_e32 v3, s18, v3
	v_and_b32_e32 v5, v5, v3
	v_lshlrev_b32_e32 v3, 24, v4
	v_cmp_gt_i64_e64 s[18:19], 0, v[2:3]
	v_not_b32_e32 v2, v3
	v_ashrrev_i32_e32 v2, 31, v2
	v_xor_b32_e32 v3, s19, v2
	v_xor_b32_e32 v2, s18, v2
	; wave barrier
	ds_read_b32 v11, v19 offset:64
	v_and_b32_e32 v22, v22, v25
	v_and_b32_e32 v2, v5, v2
	;; [unrolled: 1-line block ×3, first 2 shown]
	v_mbcnt_lo_u32_b32 v4, v2, 0
	v_mbcnt_hi_u32_b32 v31, v3, v4
	v_cmp_eq_u32_e64 s[18:19], 0, v31
	v_cmp_ne_u64_e64 s[20:21], 0, v[2:3]
	s_and_b64 s[20:21], s[20:21], s[18:19]
	; wave barrier
	s_and_saveexec_b64 s[18:19], s[20:21]
	s_cbranch_execz .LBB604_25
; %bb.24:
	v_bcnt_u32_b32 v2, v2, 0
	v_bcnt_u32_b32 v2, v3, v2
	s_waitcnt lgkmcnt(0)
	v_add_u32_e32 v2, v11, v2
	ds_write_b32 v19, v2 offset:64
.LBB604_25:
	s_or_b64 exec, exec, s[18:19]
	v_xor_b32_e32 v21, 0xffffff80, v21
	v_lshrrev_b32_sdwa v2, s48, v21 dst_sel:DWORD dst_unused:UNUSED_PAD src0_sel:DWORD src1_sel:BYTE_0
	v_and_b32_e32 v4, s53, v2
	v_and_b32_e32 v3, 1, v4
	v_add_co_u32_e64 v5, s[18:19], -1, v3
	v_addc_co_u32_e64 v25, s[18:19], 0, -1, s[18:19]
	v_cmp_ne_u32_e64 s[18:19], 0, v3
	v_mul_u32_u24_e32 v2, 17, v4
	v_xor_b32_e32 v3, s19, v25
	v_add_lshl_u32 v22, v24, v2, 2
	v_mov_b32_e32 v2, 0
	v_and_b32_e32 v25, exec_hi, v3
	v_lshlrev_b32_e32 v3, 30, v4
	v_xor_b32_e32 v5, s18, v5
	v_cmp_gt_i64_e64 s[18:19], 0, v[2:3]
	v_not_b32_e32 v3, v3
	v_ashrrev_i32_e32 v3, 31, v3
	v_and_b32_e32 v5, exec_lo, v5
	v_xor_b32_e32 v26, s19, v3
	v_xor_b32_e32 v3, s18, v3
	v_and_b32_e32 v5, v5, v3
	v_lshlrev_b32_e32 v3, 29, v4
	v_cmp_gt_i64_e64 s[18:19], 0, v[2:3]
	v_not_b32_e32 v3, v3
	v_ashrrev_i32_e32 v3, 31, v3
	v_and_b32_e32 v25, v25, v26
	v_xor_b32_e32 v26, s19, v3
	v_xor_b32_e32 v3, s18, v3
	v_and_b32_e32 v5, v5, v3
	v_lshlrev_b32_e32 v3, 28, v4
	v_cmp_gt_i64_e64 s[18:19], 0, v[2:3]
	v_not_b32_e32 v3, v3
	v_ashrrev_i32_e32 v3, 31, v3
	v_and_b32_e32 v25, v25, v26
	;; [unrolled: 8-line block ×5, first 2 shown]
	v_xor_b32_e32 v26, s19, v3
	v_xor_b32_e32 v3, s18, v3
	v_and_b32_e32 v25, v25, v26
	v_and_b32_e32 v26, v5, v3
	v_lshlrev_b32_e32 v3, 24, v4
	v_cmp_gt_i64_e64 s[18:19], 0, v[2:3]
	v_not_b32_e32 v3, v3
	v_ashrrev_i32_e32 v3, 31, v3
	v_xor_b32_e32 v4, s19, v3
	v_xor_b32_e32 v3, s18, v3
	; wave barrier
	ds_read_b32 v32, v22 offset:64
	v_and_b32_e32 v5, v25, v4
	v_and_b32_e32 v4, v26, v3
	v_mbcnt_lo_u32_b32 v3, v4, 0
	v_mbcnt_hi_u32_b32 v33, v5, v3
	v_cmp_eq_u32_e64 s[18:19], 0, v33
	v_cmp_ne_u64_e64 s[20:21], 0, v[4:5]
	s_and_b64 s[20:21], s[20:21], s[18:19]
	; wave barrier
	s_and_saveexec_b64 s[18:19], s[20:21]
	s_cbranch_execz .LBB604_27
; %bb.26:
	v_bcnt_u32_b32 v3, v4, 0
	v_bcnt_u32_b32 v3, v5, v3
	s_waitcnt lgkmcnt(0)
	v_add_u32_e32 v3, v32, v3
	ds_write_b32 v22, v3 offset:64
.LBB604_27:
	s_or_b64 exec, exec, s[18:19]
	v_xor_b32_e32 v23, 0xffffff80, v23
	v_lshrrev_b32_sdwa v3, s48, v23 dst_sel:DWORD dst_unused:UNUSED_PAD src0_sel:DWORD src1_sel:BYTE_0
	v_and_b32_e32 v4, s53, v3
	v_mul_u32_u24_e32 v3, 17, v4
	v_add_lshl_u32 v25, v24, v3, 2
	v_and_b32_e32 v3, 1, v4
	v_add_co_u32_e64 v5, s[18:19], -1, v3
	v_addc_co_u32_e64 v26, s[18:19], 0, -1, s[18:19]
	v_cmp_ne_u32_e64 s[18:19], 0, v3
	v_xor_b32_e32 v3, s19, v26
	v_and_b32_e32 v26, exec_hi, v3
	v_lshlrev_b32_e32 v3, 30, v4
	v_xor_b32_e32 v5, s18, v5
	v_cmp_gt_i64_e64 s[18:19], 0, v[2:3]
	v_not_b32_e32 v3, v3
	v_ashrrev_i32_e32 v3, 31, v3
	v_and_b32_e32 v5, exec_lo, v5
	v_xor_b32_e32 v27, s19, v3
	v_xor_b32_e32 v3, s18, v3
	v_and_b32_e32 v5, v5, v3
	v_lshlrev_b32_e32 v3, 29, v4
	v_cmp_gt_i64_e64 s[18:19], 0, v[2:3]
	v_not_b32_e32 v3, v3
	v_ashrrev_i32_e32 v3, 31, v3
	v_and_b32_e32 v26, v26, v27
	v_xor_b32_e32 v27, s19, v3
	v_xor_b32_e32 v3, s18, v3
	v_and_b32_e32 v5, v5, v3
	v_lshlrev_b32_e32 v3, 28, v4
	v_cmp_gt_i64_e64 s[18:19], 0, v[2:3]
	v_not_b32_e32 v3, v3
	v_ashrrev_i32_e32 v3, 31, v3
	v_and_b32_e32 v26, v26, v27
	;; [unrolled: 8-line block ×5, first 2 shown]
	v_xor_b32_e32 v27, s19, v3
	v_xor_b32_e32 v3, s18, v3
	v_and_b32_e32 v5, v5, v3
	v_lshlrev_b32_e32 v3, 24, v4
	v_cmp_gt_i64_e64 s[18:19], 0, v[2:3]
	v_not_b32_e32 v2, v3
	v_ashrrev_i32_e32 v2, 31, v2
	v_xor_b32_e32 v3, s19, v2
	v_xor_b32_e32 v2, s18, v2
	; wave barrier
	ds_read_b32 v34, v25 offset:64
	v_and_b32_e32 v26, v26, v27
	v_and_b32_e32 v2, v5, v2
	;; [unrolled: 1-line block ×3, first 2 shown]
	v_mbcnt_lo_u32_b32 v4, v2, 0
	v_mbcnt_hi_u32_b32 v35, v3, v4
	v_cmp_eq_u32_e64 s[18:19], 0, v35
	v_cmp_ne_u64_e64 s[20:21], 0, v[2:3]
	s_and_b64 s[20:21], s[20:21], s[18:19]
	; wave barrier
	s_and_saveexec_b64 s[18:19], s[20:21]
	s_cbranch_execz .LBB604_29
; %bb.28:
	v_bcnt_u32_b32 v2, v2, 0
	v_bcnt_u32_b32 v2, v3, v2
	s_waitcnt lgkmcnt(0)
	v_add_u32_e32 v2, v34, v2
	ds_write_b32 v25, v2 offset:64
.LBB604_29:
	s_or_b64 exec, exec, s[18:19]
	v_xor_b32_e32 v20, 0xffffff80, v20
	v_lshrrev_b32_sdwa v2, s48, v20 dst_sel:DWORD dst_unused:UNUSED_PAD src0_sel:DWORD src1_sel:BYTE_0
	v_and_b32_e32 v4, s53, v2
	v_and_b32_e32 v3, 1, v4
	v_add_co_u32_e64 v5, s[18:19], -1, v3
	v_addc_co_u32_e64 v27, s[18:19], 0, -1, s[18:19]
	v_cmp_ne_u32_e64 s[18:19], 0, v3
	v_mul_u32_u24_e32 v2, 17, v4
	v_xor_b32_e32 v3, s19, v27
	v_add_lshl_u32 v26, v24, v2, 2
	v_mov_b32_e32 v2, 0
	v_and_b32_e32 v27, exec_hi, v3
	v_lshlrev_b32_e32 v3, 30, v4
	v_xor_b32_e32 v5, s18, v5
	v_cmp_gt_i64_e64 s[18:19], 0, v[2:3]
	v_not_b32_e32 v3, v3
	v_ashrrev_i32_e32 v3, 31, v3
	v_and_b32_e32 v5, exec_lo, v5
	v_xor_b32_e32 v28, s19, v3
	v_xor_b32_e32 v3, s18, v3
	v_and_b32_e32 v5, v5, v3
	v_lshlrev_b32_e32 v3, 29, v4
	v_cmp_gt_i64_e64 s[18:19], 0, v[2:3]
	v_not_b32_e32 v3, v3
	v_ashrrev_i32_e32 v3, 31, v3
	v_and_b32_e32 v27, v27, v28
	v_xor_b32_e32 v28, s19, v3
	v_xor_b32_e32 v3, s18, v3
	v_and_b32_e32 v5, v5, v3
	v_lshlrev_b32_e32 v3, 28, v4
	v_cmp_gt_i64_e64 s[18:19], 0, v[2:3]
	v_not_b32_e32 v3, v3
	v_ashrrev_i32_e32 v3, 31, v3
	v_and_b32_e32 v27, v27, v28
	;; [unrolled: 8-line block ×5, first 2 shown]
	v_xor_b32_e32 v28, s19, v3
	v_xor_b32_e32 v3, s18, v3
	v_and_b32_e32 v27, v27, v28
	v_and_b32_e32 v28, v5, v3
	v_lshlrev_b32_e32 v3, 24, v4
	v_cmp_gt_i64_e64 s[18:19], 0, v[2:3]
	v_not_b32_e32 v3, v3
	v_ashrrev_i32_e32 v3, 31, v3
	v_xor_b32_e32 v4, s19, v3
	v_xor_b32_e32 v3, s18, v3
	; wave barrier
	ds_read_b32 v36, v26 offset:64
	v_and_b32_e32 v5, v27, v4
	v_and_b32_e32 v4, v28, v3
	v_mbcnt_lo_u32_b32 v3, v4, 0
	v_mbcnt_hi_u32_b32 v37, v5, v3
	v_cmp_eq_u32_e64 s[18:19], 0, v37
	v_cmp_ne_u64_e64 s[20:21], 0, v[4:5]
	s_and_b64 s[20:21], s[20:21], s[18:19]
	; wave barrier
	s_and_saveexec_b64 s[18:19], s[20:21]
	s_cbranch_execz .LBB604_31
; %bb.30:
	v_bcnt_u32_b32 v3, v4, 0
	v_bcnt_u32_b32 v3, v5, v3
	s_waitcnt lgkmcnt(0)
	v_add_u32_e32 v3, v36, v3
	ds_write_b32 v26, v3 offset:64
.LBB604_31:
	s_or_b64 exec, exec, s[18:19]
	v_xor_b32_e32 v16, 0xffffff80, v16
	v_lshrrev_b32_sdwa v3, s48, v16 dst_sel:DWORD dst_unused:UNUSED_PAD src0_sel:DWORD src1_sel:BYTE_0
	v_and_b32_e32 v4, s53, v3
	v_mul_u32_u24_e32 v3, 17, v4
	v_add_lshl_u32 v27, v24, v3, 2
	v_and_b32_e32 v3, 1, v4
	v_add_co_u32_e64 v5, s[18:19], -1, v3
	v_addc_co_u32_e64 v28, s[18:19], 0, -1, s[18:19]
	v_cmp_ne_u32_e64 s[18:19], 0, v3
	v_xor_b32_e32 v3, s19, v28
	v_and_b32_e32 v28, exec_hi, v3
	v_lshlrev_b32_e32 v3, 30, v4
	v_xor_b32_e32 v5, s18, v5
	v_cmp_gt_i64_e64 s[18:19], 0, v[2:3]
	v_not_b32_e32 v3, v3
	v_ashrrev_i32_e32 v3, 31, v3
	v_and_b32_e32 v5, exec_lo, v5
	v_xor_b32_e32 v29, s19, v3
	v_xor_b32_e32 v3, s18, v3
	v_and_b32_e32 v5, v5, v3
	v_lshlrev_b32_e32 v3, 29, v4
	v_cmp_gt_i64_e64 s[18:19], 0, v[2:3]
	v_not_b32_e32 v3, v3
	v_ashrrev_i32_e32 v3, 31, v3
	v_and_b32_e32 v28, v28, v29
	v_xor_b32_e32 v29, s19, v3
	v_xor_b32_e32 v3, s18, v3
	v_and_b32_e32 v5, v5, v3
	v_lshlrev_b32_e32 v3, 28, v4
	v_cmp_gt_i64_e64 s[18:19], 0, v[2:3]
	v_not_b32_e32 v3, v3
	v_ashrrev_i32_e32 v3, 31, v3
	v_and_b32_e32 v28, v28, v29
	;; [unrolled: 8-line block ×5, first 2 shown]
	v_xor_b32_e32 v29, s19, v3
	v_xor_b32_e32 v3, s18, v3
	v_and_b32_e32 v5, v5, v3
	v_lshlrev_b32_e32 v3, 24, v4
	v_cmp_gt_i64_e64 s[18:19], 0, v[2:3]
	v_not_b32_e32 v2, v3
	v_ashrrev_i32_e32 v2, 31, v2
	v_xor_b32_e32 v3, s19, v2
	v_xor_b32_e32 v2, s18, v2
	; wave barrier
	ds_read_b32 v38, v27 offset:64
	v_and_b32_e32 v28, v28, v29
	v_and_b32_e32 v2, v5, v2
	;; [unrolled: 1-line block ×3, first 2 shown]
	v_mbcnt_lo_u32_b32 v4, v2, 0
	v_mbcnt_hi_u32_b32 v39, v3, v4
	v_cmp_eq_u32_e64 s[18:19], 0, v39
	v_cmp_ne_u64_e64 s[20:21], 0, v[2:3]
	s_and_b64 s[20:21], s[20:21], s[18:19]
	; wave barrier
	s_and_saveexec_b64 s[18:19], s[20:21]
	s_cbranch_execz .LBB604_33
; %bb.32:
	v_bcnt_u32_b32 v2, v2, 0
	v_bcnt_u32_b32 v2, v3, v2
	s_waitcnt lgkmcnt(0)
	v_add_u32_e32 v2, v38, v2
	ds_write_b32 v27, v2 offset:64
.LBB604_33:
	s_or_b64 exec, exec, s[18:19]
	v_xor_b32_e32 v9, 0xffffff80, v9
	v_lshrrev_b32_sdwa v2, s48, v9 dst_sel:DWORD dst_unused:UNUSED_PAD src0_sel:DWORD src1_sel:BYTE_0
	v_and_b32_e32 v4, s53, v2
	v_and_b32_e32 v3, 1, v4
	v_add_co_u32_e64 v5, s[18:19], -1, v3
	v_addc_co_u32_e64 v29, s[18:19], 0, -1, s[18:19]
	v_cmp_ne_u32_e64 s[18:19], 0, v3
	v_mul_u32_u24_e32 v2, 17, v4
	v_xor_b32_e32 v3, s19, v29
	v_add_lshl_u32 v28, v24, v2, 2
	v_mov_b32_e32 v2, 0
	v_and_b32_e32 v29, exec_hi, v3
	v_lshlrev_b32_e32 v3, 30, v4
	v_xor_b32_e32 v5, s18, v5
	v_cmp_gt_i64_e64 s[18:19], 0, v[2:3]
	v_not_b32_e32 v3, v3
	v_ashrrev_i32_e32 v3, 31, v3
	v_and_b32_e32 v5, exec_lo, v5
	v_xor_b32_e32 v41, s19, v3
	v_xor_b32_e32 v3, s18, v3
	v_and_b32_e32 v5, v5, v3
	v_lshlrev_b32_e32 v3, 29, v4
	v_cmp_gt_i64_e64 s[18:19], 0, v[2:3]
	v_not_b32_e32 v3, v3
	v_ashrrev_i32_e32 v3, 31, v3
	v_and_b32_e32 v29, v29, v41
	v_xor_b32_e32 v41, s19, v3
	v_xor_b32_e32 v3, s18, v3
	v_and_b32_e32 v5, v5, v3
	v_lshlrev_b32_e32 v3, 28, v4
	v_cmp_gt_i64_e64 s[18:19], 0, v[2:3]
	v_not_b32_e32 v3, v3
	v_ashrrev_i32_e32 v3, 31, v3
	v_and_b32_e32 v29, v29, v41
	;; [unrolled: 8-line block ×5, first 2 shown]
	v_xor_b32_e32 v41, s19, v3
	v_xor_b32_e32 v3, s18, v3
	v_and_b32_e32 v29, v29, v41
	v_and_b32_e32 v41, v5, v3
	v_lshlrev_b32_e32 v3, 24, v4
	v_cmp_gt_i64_e64 s[18:19], 0, v[2:3]
	v_not_b32_e32 v3, v3
	v_ashrrev_i32_e32 v3, 31, v3
	v_xor_b32_e32 v4, s19, v3
	v_xor_b32_e32 v3, s18, v3
	; wave barrier
	ds_read_b32 v40, v28 offset:64
	v_and_b32_e32 v5, v29, v4
	v_and_b32_e32 v4, v41, v3
	v_mbcnt_lo_u32_b32 v3, v4, 0
	v_mbcnt_hi_u32_b32 v41, v5, v3
	v_cmp_eq_u32_e64 s[18:19], 0, v41
	v_cmp_ne_u64_e64 s[20:21], 0, v[4:5]
	s_and_b64 s[20:21], s[20:21], s[18:19]
	; wave barrier
	s_and_saveexec_b64 s[18:19], s[20:21]
	s_cbranch_execz .LBB604_35
; %bb.34:
	v_bcnt_u32_b32 v3, v4, 0
	v_bcnt_u32_b32 v3, v5, v3
	s_waitcnt lgkmcnt(0)
	v_add_u32_e32 v3, v40, v3
	ds_write_b32 v28, v3 offset:64
.LBB604_35:
	s_or_b64 exec, exec, s[18:19]
	v_xor_b32_e32 v7, 0xffffff80, v7
	v_lshrrev_b32_sdwa v3, s48, v7 dst_sel:DWORD dst_unused:UNUSED_PAD src0_sel:DWORD src1_sel:BYTE_0
	v_and_b32_e32 v4, s53, v3
	v_mul_u32_u24_e32 v3, 17, v4
	v_add_lshl_u32 v24, v24, v3, 2
	v_and_b32_e32 v3, 1, v4
	v_add_co_u32_e64 v5, s[18:19], -1, v3
	v_addc_co_u32_e64 v43, s[18:19], 0, -1, s[18:19]
	v_cmp_ne_u32_e64 s[18:19], 0, v3
	v_xor_b32_e32 v3, s19, v43
	v_and_b32_e32 v43, exec_hi, v3
	v_lshlrev_b32_e32 v3, 30, v4
	v_xor_b32_e32 v5, s18, v5
	v_cmp_gt_i64_e64 s[18:19], 0, v[2:3]
	v_not_b32_e32 v3, v3
	v_ashrrev_i32_e32 v3, 31, v3
	v_and_b32_e32 v5, exec_lo, v5
	v_xor_b32_e32 v44, s19, v3
	v_xor_b32_e32 v3, s18, v3
	v_and_b32_e32 v5, v5, v3
	v_lshlrev_b32_e32 v3, 29, v4
	v_cmp_gt_i64_e64 s[18:19], 0, v[2:3]
	v_not_b32_e32 v3, v3
	v_ashrrev_i32_e32 v3, 31, v3
	v_and_b32_e32 v43, v43, v44
	v_xor_b32_e32 v44, s19, v3
	v_xor_b32_e32 v3, s18, v3
	v_and_b32_e32 v5, v5, v3
	v_lshlrev_b32_e32 v3, 28, v4
	v_cmp_gt_i64_e64 s[18:19], 0, v[2:3]
	v_not_b32_e32 v3, v3
	v_ashrrev_i32_e32 v3, 31, v3
	v_and_b32_e32 v43, v43, v44
	v_xor_b32_e32 v44, s19, v3
	v_xor_b32_e32 v3, s18, v3
	v_and_b32_e32 v5, v5, v3
	v_lshlrev_b32_e32 v3, 27, v4
	v_cmp_gt_i64_e64 s[18:19], 0, v[2:3]
	v_not_b32_e32 v3, v3
	v_ashrrev_i32_e32 v3, 31, v3
	v_and_b32_e32 v43, v43, v44
	v_xor_b32_e32 v44, s19, v3
	v_xor_b32_e32 v3, s18, v3
	v_and_b32_e32 v5, v5, v3
	v_lshlrev_b32_e32 v3, 26, v4
	v_cmp_gt_i64_e64 s[18:19], 0, v[2:3]
	v_not_b32_e32 v3, v3
	v_ashrrev_i32_e32 v3, 31, v3
	v_and_b32_e32 v43, v43, v44
	v_xor_b32_e32 v44, s19, v3
	v_xor_b32_e32 v3, s18, v3
	v_and_b32_e32 v5, v5, v3
	v_lshlrev_b32_e32 v3, 25, v4
	v_cmp_gt_i64_e64 s[18:19], 0, v[2:3]
	v_not_b32_e32 v3, v3
	v_ashrrev_i32_e32 v3, 31, v3
	v_and_b32_e32 v43, v43, v44
	v_xor_b32_e32 v44, s19, v3
	v_xor_b32_e32 v3, s18, v3
	v_and_b32_e32 v5, v5, v3
	v_lshlrev_b32_e32 v3, 24, v4
	v_cmp_gt_i64_e64 s[18:19], 0, v[2:3]
	v_not_b32_e32 v2, v3
	v_ashrrev_i32_e32 v2, 31, v2
	v_xor_b32_e32 v3, s19, v2
	v_xor_b32_e32 v2, s18, v2
	; wave barrier
	ds_read_b32 v42, v24 offset:64
	v_and_b32_e32 v43, v43, v44
	v_and_b32_e32 v2, v5, v2
	;; [unrolled: 1-line block ×3, first 2 shown]
	v_mbcnt_lo_u32_b32 v4, v2, 0
	v_mbcnt_hi_u32_b32 v45, v3, v4
	v_cmp_eq_u32_e64 s[18:19], 0, v45
	v_cmp_ne_u64_e64 s[20:21], 0, v[2:3]
	v_add_u32_e32 v29, 64, v13
	s_and_b64 s[20:21], s[20:21], s[18:19]
	; wave barrier
	s_and_saveexec_b64 s[18:19], s[20:21]
	s_cbranch_execz .LBB604_37
; %bb.36:
	v_bcnt_u32_b32 v2, v2, 0
	v_bcnt_u32_b32 v2, v3, v2
	s_waitcnt lgkmcnt(0)
	v_add_u32_e32 v2, v42, v2
	ds_write_b32 v24, v2 offset:64
.LBB604_37:
	s_or_b64 exec, exec, s[18:19]
	; wave barrier
	s_waitcnt lgkmcnt(0)
	s_barrier
	ds_read2_b32 v[4:5], v13 offset0:16 offset1:17
	ds_read2_b32 v[2:3], v29 offset0:2 offset1:3
	ds_read_b32 v43, v29 offset:16
	v_cmp_lt_u32_e64 s[28:29], 31, v6
	s_waitcnt lgkmcnt(1)
	v_add3_u32 v44, v5, v4, v2
	s_waitcnt lgkmcnt(0)
	v_add3_u32 v43, v44, v3, v43
	v_and_b32_e32 v44, 15, v6
	v_cmp_eq_u32_e64 s[18:19], 0, v44
	v_mov_b32_dpp v46, v43 row_shr:1 row_mask:0xf bank_mask:0xf
	v_cndmask_b32_e64 v46, v46, 0, s[18:19]
	v_add_u32_e32 v43, v46, v43
	v_cmp_lt_u32_e64 s[20:21], 1, v44
	v_cmp_lt_u32_e64 s[22:23], 3, v44
	v_mov_b32_dpp v46, v43 row_shr:2 row_mask:0xf bank_mask:0xf
	v_cndmask_b32_e64 v46, 0, v46, s[20:21]
	v_add_u32_e32 v43, v43, v46
	v_cmp_lt_u32_e64 s[24:25], 7, v44
	s_nop 0
	v_mov_b32_dpp v46, v43 row_shr:4 row_mask:0xf bank_mask:0xf
	v_cndmask_b32_e64 v46, 0, v46, s[22:23]
	v_add_u32_e32 v43, v43, v46
	s_nop 1
	v_mov_b32_dpp v46, v43 row_shr:8 row_mask:0xf bank_mask:0xf
	v_cndmask_b32_e64 v44, 0, v46, s[24:25]
	v_add_u32_e32 v43, v43, v44
	v_bfe_i32 v46, v6, 4, 1
	s_nop 0
	v_mov_b32_dpp v44, v43 row_bcast:15 row_mask:0xf bank_mask:0xf
	v_and_b32_e32 v44, v46, v44
	v_add_u32_e32 v43, v43, v44
	v_and_b32_e32 v46, 63, v10
	s_nop 0
	v_mov_b32_dpp v44, v43 row_bcast:31 row_mask:0xf bank_mask:0xf
	v_cndmask_b32_e64 v44, 0, v44, s[28:29]
	v_add_u32_e32 v43, v43, v44
	v_lshrrev_b32_e32 v44, 6, v10
	v_cmp_eq_u32_e64 s[28:29], 63, v46
	s_and_saveexec_b64 s[50:51], s[28:29]
	s_cbranch_execz .LBB604_39
; %bb.38:
	v_lshlrev_b32_e32 v46, 2, v44
	ds_write_b32 v46, v43
.LBB604_39:
	s_or_b64 exec, exec, s[50:51]
	v_cmp_gt_u32_e64 s[28:29], 16, v10
	s_waitcnt lgkmcnt(0)
	s_barrier
	s_and_saveexec_b64 s[50:51], s[28:29]
	s_cbranch_execz .LBB604_41
; %bb.40:
	v_lshlrev_b32_e32 v46, 2, v10
	ds_read_b32 v47, v46
	s_waitcnt lgkmcnt(0)
	s_nop 0
	v_mov_b32_dpp v48, v47 row_shr:1 row_mask:0xf bank_mask:0xf
	v_cndmask_b32_e64 v48, v48, 0, s[18:19]
	v_add_u32_e32 v47, v48, v47
	s_nop 1
	v_mov_b32_dpp v48, v47 row_shr:2 row_mask:0xf bank_mask:0xf
	v_cndmask_b32_e64 v48, 0, v48, s[20:21]
	v_add_u32_e32 v47, v47, v48
	;; [unrolled: 4-line block ×4, first 2 shown]
	ds_write_b32 v46, v47
.LBB604_41:
	s_or_b64 exec, exec, s[50:51]
	v_cmp_lt_u32_e64 s[18:19], 63, v10
	v_mov_b32_e32 v46, 0
	s_waitcnt lgkmcnt(0)
	s_barrier
	s_and_saveexec_b64 s[20:21], s[18:19]
	s_cbranch_execz .LBB604_43
; %bb.42:
	v_lshl_add_u32 v44, v44, 2, -4
	ds_read_b32 v46, v44
.LBB604_43:
	s_or_b64 exec, exec, s[20:21]
	v_add_u32_e32 v44, -1, v6
	v_and_b32_e32 v47, 64, v6
	v_cmp_lt_i32_e64 s[18:19], v44, v47
	v_cndmask_b32_e64 v44, v44, v6, s[18:19]
	s_waitcnt lgkmcnt(0)
	v_add_u32_e32 v43, v46, v43
	v_lshlrev_b32_e32 v44, 2, v44
	ds_bpermute_b32 v43, v44, v43
	v_cmp_eq_u32_e64 s[18:19], 0, v6
                                        ; implicit-def: $vgpr44
	s_waitcnt lgkmcnt(0)
	v_cndmask_b32_e64 v6, v43, v46, s[18:19]
	v_cndmask_b32_e64 v6, v6, 0, s[0:1]
	v_add_u32_e32 v4, v6, v4
	v_add_u32_e32 v5, v4, v5
	;; [unrolled: 1-line block ×4, first 2 shown]
	ds_write2_b32 v13, v6, v4 offset0:16 offset1:17
	ds_write2_b32 v29, v5, v2 offset0:2 offset1:3
	ds_write_b32 v29, v3 offset:16
	s_waitcnt lgkmcnt(0)
	s_barrier
	ds_read_b32 v2, v18 offset:64
	ds_read_b32 v47, v19 offset:64
	;; [unrolled: 1-line block ×8, first 2 shown]
	s_movk_i32 s18, 0x100
	v_cmp_gt_u32_e64 s[18:19], s18, v10
                                        ; implicit-def: $vgpr43
	s_and_saveexec_b64 s[22:23], s[18:19]
	s_cbranch_execz .LBB604_47
; %bb.44:
	v_mul_u32_u24_e32 v3, 17, v10
	v_lshlrev_b32_e32 v4, 2, v3
	ds_read_b32 v43, v4 offset:64
	s_movk_i32 s20, 0xff
	v_cmp_ne_u32_e64 s[20:21], s20, v10
	v_mov_b32_e32 v3, 0x2000
	s_and_saveexec_b64 s[24:25], s[20:21]
	s_cbranch_execz .LBB604_46
; %bb.45:
	ds_read_b32 v3, v4 offset:132
.LBB604_46:
	s_or_b64 exec, exec, s[24:25]
	s_waitcnt lgkmcnt(0)
	v_sub_u32_e32 v44, v3, v43
.LBB604_47:
	s_or_b64 exec, exec, s[22:23]
	s_waitcnt lgkmcnt(7)
	v_add_u32_e32 v46, v2, v15
	s_waitcnt lgkmcnt(6)
	v_add3_u32 v2, v31, v11, v47
	s_waitcnt lgkmcnt(5)
	v_add3_u32 v3, v33, v32, v48
	s_waitcnt lgkmcnt(4)
	v_add3_u32 v4, v35, v34, v49
	s_waitcnt lgkmcnt(3)
	v_add3_u32 v5, v37, v36, v50
	s_waitcnt lgkmcnt(2)
	v_add3_u32 v6, v39, v38, v51
	s_waitcnt lgkmcnt(1)
	v_add3_u32 v13, v41, v40, v52
	s_waitcnt lgkmcnt(0)
	v_add3_u32 v15, v45, v42, v53
	s_barrier
	ds_write_b8 v46, v8 offset:1024
	ds_write_b8 v2, v17 offset:1024
	;; [unrolled: 1-line block ×8, first 2 shown]
	s_and_saveexec_b64 s[22:23], s[18:19]
	s_cbranch_execz .LBB604_57
; %bb.48:
	v_lshl_or_b32 v2, s33, 8, v10
	v_mov_b32_e32 v3, 0
	v_lshlrev_b64 v[4:5], 2, v[2:3]
	v_mov_b32_e32 v8, s31
	v_add_co_u32_e64 v4, s[20:21], s30, v4
	v_addc_co_u32_e64 v5, s[20:21], v8, v5, s[20:21]
	v_or_b32_e32 v2, 2.0, v44
	s_mov_b64 s[24:25], 0
	s_brev_b32 s54, 1
	s_mov_b32 s55, s33
	v_mov_b32_e32 v9, 0
	global_store_dword v[4:5], v2, off
                                        ; implicit-def: $sgpr20_sgpr21
	s_branch .LBB604_50
.LBB604_49:                             ;   in Loop: Header=BB604_50 Depth=1
	s_or_b64 exec, exec, s[28:29]
	v_and_b32_e32 v6, 0x3fffffff, v13
	v_add_u32_e32 v9, v6, v9
	v_cmp_eq_u32_e64 s[20:21], s54, v2
	s_and_b64 s[28:29], exec, s[20:21]
	s_or_b64 s[24:25], s[28:29], s[24:25]
	s_andn2_b64 exec, exec, s[24:25]
	s_cbranch_execz .LBB604_56
.LBB604_50:                             ; =>This Loop Header: Depth=1
                                        ;     Child Loop BB604_53 Depth 2
	s_or_b64 s[20:21], s[20:21], exec
	s_cmp_eq_u32 s55, 0
	s_cbranch_scc1 .LBB604_55
; %bb.51:                               ;   in Loop: Header=BB604_50 Depth=1
	s_add_i32 s55, s55, -1
	v_lshl_or_b32 v2, s55, 8, v10
	v_lshlrev_b64 v[6:7], 2, v[2:3]
	v_add_co_u32_e64 v6, s[20:21], s30, v6
	v_addc_co_u32_e64 v7, s[20:21], v8, v7, s[20:21]
	global_load_dword v13, v[6:7], off glc
	s_waitcnt vmcnt(0)
	v_and_b32_e32 v2, -2.0, v13
	v_cmp_eq_u32_e64 s[20:21], 0, v2
	s_and_saveexec_b64 s[28:29], s[20:21]
	s_cbranch_execz .LBB604_49
; %bb.52:                               ;   in Loop: Header=BB604_50 Depth=1
	s_mov_b64 s[50:51], 0
.LBB604_53:                             ;   Parent Loop BB604_50 Depth=1
                                        ; =>  This Inner Loop Header: Depth=2
	global_load_dword v13, v[6:7], off glc
	s_waitcnt vmcnt(0)
	v_and_b32_e32 v2, -2.0, v13
	v_cmp_ne_u32_e64 s[20:21], 0, v2
	s_or_b64 s[50:51], s[20:21], s[50:51]
	s_andn2_b64 exec, exec, s[50:51]
	s_cbranch_execnz .LBB604_53
; %bb.54:                               ;   in Loop: Header=BB604_50 Depth=1
	s_or_b64 exec, exec, s[50:51]
	s_branch .LBB604_49
.LBB604_55:                             ;   in Loop: Header=BB604_50 Depth=1
                                        ; implicit-def: $sgpr55
	s_and_b64 s[28:29], exec, s[20:21]
	s_or_b64 s[24:25], s[28:29], s[24:25]
	s_andn2_b64 exec, exec, s[24:25]
	s_cbranch_execnz .LBB604_50
.LBB604_56:
	s_or_b64 exec, exec, s[24:25]
	v_add_u32_e32 v2, v9, v44
	v_or_b32_e32 v2, 0x80000000, v2
	global_store_dword v[4:5], v2, off
	v_lshlrev_b32_e32 v2, 2, v10
	global_load_dword v3, v2, s[44:45]
	v_sub_u32_e32 v4, v9, v43
	s_waitcnt vmcnt(0)
	v_add_u32_e32 v3, v4, v3
	ds_write_b32 v2, v3
.LBB604_57:
	s_or_b64 exec, exec, s[22:23]
	v_cmp_gt_u32_e64 s[20:21], s7, v10
	s_waitcnt lgkmcnt(0)
	s_barrier
	s_waitcnt lgkmcnt(0)
                                        ; implicit-def: $vgpr2_vgpr3_vgpr4_vgpr5_vgpr6_vgpr7_vgpr8_vgpr9
	s_and_saveexec_b64 s[22:23], s[20:21]
	s_cbranch_execz .LBB604_59
; %bb.58:
	ds_read_u8 v3, v10 offset:1024
	s_waitcnt lgkmcnt(0)
	v_lshrrev_b32_sdwa v2, s48, v3 dst_sel:DWORD dst_unused:UNUSED_PAD src0_sel:DWORD src1_sel:BYTE_0
	v_and_b32_e32 v2, s53, v2
	v_lshlrev_b32_e32 v4, 2, v2
	ds_read_b32 v4, v4
	v_xor_b32_e32 v3, 0x80, v3
	s_waitcnt lgkmcnt(0)
	v_add_u32_e32 v4, v4, v10
	global_store_byte v4, v3, s[38:39]
.LBB604_59:
	s_or_b64 exec, exec, s[22:23]
	v_or_b32_e32 v13, 0x400, v10
	v_cmp_gt_u32_e64 s[20:21], s7, v13
	s_and_saveexec_b64 s[22:23], s[20:21]
	s_cbranch_execz .LBB604_61
; %bb.60:
	ds_read_u8 v15, v10 offset:2048
	s_waitcnt lgkmcnt(0)
	v_lshrrev_b32_sdwa v3, s48, v15 dst_sel:DWORD dst_unused:UNUSED_PAD src0_sel:DWORD src1_sel:BYTE_0
	v_and_b32_e32 v3, s53, v3
	v_lshlrev_b32_e32 v16, 2, v3
	ds_read_b32 v16, v16
	v_xor_b32_e32 v15, 0x80, v15
	s_waitcnt lgkmcnt(0)
	v_add_u32_e32 v13, v16, v13
	global_store_byte v13, v15, s[38:39]
.LBB604_61:
	s_or_b64 exec, exec, s[22:23]
	v_or_b32_e32 v13, 0x800, v10
	v_cmp_gt_u32_e64 s[20:21], s7, v13
	;; [unrolled: 17-line block ×7, first 2 shown]
	s_and_saveexec_b64 s[22:23], s[20:21]
	s_cbranch_execz .LBB604_73
; %bb.72:
	ds_read_u8 v15, v10 offset:8192
	s_waitcnt lgkmcnt(0)
	v_lshrrev_b32_sdwa v9, s48, v15 dst_sel:DWORD dst_unused:UNUSED_PAD src0_sel:DWORD src1_sel:BYTE_0
	v_and_b32_e32 v9, s53, v9
	v_lshlrev_b32_e32 v16, 2, v9
	ds_read_b32 v16, v16
	v_xor_b32_e32 v15, 0x80, v15
	s_waitcnt lgkmcnt(0)
	v_add_u32_e32 v13, v16, v13
	global_store_byte v13, v15, s[38:39]
.LBB604_73:
	s_or_b64 exec, exec, s[22:23]
	s_lshl_b64 s[20:21], s[34:35], 3
	s_add_u32 s20, s40, s20
	s_addc_u32 s21, s41, s21
	v_lshlrev_b32_e32 v13, 3, v14
	v_mov_b32_e32 v14, s21
	v_add_co_u32_e64 v13, s[20:21], s20, v13
	v_addc_co_u32_e64 v14, s[20:21], 0, v14, s[20:21]
	v_lshlrev_b32_e32 v12, 3, v12
	v_add_co_u32_e64 v28, s[20:21], v13, v12
	v_addc_co_u32_e64 v29, s[20:21], 0, v14, s[20:21]
                                        ; implicit-def: $vgpr12_vgpr13
	s_and_saveexec_b64 s[20:21], vcc
	s_xor_b64 s[20:21], exec, s[20:21]
	s_cbranch_execnz .LBB604_138
; %bb.74:
	s_or_b64 exec, exec, s[20:21]
                                        ; implicit-def: $vgpr14_vgpr15
	s_and_saveexec_b64 s[20:21], s[2:3]
	s_cbranch_execnz .LBB604_139
.LBB604_75:
	s_or_b64 exec, exec, s[20:21]
                                        ; implicit-def: $vgpr16_vgpr17
	s_and_saveexec_b64 s[2:3], s[26:27]
	s_cbranch_execnz .LBB604_140
.LBB604_76:
	s_or_b64 exec, exec, s[2:3]
                                        ; implicit-def: $vgpr18_vgpr19
	s_and_saveexec_b64 s[2:3], s[8:9]
	s_cbranch_execnz .LBB604_141
.LBB604_77:
	s_or_b64 exec, exec, s[2:3]
                                        ; implicit-def: $vgpr20_vgpr21
	s_and_saveexec_b64 s[2:3], s[10:11]
	s_cbranch_execnz .LBB604_142
.LBB604_78:
	s_or_b64 exec, exec, s[2:3]
                                        ; implicit-def: $vgpr22_vgpr23
	s_and_saveexec_b64 s[2:3], s[12:13]
	s_cbranch_execnz .LBB604_143
.LBB604_79:
	s_or_b64 exec, exec, s[2:3]
                                        ; implicit-def: $vgpr24_vgpr25
	s_and_saveexec_b64 s[2:3], s[14:15]
	s_cbranch_execnz .LBB604_144
.LBB604_80:
	s_or_b64 exec, exec, s[2:3]
                                        ; implicit-def: $vgpr26_vgpr27
	s_and_saveexec_b64 s[2:3], s[16:17]
	s_cbranch_execz .LBB604_82
.LBB604_81:
	global_load_dwordx2 v[26:27], v[28:29], off offset:3584
.LBB604_82:
	s_or_b64 exec, exec, s[2:3]
	s_movk_i32 s8, 0x400
	v_add_u32_e32 v54, 0x400, v1
	v_add3_u32 v42, v45, v53, v42
	v_add3_u32 v40, v41, v52, v40
	;; [unrolled: 1-line block ×7, first 2 shown]
	s_mov_b32 s9, 0
	v_mov_b32_e32 v29, 0
	s_mov_b32 s10, 0
	v_mov_b32_e32 v31, v10
	s_barrier
	s_waitcnt vmcnt(0)
	s_branch .LBB604_84
.LBB604_83:                             ;   in Loop: Header=BB604_84 Depth=1
	s_or_b64 exec, exec, s[2:3]
	s_addk_i32 s10, 0xf800
	s_add_i32 s9, s9, 2
	s_cmpk_eq_i32 s10, 0xe000
	v_add_u32_e32 v31, 0x800, v31
	s_barrier
	s_cbranch_scc1 .LBB604_89
.LBB604_84:                             ; =>This Inner Loop Header: Depth=1
	v_add_u32_e32 v28, s10, v46
	v_min_u32_e32 v28, 0x800, v28
	v_lshlrev_b32_e32 v28, 3, v28
	ds_write_b64 v28, v[12:13] offset:1024
	v_add_u32_e32 v28, s10, v11
	v_min_u32_e32 v28, 0x800, v28
	v_lshlrev_b32_e32 v28, 3, v28
	ds_write_b64 v28, v[14:15] offset:1024
	;; [unrolled: 4-line block ×7, first 2 shown]
	v_add_u32_e32 v28, s10, v42
	v_min_u32_e32 v28, 0x800, v28
	v_lshlrev_b32_e32 v28, 3, v28
	v_cmp_gt_u32_e32 vcc, s7, v31
	ds_write_b64 v28, v[26:27] offset:1024
	s_waitcnt lgkmcnt(0)
	s_barrier
	s_and_saveexec_b64 s[2:3], vcc
	s_cbranch_execz .LBB604_86
; %bb.85:                               ;   in Loop: Header=BB604_84 Depth=1
	s_cmp_eq_u32 s9, 1
	s_cselect_b64 vcc, -1, 0
	s_cmp_eq_u32 s9, 2
	v_cndmask_b32_e32 v28, v2, v3, vcc
	s_cselect_b64 vcc, -1, 0
	s_cmp_eq_u32 s9, 3
	v_cndmask_b32_e32 v28, v28, v4, vcc
	;; [unrolled: 3-line block ×6, first 2 shown]
	s_cselect_b64 vcc, -1, 0
	v_cndmask_b32_e32 v28, v28, v9, vcc
	v_lshlrev_b32_e32 v28, 2, v28
	ds_read_b32 v28, v28
	ds_read_b64 v[48:49], v1 offset:1024
	s_waitcnt lgkmcnt(1)
	v_add_u32_e32 v28, v31, v28
	v_lshlrev_b64 v[50:51], 3, v[28:29]
	v_mov_b32_e32 v28, s43
	v_add_co_u32_e32 v50, vcc, s42, v50
	v_addc_co_u32_e32 v51, vcc, v28, v51, vcc
	s_waitcnt lgkmcnt(0)
	global_store_dwordx2 v[50:51], v[48:49], off
.LBB604_86:                             ;   in Loop: Header=BB604_84 Depth=1
	s_or_b64 exec, exec, s[2:3]
	v_add_u32_e32 v28, 0x400, v31
	v_cmp_gt_u32_e32 vcc, s7, v28
	s_and_saveexec_b64 s[2:3], vcc
	s_cbranch_execz .LBB604_83
; %bb.87:                               ;   in Loop: Header=BB604_84 Depth=1
	s_add_i32 s11, s9, 1
	s_cmp_eq_u32 s11, 1
	s_cselect_b64 vcc, -1, 0
	s_cmp_eq_u32 s11, 2
	v_cndmask_b32_e32 v28, v2, v3, vcc
	s_cselect_b64 vcc, -1, 0
	s_cmp_eq_u32 s11, 3
	v_cndmask_b32_e32 v28, v28, v4, vcc
	;; [unrolled: 3-line block ×6, first 2 shown]
	s_cselect_b64 vcc, -1, 0
	v_cndmask_b32_e32 v28, v28, v9, vcc
	v_lshlrev_b32_e32 v28, 2, v28
	ds_read_b32 v28, v28
	ds_read_b64 v[48:49], v54 offset:8192
	s_waitcnt lgkmcnt(1)
	v_add3_u32 v28, v31, v28, s8
	v_lshlrev_b64 v[50:51], 3, v[28:29]
	v_mov_b32_e32 v28, s43
	v_add_co_u32_e32 v50, vcc, s42, v50
	v_addc_co_u32_e32 v51, vcc, v28, v51, vcc
	s_waitcnt lgkmcnt(0)
	global_store_dwordx2 v[50:51], v[48:49], off
	s_branch .LBB604_83
.LBB604_88:
	s_mov_b64 s[10:11], 0
                                        ; implicit-def: $vgpr2
                                        ; implicit-def: $vgpr14_vgpr15
	s_cbranch_execnz .LBB604_92
	s_branch .LBB604_135
.LBB604_89:
	s_add_i32 s52, s52, -1
	s_cmp_eq_u32 s52, s33
	s_cselect_b64 s[2:3], -1, 0
	s_and_b64 s[8:9], s[18:19], s[2:3]
	s_mov_b64 s[2:3], 0
	s_mov_b64 s[10:11], 0
                                        ; implicit-def: $vgpr2
                                        ; implicit-def: $vgpr14_vgpr15
	s_and_saveexec_b64 s[12:13], s[8:9]
	s_xor_b64 s[8:9], exec, s[12:13]
; %bb.90:
	v_mov_b32_e32 v11, 0
	s_mov_b64 s[10:11], exec
	v_add_u32_e32 v2, v43, v44
	v_pk_mov_b32 v[14:15], v[10:11], v[10:11] op_sel:[0,1]
; %bb.91:
	s_or_b64 exec, exec, s[8:9]
	s_and_b64 vcc, exec, s[2:3]
	s_cbranch_vccz .LBB604_135
.LBB604_92:
	s_lshl_b32 s12, s33, 13
	v_mbcnt_hi_u32_b32 v5, -1, v30
	s_add_u32 s2, s36, s12
	v_and_b32_e32 v12, 63, v5
	v_add_co_u32_e32 v3, vcc, s2, v12
	s_load_dword s16, s[4:5], 0x58
	s_load_dword s2, s[4:5], 0x64
	s_addc_u32 s3, s37, 0
	v_and_b32_e32 v8, 0x1e00, v1
	v_mov_b32_e32 v1, s3
	v_addc_co_u32_e32 v1, vcc, 0, v1, vcc
	s_add_u32 s3, s4, 0x58
	v_add_co_u32_e32 v14, vcc, v3, v8
	s_addc_u32 s4, s5, 0
	s_waitcnt lgkmcnt(0)
	s_lshr_b32 s5, s2, 16
	v_addc_co_u32_e32 v15, vcc, 0, v1, vcc
	s_cmp_lt_u32 s6, s16
	global_load_ubyte v1, v[14:15], off
	s_cselect_b32 s2, 12, 18
	s_add_u32 s2, s3, s2
	v_mov_b32_e32 v2, 0
	s_addc_u32 s3, s4, 0
	global_load_ushort v7, v2, s[2:3]
	v_mul_u32_u24_e32 v4, 5, v10
	v_lshlrev_b32_e32 v6, 2, v4
	ds_write2_b32 v6, v2, v2 offset0:16 offset1:17
	ds_write2_b32 v6, v2, v2 offset0:18 offset1:19
	ds_write_b32 v6, v2 offset:80
	global_load_ubyte v9, v[14:15], off offset:64
	global_load_ubyte v16, v[14:15], off offset:128
	;; [unrolled: 1-line block ×7, first 2 shown]
	s_lshl_b32 s2, -1, s49
	v_bfe_u32 v3, v0, 10, 10
	v_bfe_u32 v0, v0, 20, 10
	s_not_b32 s17, s2
	v_mad_u32_u24 v0, v0, s5, v3
	s_mov_b32 s13, 0
	s_waitcnt lgkmcnt(0)
	s_barrier
	s_waitcnt lgkmcnt(0)
	; wave barrier
	s_waitcnt vmcnt(8)
	v_xor_b32_e32 v4, 0x80, v1
	v_lshrrev_b32_e32 v1, s48, v4
	v_and_b32_e32 v11, s17, v1
	v_and_b32_e32 v14, 1, v11
	v_lshlrev_b32_e32 v3, 30, v11
	s_waitcnt vmcnt(7)
	v_mad_u64_u32 v[0:1], s[2:3], v0, v7, v[10:11]
	v_add_co_u32_e32 v1, vcc, -1, v14
	v_addc_co_u32_e64 v7, s[2:3], 0, -1, vcc
	v_cmp_ne_u32_e32 vcc, 0, v14
	v_cmp_gt_i64_e64 s[2:3], 0, v[2:3]
	v_not_b32_e32 v14, v3
	v_lshlrev_b32_e32 v3, 29, v11
	v_mul_u32_u24_e32 v13, 17, v11
	v_lshrrev_b32_e32 v25, 6, v0
	v_xor_b32_e32 v0, vcc_hi, v7
	v_xor_b32_e32 v1, vcc_lo, v1
	v_ashrrev_i32_e32 v14, 31, v14
	v_cmp_gt_i64_e32 vcc, 0, v[2:3]
	v_not_b32_e32 v15, v3
	v_lshlrev_b32_e32 v3, 28, v11
	v_add_lshl_u32 v7, v25, v13, 2
	v_and_b32_e32 v0, exec_hi, v0
	v_and_b32_e32 v1, exec_lo, v1
	v_xor_b32_e32 v13, s3, v14
	v_xor_b32_e32 v14, s2, v14
	v_ashrrev_i32_e32 v15, 31, v15
	v_cmp_gt_i64_e64 s[2:3], 0, v[2:3]
	v_not_b32_e32 v17, v3
	v_lshlrev_b32_e32 v3, 27, v11
	v_and_b32_e32 v0, v0, v13
	v_and_b32_e32 v1, v1, v14
	v_xor_b32_e32 v13, vcc_hi, v15
	v_xor_b32_e32 v14, vcc_lo, v15
	v_ashrrev_i32_e32 v15, 31, v17
	v_cmp_gt_i64_e32 vcc, 0, v[2:3]
	v_not_b32_e32 v3, v3
	v_and_b32_e32 v0, v0, v13
	v_and_b32_e32 v1, v1, v14
	v_xor_b32_e32 v13, s3, v15
	v_xor_b32_e32 v14, s2, v15
	v_ashrrev_i32_e32 v3, 31, v3
	v_and_b32_e32 v0, v0, v13
	v_and_b32_e32 v1, v1, v14
	v_xor_b32_e32 v13, vcc_hi, v3
	v_xor_b32_e32 v3, vcc_lo, v3
	v_and_b32_e32 v1, v1, v3
	v_lshlrev_b32_e32 v3, 26, v11
	v_cmp_gt_i64_e32 vcc, 0, v[2:3]
	v_not_b32_e32 v3, v3
	v_ashrrev_i32_e32 v3, 31, v3
	v_and_b32_e32 v0, v0, v13
	v_xor_b32_e32 v13, vcc_hi, v3
	v_xor_b32_e32 v3, vcc_lo, v3
	v_and_b32_e32 v1, v1, v3
	v_lshlrev_b32_e32 v3, 25, v11
	v_cmp_gt_i64_e32 vcc, 0, v[2:3]
	v_not_b32_e32 v3, v3
	v_ashrrev_i32_e32 v3, 31, v3
	v_and_b32_e32 v0, v0, v13
	v_xor_b32_e32 v13, vcc_hi, v3
	v_xor_b32_e32 v3, vcc_lo, v3
	v_and_b32_e32 v0, v0, v13
	v_and_b32_e32 v13, v1, v3
	v_lshlrev_b32_e32 v3, 24, v11
	v_not_b32_e32 v1, v3
	v_cmp_gt_i64_e32 vcc, 0, v[2:3]
	v_ashrrev_i32_e32 v1, 31, v1
	v_xor_b32_e32 v3, vcc_hi, v1
	v_xor_b32_e32 v11, vcc_lo, v1
	v_and_b32_e32 v1, v0, v3
	v_and_b32_e32 v0, v13, v11
	v_mbcnt_lo_u32_b32 v3, v0, 0
	v_mbcnt_hi_u32_b32 v11, v1, v3
	v_cmp_eq_u32_e32 vcc, 0, v11
	v_cmp_ne_u64_e64 s[2:3], 0, v[0:1]
	s_and_b64 s[4:5], s[2:3], vcc
	s_and_saveexec_b64 s[2:3], s[4:5]
	s_cbranch_execz .LBB604_94
; %bb.93:
	v_bcnt_u32_b32 v0, v0, 0
	v_bcnt_u32_b32 v0, v1, v0
	ds_write_b32 v7, v0 offset:64
.LBB604_94:
	s_or_b64 exec, exec, s[2:3]
	s_waitcnt vmcnt(6)
	v_xor_b32_e32 v14, 0xffffff80, v9
	v_lshrrev_b32_sdwa v0, s48, v14 dst_sel:DWORD dst_unused:UNUSED_PAD src0_sel:DWORD src1_sel:BYTE_0
	v_and_b32_e32 v0, s17, v0
	v_mul_u32_u24_e32 v1, 17, v0
	v_add_lshl_u32 v15, v25, v1, 2
	v_and_b32_e32 v1, 1, v0
	v_add_co_u32_e32 v3, vcc, -1, v1
	v_addc_co_u32_e64 v13, s[2:3], 0, -1, vcc
	v_cmp_ne_u32_e32 vcc, 0, v1
	v_xor_b32_e32 v3, vcc_lo, v3
	v_xor_b32_e32 v1, vcc_hi, v13
	v_and_b32_e32 v13, exec_lo, v3
	v_lshlrev_b32_e32 v3, 30, v0
	v_cmp_gt_i64_e32 vcc, 0, v[2:3]
	v_not_b32_e32 v3, v3
	v_ashrrev_i32_e32 v3, 31, v3
	v_xor_b32_e32 v17, vcc_hi, v3
	v_xor_b32_e32 v3, vcc_lo, v3
	v_and_b32_e32 v13, v13, v3
	v_lshlrev_b32_e32 v3, 29, v0
	v_cmp_gt_i64_e32 vcc, 0, v[2:3]
	v_not_b32_e32 v3, v3
	v_and_b32_e32 v1, exec_hi, v1
	v_ashrrev_i32_e32 v3, 31, v3
	v_and_b32_e32 v1, v1, v17
	v_xor_b32_e32 v17, vcc_hi, v3
	v_xor_b32_e32 v3, vcc_lo, v3
	v_and_b32_e32 v13, v13, v3
	v_lshlrev_b32_e32 v3, 28, v0
	v_cmp_gt_i64_e32 vcc, 0, v[2:3]
	v_not_b32_e32 v3, v3
	v_ashrrev_i32_e32 v3, 31, v3
	v_and_b32_e32 v1, v1, v17
	v_xor_b32_e32 v17, vcc_hi, v3
	v_xor_b32_e32 v3, vcc_lo, v3
	v_and_b32_e32 v13, v13, v3
	v_lshlrev_b32_e32 v3, 27, v0
	v_cmp_gt_i64_e32 vcc, 0, v[2:3]
	v_not_b32_e32 v3, v3
	;; [unrolled: 8-line block ×4, first 2 shown]
	v_ashrrev_i32_e32 v3, 31, v3
	v_and_b32_e32 v1, v1, v17
	v_xor_b32_e32 v17, vcc_hi, v3
	v_xor_b32_e32 v3, vcc_lo, v3
	v_and_b32_e32 v13, v13, v3
	v_lshlrev_b32_e32 v3, 24, v0
	v_not_b32_e32 v0, v3
	v_cmp_gt_i64_e32 vcc, 0, v[2:3]
	v_ashrrev_i32_e32 v0, 31, v0
	v_xor_b32_e32 v2, vcc_hi, v0
	v_xor_b32_e32 v0, vcc_lo, v0
	; wave barrier
	ds_read_b32 v9, v15 offset:64
	v_and_b32_e32 v1, v1, v17
	v_and_b32_e32 v0, v13, v0
	;; [unrolled: 1-line block ×3, first 2 shown]
	v_mbcnt_lo_u32_b32 v2, v0, 0
	v_mbcnt_hi_u32_b32 v13, v1, v2
	v_cmp_eq_u32_e32 vcc, 0, v13
	v_cmp_ne_u64_e64 s[2:3], 0, v[0:1]
	s_and_b64 s[4:5], s[2:3], vcc
	; wave barrier
	s_and_saveexec_b64 s[2:3], s[4:5]
	s_cbranch_execz .LBB604_96
; %bb.95:
	v_bcnt_u32_b32 v0, v0, 0
	v_bcnt_u32_b32 v0, v1, v0
	s_waitcnt lgkmcnt(0)
	v_add_u32_e32 v0, v9, v0
	ds_write_b32 v15, v0 offset:64
.LBB604_96:
	s_or_b64 exec, exec, s[2:3]
	s_waitcnt vmcnt(5)
	v_xor_b32_e32 v22, 0xffffff80, v16
	v_lshrrev_b32_sdwa v0, s48, v22 dst_sel:DWORD dst_unused:UNUSED_PAD src0_sel:DWORD src1_sel:BYTE_0
	v_and_b32_e32 v2, s17, v0
	v_and_b32_e32 v1, 1, v2
	v_add_co_u32_e32 v3, vcc, -1, v1
	v_addc_co_u32_e64 v17, s[2:3], 0, -1, vcc
	v_cmp_ne_u32_e32 vcc, 0, v1
	v_mul_u32_u24_e32 v0, 17, v2
	v_xor_b32_e32 v1, vcc_hi, v17
	v_add_lshl_u32 v26, v25, v0, 2
	v_mov_b32_e32 v0, 0
	v_and_b32_e32 v17, exec_hi, v1
	v_lshlrev_b32_e32 v1, 30, v2
	v_xor_b32_e32 v3, vcc_lo, v3
	v_cmp_gt_i64_e32 vcc, 0, v[0:1]
	v_not_b32_e32 v1, v1
	v_ashrrev_i32_e32 v1, 31, v1
	v_and_b32_e32 v3, exec_lo, v3
	v_xor_b32_e32 v19, vcc_hi, v1
	v_xor_b32_e32 v1, vcc_lo, v1
	v_and_b32_e32 v3, v3, v1
	v_lshlrev_b32_e32 v1, 29, v2
	v_cmp_gt_i64_e32 vcc, 0, v[0:1]
	v_not_b32_e32 v1, v1
	v_ashrrev_i32_e32 v1, 31, v1
	v_and_b32_e32 v17, v17, v19
	v_xor_b32_e32 v19, vcc_hi, v1
	v_xor_b32_e32 v1, vcc_lo, v1
	v_and_b32_e32 v3, v3, v1
	v_lshlrev_b32_e32 v1, 28, v2
	v_cmp_gt_i64_e32 vcc, 0, v[0:1]
	v_not_b32_e32 v1, v1
	v_ashrrev_i32_e32 v1, 31, v1
	v_and_b32_e32 v17, v17, v19
	;; [unrolled: 8-line block ×5, first 2 shown]
	v_xor_b32_e32 v19, vcc_hi, v1
	v_xor_b32_e32 v1, vcc_lo, v1
	v_and_b32_e32 v17, v17, v19
	v_and_b32_e32 v19, v3, v1
	v_lshlrev_b32_e32 v1, 24, v2
	v_cmp_gt_i64_e32 vcc, 0, v[0:1]
	v_not_b32_e32 v1, v1
	v_ashrrev_i32_e32 v1, 31, v1
	v_xor_b32_e32 v2, vcc_hi, v1
	v_xor_b32_e32 v1, vcc_lo, v1
	; wave barrier
	ds_read_b32 v16, v26 offset:64
	v_and_b32_e32 v3, v17, v2
	v_and_b32_e32 v2, v19, v1
	v_mbcnt_lo_u32_b32 v1, v2, 0
	v_mbcnt_hi_u32_b32 v17, v3, v1
	v_cmp_eq_u32_e32 vcc, 0, v17
	v_cmp_ne_u64_e64 s[2:3], 0, v[2:3]
	s_and_b64 s[4:5], s[2:3], vcc
	; wave barrier
	s_and_saveexec_b64 s[2:3], s[4:5]
	s_cbranch_execz .LBB604_98
; %bb.97:
	v_bcnt_u32_b32 v1, v2, 0
	v_bcnt_u32_b32 v1, v3, v1
	s_waitcnt lgkmcnt(0)
	v_add_u32_e32 v1, v16, v1
	ds_write_b32 v26, v1 offset:64
.LBB604_98:
	s_or_b64 exec, exec, s[2:3]
	s_waitcnt vmcnt(4)
	v_xor_b32_e32 v28, 0xffffff80, v18
	v_lshrrev_b32_sdwa v1, s48, v28 dst_sel:DWORD dst_unused:UNUSED_PAD src0_sel:DWORD src1_sel:BYTE_0
	v_and_b32_e32 v2, s17, v1
	v_mul_u32_u24_e32 v1, 17, v2
	v_add_lshl_u32 v30, v25, v1, 2
	v_and_b32_e32 v1, 1, v2
	v_add_co_u32_e32 v3, vcc, -1, v1
	v_addc_co_u32_e64 v19, s[2:3], 0, -1, vcc
	v_cmp_ne_u32_e32 vcc, 0, v1
	v_xor_b32_e32 v1, vcc_hi, v19
	v_and_b32_e32 v19, exec_hi, v1
	v_lshlrev_b32_e32 v1, 30, v2
	v_xor_b32_e32 v3, vcc_lo, v3
	v_cmp_gt_i64_e32 vcc, 0, v[0:1]
	v_not_b32_e32 v1, v1
	v_ashrrev_i32_e32 v1, 31, v1
	v_and_b32_e32 v3, exec_lo, v3
	v_xor_b32_e32 v21, vcc_hi, v1
	v_xor_b32_e32 v1, vcc_lo, v1
	v_and_b32_e32 v3, v3, v1
	v_lshlrev_b32_e32 v1, 29, v2
	v_cmp_gt_i64_e32 vcc, 0, v[0:1]
	v_not_b32_e32 v1, v1
	v_ashrrev_i32_e32 v1, 31, v1
	v_and_b32_e32 v19, v19, v21
	v_xor_b32_e32 v21, vcc_hi, v1
	v_xor_b32_e32 v1, vcc_lo, v1
	v_and_b32_e32 v3, v3, v1
	v_lshlrev_b32_e32 v1, 28, v2
	v_cmp_gt_i64_e32 vcc, 0, v[0:1]
	v_not_b32_e32 v1, v1
	v_ashrrev_i32_e32 v1, 31, v1
	v_and_b32_e32 v19, v19, v21
	;; [unrolled: 8-line block ×5, first 2 shown]
	v_xor_b32_e32 v21, vcc_hi, v1
	v_xor_b32_e32 v1, vcc_lo, v1
	v_and_b32_e32 v3, v3, v1
	v_lshlrev_b32_e32 v1, 24, v2
	v_cmp_gt_i64_e32 vcc, 0, v[0:1]
	v_not_b32_e32 v0, v1
	v_ashrrev_i32_e32 v0, 31, v0
	v_xor_b32_e32 v1, vcc_hi, v0
	v_xor_b32_e32 v0, vcc_lo, v0
	; wave barrier
	ds_read_b32 v18, v30 offset:64
	v_and_b32_e32 v19, v19, v21
	v_and_b32_e32 v0, v3, v0
	;; [unrolled: 1-line block ×3, first 2 shown]
	v_mbcnt_lo_u32_b32 v2, v0, 0
	v_mbcnt_hi_u32_b32 v19, v1, v2
	v_cmp_eq_u32_e32 vcc, 0, v19
	v_cmp_ne_u64_e64 s[2:3], 0, v[0:1]
	s_and_b64 s[4:5], s[2:3], vcc
	; wave barrier
	s_and_saveexec_b64 s[2:3], s[4:5]
	s_cbranch_execz .LBB604_100
; %bb.99:
	v_bcnt_u32_b32 v0, v0, 0
	v_bcnt_u32_b32 v0, v1, v0
	s_waitcnt lgkmcnt(0)
	v_add_u32_e32 v0, v18, v0
	ds_write_b32 v30, v0 offset:64
.LBB604_100:
	s_or_b64 exec, exec, s[2:3]
	s_waitcnt vmcnt(3)
	v_xor_b32_e32 v32, 0xffffff80, v20
	v_lshrrev_b32_sdwa v0, s48, v32 dst_sel:DWORD dst_unused:UNUSED_PAD src0_sel:DWORD src1_sel:BYTE_0
	v_and_b32_e32 v2, s17, v0
	v_and_b32_e32 v1, 1, v2
	v_add_co_u32_e32 v3, vcc, -1, v1
	v_addc_co_u32_e64 v21, s[2:3], 0, -1, vcc
	v_cmp_ne_u32_e32 vcc, 0, v1
	v_mul_u32_u24_e32 v0, 17, v2
	v_xor_b32_e32 v1, vcc_hi, v21
	v_add_lshl_u32 v33, v25, v0, 2
	v_mov_b32_e32 v0, 0
	v_and_b32_e32 v21, exec_hi, v1
	v_lshlrev_b32_e32 v1, 30, v2
	v_xor_b32_e32 v3, vcc_lo, v3
	v_cmp_gt_i64_e32 vcc, 0, v[0:1]
	v_not_b32_e32 v1, v1
	v_ashrrev_i32_e32 v1, 31, v1
	v_and_b32_e32 v3, exec_lo, v3
	v_xor_b32_e32 v27, vcc_hi, v1
	v_xor_b32_e32 v1, vcc_lo, v1
	v_and_b32_e32 v3, v3, v1
	v_lshlrev_b32_e32 v1, 29, v2
	v_cmp_gt_i64_e32 vcc, 0, v[0:1]
	v_not_b32_e32 v1, v1
	v_ashrrev_i32_e32 v1, 31, v1
	v_and_b32_e32 v21, v21, v27
	v_xor_b32_e32 v27, vcc_hi, v1
	v_xor_b32_e32 v1, vcc_lo, v1
	v_and_b32_e32 v3, v3, v1
	v_lshlrev_b32_e32 v1, 28, v2
	v_cmp_gt_i64_e32 vcc, 0, v[0:1]
	v_not_b32_e32 v1, v1
	v_ashrrev_i32_e32 v1, 31, v1
	v_and_b32_e32 v21, v21, v27
	;; [unrolled: 8-line block ×5, first 2 shown]
	v_xor_b32_e32 v27, vcc_hi, v1
	v_xor_b32_e32 v1, vcc_lo, v1
	v_and_b32_e32 v21, v21, v27
	v_and_b32_e32 v27, v3, v1
	v_lshlrev_b32_e32 v1, 24, v2
	v_cmp_gt_i64_e32 vcc, 0, v[0:1]
	v_not_b32_e32 v1, v1
	v_ashrrev_i32_e32 v1, 31, v1
	v_xor_b32_e32 v2, vcc_hi, v1
	v_xor_b32_e32 v1, vcc_lo, v1
	; wave barrier
	ds_read_b32 v20, v33 offset:64
	v_and_b32_e32 v3, v21, v2
	v_and_b32_e32 v2, v27, v1
	v_mbcnt_lo_u32_b32 v1, v2, 0
	v_mbcnt_hi_u32_b32 v21, v3, v1
	v_cmp_eq_u32_e32 vcc, 0, v21
	v_cmp_ne_u64_e64 s[2:3], 0, v[2:3]
	s_and_b64 s[4:5], s[2:3], vcc
	; wave barrier
	s_and_saveexec_b64 s[2:3], s[4:5]
	s_cbranch_execz .LBB604_102
; %bb.101:
	v_bcnt_u32_b32 v1, v2, 0
	v_bcnt_u32_b32 v1, v3, v1
	s_waitcnt lgkmcnt(0)
	v_add_u32_e32 v1, v20, v1
	ds_write_b32 v33, v1 offset:64
.LBB604_102:
	s_or_b64 exec, exec, s[2:3]
	s_waitcnt vmcnt(2)
	v_xor_b32_e32 v34, 0xffffff80, v23
	v_lshrrev_b32_sdwa v1, s48, v34 dst_sel:DWORD dst_unused:UNUSED_PAD src0_sel:DWORD src1_sel:BYTE_0
	v_and_b32_e32 v2, s17, v1
	v_mul_u32_u24_e32 v1, 17, v2
	v_add_lshl_u32 v35, v25, v1, 2
	v_and_b32_e32 v1, 1, v2
	v_add_co_u32_e32 v3, vcc, -1, v1
	v_addc_co_u32_e64 v27, s[2:3], 0, -1, vcc
	v_cmp_ne_u32_e32 vcc, 0, v1
	v_xor_b32_e32 v1, vcc_hi, v27
	v_and_b32_e32 v27, exec_hi, v1
	v_lshlrev_b32_e32 v1, 30, v2
	v_xor_b32_e32 v3, vcc_lo, v3
	v_cmp_gt_i64_e32 vcc, 0, v[0:1]
	v_not_b32_e32 v1, v1
	v_ashrrev_i32_e32 v1, 31, v1
	v_and_b32_e32 v3, exec_lo, v3
	v_xor_b32_e32 v31, vcc_hi, v1
	v_xor_b32_e32 v1, vcc_lo, v1
	v_and_b32_e32 v3, v3, v1
	v_lshlrev_b32_e32 v1, 29, v2
	v_cmp_gt_i64_e32 vcc, 0, v[0:1]
	v_not_b32_e32 v1, v1
	v_ashrrev_i32_e32 v1, 31, v1
	v_and_b32_e32 v27, v27, v31
	v_xor_b32_e32 v31, vcc_hi, v1
	v_xor_b32_e32 v1, vcc_lo, v1
	v_and_b32_e32 v3, v3, v1
	v_lshlrev_b32_e32 v1, 28, v2
	v_cmp_gt_i64_e32 vcc, 0, v[0:1]
	v_not_b32_e32 v1, v1
	v_ashrrev_i32_e32 v1, 31, v1
	v_and_b32_e32 v27, v27, v31
	v_xor_b32_e32 v31, vcc_hi, v1
	v_xor_b32_e32 v1, vcc_lo, v1
	v_and_b32_e32 v3, v3, v1
	v_lshlrev_b32_e32 v1, 27, v2
	v_cmp_gt_i64_e32 vcc, 0, v[0:1]
	v_not_b32_e32 v1, v1
	v_ashrrev_i32_e32 v1, 31, v1
	v_and_b32_e32 v27, v27, v31
	v_xor_b32_e32 v31, vcc_hi, v1
	v_xor_b32_e32 v1, vcc_lo, v1
	v_and_b32_e32 v3, v3, v1
	v_lshlrev_b32_e32 v1, 26, v2
	v_cmp_gt_i64_e32 vcc, 0, v[0:1]
	v_not_b32_e32 v1, v1
	v_ashrrev_i32_e32 v1, 31, v1
	v_and_b32_e32 v27, v27, v31
	v_xor_b32_e32 v31, vcc_hi, v1
	v_xor_b32_e32 v1, vcc_lo, v1
	v_and_b32_e32 v3, v3, v1
	v_lshlrev_b32_e32 v1, 25, v2
	v_cmp_gt_i64_e32 vcc, 0, v[0:1]
	v_not_b32_e32 v1, v1
	v_ashrrev_i32_e32 v1, 31, v1
	v_and_b32_e32 v27, v27, v31
	v_xor_b32_e32 v31, vcc_hi, v1
	v_xor_b32_e32 v1, vcc_lo, v1
	v_and_b32_e32 v3, v3, v1
	v_lshlrev_b32_e32 v1, 24, v2
	v_cmp_gt_i64_e32 vcc, 0, v[0:1]
	v_not_b32_e32 v0, v1
	v_ashrrev_i32_e32 v0, 31, v0
	v_xor_b32_e32 v1, vcc_hi, v0
	v_xor_b32_e32 v0, vcc_lo, v0
	; wave barrier
	ds_read_b32 v23, v35 offset:64
	v_and_b32_e32 v27, v27, v31
	v_and_b32_e32 v0, v3, v0
	;; [unrolled: 1-line block ×3, first 2 shown]
	v_mbcnt_lo_u32_b32 v2, v0, 0
	v_mbcnt_hi_u32_b32 v27, v1, v2
	v_cmp_eq_u32_e32 vcc, 0, v27
	v_cmp_ne_u64_e64 s[2:3], 0, v[0:1]
	s_and_b64 s[4:5], s[2:3], vcc
	; wave barrier
	s_and_saveexec_b64 s[2:3], s[4:5]
	s_cbranch_execz .LBB604_104
; %bb.103:
	v_bcnt_u32_b32 v0, v0, 0
	v_bcnt_u32_b32 v0, v1, v0
	s_waitcnt lgkmcnt(0)
	v_add_u32_e32 v0, v23, v0
	ds_write_b32 v35, v0 offset:64
.LBB604_104:
	s_or_b64 exec, exec, s[2:3]
	s_waitcnt vmcnt(1)
	v_xor_b32_e32 v36, 0xffffff80, v29
	v_lshrrev_b32_sdwa v0, s48, v36 dst_sel:DWORD dst_unused:UNUSED_PAD src0_sel:DWORD src1_sel:BYTE_0
	v_and_b32_e32 v2, s17, v0
	v_and_b32_e32 v1, 1, v2
	v_add_co_u32_e32 v3, vcc, -1, v1
	v_addc_co_u32_e64 v31, s[2:3], 0, -1, vcc
	v_cmp_ne_u32_e32 vcc, 0, v1
	v_mul_u32_u24_e32 v0, 17, v2
	v_xor_b32_e32 v1, vcc_hi, v31
	v_add_lshl_u32 v41, v25, v0, 2
	v_mov_b32_e32 v0, 0
	v_and_b32_e32 v31, exec_hi, v1
	v_lshlrev_b32_e32 v1, 30, v2
	v_xor_b32_e32 v3, vcc_lo, v3
	v_cmp_gt_i64_e32 vcc, 0, v[0:1]
	v_not_b32_e32 v1, v1
	v_ashrrev_i32_e32 v1, 31, v1
	v_and_b32_e32 v3, exec_lo, v3
	v_xor_b32_e32 v37, vcc_hi, v1
	v_xor_b32_e32 v1, vcc_lo, v1
	v_and_b32_e32 v3, v3, v1
	v_lshlrev_b32_e32 v1, 29, v2
	v_cmp_gt_i64_e32 vcc, 0, v[0:1]
	v_not_b32_e32 v1, v1
	v_ashrrev_i32_e32 v1, 31, v1
	v_and_b32_e32 v31, v31, v37
	v_xor_b32_e32 v37, vcc_hi, v1
	v_xor_b32_e32 v1, vcc_lo, v1
	v_and_b32_e32 v3, v3, v1
	v_lshlrev_b32_e32 v1, 28, v2
	v_cmp_gt_i64_e32 vcc, 0, v[0:1]
	v_not_b32_e32 v1, v1
	v_ashrrev_i32_e32 v1, 31, v1
	v_and_b32_e32 v31, v31, v37
	;; [unrolled: 8-line block ×5, first 2 shown]
	v_xor_b32_e32 v37, vcc_hi, v1
	v_xor_b32_e32 v1, vcc_lo, v1
	v_and_b32_e32 v31, v31, v37
	v_and_b32_e32 v37, v3, v1
	v_lshlrev_b32_e32 v1, 24, v2
	v_cmp_gt_i64_e32 vcc, 0, v[0:1]
	v_not_b32_e32 v1, v1
	v_ashrrev_i32_e32 v1, 31, v1
	v_xor_b32_e32 v2, vcc_hi, v1
	v_xor_b32_e32 v1, vcc_lo, v1
	; wave barrier
	ds_read_b32 v29, v41 offset:64
	v_and_b32_e32 v3, v31, v2
	v_and_b32_e32 v2, v37, v1
	v_mbcnt_lo_u32_b32 v1, v2, 0
	v_mbcnt_hi_u32_b32 v31, v3, v1
	v_cmp_eq_u32_e32 vcc, 0, v31
	v_cmp_ne_u64_e64 s[2:3], 0, v[2:3]
	s_and_b64 s[4:5], s[2:3], vcc
	; wave barrier
	s_and_saveexec_b64 s[2:3], s[4:5]
	s_cbranch_execz .LBB604_106
; %bb.105:
	v_bcnt_u32_b32 v1, v2, 0
	v_bcnt_u32_b32 v1, v3, v1
	s_waitcnt lgkmcnt(0)
	v_add_u32_e32 v1, v29, v1
	ds_write_b32 v41, v1 offset:64
.LBB604_106:
	s_or_b64 exec, exec, s[2:3]
	s_waitcnt vmcnt(0)
	v_xor_b32_e32 v43, 0xffffff80, v24
	v_lshrrev_b32_sdwa v1, s48, v43 dst_sel:DWORD dst_unused:UNUSED_PAD src0_sel:DWORD src1_sel:BYTE_0
	v_and_b32_e32 v2, s17, v1
	v_mul_u32_u24_e32 v1, 17, v2
	v_add_lshl_u32 v42, v25, v1, 2
	v_and_b32_e32 v1, 1, v2
	v_add_co_u32_e32 v3, vcc, -1, v1
	v_addc_co_u32_e64 v25, s[2:3], 0, -1, vcc
	v_cmp_ne_u32_e32 vcc, 0, v1
	v_xor_b32_e32 v1, vcc_hi, v25
	v_and_b32_e32 v25, exec_hi, v1
	v_lshlrev_b32_e32 v1, 30, v2
	v_xor_b32_e32 v3, vcc_lo, v3
	v_cmp_gt_i64_e32 vcc, 0, v[0:1]
	v_not_b32_e32 v1, v1
	v_ashrrev_i32_e32 v1, 31, v1
	v_and_b32_e32 v3, exec_lo, v3
	v_xor_b32_e32 v38, vcc_hi, v1
	v_xor_b32_e32 v1, vcc_lo, v1
	v_and_b32_e32 v3, v3, v1
	v_lshlrev_b32_e32 v1, 29, v2
	v_cmp_gt_i64_e32 vcc, 0, v[0:1]
	v_not_b32_e32 v1, v1
	v_ashrrev_i32_e32 v1, 31, v1
	v_and_b32_e32 v25, v25, v38
	v_xor_b32_e32 v38, vcc_hi, v1
	v_xor_b32_e32 v1, vcc_lo, v1
	v_and_b32_e32 v3, v3, v1
	v_lshlrev_b32_e32 v1, 28, v2
	v_cmp_gt_i64_e32 vcc, 0, v[0:1]
	v_not_b32_e32 v1, v1
	v_ashrrev_i32_e32 v1, 31, v1
	v_and_b32_e32 v25, v25, v38
	;; [unrolled: 8-line block ×5, first 2 shown]
	v_xor_b32_e32 v38, vcc_hi, v1
	v_xor_b32_e32 v1, vcc_lo, v1
	v_and_b32_e32 v3, v3, v1
	v_lshlrev_b32_e32 v1, 24, v2
	v_cmp_gt_i64_e32 vcc, 0, v[0:1]
	v_not_b32_e32 v0, v1
	v_ashrrev_i32_e32 v0, 31, v0
	v_xor_b32_e32 v1, vcc_hi, v0
	v_xor_b32_e32 v0, vcc_lo, v0
	; wave barrier
	ds_read_b32 v24, v42 offset:64
	v_and_b32_e32 v25, v25, v38
	v_and_b32_e32 v0, v3, v0
	;; [unrolled: 1-line block ×3, first 2 shown]
	v_mbcnt_lo_u32_b32 v2, v0, 0
	v_mbcnt_hi_u32_b32 v25, v1, v2
	v_cmp_eq_u32_e32 vcc, 0, v25
	v_cmp_ne_u64_e64 s[2:3], 0, v[0:1]
	v_add_u32_e32 v37, 64, v6
	s_and_b64 s[4:5], s[2:3], vcc
	; wave barrier
	s_and_saveexec_b64 s[2:3], s[4:5]
	s_cbranch_execz .LBB604_108
; %bb.107:
	v_bcnt_u32_b32 v0, v0, 0
	v_bcnt_u32_b32 v0, v1, v0
	s_waitcnt lgkmcnt(0)
	v_add_u32_e32 v0, v24, v0
	ds_write_b32 v42, v0 offset:64
.LBB604_108:
	s_or_b64 exec, exec, s[2:3]
	; wave barrier
	s_waitcnt lgkmcnt(0)
	s_barrier
	ds_read2_b32 v[2:3], v6 offset0:16 offset1:17
	ds_read2_b32 v[0:1], v37 offset0:2 offset1:3
	ds_read_b32 v38, v37 offset:16
	v_cmp_lt_u32_e64 s[8:9], 31, v5
	s_waitcnt lgkmcnt(1)
	v_add3_u32 v39, v3, v2, v0
	s_waitcnt lgkmcnt(0)
	v_add3_u32 v38, v39, v1, v38
	v_and_b32_e32 v39, 15, v5
	v_cmp_eq_u32_e32 vcc, 0, v39
	v_mov_b32_dpp v40, v38 row_shr:1 row_mask:0xf bank_mask:0xf
	v_cndmask_b32_e64 v40, v40, 0, vcc
	v_add_u32_e32 v38, v40, v38
	v_cmp_lt_u32_e64 s[2:3], 1, v39
	v_cmp_lt_u32_e64 s[4:5], 3, v39
	v_mov_b32_dpp v40, v38 row_shr:2 row_mask:0xf bank_mask:0xf
	v_cndmask_b32_e64 v40, 0, v40, s[2:3]
	v_add_u32_e32 v38, v38, v40
	v_cmp_lt_u32_e64 s[6:7], 7, v39
	s_nop 0
	v_mov_b32_dpp v40, v38 row_shr:4 row_mask:0xf bank_mask:0xf
	v_cndmask_b32_e64 v40, 0, v40, s[4:5]
	v_add_u32_e32 v38, v38, v40
	s_nop 1
	v_mov_b32_dpp v40, v38 row_shr:8 row_mask:0xf bank_mask:0xf
	v_cndmask_b32_e64 v39, 0, v40, s[6:7]
	v_add_u32_e32 v38, v38, v39
	v_bfe_i32 v40, v5, 4, 1
	s_nop 0
	v_mov_b32_dpp v39, v38 row_bcast:15 row_mask:0xf bank_mask:0xf
	v_and_b32_e32 v39, v40, v39
	v_add_u32_e32 v38, v38, v39
	v_and_b32_e32 v40, 63, v10
	s_nop 0
	v_mov_b32_dpp v39, v38 row_bcast:31 row_mask:0xf bank_mask:0xf
	v_cndmask_b32_e64 v39, 0, v39, s[8:9]
	v_add_u32_e32 v38, v38, v39
	v_lshrrev_b32_e32 v39, 6, v10
	v_cmp_eq_u32_e64 s[8:9], 63, v40
	s_and_saveexec_b64 s[14:15], s[8:9]
	s_cbranch_execz .LBB604_110
; %bb.109:
	v_lshlrev_b32_e32 v40, 2, v39
	ds_write_b32 v40, v38
.LBB604_110:
	s_or_b64 exec, exec, s[14:15]
	v_cmp_gt_u32_e64 s[8:9], 16, v10
	v_lshlrev_b32_e32 v44, 2, v10
	s_waitcnt lgkmcnt(0)
	s_barrier
	s_and_saveexec_b64 s[14:15], s[8:9]
	s_cbranch_execz .LBB604_112
; %bb.111:
	ds_read_b32 v40, v44
	s_waitcnt lgkmcnt(0)
	s_nop 0
	v_mov_b32_dpp v45, v40 row_shr:1 row_mask:0xf bank_mask:0xf
	v_cndmask_b32_e64 v45, v45, 0, vcc
	v_add_u32_e32 v40, v45, v40
	s_nop 1
	v_mov_b32_dpp v45, v40 row_shr:2 row_mask:0xf bank_mask:0xf
	v_cndmask_b32_e64 v45, 0, v45, s[2:3]
	v_add_u32_e32 v40, v40, v45
	s_nop 1
	v_mov_b32_dpp v45, v40 row_shr:4 row_mask:0xf bank_mask:0xf
	v_cndmask_b32_e64 v45, 0, v45, s[4:5]
	;; [unrolled: 4-line block ×3, first 2 shown]
	v_add_u32_e32 v40, v40, v45
	ds_write_b32 v44, v40
.LBB604_112:
	s_or_b64 exec, exec, s[14:15]
	v_cmp_lt_u32_e32 vcc, 63, v10
	v_mov_b32_e32 v40, 0
	s_waitcnt lgkmcnt(0)
	s_barrier
	s_and_saveexec_b64 s[2:3], vcc
	s_cbranch_execz .LBB604_114
; %bb.113:
	v_lshl_add_u32 v39, v39, 2, -4
	ds_read_b32 v40, v39
.LBB604_114:
	s_or_b64 exec, exec, s[2:3]
	v_add_u32_e32 v39, -1, v5
	v_and_b32_e32 v45, 64, v5
	v_cmp_lt_i32_e32 vcc, v39, v45
	v_cndmask_b32_e32 v39, v39, v5, vcc
	s_waitcnt lgkmcnt(0)
	v_add_u32_e32 v38, v40, v38
	v_lshlrev_b32_e32 v39, 2, v39
	ds_bpermute_b32 v38, v39, v38
	v_cmp_eq_u32_e32 vcc, 0, v5
	s_movk_i32 s2, 0xff
	s_movk_i32 s3, 0x100
	s_waitcnt lgkmcnt(0)
	v_cndmask_b32_e32 v5, v38, v40, vcc
	v_cndmask_b32_e64 v5, v5, 0, s[0:1]
	v_add_u32_e32 v2, v5, v2
	v_add_u32_e32 v3, v2, v3
	;; [unrolled: 1-line block ×4, first 2 shown]
	ds_write2_b32 v6, v5, v2 offset0:16 offset1:17
	ds_write2_b32 v37, v3, v0 offset0:2 offset1:3
	ds_write_b32 v37, v1 offset:16
	s_waitcnt lgkmcnt(0)
	s_barrier
	ds_read_b32 v0, v7 offset:64
	ds_read_b32 v37, v15 offset:64
	;; [unrolled: 1-line block ×8, first 2 shown]
	v_cmp_lt_u32_e64 s[0:1], s2, v10
	v_cmp_gt_u32_e32 vcc, s3, v10
                                        ; implicit-def: $vgpr30
                                        ; implicit-def: $vgpr33
	s_and_saveexec_b64 s[4:5], vcc
	s_cbranch_execz .LBB604_118
; %bb.115:
	v_mul_u32_u24_e32 v1, 17, v10
	v_lshlrev_b32_e32 v2, 2, v1
	ds_read_b32 v30, v2 offset:64
	v_cmp_ne_u32_e64 s[2:3], s2, v10
	v_mov_b32_e32 v1, 0x2000
	s_and_saveexec_b64 s[6:7], s[2:3]
	s_cbranch_execz .LBB604_117
; %bb.116:
	ds_read_b32 v1, v2 offset:132
.LBB604_117:
	s_or_b64 exec, exec, s[6:7]
	s_waitcnt lgkmcnt(0)
	v_sub_u32_e32 v33, v1, v30
.LBB604_118:
	s_or_b64 exec, exec, s[4:5]
	s_waitcnt lgkmcnt(7)
	v_add_u32_e32 v35, v0, v11
	s_waitcnt lgkmcnt(6)
	v_add3_u32 v0, v13, v9, v37
	s_waitcnt lgkmcnt(5)
	v_add3_u32 v1, v17, v16, v26
	;; [unrolled: 2-line block ×7, first 2 shown]
	s_barrier
	ds_write_b8 v35, v4 offset:1024
	ds_write_b8 v0, v14 offset:1024
	;; [unrolled: 1-line block ×8, first 2 shown]
                                        ; implicit-def: $vgpr14_vgpr15
	s_and_saveexec_b64 s[2:3], s[0:1]
	s_xor_b64 s[0:1], exec, s[2:3]
; %bb.119:
	v_mov_b32_e32 v11, 0
	v_pk_mov_b32 v[14:15], v[10:11], v[10:11] op_sel:[0,1]
                                        ; implicit-def: $vgpr44
; %bb.120:
	s_andn2_saveexec_b64 s[2:3], s[0:1]
	s_cbranch_execz .LBB604_130
; %bb.121:
	v_lshl_or_b32 v0, s33, 8, v10
	v_mov_b32_e32 v1, 0
	v_lshlrev_b64 v[2:3], 2, v[0:1]
	v_mov_b32_e32 v6, s31
	v_add_co_u32_e64 v2, s[0:1], s30, v2
	v_addc_co_u32_e64 v3, s[0:1], v6, v3, s[0:1]
	v_or_b32_e32 v0, 2.0, v33
	s_mov_b64 s[4:5], 0
	s_brev_b32 s14, 1
	s_mov_b32 s15, s33
	v_mov_b32_e32 v7, 0
	global_store_dword v[2:3], v0, off
                                        ; implicit-def: $sgpr0_sgpr1
	s_branch .LBB604_124
.LBB604_122:                            ;   in Loop: Header=BB604_124 Depth=1
	s_or_b64 exec, exec, s[8:9]
.LBB604_123:                            ;   in Loop: Header=BB604_124 Depth=1
	s_or_b64 exec, exec, s[6:7]
	v_and_b32_e32 v4, 0x3fffffff, v11
	v_add_u32_e32 v7, v4, v7
	v_cmp_eq_u32_e64 s[0:1], s14, v0
	s_and_b64 s[6:7], exec, s[0:1]
	s_or_b64 s[4:5], s[6:7], s[4:5]
	s_andn2_b64 exec, exec, s[4:5]
	s_cbranch_execz .LBB604_129
.LBB604_124:                            ; =>This Loop Header: Depth=1
                                        ;     Child Loop BB604_127 Depth 2
	s_or_b64 s[0:1], s[0:1], exec
	s_cmp_eq_u32 s15, 0
	s_cbranch_scc1 .LBB604_128
; %bb.125:                              ;   in Loop: Header=BB604_124 Depth=1
	s_add_i32 s15, s15, -1
	v_lshl_or_b32 v0, s15, 8, v10
	v_lshlrev_b64 v[4:5], 2, v[0:1]
	v_add_co_u32_e64 v4, s[0:1], s30, v4
	v_addc_co_u32_e64 v5, s[0:1], v6, v5, s[0:1]
	global_load_dword v11, v[4:5], off glc
	s_waitcnt vmcnt(0)
	v_and_b32_e32 v0, -2.0, v11
	v_cmp_eq_u32_e64 s[0:1], 0, v0
	s_and_saveexec_b64 s[6:7], s[0:1]
	s_cbranch_execz .LBB604_123
; %bb.126:                              ;   in Loop: Header=BB604_124 Depth=1
	s_mov_b64 s[8:9], 0
.LBB604_127:                            ;   Parent Loop BB604_124 Depth=1
                                        ; =>  This Inner Loop Header: Depth=2
	global_load_dword v11, v[4:5], off glc
	s_waitcnt vmcnt(0)
	v_and_b32_e32 v0, -2.0, v11
	v_cmp_ne_u32_e64 s[0:1], 0, v0
	s_or_b64 s[8:9], s[0:1], s[8:9]
	s_andn2_b64 exec, exec, s[8:9]
	s_cbranch_execnz .LBB604_127
	s_branch .LBB604_122
.LBB604_128:                            ;   in Loop: Header=BB604_124 Depth=1
                                        ; implicit-def: $sgpr15
	s_and_b64 s[6:7], exec, s[0:1]
	s_or_b64 s[4:5], s[6:7], s[4:5]
	s_andn2_b64 exec, exec, s[4:5]
	s_cbranch_execnz .LBB604_124
.LBB604_129:
	s_or_b64 exec, exec, s[4:5]
	v_add_u32_e32 v0, v7, v33
	v_or_b32_e32 v0, 0x80000000, v0
	global_store_dword v[2:3], v0, off
	global_load_dword v0, v44, s[44:45]
	v_mov_b32_e32 v11, 0
	v_sub_u32_e32 v1, v7, v30
	v_pk_mov_b32 v[14:15], v[10:11], v[10:11] op_sel:[0,1]
	s_waitcnt vmcnt(0)
	v_add_u32_e32 v0, v1, v0
	ds_write_b32 v44, v0
.LBB604_130:
	s_or_b64 exec, exec, s[2:3]
	s_waitcnt lgkmcnt(0)
	s_barrier
	ds_read_u8 v1, v14 offset:1024
	ds_read_u8 v11, v10 offset:2048
	ds_read_u8 v22, v10 offset:3072
	ds_read_u8 v28, v10 offset:4096
	ds_read_u8 v32, v10 offset:5120
	ds_read_u8 v34, v10 offset:6144
	ds_read_u8 v36, v10 offset:7168
	ds_read_u8 v43, v10 offset:8192
	s_waitcnt lgkmcnt(7)
	v_lshrrev_b32_sdwa v0, s48, v1 dst_sel:DWORD dst_unused:UNUSED_PAD src0_sel:DWORD src1_sel:BYTE_0
	v_and_b32_e32 v0, s17, v0
	v_xor_b32_e32 v44, 0x80, v1
	s_waitcnt lgkmcnt(6)
	v_lshrrev_b32_sdwa v1, s48, v11 dst_sel:DWORD dst_unused:UNUSED_PAD src0_sel:DWORD src1_sel:BYTE_0
	v_lshlrev_b32_e32 v2, 2, v0
	v_and_b32_e32 v1, s17, v1
	s_waitcnt lgkmcnt(5)
	v_lshrrev_b32_sdwa v4, s48, v22 dst_sel:DWORD dst_unused:UNUSED_PAD src0_sel:DWORD src1_sel:BYTE_0
	v_lshlrev_b32_e32 v3, 2, v1
	ds_read_b32 v45, v2
	ds_read_b32 v46, v3
	v_and_b32_e32 v2, s17, v4
	v_lshlrev_b32_e32 v3, 2, v2
	ds_read_b32 v47, v3
	s_waitcnt lgkmcnt(7)
	v_lshrrev_b32_sdwa v3, s48, v28 dst_sel:DWORD dst_unused:UNUSED_PAD src0_sel:DWORD src1_sel:BYTE_0
	v_and_b32_e32 v3, s17, v3
	v_lshlrev_b32_e32 v4, 2, v3
	ds_read_b32 v48, v4
	s_waitcnt lgkmcnt(7)
	v_lshrrev_b32_sdwa v4, s48, v32 dst_sel:DWORD dst_unused:UNUSED_PAD src0_sel:DWORD src1_sel:BYTE_0
	;; [unrolled: 5-line block ×5, first 2 shown]
	v_and_b32_e32 v7, s17, v7
	s_waitcnt lgkmcnt(6)
	v_add_u32_e32 v45, v45, v10
	s_movk_i32 s2, 0x400
	v_lshlrev_b32_e32 v52, 2, v7
	global_store_byte v45, v44, s[38:39]
	v_xor_b32_e32 v11, 0x80, v11
	s_waitcnt lgkmcnt(5)
	v_add3_u32 v44, v46, v10, s2
	s_movk_i32 s0, 0x800
	ds_read_b32 v52, v52
	global_store_byte v44, v11, s[38:39]
	v_xor_b32_e32 v11, 0x80, v22
	s_waitcnt lgkmcnt(5)
	v_add3_u32 v22, v47, v10, s0
	s_movk_i32 s0, 0xc00
	global_store_byte v22, v11, s[38:39]
	v_xor_b32_e32 v11, 0x80, v28
	s_waitcnt lgkmcnt(4)
	v_add3_u32 v22, v48, v10, s0
	s_movk_i32 s0, 0x1000
	;; [unrolled: 5-line block ×5, first 2 shown]
	global_store_byte v22, v11, s[38:39]
	s_waitcnt lgkmcnt(0)
	v_add3_u32 v22, v52, v10, s0
	s_lshl_b64 s[0:1], s[12:13], 3
	s_add_u32 s0, s40, s0
	v_add3_u32 v37, v13, v37, v9
	v_lshlrev_b32_e32 v9, 3, v12
	s_addc_u32 s1, s41, s1
	v_mov_b32_e32 v12, s1
	v_add_co_u32_e64 v9, s[0:1], s0, v9
	v_lshlrev_b32_e32 v8, 3, v8
	v_addc_co_u32_e64 v12, s[0:1], 0, v12, s[0:1]
	v_xor_b32_e32 v11, 0x80, v43
	v_add_co_u32_e64 v28, s[0:1], v9, v8
	global_store_byte v22, v11, s[38:39]
	v_add3_u32 v31, v31, v41, v29
	v_addc_co_u32_e64 v29, s[0:1], 0, v12, s[0:1]
	v_or_b32_e32 v8, 0x400, v10
	v_mul_u32_u24_e32 v9, 7, v10
	v_add3_u32 v11, v25, v42, v24
	v_add3_u32 v32, v27, v40, v23
	v_add3_u32 v34, v21, v39, v20
	v_add3_u32 v36, v19, v38, v18
	v_add3_u32 v38, v17, v26, v16
	v_add_u32_e32 v39, v8, v9
	global_load_dwordx2 v[8:9], v[28:29], off
	global_load_dwordx2 v[12:13], v[28:29], off offset:512
	global_load_dwordx2 v[16:17], v[28:29], off offset:1024
	;; [unrolled: 1-line block ×7, first 2 shown]
	s_mov_b32 s3, 0
	s_mov_b32 s4, 1
	v_lshlrev_b32_e32 v40, 3, v14
	v_mov_b32_e32 v29, 0
	s_barrier
	s_waitcnt vmcnt(0)
.LBB604_131:                            ; =>This Inner Loop Header: Depth=1
	v_add_u32_e32 v28, s3, v35
	v_min_u32_e32 v28, 0x800, v28
	v_lshlrev_b32_e32 v28, 3, v28
	ds_write_b64 v28, v[8:9] offset:1024
	v_add_u32_e32 v28, s3, v37
	v_min_u32_e32 v28, 0x800, v28
	v_lshlrev_b32_e32 v28, 3, v28
	ds_write_b64 v28, v[12:13] offset:1024
	;; [unrolled: 4-line block ×7, first 2 shown]
	v_add_u32_e32 v28, s3, v11
	s_add_i32 s5, s4, -1
	v_min_u32_e32 v28, 0x800, v28
	s_cmp_eq_u32 s5, 1
	v_lshlrev_b32_e32 v28, 3, v28
	s_cselect_b64 s[0:1], -1, 0
	s_cmp_eq_u32 s5, 2
	ds_write_b64 v28, v[26:27] offset:1024
	v_cndmask_b32_e64 v28, v0, v1, s[0:1]
	s_cselect_b64 s[0:1], -1, 0
	s_cmp_eq_u32 s5, 3
	v_cndmask_b32_e64 v28, v28, v2, s[0:1]
	s_cselect_b64 s[0:1], -1, 0
	s_cmp_eq_u32 s5, 4
	;; [unrolled: 3-line block ×10, first 2 shown]
	v_lshlrev_b32_e32 v28, 2, v28
	v_cndmask_b32_e64 v41, v41, v4, s[0:1]
	s_cselect_b64 s[0:1], -1, 0
	s_cmp_eq_u32 s4, 6
	s_waitcnt lgkmcnt(0)
	s_barrier
	ds_read_b32 v28, v28
	v_cndmask_b32_e64 v41, v41, v5, s[0:1]
	s_cselect_b64 s[0:1], -1, 0
	s_cmp_eq_u32 s4, 7
	v_cndmask_b32_e64 v41, v41, v6, s[0:1]
	s_cselect_b64 s[0:1], -1, 0
	v_cndmask_b32_e64 v41, v41, v7, s[0:1]
	v_lshlrev_b32_e32 v41, 2, v41
	ds_read_b32 v41, v41
	ds_read_b64 v[42:43], v39 offset:8192
	ds_read_b64 v[46:47], v40 offset:1024
	s_waitcnt lgkmcnt(3)
	v_add_u32_e32 v28, v10, v28
	v_lshlrev_b64 v[44:45], 3, v[28:29]
	v_mov_b32_e32 v48, s43
	v_add_co_u32_e64 v44, s[0:1], s42, v44
	v_addc_co_u32_e64 v45, s[0:1], v48, v45, s[0:1]
	s_waitcnt lgkmcnt(2)
	v_add3_u32 v28, v10, v41, s2
	s_waitcnt lgkmcnt(0)
	global_store_dwordx2 v[44:45], v[46:47], off
	v_lshlrev_b64 v[44:45], 3, v[28:29]
	v_add_co_u32_e64 v44, s[0:1], s42, v44
	s_addk_i32 s3, 0xf800
	s_add_i32 s4, s4, 2
	v_addc_co_u32_e64 v45, s[0:1], v48, v45, s[0:1]
	s_cmpk_lg_i32 s3, 0xe000
	v_add_u32_e32 v10, 0x800, v10
	global_store_dwordx2 v[44:45], v[42:43], off
	s_barrier
	s_cbranch_scc1 .LBB604_131
; %bb.132:
	s_add_i32 s16, s16, -1
	s_cmp_eq_u32 s16, s33
	s_cselect_b64 s[0:1], -1, 0
	s_and_b64 s[2:3], vcc, s[0:1]
                                        ; implicit-def: $vgpr2
	s_and_saveexec_b64 s[0:1], s[2:3]
; %bb.133:
	v_add_u32_e32 v2, v30, v33
	s_or_b64 s[10:11], s[10:11], exec
; %bb.134:
	s_or_b64 exec, exec, s[0:1]
	v_mov_b32_e32 v10, v14
.LBB604_135:
	s_and_saveexec_b64 s[0:1], s[10:11]
	s_cbranch_execnz .LBB604_137
; %bb.136:
	s_endpgm
.LBB604_137:
	v_lshlrev_b32_e32 v3, 2, v10
	ds_read_b32 v3, v3
	v_lshlrev_b64 v[0:1], 2, v[14:15]
	v_mov_b32_e32 v4, s47
	v_add_co_u32_e32 v0, vcc, s46, v0
	v_addc_co_u32_e32 v1, vcc, v4, v1, vcc
	s_waitcnt lgkmcnt(0)
	v_add_u32_e32 v2, v3, v2
	global_store_dword v[0:1], v2, off
	s_endpgm
.LBB604_138:
	global_load_dwordx2 v[12:13], v[28:29], off
	s_or_b64 exec, exec, s[20:21]
                                        ; implicit-def: $vgpr14_vgpr15
	s_and_saveexec_b64 s[20:21], s[2:3]
	s_cbranch_execz .LBB604_75
.LBB604_139:
	global_load_dwordx2 v[14:15], v[28:29], off offset:512
	s_or_b64 exec, exec, s[20:21]
                                        ; implicit-def: $vgpr16_vgpr17
	s_and_saveexec_b64 s[2:3], s[26:27]
	s_cbranch_execz .LBB604_76
.LBB604_140:
	global_load_dwordx2 v[16:17], v[28:29], off offset:1024
	s_or_b64 exec, exec, s[2:3]
                                        ; implicit-def: $vgpr18_vgpr19
	s_and_saveexec_b64 s[2:3], s[8:9]
	s_cbranch_execz .LBB604_77
.LBB604_141:
	global_load_dwordx2 v[18:19], v[28:29], off offset:1536
	s_or_b64 exec, exec, s[2:3]
                                        ; implicit-def: $vgpr20_vgpr21
	s_and_saveexec_b64 s[2:3], s[10:11]
	s_cbranch_execz .LBB604_78
.LBB604_142:
	global_load_dwordx2 v[20:21], v[28:29], off offset:2048
	s_or_b64 exec, exec, s[2:3]
                                        ; implicit-def: $vgpr22_vgpr23
	s_and_saveexec_b64 s[2:3], s[12:13]
	s_cbranch_execz .LBB604_79
.LBB604_143:
	global_load_dwordx2 v[22:23], v[28:29], off offset:2560
	s_or_b64 exec, exec, s[2:3]
                                        ; implicit-def: $vgpr24_vgpr25
	s_and_saveexec_b64 s[2:3], s[14:15]
	s_cbranch_execz .LBB604_80
.LBB604_144:
	global_load_dwordx2 v[24:25], v[28:29], off offset:3072
	s_or_b64 exec, exec, s[2:3]
                                        ; implicit-def: $vgpr26_vgpr27
	s_and_saveexec_b64 s[2:3], s[16:17]
	s_cbranch_execnz .LBB604_81
	s_branch .LBB604_82
	.section	.rodata,"a",@progbits
	.p2align	6, 0x0
	.amdhsa_kernel _ZN7rocprim17ROCPRIM_400000_NS6detail17trampoline_kernelINS0_14default_configENS1_35radix_sort_onesweep_config_selectorIalEEZZNS1_29radix_sort_onesweep_iterationIS3_Lb0EPaS7_N6thrust23THRUST_200600_302600_NS10device_ptrIlEESB_jNS0_19identity_decomposerENS1_16block_id_wrapperIjLb1EEEEE10hipError_tT1_PNSt15iterator_traitsISG_E10value_typeET2_T3_PNSH_ISM_E10value_typeET4_T5_PSR_SS_PNS1_23onesweep_lookback_stateEbbT6_jjT7_P12ihipStream_tbENKUlT_T0_SG_SL_E_clIS7_S7_SB_SB_EEDaSZ_S10_SG_SL_EUlSZ_E_NS1_11comp_targetILNS1_3genE4ELNS1_11target_archE910ELNS1_3gpuE8ELNS1_3repE0EEENS1_47radix_sort_onesweep_sort_config_static_selectorELNS0_4arch9wavefront6targetE1EEEvSG_
		.amdhsa_group_segment_fixed_size 20552
		.amdhsa_private_segment_fixed_size 0
		.amdhsa_kernarg_size 344
		.amdhsa_user_sgpr_count 6
		.amdhsa_user_sgpr_private_segment_buffer 1
		.amdhsa_user_sgpr_dispatch_ptr 0
		.amdhsa_user_sgpr_queue_ptr 0
		.amdhsa_user_sgpr_kernarg_segment_ptr 1
		.amdhsa_user_sgpr_dispatch_id 0
		.amdhsa_user_sgpr_flat_scratch_init 0
		.amdhsa_user_sgpr_kernarg_preload_length 0
		.amdhsa_user_sgpr_kernarg_preload_offset 0
		.amdhsa_user_sgpr_private_segment_size 0
		.amdhsa_uses_dynamic_stack 0
		.amdhsa_system_sgpr_private_segment_wavefront_offset 0
		.amdhsa_system_sgpr_workgroup_id_x 1
		.amdhsa_system_sgpr_workgroup_id_y 0
		.amdhsa_system_sgpr_workgroup_id_z 0
		.amdhsa_system_sgpr_workgroup_info 0
		.amdhsa_system_vgpr_workitem_id 2
		.amdhsa_next_free_vgpr 55
		.amdhsa_next_free_sgpr 56
		.amdhsa_accum_offset 56
		.amdhsa_reserve_vcc 1
		.amdhsa_reserve_flat_scratch 0
		.amdhsa_float_round_mode_32 0
		.amdhsa_float_round_mode_16_64 0
		.amdhsa_float_denorm_mode_32 3
		.amdhsa_float_denorm_mode_16_64 3
		.amdhsa_dx10_clamp 1
		.amdhsa_ieee_mode 1
		.amdhsa_fp16_overflow 0
		.amdhsa_tg_split 0
		.amdhsa_exception_fp_ieee_invalid_op 0
		.amdhsa_exception_fp_denorm_src 0
		.amdhsa_exception_fp_ieee_div_zero 0
		.amdhsa_exception_fp_ieee_overflow 0
		.amdhsa_exception_fp_ieee_underflow 0
		.amdhsa_exception_fp_ieee_inexact 0
		.amdhsa_exception_int_div_zero 0
	.end_amdhsa_kernel
	.section	.text._ZN7rocprim17ROCPRIM_400000_NS6detail17trampoline_kernelINS0_14default_configENS1_35radix_sort_onesweep_config_selectorIalEEZZNS1_29radix_sort_onesweep_iterationIS3_Lb0EPaS7_N6thrust23THRUST_200600_302600_NS10device_ptrIlEESB_jNS0_19identity_decomposerENS1_16block_id_wrapperIjLb1EEEEE10hipError_tT1_PNSt15iterator_traitsISG_E10value_typeET2_T3_PNSH_ISM_E10value_typeET4_T5_PSR_SS_PNS1_23onesweep_lookback_stateEbbT6_jjT7_P12ihipStream_tbENKUlT_T0_SG_SL_E_clIS7_S7_SB_SB_EEDaSZ_S10_SG_SL_EUlSZ_E_NS1_11comp_targetILNS1_3genE4ELNS1_11target_archE910ELNS1_3gpuE8ELNS1_3repE0EEENS1_47radix_sort_onesweep_sort_config_static_selectorELNS0_4arch9wavefront6targetE1EEEvSG_,"axG",@progbits,_ZN7rocprim17ROCPRIM_400000_NS6detail17trampoline_kernelINS0_14default_configENS1_35radix_sort_onesweep_config_selectorIalEEZZNS1_29radix_sort_onesweep_iterationIS3_Lb0EPaS7_N6thrust23THRUST_200600_302600_NS10device_ptrIlEESB_jNS0_19identity_decomposerENS1_16block_id_wrapperIjLb1EEEEE10hipError_tT1_PNSt15iterator_traitsISG_E10value_typeET2_T3_PNSH_ISM_E10value_typeET4_T5_PSR_SS_PNS1_23onesweep_lookback_stateEbbT6_jjT7_P12ihipStream_tbENKUlT_T0_SG_SL_E_clIS7_S7_SB_SB_EEDaSZ_S10_SG_SL_EUlSZ_E_NS1_11comp_targetILNS1_3genE4ELNS1_11target_archE910ELNS1_3gpuE8ELNS1_3repE0EEENS1_47radix_sort_onesweep_sort_config_static_selectorELNS0_4arch9wavefront6targetE1EEEvSG_,comdat
.Lfunc_end604:
	.size	_ZN7rocprim17ROCPRIM_400000_NS6detail17trampoline_kernelINS0_14default_configENS1_35radix_sort_onesweep_config_selectorIalEEZZNS1_29radix_sort_onesweep_iterationIS3_Lb0EPaS7_N6thrust23THRUST_200600_302600_NS10device_ptrIlEESB_jNS0_19identity_decomposerENS1_16block_id_wrapperIjLb1EEEEE10hipError_tT1_PNSt15iterator_traitsISG_E10value_typeET2_T3_PNSH_ISM_E10value_typeET4_T5_PSR_SS_PNS1_23onesweep_lookback_stateEbbT6_jjT7_P12ihipStream_tbENKUlT_T0_SG_SL_E_clIS7_S7_SB_SB_EEDaSZ_S10_SG_SL_EUlSZ_E_NS1_11comp_targetILNS1_3genE4ELNS1_11target_archE910ELNS1_3gpuE8ELNS1_3repE0EEENS1_47radix_sort_onesweep_sort_config_static_selectorELNS0_4arch9wavefront6targetE1EEEvSG_, .Lfunc_end604-_ZN7rocprim17ROCPRIM_400000_NS6detail17trampoline_kernelINS0_14default_configENS1_35radix_sort_onesweep_config_selectorIalEEZZNS1_29radix_sort_onesweep_iterationIS3_Lb0EPaS7_N6thrust23THRUST_200600_302600_NS10device_ptrIlEESB_jNS0_19identity_decomposerENS1_16block_id_wrapperIjLb1EEEEE10hipError_tT1_PNSt15iterator_traitsISG_E10value_typeET2_T3_PNSH_ISM_E10value_typeET4_T5_PSR_SS_PNS1_23onesweep_lookback_stateEbbT6_jjT7_P12ihipStream_tbENKUlT_T0_SG_SL_E_clIS7_S7_SB_SB_EEDaSZ_S10_SG_SL_EUlSZ_E_NS1_11comp_targetILNS1_3genE4ELNS1_11target_archE910ELNS1_3gpuE8ELNS1_3repE0EEENS1_47radix_sort_onesweep_sort_config_static_selectorELNS0_4arch9wavefront6targetE1EEEvSG_
                                        ; -- End function
	.section	.AMDGPU.csdata,"",@progbits
; Kernel info:
; codeLenInByte = 13156
; NumSgprs: 60
; NumVgprs: 55
; NumAgprs: 0
; TotalNumVgprs: 55
; ScratchSize: 0
; MemoryBound: 0
; FloatMode: 240
; IeeeMode: 1
; LDSByteSize: 20552 bytes/workgroup (compile time only)
; SGPRBlocks: 7
; VGPRBlocks: 6
; NumSGPRsForWavesPerEU: 60
; NumVGPRsForWavesPerEU: 55
; AccumOffset: 56
; Occupancy: 8
; WaveLimiterHint : 1
; COMPUTE_PGM_RSRC2:SCRATCH_EN: 0
; COMPUTE_PGM_RSRC2:USER_SGPR: 6
; COMPUTE_PGM_RSRC2:TRAP_HANDLER: 0
; COMPUTE_PGM_RSRC2:TGID_X_EN: 1
; COMPUTE_PGM_RSRC2:TGID_Y_EN: 0
; COMPUTE_PGM_RSRC2:TGID_Z_EN: 0
; COMPUTE_PGM_RSRC2:TIDIG_COMP_CNT: 2
; COMPUTE_PGM_RSRC3_GFX90A:ACCUM_OFFSET: 13
; COMPUTE_PGM_RSRC3_GFX90A:TG_SPLIT: 0
	.section	.text._ZN7rocprim17ROCPRIM_400000_NS6detail17trampoline_kernelINS0_14default_configENS1_35radix_sort_onesweep_config_selectorIalEEZZNS1_29radix_sort_onesweep_iterationIS3_Lb0EPaS7_N6thrust23THRUST_200600_302600_NS10device_ptrIlEESB_jNS0_19identity_decomposerENS1_16block_id_wrapperIjLb1EEEEE10hipError_tT1_PNSt15iterator_traitsISG_E10value_typeET2_T3_PNSH_ISM_E10value_typeET4_T5_PSR_SS_PNS1_23onesweep_lookback_stateEbbT6_jjT7_P12ihipStream_tbENKUlT_T0_SG_SL_E_clIS7_S7_SB_SB_EEDaSZ_S10_SG_SL_EUlSZ_E_NS1_11comp_targetILNS1_3genE3ELNS1_11target_archE908ELNS1_3gpuE7ELNS1_3repE0EEENS1_47radix_sort_onesweep_sort_config_static_selectorELNS0_4arch9wavefront6targetE1EEEvSG_,"axG",@progbits,_ZN7rocprim17ROCPRIM_400000_NS6detail17trampoline_kernelINS0_14default_configENS1_35radix_sort_onesweep_config_selectorIalEEZZNS1_29radix_sort_onesweep_iterationIS3_Lb0EPaS7_N6thrust23THRUST_200600_302600_NS10device_ptrIlEESB_jNS0_19identity_decomposerENS1_16block_id_wrapperIjLb1EEEEE10hipError_tT1_PNSt15iterator_traitsISG_E10value_typeET2_T3_PNSH_ISM_E10value_typeET4_T5_PSR_SS_PNS1_23onesweep_lookback_stateEbbT6_jjT7_P12ihipStream_tbENKUlT_T0_SG_SL_E_clIS7_S7_SB_SB_EEDaSZ_S10_SG_SL_EUlSZ_E_NS1_11comp_targetILNS1_3genE3ELNS1_11target_archE908ELNS1_3gpuE7ELNS1_3repE0EEENS1_47radix_sort_onesweep_sort_config_static_selectorELNS0_4arch9wavefront6targetE1EEEvSG_,comdat
	.protected	_ZN7rocprim17ROCPRIM_400000_NS6detail17trampoline_kernelINS0_14default_configENS1_35radix_sort_onesweep_config_selectorIalEEZZNS1_29radix_sort_onesweep_iterationIS3_Lb0EPaS7_N6thrust23THRUST_200600_302600_NS10device_ptrIlEESB_jNS0_19identity_decomposerENS1_16block_id_wrapperIjLb1EEEEE10hipError_tT1_PNSt15iterator_traitsISG_E10value_typeET2_T3_PNSH_ISM_E10value_typeET4_T5_PSR_SS_PNS1_23onesweep_lookback_stateEbbT6_jjT7_P12ihipStream_tbENKUlT_T0_SG_SL_E_clIS7_S7_SB_SB_EEDaSZ_S10_SG_SL_EUlSZ_E_NS1_11comp_targetILNS1_3genE3ELNS1_11target_archE908ELNS1_3gpuE7ELNS1_3repE0EEENS1_47radix_sort_onesweep_sort_config_static_selectorELNS0_4arch9wavefront6targetE1EEEvSG_ ; -- Begin function _ZN7rocprim17ROCPRIM_400000_NS6detail17trampoline_kernelINS0_14default_configENS1_35radix_sort_onesweep_config_selectorIalEEZZNS1_29radix_sort_onesweep_iterationIS3_Lb0EPaS7_N6thrust23THRUST_200600_302600_NS10device_ptrIlEESB_jNS0_19identity_decomposerENS1_16block_id_wrapperIjLb1EEEEE10hipError_tT1_PNSt15iterator_traitsISG_E10value_typeET2_T3_PNSH_ISM_E10value_typeET4_T5_PSR_SS_PNS1_23onesweep_lookback_stateEbbT6_jjT7_P12ihipStream_tbENKUlT_T0_SG_SL_E_clIS7_S7_SB_SB_EEDaSZ_S10_SG_SL_EUlSZ_E_NS1_11comp_targetILNS1_3genE3ELNS1_11target_archE908ELNS1_3gpuE7ELNS1_3repE0EEENS1_47radix_sort_onesweep_sort_config_static_selectorELNS0_4arch9wavefront6targetE1EEEvSG_
	.globl	_ZN7rocprim17ROCPRIM_400000_NS6detail17trampoline_kernelINS0_14default_configENS1_35radix_sort_onesweep_config_selectorIalEEZZNS1_29radix_sort_onesweep_iterationIS3_Lb0EPaS7_N6thrust23THRUST_200600_302600_NS10device_ptrIlEESB_jNS0_19identity_decomposerENS1_16block_id_wrapperIjLb1EEEEE10hipError_tT1_PNSt15iterator_traitsISG_E10value_typeET2_T3_PNSH_ISM_E10value_typeET4_T5_PSR_SS_PNS1_23onesweep_lookback_stateEbbT6_jjT7_P12ihipStream_tbENKUlT_T0_SG_SL_E_clIS7_S7_SB_SB_EEDaSZ_S10_SG_SL_EUlSZ_E_NS1_11comp_targetILNS1_3genE3ELNS1_11target_archE908ELNS1_3gpuE7ELNS1_3repE0EEENS1_47radix_sort_onesweep_sort_config_static_selectorELNS0_4arch9wavefront6targetE1EEEvSG_
	.p2align	8
	.type	_ZN7rocprim17ROCPRIM_400000_NS6detail17trampoline_kernelINS0_14default_configENS1_35radix_sort_onesweep_config_selectorIalEEZZNS1_29radix_sort_onesweep_iterationIS3_Lb0EPaS7_N6thrust23THRUST_200600_302600_NS10device_ptrIlEESB_jNS0_19identity_decomposerENS1_16block_id_wrapperIjLb1EEEEE10hipError_tT1_PNSt15iterator_traitsISG_E10value_typeET2_T3_PNSH_ISM_E10value_typeET4_T5_PSR_SS_PNS1_23onesweep_lookback_stateEbbT6_jjT7_P12ihipStream_tbENKUlT_T0_SG_SL_E_clIS7_S7_SB_SB_EEDaSZ_S10_SG_SL_EUlSZ_E_NS1_11comp_targetILNS1_3genE3ELNS1_11target_archE908ELNS1_3gpuE7ELNS1_3repE0EEENS1_47radix_sort_onesweep_sort_config_static_selectorELNS0_4arch9wavefront6targetE1EEEvSG_,@function
_ZN7rocprim17ROCPRIM_400000_NS6detail17trampoline_kernelINS0_14default_configENS1_35radix_sort_onesweep_config_selectorIalEEZZNS1_29radix_sort_onesweep_iterationIS3_Lb0EPaS7_N6thrust23THRUST_200600_302600_NS10device_ptrIlEESB_jNS0_19identity_decomposerENS1_16block_id_wrapperIjLb1EEEEE10hipError_tT1_PNSt15iterator_traitsISG_E10value_typeET2_T3_PNSH_ISM_E10value_typeET4_T5_PSR_SS_PNS1_23onesweep_lookback_stateEbbT6_jjT7_P12ihipStream_tbENKUlT_T0_SG_SL_E_clIS7_S7_SB_SB_EEDaSZ_S10_SG_SL_EUlSZ_E_NS1_11comp_targetILNS1_3genE3ELNS1_11target_archE908ELNS1_3gpuE7ELNS1_3repE0EEENS1_47radix_sort_onesweep_sort_config_static_selectorELNS0_4arch9wavefront6targetE1EEEvSG_: ; @_ZN7rocprim17ROCPRIM_400000_NS6detail17trampoline_kernelINS0_14default_configENS1_35radix_sort_onesweep_config_selectorIalEEZZNS1_29radix_sort_onesweep_iterationIS3_Lb0EPaS7_N6thrust23THRUST_200600_302600_NS10device_ptrIlEESB_jNS0_19identity_decomposerENS1_16block_id_wrapperIjLb1EEEEE10hipError_tT1_PNSt15iterator_traitsISG_E10value_typeET2_T3_PNSH_ISM_E10value_typeET4_T5_PSR_SS_PNS1_23onesweep_lookback_stateEbbT6_jjT7_P12ihipStream_tbENKUlT_T0_SG_SL_E_clIS7_S7_SB_SB_EEDaSZ_S10_SG_SL_EUlSZ_E_NS1_11comp_targetILNS1_3genE3ELNS1_11target_archE908ELNS1_3gpuE7ELNS1_3repE0EEENS1_47radix_sort_onesweep_sort_config_static_selectorELNS0_4arch9wavefront6targetE1EEEvSG_
; %bb.0:
	.section	.rodata,"a",@progbits
	.p2align	6, 0x0
	.amdhsa_kernel _ZN7rocprim17ROCPRIM_400000_NS6detail17trampoline_kernelINS0_14default_configENS1_35radix_sort_onesweep_config_selectorIalEEZZNS1_29radix_sort_onesweep_iterationIS3_Lb0EPaS7_N6thrust23THRUST_200600_302600_NS10device_ptrIlEESB_jNS0_19identity_decomposerENS1_16block_id_wrapperIjLb1EEEEE10hipError_tT1_PNSt15iterator_traitsISG_E10value_typeET2_T3_PNSH_ISM_E10value_typeET4_T5_PSR_SS_PNS1_23onesweep_lookback_stateEbbT6_jjT7_P12ihipStream_tbENKUlT_T0_SG_SL_E_clIS7_S7_SB_SB_EEDaSZ_S10_SG_SL_EUlSZ_E_NS1_11comp_targetILNS1_3genE3ELNS1_11target_archE908ELNS1_3gpuE7ELNS1_3repE0EEENS1_47radix_sort_onesweep_sort_config_static_selectorELNS0_4arch9wavefront6targetE1EEEvSG_
		.amdhsa_group_segment_fixed_size 0
		.amdhsa_private_segment_fixed_size 0
		.amdhsa_kernarg_size 88
		.amdhsa_user_sgpr_count 6
		.amdhsa_user_sgpr_private_segment_buffer 1
		.amdhsa_user_sgpr_dispatch_ptr 0
		.amdhsa_user_sgpr_queue_ptr 0
		.amdhsa_user_sgpr_kernarg_segment_ptr 1
		.amdhsa_user_sgpr_dispatch_id 0
		.amdhsa_user_sgpr_flat_scratch_init 0
		.amdhsa_user_sgpr_kernarg_preload_length 0
		.amdhsa_user_sgpr_kernarg_preload_offset 0
		.amdhsa_user_sgpr_private_segment_size 0
		.amdhsa_uses_dynamic_stack 0
		.amdhsa_system_sgpr_private_segment_wavefront_offset 0
		.amdhsa_system_sgpr_workgroup_id_x 1
		.amdhsa_system_sgpr_workgroup_id_y 0
		.amdhsa_system_sgpr_workgroup_id_z 0
		.amdhsa_system_sgpr_workgroup_info 0
		.amdhsa_system_vgpr_workitem_id 0
		.amdhsa_next_free_vgpr 1
		.amdhsa_next_free_sgpr 0
		.amdhsa_accum_offset 4
		.amdhsa_reserve_vcc 0
		.amdhsa_reserve_flat_scratch 0
		.amdhsa_float_round_mode_32 0
		.amdhsa_float_round_mode_16_64 0
		.amdhsa_float_denorm_mode_32 3
		.amdhsa_float_denorm_mode_16_64 3
		.amdhsa_dx10_clamp 1
		.amdhsa_ieee_mode 1
		.amdhsa_fp16_overflow 0
		.amdhsa_tg_split 0
		.amdhsa_exception_fp_ieee_invalid_op 0
		.amdhsa_exception_fp_denorm_src 0
		.amdhsa_exception_fp_ieee_div_zero 0
		.amdhsa_exception_fp_ieee_overflow 0
		.amdhsa_exception_fp_ieee_underflow 0
		.amdhsa_exception_fp_ieee_inexact 0
		.amdhsa_exception_int_div_zero 0
	.end_amdhsa_kernel
	.section	.text._ZN7rocprim17ROCPRIM_400000_NS6detail17trampoline_kernelINS0_14default_configENS1_35radix_sort_onesweep_config_selectorIalEEZZNS1_29radix_sort_onesweep_iterationIS3_Lb0EPaS7_N6thrust23THRUST_200600_302600_NS10device_ptrIlEESB_jNS0_19identity_decomposerENS1_16block_id_wrapperIjLb1EEEEE10hipError_tT1_PNSt15iterator_traitsISG_E10value_typeET2_T3_PNSH_ISM_E10value_typeET4_T5_PSR_SS_PNS1_23onesweep_lookback_stateEbbT6_jjT7_P12ihipStream_tbENKUlT_T0_SG_SL_E_clIS7_S7_SB_SB_EEDaSZ_S10_SG_SL_EUlSZ_E_NS1_11comp_targetILNS1_3genE3ELNS1_11target_archE908ELNS1_3gpuE7ELNS1_3repE0EEENS1_47radix_sort_onesweep_sort_config_static_selectorELNS0_4arch9wavefront6targetE1EEEvSG_,"axG",@progbits,_ZN7rocprim17ROCPRIM_400000_NS6detail17trampoline_kernelINS0_14default_configENS1_35radix_sort_onesweep_config_selectorIalEEZZNS1_29radix_sort_onesweep_iterationIS3_Lb0EPaS7_N6thrust23THRUST_200600_302600_NS10device_ptrIlEESB_jNS0_19identity_decomposerENS1_16block_id_wrapperIjLb1EEEEE10hipError_tT1_PNSt15iterator_traitsISG_E10value_typeET2_T3_PNSH_ISM_E10value_typeET4_T5_PSR_SS_PNS1_23onesweep_lookback_stateEbbT6_jjT7_P12ihipStream_tbENKUlT_T0_SG_SL_E_clIS7_S7_SB_SB_EEDaSZ_S10_SG_SL_EUlSZ_E_NS1_11comp_targetILNS1_3genE3ELNS1_11target_archE908ELNS1_3gpuE7ELNS1_3repE0EEENS1_47radix_sort_onesweep_sort_config_static_selectorELNS0_4arch9wavefront6targetE1EEEvSG_,comdat
.Lfunc_end605:
	.size	_ZN7rocprim17ROCPRIM_400000_NS6detail17trampoline_kernelINS0_14default_configENS1_35radix_sort_onesweep_config_selectorIalEEZZNS1_29radix_sort_onesweep_iterationIS3_Lb0EPaS7_N6thrust23THRUST_200600_302600_NS10device_ptrIlEESB_jNS0_19identity_decomposerENS1_16block_id_wrapperIjLb1EEEEE10hipError_tT1_PNSt15iterator_traitsISG_E10value_typeET2_T3_PNSH_ISM_E10value_typeET4_T5_PSR_SS_PNS1_23onesweep_lookback_stateEbbT6_jjT7_P12ihipStream_tbENKUlT_T0_SG_SL_E_clIS7_S7_SB_SB_EEDaSZ_S10_SG_SL_EUlSZ_E_NS1_11comp_targetILNS1_3genE3ELNS1_11target_archE908ELNS1_3gpuE7ELNS1_3repE0EEENS1_47radix_sort_onesweep_sort_config_static_selectorELNS0_4arch9wavefront6targetE1EEEvSG_, .Lfunc_end605-_ZN7rocprim17ROCPRIM_400000_NS6detail17trampoline_kernelINS0_14default_configENS1_35radix_sort_onesweep_config_selectorIalEEZZNS1_29radix_sort_onesweep_iterationIS3_Lb0EPaS7_N6thrust23THRUST_200600_302600_NS10device_ptrIlEESB_jNS0_19identity_decomposerENS1_16block_id_wrapperIjLb1EEEEE10hipError_tT1_PNSt15iterator_traitsISG_E10value_typeET2_T3_PNSH_ISM_E10value_typeET4_T5_PSR_SS_PNS1_23onesweep_lookback_stateEbbT6_jjT7_P12ihipStream_tbENKUlT_T0_SG_SL_E_clIS7_S7_SB_SB_EEDaSZ_S10_SG_SL_EUlSZ_E_NS1_11comp_targetILNS1_3genE3ELNS1_11target_archE908ELNS1_3gpuE7ELNS1_3repE0EEENS1_47radix_sort_onesweep_sort_config_static_selectorELNS0_4arch9wavefront6targetE1EEEvSG_
                                        ; -- End function
	.section	.AMDGPU.csdata,"",@progbits
; Kernel info:
; codeLenInByte = 0
; NumSgprs: 4
; NumVgprs: 0
; NumAgprs: 0
; TotalNumVgprs: 0
; ScratchSize: 0
; MemoryBound: 0
; FloatMode: 240
; IeeeMode: 1
; LDSByteSize: 0 bytes/workgroup (compile time only)
; SGPRBlocks: 0
; VGPRBlocks: 0
; NumSGPRsForWavesPerEU: 4
; NumVGPRsForWavesPerEU: 1
; AccumOffset: 4
; Occupancy: 8
; WaveLimiterHint : 0
; COMPUTE_PGM_RSRC2:SCRATCH_EN: 0
; COMPUTE_PGM_RSRC2:USER_SGPR: 6
; COMPUTE_PGM_RSRC2:TRAP_HANDLER: 0
; COMPUTE_PGM_RSRC2:TGID_X_EN: 1
; COMPUTE_PGM_RSRC2:TGID_Y_EN: 0
; COMPUTE_PGM_RSRC2:TGID_Z_EN: 0
; COMPUTE_PGM_RSRC2:TIDIG_COMP_CNT: 0
; COMPUTE_PGM_RSRC3_GFX90A:ACCUM_OFFSET: 0
; COMPUTE_PGM_RSRC3_GFX90A:TG_SPLIT: 0
	.section	.text._ZN7rocprim17ROCPRIM_400000_NS6detail17trampoline_kernelINS0_14default_configENS1_35radix_sort_onesweep_config_selectorIalEEZZNS1_29radix_sort_onesweep_iterationIS3_Lb0EPaS7_N6thrust23THRUST_200600_302600_NS10device_ptrIlEESB_jNS0_19identity_decomposerENS1_16block_id_wrapperIjLb1EEEEE10hipError_tT1_PNSt15iterator_traitsISG_E10value_typeET2_T3_PNSH_ISM_E10value_typeET4_T5_PSR_SS_PNS1_23onesweep_lookback_stateEbbT6_jjT7_P12ihipStream_tbENKUlT_T0_SG_SL_E_clIS7_S7_SB_SB_EEDaSZ_S10_SG_SL_EUlSZ_E_NS1_11comp_targetILNS1_3genE10ELNS1_11target_archE1201ELNS1_3gpuE5ELNS1_3repE0EEENS1_47radix_sort_onesweep_sort_config_static_selectorELNS0_4arch9wavefront6targetE1EEEvSG_,"axG",@progbits,_ZN7rocprim17ROCPRIM_400000_NS6detail17trampoline_kernelINS0_14default_configENS1_35radix_sort_onesweep_config_selectorIalEEZZNS1_29radix_sort_onesweep_iterationIS3_Lb0EPaS7_N6thrust23THRUST_200600_302600_NS10device_ptrIlEESB_jNS0_19identity_decomposerENS1_16block_id_wrapperIjLb1EEEEE10hipError_tT1_PNSt15iterator_traitsISG_E10value_typeET2_T3_PNSH_ISM_E10value_typeET4_T5_PSR_SS_PNS1_23onesweep_lookback_stateEbbT6_jjT7_P12ihipStream_tbENKUlT_T0_SG_SL_E_clIS7_S7_SB_SB_EEDaSZ_S10_SG_SL_EUlSZ_E_NS1_11comp_targetILNS1_3genE10ELNS1_11target_archE1201ELNS1_3gpuE5ELNS1_3repE0EEENS1_47radix_sort_onesweep_sort_config_static_selectorELNS0_4arch9wavefront6targetE1EEEvSG_,comdat
	.protected	_ZN7rocprim17ROCPRIM_400000_NS6detail17trampoline_kernelINS0_14default_configENS1_35radix_sort_onesweep_config_selectorIalEEZZNS1_29radix_sort_onesweep_iterationIS3_Lb0EPaS7_N6thrust23THRUST_200600_302600_NS10device_ptrIlEESB_jNS0_19identity_decomposerENS1_16block_id_wrapperIjLb1EEEEE10hipError_tT1_PNSt15iterator_traitsISG_E10value_typeET2_T3_PNSH_ISM_E10value_typeET4_T5_PSR_SS_PNS1_23onesweep_lookback_stateEbbT6_jjT7_P12ihipStream_tbENKUlT_T0_SG_SL_E_clIS7_S7_SB_SB_EEDaSZ_S10_SG_SL_EUlSZ_E_NS1_11comp_targetILNS1_3genE10ELNS1_11target_archE1201ELNS1_3gpuE5ELNS1_3repE0EEENS1_47radix_sort_onesweep_sort_config_static_selectorELNS0_4arch9wavefront6targetE1EEEvSG_ ; -- Begin function _ZN7rocprim17ROCPRIM_400000_NS6detail17trampoline_kernelINS0_14default_configENS1_35radix_sort_onesweep_config_selectorIalEEZZNS1_29radix_sort_onesweep_iterationIS3_Lb0EPaS7_N6thrust23THRUST_200600_302600_NS10device_ptrIlEESB_jNS0_19identity_decomposerENS1_16block_id_wrapperIjLb1EEEEE10hipError_tT1_PNSt15iterator_traitsISG_E10value_typeET2_T3_PNSH_ISM_E10value_typeET4_T5_PSR_SS_PNS1_23onesweep_lookback_stateEbbT6_jjT7_P12ihipStream_tbENKUlT_T0_SG_SL_E_clIS7_S7_SB_SB_EEDaSZ_S10_SG_SL_EUlSZ_E_NS1_11comp_targetILNS1_3genE10ELNS1_11target_archE1201ELNS1_3gpuE5ELNS1_3repE0EEENS1_47radix_sort_onesweep_sort_config_static_selectorELNS0_4arch9wavefront6targetE1EEEvSG_
	.globl	_ZN7rocprim17ROCPRIM_400000_NS6detail17trampoline_kernelINS0_14default_configENS1_35radix_sort_onesweep_config_selectorIalEEZZNS1_29radix_sort_onesweep_iterationIS3_Lb0EPaS7_N6thrust23THRUST_200600_302600_NS10device_ptrIlEESB_jNS0_19identity_decomposerENS1_16block_id_wrapperIjLb1EEEEE10hipError_tT1_PNSt15iterator_traitsISG_E10value_typeET2_T3_PNSH_ISM_E10value_typeET4_T5_PSR_SS_PNS1_23onesweep_lookback_stateEbbT6_jjT7_P12ihipStream_tbENKUlT_T0_SG_SL_E_clIS7_S7_SB_SB_EEDaSZ_S10_SG_SL_EUlSZ_E_NS1_11comp_targetILNS1_3genE10ELNS1_11target_archE1201ELNS1_3gpuE5ELNS1_3repE0EEENS1_47radix_sort_onesweep_sort_config_static_selectorELNS0_4arch9wavefront6targetE1EEEvSG_
	.p2align	8
	.type	_ZN7rocprim17ROCPRIM_400000_NS6detail17trampoline_kernelINS0_14default_configENS1_35radix_sort_onesweep_config_selectorIalEEZZNS1_29radix_sort_onesweep_iterationIS3_Lb0EPaS7_N6thrust23THRUST_200600_302600_NS10device_ptrIlEESB_jNS0_19identity_decomposerENS1_16block_id_wrapperIjLb1EEEEE10hipError_tT1_PNSt15iterator_traitsISG_E10value_typeET2_T3_PNSH_ISM_E10value_typeET4_T5_PSR_SS_PNS1_23onesweep_lookback_stateEbbT6_jjT7_P12ihipStream_tbENKUlT_T0_SG_SL_E_clIS7_S7_SB_SB_EEDaSZ_S10_SG_SL_EUlSZ_E_NS1_11comp_targetILNS1_3genE10ELNS1_11target_archE1201ELNS1_3gpuE5ELNS1_3repE0EEENS1_47radix_sort_onesweep_sort_config_static_selectorELNS0_4arch9wavefront6targetE1EEEvSG_,@function
_ZN7rocprim17ROCPRIM_400000_NS6detail17trampoline_kernelINS0_14default_configENS1_35radix_sort_onesweep_config_selectorIalEEZZNS1_29radix_sort_onesweep_iterationIS3_Lb0EPaS7_N6thrust23THRUST_200600_302600_NS10device_ptrIlEESB_jNS0_19identity_decomposerENS1_16block_id_wrapperIjLb1EEEEE10hipError_tT1_PNSt15iterator_traitsISG_E10value_typeET2_T3_PNSH_ISM_E10value_typeET4_T5_PSR_SS_PNS1_23onesweep_lookback_stateEbbT6_jjT7_P12ihipStream_tbENKUlT_T0_SG_SL_E_clIS7_S7_SB_SB_EEDaSZ_S10_SG_SL_EUlSZ_E_NS1_11comp_targetILNS1_3genE10ELNS1_11target_archE1201ELNS1_3gpuE5ELNS1_3repE0EEENS1_47radix_sort_onesweep_sort_config_static_selectorELNS0_4arch9wavefront6targetE1EEEvSG_: ; @_ZN7rocprim17ROCPRIM_400000_NS6detail17trampoline_kernelINS0_14default_configENS1_35radix_sort_onesweep_config_selectorIalEEZZNS1_29radix_sort_onesweep_iterationIS3_Lb0EPaS7_N6thrust23THRUST_200600_302600_NS10device_ptrIlEESB_jNS0_19identity_decomposerENS1_16block_id_wrapperIjLb1EEEEE10hipError_tT1_PNSt15iterator_traitsISG_E10value_typeET2_T3_PNSH_ISM_E10value_typeET4_T5_PSR_SS_PNS1_23onesweep_lookback_stateEbbT6_jjT7_P12ihipStream_tbENKUlT_T0_SG_SL_E_clIS7_S7_SB_SB_EEDaSZ_S10_SG_SL_EUlSZ_E_NS1_11comp_targetILNS1_3genE10ELNS1_11target_archE1201ELNS1_3gpuE5ELNS1_3repE0EEENS1_47radix_sort_onesweep_sort_config_static_selectorELNS0_4arch9wavefront6targetE1EEEvSG_
; %bb.0:
	.section	.rodata,"a",@progbits
	.p2align	6, 0x0
	.amdhsa_kernel _ZN7rocprim17ROCPRIM_400000_NS6detail17trampoline_kernelINS0_14default_configENS1_35radix_sort_onesweep_config_selectorIalEEZZNS1_29radix_sort_onesweep_iterationIS3_Lb0EPaS7_N6thrust23THRUST_200600_302600_NS10device_ptrIlEESB_jNS0_19identity_decomposerENS1_16block_id_wrapperIjLb1EEEEE10hipError_tT1_PNSt15iterator_traitsISG_E10value_typeET2_T3_PNSH_ISM_E10value_typeET4_T5_PSR_SS_PNS1_23onesweep_lookback_stateEbbT6_jjT7_P12ihipStream_tbENKUlT_T0_SG_SL_E_clIS7_S7_SB_SB_EEDaSZ_S10_SG_SL_EUlSZ_E_NS1_11comp_targetILNS1_3genE10ELNS1_11target_archE1201ELNS1_3gpuE5ELNS1_3repE0EEENS1_47radix_sort_onesweep_sort_config_static_selectorELNS0_4arch9wavefront6targetE1EEEvSG_
		.amdhsa_group_segment_fixed_size 0
		.amdhsa_private_segment_fixed_size 0
		.amdhsa_kernarg_size 88
		.amdhsa_user_sgpr_count 6
		.amdhsa_user_sgpr_private_segment_buffer 1
		.amdhsa_user_sgpr_dispatch_ptr 0
		.amdhsa_user_sgpr_queue_ptr 0
		.amdhsa_user_sgpr_kernarg_segment_ptr 1
		.amdhsa_user_sgpr_dispatch_id 0
		.amdhsa_user_sgpr_flat_scratch_init 0
		.amdhsa_user_sgpr_kernarg_preload_length 0
		.amdhsa_user_sgpr_kernarg_preload_offset 0
		.amdhsa_user_sgpr_private_segment_size 0
		.amdhsa_uses_dynamic_stack 0
		.amdhsa_system_sgpr_private_segment_wavefront_offset 0
		.amdhsa_system_sgpr_workgroup_id_x 1
		.amdhsa_system_sgpr_workgroup_id_y 0
		.amdhsa_system_sgpr_workgroup_id_z 0
		.amdhsa_system_sgpr_workgroup_info 0
		.amdhsa_system_vgpr_workitem_id 0
		.amdhsa_next_free_vgpr 1
		.amdhsa_next_free_sgpr 0
		.amdhsa_accum_offset 4
		.amdhsa_reserve_vcc 0
		.amdhsa_reserve_flat_scratch 0
		.amdhsa_float_round_mode_32 0
		.amdhsa_float_round_mode_16_64 0
		.amdhsa_float_denorm_mode_32 3
		.amdhsa_float_denorm_mode_16_64 3
		.amdhsa_dx10_clamp 1
		.amdhsa_ieee_mode 1
		.amdhsa_fp16_overflow 0
		.amdhsa_tg_split 0
		.amdhsa_exception_fp_ieee_invalid_op 0
		.amdhsa_exception_fp_denorm_src 0
		.amdhsa_exception_fp_ieee_div_zero 0
		.amdhsa_exception_fp_ieee_overflow 0
		.amdhsa_exception_fp_ieee_underflow 0
		.amdhsa_exception_fp_ieee_inexact 0
		.amdhsa_exception_int_div_zero 0
	.end_amdhsa_kernel
	.section	.text._ZN7rocprim17ROCPRIM_400000_NS6detail17trampoline_kernelINS0_14default_configENS1_35radix_sort_onesweep_config_selectorIalEEZZNS1_29radix_sort_onesweep_iterationIS3_Lb0EPaS7_N6thrust23THRUST_200600_302600_NS10device_ptrIlEESB_jNS0_19identity_decomposerENS1_16block_id_wrapperIjLb1EEEEE10hipError_tT1_PNSt15iterator_traitsISG_E10value_typeET2_T3_PNSH_ISM_E10value_typeET4_T5_PSR_SS_PNS1_23onesweep_lookback_stateEbbT6_jjT7_P12ihipStream_tbENKUlT_T0_SG_SL_E_clIS7_S7_SB_SB_EEDaSZ_S10_SG_SL_EUlSZ_E_NS1_11comp_targetILNS1_3genE10ELNS1_11target_archE1201ELNS1_3gpuE5ELNS1_3repE0EEENS1_47radix_sort_onesweep_sort_config_static_selectorELNS0_4arch9wavefront6targetE1EEEvSG_,"axG",@progbits,_ZN7rocprim17ROCPRIM_400000_NS6detail17trampoline_kernelINS0_14default_configENS1_35radix_sort_onesweep_config_selectorIalEEZZNS1_29radix_sort_onesweep_iterationIS3_Lb0EPaS7_N6thrust23THRUST_200600_302600_NS10device_ptrIlEESB_jNS0_19identity_decomposerENS1_16block_id_wrapperIjLb1EEEEE10hipError_tT1_PNSt15iterator_traitsISG_E10value_typeET2_T3_PNSH_ISM_E10value_typeET4_T5_PSR_SS_PNS1_23onesweep_lookback_stateEbbT6_jjT7_P12ihipStream_tbENKUlT_T0_SG_SL_E_clIS7_S7_SB_SB_EEDaSZ_S10_SG_SL_EUlSZ_E_NS1_11comp_targetILNS1_3genE10ELNS1_11target_archE1201ELNS1_3gpuE5ELNS1_3repE0EEENS1_47radix_sort_onesweep_sort_config_static_selectorELNS0_4arch9wavefront6targetE1EEEvSG_,comdat
.Lfunc_end606:
	.size	_ZN7rocprim17ROCPRIM_400000_NS6detail17trampoline_kernelINS0_14default_configENS1_35radix_sort_onesweep_config_selectorIalEEZZNS1_29radix_sort_onesweep_iterationIS3_Lb0EPaS7_N6thrust23THRUST_200600_302600_NS10device_ptrIlEESB_jNS0_19identity_decomposerENS1_16block_id_wrapperIjLb1EEEEE10hipError_tT1_PNSt15iterator_traitsISG_E10value_typeET2_T3_PNSH_ISM_E10value_typeET4_T5_PSR_SS_PNS1_23onesweep_lookback_stateEbbT6_jjT7_P12ihipStream_tbENKUlT_T0_SG_SL_E_clIS7_S7_SB_SB_EEDaSZ_S10_SG_SL_EUlSZ_E_NS1_11comp_targetILNS1_3genE10ELNS1_11target_archE1201ELNS1_3gpuE5ELNS1_3repE0EEENS1_47radix_sort_onesweep_sort_config_static_selectorELNS0_4arch9wavefront6targetE1EEEvSG_, .Lfunc_end606-_ZN7rocprim17ROCPRIM_400000_NS6detail17trampoline_kernelINS0_14default_configENS1_35radix_sort_onesweep_config_selectorIalEEZZNS1_29radix_sort_onesweep_iterationIS3_Lb0EPaS7_N6thrust23THRUST_200600_302600_NS10device_ptrIlEESB_jNS0_19identity_decomposerENS1_16block_id_wrapperIjLb1EEEEE10hipError_tT1_PNSt15iterator_traitsISG_E10value_typeET2_T3_PNSH_ISM_E10value_typeET4_T5_PSR_SS_PNS1_23onesweep_lookback_stateEbbT6_jjT7_P12ihipStream_tbENKUlT_T0_SG_SL_E_clIS7_S7_SB_SB_EEDaSZ_S10_SG_SL_EUlSZ_E_NS1_11comp_targetILNS1_3genE10ELNS1_11target_archE1201ELNS1_3gpuE5ELNS1_3repE0EEENS1_47radix_sort_onesweep_sort_config_static_selectorELNS0_4arch9wavefront6targetE1EEEvSG_
                                        ; -- End function
	.section	.AMDGPU.csdata,"",@progbits
; Kernel info:
; codeLenInByte = 0
; NumSgprs: 4
; NumVgprs: 0
; NumAgprs: 0
; TotalNumVgprs: 0
; ScratchSize: 0
; MemoryBound: 0
; FloatMode: 240
; IeeeMode: 1
; LDSByteSize: 0 bytes/workgroup (compile time only)
; SGPRBlocks: 0
; VGPRBlocks: 0
; NumSGPRsForWavesPerEU: 4
; NumVGPRsForWavesPerEU: 1
; AccumOffset: 4
; Occupancy: 8
; WaveLimiterHint : 0
; COMPUTE_PGM_RSRC2:SCRATCH_EN: 0
; COMPUTE_PGM_RSRC2:USER_SGPR: 6
; COMPUTE_PGM_RSRC2:TRAP_HANDLER: 0
; COMPUTE_PGM_RSRC2:TGID_X_EN: 1
; COMPUTE_PGM_RSRC2:TGID_Y_EN: 0
; COMPUTE_PGM_RSRC2:TGID_Z_EN: 0
; COMPUTE_PGM_RSRC2:TIDIG_COMP_CNT: 0
; COMPUTE_PGM_RSRC3_GFX90A:ACCUM_OFFSET: 0
; COMPUTE_PGM_RSRC3_GFX90A:TG_SPLIT: 0
	.section	.text._ZN7rocprim17ROCPRIM_400000_NS6detail17trampoline_kernelINS0_14default_configENS1_35radix_sort_onesweep_config_selectorIalEEZZNS1_29radix_sort_onesweep_iterationIS3_Lb0EPaS7_N6thrust23THRUST_200600_302600_NS10device_ptrIlEESB_jNS0_19identity_decomposerENS1_16block_id_wrapperIjLb1EEEEE10hipError_tT1_PNSt15iterator_traitsISG_E10value_typeET2_T3_PNSH_ISM_E10value_typeET4_T5_PSR_SS_PNS1_23onesweep_lookback_stateEbbT6_jjT7_P12ihipStream_tbENKUlT_T0_SG_SL_E_clIS7_S7_SB_SB_EEDaSZ_S10_SG_SL_EUlSZ_E_NS1_11comp_targetILNS1_3genE9ELNS1_11target_archE1100ELNS1_3gpuE3ELNS1_3repE0EEENS1_47radix_sort_onesweep_sort_config_static_selectorELNS0_4arch9wavefront6targetE1EEEvSG_,"axG",@progbits,_ZN7rocprim17ROCPRIM_400000_NS6detail17trampoline_kernelINS0_14default_configENS1_35radix_sort_onesweep_config_selectorIalEEZZNS1_29radix_sort_onesweep_iterationIS3_Lb0EPaS7_N6thrust23THRUST_200600_302600_NS10device_ptrIlEESB_jNS0_19identity_decomposerENS1_16block_id_wrapperIjLb1EEEEE10hipError_tT1_PNSt15iterator_traitsISG_E10value_typeET2_T3_PNSH_ISM_E10value_typeET4_T5_PSR_SS_PNS1_23onesweep_lookback_stateEbbT6_jjT7_P12ihipStream_tbENKUlT_T0_SG_SL_E_clIS7_S7_SB_SB_EEDaSZ_S10_SG_SL_EUlSZ_E_NS1_11comp_targetILNS1_3genE9ELNS1_11target_archE1100ELNS1_3gpuE3ELNS1_3repE0EEENS1_47radix_sort_onesweep_sort_config_static_selectorELNS0_4arch9wavefront6targetE1EEEvSG_,comdat
	.protected	_ZN7rocprim17ROCPRIM_400000_NS6detail17trampoline_kernelINS0_14default_configENS1_35radix_sort_onesweep_config_selectorIalEEZZNS1_29radix_sort_onesweep_iterationIS3_Lb0EPaS7_N6thrust23THRUST_200600_302600_NS10device_ptrIlEESB_jNS0_19identity_decomposerENS1_16block_id_wrapperIjLb1EEEEE10hipError_tT1_PNSt15iterator_traitsISG_E10value_typeET2_T3_PNSH_ISM_E10value_typeET4_T5_PSR_SS_PNS1_23onesweep_lookback_stateEbbT6_jjT7_P12ihipStream_tbENKUlT_T0_SG_SL_E_clIS7_S7_SB_SB_EEDaSZ_S10_SG_SL_EUlSZ_E_NS1_11comp_targetILNS1_3genE9ELNS1_11target_archE1100ELNS1_3gpuE3ELNS1_3repE0EEENS1_47radix_sort_onesweep_sort_config_static_selectorELNS0_4arch9wavefront6targetE1EEEvSG_ ; -- Begin function _ZN7rocprim17ROCPRIM_400000_NS6detail17trampoline_kernelINS0_14default_configENS1_35radix_sort_onesweep_config_selectorIalEEZZNS1_29radix_sort_onesweep_iterationIS3_Lb0EPaS7_N6thrust23THRUST_200600_302600_NS10device_ptrIlEESB_jNS0_19identity_decomposerENS1_16block_id_wrapperIjLb1EEEEE10hipError_tT1_PNSt15iterator_traitsISG_E10value_typeET2_T3_PNSH_ISM_E10value_typeET4_T5_PSR_SS_PNS1_23onesweep_lookback_stateEbbT6_jjT7_P12ihipStream_tbENKUlT_T0_SG_SL_E_clIS7_S7_SB_SB_EEDaSZ_S10_SG_SL_EUlSZ_E_NS1_11comp_targetILNS1_3genE9ELNS1_11target_archE1100ELNS1_3gpuE3ELNS1_3repE0EEENS1_47radix_sort_onesweep_sort_config_static_selectorELNS0_4arch9wavefront6targetE1EEEvSG_
	.globl	_ZN7rocprim17ROCPRIM_400000_NS6detail17trampoline_kernelINS0_14default_configENS1_35radix_sort_onesweep_config_selectorIalEEZZNS1_29radix_sort_onesweep_iterationIS3_Lb0EPaS7_N6thrust23THRUST_200600_302600_NS10device_ptrIlEESB_jNS0_19identity_decomposerENS1_16block_id_wrapperIjLb1EEEEE10hipError_tT1_PNSt15iterator_traitsISG_E10value_typeET2_T3_PNSH_ISM_E10value_typeET4_T5_PSR_SS_PNS1_23onesweep_lookback_stateEbbT6_jjT7_P12ihipStream_tbENKUlT_T0_SG_SL_E_clIS7_S7_SB_SB_EEDaSZ_S10_SG_SL_EUlSZ_E_NS1_11comp_targetILNS1_3genE9ELNS1_11target_archE1100ELNS1_3gpuE3ELNS1_3repE0EEENS1_47radix_sort_onesweep_sort_config_static_selectorELNS0_4arch9wavefront6targetE1EEEvSG_
	.p2align	8
	.type	_ZN7rocprim17ROCPRIM_400000_NS6detail17trampoline_kernelINS0_14default_configENS1_35radix_sort_onesweep_config_selectorIalEEZZNS1_29radix_sort_onesweep_iterationIS3_Lb0EPaS7_N6thrust23THRUST_200600_302600_NS10device_ptrIlEESB_jNS0_19identity_decomposerENS1_16block_id_wrapperIjLb1EEEEE10hipError_tT1_PNSt15iterator_traitsISG_E10value_typeET2_T3_PNSH_ISM_E10value_typeET4_T5_PSR_SS_PNS1_23onesweep_lookback_stateEbbT6_jjT7_P12ihipStream_tbENKUlT_T0_SG_SL_E_clIS7_S7_SB_SB_EEDaSZ_S10_SG_SL_EUlSZ_E_NS1_11comp_targetILNS1_3genE9ELNS1_11target_archE1100ELNS1_3gpuE3ELNS1_3repE0EEENS1_47radix_sort_onesweep_sort_config_static_selectorELNS0_4arch9wavefront6targetE1EEEvSG_,@function
_ZN7rocprim17ROCPRIM_400000_NS6detail17trampoline_kernelINS0_14default_configENS1_35radix_sort_onesweep_config_selectorIalEEZZNS1_29radix_sort_onesweep_iterationIS3_Lb0EPaS7_N6thrust23THRUST_200600_302600_NS10device_ptrIlEESB_jNS0_19identity_decomposerENS1_16block_id_wrapperIjLb1EEEEE10hipError_tT1_PNSt15iterator_traitsISG_E10value_typeET2_T3_PNSH_ISM_E10value_typeET4_T5_PSR_SS_PNS1_23onesweep_lookback_stateEbbT6_jjT7_P12ihipStream_tbENKUlT_T0_SG_SL_E_clIS7_S7_SB_SB_EEDaSZ_S10_SG_SL_EUlSZ_E_NS1_11comp_targetILNS1_3genE9ELNS1_11target_archE1100ELNS1_3gpuE3ELNS1_3repE0EEENS1_47radix_sort_onesweep_sort_config_static_selectorELNS0_4arch9wavefront6targetE1EEEvSG_: ; @_ZN7rocprim17ROCPRIM_400000_NS6detail17trampoline_kernelINS0_14default_configENS1_35radix_sort_onesweep_config_selectorIalEEZZNS1_29radix_sort_onesweep_iterationIS3_Lb0EPaS7_N6thrust23THRUST_200600_302600_NS10device_ptrIlEESB_jNS0_19identity_decomposerENS1_16block_id_wrapperIjLb1EEEEE10hipError_tT1_PNSt15iterator_traitsISG_E10value_typeET2_T3_PNSH_ISM_E10value_typeET4_T5_PSR_SS_PNS1_23onesweep_lookback_stateEbbT6_jjT7_P12ihipStream_tbENKUlT_T0_SG_SL_E_clIS7_S7_SB_SB_EEDaSZ_S10_SG_SL_EUlSZ_E_NS1_11comp_targetILNS1_3genE9ELNS1_11target_archE1100ELNS1_3gpuE3ELNS1_3repE0EEENS1_47radix_sort_onesweep_sort_config_static_selectorELNS0_4arch9wavefront6targetE1EEEvSG_
; %bb.0:
	.section	.rodata,"a",@progbits
	.p2align	6, 0x0
	.amdhsa_kernel _ZN7rocprim17ROCPRIM_400000_NS6detail17trampoline_kernelINS0_14default_configENS1_35radix_sort_onesweep_config_selectorIalEEZZNS1_29radix_sort_onesweep_iterationIS3_Lb0EPaS7_N6thrust23THRUST_200600_302600_NS10device_ptrIlEESB_jNS0_19identity_decomposerENS1_16block_id_wrapperIjLb1EEEEE10hipError_tT1_PNSt15iterator_traitsISG_E10value_typeET2_T3_PNSH_ISM_E10value_typeET4_T5_PSR_SS_PNS1_23onesweep_lookback_stateEbbT6_jjT7_P12ihipStream_tbENKUlT_T0_SG_SL_E_clIS7_S7_SB_SB_EEDaSZ_S10_SG_SL_EUlSZ_E_NS1_11comp_targetILNS1_3genE9ELNS1_11target_archE1100ELNS1_3gpuE3ELNS1_3repE0EEENS1_47radix_sort_onesweep_sort_config_static_selectorELNS0_4arch9wavefront6targetE1EEEvSG_
		.amdhsa_group_segment_fixed_size 0
		.amdhsa_private_segment_fixed_size 0
		.amdhsa_kernarg_size 88
		.amdhsa_user_sgpr_count 6
		.amdhsa_user_sgpr_private_segment_buffer 1
		.amdhsa_user_sgpr_dispatch_ptr 0
		.amdhsa_user_sgpr_queue_ptr 0
		.amdhsa_user_sgpr_kernarg_segment_ptr 1
		.amdhsa_user_sgpr_dispatch_id 0
		.amdhsa_user_sgpr_flat_scratch_init 0
		.amdhsa_user_sgpr_kernarg_preload_length 0
		.amdhsa_user_sgpr_kernarg_preload_offset 0
		.amdhsa_user_sgpr_private_segment_size 0
		.amdhsa_uses_dynamic_stack 0
		.amdhsa_system_sgpr_private_segment_wavefront_offset 0
		.amdhsa_system_sgpr_workgroup_id_x 1
		.amdhsa_system_sgpr_workgroup_id_y 0
		.amdhsa_system_sgpr_workgroup_id_z 0
		.amdhsa_system_sgpr_workgroup_info 0
		.amdhsa_system_vgpr_workitem_id 0
		.amdhsa_next_free_vgpr 1
		.amdhsa_next_free_sgpr 0
		.amdhsa_accum_offset 4
		.amdhsa_reserve_vcc 0
		.amdhsa_reserve_flat_scratch 0
		.amdhsa_float_round_mode_32 0
		.amdhsa_float_round_mode_16_64 0
		.amdhsa_float_denorm_mode_32 3
		.amdhsa_float_denorm_mode_16_64 3
		.amdhsa_dx10_clamp 1
		.amdhsa_ieee_mode 1
		.amdhsa_fp16_overflow 0
		.amdhsa_tg_split 0
		.amdhsa_exception_fp_ieee_invalid_op 0
		.amdhsa_exception_fp_denorm_src 0
		.amdhsa_exception_fp_ieee_div_zero 0
		.amdhsa_exception_fp_ieee_overflow 0
		.amdhsa_exception_fp_ieee_underflow 0
		.amdhsa_exception_fp_ieee_inexact 0
		.amdhsa_exception_int_div_zero 0
	.end_amdhsa_kernel
	.section	.text._ZN7rocprim17ROCPRIM_400000_NS6detail17trampoline_kernelINS0_14default_configENS1_35radix_sort_onesweep_config_selectorIalEEZZNS1_29radix_sort_onesweep_iterationIS3_Lb0EPaS7_N6thrust23THRUST_200600_302600_NS10device_ptrIlEESB_jNS0_19identity_decomposerENS1_16block_id_wrapperIjLb1EEEEE10hipError_tT1_PNSt15iterator_traitsISG_E10value_typeET2_T3_PNSH_ISM_E10value_typeET4_T5_PSR_SS_PNS1_23onesweep_lookback_stateEbbT6_jjT7_P12ihipStream_tbENKUlT_T0_SG_SL_E_clIS7_S7_SB_SB_EEDaSZ_S10_SG_SL_EUlSZ_E_NS1_11comp_targetILNS1_3genE9ELNS1_11target_archE1100ELNS1_3gpuE3ELNS1_3repE0EEENS1_47radix_sort_onesweep_sort_config_static_selectorELNS0_4arch9wavefront6targetE1EEEvSG_,"axG",@progbits,_ZN7rocprim17ROCPRIM_400000_NS6detail17trampoline_kernelINS0_14default_configENS1_35radix_sort_onesweep_config_selectorIalEEZZNS1_29radix_sort_onesweep_iterationIS3_Lb0EPaS7_N6thrust23THRUST_200600_302600_NS10device_ptrIlEESB_jNS0_19identity_decomposerENS1_16block_id_wrapperIjLb1EEEEE10hipError_tT1_PNSt15iterator_traitsISG_E10value_typeET2_T3_PNSH_ISM_E10value_typeET4_T5_PSR_SS_PNS1_23onesweep_lookback_stateEbbT6_jjT7_P12ihipStream_tbENKUlT_T0_SG_SL_E_clIS7_S7_SB_SB_EEDaSZ_S10_SG_SL_EUlSZ_E_NS1_11comp_targetILNS1_3genE9ELNS1_11target_archE1100ELNS1_3gpuE3ELNS1_3repE0EEENS1_47radix_sort_onesweep_sort_config_static_selectorELNS0_4arch9wavefront6targetE1EEEvSG_,comdat
.Lfunc_end607:
	.size	_ZN7rocprim17ROCPRIM_400000_NS6detail17trampoline_kernelINS0_14default_configENS1_35radix_sort_onesweep_config_selectorIalEEZZNS1_29radix_sort_onesweep_iterationIS3_Lb0EPaS7_N6thrust23THRUST_200600_302600_NS10device_ptrIlEESB_jNS0_19identity_decomposerENS1_16block_id_wrapperIjLb1EEEEE10hipError_tT1_PNSt15iterator_traitsISG_E10value_typeET2_T3_PNSH_ISM_E10value_typeET4_T5_PSR_SS_PNS1_23onesweep_lookback_stateEbbT6_jjT7_P12ihipStream_tbENKUlT_T0_SG_SL_E_clIS7_S7_SB_SB_EEDaSZ_S10_SG_SL_EUlSZ_E_NS1_11comp_targetILNS1_3genE9ELNS1_11target_archE1100ELNS1_3gpuE3ELNS1_3repE0EEENS1_47radix_sort_onesweep_sort_config_static_selectorELNS0_4arch9wavefront6targetE1EEEvSG_, .Lfunc_end607-_ZN7rocprim17ROCPRIM_400000_NS6detail17trampoline_kernelINS0_14default_configENS1_35radix_sort_onesweep_config_selectorIalEEZZNS1_29radix_sort_onesweep_iterationIS3_Lb0EPaS7_N6thrust23THRUST_200600_302600_NS10device_ptrIlEESB_jNS0_19identity_decomposerENS1_16block_id_wrapperIjLb1EEEEE10hipError_tT1_PNSt15iterator_traitsISG_E10value_typeET2_T3_PNSH_ISM_E10value_typeET4_T5_PSR_SS_PNS1_23onesweep_lookback_stateEbbT6_jjT7_P12ihipStream_tbENKUlT_T0_SG_SL_E_clIS7_S7_SB_SB_EEDaSZ_S10_SG_SL_EUlSZ_E_NS1_11comp_targetILNS1_3genE9ELNS1_11target_archE1100ELNS1_3gpuE3ELNS1_3repE0EEENS1_47radix_sort_onesweep_sort_config_static_selectorELNS0_4arch9wavefront6targetE1EEEvSG_
                                        ; -- End function
	.section	.AMDGPU.csdata,"",@progbits
; Kernel info:
; codeLenInByte = 0
; NumSgprs: 4
; NumVgprs: 0
; NumAgprs: 0
; TotalNumVgprs: 0
; ScratchSize: 0
; MemoryBound: 0
; FloatMode: 240
; IeeeMode: 1
; LDSByteSize: 0 bytes/workgroup (compile time only)
; SGPRBlocks: 0
; VGPRBlocks: 0
; NumSGPRsForWavesPerEU: 4
; NumVGPRsForWavesPerEU: 1
; AccumOffset: 4
; Occupancy: 8
; WaveLimiterHint : 0
; COMPUTE_PGM_RSRC2:SCRATCH_EN: 0
; COMPUTE_PGM_RSRC2:USER_SGPR: 6
; COMPUTE_PGM_RSRC2:TRAP_HANDLER: 0
; COMPUTE_PGM_RSRC2:TGID_X_EN: 1
; COMPUTE_PGM_RSRC2:TGID_Y_EN: 0
; COMPUTE_PGM_RSRC2:TGID_Z_EN: 0
; COMPUTE_PGM_RSRC2:TIDIG_COMP_CNT: 0
; COMPUTE_PGM_RSRC3_GFX90A:ACCUM_OFFSET: 0
; COMPUTE_PGM_RSRC3_GFX90A:TG_SPLIT: 0
	.section	.text._ZN7rocprim17ROCPRIM_400000_NS6detail17trampoline_kernelINS0_14default_configENS1_35radix_sort_onesweep_config_selectorIalEEZZNS1_29radix_sort_onesweep_iterationIS3_Lb0EPaS7_N6thrust23THRUST_200600_302600_NS10device_ptrIlEESB_jNS0_19identity_decomposerENS1_16block_id_wrapperIjLb1EEEEE10hipError_tT1_PNSt15iterator_traitsISG_E10value_typeET2_T3_PNSH_ISM_E10value_typeET4_T5_PSR_SS_PNS1_23onesweep_lookback_stateEbbT6_jjT7_P12ihipStream_tbENKUlT_T0_SG_SL_E_clIS7_S7_SB_SB_EEDaSZ_S10_SG_SL_EUlSZ_E_NS1_11comp_targetILNS1_3genE8ELNS1_11target_archE1030ELNS1_3gpuE2ELNS1_3repE0EEENS1_47radix_sort_onesweep_sort_config_static_selectorELNS0_4arch9wavefront6targetE1EEEvSG_,"axG",@progbits,_ZN7rocprim17ROCPRIM_400000_NS6detail17trampoline_kernelINS0_14default_configENS1_35radix_sort_onesweep_config_selectorIalEEZZNS1_29radix_sort_onesweep_iterationIS3_Lb0EPaS7_N6thrust23THRUST_200600_302600_NS10device_ptrIlEESB_jNS0_19identity_decomposerENS1_16block_id_wrapperIjLb1EEEEE10hipError_tT1_PNSt15iterator_traitsISG_E10value_typeET2_T3_PNSH_ISM_E10value_typeET4_T5_PSR_SS_PNS1_23onesweep_lookback_stateEbbT6_jjT7_P12ihipStream_tbENKUlT_T0_SG_SL_E_clIS7_S7_SB_SB_EEDaSZ_S10_SG_SL_EUlSZ_E_NS1_11comp_targetILNS1_3genE8ELNS1_11target_archE1030ELNS1_3gpuE2ELNS1_3repE0EEENS1_47radix_sort_onesweep_sort_config_static_selectorELNS0_4arch9wavefront6targetE1EEEvSG_,comdat
	.protected	_ZN7rocprim17ROCPRIM_400000_NS6detail17trampoline_kernelINS0_14default_configENS1_35radix_sort_onesweep_config_selectorIalEEZZNS1_29radix_sort_onesweep_iterationIS3_Lb0EPaS7_N6thrust23THRUST_200600_302600_NS10device_ptrIlEESB_jNS0_19identity_decomposerENS1_16block_id_wrapperIjLb1EEEEE10hipError_tT1_PNSt15iterator_traitsISG_E10value_typeET2_T3_PNSH_ISM_E10value_typeET4_T5_PSR_SS_PNS1_23onesweep_lookback_stateEbbT6_jjT7_P12ihipStream_tbENKUlT_T0_SG_SL_E_clIS7_S7_SB_SB_EEDaSZ_S10_SG_SL_EUlSZ_E_NS1_11comp_targetILNS1_3genE8ELNS1_11target_archE1030ELNS1_3gpuE2ELNS1_3repE0EEENS1_47radix_sort_onesweep_sort_config_static_selectorELNS0_4arch9wavefront6targetE1EEEvSG_ ; -- Begin function _ZN7rocprim17ROCPRIM_400000_NS6detail17trampoline_kernelINS0_14default_configENS1_35radix_sort_onesweep_config_selectorIalEEZZNS1_29radix_sort_onesweep_iterationIS3_Lb0EPaS7_N6thrust23THRUST_200600_302600_NS10device_ptrIlEESB_jNS0_19identity_decomposerENS1_16block_id_wrapperIjLb1EEEEE10hipError_tT1_PNSt15iterator_traitsISG_E10value_typeET2_T3_PNSH_ISM_E10value_typeET4_T5_PSR_SS_PNS1_23onesweep_lookback_stateEbbT6_jjT7_P12ihipStream_tbENKUlT_T0_SG_SL_E_clIS7_S7_SB_SB_EEDaSZ_S10_SG_SL_EUlSZ_E_NS1_11comp_targetILNS1_3genE8ELNS1_11target_archE1030ELNS1_3gpuE2ELNS1_3repE0EEENS1_47radix_sort_onesweep_sort_config_static_selectorELNS0_4arch9wavefront6targetE1EEEvSG_
	.globl	_ZN7rocprim17ROCPRIM_400000_NS6detail17trampoline_kernelINS0_14default_configENS1_35radix_sort_onesweep_config_selectorIalEEZZNS1_29radix_sort_onesweep_iterationIS3_Lb0EPaS7_N6thrust23THRUST_200600_302600_NS10device_ptrIlEESB_jNS0_19identity_decomposerENS1_16block_id_wrapperIjLb1EEEEE10hipError_tT1_PNSt15iterator_traitsISG_E10value_typeET2_T3_PNSH_ISM_E10value_typeET4_T5_PSR_SS_PNS1_23onesweep_lookback_stateEbbT6_jjT7_P12ihipStream_tbENKUlT_T0_SG_SL_E_clIS7_S7_SB_SB_EEDaSZ_S10_SG_SL_EUlSZ_E_NS1_11comp_targetILNS1_3genE8ELNS1_11target_archE1030ELNS1_3gpuE2ELNS1_3repE0EEENS1_47radix_sort_onesweep_sort_config_static_selectorELNS0_4arch9wavefront6targetE1EEEvSG_
	.p2align	8
	.type	_ZN7rocprim17ROCPRIM_400000_NS6detail17trampoline_kernelINS0_14default_configENS1_35radix_sort_onesweep_config_selectorIalEEZZNS1_29radix_sort_onesweep_iterationIS3_Lb0EPaS7_N6thrust23THRUST_200600_302600_NS10device_ptrIlEESB_jNS0_19identity_decomposerENS1_16block_id_wrapperIjLb1EEEEE10hipError_tT1_PNSt15iterator_traitsISG_E10value_typeET2_T3_PNSH_ISM_E10value_typeET4_T5_PSR_SS_PNS1_23onesweep_lookback_stateEbbT6_jjT7_P12ihipStream_tbENKUlT_T0_SG_SL_E_clIS7_S7_SB_SB_EEDaSZ_S10_SG_SL_EUlSZ_E_NS1_11comp_targetILNS1_3genE8ELNS1_11target_archE1030ELNS1_3gpuE2ELNS1_3repE0EEENS1_47radix_sort_onesweep_sort_config_static_selectorELNS0_4arch9wavefront6targetE1EEEvSG_,@function
_ZN7rocprim17ROCPRIM_400000_NS6detail17trampoline_kernelINS0_14default_configENS1_35radix_sort_onesweep_config_selectorIalEEZZNS1_29radix_sort_onesweep_iterationIS3_Lb0EPaS7_N6thrust23THRUST_200600_302600_NS10device_ptrIlEESB_jNS0_19identity_decomposerENS1_16block_id_wrapperIjLb1EEEEE10hipError_tT1_PNSt15iterator_traitsISG_E10value_typeET2_T3_PNSH_ISM_E10value_typeET4_T5_PSR_SS_PNS1_23onesweep_lookback_stateEbbT6_jjT7_P12ihipStream_tbENKUlT_T0_SG_SL_E_clIS7_S7_SB_SB_EEDaSZ_S10_SG_SL_EUlSZ_E_NS1_11comp_targetILNS1_3genE8ELNS1_11target_archE1030ELNS1_3gpuE2ELNS1_3repE0EEENS1_47radix_sort_onesweep_sort_config_static_selectorELNS0_4arch9wavefront6targetE1EEEvSG_: ; @_ZN7rocprim17ROCPRIM_400000_NS6detail17trampoline_kernelINS0_14default_configENS1_35radix_sort_onesweep_config_selectorIalEEZZNS1_29radix_sort_onesweep_iterationIS3_Lb0EPaS7_N6thrust23THRUST_200600_302600_NS10device_ptrIlEESB_jNS0_19identity_decomposerENS1_16block_id_wrapperIjLb1EEEEE10hipError_tT1_PNSt15iterator_traitsISG_E10value_typeET2_T3_PNSH_ISM_E10value_typeET4_T5_PSR_SS_PNS1_23onesweep_lookback_stateEbbT6_jjT7_P12ihipStream_tbENKUlT_T0_SG_SL_E_clIS7_S7_SB_SB_EEDaSZ_S10_SG_SL_EUlSZ_E_NS1_11comp_targetILNS1_3genE8ELNS1_11target_archE1030ELNS1_3gpuE2ELNS1_3repE0EEENS1_47radix_sort_onesweep_sort_config_static_selectorELNS0_4arch9wavefront6targetE1EEEvSG_
; %bb.0:
	.section	.rodata,"a",@progbits
	.p2align	6, 0x0
	.amdhsa_kernel _ZN7rocprim17ROCPRIM_400000_NS6detail17trampoline_kernelINS0_14default_configENS1_35radix_sort_onesweep_config_selectorIalEEZZNS1_29radix_sort_onesweep_iterationIS3_Lb0EPaS7_N6thrust23THRUST_200600_302600_NS10device_ptrIlEESB_jNS0_19identity_decomposerENS1_16block_id_wrapperIjLb1EEEEE10hipError_tT1_PNSt15iterator_traitsISG_E10value_typeET2_T3_PNSH_ISM_E10value_typeET4_T5_PSR_SS_PNS1_23onesweep_lookback_stateEbbT6_jjT7_P12ihipStream_tbENKUlT_T0_SG_SL_E_clIS7_S7_SB_SB_EEDaSZ_S10_SG_SL_EUlSZ_E_NS1_11comp_targetILNS1_3genE8ELNS1_11target_archE1030ELNS1_3gpuE2ELNS1_3repE0EEENS1_47radix_sort_onesweep_sort_config_static_selectorELNS0_4arch9wavefront6targetE1EEEvSG_
		.amdhsa_group_segment_fixed_size 0
		.amdhsa_private_segment_fixed_size 0
		.amdhsa_kernarg_size 88
		.amdhsa_user_sgpr_count 6
		.amdhsa_user_sgpr_private_segment_buffer 1
		.amdhsa_user_sgpr_dispatch_ptr 0
		.amdhsa_user_sgpr_queue_ptr 0
		.amdhsa_user_sgpr_kernarg_segment_ptr 1
		.amdhsa_user_sgpr_dispatch_id 0
		.amdhsa_user_sgpr_flat_scratch_init 0
		.amdhsa_user_sgpr_kernarg_preload_length 0
		.amdhsa_user_sgpr_kernarg_preload_offset 0
		.amdhsa_user_sgpr_private_segment_size 0
		.amdhsa_uses_dynamic_stack 0
		.amdhsa_system_sgpr_private_segment_wavefront_offset 0
		.amdhsa_system_sgpr_workgroup_id_x 1
		.amdhsa_system_sgpr_workgroup_id_y 0
		.amdhsa_system_sgpr_workgroup_id_z 0
		.amdhsa_system_sgpr_workgroup_info 0
		.amdhsa_system_vgpr_workitem_id 0
		.amdhsa_next_free_vgpr 1
		.amdhsa_next_free_sgpr 0
		.amdhsa_accum_offset 4
		.amdhsa_reserve_vcc 0
		.amdhsa_reserve_flat_scratch 0
		.amdhsa_float_round_mode_32 0
		.amdhsa_float_round_mode_16_64 0
		.amdhsa_float_denorm_mode_32 3
		.amdhsa_float_denorm_mode_16_64 3
		.amdhsa_dx10_clamp 1
		.amdhsa_ieee_mode 1
		.amdhsa_fp16_overflow 0
		.amdhsa_tg_split 0
		.amdhsa_exception_fp_ieee_invalid_op 0
		.amdhsa_exception_fp_denorm_src 0
		.amdhsa_exception_fp_ieee_div_zero 0
		.amdhsa_exception_fp_ieee_overflow 0
		.amdhsa_exception_fp_ieee_underflow 0
		.amdhsa_exception_fp_ieee_inexact 0
		.amdhsa_exception_int_div_zero 0
	.end_amdhsa_kernel
	.section	.text._ZN7rocprim17ROCPRIM_400000_NS6detail17trampoline_kernelINS0_14default_configENS1_35radix_sort_onesweep_config_selectorIalEEZZNS1_29radix_sort_onesweep_iterationIS3_Lb0EPaS7_N6thrust23THRUST_200600_302600_NS10device_ptrIlEESB_jNS0_19identity_decomposerENS1_16block_id_wrapperIjLb1EEEEE10hipError_tT1_PNSt15iterator_traitsISG_E10value_typeET2_T3_PNSH_ISM_E10value_typeET4_T5_PSR_SS_PNS1_23onesweep_lookback_stateEbbT6_jjT7_P12ihipStream_tbENKUlT_T0_SG_SL_E_clIS7_S7_SB_SB_EEDaSZ_S10_SG_SL_EUlSZ_E_NS1_11comp_targetILNS1_3genE8ELNS1_11target_archE1030ELNS1_3gpuE2ELNS1_3repE0EEENS1_47radix_sort_onesweep_sort_config_static_selectorELNS0_4arch9wavefront6targetE1EEEvSG_,"axG",@progbits,_ZN7rocprim17ROCPRIM_400000_NS6detail17trampoline_kernelINS0_14default_configENS1_35radix_sort_onesweep_config_selectorIalEEZZNS1_29radix_sort_onesweep_iterationIS3_Lb0EPaS7_N6thrust23THRUST_200600_302600_NS10device_ptrIlEESB_jNS0_19identity_decomposerENS1_16block_id_wrapperIjLb1EEEEE10hipError_tT1_PNSt15iterator_traitsISG_E10value_typeET2_T3_PNSH_ISM_E10value_typeET4_T5_PSR_SS_PNS1_23onesweep_lookback_stateEbbT6_jjT7_P12ihipStream_tbENKUlT_T0_SG_SL_E_clIS7_S7_SB_SB_EEDaSZ_S10_SG_SL_EUlSZ_E_NS1_11comp_targetILNS1_3genE8ELNS1_11target_archE1030ELNS1_3gpuE2ELNS1_3repE0EEENS1_47radix_sort_onesweep_sort_config_static_selectorELNS0_4arch9wavefront6targetE1EEEvSG_,comdat
.Lfunc_end608:
	.size	_ZN7rocprim17ROCPRIM_400000_NS6detail17trampoline_kernelINS0_14default_configENS1_35radix_sort_onesweep_config_selectorIalEEZZNS1_29radix_sort_onesweep_iterationIS3_Lb0EPaS7_N6thrust23THRUST_200600_302600_NS10device_ptrIlEESB_jNS0_19identity_decomposerENS1_16block_id_wrapperIjLb1EEEEE10hipError_tT1_PNSt15iterator_traitsISG_E10value_typeET2_T3_PNSH_ISM_E10value_typeET4_T5_PSR_SS_PNS1_23onesweep_lookback_stateEbbT6_jjT7_P12ihipStream_tbENKUlT_T0_SG_SL_E_clIS7_S7_SB_SB_EEDaSZ_S10_SG_SL_EUlSZ_E_NS1_11comp_targetILNS1_3genE8ELNS1_11target_archE1030ELNS1_3gpuE2ELNS1_3repE0EEENS1_47radix_sort_onesweep_sort_config_static_selectorELNS0_4arch9wavefront6targetE1EEEvSG_, .Lfunc_end608-_ZN7rocprim17ROCPRIM_400000_NS6detail17trampoline_kernelINS0_14default_configENS1_35radix_sort_onesweep_config_selectorIalEEZZNS1_29radix_sort_onesweep_iterationIS3_Lb0EPaS7_N6thrust23THRUST_200600_302600_NS10device_ptrIlEESB_jNS0_19identity_decomposerENS1_16block_id_wrapperIjLb1EEEEE10hipError_tT1_PNSt15iterator_traitsISG_E10value_typeET2_T3_PNSH_ISM_E10value_typeET4_T5_PSR_SS_PNS1_23onesweep_lookback_stateEbbT6_jjT7_P12ihipStream_tbENKUlT_T0_SG_SL_E_clIS7_S7_SB_SB_EEDaSZ_S10_SG_SL_EUlSZ_E_NS1_11comp_targetILNS1_3genE8ELNS1_11target_archE1030ELNS1_3gpuE2ELNS1_3repE0EEENS1_47radix_sort_onesweep_sort_config_static_selectorELNS0_4arch9wavefront6targetE1EEEvSG_
                                        ; -- End function
	.section	.AMDGPU.csdata,"",@progbits
; Kernel info:
; codeLenInByte = 0
; NumSgprs: 4
; NumVgprs: 0
; NumAgprs: 0
; TotalNumVgprs: 0
; ScratchSize: 0
; MemoryBound: 0
; FloatMode: 240
; IeeeMode: 1
; LDSByteSize: 0 bytes/workgroup (compile time only)
; SGPRBlocks: 0
; VGPRBlocks: 0
; NumSGPRsForWavesPerEU: 4
; NumVGPRsForWavesPerEU: 1
; AccumOffset: 4
; Occupancy: 8
; WaveLimiterHint : 0
; COMPUTE_PGM_RSRC2:SCRATCH_EN: 0
; COMPUTE_PGM_RSRC2:USER_SGPR: 6
; COMPUTE_PGM_RSRC2:TRAP_HANDLER: 0
; COMPUTE_PGM_RSRC2:TGID_X_EN: 1
; COMPUTE_PGM_RSRC2:TGID_Y_EN: 0
; COMPUTE_PGM_RSRC2:TGID_Z_EN: 0
; COMPUTE_PGM_RSRC2:TIDIG_COMP_CNT: 0
; COMPUTE_PGM_RSRC3_GFX90A:ACCUM_OFFSET: 0
; COMPUTE_PGM_RSRC3_GFX90A:TG_SPLIT: 0
	.section	.text._ZN7rocprim17ROCPRIM_400000_NS6detail17trampoline_kernelINS0_14default_configENS1_35radix_sort_onesweep_config_selectorIalEEZZNS1_29radix_sort_onesweep_iterationIS3_Lb0EPaS7_N6thrust23THRUST_200600_302600_NS10device_ptrIlEESB_jNS0_19identity_decomposerENS1_16block_id_wrapperIjLb1EEEEE10hipError_tT1_PNSt15iterator_traitsISG_E10value_typeET2_T3_PNSH_ISM_E10value_typeET4_T5_PSR_SS_PNS1_23onesweep_lookback_stateEbbT6_jjT7_P12ihipStream_tbENKUlT_T0_SG_SL_E_clIS7_S7_SB_PlEEDaSZ_S10_SG_SL_EUlSZ_E_NS1_11comp_targetILNS1_3genE0ELNS1_11target_archE4294967295ELNS1_3gpuE0ELNS1_3repE0EEENS1_47radix_sort_onesweep_sort_config_static_selectorELNS0_4arch9wavefront6targetE1EEEvSG_,"axG",@progbits,_ZN7rocprim17ROCPRIM_400000_NS6detail17trampoline_kernelINS0_14default_configENS1_35radix_sort_onesweep_config_selectorIalEEZZNS1_29radix_sort_onesweep_iterationIS3_Lb0EPaS7_N6thrust23THRUST_200600_302600_NS10device_ptrIlEESB_jNS0_19identity_decomposerENS1_16block_id_wrapperIjLb1EEEEE10hipError_tT1_PNSt15iterator_traitsISG_E10value_typeET2_T3_PNSH_ISM_E10value_typeET4_T5_PSR_SS_PNS1_23onesweep_lookback_stateEbbT6_jjT7_P12ihipStream_tbENKUlT_T0_SG_SL_E_clIS7_S7_SB_PlEEDaSZ_S10_SG_SL_EUlSZ_E_NS1_11comp_targetILNS1_3genE0ELNS1_11target_archE4294967295ELNS1_3gpuE0ELNS1_3repE0EEENS1_47radix_sort_onesweep_sort_config_static_selectorELNS0_4arch9wavefront6targetE1EEEvSG_,comdat
	.protected	_ZN7rocprim17ROCPRIM_400000_NS6detail17trampoline_kernelINS0_14default_configENS1_35radix_sort_onesweep_config_selectorIalEEZZNS1_29radix_sort_onesweep_iterationIS3_Lb0EPaS7_N6thrust23THRUST_200600_302600_NS10device_ptrIlEESB_jNS0_19identity_decomposerENS1_16block_id_wrapperIjLb1EEEEE10hipError_tT1_PNSt15iterator_traitsISG_E10value_typeET2_T3_PNSH_ISM_E10value_typeET4_T5_PSR_SS_PNS1_23onesweep_lookback_stateEbbT6_jjT7_P12ihipStream_tbENKUlT_T0_SG_SL_E_clIS7_S7_SB_PlEEDaSZ_S10_SG_SL_EUlSZ_E_NS1_11comp_targetILNS1_3genE0ELNS1_11target_archE4294967295ELNS1_3gpuE0ELNS1_3repE0EEENS1_47radix_sort_onesweep_sort_config_static_selectorELNS0_4arch9wavefront6targetE1EEEvSG_ ; -- Begin function _ZN7rocprim17ROCPRIM_400000_NS6detail17trampoline_kernelINS0_14default_configENS1_35radix_sort_onesweep_config_selectorIalEEZZNS1_29radix_sort_onesweep_iterationIS3_Lb0EPaS7_N6thrust23THRUST_200600_302600_NS10device_ptrIlEESB_jNS0_19identity_decomposerENS1_16block_id_wrapperIjLb1EEEEE10hipError_tT1_PNSt15iterator_traitsISG_E10value_typeET2_T3_PNSH_ISM_E10value_typeET4_T5_PSR_SS_PNS1_23onesweep_lookback_stateEbbT6_jjT7_P12ihipStream_tbENKUlT_T0_SG_SL_E_clIS7_S7_SB_PlEEDaSZ_S10_SG_SL_EUlSZ_E_NS1_11comp_targetILNS1_3genE0ELNS1_11target_archE4294967295ELNS1_3gpuE0ELNS1_3repE0EEENS1_47radix_sort_onesweep_sort_config_static_selectorELNS0_4arch9wavefront6targetE1EEEvSG_
	.globl	_ZN7rocprim17ROCPRIM_400000_NS6detail17trampoline_kernelINS0_14default_configENS1_35radix_sort_onesweep_config_selectorIalEEZZNS1_29radix_sort_onesweep_iterationIS3_Lb0EPaS7_N6thrust23THRUST_200600_302600_NS10device_ptrIlEESB_jNS0_19identity_decomposerENS1_16block_id_wrapperIjLb1EEEEE10hipError_tT1_PNSt15iterator_traitsISG_E10value_typeET2_T3_PNSH_ISM_E10value_typeET4_T5_PSR_SS_PNS1_23onesweep_lookback_stateEbbT6_jjT7_P12ihipStream_tbENKUlT_T0_SG_SL_E_clIS7_S7_SB_PlEEDaSZ_S10_SG_SL_EUlSZ_E_NS1_11comp_targetILNS1_3genE0ELNS1_11target_archE4294967295ELNS1_3gpuE0ELNS1_3repE0EEENS1_47radix_sort_onesweep_sort_config_static_selectorELNS0_4arch9wavefront6targetE1EEEvSG_
	.p2align	8
	.type	_ZN7rocprim17ROCPRIM_400000_NS6detail17trampoline_kernelINS0_14default_configENS1_35radix_sort_onesweep_config_selectorIalEEZZNS1_29radix_sort_onesweep_iterationIS3_Lb0EPaS7_N6thrust23THRUST_200600_302600_NS10device_ptrIlEESB_jNS0_19identity_decomposerENS1_16block_id_wrapperIjLb1EEEEE10hipError_tT1_PNSt15iterator_traitsISG_E10value_typeET2_T3_PNSH_ISM_E10value_typeET4_T5_PSR_SS_PNS1_23onesweep_lookback_stateEbbT6_jjT7_P12ihipStream_tbENKUlT_T0_SG_SL_E_clIS7_S7_SB_PlEEDaSZ_S10_SG_SL_EUlSZ_E_NS1_11comp_targetILNS1_3genE0ELNS1_11target_archE4294967295ELNS1_3gpuE0ELNS1_3repE0EEENS1_47radix_sort_onesweep_sort_config_static_selectorELNS0_4arch9wavefront6targetE1EEEvSG_,@function
_ZN7rocprim17ROCPRIM_400000_NS6detail17trampoline_kernelINS0_14default_configENS1_35radix_sort_onesweep_config_selectorIalEEZZNS1_29radix_sort_onesweep_iterationIS3_Lb0EPaS7_N6thrust23THRUST_200600_302600_NS10device_ptrIlEESB_jNS0_19identity_decomposerENS1_16block_id_wrapperIjLb1EEEEE10hipError_tT1_PNSt15iterator_traitsISG_E10value_typeET2_T3_PNSH_ISM_E10value_typeET4_T5_PSR_SS_PNS1_23onesweep_lookback_stateEbbT6_jjT7_P12ihipStream_tbENKUlT_T0_SG_SL_E_clIS7_S7_SB_PlEEDaSZ_S10_SG_SL_EUlSZ_E_NS1_11comp_targetILNS1_3genE0ELNS1_11target_archE4294967295ELNS1_3gpuE0ELNS1_3repE0EEENS1_47radix_sort_onesweep_sort_config_static_selectorELNS0_4arch9wavefront6targetE1EEEvSG_: ; @_ZN7rocprim17ROCPRIM_400000_NS6detail17trampoline_kernelINS0_14default_configENS1_35radix_sort_onesweep_config_selectorIalEEZZNS1_29radix_sort_onesweep_iterationIS3_Lb0EPaS7_N6thrust23THRUST_200600_302600_NS10device_ptrIlEESB_jNS0_19identity_decomposerENS1_16block_id_wrapperIjLb1EEEEE10hipError_tT1_PNSt15iterator_traitsISG_E10value_typeET2_T3_PNSH_ISM_E10value_typeET4_T5_PSR_SS_PNS1_23onesweep_lookback_stateEbbT6_jjT7_P12ihipStream_tbENKUlT_T0_SG_SL_E_clIS7_S7_SB_PlEEDaSZ_S10_SG_SL_EUlSZ_E_NS1_11comp_targetILNS1_3genE0ELNS1_11target_archE4294967295ELNS1_3gpuE0ELNS1_3repE0EEENS1_47radix_sort_onesweep_sort_config_static_selectorELNS0_4arch9wavefront6targetE1EEEvSG_
; %bb.0:
	.section	.rodata,"a",@progbits
	.p2align	6, 0x0
	.amdhsa_kernel _ZN7rocprim17ROCPRIM_400000_NS6detail17trampoline_kernelINS0_14default_configENS1_35radix_sort_onesweep_config_selectorIalEEZZNS1_29radix_sort_onesweep_iterationIS3_Lb0EPaS7_N6thrust23THRUST_200600_302600_NS10device_ptrIlEESB_jNS0_19identity_decomposerENS1_16block_id_wrapperIjLb1EEEEE10hipError_tT1_PNSt15iterator_traitsISG_E10value_typeET2_T3_PNSH_ISM_E10value_typeET4_T5_PSR_SS_PNS1_23onesweep_lookback_stateEbbT6_jjT7_P12ihipStream_tbENKUlT_T0_SG_SL_E_clIS7_S7_SB_PlEEDaSZ_S10_SG_SL_EUlSZ_E_NS1_11comp_targetILNS1_3genE0ELNS1_11target_archE4294967295ELNS1_3gpuE0ELNS1_3repE0EEENS1_47radix_sort_onesweep_sort_config_static_selectorELNS0_4arch9wavefront6targetE1EEEvSG_
		.amdhsa_group_segment_fixed_size 0
		.amdhsa_private_segment_fixed_size 0
		.amdhsa_kernarg_size 88
		.amdhsa_user_sgpr_count 6
		.amdhsa_user_sgpr_private_segment_buffer 1
		.amdhsa_user_sgpr_dispatch_ptr 0
		.amdhsa_user_sgpr_queue_ptr 0
		.amdhsa_user_sgpr_kernarg_segment_ptr 1
		.amdhsa_user_sgpr_dispatch_id 0
		.amdhsa_user_sgpr_flat_scratch_init 0
		.amdhsa_user_sgpr_kernarg_preload_length 0
		.amdhsa_user_sgpr_kernarg_preload_offset 0
		.amdhsa_user_sgpr_private_segment_size 0
		.amdhsa_uses_dynamic_stack 0
		.amdhsa_system_sgpr_private_segment_wavefront_offset 0
		.amdhsa_system_sgpr_workgroup_id_x 1
		.amdhsa_system_sgpr_workgroup_id_y 0
		.amdhsa_system_sgpr_workgroup_id_z 0
		.amdhsa_system_sgpr_workgroup_info 0
		.amdhsa_system_vgpr_workitem_id 0
		.amdhsa_next_free_vgpr 1
		.amdhsa_next_free_sgpr 0
		.amdhsa_accum_offset 4
		.amdhsa_reserve_vcc 0
		.amdhsa_reserve_flat_scratch 0
		.amdhsa_float_round_mode_32 0
		.amdhsa_float_round_mode_16_64 0
		.amdhsa_float_denorm_mode_32 3
		.amdhsa_float_denorm_mode_16_64 3
		.amdhsa_dx10_clamp 1
		.amdhsa_ieee_mode 1
		.amdhsa_fp16_overflow 0
		.amdhsa_tg_split 0
		.amdhsa_exception_fp_ieee_invalid_op 0
		.amdhsa_exception_fp_denorm_src 0
		.amdhsa_exception_fp_ieee_div_zero 0
		.amdhsa_exception_fp_ieee_overflow 0
		.amdhsa_exception_fp_ieee_underflow 0
		.amdhsa_exception_fp_ieee_inexact 0
		.amdhsa_exception_int_div_zero 0
	.end_amdhsa_kernel
	.section	.text._ZN7rocprim17ROCPRIM_400000_NS6detail17trampoline_kernelINS0_14default_configENS1_35radix_sort_onesweep_config_selectorIalEEZZNS1_29radix_sort_onesweep_iterationIS3_Lb0EPaS7_N6thrust23THRUST_200600_302600_NS10device_ptrIlEESB_jNS0_19identity_decomposerENS1_16block_id_wrapperIjLb1EEEEE10hipError_tT1_PNSt15iterator_traitsISG_E10value_typeET2_T3_PNSH_ISM_E10value_typeET4_T5_PSR_SS_PNS1_23onesweep_lookback_stateEbbT6_jjT7_P12ihipStream_tbENKUlT_T0_SG_SL_E_clIS7_S7_SB_PlEEDaSZ_S10_SG_SL_EUlSZ_E_NS1_11comp_targetILNS1_3genE0ELNS1_11target_archE4294967295ELNS1_3gpuE0ELNS1_3repE0EEENS1_47radix_sort_onesweep_sort_config_static_selectorELNS0_4arch9wavefront6targetE1EEEvSG_,"axG",@progbits,_ZN7rocprim17ROCPRIM_400000_NS6detail17trampoline_kernelINS0_14default_configENS1_35radix_sort_onesweep_config_selectorIalEEZZNS1_29radix_sort_onesweep_iterationIS3_Lb0EPaS7_N6thrust23THRUST_200600_302600_NS10device_ptrIlEESB_jNS0_19identity_decomposerENS1_16block_id_wrapperIjLb1EEEEE10hipError_tT1_PNSt15iterator_traitsISG_E10value_typeET2_T3_PNSH_ISM_E10value_typeET4_T5_PSR_SS_PNS1_23onesweep_lookback_stateEbbT6_jjT7_P12ihipStream_tbENKUlT_T0_SG_SL_E_clIS7_S7_SB_PlEEDaSZ_S10_SG_SL_EUlSZ_E_NS1_11comp_targetILNS1_3genE0ELNS1_11target_archE4294967295ELNS1_3gpuE0ELNS1_3repE0EEENS1_47radix_sort_onesweep_sort_config_static_selectorELNS0_4arch9wavefront6targetE1EEEvSG_,comdat
.Lfunc_end609:
	.size	_ZN7rocprim17ROCPRIM_400000_NS6detail17trampoline_kernelINS0_14default_configENS1_35radix_sort_onesweep_config_selectorIalEEZZNS1_29radix_sort_onesweep_iterationIS3_Lb0EPaS7_N6thrust23THRUST_200600_302600_NS10device_ptrIlEESB_jNS0_19identity_decomposerENS1_16block_id_wrapperIjLb1EEEEE10hipError_tT1_PNSt15iterator_traitsISG_E10value_typeET2_T3_PNSH_ISM_E10value_typeET4_T5_PSR_SS_PNS1_23onesweep_lookback_stateEbbT6_jjT7_P12ihipStream_tbENKUlT_T0_SG_SL_E_clIS7_S7_SB_PlEEDaSZ_S10_SG_SL_EUlSZ_E_NS1_11comp_targetILNS1_3genE0ELNS1_11target_archE4294967295ELNS1_3gpuE0ELNS1_3repE0EEENS1_47radix_sort_onesweep_sort_config_static_selectorELNS0_4arch9wavefront6targetE1EEEvSG_, .Lfunc_end609-_ZN7rocprim17ROCPRIM_400000_NS6detail17trampoline_kernelINS0_14default_configENS1_35radix_sort_onesweep_config_selectorIalEEZZNS1_29radix_sort_onesweep_iterationIS3_Lb0EPaS7_N6thrust23THRUST_200600_302600_NS10device_ptrIlEESB_jNS0_19identity_decomposerENS1_16block_id_wrapperIjLb1EEEEE10hipError_tT1_PNSt15iterator_traitsISG_E10value_typeET2_T3_PNSH_ISM_E10value_typeET4_T5_PSR_SS_PNS1_23onesweep_lookback_stateEbbT6_jjT7_P12ihipStream_tbENKUlT_T0_SG_SL_E_clIS7_S7_SB_PlEEDaSZ_S10_SG_SL_EUlSZ_E_NS1_11comp_targetILNS1_3genE0ELNS1_11target_archE4294967295ELNS1_3gpuE0ELNS1_3repE0EEENS1_47radix_sort_onesweep_sort_config_static_selectorELNS0_4arch9wavefront6targetE1EEEvSG_
                                        ; -- End function
	.section	.AMDGPU.csdata,"",@progbits
; Kernel info:
; codeLenInByte = 0
; NumSgprs: 4
; NumVgprs: 0
; NumAgprs: 0
; TotalNumVgprs: 0
; ScratchSize: 0
; MemoryBound: 0
; FloatMode: 240
; IeeeMode: 1
; LDSByteSize: 0 bytes/workgroup (compile time only)
; SGPRBlocks: 0
; VGPRBlocks: 0
; NumSGPRsForWavesPerEU: 4
; NumVGPRsForWavesPerEU: 1
; AccumOffset: 4
; Occupancy: 8
; WaveLimiterHint : 0
; COMPUTE_PGM_RSRC2:SCRATCH_EN: 0
; COMPUTE_PGM_RSRC2:USER_SGPR: 6
; COMPUTE_PGM_RSRC2:TRAP_HANDLER: 0
; COMPUTE_PGM_RSRC2:TGID_X_EN: 1
; COMPUTE_PGM_RSRC2:TGID_Y_EN: 0
; COMPUTE_PGM_RSRC2:TGID_Z_EN: 0
; COMPUTE_PGM_RSRC2:TIDIG_COMP_CNT: 0
; COMPUTE_PGM_RSRC3_GFX90A:ACCUM_OFFSET: 0
; COMPUTE_PGM_RSRC3_GFX90A:TG_SPLIT: 0
	.section	.text._ZN7rocprim17ROCPRIM_400000_NS6detail17trampoline_kernelINS0_14default_configENS1_35radix_sort_onesweep_config_selectorIalEEZZNS1_29radix_sort_onesweep_iterationIS3_Lb0EPaS7_N6thrust23THRUST_200600_302600_NS10device_ptrIlEESB_jNS0_19identity_decomposerENS1_16block_id_wrapperIjLb1EEEEE10hipError_tT1_PNSt15iterator_traitsISG_E10value_typeET2_T3_PNSH_ISM_E10value_typeET4_T5_PSR_SS_PNS1_23onesweep_lookback_stateEbbT6_jjT7_P12ihipStream_tbENKUlT_T0_SG_SL_E_clIS7_S7_SB_PlEEDaSZ_S10_SG_SL_EUlSZ_E_NS1_11comp_targetILNS1_3genE6ELNS1_11target_archE950ELNS1_3gpuE13ELNS1_3repE0EEENS1_47radix_sort_onesweep_sort_config_static_selectorELNS0_4arch9wavefront6targetE1EEEvSG_,"axG",@progbits,_ZN7rocprim17ROCPRIM_400000_NS6detail17trampoline_kernelINS0_14default_configENS1_35radix_sort_onesweep_config_selectorIalEEZZNS1_29radix_sort_onesweep_iterationIS3_Lb0EPaS7_N6thrust23THRUST_200600_302600_NS10device_ptrIlEESB_jNS0_19identity_decomposerENS1_16block_id_wrapperIjLb1EEEEE10hipError_tT1_PNSt15iterator_traitsISG_E10value_typeET2_T3_PNSH_ISM_E10value_typeET4_T5_PSR_SS_PNS1_23onesweep_lookback_stateEbbT6_jjT7_P12ihipStream_tbENKUlT_T0_SG_SL_E_clIS7_S7_SB_PlEEDaSZ_S10_SG_SL_EUlSZ_E_NS1_11comp_targetILNS1_3genE6ELNS1_11target_archE950ELNS1_3gpuE13ELNS1_3repE0EEENS1_47radix_sort_onesweep_sort_config_static_selectorELNS0_4arch9wavefront6targetE1EEEvSG_,comdat
	.protected	_ZN7rocprim17ROCPRIM_400000_NS6detail17trampoline_kernelINS0_14default_configENS1_35radix_sort_onesweep_config_selectorIalEEZZNS1_29radix_sort_onesweep_iterationIS3_Lb0EPaS7_N6thrust23THRUST_200600_302600_NS10device_ptrIlEESB_jNS0_19identity_decomposerENS1_16block_id_wrapperIjLb1EEEEE10hipError_tT1_PNSt15iterator_traitsISG_E10value_typeET2_T3_PNSH_ISM_E10value_typeET4_T5_PSR_SS_PNS1_23onesweep_lookback_stateEbbT6_jjT7_P12ihipStream_tbENKUlT_T0_SG_SL_E_clIS7_S7_SB_PlEEDaSZ_S10_SG_SL_EUlSZ_E_NS1_11comp_targetILNS1_3genE6ELNS1_11target_archE950ELNS1_3gpuE13ELNS1_3repE0EEENS1_47radix_sort_onesweep_sort_config_static_selectorELNS0_4arch9wavefront6targetE1EEEvSG_ ; -- Begin function _ZN7rocprim17ROCPRIM_400000_NS6detail17trampoline_kernelINS0_14default_configENS1_35radix_sort_onesweep_config_selectorIalEEZZNS1_29radix_sort_onesweep_iterationIS3_Lb0EPaS7_N6thrust23THRUST_200600_302600_NS10device_ptrIlEESB_jNS0_19identity_decomposerENS1_16block_id_wrapperIjLb1EEEEE10hipError_tT1_PNSt15iterator_traitsISG_E10value_typeET2_T3_PNSH_ISM_E10value_typeET4_T5_PSR_SS_PNS1_23onesweep_lookback_stateEbbT6_jjT7_P12ihipStream_tbENKUlT_T0_SG_SL_E_clIS7_S7_SB_PlEEDaSZ_S10_SG_SL_EUlSZ_E_NS1_11comp_targetILNS1_3genE6ELNS1_11target_archE950ELNS1_3gpuE13ELNS1_3repE0EEENS1_47radix_sort_onesweep_sort_config_static_selectorELNS0_4arch9wavefront6targetE1EEEvSG_
	.globl	_ZN7rocprim17ROCPRIM_400000_NS6detail17trampoline_kernelINS0_14default_configENS1_35radix_sort_onesweep_config_selectorIalEEZZNS1_29radix_sort_onesweep_iterationIS3_Lb0EPaS7_N6thrust23THRUST_200600_302600_NS10device_ptrIlEESB_jNS0_19identity_decomposerENS1_16block_id_wrapperIjLb1EEEEE10hipError_tT1_PNSt15iterator_traitsISG_E10value_typeET2_T3_PNSH_ISM_E10value_typeET4_T5_PSR_SS_PNS1_23onesweep_lookback_stateEbbT6_jjT7_P12ihipStream_tbENKUlT_T0_SG_SL_E_clIS7_S7_SB_PlEEDaSZ_S10_SG_SL_EUlSZ_E_NS1_11comp_targetILNS1_3genE6ELNS1_11target_archE950ELNS1_3gpuE13ELNS1_3repE0EEENS1_47radix_sort_onesweep_sort_config_static_selectorELNS0_4arch9wavefront6targetE1EEEvSG_
	.p2align	8
	.type	_ZN7rocprim17ROCPRIM_400000_NS6detail17trampoline_kernelINS0_14default_configENS1_35radix_sort_onesweep_config_selectorIalEEZZNS1_29radix_sort_onesweep_iterationIS3_Lb0EPaS7_N6thrust23THRUST_200600_302600_NS10device_ptrIlEESB_jNS0_19identity_decomposerENS1_16block_id_wrapperIjLb1EEEEE10hipError_tT1_PNSt15iterator_traitsISG_E10value_typeET2_T3_PNSH_ISM_E10value_typeET4_T5_PSR_SS_PNS1_23onesweep_lookback_stateEbbT6_jjT7_P12ihipStream_tbENKUlT_T0_SG_SL_E_clIS7_S7_SB_PlEEDaSZ_S10_SG_SL_EUlSZ_E_NS1_11comp_targetILNS1_3genE6ELNS1_11target_archE950ELNS1_3gpuE13ELNS1_3repE0EEENS1_47radix_sort_onesweep_sort_config_static_selectorELNS0_4arch9wavefront6targetE1EEEvSG_,@function
_ZN7rocprim17ROCPRIM_400000_NS6detail17trampoline_kernelINS0_14default_configENS1_35radix_sort_onesweep_config_selectorIalEEZZNS1_29radix_sort_onesweep_iterationIS3_Lb0EPaS7_N6thrust23THRUST_200600_302600_NS10device_ptrIlEESB_jNS0_19identity_decomposerENS1_16block_id_wrapperIjLb1EEEEE10hipError_tT1_PNSt15iterator_traitsISG_E10value_typeET2_T3_PNSH_ISM_E10value_typeET4_T5_PSR_SS_PNS1_23onesweep_lookback_stateEbbT6_jjT7_P12ihipStream_tbENKUlT_T0_SG_SL_E_clIS7_S7_SB_PlEEDaSZ_S10_SG_SL_EUlSZ_E_NS1_11comp_targetILNS1_3genE6ELNS1_11target_archE950ELNS1_3gpuE13ELNS1_3repE0EEENS1_47radix_sort_onesweep_sort_config_static_selectorELNS0_4arch9wavefront6targetE1EEEvSG_: ; @_ZN7rocprim17ROCPRIM_400000_NS6detail17trampoline_kernelINS0_14default_configENS1_35radix_sort_onesweep_config_selectorIalEEZZNS1_29radix_sort_onesweep_iterationIS3_Lb0EPaS7_N6thrust23THRUST_200600_302600_NS10device_ptrIlEESB_jNS0_19identity_decomposerENS1_16block_id_wrapperIjLb1EEEEE10hipError_tT1_PNSt15iterator_traitsISG_E10value_typeET2_T3_PNSH_ISM_E10value_typeET4_T5_PSR_SS_PNS1_23onesweep_lookback_stateEbbT6_jjT7_P12ihipStream_tbENKUlT_T0_SG_SL_E_clIS7_S7_SB_PlEEDaSZ_S10_SG_SL_EUlSZ_E_NS1_11comp_targetILNS1_3genE6ELNS1_11target_archE950ELNS1_3gpuE13ELNS1_3repE0EEENS1_47radix_sort_onesweep_sort_config_static_selectorELNS0_4arch9wavefront6targetE1EEEvSG_
; %bb.0:
	.section	.rodata,"a",@progbits
	.p2align	6, 0x0
	.amdhsa_kernel _ZN7rocprim17ROCPRIM_400000_NS6detail17trampoline_kernelINS0_14default_configENS1_35radix_sort_onesweep_config_selectorIalEEZZNS1_29radix_sort_onesweep_iterationIS3_Lb0EPaS7_N6thrust23THRUST_200600_302600_NS10device_ptrIlEESB_jNS0_19identity_decomposerENS1_16block_id_wrapperIjLb1EEEEE10hipError_tT1_PNSt15iterator_traitsISG_E10value_typeET2_T3_PNSH_ISM_E10value_typeET4_T5_PSR_SS_PNS1_23onesweep_lookback_stateEbbT6_jjT7_P12ihipStream_tbENKUlT_T0_SG_SL_E_clIS7_S7_SB_PlEEDaSZ_S10_SG_SL_EUlSZ_E_NS1_11comp_targetILNS1_3genE6ELNS1_11target_archE950ELNS1_3gpuE13ELNS1_3repE0EEENS1_47radix_sort_onesweep_sort_config_static_selectorELNS0_4arch9wavefront6targetE1EEEvSG_
		.amdhsa_group_segment_fixed_size 0
		.amdhsa_private_segment_fixed_size 0
		.amdhsa_kernarg_size 88
		.amdhsa_user_sgpr_count 6
		.amdhsa_user_sgpr_private_segment_buffer 1
		.amdhsa_user_sgpr_dispatch_ptr 0
		.amdhsa_user_sgpr_queue_ptr 0
		.amdhsa_user_sgpr_kernarg_segment_ptr 1
		.amdhsa_user_sgpr_dispatch_id 0
		.amdhsa_user_sgpr_flat_scratch_init 0
		.amdhsa_user_sgpr_kernarg_preload_length 0
		.amdhsa_user_sgpr_kernarg_preload_offset 0
		.amdhsa_user_sgpr_private_segment_size 0
		.amdhsa_uses_dynamic_stack 0
		.amdhsa_system_sgpr_private_segment_wavefront_offset 0
		.amdhsa_system_sgpr_workgroup_id_x 1
		.amdhsa_system_sgpr_workgroup_id_y 0
		.amdhsa_system_sgpr_workgroup_id_z 0
		.amdhsa_system_sgpr_workgroup_info 0
		.amdhsa_system_vgpr_workitem_id 0
		.amdhsa_next_free_vgpr 1
		.amdhsa_next_free_sgpr 0
		.amdhsa_accum_offset 4
		.amdhsa_reserve_vcc 0
		.amdhsa_reserve_flat_scratch 0
		.amdhsa_float_round_mode_32 0
		.amdhsa_float_round_mode_16_64 0
		.amdhsa_float_denorm_mode_32 3
		.amdhsa_float_denorm_mode_16_64 3
		.amdhsa_dx10_clamp 1
		.amdhsa_ieee_mode 1
		.amdhsa_fp16_overflow 0
		.amdhsa_tg_split 0
		.amdhsa_exception_fp_ieee_invalid_op 0
		.amdhsa_exception_fp_denorm_src 0
		.amdhsa_exception_fp_ieee_div_zero 0
		.amdhsa_exception_fp_ieee_overflow 0
		.amdhsa_exception_fp_ieee_underflow 0
		.amdhsa_exception_fp_ieee_inexact 0
		.amdhsa_exception_int_div_zero 0
	.end_amdhsa_kernel
	.section	.text._ZN7rocprim17ROCPRIM_400000_NS6detail17trampoline_kernelINS0_14default_configENS1_35radix_sort_onesweep_config_selectorIalEEZZNS1_29radix_sort_onesweep_iterationIS3_Lb0EPaS7_N6thrust23THRUST_200600_302600_NS10device_ptrIlEESB_jNS0_19identity_decomposerENS1_16block_id_wrapperIjLb1EEEEE10hipError_tT1_PNSt15iterator_traitsISG_E10value_typeET2_T3_PNSH_ISM_E10value_typeET4_T5_PSR_SS_PNS1_23onesweep_lookback_stateEbbT6_jjT7_P12ihipStream_tbENKUlT_T0_SG_SL_E_clIS7_S7_SB_PlEEDaSZ_S10_SG_SL_EUlSZ_E_NS1_11comp_targetILNS1_3genE6ELNS1_11target_archE950ELNS1_3gpuE13ELNS1_3repE0EEENS1_47radix_sort_onesweep_sort_config_static_selectorELNS0_4arch9wavefront6targetE1EEEvSG_,"axG",@progbits,_ZN7rocprim17ROCPRIM_400000_NS6detail17trampoline_kernelINS0_14default_configENS1_35radix_sort_onesweep_config_selectorIalEEZZNS1_29radix_sort_onesweep_iterationIS3_Lb0EPaS7_N6thrust23THRUST_200600_302600_NS10device_ptrIlEESB_jNS0_19identity_decomposerENS1_16block_id_wrapperIjLb1EEEEE10hipError_tT1_PNSt15iterator_traitsISG_E10value_typeET2_T3_PNSH_ISM_E10value_typeET4_T5_PSR_SS_PNS1_23onesweep_lookback_stateEbbT6_jjT7_P12ihipStream_tbENKUlT_T0_SG_SL_E_clIS7_S7_SB_PlEEDaSZ_S10_SG_SL_EUlSZ_E_NS1_11comp_targetILNS1_3genE6ELNS1_11target_archE950ELNS1_3gpuE13ELNS1_3repE0EEENS1_47radix_sort_onesweep_sort_config_static_selectorELNS0_4arch9wavefront6targetE1EEEvSG_,comdat
.Lfunc_end610:
	.size	_ZN7rocprim17ROCPRIM_400000_NS6detail17trampoline_kernelINS0_14default_configENS1_35radix_sort_onesweep_config_selectorIalEEZZNS1_29radix_sort_onesweep_iterationIS3_Lb0EPaS7_N6thrust23THRUST_200600_302600_NS10device_ptrIlEESB_jNS0_19identity_decomposerENS1_16block_id_wrapperIjLb1EEEEE10hipError_tT1_PNSt15iterator_traitsISG_E10value_typeET2_T3_PNSH_ISM_E10value_typeET4_T5_PSR_SS_PNS1_23onesweep_lookback_stateEbbT6_jjT7_P12ihipStream_tbENKUlT_T0_SG_SL_E_clIS7_S7_SB_PlEEDaSZ_S10_SG_SL_EUlSZ_E_NS1_11comp_targetILNS1_3genE6ELNS1_11target_archE950ELNS1_3gpuE13ELNS1_3repE0EEENS1_47radix_sort_onesweep_sort_config_static_selectorELNS0_4arch9wavefront6targetE1EEEvSG_, .Lfunc_end610-_ZN7rocprim17ROCPRIM_400000_NS6detail17trampoline_kernelINS0_14default_configENS1_35radix_sort_onesweep_config_selectorIalEEZZNS1_29radix_sort_onesweep_iterationIS3_Lb0EPaS7_N6thrust23THRUST_200600_302600_NS10device_ptrIlEESB_jNS0_19identity_decomposerENS1_16block_id_wrapperIjLb1EEEEE10hipError_tT1_PNSt15iterator_traitsISG_E10value_typeET2_T3_PNSH_ISM_E10value_typeET4_T5_PSR_SS_PNS1_23onesweep_lookback_stateEbbT6_jjT7_P12ihipStream_tbENKUlT_T0_SG_SL_E_clIS7_S7_SB_PlEEDaSZ_S10_SG_SL_EUlSZ_E_NS1_11comp_targetILNS1_3genE6ELNS1_11target_archE950ELNS1_3gpuE13ELNS1_3repE0EEENS1_47radix_sort_onesweep_sort_config_static_selectorELNS0_4arch9wavefront6targetE1EEEvSG_
                                        ; -- End function
	.section	.AMDGPU.csdata,"",@progbits
; Kernel info:
; codeLenInByte = 0
; NumSgprs: 4
; NumVgprs: 0
; NumAgprs: 0
; TotalNumVgprs: 0
; ScratchSize: 0
; MemoryBound: 0
; FloatMode: 240
; IeeeMode: 1
; LDSByteSize: 0 bytes/workgroup (compile time only)
; SGPRBlocks: 0
; VGPRBlocks: 0
; NumSGPRsForWavesPerEU: 4
; NumVGPRsForWavesPerEU: 1
; AccumOffset: 4
; Occupancy: 8
; WaveLimiterHint : 0
; COMPUTE_PGM_RSRC2:SCRATCH_EN: 0
; COMPUTE_PGM_RSRC2:USER_SGPR: 6
; COMPUTE_PGM_RSRC2:TRAP_HANDLER: 0
; COMPUTE_PGM_RSRC2:TGID_X_EN: 1
; COMPUTE_PGM_RSRC2:TGID_Y_EN: 0
; COMPUTE_PGM_RSRC2:TGID_Z_EN: 0
; COMPUTE_PGM_RSRC2:TIDIG_COMP_CNT: 0
; COMPUTE_PGM_RSRC3_GFX90A:ACCUM_OFFSET: 0
; COMPUTE_PGM_RSRC3_GFX90A:TG_SPLIT: 0
	.section	.text._ZN7rocprim17ROCPRIM_400000_NS6detail17trampoline_kernelINS0_14default_configENS1_35radix_sort_onesweep_config_selectorIalEEZZNS1_29radix_sort_onesweep_iterationIS3_Lb0EPaS7_N6thrust23THRUST_200600_302600_NS10device_ptrIlEESB_jNS0_19identity_decomposerENS1_16block_id_wrapperIjLb1EEEEE10hipError_tT1_PNSt15iterator_traitsISG_E10value_typeET2_T3_PNSH_ISM_E10value_typeET4_T5_PSR_SS_PNS1_23onesweep_lookback_stateEbbT6_jjT7_P12ihipStream_tbENKUlT_T0_SG_SL_E_clIS7_S7_SB_PlEEDaSZ_S10_SG_SL_EUlSZ_E_NS1_11comp_targetILNS1_3genE5ELNS1_11target_archE942ELNS1_3gpuE9ELNS1_3repE0EEENS1_47radix_sort_onesweep_sort_config_static_selectorELNS0_4arch9wavefront6targetE1EEEvSG_,"axG",@progbits,_ZN7rocprim17ROCPRIM_400000_NS6detail17trampoline_kernelINS0_14default_configENS1_35radix_sort_onesweep_config_selectorIalEEZZNS1_29radix_sort_onesweep_iterationIS3_Lb0EPaS7_N6thrust23THRUST_200600_302600_NS10device_ptrIlEESB_jNS0_19identity_decomposerENS1_16block_id_wrapperIjLb1EEEEE10hipError_tT1_PNSt15iterator_traitsISG_E10value_typeET2_T3_PNSH_ISM_E10value_typeET4_T5_PSR_SS_PNS1_23onesweep_lookback_stateEbbT6_jjT7_P12ihipStream_tbENKUlT_T0_SG_SL_E_clIS7_S7_SB_PlEEDaSZ_S10_SG_SL_EUlSZ_E_NS1_11comp_targetILNS1_3genE5ELNS1_11target_archE942ELNS1_3gpuE9ELNS1_3repE0EEENS1_47radix_sort_onesweep_sort_config_static_selectorELNS0_4arch9wavefront6targetE1EEEvSG_,comdat
	.protected	_ZN7rocprim17ROCPRIM_400000_NS6detail17trampoline_kernelINS0_14default_configENS1_35radix_sort_onesweep_config_selectorIalEEZZNS1_29radix_sort_onesweep_iterationIS3_Lb0EPaS7_N6thrust23THRUST_200600_302600_NS10device_ptrIlEESB_jNS0_19identity_decomposerENS1_16block_id_wrapperIjLb1EEEEE10hipError_tT1_PNSt15iterator_traitsISG_E10value_typeET2_T3_PNSH_ISM_E10value_typeET4_T5_PSR_SS_PNS1_23onesweep_lookback_stateEbbT6_jjT7_P12ihipStream_tbENKUlT_T0_SG_SL_E_clIS7_S7_SB_PlEEDaSZ_S10_SG_SL_EUlSZ_E_NS1_11comp_targetILNS1_3genE5ELNS1_11target_archE942ELNS1_3gpuE9ELNS1_3repE0EEENS1_47radix_sort_onesweep_sort_config_static_selectorELNS0_4arch9wavefront6targetE1EEEvSG_ ; -- Begin function _ZN7rocprim17ROCPRIM_400000_NS6detail17trampoline_kernelINS0_14default_configENS1_35radix_sort_onesweep_config_selectorIalEEZZNS1_29radix_sort_onesweep_iterationIS3_Lb0EPaS7_N6thrust23THRUST_200600_302600_NS10device_ptrIlEESB_jNS0_19identity_decomposerENS1_16block_id_wrapperIjLb1EEEEE10hipError_tT1_PNSt15iterator_traitsISG_E10value_typeET2_T3_PNSH_ISM_E10value_typeET4_T5_PSR_SS_PNS1_23onesweep_lookback_stateEbbT6_jjT7_P12ihipStream_tbENKUlT_T0_SG_SL_E_clIS7_S7_SB_PlEEDaSZ_S10_SG_SL_EUlSZ_E_NS1_11comp_targetILNS1_3genE5ELNS1_11target_archE942ELNS1_3gpuE9ELNS1_3repE0EEENS1_47radix_sort_onesweep_sort_config_static_selectorELNS0_4arch9wavefront6targetE1EEEvSG_
	.globl	_ZN7rocprim17ROCPRIM_400000_NS6detail17trampoline_kernelINS0_14default_configENS1_35radix_sort_onesweep_config_selectorIalEEZZNS1_29radix_sort_onesweep_iterationIS3_Lb0EPaS7_N6thrust23THRUST_200600_302600_NS10device_ptrIlEESB_jNS0_19identity_decomposerENS1_16block_id_wrapperIjLb1EEEEE10hipError_tT1_PNSt15iterator_traitsISG_E10value_typeET2_T3_PNSH_ISM_E10value_typeET4_T5_PSR_SS_PNS1_23onesweep_lookback_stateEbbT6_jjT7_P12ihipStream_tbENKUlT_T0_SG_SL_E_clIS7_S7_SB_PlEEDaSZ_S10_SG_SL_EUlSZ_E_NS1_11comp_targetILNS1_3genE5ELNS1_11target_archE942ELNS1_3gpuE9ELNS1_3repE0EEENS1_47radix_sort_onesweep_sort_config_static_selectorELNS0_4arch9wavefront6targetE1EEEvSG_
	.p2align	8
	.type	_ZN7rocprim17ROCPRIM_400000_NS6detail17trampoline_kernelINS0_14default_configENS1_35radix_sort_onesweep_config_selectorIalEEZZNS1_29radix_sort_onesweep_iterationIS3_Lb0EPaS7_N6thrust23THRUST_200600_302600_NS10device_ptrIlEESB_jNS0_19identity_decomposerENS1_16block_id_wrapperIjLb1EEEEE10hipError_tT1_PNSt15iterator_traitsISG_E10value_typeET2_T3_PNSH_ISM_E10value_typeET4_T5_PSR_SS_PNS1_23onesweep_lookback_stateEbbT6_jjT7_P12ihipStream_tbENKUlT_T0_SG_SL_E_clIS7_S7_SB_PlEEDaSZ_S10_SG_SL_EUlSZ_E_NS1_11comp_targetILNS1_3genE5ELNS1_11target_archE942ELNS1_3gpuE9ELNS1_3repE0EEENS1_47radix_sort_onesweep_sort_config_static_selectorELNS0_4arch9wavefront6targetE1EEEvSG_,@function
_ZN7rocprim17ROCPRIM_400000_NS6detail17trampoline_kernelINS0_14default_configENS1_35radix_sort_onesweep_config_selectorIalEEZZNS1_29radix_sort_onesweep_iterationIS3_Lb0EPaS7_N6thrust23THRUST_200600_302600_NS10device_ptrIlEESB_jNS0_19identity_decomposerENS1_16block_id_wrapperIjLb1EEEEE10hipError_tT1_PNSt15iterator_traitsISG_E10value_typeET2_T3_PNSH_ISM_E10value_typeET4_T5_PSR_SS_PNS1_23onesweep_lookback_stateEbbT6_jjT7_P12ihipStream_tbENKUlT_T0_SG_SL_E_clIS7_S7_SB_PlEEDaSZ_S10_SG_SL_EUlSZ_E_NS1_11comp_targetILNS1_3genE5ELNS1_11target_archE942ELNS1_3gpuE9ELNS1_3repE0EEENS1_47radix_sort_onesweep_sort_config_static_selectorELNS0_4arch9wavefront6targetE1EEEvSG_: ; @_ZN7rocprim17ROCPRIM_400000_NS6detail17trampoline_kernelINS0_14default_configENS1_35radix_sort_onesweep_config_selectorIalEEZZNS1_29radix_sort_onesweep_iterationIS3_Lb0EPaS7_N6thrust23THRUST_200600_302600_NS10device_ptrIlEESB_jNS0_19identity_decomposerENS1_16block_id_wrapperIjLb1EEEEE10hipError_tT1_PNSt15iterator_traitsISG_E10value_typeET2_T3_PNSH_ISM_E10value_typeET4_T5_PSR_SS_PNS1_23onesweep_lookback_stateEbbT6_jjT7_P12ihipStream_tbENKUlT_T0_SG_SL_E_clIS7_S7_SB_PlEEDaSZ_S10_SG_SL_EUlSZ_E_NS1_11comp_targetILNS1_3genE5ELNS1_11target_archE942ELNS1_3gpuE9ELNS1_3repE0EEENS1_47radix_sort_onesweep_sort_config_static_selectorELNS0_4arch9wavefront6targetE1EEEvSG_
; %bb.0:
	.section	.rodata,"a",@progbits
	.p2align	6, 0x0
	.amdhsa_kernel _ZN7rocprim17ROCPRIM_400000_NS6detail17trampoline_kernelINS0_14default_configENS1_35radix_sort_onesweep_config_selectorIalEEZZNS1_29radix_sort_onesweep_iterationIS3_Lb0EPaS7_N6thrust23THRUST_200600_302600_NS10device_ptrIlEESB_jNS0_19identity_decomposerENS1_16block_id_wrapperIjLb1EEEEE10hipError_tT1_PNSt15iterator_traitsISG_E10value_typeET2_T3_PNSH_ISM_E10value_typeET4_T5_PSR_SS_PNS1_23onesweep_lookback_stateEbbT6_jjT7_P12ihipStream_tbENKUlT_T0_SG_SL_E_clIS7_S7_SB_PlEEDaSZ_S10_SG_SL_EUlSZ_E_NS1_11comp_targetILNS1_3genE5ELNS1_11target_archE942ELNS1_3gpuE9ELNS1_3repE0EEENS1_47radix_sort_onesweep_sort_config_static_selectorELNS0_4arch9wavefront6targetE1EEEvSG_
		.amdhsa_group_segment_fixed_size 0
		.amdhsa_private_segment_fixed_size 0
		.amdhsa_kernarg_size 88
		.amdhsa_user_sgpr_count 6
		.amdhsa_user_sgpr_private_segment_buffer 1
		.amdhsa_user_sgpr_dispatch_ptr 0
		.amdhsa_user_sgpr_queue_ptr 0
		.amdhsa_user_sgpr_kernarg_segment_ptr 1
		.amdhsa_user_sgpr_dispatch_id 0
		.amdhsa_user_sgpr_flat_scratch_init 0
		.amdhsa_user_sgpr_kernarg_preload_length 0
		.amdhsa_user_sgpr_kernarg_preload_offset 0
		.amdhsa_user_sgpr_private_segment_size 0
		.amdhsa_uses_dynamic_stack 0
		.amdhsa_system_sgpr_private_segment_wavefront_offset 0
		.amdhsa_system_sgpr_workgroup_id_x 1
		.amdhsa_system_sgpr_workgroup_id_y 0
		.amdhsa_system_sgpr_workgroup_id_z 0
		.amdhsa_system_sgpr_workgroup_info 0
		.amdhsa_system_vgpr_workitem_id 0
		.amdhsa_next_free_vgpr 1
		.amdhsa_next_free_sgpr 0
		.amdhsa_accum_offset 4
		.amdhsa_reserve_vcc 0
		.amdhsa_reserve_flat_scratch 0
		.amdhsa_float_round_mode_32 0
		.amdhsa_float_round_mode_16_64 0
		.amdhsa_float_denorm_mode_32 3
		.amdhsa_float_denorm_mode_16_64 3
		.amdhsa_dx10_clamp 1
		.amdhsa_ieee_mode 1
		.amdhsa_fp16_overflow 0
		.amdhsa_tg_split 0
		.amdhsa_exception_fp_ieee_invalid_op 0
		.amdhsa_exception_fp_denorm_src 0
		.amdhsa_exception_fp_ieee_div_zero 0
		.amdhsa_exception_fp_ieee_overflow 0
		.amdhsa_exception_fp_ieee_underflow 0
		.amdhsa_exception_fp_ieee_inexact 0
		.amdhsa_exception_int_div_zero 0
	.end_amdhsa_kernel
	.section	.text._ZN7rocprim17ROCPRIM_400000_NS6detail17trampoline_kernelINS0_14default_configENS1_35radix_sort_onesweep_config_selectorIalEEZZNS1_29radix_sort_onesweep_iterationIS3_Lb0EPaS7_N6thrust23THRUST_200600_302600_NS10device_ptrIlEESB_jNS0_19identity_decomposerENS1_16block_id_wrapperIjLb1EEEEE10hipError_tT1_PNSt15iterator_traitsISG_E10value_typeET2_T3_PNSH_ISM_E10value_typeET4_T5_PSR_SS_PNS1_23onesweep_lookback_stateEbbT6_jjT7_P12ihipStream_tbENKUlT_T0_SG_SL_E_clIS7_S7_SB_PlEEDaSZ_S10_SG_SL_EUlSZ_E_NS1_11comp_targetILNS1_3genE5ELNS1_11target_archE942ELNS1_3gpuE9ELNS1_3repE0EEENS1_47radix_sort_onesweep_sort_config_static_selectorELNS0_4arch9wavefront6targetE1EEEvSG_,"axG",@progbits,_ZN7rocprim17ROCPRIM_400000_NS6detail17trampoline_kernelINS0_14default_configENS1_35radix_sort_onesweep_config_selectorIalEEZZNS1_29radix_sort_onesweep_iterationIS3_Lb0EPaS7_N6thrust23THRUST_200600_302600_NS10device_ptrIlEESB_jNS0_19identity_decomposerENS1_16block_id_wrapperIjLb1EEEEE10hipError_tT1_PNSt15iterator_traitsISG_E10value_typeET2_T3_PNSH_ISM_E10value_typeET4_T5_PSR_SS_PNS1_23onesweep_lookback_stateEbbT6_jjT7_P12ihipStream_tbENKUlT_T0_SG_SL_E_clIS7_S7_SB_PlEEDaSZ_S10_SG_SL_EUlSZ_E_NS1_11comp_targetILNS1_3genE5ELNS1_11target_archE942ELNS1_3gpuE9ELNS1_3repE0EEENS1_47radix_sort_onesweep_sort_config_static_selectorELNS0_4arch9wavefront6targetE1EEEvSG_,comdat
.Lfunc_end611:
	.size	_ZN7rocprim17ROCPRIM_400000_NS6detail17trampoline_kernelINS0_14default_configENS1_35radix_sort_onesweep_config_selectorIalEEZZNS1_29radix_sort_onesweep_iterationIS3_Lb0EPaS7_N6thrust23THRUST_200600_302600_NS10device_ptrIlEESB_jNS0_19identity_decomposerENS1_16block_id_wrapperIjLb1EEEEE10hipError_tT1_PNSt15iterator_traitsISG_E10value_typeET2_T3_PNSH_ISM_E10value_typeET4_T5_PSR_SS_PNS1_23onesweep_lookback_stateEbbT6_jjT7_P12ihipStream_tbENKUlT_T0_SG_SL_E_clIS7_S7_SB_PlEEDaSZ_S10_SG_SL_EUlSZ_E_NS1_11comp_targetILNS1_3genE5ELNS1_11target_archE942ELNS1_3gpuE9ELNS1_3repE0EEENS1_47radix_sort_onesweep_sort_config_static_selectorELNS0_4arch9wavefront6targetE1EEEvSG_, .Lfunc_end611-_ZN7rocprim17ROCPRIM_400000_NS6detail17trampoline_kernelINS0_14default_configENS1_35radix_sort_onesweep_config_selectorIalEEZZNS1_29radix_sort_onesweep_iterationIS3_Lb0EPaS7_N6thrust23THRUST_200600_302600_NS10device_ptrIlEESB_jNS0_19identity_decomposerENS1_16block_id_wrapperIjLb1EEEEE10hipError_tT1_PNSt15iterator_traitsISG_E10value_typeET2_T3_PNSH_ISM_E10value_typeET4_T5_PSR_SS_PNS1_23onesweep_lookback_stateEbbT6_jjT7_P12ihipStream_tbENKUlT_T0_SG_SL_E_clIS7_S7_SB_PlEEDaSZ_S10_SG_SL_EUlSZ_E_NS1_11comp_targetILNS1_3genE5ELNS1_11target_archE942ELNS1_3gpuE9ELNS1_3repE0EEENS1_47radix_sort_onesweep_sort_config_static_selectorELNS0_4arch9wavefront6targetE1EEEvSG_
                                        ; -- End function
	.section	.AMDGPU.csdata,"",@progbits
; Kernel info:
; codeLenInByte = 0
; NumSgprs: 4
; NumVgprs: 0
; NumAgprs: 0
; TotalNumVgprs: 0
; ScratchSize: 0
; MemoryBound: 0
; FloatMode: 240
; IeeeMode: 1
; LDSByteSize: 0 bytes/workgroup (compile time only)
; SGPRBlocks: 0
; VGPRBlocks: 0
; NumSGPRsForWavesPerEU: 4
; NumVGPRsForWavesPerEU: 1
; AccumOffset: 4
; Occupancy: 8
; WaveLimiterHint : 0
; COMPUTE_PGM_RSRC2:SCRATCH_EN: 0
; COMPUTE_PGM_RSRC2:USER_SGPR: 6
; COMPUTE_PGM_RSRC2:TRAP_HANDLER: 0
; COMPUTE_PGM_RSRC2:TGID_X_EN: 1
; COMPUTE_PGM_RSRC2:TGID_Y_EN: 0
; COMPUTE_PGM_RSRC2:TGID_Z_EN: 0
; COMPUTE_PGM_RSRC2:TIDIG_COMP_CNT: 0
; COMPUTE_PGM_RSRC3_GFX90A:ACCUM_OFFSET: 0
; COMPUTE_PGM_RSRC3_GFX90A:TG_SPLIT: 0
	.section	.text._ZN7rocprim17ROCPRIM_400000_NS6detail17trampoline_kernelINS0_14default_configENS1_35radix_sort_onesweep_config_selectorIalEEZZNS1_29radix_sort_onesweep_iterationIS3_Lb0EPaS7_N6thrust23THRUST_200600_302600_NS10device_ptrIlEESB_jNS0_19identity_decomposerENS1_16block_id_wrapperIjLb1EEEEE10hipError_tT1_PNSt15iterator_traitsISG_E10value_typeET2_T3_PNSH_ISM_E10value_typeET4_T5_PSR_SS_PNS1_23onesweep_lookback_stateEbbT6_jjT7_P12ihipStream_tbENKUlT_T0_SG_SL_E_clIS7_S7_SB_PlEEDaSZ_S10_SG_SL_EUlSZ_E_NS1_11comp_targetILNS1_3genE2ELNS1_11target_archE906ELNS1_3gpuE6ELNS1_3repE0EEENS1_47radix_sort_onesweep_sort_config_static_selectorELNS0_4arch9wavefront6targetE1EEEvSG_,"axG",@progbits,_ZN7rocprim17ROCPRIM_400000_NS6detail17trampoline_kernelINS0_14default_configENS1_35radix_sort_onesweep_config_selectorIalEEZZNS1_29radix_sort_onesweep_iterationIS3_Lb0EPaS7_N6thrust23THRUST_200600_302600_NS10device_ptrIlEESB_jNS0_19identity_decomposerENS1_16block_id_wrapperIjLb1EEEEE10hipError_tT1_PNSt15iterator_traitsISG_E10value_typeET2_T3_PNSH_ISM_E10value_typeET4_T5_PSR_SS_PNS1_23onesweep_lookback_stateEbbT6_jjT7_P12ihipStream_tbENKUlT_T0_SG_SL_E_clIS7_S7_SB_PlEEDaSZ_S10_SG_SL_EUlSZ_E_NS1_11comp_targetILNS1_3genE2ELNS1_11target_archE906ELNS1_3gpuE6ELNS1_3repE0EEENS1_47radix_sort_onesweep_sort_config_static_selectorELNS0_4arch9wavefront6targetE1EEEvSG_,comdat
	.protected	_ZN7rocprim17ROCPRIM_400000_NS6detail17trampoline_kernelINS0_14default_configENS1_35radix_sort_onesweep_config_selectorIalEEZZNS1_29radix_sort_onesweep_iterationIS3_Lb0EPaS7_N6thrust23THRUST_200600_302600_NS10device_ptrIlEESB_jNS0_19identity_decomposerENS1_16block_id_wrapperIjLb1EEEEE10hipError_tT1_PNSt15iterator_traitsISG_E10value_typeET2_T3_PNSH_ISM_E10value_typeET4_T5_PSR_SS_PNS1_23onesweep_lookback_stateEbbT6_jjT7_P12ihipStream_tbENKUlT_T0_SG_SL_E_clIS7_S7_SB_PlEEDaSZ_S10_SG_SL_EUlSZ_E_NS1_11comp_targetILNS1_3genE2ELNS1_11target_archE906ELNS1_3gpuE6ELNS1_3repE0EEENS1_47radix_sort_onesweep_sort_config_static_selectorELNS0_4arch9wavefront6targetE1EEEvSG_ ; -- Begin function _ZN7rocprim17ROCPRIM_400000_NS6detail17trampoline_kernelINS0_14default_configENS1_35radix_sort_onesweep_config_selectorIalEEZZNS1_29radix_sort_onesweep_iterationIS3_Lb0EPaS7_N6thrust23THRUST_200600_302600_NS10device_ptrIlEESB_jNS0_19identity_decomposerENS1_16block_id_wrapperIjLb1EEEEE10hipError_tT1_PNSt15iterator_traitsISG_E10value_typeET2_T3_PNSH_ISM_E10value_typeET4_T5_PSR_SS_PNS1_23onesweep_lookback_stateEbbT6_jjT7_P12ihipStream_tbENKUlT_T0_SG_SL_E_clIS7_S7_SB_PlEEDaSZ_S10_SG_SL_EUlSZ_E_NS1_11comp_targetILNS1_3genE2ELNS1_11target_archE906ELNS1_3gpuE6ELNS1_3repE0EEENS1_47radix_sort_onesweep_sort_config_static_selectorELNS0_4arch9wavefront6targetE1EEEvSG_
	.globl	_ZN7rocprim17ROCPRIM_400000_NS6detail17trampoline_kernelINS0_14default_configENS1_35radix_sort_onesweep_config_selectorIalEEZZNS1_29radix_sort_onesweep_iterationIS3_Lb0EPaS7_N6thrust23THRUST_200600_302600_NS10device_ptrIlEESB_jNS0_19identity_decomposerENS1_16block_id_wrapperIjLb1EEEEE10hipError_tT1_PNSt15iterator_traitsISG_E10value_typeET2_T3_PNSH_ISM_E10value_typeET4_T5_PSR_SS_PNS1_23onesweep_lookback_stateEbbT6_jjT7_P12ihipStream_tbENKUlT_T0_SG_SL_E_clIS7_S7_SB_PlEEDaSZ_S10_SG_SL_EUlSZ_E_NS1_11comp_targetILNS1_3genE2ELNS1_11target_archE906ELNS1_3gpuE6ELNS1_3repE0EEENS1_47radix_sort_onesweep_sort_config_static_selectorELNS0_4arch9wavefront6targetE1EEEvSG_
	.p2align	8
	.type	_ZN7rocprim17ROCPRIM_400000_NS6detail17trampoline_kernelINS0_14default_configENS1_35radix_sort_onesweep_config_selectorIalEEZZNS1_29radix_sort_onesweep_iterationIS3_Lb0EPaS7_N6thrust23THRUST_200600_302600_NS10device_ptrIlEESB_jNS0_19identity_decomposerENS1_16block_id_wrapperIjLb1EEEEE10hipError_tT1_PNSt15iterator_traitsISG_E10value_typeET2_T3_PNSH_ISM_E10value_typeET4_T5_PSR_SS_PNS1_23onesweep_lookback_stateEbbT6_jjT7_P12ihipStream_tbENKUlT_T0_SG_SL_E_clIS7_S7_SB_PlEEDaSZ_S10_SG_SL_EUlSZ_E_NS1_11comp_targetILNS1_3genE2ELNS1_11target_archE906ELNS1_3gpuE6ELNS1_3repE0EEENS1_47radix_sort_onesweep_sort_config_static_selectorELNS0_4arch9wavefront6targetE1EEEvSG_,@function
_ZN7rocprim17ROCPRIM_400000_NS6detail17trampoline_kernelINS0_14default_configENS1_35radix_sort_onesweep_config_selectorIalEEZZNS1_29radix_sort_onesweep_iterationIS3_Lb0EPaS7_N6thrust23THRUST_200600_302600_NS10device_ptrIlEESB_jNS0_19identity_decomposerENS1_16block_id_wrapperIjLb1EEEEE10hipError_tT1_PNSt15iterator_traitsISG_E10value_typeET2_T3_PNSH_ISM_E10value_typeET4_T5_PSR_SS_PNS1_23onesweep_lookback_stateEbbT6_jjT7_P12ihipStream_tbENKUlT_T0_SG_SL_E_clIS7_S7_SB_PlEEDaSZ_S10_SG_SL_EUlSZ_E_NS1_11comp_targetILNS1_3genE2ELNS1_11target_archE906ELNS1_3gpuE6ELNS1_3repE0EEENS1_47radix_sort_onesweep_sort_config_static_selectorELNS0_4arch9wavefront6targetE1EEEvSG_: ; @_ZN7rocprim17ROCPRIM_400000_NS6detail17trampoline_kernelINS0_14default_configENS1_35radix_sort_onesweep_config_selectorIalEEZZNS1_29radix_sort_onesweep_iterationIS3_Lb0EPaS7_N6thrust23THRUST_200600_302600_NS10device_ptrIlEESB_jNS0_19identity_decomposerENS1_16block_id_wrapperIjLb1EEEEE10hipError_tT1_PNSt15iterator_traitsISG_E10value_typeET2_T3_PNSH_ISM_E10value_typeET4_T5_PSR_SS_PNS1_23onesweep_lookback_stateEbbT6_jjT7_P12ihipStream_tbENKUlT_T0_SG_SL_E_clIS7_S7_SB_PlEEDaSZ_S10_SG_SL_EUlSZ_E_NS1_11comp_targetILNS1_3genE2ELNS1_11target_archE906ELNS1_3gpuE6ELNS1_3repE0EEENS1_47radix_sort_onesweep_sort_config_static_selectorELNS0_4arch9wavefront6targetE1EEEvSG_
; %bb.0:
	.section	.rodata,"a",@progbits
	.p2align	6, 0x0
	.amdhsa_kernel _ZN7rocprim17ROCPRIM_400000_NS6detail17trampoline_kernelINS0_14default_configENS1_35radix_sort_onesweep_config_selectorIalEEZZNS1_29radix_sort_onesweep_iterationIS3_Lb0EPaS7_N6thrust23THRUST_200600_302600_NS10device_ptrIlEESB_jNS0_19identity_decomposerENS1_16block_id_wrapperIjLb1EEEEE10hipError_tT1_PNSt15iterator_traitsISG_E10value_typeET2_T3_PNSH_ISM_E10value_typeET4_T5_PSR_SS_PNS1_23onesweep_lookback_stateEbbT6_jjT7_P12ihipStream_tbENKUlT_T0_SG_SL_E_clIS7_S7_SB_PlEEDaSZ_S10_SG_SL_EUlSZ_E_NS1_11comp_targetILNS1_3genE2ELNS1_11target_archE906ELNS1_3gpuE6ELNS1_3repE0EEENS1_47radix_sort_onesweep_sort_config_static_selectorELNS0_4arch9wavefront6targetE1EEEvSG_
		.amdhsa_group_segment_fixed_size 0
		.amdhsa_private_segment_fixed_size 0
		.amdhsa_kernarg_size 88
		.amdhsa_user_sgpr_count 6
		.amdhsa_user_sgpr_private_segment_buffer 1
		.amdhsa_user_sgpr_dispatch_ptr 0
		.amdhsa_user_sgpr_queue_ptr 0
		.amdhsa_user_sgpr_kernarg_segment_ptr 1
		.amdhsa_user_sgpr_dispatch_id 0
		.amdhsa_user_sgpr_flat_scratch_init 0
		.amdhsa_user_sgpr_kernarg_preload_length 0
		.amdhsa_user_sgpr_kernarg_preload_offset 0
		.amdhsa_user_sgpr_private_segment_size 0
		.amdhsa_uses_dynamic_stack 0
		.amdhsa_system_sgpr_private_segment_wavefront_offset 0
		.amdhsa_system_sgpr_workgroup_id_x 1
		.amdhsa_system_sgpr_workgroup_id_y 0
		.amdhsa_system_sgpr_workgroup_id_z 0
		.amdhsa_system_sgpr_workgroup_info 0
		.amdhsa_system_vgpr_workitem_id 0
		.amdhsa_next_free_vgpr 1
		.amdhsa_next_free_sgpr 0
		.amdhsa_accum_offset 4
		.amdhsa_reserve_vcc 0
		.amdhsa_reserve_flat_scratch 0
		.amdhsa_float_round_mode_32 0
		.amdhsa_float_round_mode_16_64 0
		.amdhsa_float_denorm_mode_32 3
		.amdhsa_float_denorm_mode_16_64 3
		.amdhsa_dx10_clamp 1
		.amdhsa_ieee_mode 1
		.amdhsa_fp16_overflow 0
		.amdhsa_tg_split 0
		.amdhsa_exception_fp_ieee_invalid_op 0
		.amdhsa_exception_fp_denorm_src 0
		.amdhsa_exception_fp_ieee_div_zero 0
		.amdhsa_exception_fp_ieee_overflow 0
		.amdhsa_exception_fp_ieee_underflow 0
		.amdhsa_exception_fp_ieee_inexact 0
		.amdhsa_exception_int_div_zero 0
	.end_amdhsa_kernel
	.section	.text._ZN7rocprim17ROCPRIM_400000_NS6detail17trampoline_kernelINS0_14default_configENS1_35radix_sort_onesweep_config_selectorIalEEZZNS1_29radix_sort_onesweep_iterationIS3_Lb0EPaS7_N6thrust23THRUST_200600_302600_NS10device_ptrIlEESB_jNS0_19identity_decomposerENS1_16block_id_wrapperIjLb1EEEEE10hipError_tT1_PNSt15iterator_traitsISG_E10value_typeET2_T3_PNSH_ISM_E10value_typeET4_T5_PSR_SS_PNS1_23onesweep_lookback_stateEbbT6_jjT7_P12ihipStream_tbENKUlT_T0_SG_SL_E_clIS7_S7_SB_PlEEDaSZ_S10_SG_SL_EUlSZ_E_NS1_11comp_targetILNS1_3genE2ELNS1_11target_archE906ELNS1_3gpuE6ELNS1_3repE0EEENS1_47radix_sort_onesweep_sort_config_static_selectorELNS0_4arch9wavefront6targetE1EEEvSG_,"axG",@progbits,_ZN7rocprim17ROCPRIM_400000_NS6detail17trampoline_kernelINS0_14default_configENS1_35radix_sort_onesweep_config_selectorIalEEZZNS1_29radix_sort_onesweep_iterationIS3_Lb0EPaS7_N6thrust23THRUST_200600_302600_NS10device_ptrIlEESB_jNS0_19identity_decomposerENS1_16block_id_wrapperIjLb1EEEEE10hipError_tT1_PNSt15iterator_traitsISG_E10value_typeET2_T3_PNSH_ISM_E10value_typeET4_T5_PSR_SS_PNS1_23onesweep_lookback_stateEbbT6_jjT7_P12ihipStream_tbENKUlT_T0_SG_SL_E_clIS7_S7_SB_PlEEDaSZ_S10_SG_SL_EUlSZ_E_NS1_11comp_targetILNS1_3genE2ELNS1_11target_archE906ELNS1_3gpuE6ELNS1_3repE0EEENS1_47radix_sort_onesweep_sort_config_static_selectorELNS0_4arch9wavefront6targetE1EEEvSG_,comdat
.Lfunc_end612:
	.size	_ZN7rocprim17ROCPRIM_400000_NS6detail17trampoline_kernelINS0_14default_configENS1_35radix_sort_onesweep_config_selectorIalEEZZNS1_29radix_sort_onesweep_iterationIS3_Lb0EPaS7_N6thrust23THRUST_200600_302600_NS10device_ptrIlEESB_jNS0_19identity_decomposerENS1_16block_id_wrapperIjLb1EEEEE10hipError_tT1_PNSt15iterator_traitsISG_E10value_typeET2_T3_PNSH_ISM_E10value_typeET4_T5_PSR_SS_PNS1_23onesweep_lookback_stateEbbT6_jjT7_P12ihipStream_tbENKUlT_T0_SG_SL_E_clIS7_S7_SB_PlEEDaSZ_S10_SG_SL_EUlSZ_E_NS1_11comp_targetILNS1_3genE2ELNS1_11target_archE906ELNS1_3gpuE6ELNS1_3repE0EEENS1_47radix_sort_onesweep_sort_config_static_selectorELNS0_4arch9wavefront6targetE1EEEvSG_, .Lfunc_end612-_ZN7rocprim17ROCPRIM_400000_NS6detail17trampoline_kernelINS0_14default_configENS1_35radix_sort_onesweep_config_selectorIalEEZZNS1_29radix_sort_onesweep_iterationIS3_Lb0EPaS7_N6thrust23THRUST_200600_302600_NS10device_ptrIlEESB_jNS0_19identity_decomposerENS1_16block_id_wrapperIjLb1EEEEE10hipError_tT1_PNSt15iterator_traitsISG_E10value_typeET2_T3_PNSH_ISM_E10value_typeET4_T5_PSR_SS_PNS1_23onesweep_lookback_stateEbbT6_jjT7_P12ihipStream_tbENKUlT_T0_SG_SL_E_clIS7_S7_SB_PlEEDaSZ_S10_SG_SL_EUlSZ_E_NS1_11comp_targetILNS1_3genE2ELNS1_11target_archE906ELNS1_3gpuE6ELNS1_3repE0EEENS1_47radix_sort_onesweep_sort_config_static_selectorELNS0_4arch9wavefront6targetE1EEEvSG_
                                        ; -- End function
	.section	.AMDGPU.csdata,"",@progbits
; Kernel info:
; codeLenInByte = 0
; NumSgprs: 4
; NumVgprs: 0
; NumAgprs: 0
; TotalNumVgprs: 0
; ScratchSize: 0
; MemoryBound: 0
; FloatMode: 240
; IeeeMode: 1
; LDSByteSize: 0 bytes/workgroup (compile time only)
; SGPRBlocks: 0
; VGPRBlocks: 0
; NumSGPRsForWavesPerEU: 4
; NumVGPRsForWavesPerEU: 1
; AccumOffset: 4
; Occupancy: 8
; WaveLimiterHint : 0
; COMPUTE_PGM_RSRC2:SCRATCH_EN: 0
; COMPUTE_PGM_RSRC2:USER_SGPR: 6
; COMPUTE_PGM_RSRC2:TRAP_HANDLER: 0
; COMPUTE_PGM_RSRC2:TGID_X_EN: 1
; COMPUTE_PGM_RSRC2:TGID_Y_EN: 0
; COMPUTE_PGM_RSRC2:TGID_Z_EN: 0
; COMPUTE_PGM_RSRC2:TIDIG_COMP_CNT: 0
; COMPUTE_PGM_RSRC3_GFX90A:ACCUM_OFFSET: 0
; COMPUTE_PGM_RSRC3_GFX90A:TG_SPLIT: 0
	.section	.text._ZN7rocprim17ROCPRIM_400000_NS6detail17trampoline_kernelINS0_14default_configENS1_35radix_sort_onesweep_config_selectorIalEEZZNS1_29radix_sort_onesweep_iterationIS3_Lb0EPaS7_N6thrust23THRUST_200600_302600_NS10device_ptrIlEESB_jNS0_19identity_decomposerENS1_16block_id_wrapperIjLb1EEEEE10hipError_tT1_PNSt15iterator_traitsISG_E10value_typeET2_T3_PNSH_ISM_E10value_typeET4_T5_PSR_SS_PNS1_23onesweep_lookback_stateEbbT6_jjT7_P12ihipStream_tbENKUlT_T0_SG_SL_E_clIS7_S7_SB_PlEEDaSZ_S10_SG_SL_EUlSZ_E_NS1_11comp_targetILNS1_3genE4ELNS1_11target_archE910ELNS1_3gpuE8ELNS1_3repE0EEENS1_47radix_sort_onesweep_sort_config_static_selectorELNS0_4arch9wavefront6targetE1EEEvSG_,"axG",@progbits,_ZN7rocprim17ROCPRIM_400000_NS6detail17trampoline_kernelINS0_14default_configENS1_35radix_sort_onesweep_config_selectorIalEEZZNS1_29radix_sort_onesweep_iterationIS3_Lb0EPaS7_N6thrust23THRUST_200600_302600_NS10device_ptrIlEESB_jNS0_19identity_decomposerENS1_16block_id_wrapperIjLb1EEEEE10hipError_tT1_PNSt15iterator_traitsISG_E10value_typeET2_T3_PNSH_ISM_E10value_typeET4_T5_PSR_SS_PNS1_23onesweep_lookback_stateEbbT6_jjT7_P12ihipStream_tbENKUlT_T0_SG_SL_E_clIS7_S7_SB_PlEEDaSZ_S10_SG_SL_EUlSZ_E_NS1_11comp_targetILNS1_3genE4ELNS1_11target_archE910ELNS1_3gpuE8ELNS1_3repE0EEENS1_47radix_sort_onesweep_sort_config_static_selectorELNS0_4arch9wavefront6targetE1EEEvSG_,comdat
	.protected	_ZN7rocprim17ROCPRIM_400000_NS6detail17trampoline_kernelINS0_14default_configENS1_35radix_sort_onesweep_config_selectorIalEEZZNS1_29radix_sort_onesweep_iterationIS3_Lb0EPaS7_N6thrust23THRUST_200600_302600_NS10device_ptrIlEESB_jNS0_19identity_decomposerENS1_16block_id_wrapperIjLb1EEEEE10hipError_tT1_PNSt15iterator_traitsISG_E10value_typeET2_T3_PNSH_ISM_E10value_typeET4_T5_PSR_SS_PNS1_23onesweep_lookback_stateEbbT6_jjT7_P12ihipStream_tbENKUlT_T0_SG_SL_E_clIS7_S7_SB_PlEEDaSZ_S10_SG_SL_EUlSZ_E_NS1_11comp_targetILNS1_3genE4ELNS1_11target_archE910ELNS1_3gpuE8ELNS1_3repE0EEENS1_47radix_sort_onesweep_sort_config_static_selectorELNS0_4arch9wavefront6targetE1EEEvSG_ ; -- Begin function _ZN7rocprim17ROCPRIM_400000_NS6detail17trampoline_kernelINS0_14default_configENS1_35radix_sort_onesweep_config_selectorIalEEZZNS1_29radix_sort_onesweep_iterationIS3_Lb0EPaS7_N6thrust23THRUST_200600_302600_NS10device_ptrIlEESB_jNS0_19identity_decomposerENS1_16block_id_wrapperIjLb1EEEEE10hipError_tT1_PNSt15iterator_traitsISG_E10value_typeET2_T3_PNSH_ISM_E10value_typeET4_T5_PSR_SS_PNS1_23onesweep_lookback_stateEbbT6_jjT7_P12ihipStream_tbENKUlT_T0_SG_SL_E_clIS7_S7_SB_PlEEDaSZ_S10_SG_SL_EUlSZ_E_NS1_11comp_targetILNS1_3genE4ELNS1_11target_archE910ELNS1_3gpuE8ELNS1_3repE0EEENS1_47radix_sort_onesweep_sort_config_static_selectorELNS0_4arch9wavefront6targetE1EEEvSG_
	.globl	_ZN7rocprim17ROCPRIM_400000_NS6detail17trampoline_kernelINS0_14default_configENS1_35radix_sort_onesweep_config_selectorIalEEZZNS1_29radix_sort_onesweep_iterationIS3_Lb0EPaS7_N6thrust23THRUST_200600_302600_NS10device_ptrIlEESB_jNS0_19identity_decomposerENS1_16block_id_wrapperIjLb1EEEEE10hipError_tT1_PNSt15iterator_traitsISG_E10value_typeET2_T3_PNSH_ISM_E10value_typeET4_T5_PSR_SS_PNS1_23onesweep_lookback_stateEbbT6_jjT7_P12ihipStream_tbENKUlT_T0_SG_SL_E_clIS7_S7_SB_PlEEDaSZ_S10_SG_SL_EUlSZ_E_NS1_11comp_targetILNS1_3genE4ELNS1_11target_archE910ELNS1_3gpuE8ELNS1_3repE0EEENS1_47radix_sort_onesweep_sort_config_static_selectorELNS0_4arch9wavefront6targetE1EEEvSG_
	.p2align	8
	.type	_ZN7rocprim17ROCPRIM_400000_NS6detail17trampoline_kernelINS0_14default_configENS1_35radix_sort_onesweep_config_selectorIalEEZZNS1_29radix_sort_onesweep_iterationIS3_Lb0EPaS7_N6thrust23THRUST_200600_302600_NS10device_ptrIlEESB_jNS0_19identity_decomposerENS1_16block_id_wrapperIjLb1EEEEE10hipError_tT1_PNSt15iterator_traitsISG_E10value_typeET2_T3_PNSH_ISM_E10value_typeET4_T5_PSR_SS_PNS1_23onesweep_lookback_stateEbbT6_jjT7_P12ihipStream_tbENKUlT_T0_SG_SL_E_clIS7_S7_SB_PlEEDaSZ_S10_SG_SL_EUlSZ_E_NS1_11comp_targetILNS1_3genE4ELNS1_11target_archE910ELNS1_3gpuE8ELNS1_3repE0EEENS1_47radix_sort_onesweep_sort_config_static_selectorELNS0_4arch9wavefront6targetE1EEEvSG_,@function
_ZN7rocprim17ROCPRIM_400000_NS6detail17trampoline_kernelINS0_14default_configENS1_35radix_sort_onesweep_config_selectorIalEEZZNS1_29radix_sort_onesweep_iterationIS3_Lb0EPaS7_N6thrust23THRUST_200600_302600_NS10device_ptrIlEESB_jNS0_19identity_decomposerENS1_16block_id_wrapperIjLb1EEEEE10hipError_tT1_PNSt15iterator_traitsISG_E10value_typeET2_T3_PNSH_ISM_E10value_typeET4_T5_PSR_SS_PNS1_23onesweep_lookback_stateEbbT6_jjT7_P12ihipStream_tbENKUlT_T0_SG_SL_E_clIS7_S7_SB_PlEEDaSZ_S10_SG_SL_EUlSZ_E_NS1_11comp_targetILNS1_3genE4ELNS1_11target_archE910ELNS1_3gpuE8ELNS1_3repE0EEENS1_47radix_sort_onesweep_sort_config_static_selectorELNS0_4arch9wavefront6targetE1EEEvSG_: ; @_ZN7rocprim17ROCPRIM_400000_NS6detail17trampoline_kernelINS0_14default_configENS1_35radix_sort_onesweep_config_selectorIalEEZZNS1_29radix_sort_onesweep_iterationIS3_Lb0EPaS7_N6thrust23THRUST_200600_302600_NS10device_ptrIlEESB_jNS0_19identity_decomposerENS1_16block_id_wrapperIjLb1EEEEE10hipError_tT1_PNSt15iterator_traitsISG_E10value_typeET2_T3_PNSH_ISM_E10value_typeET4_T5_PSR_SS_PNS1_23onesweep_lookback_stateEbbT6_jjT7_P12ihipStream_tbENKUlT_T0_SG_SL_E_clIS7_S7_SB_PlEEDaSZ_S10_SG_SL_EUlSZ_E_NS1_11comp_targetILNS1_3genE4ELNS1_11target_archE910ELNS1_3gpuE8ELNS1_3repE0EEENS1_47radix_sort_onesweep_sort_config_static_selectorELNS0_4arch9wavefront6targetE1EEEvSG_
; %bb.0:
	s_load_dwordx4 s[44:47], s[4:5], 0x28
	s_load_dwordx2 s[30:31], s[4:5], 0x38
	s_load_dwordx4 s[48:51], s[4:5], 0x44
	v_and_b32_e32 v10, 0x3ff, v0
	v_cmp_eq_u32_e64 s[0:1], 0, v10
	s_and_saveexec_b64 s[2:3], s[0:1]
	s_cbranch_execz .LBB613_4
; %bb.1:
	s_mov_b64 s[10:11], exec
	v_mbcnt_lo_u32_b32 v1, s10, 0
	v_mbcnt_hi_u32_b32 v1, s11, v1
	v_cmp_eq_u32_e32 vcc, 0, v1
                                        ; implicit-def: $vgpr2
	s_and_saveexec_b64 s[8:9], vcc
	s_cbranch_execz .LBB613_3
; %bb.2:
	s_load_dwordx2 s[12:13], s[4:5], 0x50
	s_bcnt1_i32_b64 s7, s[10:11]
	v_mov_b32_e32 v2, 0
	v_mov_b32_e32 v3, s7
	s_waitcnt lgkmcnt(0)
	global_atomic_add v2, v2, v3, s[12:13] glc
.LBB613_3:
	s_or_b64 exec, exec, s[8:9]
	s_waitcnt vmcnt(0)
	v_readfirstlane_b32 s7, v2
	v_add_u32_e32 v1, s7, v1
	v_mov_b32_e32 v2, 0
	ds_write_b32 v2, v1 offset:20544
.LBB613_4:
	s_or_b64 exec, exec, s[2:3]
	v_mov_b32_e32 v1, 0
	s_load_dwordx8 s[36:43], s[4:5], 0x0
	s_load_dword s2, s[4:5], 0x20
	s_waitcnt lgkmcnt(0)
	s_barrier
	ds_read_b32 v1, v1 offset:20544
	v_mbcnt_lo_u32_b32 v30, -1, 0
	s_waitcnt lgkmcnt(0)
	s_barrier
	v_cmp_le_u32_e32 vcc, s50, v1
	v_readfirstlane_b32 s33, v1
	v_lshlrev_b32_e32 v1, 3, v10
	s_cbranch_vccz .LBB613_88
; %bb.5:
	s_lshl_b32 s3, s50, 13
	s_sub_i32 s7, s2, s3
	s_lshl_b32 s34, s33, 13
	s_add_u32 s2, s36, s34
	v_mbcnt_hi_u32_b32 v6, -1, v30
	s_addc_u32 s3, s37, 0
	v_and_b32_e32 v14, 63, v6
	v_mov_b32_e32 v2, s3
	v_add_co_u32_e32 v3, vcc, s2, v14
	v_and_b32_e32 v12, 0x1e00, v1
	v_addc_co_u32_e32 v4, vcc, 0, v2, vcc
	v_add_co_u32_e32 v2, vcc, v3, v12
	v_addc_co_u32_e32 v3, vcc, 0, v4, vcc
	v_or_b32_e32 v5, v14, v12
	s_mov_b32 s35, 0
	v_cmp_gt_u32_e32 vcc, s7, v5
	v_mov_b32_e32 v4, 0x7f
	v_mov_b32_e32 v7, 0x7f
	;; [unrolled: 1-line block ×8, first 2 shown]
	s_and_saveexec_b64 s[2:3], vcc
	s_cbranch_execz .LBB613_7
; %bb.6:
	global_load_ubyte v4, v[2:3], off
	v_mov_b32_e32 v11, 0x7f
	v_mov_b32_e32 v21, 0x7f
	;; [unrolled: 1-line block ×7, first 2 shown]
.LBB613_7:
	s_or_b64 exec, exec, s[2:3]
	v_or_b32_e32 v8, 64, v5
	v_cmp_gt_u32_e64 s[2:3], s7, v8
	s_and_saveexec_b64 s[8:9], s[2:3]
	s_cbranch_execz .LBB613_9
; %bb.8:
	global_load_ubyte v11, v[2:3], off offset:64
.LBB613_9:
	s_or_b64 exec, exec, s[8:9]
	v_or_b32_e32 v8, 0x80, v5
	v_cmp_gt_u32_e64 s[26:27], s7, v8
	s_and_saveexec_b64 s[8:9], s[26:27]
	s_cbranch_execz .LBB613_11
; %bb.10:
	global_load_ubyte v21, v[2:3], off offset:128
.LBB613_11:
	;; [unrolled: 8-line block ×7, first 2 shown]
	s_or_b64 exec, exec, s[18:19]
	s_load_dword s18, s[4:5], 0x64
	s_load_dword s52, s[4:5], 0x58
	s_add_u32 s19, s4, 0x58
	s_addc_u32 s20, s5, 0
	v_mov_b32_e32 v2, 0
	s_waitcnt lgkmcnt(0)
	s_lshr_b32 s21, s18, 16
	s_cmp_lt_u32 s6, s52
	s_cselect_b32 s18, 12, 18
	s_add_u32 s18, s19, s18
	s_addc_u32 s19, s20, 0
	global_load_ushort v5, v2, s[18:19]
	s_waitcnt vmcnt(1)
	v_xor_b32_e32 v8, 0xffffff80, v4
	s_lshl_b32 s18, -1, s49
	v_lshrrev_b32_sdwa v15, s48, v8 dst_sel:DWORD dst_unused:UNUSED_PAD src0_sel:DWORD src1_sel:BYTE_0
	s_not_b32 s53, s18
	v_and_b32_e32 v15, s53, v15
	v_and_b32_e32 v18, 1, v15
	v_bfe_u32 v3, v0, 10, 10
	v_bfe_u32 v4, v0, 20, 10
	v_add_co_u32_e64 v19, s[18:19], -1, v18
	v_mad_u32_u24 v4, v4, s21, v3
	v_lshlrev_b32_e32 v3, 30, v15
	v_addc_co_u32_e64 v22, s[18:19], 0, -1, s[18:19]
	v_cmp_ne_u32_e64 s[18:19], 0, v18
	v_cmp_gt_i64_e64 s[20:21], 0, v[2:3]
	v_not_b32_e32 v18, v3
	v_lshlrev_b32_e32 v3, 29, v15
	v_xor_b32_e32 v22, s19, v22
	v_xor_b32_e32 v19, s18, v19
	v_ashrrev_i32_e32 v18, 31, v18
	v_cmp_gt_i64_e64 s[18:19], 0, v[2:3]
	v_not_b32_e32 v24, v3
	v_lshlrev_b32_e32 v3, 28, v15
	v_and_b32_e32 v22, exec_hi, v22
	v_and_b32_e32 v19, exec_lo, v19
	v_xor_b32_e32 v25, s21, v18
	v_xor_b32_e32 v18, s20, v18
	v_ashrrev_i32_e32 v24, 31, v24
	v_cmp_gt_i64_e64 s[20:21], 0, v[2:3]
	v_not_b32_e32 v26, v3
	v_lshlrev_b32_e32 v3, 27, v15
	v_and_b32_e32 v22, v22, v25
	v_and_b32_e32 v18, v19, v18
	v_xor_b32_e32 v19, s19, v24
	v_xor_b32_e32 v24, s18, v24
	v_ashrrev_i32_e32 v25, 31, v26
	v_cmp_gt_i64_e64 s[18:19], 0, v[2:3]
	v_not_b32_e32 v26, v3
	v_lshlrev_b32_e32 v3, 26, v15
	v_and_b32_e32 v19, v22, v19
	v_and_b32_e32 v18, v18, v24
	;; [unrolled: 8-line block ×3, first 2 shown]
	v_xor_b32_e32 v22, s19, v25
	v_xor_b32_e32 v24, s18, v25
	v_ashrrev_i32_e32 v25, 31, v26
	v_cmp_gt_i64_e64 s[18:19], 0, v[2:3]
	v_not_b32_e32 v26, v3
	v_lshlrev_b32_e32 v3, 24, v15
	v_mul_u32_u24_e32 v17, 17, v15
	v_and_b32_e32 v15, v19, v22
	v_and_b32_e32 v18, v18, v24
	v_xor_b32_e32 v19, s21, v25
	v_xor_b32_e32 v22, s20, v25
	v_ashrrev_i32_e32 v24, 31, v26
	v_cmp_gt_i64_e64 s[20:21], 0, v[2:3]
	v_not_b32_e32 v3, v3
	v_and_b32_e32 v15, v15, v19
	v_and_b32_e32 v18, v18, v22
	v_xor_b32_e32 v19, s19, v24
	v_xor_b32_e32 v22, s18, v24
	v_ashrrev_i32_e32 v3, 31, v3
	v_and_b32_e32 v15, v15, v19
	v_and_b32_e32 v19, v18, v22
	v_mul_u32_u24_e32 v13, 5, v10
	v_lshlrev_b32_e32 v13, 2, v13
	ds_write2_b32 v13, v2, v2 offset0:16 offset1:17
	ds_write2_b32 v13, v2, v2 offset0:18 offset1:19
	ds_write_b32 v13, v2 offset:80
	s_waitcnt lgkmcnt(0)
	s_barrier
	s_waitcnt lgkmcnt(0)
	; wave barrier
	s_waitcnt vmcnt(0)
	v_mad_u64_u32 v[4:5], s[18:19], v4, v5, v[10:11]
	v_lshrrev_b32_e32 v24, 6, v4
	v_xor_b32_e32 v4, s21, v3
	v_xor_b32_e32 v3, s20, v3
	v_and_b32_e32 v5, v15, v4
	v_and_b32_e32 v4, v19, v3
	v_mbcnt_lo_u32_b32 v3, v4, 0
	v_mbcnt_hi_u32_b32 v15, v5, v3
	v_cmp_eq_u32_e64 s[18:19], 0, v15
	v_cmp_ne_u64_e64 s[20:21], 0, v[4:5]
	v_add_lshl_u32 v18, v24, v17, 2
	s_and_b64 s[20:21], s[20:21], s[18:19]
	s_and_saveexec_b64 s[18:19], s[20:21]
	s_cbranch_execz .LBB613_23
; %bb.22:
	v_bcnt_u32_b32 v3, v4, 0
	v_bcnt_u32_b32 v3, v5, v3
	ds_write_b32 v18, v3 offset:64
.LBB613_23:
	s_or_b64 exec, exec, s[18:19]
	v_xor_b32_e32 v17, 0xffffff80, v11
	v_lshrrev_b32_sdwa v3, s48, v17 dst_sel:DWORD dst_unused:UNUSED_PAD src0_sel:DWORD src1_sel:BYTE_0
	v_and_b32_e32 v4, s53, v3
	v_mul_u32_u24_e32 v3, 17, v4
	v_add_lshl_u32 v19, v24, v3, 2
	v_and_b32_e32 v3, 1, v4
	v_add_co_u32_e64 v5, s[18:19], -1, v3
	v_addc_co_u32_e64 v22, s[18:19], 0, -1, s[18:19]
	v_cmp_ne_u32_e64 s[18:19], 0, v3
	v_xor_b32_e32 v3, s19, v22
	v_and_b32_e32 v22, exec_hi, v3
	v_lshlrev_b32_e32 v3, 30, v4
	v_xor_b32_e32 v5, s18, v5
	v_cmp_gt_i64_e64 s[18:19], 0, v[2:3]
	v_not_b32_e32 v3, v3
	v_ashrrev_i32_e32 v3, 31, v3
	v_and_b32_e32 v5, exec_lo, v5
	v_xor_b32_e32 v25, s19, v3
	v_xor_b32_e32 v3, s18, v3
	v_and_b32_e32 v5, v5, v3
	v_lshlrev_b32_e32 v3, 29, v4
	v_cmp_gt_i64_e64 s[18:19], 0, v[2:3]
	v_not_b32_e32 v3, v3
	v_ashrrev_i32_e32 v3, 31, v3
	v_and_b32_e32 v22, v22, v25
	v_xor_b32_e32 v25, s19, v3
	v_xor_b32_e32 v3, s18, v3
	v_and_b32_e32 v5, v5, v3
	v_lshlrev_b32_e32 v3, 28, v4
	v_cmp_gt_i64_e64 s[18:19], 0, v[2:3]
	v_not_b32_e32 v3, v3
	v_ashrrev_i32_e32 v3, 31, v3
	v_and_b32_e32 v22, v22, v25
	;; [unrolled: 8-line block ×5, first 2 shown]
	v_xor_b32_e32 v25, s19, v3
	v_xor_b32_e32 v3, s18, v3
	v_and_b32_e32 v5, v5, v3
	v_lshlrev_b32_e32 v3, 24, v4
	v_cmp_gt_i64_e64 s[18:19], 0, v[2:3]
	v_not_b32_e32 v2, v3
	v_ashrrev_i32_e32 v2, 31, v2
	v_xor_b32_e32 v3, s19, v2
	v_xor_b32_e32 v2, s18, v2
	; wave barrier
	ds_read_b32 v11, v19 offset:64
	v_and_b32_e32 v22, v22, v25
	v_and_b32_e32 v2, v5, v2
	;; [unrolled: 1-line block ×3, first 2 shown]
	v_mbcnt_lo_u32_b32 v4, v2, 0
	v_mbcnt_hi_u32_b32 v31, v3, v4
	v_cmp_eq_u32_e64 s[18:19], 0, v31
	v_cmp_ne_u64_e64 s[20:21], 0, v[2:3]
	s_and_b64 s[20:21], s[20:21], s[18:19]
	; wave barrier
	s_and_saveexec_b64 s[18:19], s[20:21]
	s_cbranch_execz .LBB613_25
; %bb.24:
	v_bcnt_u32_b32 v2, v2, 0
	v_bcnt_u32_b32 v2, v3, v2
	s_waitcnt lgkmcnt(0)
	v_add_u32_e32 v2, v11, v2
	ds_write_b32 v19, v2 offset:64
.LBB613_25:
	s_or_b64 exec, exec, s[18:19]
	v_xor_b32_e32 v21, 0xffffff80, v21
	v_lshrrev_b32_sdwa v2, s48, v21 dst_sel:DWORD dst_unused:UNUSED_PAD src0_sel:DWORD src1_sel:BYTE_0
	v_and_b32_e32 v4, s53, v2
	v_and_b32_e32 v3, 1, v4
	v_add_co_u32_e64 v5, s[18:19], -1, v3
	v_addc_co_u32_e64 v25, s[18:19], 0, -1, s[18:19]
	v_cmp_ne_u32_e64 s[18:19], 0, v3
	v_mul_u32_u24_e32 v2, 17, v4
	v_xor_b32_e32 v3, s19, v25
	v_add_lshl_u32 v22, v24, v2, 2
	v_mov_b32_e32 v2, 0
	v_and_b32_e32 v25, exec_hi, v3
	v_lshlrev_b32_e32 v3, 30, v4
	v_xor_b32_e32 v5, s18, v5
	v_cmp_gt_i64_e64 s[18:19], 0, v[2:3]
	v_not_b32_e32 v3, v3
	v_ashrrev_i32_e32 v3, 31, v3
	v_and_b32_e32 v5, exec_lo, v5
	v_xor_b32_e32 v26, s19, v3
	v_xor_b32_e32 v3, s18, v3
	v_and_b32_e32 v5, v5, v3
	v_lshlrev_b32_e32 v3, 29, v4
	v_cmp_gt_i64_e64 s[18:19], 0, v[2:3]
	v_not_b32_e32 v3, v3
	v_ashrrev_i32_e32 v3, 31, v3
	v_and_b32_e32 v25, v25, v26
	v_xor_b32_e32 v26, s19, v3
	v_xor_b32_e32 v3, s18, v3
	v_and_b32_e32 v5, v5, v3
	v_lshlrev_b32_e32 v3, 28, v4
	v_cmp_gt_i64_e64 s[18:19], 0, v[2:3]
	v_not_b32_e32 v3, v3
	v_ashrrev_i32_e32 v3, 31, v3
	v_and_b32_e32 v25, v25, v26
	;; [unrolled: 8-line block ×5, first 2 shown]
	v_xor_b32_e32 v26, s19, v3
	v_xor_b32_e32 v3, s18, v3
	v_and_b32_e32 v25, v25, v26
	v_and_b32_e32 v26, v5, v3
	v_lshlrev_b32_e32 v3, 24, v4
	v_cmp_gt_i64_e64 s[18:19], 0, v[2:3]
	v_not_b32_e32 v3, v3
	v_ashrrev_i32_e32 v3, 31, v3
	v_xor_b32_e32 v4, s19, v3
	v_xor_b32_e32 v3, s18, v3
	; wave barrier
	ds_read_b32 v32, v22 offset:64
	v_and_b32_e32 v5, v25, v4
	v_and_b32_e32 v4, v26, v3
	v_mbcnt_lo_u32_b32 v3, v4, 0
	v_mbcnt_hi_u32_b32 v33, v5, v3
	v_cmp_eq_u32_e64 s[18:19], 0, v33
	v_cmp_ne_u64_e64 s[20:21], 0, v[4:5]
	s_and_b64 s[20:21], s[20:21], s[18:19]
	; wave barrier
	s_and_saveexec_b64 s[18:19], s[20:21]
	s_cbranch_execz .LBB613_27
; %bb.26:
	v_bcnt_u32_b32 v3, v4, 0
	v_bcnt_u32_b32 v3, v5, v3
	s_waitcnt lgkmcnt(0)
	v_add_u32_e32 v3, v32, v3
	ds_write_b32 v22, v3 offset:64
.LBB613_27:
	s_or_b64 exec, exec, s[18:19]
	v_xor_b32_e32 v23, 0xffffff80, v23
	v_lshrrev_b32_sdwa v3, s48, v23 dst_sel:DWORD dst_unused:UNUSED_PAD src0_sel:DWORD src1_sel:BYTE_0
	v_and_b32_e32 v4, s53, v3
	v_mul_u32_u24_e32 v3, 17, v4
	v_add_lshl_u32 v25, v24, v3, 2
	v_and_b32_e32 v3, 1, v4
	v_add_co_u32_e64 v5, s[18:19], -1, v3
	v_addc_co_u32_e64 v26, s[18:19], 0, -1, s[18:19]
	v_cmp_ne_u32_e64 s[18:19], 0, v3
	v_xor_b32_e32 v3, s19, v26
	v_and_b32_e32 v26, exec_hi, v3
	v_lshlrev_b32_e32 v3, 30, v4
	v_xor_b32_e32 v5, s18, v5
	v_cmp_gt_i64_e64 s[18:19], 0, v[2:3]
	v_not_b32_e32 v3, v3
	v_ashrrev_i32_e32 v3, 31, v3
	v_and_b32_e32 v5, exec_lo, v5
	v_xor_b32_e32 v27, s19, v3
	v_xor_b32_e32 v3, s18, v3
	v_and_b32_e32 v5, v5, v3
	v_lshlrev_b32_e32 v3, 29, v4
	v_cmp_gt_i64_e64 s[18:19], 0, v[2:3]
	v_not_b32_e32 v3, v3
	v_ashrrev_i32_e32 v3, 31, v3
	v_and_b32_e32 v26, v26, v27
	v_xor_b32_e32 v27, s19, v3
	v_xor_b32_e32 v3, s18, v3
	v_and_b32_e32 v5, v5, v3
	v_lshlrev_b32_e32 v3, 28, v4
	v_cmp_gt_i64_e64 s[18:19], 0, v[2:3]
	v_not_b32_e32 v3, v3
	v_ashrrev_i32_e32 v3, 31, v3
	v_and_b32_e32 v26, v26, v27
	v_xor_b32_e32 v27, s19, v3
	v_xor_b32_e32 v3, s18, v3
	v_and_b32_e32 v5, v5, v3
	v_lshlrev_b32_e32 v3, 27, v4
	v_cmp_gt_i64_e64 s[18:19], 0, v[2:3]
	v_not_b32_e32 v3, v3
	v_ashrrev_i32_e32 v3, 31, v3
	v_and_b32_e32 v26, v26, v27
	v_xor_b32_e32 v27, s19, v3
	v_xor_b32_e32 v3, s18, v3
	v_and_b32_e32 v5, v5, v3
	v_lshlrev_b32_e32 v3, 26, v4
	v_cmp_gt_i64_e64 s[18:19], 0, v[2:3]
	v_not_b32_e32 v3, v3
	v_ashrrev_i32_e32 v3, 31, v3
	v_and_b32_e32 v26, v26, v27
	v_xor_b32_e32 v27, s19, v3
	v_xor_b32_e32 v3, s18, v3
	v_and_b32_e32 v5, v5, v3
	v_lshlrev_b32_e32 v3, 25, v4
	v_cmp_gt_i64_e64 s[18:19], 0, v[2:3]
	v_not_b32_e32 v3, v3
	v_ashrrev_i32_e32 v3, 31, v3
	v_and_b32_e32 v26, v26, v27
	v_xor_b32_e32 v27, s19, v3
	v_xor_b32_e32 v3, s18, v3
	v_and_b32_e32 v5, v5, v3
	v_lshlrev_b32_e32 v3, 24, v4
	v_cmp_gt_i64_e64 s[18:19], 0, v[2:3]
	v_not_b32_e32 v2, v3
	v_ashrrev_i32_e32 v2, 31, v2
	v_xor_b32_e32 v3, s19, v2
	v_xor_b32_e32 v2, s18, v2
	; wave barrier
	ds_read_b32 v34, v25 offset:64
	v_and_b32_e32 v26, v26, v27
	v_and_b32_e32 v2, v5, v2
	;; [unrolled: 1-line block ×3, first 2 shown]
	v_mbcnt_lo_u32_b32 v4, v2, 0
	v_mbcnt_hi_u32_b32 v35, v3, v4
	v_cmp_eq_u32_e64 s[18:19], 0, v35
	v_cmp_ne_u64_e64 s[20:21], 0, v[2:3]
	s_and_b64 s[20:21], s[20:21], s[18:19]
	; wave barrier
	s_and_saveexec_b64 s[18:19], s[20:21]
	s_cbranch_execz .LBB613_29
; %bb.28:
	v_bcnt_u32_b32 v2, v2, 0
	v_bcnt_u32_b32 v2, v3, v2
	s_waitcnt lgkmcnt(0)
	v_add_u32_e32 v2, v34, v2
	ds_write_b32 v25, v2 offset:64
.LBB613_29:
	s_or_b64 exec, exec, s[18:19]
	v_xor_b32_e32 v20, 0xffffff80, v20
	v_lshrrev_b32_sdwa v2, s48, v20 dst_sel:DWORD dst_unused:UNUSED_PAD src0_sel:DWORD src1_sel:BYTE_0
	v_and_b32_e32 v4, s53, v2
	v_and_b32_e32 v3, 1, v4
	v_add_co_u32_e64 v5, s[18:19], -1, v3
	v_addc_co_u32_e64 v27, s[18:19], 0, -1, s[18:19]
	v_cmp_ne_u32_e64 s[18:19], 0, v3
	v_mul_u32_u24_e32 v2, 17, v4
	v_xor_b32_e32 v3, s19, v27
	v_add_lshl_u32 v26, v24, v2, 2
	v_mov_b32_e32 v2, 0
	v_and_b32_e32 v27, exec_hi, v3
	v_lshlrev_b32_e32 v3, 30, v4
	v_xor_b32_e32 v5, s18, v5
	v_cmp_gt_i64_e64 s[18:19], 0, v[2:3]
	v_not_b32_e32 v3, v3
	v_ashrrev_i32_e32 v3, 31, v3
	v_and_b32_e32 v5, exec_lo, v5
	v_xor_b32_e32 v28, s19, v3
	v_xor_b32_e32 v3, s18, v3
	v_and_b32_e32 v5, v5, v3
	v_lshlrev_b32_e32 v3, 29, v4
	v_cmp_gt_i64_e64 s[18:19], 0, v[2:3]
	v_not_b32_e32 v3, v3
	v_ashrrev_i32_e32 v3, 31, v3
	v_and_b32_e32 v27, v27, v28
	v_xor_b32_e32 v28, s19, v3
	v_xor_b32_e32 v3, s18, v3
	v_and_b32_e32 v5, v5, v3
	v_lshlrev_b32_e32 v3, 28, v4
	v_cmp_gt_i64_e64 s[18:19], 0, v[2:3]
	v_not_b32_e32 v3, v3
	v_ashrrev_i32_e32 v3, 31, v3
	v_and_b32_e32 v27, v27, v28
	;; [unrolled: 8-line block ×5, first 2 shown]
	v_xor_b32_e32 v28, s19, v3
	v_xor_b32_e32 v3, s18, v3
	v_and_b32_e32 v27, v27, v28
	v_and_b32_e32 v28, v5, v3
	v_lshlrev_b32_e32 v3, 24, v4
	v_cmp_gt_i64_e64 s[18:19], 0, v[2:3]
	v_not_b32_e32 v3, v3
	v_ashrrev_i32_e32 v3, 31, v3
	v_xor_b32_e32 v4, s19, v3
	v_xor_b32_e32 v3, s18, v3
	; wave barrier
	ds_read_b32 v36, v26 offset:64
	v_and_b32_e32 v5, v27, v4
	v_and_b32_e32 v4, v28, v3
	v_mbcnt_lo_u32_b32 v3, v4, 0
	v_mbcnt_hi_u32_b32 v37, v5, v3
	v_cmp_eq_u32_e64 s[18:19], 0, v37
	v_cmp_ne_u64_e64 s[20:21], 0, v[4:5]
	s_and_b64 s[20:21], s[20:21], s[18:19]
	; wave barrier
	s_and_saveexec_b64 s[18:19], s[20:21]
	s_cbranch_execz .LBB613_31
; %bb.30:
	v_bcnt_u32_b32 v3, v4, 0
	v_bcnt_u32_b32 v3, v5, v3
	s_waitcnt lgkmcnt(0)
	v_add_u32_e32 v3, v36, v3
	ds_write_b32 v26, v3 offset:64
.LBB613_31:
	s_or_b64 exec, exec, s[18:19]
	v_xor_b32_e32 v16, 0xffffff80, v16
	v_lshrrev_b32_sdwa v3, s48, v16 dst_sel:DWORD dst_unused:UNUSED_PAD src0_sel:DWORD src1_sel:BYTE_0
	v_and_b32_e32 v4, s53, v3
	v_mul_u32_u24_e32 v3, 17, v4
	v_add_lshl_u32 v27, v24, v3, 2
	v_and_b32_e32 v3, 1, v4
	v_add_co_u32_e64 v5, s[18:19], -1, v3
	v_addc_co_u32_e64 v28, s[18:19], 0, -1, s[18:19]
	v_cmp_ne_u32_e64 s[18:19], 0, v3
	v_xor_b32_e32 v3, s19, v28
	v_and_b32_e32 v28, exec_hi, v3
	v_lshlrev_b32_e32 v3, 30, v4
	v_xor_b32_e32 v5, s18, v5
	v_cmp_gt_i64_e64 s[18:19], 0, v[2:3]
	v_not_b32_e32 v3, v3
	v_ashrrev_i32_e32 v3, 31, v3
	v_and_b32_e32 v5, exec_lo, v5
	v_xor_b32_e32 v29, s19, v3
	v_xor_b32_e32 v3, s18, v3
	v_and_b32_e32 v5, v5, v3
	v_lshlrev_b32_e32 v3, 29, v4
	v_cmp_gt_i64_e64 s[18:19], 0, v[2:3]
	v_not_b32_e32 v3, v3
	v_ashrrev_i32_e32 v3, 31, v3
	v_and_b32_e32 v28, v28, v29
	v_xor_b32_e32 v29, s19, v3
	v_xor_b32_e32 v3, s18, v3
	v_and_b32_e32 v5, v5, v3
	v_lshlrev_b32_e32 v3, 28, v4
	v_cmp_gt_i64_e64 s[18:19], 0, v[2:3]
	v_not_b32_e32 v3, v3
	v_ashrrev_i32_e32 v3, 31, v3
	v_and_b32_e32 v28, v28, v29
	;; [unrolled: 8-line block ×5, first 2 shown]
	v_xor_b32_e32 v29, s19, v3
	v_xor_b32_e32 v3, s18, v3
	v_and_b32_e32 v5, v5, v3
	v_lshlrev_b32_e32 v3, 24, v4
	v_cmp_gt_i64_e64 s[18:19], 0, v[2:3]
	v_not_b32_e32 v2, v3
	v_ashrrev_i32_e32 v2, 31, v2
	v_xor_b32_e32 v3, s19, v2
	v_xor_b32_e32 v2, s18, v2
	; wave barrier
	ds_read_b32 v38, v27 offset:64
	v_and_b32_e32 v28, v28, v29
	v_and_b32_e32 v2, v5, v2
	;; [unrolled: 1-line block ×3, first 2 shown]
	v_mbcnt_lo_u32_b32 v4, v2, 0
	v_mbcnt_hi_u32_b32 v39, v3, v4
	v_cmp_eq_u32_e64 s[18:19], 0, v39
	v_cmp_ne_u64_e64 s[20:21], 0, v[2:3]
	s_and_b64 s[20:21], s[20:21], s[18:19]
	; wave barrier
	s_and_saveexec_b64 s[18:19], s[20:21]
	s_cbranch_execz .LBB613_33
; %bb.32:
	v_bcnt_u32_b32 v2, v2, 0
	v_bcnt_u32_b32 v2, v3, v2
	s_waitcnt lgkmcnt(0)
	v_add_u32_e32 v2, v38, v2
	ds_write_b32 v27, v2 offset:64
.LBB613_33:
	s_or_b64 exec, exec, s[18:19]
	v_xor_b32_e32 v9, 0xffffff80, v9
	v_lshrrev_b32_sdwa v2, s48, v9 dst_sel:DWORD dst_unused:UNUSED_PAD src0_sel:DWORD src1_sel:BYTE_0
	v_and_b32_e32 v4, s53, v2
	v_and_b32_e32 v3, 1, v4
	v_add_co_u32_e64 v5, s[18:19], -1, v3
	v_addc_co_u32_e64 v29, s[18:19], 0, -1, s[18:19]
	v_cmp_ne_u32_e64 s[18:19], 0, v3
	v_mul_u32_u24_e32 v2, 17, v4
	v_xor_b32_e32 v3, s19, v29
	v_add_lshl_u32 v28, v24, v2, 2
	v_mov_b32_e32 v2, 0
	v_and_b32_e32 v29, exec_hi, v3
	v_lshlrev_b32_e32 v3, 30, v4
	v_xor_b32_e32 v5, s18, v5
	v_cmp_gt_i64_e64 s[18:19], 0, v[2:3]
	v_not_b32_e32 v3, v3
	v_ashrrev_i32_e32 v3, 31, v3
	v_and_b32_e32 v5, exec_lo, v5
	v_xor_b32_e32 v41, s19, v3
	v_xor_b32_e32 v3, s18, v3
	v_and_b32_e32 v5, v5, v3
	v_lshlrev_b32_e32 v3, 29, v4
	v_cmp_gt_i64_e64 s[18:19], 0, v[2:3]
	v_not_b32_e32 v3, v3
	v_ashrrev_i32_e32 v3, 31, v3
	v_and_b32_e32 v29, v29, v41
	v_xor_b32_e32 v41, s19, v3
	v_xor_b32_e32 v3, s18, v3
	v_and_b32_e32 v5, v5, v3
	v_lshlrev_b32_e32 v3, 28, v4
	v_cmp_gt_i64_e64 s[18:19], 0, v[2:3]
	v_not_b32_e32 v3, v3
	v_ashrrev_i32_e32 v3, 31, v3
	v_and_b32_e32 v29, v29, v41
	;; [unrolled: 8-line block ×5, first 2 shown]
	v_xor_b32_e32 v41, s19, v3
	v_xor_b32_e32 v3, s18, v3
	v_and_b32_e32 v29, v29, v41
	v_and_b32_e32 v41, v5, v3
	v_lshlrev_b32_e32 v3, 24, v4
	v_cmp_gt_i64_e64 s[18:19], 0, v[2:3]
	v_not_b32_e32 v3, v3
	v_ashrrev_i32_e32 v3, 31, v3
	v_xor_b32_e32 v4, s19, v3
	v_xor_b32_e32 v3, s18, v3
	; wave barrier
	ds_read_b32 v40, v28 offset:64
	v_and_b32_e32 v5, v29, v4
	v_and_b32_e32 v4, v41, v3
	v_mbcnt_lo_u32_b32 v3, v4, 0
	v_mbcnt_hi_u32_b32 v41, v5, v3
	v_cmp_eq_u32_e64 s[18:19], 0, v41
	v_cmp_ne_u64_e64 s[20:21], 0, v[4:5]
	s_and_b64 s[20:21], s[20:21], s[18:19]
	; wave barrier
	s_and_saveexec_b64 s[18:19], s[20:21]
	s_cbranch_execz .LBB613_35
; %bb.34:
	v_bcnt_u32_b32 v3, v4, 0
	v_bcnt_u32_b32 v3, v5, v3
	s_waitcnt lgkmcnt(0)
	v_add_u32_e32 v3, v40, v3
	ds_write_b32 v28, v3 offset:64
.LBB613_35:
	s_or_b64 exec, exec, s[18:19]
	v_xor_b32_e32 v7, 0xffffff80, v7
	v_lshrrev_b32_sdwa v3, s48, v7 dst_sel:DWORD dst_unused:UNUSED_PAD src0_sel:DWORD src1_sel:BYTE_0
	v_and_b32_e32 v4, s53, v3
	v_mul_u32_u24_e32 v3, 17, v4
	v_add_lshl_u32 v24, v24, v3, 2
	v_and_b32_e32 v3, 1, v4
	v_add_co_u32_e64 v5, s[18:19], -1, v3
	v_addc_co_u32_e64 v43, s[18:19], 0, -1, s[18:19]
	v_cmp_ne_u32_e64 s[18:19], 0, v3
	v_xor_b32_e32 v3, s19, v43
	v_and_b32_e32 v43, exec_hi, v3
	v_lshlrev_b32_e32 v3, 30, v4
	v_xor_b32_e32 v5, s18, v5
	v_cmp_gt_i64_e64 s[18:19], 0, v[2:3]
	v_not_b32_e32 v3, v3
	v_ashrrev_i32_e32 v3, 31, v3
	v_and_b32_e32 v5, exec_lo, v5
	v_xor_b32_e32 v44, s19, v3
	v_xor_b32_e32 v3, s18, v3
	v_and_b32_e32 v5, v5, v3
	v_lshlrev_b32_e32 v3, 29, v4
	v_cmp_gt_i64_e64 s[18:19], 0, v[2:3]
	v_not_b32_e32 v3, v3
	v_ashrrev_i32_e32 v3, 31, v3
	v_and_b32_e32 v43, v43, v44
	v_xor_b32_e32 v44, s19, v3
	v_xor_b32_e32 v3, s18, v3
	v_and_b32_e32 v5, v5, v3
	v_lshlrev_b32_e32 v3, 28, v4
	v_cmp_gt_i64_e64 s[18:19], 0, v[2:3]
	v_not_b32_e32 v3, v3
	v_ashrrev_i32_e32 v3, 31, v3
	v_and_b32_e32 v43, v43, v44
	;; [unrolled: 8-line block ×5, first 2 shown]
	v_xor_b32_e32 v44, s19, v3
	v_xor_b32_e32 v3, s18, v3
	v_and_b32_e32 v5, v5, v3
	v_lshlrev_b32_e32 v3, 24, v4
	v_cmp_gt_i64_e64 s[18:19], 0, v[2:3]
	v_not_b32_e32 v2, v3
	v_ashrrev_i32_e32 v2, 31, v2
	v_xor_b32_e32 v3, s19, v2
	v_xor_b32_e32 v2, s18, v2
	; wave barrier
	ds_read_b32 v42, v24 offset:64
	v_and_b32_e32 v43, v43, v44
	v_and_b32_e32 v2, v5, v2
	;; [unrolled: 1-line block ×3, first 2 shown]
	v_mbcnt_lo_u32_b32 v4, v2, 0
	v_mbcnt_hi_u32_b32 v45, v3, v4
	v_cmp_eq_u32_e64 s[18:19], 0, v45
	v_cmp_ne_u64_e64 s[20:21], 0, v[2:3]
	v_add_u32_e32 v29, 64, v13
	s_and_b64 s[20:21], s[20:21], s[18:19]
	; wave barrier
	s_and_saveexec_b64 s[18:19], s[20:21]
	s_cbranch_execz .LBB613_37
; %bb.36:
	v_bcnt_u32_b32 v2, v2, 0
	v_bcnt_u32_b32 v2, v3, v2
	s_waitcnt lgkmcnt(0)
	v_add_u32_e32 v2, v42, v2
	ds_write_b32 v24, v2 offset:64
.LBB613_37:
	s_or_b64 exec, exec, s[18:19]
	; wave barrier
	s_waitcnt lgkmcnt(0)
	s_barrier
	ds_read2_b32 v[4:5], v13 offset0:16 offset1:17
	ds_read2_b32 v[2:3], v29 offset0:2 offset1:3
	ds_read_b32 v43, v29 offset:16
	v_cmp_lt_u32_e64 s[28:29], 31, v6
	s_waitcnt lgkmcnt(1)
	v_add3_u32 v44, v5, v4, v2
	s_waitcnt lgkmcnt(0)
	v_add3_u32 v43, v44, v3, v43
	v_and_b32_e32 v44, 15, v6
	v_cmp_eq_u32_e64 s[18:19], 0, v44
	v_mov_b32_dpp v46, v43 row_shr:1 row_mask:0xf bank_mask:0xf
	v_cndmask_b32_e64 v46, v46, 0, s[18:19]
	v_add_u32_e32 v43, v46, v43
	v_cmp_lt_u32_e64 s[20:21], 1, v44
	v_cmp_lt_u32_e64 s[22:23], 3, v44
	v_mov_b32_dpp v46, v43 row_shr:2 row_mask:0xf bank_mask:0xf
	v_cndmask_b32_e64 v46, 0, v46, s[20:21]
	v_add_u32_e32 v43, v43, v46
	v_cmp_lt_u32_e64 s[24:25], 7, v44
	s_nop 0
	v_mov_b32_dpp v46, v43 row_shr:4 row_mask:0xf bank_mask:0xf
	v_cndmask_b32_e64 v46, 0, v46, s[22:23]
	v_add_u32_e32 v43, v43, v46
	s_nop 1
	v_mov_b32_dpp v46, v43 row_shr:8 row_mask:0xf bank_mask:0xf
	v_cndmask_b32_e64 v44, 0, v46, s[24:25]
	v_add_u32_e32 v43, v43, v44
	v_bfe_i32 v46, v6, 4, 1
	s_nop 0
	v_mov_b32_dpp v44, v43 row_bcast:15 row_mask:0xf bank_mask:0xf
	v_and_b32_e32 v44, v46, v44
	v_add_u32_e32 v43, v43, v44
	v_and_b32_e32 v46, 63, v10
	s_nop 0
	v_mov_b32_dpp v44, v43 row_bcast:31 row_mask:0xf bank_mask:0xf
	v_cndmask_b32_e64 v44, 0, v44, s[28:29]
	v_add_u32_e32 v43, v43, v44
	v_lshrrev_b32_e32 v44, 6, v10
	v_cmp_eq_u32_e64 s[28:29], 63, v46
	s_and_saveexec_b64 s[50:51], s[28:29]
	s_cbranch_execz .LBB613_39
; %bb.38:
	v_lshlrev_b32_e32 v46, 2, v44
	ds_write_b32 v46, v43
.LBB613_39:
	s_or_b64 exec, exec, s[50:51]
	v_cmp_gt_u32_e64 s[28:29], 16, v10
	s_waitcnt lgkmcnt(0)
	s_barrier
	s_and_saveexec_b64 s[50:51], s[28:29]
	s_cbranch_execz .LBB613_41
; %bb.40:
	v_lshlrev_b32_e32 v46, 2, v10
	ds_read_b32 v47, v46
	s_waitcnt lgkmcnt(0)
	s_nop 0
	v_mov_b32_dpp v48, v47 row_shr:1 row_mask:0xf bank_mask:0xf
	v_cndmask_b32_e64 v48, v48, 0, s[18:19]
	v_add_u32_e32 v47, v48, v47
	s_nop 1
	v_mov_b32_dpp v48, v47 row_shr:2 row_mask:0xf bank_mask:0xf
	v_cndmask_b32_e64 v48, 0, v48, s[20:21]
	v_add_u32_e32 v47, v47, v48
	;; [unrolled: 4-line block ×4, first 2 shown]
	ds_write_b32 v46, v47
.LBB613_41:
	s_or_b64 exec, exec, s[50:51]
	v_cmp_lt_u32_e64 s[18:19], 63, v10
	v_mov_b32_e32 v46, 0
	s_waitcnt lgkmcnt(0)
	s_barrier
	s_and_saveexec_b64 s[20:21], s[18:19]
	s_cbranch_execz .LBB613_43
; %bb.42:
	v_lshl_add_u32 v44, v44, 2, -4
	ds_read_b32 v46, v44
.LBB613_43:
	s_or_b64 exec, exec, s[20:21]
	v_add_u32_e32 v44, -1, v6
	v_and_b32_e32 v47, 64, v6
	v_cmp_lt_i32_e64 s[18:19], v44, v47
	v_cndmask_b32_e64 v44, v44, v6, s[18:19]
	s_waitcnt lgkmcnt(0)
	v_add_u32_e32 v43, v46, v43
	v_lshlrev_b32_e32 v44, 2, v44
	ds_bpermute_b32 v43, v44, v43
	v_cmp_eq_u32_e64 s[18:19], 0, v6
                                        ; implicit-def: $vgpr44
	s_waitcnt lgkmcnt(0)
	v_cndmask_b32_e64 v6, v43, v46, s[18:19]
	v_cndmask_b32_e64 v6, v6, 0, s[0:1]
	v_add_u32_e32 v4, v6, v4
	v_add_u32_e32 v5, v4, v5
	;; [unrolled: 1-line block ×4, first 2 shown]
	ds_write2_b32 v13, v6, v4 offset0:16 offset1:17
	ds_write2_b32 v29, v5, v2 offset0:2 offset1:3
	ds_write_b32 v29, v3 offset:16
	s_waitcnt lgkmcnt(0)
	s_barrier
	ds_read_b32 v2, v18 offset:64
	ds_read_b32 v47, v19 offset:64
	;; [unrolled: 1-line block ×8, first 2 shown]
	s_movk_i32 s18, 0x100
	v_cmp_gt_u32_e64 s[18:19], s18, v10
                                        ; implicit-def: $vgpr43
	s_and_saveexec_b64 s[22:23], s[18:19]
	s_cbranch_execz .LBB613_47
; %bb.44:
	v_mul_u32_u24_e32 v3, 17, v10
	v_lshlrev_b32_e32 v4, 2, v3
	ds_read_b32 v43, v4 offset:64
	s_movk_i32 s20, 0xff
	v_cmp_ne_u32_e64 s[20:21], s20, v10
	v_mov_b32_e32 v3, 0x2000
	s_and_saveexec_b64 s[24:25], s[20:21]
	s_cbranch_execz .LBB613_46
; %bb.45:
	ds_read_b32 v3, v4 offset:132
.LBB613_46:
	s_or_b64 exec, exec, s[24:25]
	s_waitcnt lgkmcnt(0)
	v_sub_u32_e32 v44, v3, v43
.LBB613_47:
	s_or_b64 exec, exec, s[22:23]
	s_waitcnt lgkmcnt(7)
	v_add_u32_e32 v46, v2, v15
	s_waitcnt lgkmcnt(6)
	v_add3_u32 v2, v31, v11, v47
	s_waitcnt lgkmcnt(5)
	v_add3_u32 v3, v33, v32, v48
	;; [unrolled: 2-line block ×7, first 2 shown]
	s_barrier
	ds_write_b8 v46, v8 offset:1024
	ds_write_b8 v2, v17 offset:1024
	;; [unrolled: 1-line block ×8, first 2 shown]
	s_and_saveexec_b64 s[22:23], s[18:19]
	s_cbranch_execz .LBB613_57
; %bb.48:
	v_lshl_or_b32 v2, s33, 8, v10
	v_mov_b32_e32 v3, 0
	v_lshlrev_b64 v[4:5], 2, v[2:3]
	v_mov_b32_e32 v8, s31
	v_add_co_u32_e64 v4, s[20:21], s30, v4
	v_addc_co_u32_e64 v5, s[20:21], v8, v5, s[20:21]
	v_or_b32_e32 v2, 2.0, v44
	s_mov_b64 s[24:25], 0
	s_brev_b32 s54, 1
	s_mov_b32 s55, s33
	v_mov_b32_e32 v9, 0
	global_store_dword v[4:5], v2, off
                                        ; implicit-def: $sgpr20_sgpr21
	s_branch .LBB613_50
.LBB613_49:                             ;   in Loop: Header=BB613_50 Depth=1
	s_or_b64 exec, exec, s[28:29]
	v_and_b32_e32 v6, 0x3fffffff, v13
	v_add_u32_e32 v9, v6, v9
	v_cmp_eq_u32_e64 s[20:21], s54, v2
	s_and_b64 s[28:29], exec, s[20:21]
	s_or_b64 s[24:25], s[28:29], s[24:25]
	s_andn2_b64 exec, exec, s[24:25]
	s_cbranch_execz .LBB613_56
.LBB613_50:                             ; =>This Loop Header: Depth=1
                                        ;     Child Loop BB613_53 Depth 2
	s_or_b64 s[20:21], s[20:21], exec
	s_cmp_eq_u32 s55, 0
	s_cbranch_scc1 .LBB613_55
; %bb.51:                               ;   in Loop: Header=BB613_50 Depth=1
	s_add_i32 s55, s55, -1
	v_lshl_or_b32 v2, s55, 8, v10
	v_lshlrev_b64 v[6:7], 2, v[2:3]
	v_add_co_u32_e64 v6, s[20:21], s30, v6
	v_addc_co_u32_e64 v7, s[20:21], v8, v7, s[20:21]
	global_load_dword v13, v[6:7], off glc
	s_waitcnt vmcnt(0)
	v_and_b32_e32 v2, -2.0, v13
	v_cmp_eq_u32_e64 s[20:21], 0, v2
	s_and_saveexec_b64 s[28:29], s[20:21]
	s_cbranch_execz .LBB613_49
; %bb.52:                               ;   in Loop: Header=BB613_50 Depth=1
	s_mov_b64 s[50:51], 0
.LBB613_53:                             ;   Parent Loop BB613_50 Depth=1
                                        ; =>  This Inner Loop Header: Depth=2
	global_load_dword v13, v[6:7], off glc
	s_waitcnt vmcnt(0)
	v_and_b32_e32 v2, -2.0, v13
	v_cmp_ne_u32_e64 s[20:21], 0, v2
	s_or_b64 s[50:51], s[20:21], s[50:51]
	s_andn2_b64 exec, exec, s[50:51]
	s_cbranch_execnz .LBB613_53
; %bb.54:                               ;   in Loop: Header=BB613_50 Depth=1
	s_or_b64 exec, exec, s[50:51]
	s_branch .LBB613_49
.LBB613_55:                             ;   in Loop: Header=BB613_50 Depth=1
                                        ; implicit-def: $sgpr55
	s_and_b64 s[28:29], exec, s[20:21]
	s_or_b64 s[24:25], s[28:29], s[24:25]
	s_andn2_b64 exec, exec, s[24:25]
	s_cbranch_execnz .LBB613_50
.LBB613_56:
	s_or_b64 exec, exec, s[24:25]
	v_add_u32_e32 v2, v9, v44
	v_or_b32_e32 v2, 0x80000000, v2
	global_store_dword v[4:5], v2, off
	v_lshlrev_b32_e32 v2, 2, v10
	global_load_dword v3, v2, s[44:45]
	v_sub_u32_e32 v4, v9, v43
	s_waitcnt vmcnt(0)
	v_add_u32_e32 v3, v4, v3
	ds_write_b32 v2, v3
.LBB613_57:
	s_or_b64 exec, exec, s[22:23]
	v_cmp_gt_u32_e64 s[20:21], s7, v10
	s_waitcnt lgkmcnt(0)
	s_barrier
	s_waitcnt lgkmcnt(0)
                                        ; implicit-def: $vgpr2_vgpr3_vgpr4_vgpr5_vgpr6_vgpr7_vgpr8_vgpr9
	s_and_saveexec_b64 s[22:23], s[20:21]
	s_cbranch_execz .LBB613_59
; %bb.58:
	ds_read_u8 v3, v10 offset:1024
	s_waitcnt lgkmcnt(0)
	v_lshrrev_b32_sdwa v2, s48, v3 dst_sel:DWORD dst_unused:UNUSED_PAD src0_sel:DWORD src1_sel:BYTE_0
	v_and_b32_e32 v2, s53, v2
	v_lshlrev_b32_e32 v4, 2, v2
	ds_read_b32 v4, v4
	v_xor_b32_e32 v3, 0x80, v3
	s_waitcnt lgkmcnt(0)
	v_add_u32_e32 v4, v4, v10
	global_store_byte v4, v3, s[38:39]
.LBB613_59:
	s_or_b64 exec, exec, s[22:23]
	v_or_b32_e32 v13, 0x400, v10
	v_cmp_gt_u32_e64 s[20:21], s7, v13
	s_and_saveexec_b64 s[22:23], s[20:21]
	s_cbranch_execz .LBB613_61
; %bb.60:
	ds_read_u8 v15, v10 offset:2048
	s_waitcnt lgkmcnt(0)
	v_lshrrev_b32_sdwa v3, s48, v15 dst_sel:DWORD dst_unused:UNUSED_PAD src0_sel:DWORD src1_sel:BYTE_0
	v_and_b32_e32 v3, s53, v3
	v_lshlrev_b32_e32 v16, 2, v3
	ds_read_b32 v16, v16
	v_xor_b32_e32 v15, 0x80, v15
	s_waitcnt lgkmcnt(0)
	v_add_u32_e32 v13, v16, v13
	global_store_byte v13, v15, s[38:39]
.LBB613_61:
	s_or_b64 exec, exec, s[22:23]
	v_or_b32_e32 v13, 0x800, v10
	v_cmp_gt_u32_e64 s[20:21], s7, v13
	s_and_saveexec_b64 s[22:23], s[20:21]
	s_cbranch_execz .LBB613_63
; %bb.62:
	ds_read_u8 v15, v10 offset:3072
	s_waitcnt lgkmcnt(0)
	v_lshrrev_b32_sdwa v4, s48, v15 dst_sel:DWORD dst_unused:UNUSED_PAD src0_sel:DWORD src1_sel:BYTE_0
	v_and_b32_e32 v4, s53, v4
	v_lshlrev_b32_e32 v16, 2, v4
	ds_read_b32 v16, v16
	v_xor_b32_e32 v15, 0x80, v15
	s_waitcnt lgkmcnt(0)
	v_add_u32_e32 v13, v16, v13
	global_store_byte v13, v15, s[38:39]
.LBB613_63:
	s_or_b64 exec, exec, s[22:23]
	v_or_b32_e32 v13, 0xc00, v10
	v_cmp_gt_u32_e64 s[20:21], s7, v13
	s_and_saveexec_b64 s[22:23], s[20:21]
	s_cbranch_execz .LBB613_65
; %bb.64:
	ds_read_u8 v15, v10 offset:4096
	s_waitcnt lgkmcnt(0)
	v_lshrrev_b32_sdwa v5, s48, v15 dst_sel:DWORD dst_unused:UNUSED_PAD src0_sel:DWORD src1_sel:BYTE_0
	v_and_b32_e32 v5, s53, v5
	v_lshlrev_b32_e32 v16, 2, v5
	ds_read_b32 v16, v16
	v_xor_b32_e32 v15, 0x80, v15
	s_waitcnt lgkmcnt(0)
	v_add_u32_e32 v13, v16, v13
	global_store_byte v13, v15, s[38:39]
.LBB613_65:
	s_or_b64 exec, exec, s[22:23]
	v_or_b32_e32 v13, 0x1000, v10
	v_cmp_gt_u32_e64 s[20:21], s7, v13
	s_and_saveexec_b64 s[22:23], s[20:21]
	s_cbranch_execz .LBB613_67
; %bb.66:
	ds_read_u8 v15, v10 offset:5120
	s_waitcnt lgkmcnt(0)
	v_lshrrev_b32_sdwa v6, s48, v15 dst_sel:DWORD dst_unused:UNUSED_PAD src0_sel:DWORD src1_sel:BYTE_0
	v_and_b32_e32 v6, s53, v6
	v_lshlrev_b32_e32 v16, 2, v6
	ds_read_b32 v16, v16
	v_xor_b32_e32 v15, 0x80, v15
	s_waitcnt lgkmcnt(0)
	v_add_u32_e32 v13, v16, v13
	global_store_byte v13, v15, s[38:39]
.LBB613_67:
	s_or_b64 exec, exec, s[22:23]
	v_or_b32_e32 v13, 0x1400, v10
	v_cmp_gt_u32_e64 s[20:21], s7, v13
	s_and_saveexec_b64 s[22:23], s[20:21]
	s_cbranch_execz .LBB613_69
; %bb.68:
	ds_read_u8 v15, v10 offset:6144
	s_waitcnt lgkmcnt(0)
	v_lshrrev_b32_sdwa v7, s48, v15 dst_sel:DWORD dst_unused:UNUSED_PAD src0_sel:DWORD src1_sel:BYTE_0
	v_and_b32_e32 v7, s53, v7
	v_lshlrev_b32_e32 v16, 2, v7
	ds_read_b32 v16, v16
	v_xor_b32_e32 v15, 0x80, v15
	s_waitcnt lgkmcnt(0)
	v_add_u32_e32 v13, v16, v13
	global_store_byte v13, v15, s[38:39]
.LBB613_69:
	s_or_b64 exec, exec, s[22:23]
	v_or_b32_e32 v13, 0x1800, v10
	v_cmp_gt_u32_e64 s[20:21], s7, v13
	s_and_saveexec_b64 s[22:23], s[20:21]
	s_cbranch_execz .LBB613_71
; %bb.70:
	ds_read_u8 v15, v10 offset:7168
	s_waitcnt lgkmcnt(0)
	v_lshrrev_b32_sdwa v8, s48, v15 dst_sel:DWORD dst_unused:UNUSED_PAD src0_sel:DWORD src1_sel:BYTE_0
	v_and_b32_e32 v8, s53, v8
	v_lshlrev_b32_e32 v16, 2, v8
	ds_read_b32 v16, v16
	v_xor_b32_e32 v15, 0x80, v15
	s_waitcnt lgkmcnt(0)
	v_add_u32_e32 v13, v16, v13
	global_store_byte v13, v15, s[38:39]
.LBB613_71:
	s_or_b64 exec, exec, s[22:23]
	v_or_b32_e32 v13, 0x1c00, v10
	v_cmp_gt_u32_e64 s[20:21], s7, v13
	s_and_saveexec_b64 s[22:23], s[20:21]
	s_cbranch_execz .LBB613_73
; %bb.72:
	ds_read_u8 v15, v10 offset:8192
	s_waitcnt lgkmcnt(0)
	v_lshrrev_b32_sdwa v9, s48, v15 dst_sel:DWORD dst_unused:UNUSED_PAD src0_sel:DWORD src1_sel:BYTE_0
	v_and_b32_e32 v9, s53, v9
	v_lshlrev_b32_e32 v16, 2, v9
	ds_read_b32 v16, v16
	v_xor_b32_e32 v15, 0x80, v15
	s_waitcnt lgkmcnt(0)
	v_add_u32_e32 v13, v16, v13
	global_store_byte v13, v15, s[38:39]
.LBB613_73:
	s_or_b64 exec, exec, s[22:23]
	s_lshl_b64 s[20:21], s[34:35], 3
	s_add_u32 s20, s40, s20
	s_addc_u32 s21, s41, s21
	v_lshlrev_b32_e32 v13, 3, v14
	v_mov_b32_e32 v14, s21
	v_add_co_u32_e64 v13, s[20:21], s20, v13
	v_addc_co_u32_e64 v14, s[20:21], 0, v14, s[20:21]
	v_lshlrev_b32_e32 v12, 3, v12
	v_add_co_u32_e64 v28, s[20:21], v13, v12
	v_addc_co_u32_e64 v29, s[20:21], 0, v14, s[20:21]
                                        ; implicit-def: $vgpr12_vgpr13
	s_and_saveexec_b64 s[20:21], vcc
	s_xor_b64 s[20:21], exec, s[20:21]
	s_cbranch_execnz .LBB613_138
; %bb.74:
	s_or_b64 exec, exec, s[20:21]
                                        ; implicit-def: $vgpr14_vgpr15
	s_and_saveexec_b64 s[20:21], s[2:3]
	s_cbranch_execnz .LBB613_139
.LBB613_75:
	s_or_b64 exec, exec, s[20:21]
                                        ; implicit-def: $vgpr16_vgpr17
	s_and_saveexec_b64 s[2:3], s[26:27]
	s_cbranch_execnz .LBB613_140
.LBB613_76:
	s_or_b64 exec, exec, s[2:3]
                                        ; implicit-def: $vgpr18_vgpr19
	s_and_saveexec_b64 s[2:3], s[8:9]
	s_cbranch_execnz .LBB613_141
.LBB613_77:
	s_or_b64 exec, exec, s[2:3]
                                        ; implicit-def: $vgpr20_vgpr21
	s_and_saveexec_b64 s[2:3], s[10:11]
	s_cbranch_execnz .LBB613_142
.LBB613_78:
	s_or_b64 exec, exec, s[2:3]
                                        ; implicit-def: $vgpr22_vgpr23
	s_and_saveexec_b64 s[2:3], s[12:13]
	s_cbranch_execnz .LBB613_143
.LBB613_79:
	s_or_b64 exec, exec, s[2:3]
                                        ; implicit-def: $vgpr24_vgpr25
	s_and_saveexec_b64 s[2:3], s[14:15]
	s_cbranch_execnz .LBB613_144
.LBB613_80:
	s_or_b64 exec, exec, s[2:3]
                                        ; implicit-def: $vgpr26_vgpr27
	s_and_saveexec_b64 s[2:3], s[16:17]
	s_cbranch_execz .LBB613_82
.LBB613_81:
	global_load_dwordx2 v[26:27], v[28:29], off offset:3584
.LBB613_82:
	s_or_b64 exec, exec, s[2:3]
	s_movk_i32 s8, 0x400
	v_add_u32_e32 v54, 0x400, v1
	v_add3_u32 v42, v45, v53, v42
	v_add3_u32 v40, v41, v52, v40
	;; [unrolled: 1-line block ×7, first 2 shown]
	s_mov_b32 s9, 0
	v_mov_b32_e32 v29, 0
	s_mov_b32 s10, 0
	v_mov_b32_e32 v31, v10
	s_barrier
	s_waitcnt vmcnt(0)
	s_branch .LBB613_84
.LBB613_83:                             ;   in Loop: Header=BB613_84 Depth=1
	s_or_b64 exec, exec, s[2:3]
	s_addk_i32 s10, 0xf800
	s_add_i32 s9, s9, 2
	s_cmpk_eq_i32 s10, 0xe000
	v_add_u32_e32 v31, 0x800, v31
	s_barrier
	s_cbranch_scc1 .LBB613_89
.LBB613_84:                             ; =>This Inner Loop Header: Depth=1
	v_add_u32_e32 v28, s10, v46
	v_min_u32_e32 v28, 0x800, v28
	v_lshlrev_b32_e32 v28, 3, v28
	ds_write_b64 v28, v[12:13] offset:1024
	v_add_u32_e32 v28, s10, v11
	v_min_u32_e32 v28, 0x800, v28
	v_lshlrev_b32_e32 v28, 3, v28
	ds_write_b64 v28, v[14:15] offset:1024
	;; [unrolled: 4-line block ×7, first 2 shown]
	v_add_u32_e32 v28, s10, v42
	v_min_u32_e32 v28, 0x800, v28
	v_lshlrev_b32_e32 v28, 3, v28
	v_cmp_gt_u32_e32 vcc, s7, v31
	ds_write_b64 v28, v[26:27] offset:1024
	s_waitcnt lgkmcnt(0)
	s_barrier
	s_and_saveexec_b64 s[2:3], vcc
	s_cbranch_execz .LBB613_86
; %bb.85:                               ;   in Loop: Header=BB613_84 Depth=1
	s_cmp_eq_u32 s9, 1
	s_cselect_b64 vcc, -1, 0
	s_cmp_eq_u32 s9, 2
	v_cndmask_b32_e32 v28, v2, v3, vcc
	s_cselect_b64 vcc, -1, 0
	s_cmp_eq_u32 s9, 3
	v_cndmask_b32_e32 v28, v28, v4, vcc
	;; [unrolled: 3-line block ×6, first 2 shown]
	s_cselect_b64 vcc, -1, 0
	v_cndmask_b32_e32 v28, v28, v9, vcc
	v_lshlrev_b32_e32 v28, 2, v28
	ds_read_b32 v28, v28
	ds_read_b64 v[48:49], v1 offset:1024
	s_waitcnt lgkmcnt(1)
	v_add_u32_e32 v28, v31, v28
	v_lshlrev_b64 v[50:51], 3, v[28:29]
	v_mov_b32_e32 v28, s43
	v_add_co_u32_e32 v50, vcc, s42, v50
	v_addc_co_u32_e32 v51, vcc, v28, v51, vcc
	s_waitcnt lgkmcnt(0)
	global_store_dwordx2 v[50:51], v[48:49], off
.LBB613_86:                             ;   in Loop: Header=BB613_84 Depth=1
	s_or_b64 exec, exec, s[2:3]
	v_add_u32_e32 v28, 0x400, v31
	v_cmp_gt_u32_e32 vcc, s7, v28
	s_and_saveexec_b64 s[2:3], vcc
	s_cbranch_execz .LBB613_83
; %bb.87:                               ;   in Loop: Header=BB613_84 Depth=1
	s_add_i32 s11, s9, 1
	s_cmp_eq_u32 s11, 1
	s_cselect_b64 vcc, -1, 0
	s_cmp_eq_u32 s11, 2
	v_cndmask_b32_e32 v28, v2, v3, vcc
	s_cselect_b64 vcc, -1, 0
	s_cmp_eq_u32 s11, 3
	v_cndmask_b32_e32 v28, v28, v4, vcc
	;; [unrolled: 3-line block ×6, first 2 shown]
	s_cselect_b64 vcc, -1, 0
	v_cndmask_b32_e32 v28, v28, v9, vcc
	v_lshlrev_b32_e32 v28, 2, v28
	ds_read_b32 v28, v28
	ds_read_b64 v[48:49], v54 offset:8192
	s_waitcnt lgkmcnt(1)
	v_add3_u32 v28, v31, v28, s8
	v_lshlrev_b64 v[50:51], 3, v[28:29]
	v_mov_b32_e32 v28, s43
	v_add_co_u32_e32 v50, vcc, s42, v50
	v_addc_co_u32_e32 v51, vcc, v28, v51, vcc
	s_waitcnt lgkmcnt(0)
	global_store_dwordx2 v[50:51], v[48:49], off
	s_branch .LBB613_83
.LBB613_88:
	s_mov_b64 s[10:11], 0
                                        ; implicit-def: $vgpr2
                                        ; implicit-def: $vgpr14_vgpr15
	s_cbranch_execnz .LBB613_92
	s_branch .LBB613_135
.LBB613_89:
	s_add_i32 s52, s52, -1
	s_cmp_eq_u32 s52, s33
	s_cselect_b64 s[2:3], -1, 0
	s_and_b64 s[8:9], s[18:19], s[2:3]
	s_mov_b64 s[2:3], 0
	s_mov_b64 s[10:11], 0
                                        ; implicit-def: $vgpr2
                                        ; implicit-def: $vgpr14_vgpr15
	s_and_saveexec_b64 s[12:13], s[8:9]
	s_xor_b64 s[8:9], exec, s[12:13]
; %bb.90:
	v_mov_b32_e32 v11, 0
	s_mov_b64 s[10:11], exec
	v_add_u32_e32 v2, v43, v44
	v_pk_mov_b32 v[14:15], v[10:11], v[10:11] op_sel:[0,1]
; %bb.91:
	s_or_b64 exec, exec, s[8:9]
	s_and_b64 vcc, exec, s[2:3]
	s_cbranch_vccz .LBB613_135
.LBB613_92:
	s_lshl_b32 s12, s33, 13
	v_mbcnt_hi_u32_b32 v5, -1, v30
	s_add_u32 s2, s36, s12
	v_and_b32_e32 v12, 63, v5
	v_add_co_u32_e32 v3, vcc, s2, v12
	s_load_dword s16, s[4:5], 0x58
	s_load_dword s2, s[4:5], 0x64
	s_addc_u32 s3, s37, 0
	v_and_b32_e32 v8, 0x1e00, v1
	v_mov_b32_e32 v1, s3
	v_addc_co_u32_e32 v1, vcc, 0, v1, vcc
	s_add_u32 s3, s4, 0x58
	v_add_co_u32_e32 v14, vcc, v3, v8
	s_addc_u32 s4, s5, 0
	s_waitcnt lgkmcnt(0)
	s_lshr_b32 s5, s2, 16
	v_addc_co_u32_e32 v15, vcc, 0, v1, vcc
	s_cmp_lt_u32 s6, s16
	global_load_ubyte v1, v[14:15], off
	s_cselect_b32 s2, 12, 18
	s_add_u32 s2, s3, s2
	v_mov_b32_e32 v2, 0
	s_addc_u32 s3, s4, 0
	global_load_ushort v7, v2, s[2:3]
	v_mul_u32_u24_e32 v4, 5, v10
	v_lshlrev_b32_e32 v6, 2, v4
	ds_write2_b32 v6, v2, v2 offset0:16 offset1:17
	ds_write2_b32 v6, v2, v2 offset0:18 offset1:19
	ds_write_b32 v6, v2 offset:80
	global_load_ubyte v9, v[14:15], off offset:64
	global_load_ubyte v16, v[14:15], off offset:128
	;; [unrolled: 1-line block ×7, first 2 shown]
	s_lshl_b32 s2, -1, s49
	v_bfe_u32 v3, v0, 10, 10
	v_bfe_u32 v0, v0, 20, 10
	s_not_b32 s17, s2
	v_mad_u32_u24 v0, v0, s5, v3
	s_mov_b32 s13, 0
	s_waitcnt lgkmcnt(0)
	s_barrier
	s_waitcnt lgkmcnt(0)
	; wave barrier
	s_waitcnt vmcnt(8)
	v_xor_b32_e32 v4, 0x80, v1
	v_lshrrev_b32_e32 v1, s48, v4
	v_and_b32_e32 v11, s17, v1
	v_and_b32_e32 v14, 1, v11
	v_lshlrev_b32_e32 v3, 30, v11
	s_waitcnt vmcnt(7)
	v_mad_u64_u32 v[0:1], s[2:3], v0, v7, v[10:11]
	v_add_co_u32_e32 v1, vcc, -1, v14
	v_addc_co_u32_e64 v7, s[2:3], 0, -1, vcc
	v_cmp_ne_u32_e32 vcc, 0, v14
	v_cmp_gt_i64_e64 s[2:3], 0, v[2:3]
	v_not_b32_e32 v14, v3
	v_lshlrev_b32_e32 v3, 29, v11
	v_mul_u32_u24_e32 v13, 17, v11
	v_lshrrev_b32_e32 v25, 6, v0
	v_xor_b32_e32 v0, vcc_hi, v7
	v_xor_b32_e32 v1, vcc_lo, v1
	v_ashrrev_i32_e32 v14, 31, v14
	v_cmp_gt_i64_e32 vcc, 0, v[2:3]
	v_not_b32_e32 v15, v3
	v_lshlrev_b32_e32 v3, 28, v11
	v_add_lshl_u32 v7, v25, v13, 2
	v_and_b32_e32 v0, exec_hi, v0
	v_and_b32_e32 v1, exec_lo, v1
	v_xor_b32_e32 v13, s3, v14
	v_xor_b32_e32 v14, s2, v14
	v_ashrrev_i32_e32 v15, 31, v15
	v_cmp_gt_i64_e64 s[2:3], 0, v[2:3]
	v_not_b32_e32 v17, v3
	v_lshlrev_b32_e32 v3, 27, v11
	v_and_b32_e32 v0, v0, v13
	v_and_b32_e32 v1, v1, v14
	v_xor_b32_e32 v13, vcc_hi, v15
	v_xor_b32_e32 v14, vcc_lo, v15
	v_ashrrev_i32_e32 v15, 31, v17
	v_cmp_gt_i64_e32 vcc, 0, v[2:3]
	v_not_b32_e32 v3, v3
	v_and_b32_e32 v0, v0, v13
	v_and_b32_e32 v1, v1, v14
	v_xor_b32_e32 v13, s3, v15
	v_xor_b32_e32 v14, s2, v15
	v_ashrrev_i32_e32 v3, 31, v3
	v_and_b32_e32 v0, v0, v13
	v_and_b32_e32 v1, v1, v14
	v_xor_b32_e32 v13, vcc_hi, v3
	v_xor_b32_e32 v3, vcc_lo, v3
	v_and_b32_e32 v1, v1, v3
	v_lshlrev_b32_e32 v3, 26, v11
	v_cmp_gt_i64_e32 vcc, 0, v[2:3]
	v_not_b32_e32 v3, v3
	v_ashrrev_i32_e32 v3, 31, v3
	v_and_b32_e32 v0, v0, v13
	v_xor_b32_e32 v13, vcc_hi, v3
	v_xor_b32_e32 v3, vcc_lo, v3
	v_and_b32_e32 v1, v1, v3
	v_lshlrev_b32_e32 v3, 25, v11
	v_cmp_gt_i64_e32 vcc, 0, v[2:3]
	v_not_b32_e32 v3, v3
	v_ashrrev_i32_e32 v3, 31, v3
	v_and_b32_e32 v0, v0, v13
	v_xor_b32_e32 v13, vcc_hi, v3
	v_xor_b32_e32 v3, vcc_lo, v3
	v_and_b32_e32 v0, v0, v13
	v_and_b32_e32 v13, v1, v3
	v_lshlrev_b32_e32 v3, 24, v11
	v_not_b32_e32 v1, v3
	v_cmp_gt_i64_e32 vcc, 0, v[2:3]
	v_ashrrev_i32_e32 v1, 31, v1
	v_xor_b32_e32 v3, vcc_hi, v1
	v_xor_b32_e32 v11, vcc_lo, v1
	v_and_b32_e32 v1, v0, v3
	v_and_b32_e32 v0, v13, v11
	v_mbcnt_lo_u32_b32 v3, v0, 0
	v_mbcnt_hi_u32_b32 v11, v1, v3
	v_cmp_eq_u32_e32 vcc, 0, v11
	v_cmp_ne_u64_e64 s[2:3], 0, v[0:1]
	s_and_b64 s[4:5], s[2:3], vcc
	s_and_saveexec_b64 s[2:3], s[4:5]
	s_cbranch_execz .LBB613_94
; %bb.93:
	v_bcnt_u32_b32 v0, v0, 0
	v_bcnt_u32_b32 v0, v1, v0
	ds_write_b32 v7, v0 offset:64
.LBB613_94:
	s_or_b64 exec, exec, s[2:3]
	s_waitcnt vmcnt(6)
	v_xor_b32_e32 v14, 0xffffff80, v9
	v_lshrrev_b32_sdwa v0, s48, v14 dst_sel:DWORD dst_unused:UNUSED_PAD src0_sel:DWORD src1_sel:BYTE_0
	v_and_b32_e32 v0, s17, v0
	v_mul_u32_u24_e32 v1, 17, v0
	v_add_lshl_u32 v15, v25, v1, 2
	v_and_b32_e32 v1, 1, v0
	v_add_co_u32_e32 v3, vcc, -1, v1
	v_addc_co_u32_e64 v13, s[2:3], 0, -1, vcc
	v_cmp_ne_u32_e32 vcc, 0, v1
	v_xor_b32_e32 v3, vcc_lo, v3
	v_xor_b32_e32 v1, vcc_hi, v13
	v_and_b32_e32 v13, exec_lo, v3
	v_lshlrev_b32_e32 v3, 30, v0
	v_cmp_gt_i64_e32 vcc, 0, v[2:3]
	v_not_b32_e32 v3, v3
	v_ashrrev_i32_e32 v3, 31, v3
	v_xor_b32_e32 v17, vcc_hi, v3
	v_xor_b32_e32 v3, vcc_lo, v3
	v_and_b32_e32 v13, v13, v3
	v_lshlrev_b32_e32 v3, 29, v0
	v_cmp_gt_i64_e32 vcc, 0, v[2:3]
	v_not_b32_e32 v3, v3
	v_and_b32_e32 v1, exec_hi, v1
	v_ashrrev_i32_e32 v3, 31, v3
	v_and_b32_e32 v1, v1, v17
	v_xor_b32_e32 v17, vcc_hi, v3
	v_xor_b32_e32 v3, vcc_lo, v3
	v_and_b32_e32 v13, v13, v3
	v_lshlrev_b32_e32 v3, 28, v0
	v_cmp_gt_i64_e32 vcc, 0, v[2:3]
	v_not_b32_e32 v3, v3
	v_ashrrev_i32_e32 v3, 31, v3
	v_and_b32_e32 v1, v1, v17
	v_xor_b32_e32 v17, vcc_hi, v3
	v_xor_b32_e32 v3, vcc_lo, v3
	v_and_b32_e32 v13, v13, v3
	v_lshlrev_b32_e32 v3, 27, v0
	v_cmp_gt_i64_e32 vcc, 0, v[2:3]
	v_not_b32_e32 v3, v3
	;; [unrolled: 8-line block ×4, first 2 shown]
	v_ashrrev_i32_e32 v3, 31, v3
	v_and_b32_e32 v1, v1, v17
	v_xor_b32_e32 v17, vcc_hi, v3
	v_xor_b32_e32 v3, vcc_lo, v3
	v_and_b32_e32 v13, v13, v3
	v_lshlrev_b32_e32 v3, 24, v0
	v_not_b32_e32 v0, v3
	v_cmp_gt_i64_e32 vcc, 0, v[2:3]
	v_ashrrev_i32_e32 v0, 31, v0
	v_xor_b32_e32 v2, vcc_hi, v0
	v_xor_b32_e32 v0, vcc_lo, v0
	; wave barrier
	ds_read_b32 v9, v15 offset:64
	v_and_b32_e32 v1, v1, v17
	v_and_b32_e32 v0, v13, v0
	;; [unrolled: 1-line block ×3, first 2 shown]
	v_mbcnt_lo_u32_b32 v2, v0, 0
	v_mbcnt_hi_u32_b32 v13, v1, v2
	v_cmp_eq_u32_e32 vcc, 0, v13
	v_cmp_ne_u64_e64 s[2:3], 0, v[0:1]
	s_and_b64 s[4:5], s[2:3], vcc
	; wave barrier
	s_and_saveexec_b64 s[2:3], s[4:5]
	s_cbranch_execz .LBB613_96
; %bb.95:
	v_bcnt_u32_b32 v0, v0, 0
	v_bcnt_u32_b32 v0, v1, v0
	s_waitcnt lgkmcnt(0)
	v_add_u32_e32 v0, v9, v0
	ds_write_b32 v15, v0 offset:64
.LBB613_96:
	s_or_b64 exec, exec, s[2:3]
	s_waitcnt vmcnt(5)
	v_xor_b32_e32 v22, 0xffffff80, v16
	v_lshrrev_b32_sdwa v0, s48, v22 dst_sel:DWORD dst_unused:UNUSED_PAD src0_sel:DWORD src1_sel:BYTE_0
	v_and_b32_e32 v2, s17, v0
	v_and_b32_e32 v1, 1, v2
	v_add_co_u32_e32 v3, vcc, -1, v1
	v_addc_co_u32_e64 v17, s[2:3], 0, -1, vcc
	v_cmp_ne_u32_e32 vcc, 0, v1
	v_mul_u32_u24_e32 v0, 17, v2
	v_xor_b32_e32 v1, vcc_hi, v17
	v_add_lshl_u32 v26, v25, v0, 2
	v_mov_b32_e32 v0, 0
	v_and_b32_e32 v17, exec_hi, v1
	v_lshlrev_b32_e32 v1, 30, v2
	v_xor_b32_e32 v3, vcc_lo, v3
	v_cmp_gt_i64_e32 vcc, 0, v[0:1]
	v_not_b32_e32 v1, v1
	v_ashrrev_i32_e32 v1, 31, v1
	v_and_b32_e32 v3, exec_lo, v3
	v_xor_b32_e32 v19, vcc_hi, v1
	v_xor_b32_e32 v1, vcc_lo, v1
	v_and_b32_e32 v3, v3, v1
	v_lshlrev_b32_e32 v1, 29, v2
	v_cmp_gt_i64_e32 vcc, 0, v[0:1]
	v_not_b32_e32 v1, v1
	v_ashrrev_i32_e32 v1, 31, v1
	v_and_b32_e32 v17, v17, v19
	v_xor_b32_e32 v19, vcc_hi, v1
	v_xor_b32_e32 v1, vcc_lo, v1
	v_and_b32_e32 v3, v3, v1
	v_lshlrev_b32_e32 v1, 28, v2
	v_cmp_gt_i64_e32 vcc, 0, v[0:1]
	v_not_b32_e32 v1, v1
	v_ashrrev_i32_e32 v1, 31, v1
	v_and_b32_e32 v17, v17, v19
	;; [unrolled: 8-line block ×5, first 2 shown]
	v_xor_b32_e32 v19, vcc_hi, v1
	v_xor_b32_e32 v1, vcc_lo, v1
	v_and_b32_e32 v17, v17, v19
	v_and_b32_e32 v19, v3, v1
	v_lshlrev_b32_e32 v1, 24, v2
	v_cmp_gt_i64_e32 vcc, 0, v[0:1]
	v_not_b32_e32 v1, v1
	v_ashrrev_i32_e32 v1, 31, v1
	v_xor_b32_e32 v2, vcc_hi, v1
	v_xor_b32_e32 v1, vcc_lo, v1
	; wave barrier
	ds_read_b32 v16, v26 offset:64
	v_and_b32_e32 v3, v17, v2
	v_and_b32_e32 v2, v19, v1
	v_mbcnt_lo_u32_b32 v1, v2, 0
	v_mbcnt_hi_u32_b32 v17, v3, v1
	v_cmp_eq_u32_e32 vcc, 0, v17
	v_cmp_ne_u64_e64 s[2:3], 0, v[2:3]
	s_and_b64 s[4:5], s[2:3], vcc
	; wave barrier
	s_and_saveexec_b64 s[2:3], s[4:5]
	s_cbranch_execz .LBB613_98
; %bb.97:
	v_bcnt_u32_b32 v1, v2, 0
	v_bcnt_u32_b32 v1, v3, v1
	s_waitcnt lgkmcnt(0)
	v_add_u32_e32 v1, v16, v1
	ds_write_b32 v26, v1 offset:64
.LBB613_98:
	s_or_b64 exec, exec, s[2:3]
	s_waitcnt vmcnt(4)
	v_xor_b32_e32 v28, 0xffffff80, v18
	v_lshrrev_b32_sdwa v1, s48, v28 dst_sel:DWORD dst_unused:UNUSED_PAD src0_sel:DWORD src1_sel:BYTE_0
	v_and_b32_e32 v2, s17, v1
	v_mul_u32_u24_e32 v1, 17, v2
	v_add_lshl_u32 v30, v25, v1, 2
	v_and_b32_e32 v1, 1, v2
	v_add_co_u32_e32 v3, vcc, -1, v1
	v_addc_co_u32_e64 v19, s[2:3], 0, -1, vcc
	v_cmp_ne_u32_e32 vcc, 0, v1
	v_xor_b32_e32 v1, vcc_hi, v19
	v_and_b32_e32 v19, exec_hi, v1
	v_lshlrev_b32_e32 v1, 30, v2
	v_xor_b32_e32 v3, vcc_lo, v3
	v_cmp_gt_i64_e32 vcc, 0, v[0:1]
	v_not_b32_e32 v1, v1
	v_ashrrev_i32_e32 v1, 31, v1
	v_and_b32_e32 v3, exec_lo, v3
	v_xor_b32_e32 v21, vcc_hi, v1
	v_xor_b32_e32 v1, vcc_lo, v1
	v_and_b32_e32 v3, v3, v1
	v_lshlrev_b32_e32 v1, 29, v2
	v_cmp_gt_i64_e32 vcc, 0, v[0:1]
	v_not_b32_e32 v1, v1
	v_ashrrev_i32_e32 v1, 31, v1
	v_and_b32_e32 v19, v19, v21
	v_xor_b32_e32 v21, vcc_hi, v1
	v_xor_b32_e32 v1, vcc_lo, v1
	v_and_b32_e32 v3, v3, v1
	v_lshlrev_b32_e32 v1, 28, v2
	v_cmp_gt_i64_e32 vcc, 0, v[0:1]
	v_not_b32_e32 v1, v1
	v_ashrrev_i32_e32 v1, 31, v1
	v_and_b32_e32 v19, v19, v21
	;; [unrolled: 8-line block ×5, first 2 shown]
	v_xor_b32_e32 v21, vcc_hi, v1
	v_xor_b32_e32 v1, vcc_lo, v1
	v_and_b32_e32 v3, v3, v1
	v_lshlrev_b32_e32 v1, 24, v2
	v_cmp_gt_i64_e32 vcc, 0, v[0:1]
	v_not_b32_e32 v0, v1
	v_ashrrev_i32_e32 v0, 31, v0
	v_xor_b32_e32 v1, vcc_hi, v0
	v_xor_b32_e32 v0, vcc_lo, v0
	; wave barrier
	ds_read_b32 v18, v30 offset:64
	v_and_b32_e32 v19, v19, v21
	v_and_b32_e32 v0, v3, v0
	;; [unrolled: 1-line block ×3, first 2 shown]
	v_mbcnt_lo_u32_b32 v2, v0, 0
	v_mbcnt_hi_u32_b32 v19, v1, v2
	v_cmp_eq_u32_e32 vcc, 0, v19
	v_cmp_ne_u64_e64 s[2:3], 0, v[0:1]
	s_and_b64 s[4:5], s[2:3], vcc
	; wave barrier
	s_and_saveexec_b64 s[2:3], s[4:5]
	s_cbranch_execz .LBB613_100
; %bb.99:
	v_bcnt_u32_b32 v0, v0, 0
	v_bcnt_u32_b32 v0, v1, v0
	s_waitcnt lgkmcnt(0)
	v_add_u32_e32 v0, v18, v0
	ds_write_b32 v30, v0 offset:64
.LBB613_100:
	s_or_b64 exec, exec, s[2:3]
	s_waitcnt vmcnt(3)
	v_xor_b32_e32 v32, 0xffffff80, v20
	v_lshrrev_b32_sdwa v0, s48, v32 dst_sel:DWORD dst_unused:UNUSED_PAD src0_sel:DWORD src1_sel:BYTE_0
	v_and_b32_e32 v2, s17, v0
	v_and_b32_e32 v1, 1, v2
	v_add_co_u32_e32 v3, vcc, -1, v1
	v_addc_co_u32_e64 v21, s[2:3], 0, -1, vcc
	v_cmp_ne_u32_e32 vcc, 0, v1
	v_mul_u32_u24_e32 v0, 17, v2
	v_xor_b32_e32 v1, vcc_hi, v21
	v_add_lshl_u32 v33, v25, v0, 2
	v_mov_b32_e32 v0, 0
	v_and_b32_e32 v21, exec_hi, v1
	v_lshlrev_b32_e32 v1, 30, v2
	v_xor_b32_e32 v3, vcc_lo, v3
	v_cmp_gt_i64_e32 vcc, 0, v[0:1]
	v_not_b32_e32 v1, v1
	v_ashrrev_i32_e32 v1, 31, v1
	v_and_b32_e32 v3, exec_lo, v3
	v_xor_b32_e32 v27, vcc_hi, v1
	v_xor_b32_e32 v1, vcc_lo, v1
	v_and_b32_e32 v3, v3, v1
	v_lshlrev_b32_e32 v1, 29, v2
	v_cmp_gt_i64_e32 vcc, 0, v[0:1]
	v_not_b32_e32 v1, v1
	v_ashrrev_i32_e32 v1, 31, v1
	v_and_b32_e32 v21, v21, v27
	v_xor_b32_e32 v27, vcc_hi, v1
	v_xor_b32_e32 v1, vcc_lo, v1
	v_and_b32_e32 v3, v3, v1
	v_lshlrev_b32_e32 v1, 28, v2
	v_cmp_gt_i64_e32 vcc, 0, v[0:1]
	v_not_b32_e32 v1, v1
	v_ashrrev_i32_e32 v1, 31, v1
	v_and_b32_e32 v21, v21, v27
	;; [unrolled: 8-line block ×5, first 2 shown]
	v_xor_b32_e32 v27, vcc_hi, v1
	v_xor_b32_e32 v1, vcc_lo, v1
	v_and_b32_e32 v21, v21, v27
	v_and_b32_e32 v27, v3, v1
	v_lshlrev_b32_e32 v1, 24, v2
	v_cmp_gt_i64_e32 vcc, 0, v[0:1]
	v_not_b32_e32 v1, v1
	v_ashrrev_i32_e32 v1, 31, v1
	v_xor_b32_e32 v2, vcc_hi, v1
	v_xor_b32_e32 v1, vcc_lo, v1
	; wave barrier
	ds_read_b32 v20, v33 offset:64
	v_and_b32_e32 v3, v21, v2
	v_and_b32_e32 v2, v27, v1
	v_mbcnt_lo_u32_b32 v1, v2, 0
	v_mbcnt_hi_u32_b32 v21, v3, v1
	v_cmp_eq_u32_e32 vcc, 0, v21
	v_cmp_ne_u64_e64 s[2:3], 0, v[2:3]
	s_and_b64 s[4:5], s[2:3], vcc
	; wave barrier
	s_and_saveexec_b64 s[2:3], s[4:5]
	s_cbranch_execz .LBB613_102
; %bb.101:
	v_bcnt_u32_b32 v1, v2, 0
	v_bcnt_u32_b32 v1, v3, v1
	s_waitcnt lgkmcnt(0)
	v_add_u32_e32 v1, v20, v1
	ds_write_b32 v33, v1 offset:64
.LBB613_102:
	s_or_b64 exec, exec, s[2:3]
	s_waitcnt vmcnt(2)
	v_xor_b32_e32 v34, 0xffffff80, v23
	v_lshrrev_b32_sdwa v1, s48, v34 dst_sel:DWORD dst_unused:UNUSED_PAD src0_sel:DWORD src1_sel:BYTE_0
	v_and_b32_e32 v2, s17, v1
	v_mul_u32_u24_e32 v1, 17, v2
	v_add_lshl_u32 v35, v25, v1, 2
	v_and_b32_e32 v1, 1, v2
	v_add_co_u32_e32 v3, vcc, -1, v1
	v_addc_co_u32_e64 v27, s[2:3], 0, -1, vcc
	v_cmp_ne_u32_e32 vcc, 0, v1
	v_xor_b32_e32 v1, vcc_hi, v27
	v_and_b32_e32 v27, exec_hi, v1
	v_lshlrev_b32_e32 v1, 30, v2
	v_xor_b32_e32 v3, vcc_lo, v3
	v_cmp_gt_i64_e32 vcc, 0, v[0:1]
	v_not_b32_e32 v1, v1
	v_ashrrev_i32_e32 v1, 31, v1
	v_and_b32_e32 v3, exec_lo, v3
	v_xor_b32_e32 v31, vcc_hi, v1
	v_xor_b32_e32 v1, vcc_lo, v1
	v_and_b32_e32 v3, v3, v1
	v_lshlrev_b32_e32 v1, 29, v2
	v_cmp_gt_i64_e32 vcc, 0, v[0:1]
	v_not_b32_e32 v1, v1
	v_ashrrev_i32_e32 v1, 31, v1
	v_and_b32_e32 v27, v27, v31
	v_xor_b32_e32 v31, vcc_hi, v1
	v_xor_b32_e32 v1, vcc_lo, v1
	v_and_b32_e32 v3, v3, v1
	v_lshlrev_b32_e32 v1, 28, v2
	v_cmp_gt_i64_e32 vcc, 0, v[0:1]
	v_not_b32_e32 v1, v1
	v_ashrrev_i32_e32 v1, 31, v1
	v_and_b32_e32 v27, v27, v31
	;; [unrolled: 8-line block ×5, first 2 shown]
	v_xor_b32_e32 v31, vcc_hi, v1
	v_xor_b32_e32 v1, vcc_lo, v1
	v_and_b32_e32 v3, v3, v1
	v_lshlrev_b32_e32 v1, 24, v2
	v_cmp_gt_i64_e32 vcc, 0, v[0:1]
	v_not_b32_e32 v0, v1
	v_ashrrev_i32_e32 v0, 31, v0
	v_xor_b32_e32 v1, vcc_hi, v0
	v_xor_b32_e32 v0, vcc_lo, v0
	; wave barrier
	ds_read_b32 v23, v35 offset:64
	v_and_b32_e32 v27, v27, v31
	v_and_b32_e32 v0, v3, v0
	;; [unrolled: 1-line block ×3, first 2 shown]
	v_mbcnt_lo_u32_b32 v2, v0, 0
	v_mbcnt_hi_u32_b32 v27, v1, v2
	v_cmp_eq_u32_e32 vcc, 0, v27
	v_cmp_ne_u64_e64 s[2:3], 0, v[0:1]
	s_and_b64 s[4:5], s[2:3], vcc
	; wave barrier
	s_and_saveexec_b64 s[2:3], s[4:5]
	s_cbranch_execz .LBB613_104
; %bb.103:
	v_bcnt_u32_b32 v0, v0, 0
	v_bcnt_u32_b32 v0, v1, v0
	s_waitcnt lgkmcnt(0)
	v_add_u32_e32 v0, v23, v0
	ds_write_b32 v35, v0 offset:64
.LBB613_104:
	s_or_b64 exec, exec, s[2:3]
	s_waitcnt vmcnt(1)
	v_xor_b32_e32 v36, 0xffffff80, v29
	v_lshrrev_b32_sdwa v0, s48, v36 dst_sel:DWORD dst_unused:UNUSED_PAD src0_sel:DWORD src1_sel:BYTE_0
	v_and_b32_e32 v2, s17, v0
	v_and_b32_e32 v1, 1, v2
	v_add_co_u32_e32 v3, vcc, -1, v1
	v_addc_co_u32_e64 v31, s[2:3], 0, -1, vcc
	v_cmp_ne_u32_e32 vcc, 0, v1
	v_mul_u32_u24_e32 v0, 17, v2
	v_xor_b32_e32 v1, vcc_hi, v31
	v_add_lshl_u32 v41, v25, v0, 2
	v_mov_b32_e32 v0, 0
	v_and_b32_e32 v31, exec_hi, v1
	v_lshlrev_b32_e32 v1, 30, v2
	v_xor_b32_e32 v3, vcc_lo, v3
	v_cmp_gt_i64_e32 vcc, 0, v[0:1]
	v_not_b32_e32 v1, v1
	v_ashrrev_i32_e32 v1, 31, v1
	v_and_b32_e32 v3, exec_lo, v3
	v_xor_b32_e32 v37, vcc_hi, v1
	v_xor_b32_e32 v1, vcc_lo, v1
	v_and_b32_e32 v3, v3, v1
	v_lshlrev_b32_e32 v1, 29, v2
	v_cmp_gt_i64_e32 vcc, 0, v[0:1]
	v_not_b32_e32 v1, v1
	v_ashrrev_i32_e32 v1, 31, v1
	v_and_b32_e32 v31, v31, v37
	v_xor_b32_e32 v37, vcc_hi, v1
	v_xor_b32_e32 v1, vcc_lo, v1
	v_and_b32_e32 v3, v3, v1
	v_lshlrev_b32_e32 v1, 28, v2
	v_cmp_gt_i64_e32 vcc, 0, v[0:1]
	v_not_b32_e32 v1, v1
	v_ashrrev_i32_e32 v1, 31, v1
	v_and_b32_e32 v31, v31, v37
	v_xor_b32_e32 v37, vcc_hi, v1
	v_xor_b32_e32 v1, vcc_lo, v1
	v_and_b32_e32 v3, v3, v1
	v_lshlrev_b32_e32 v1, 27, v2
	v_cmp_gt_i64_e32 vcc, 0, v[0:1]
	v_not_b32_e32 v1, v1
	v_ashrrev_i32_e32 v1, 31, v1
	v_and_b32_e32 v31, v31, v37
	v_xor_b32_e32 v37, vcc_hi, v1
	v_xor_b32_e32 v1, vcc_lo, v1
	v_and_b32_e32 v3, v3, v1
	v_lshlrev_b32_e32 v1, 26, v2
	v_cmp_gt_i64_e32 vcc, 0, v[0:1]
	v_not_b32_e32 v1, v1
	v_ashrrev_i32_e32 v1, 31, v1
	v_and_b32_e32 v31, v31, v37
	v_xor_b32_e32 v37, vcc_hi, v1
	v_xor_b32_e32 v1, vcc_lo, v1
	v_and_b32_e32 v3, v3, v1
	v_lshlrev_b32_e32 v1, 25, v2
	v_cmp_gt_i64_e32 vcc, 0, v[0:1]
	v_not_b32_e32 v1, v1
	v_ashrrev_i32_e32 v1, 31, v1
	v_and_b32_e32 v31, v31, v37
	v_xor_b32_e32 v37, vcc_hi, v1
	v_xor_b32_e32 v1, vcc_lo, v1
	v_and_b32_e32 v31, v31, v37
	v_and_b32_e32 v37, v3, v1
	v_lshlrev_b32_e32 v1, 24, v2
	v_cmp_gt_i64_e32 vcc, 0, v[0:1]
	v_not_b32_e32 v1, v1
	v_ashrrev_i32_e32 v1, 31, v1
	v_xor_b32_e32 v2, vcc_hi, v1
	v_xor_b32_e32 v1, vcc_lo, v1
	; wave barrier
	ds_read_b32 v29, v41 offset:64
	v_and_b32_e32 v3, v31, v2
	v_and_b32_e32 v2, v37, v1
	v_mbcnt_lo_u32_b32 v1, v2, 0
	v_mbcnt_hi_u32_b32 v31, v3, v1
	v_cmp_eq_u32_e32 vcc, 0, v31
	v_cmp_ne_u64_e64 s[2:3], 0, v[2:3]
	s_and_b64 s[4:5], s[2:3], vcc
	; wave barrier
	s_and_saveexec_b64 s[2:3], s[4:5]
	s_cbranch_execz .LBB613_106
; %bb.105:
	v_bcnt_u32_b32 v1, v2, 0
	v_bcnt_u32_b32 v1, v3, v1
	s_waitcnt lgkmcnt(0)
	v_add_u32_e32 v1, v29, v1
	ds_write_b32 v41, v1 offset:64
.LBB613_106:
	s_or_b64 exec, exec, s[2:3]
	s_waitcnt vmcnt(0)
	v_xor_b32_e32 v43, 0xffffff80, v24
	v_lshrrev_b32_sdwa v1, s48, v43 dst_sel:DWORD dst_unused:UNUSED_PAD src0_sel:DWORD src1_sel:BYTE_0
	v_and_b32_e32 v2, s17, v1
	v_mul_u32_u24_e32 v1, 17, v2
	v_add_lshl_u32 v42, v25, v1, 2
	v_and_b32_e32 v1, 1, v2
	v_add_co_u32_e32 v3, vcc, -1, v1
	v_addc_co_u32_e64 v25, s[2:3], 0, -1, vcc
	v_cmp_ne_u32_e32 vcc, 0, v1
	v_xor_b32_e32 v1, vcc_hi, v25
	v_and_b32_e32 v25, exec_hi, v1
	v_lshlrev_b32_e32 v1, 30, v2
	v_xor_b32_e32 v3, vcc_lo, v3
	v_cmp_gt_i64_e32 vcc, 0, v[0:1]
	v_not_b32_e32 v1, v1
	v_ashrrev_i32_e32 v1, 31, v1
	v_and_b32_e32 v3, exec_lo, v3
	v_xor_b32_e32 v38, vcc_hi, v1
	v_xor_b32_e32 v1, vcc_lo, v1
	v_and_b32_e32 v3, v3, v1
	v_lshlrev_b32_e32 v1, 29, v2
	v_cmp_gt_i64_e32 vcc, 0, v[0:1]
	v_not_b32_e32 v1, v1
	v_ashrrev_i32_e32 v1, 31, v1
	v_and_b32_e32 v25, v25, v38
	v_xor_b32_e32 v38, vcc_hi, v1
	v_xor_b32_e32 v1, vcc_lo, v1
	v_and_b32_e32 v3, v3, v1
	v_lshlrev_b32_e32 v1, 28, v2
	v_cmp_gt_i64_e32 vcc, 0, v[0:1]
	v_not_b32_e32 v1, v1
	v_ashrrev_i32_e32 v1, 31, v1
	v_and_b32_e32 v25, v25, v38
	v_xor_b32_e32 v38, vcc_hi, v1
	v_xor_b32_e32 v1, vcc_lo, v1
	v_and_b32_e32 v3, v3, v1
	v_lshlrev_b32_e32 v1, 27, v2
	v_cmp_gt_i64_e32 vcc, 0, v[0:1]
	v_not_b32_e32 v1, v1
	v_ashrrev_i32_e32 v1, 31, v1
	v_and_b32_e32 v25, v25, v38
	v_xor_b32_e32 v38, vcc_hi, v1
	v_xor_b32_e32 v1, vcc_lo, v1
	v_and_b32_e32 v3, v3, v1
	v_lshlrev_b32_e32 v1, 26, v2
	v_cmp_gt_i64_e32 vcc, 0, v[0:1]
	v_not_b32_e32 v1, v1
	v_ashrrev_i32_e32 v1, 31, v1
	v_and_b32_e32 v25, v25, v38
	v_xor_b32_e32 v38, vcc_hi, v1
	v_xor_b32_e32 v1, vcc_lo, v1
	v_and_b32_e32 v3, v3, v1
	v_lshlrev_b32_e32 v1, 25, v2
	v_cmp_gt_i64_e32 vcc, 0, v[0:1]
	v_not_b32_e32 v1, v1
	v_ashrrev_i32_e32 v1, 31, v1
	v_and_b32_e32 v25, v25, v38
	v_xor_b32_e32 v38, vcc_hi, v1
	v_xor_b32_e32 v1, vcc_lo, v1
	v_and_b32_e32 v3, v3, v1
	v_lshlrev_b32_e32 v1, 24, v2
	v_cmp_gt_i64_e32 vcc, 0, v[0:1]
	v_not_b32_e32 v0, v1
	v_ashrrev_i32_e32 v0, 31, v0
	v_xor_b32_e32 v1, vcc_hi, v0
	v_xor_b32_e32 v0, vcc_lo, v0
	; wave barrier
	ds_read_b32 v24, v42 offset:64
	v_and_b32_e32 v25, v25, v38
	v_and_b32_e32 v0, v3, v0
	;; [unrolled: 1-line block ×3, first 2 shown]
	v_mbcnt_lo_u32_b32 v2, v0, 0
	v_mbcnt_hi_u32_b32 v25, v1, v2
	v_cmp_eq_u32_e32 vcc, 0, v25
	v_cmp_ne_u64_e64 s[2:3], 0, v[0:1]
	v_add_u32_e32 v37, 64, v6
	s_and_b64 s[4:5], s[2:3], vcc
	; wave barrier
	s_and_saveexec_b64 s[2:3], s[4:5]
	s_cbranch_execz .LBB613_108
; %bb.107:
	v_bcnt_u32_b32 v0, v0, 0
	v_bcnt_u32_b32 v0, v1, v0
	s_waitcnt lgkmcnt(0)
	v_add_u32_e32 v0, v24, v0
	ds_write_b32 v42, v0 offset:64
.LBB613_108:
	s_or_b64 exec, exec, s[2:3]
	; wave barrier
	s_waitcnt lgkmcnt(0)
	s_barrier
	ds_read2_b32 v[2:3], v6 offset0:16 offset1:17
	ds_read2_b32 v[0:1], v37 offset0:2 offset1:3
	ds_read_b32 v38, v37 offset:16
	v_cmp_lt_u32_e64 s[8:9], 31, v5
	s_waitcnt lgkmcnt(1)
	v_add3_u32 v39, v3, v2, v0
	s_waitcnt lgkmcnt(0)
	v_add3_u32 v38, v39, v1, v38
	v_and_b32_e32 v39, 15, v5
	v_cmp_eq_u32_e32 vcc, 0, v39
	v_mov_b32_dpp v40, v38 row_shr:1 row_mask:0xf bank_mask:0xf
	v_cndmask_b32_e64 v40, v40, 0, vcc
	v_add_u32_e32 v38, v40, v38
	v_cmp_lt_u32_e64 s[2:3], 1, v39
	v_cmp_lt_u32_e64 s[4:5], 3, v39
	v_mov_b32_dpp v40, v38 row_shr:2 row_mask:0xf bank_mask:0xf
	v_cndmask_b32_e64 v40, 0, v40, s[2:3]
	v_add_u32_e32 v38, v38, v40
	v_cmp_lt_u32_e64 s[6:7], 7, v39
	s_nop 0
	v_mov_b32_dpp v40, v38 row_shr:4 row_mask:0xf bank_mask:0xf
	v_cndmask_b32_e64 v40, 0, v40, s[4:5]
	v_add_u32_e32 v38, v38, v40
	s_nop 1
	v_mov_b32_dpp v40, v38 row_shr:8 row_mask:0xf bank_mask:0xf
	v_cndmask_b32_e64 v39, 0, v40, s[6:7]
	v_add_u32_e32 v38, v38, v39
	v_bfe_i32 v40, v5, 4, 1
	s_nop 0
	v_mov_b32_dpp v39, v38 row_bcast:15 row_mask:0xf bank_mask:0xf
	v_and_b32_e32 v39, v40, v39
	v_add_u32_e32 v38, v38, v39
	v_and_b32_e32 v40, 63, v10
	s_nop 0
	v_mov_b32_dpp v39, v38 row_bcast:31 row_mask:0xf bank_mask:0xf
	v_cndmask_b32_e64 v39, 0, v39, s[8:9]
	v_add_u32_e32 v38, v38, v39
	v_lshrrev_b32_e32 v39, 6, v10
	v_cmp_eq_u32_e64 s[8:9], 63, v40
	s_and_saveexec_b64 s[14:15], s[8:9]
	s_cbranch_execz .LBB613_110
; %bb.109:
	v_lshlrev_b32_e32 v40, 2, v39
	ds_write_b32 v40, v38
.LBB613_110:
	s_or_b64 exec, exec, s[14:15]
	v_cmp_gt_u32_e64 s[8:9], 16, v10
	v_lshlrev_b32_e32 v44, 2, v10
	s_waitcnt lgkmcnt(0)
	s_barrier
	s_and_saveexec_b64 s[14:15], s[8:9]
	s_cbranch_execz .LBB613_112
; %bb.111:
	ds_read_b32 v40, v44
	s_waitcnt lgkmcnt(0)
	s_nop 0
	v_mov_b32_dpp v45, v40 row_shr:1 row_mask:0xf bank_mask:0xf
	v_cndmask_b32_e64 v45, v45, 0, vcc
	v_add_u32_e32 v40, v45, v40
	s_nop 1
	v_mov_b32_dpp v45, v40 row_shr:2 row_mask:0xf bank_mask:0xf
	v_cndmask_b32_e64 v45, 0, v45, s[2:3]
	v_add_u32_e32 v40, v40, v45
	s_nop 1
	v_mov_b32_dpp v45, v40 row_shr:4 row_mask:0xf bank_mask:0xf
	v_cndmask_b32_e64 v45, 0, v45, s[4:5]
	;; [unrolled: 4-line block ×3, first 2 shown]
	v_add_u32_e32 v40, v40, v45
	ds_write_b32 v44, v40
.LBB613_112:
	s_or_b64 exec, exec, s[14:15]
	v_cmp_lt_u32_e32 vcc, 63, v10
	v_mov_b32_e32 v40, 0
	s_waitcnt lgkmcnt(0)
	s_barrier
	s_and_saveexec_b64 s[2:3], vcc
	s_cbranch_execz .LBB613_114
; %bb.113:
	v_lshl_add_u32 v39, v39, 2, -4
	ds_read_b32 v40, v39
.LBB613_114:
	s_or_b64 exec, exec, s[2:3]
	v_add_u32_e32 v39, -1, v5
	v_and_b32_e32 v45, 64, v5
	v_cmp_lt_i32_e32 vcc, v39, v45
	v_cndmask_b32_e32 v39, v39, v5, vcc
	s_waitcnt lgkmcnt(0)
	v_add_u32_e32 v38, v40, v38
	v_lshlrev_b32_e32 v39, 2, v39
	ds_bpermute_b32 v38, v39, v38
	v_cmp_eq_u32_e32 vcc, 0, v5
	s_movk_i32 s2, 0xff
	s_movk_i32 s3, 0x100
	s_waitcnt lgkmcnt(0)
	v_cndmask_b32_e32 v5, v38, v40, vcc
	v_cndmask_b32_e64 v5, v5, 0, s[0:1]
	v_add_u32_e32 v2, v5, v2
	v_add_u32_e32 v3, v2, v3
	v_add_u32_e32 v0, v3, v0
	v_add_u32_e32 v1, v0, v1
	ds_write2_b32 v6, v5, v2 offset0:16 offset1:17
	ds_write2_b32 v37, v3, v0 offset0:2 offset1:3
	ds_write_b32 v37, v1 offset:16
	s_waitcnt lgkmcnt(0)
	s_barrier
	ds_read_b32 v0, v7 offset:64
	ds_read_b32 v37, v15 offset:64
	;; [unrolled: 1-line block ×8, first 2 shown]
	v_cmp_lt_u32_e64 s[0:1], s2, v10
	v_cmp_gt_u32_e32 vcc, s3, v10
                                        ; implicit-def: $vgpr30
                                        ; implicit-def: $vgpr33
	s_and_saveexec_b64 s[4:5], vcc
	s_cbranch_execz .LBB613_118
; %bb.115:
	v_mul_u32_u24_e32 v1, 17, v10
	v_lshlrev_b32_e32 v2, 2, v1
	ds_read_b32 v30, v2 offset:64
	v_cmp_ne_u32_e64 s[2:3], s2, v10
	v_mov_b32_e32 v1, 0x2000
	s_and_saveexec_b64 s[6:7], s[2:3]
	s_cbranch_execz .LBB613_117
; %bb.116:
	ds_read_b32 v1, v2 offset:132
.LBB613_117:
	s_or_b64 exec, exec, s[6:7]
	s_waitcnt lgkmcnt(0)
	v_sub_u32_e32 v33, v1, v30
.LBB613_118:
	s_or_b64 exec, exec, s[4:5]
	s_waitcnt lgkmcnt(7)
	v_add_u32_e32 v35, v0, v11
	s_waitcnt lgkmcnt(6)
	v_add3_u32 v0, v13, v9, v37
	s_waitcnt lgkmcnt(5)
	v_add3_u32 v1, v17, v16, v26
	;; [unrolled: 2-line block ×7, first 2 shown]
	s_barrier
	ds_write_b8 v35, v4 offset:1024
	ds_write_b8 v0, v14 offset:1024
	;; [unrolled: 1-line block ×8, first 2 shown]
                                        ; implicit-def: $vgpr14_vgpr15
	s_and_saveexec_b64 s[2:3], s[0:1]
	s_xor_b64 s[0:1], exec, s[2:3]
; %bb.119:
	v_mov_b32_e32 v11, 0
	v_pk_mov_b32 v[14:15], v[10:11], v[10:11] op_sel:[0,1]
                                        ; implicit-def: $vgpr44
; %bb.120:
	s_andn2_saveexec_b64 s[2:3], s[0:1]
	s_cbranch_execz .LBB613_130
; %bb.121:
	v_lshl_or_b32 v0, s33, 8, v10
	v_mov_b32_e32 v1, 0
	v_lshlrev_b64 v[2:3], 2, v[0:1]
	v_mov_b32_e32 v6, s31
	v_add_co_u32_e64 v2, s[0:1], s30, v2
	v_addc_co_u32_e64 v3, s[0:1], v6, v3, s[0:1]
	v_or_b32_e32 v0, 2.0, v33
	s_mov_b64 s[4:5], 0
	s_brev_b32 s14, 1
	s_mov_b32 s15, s33
	v_mov_b32_e32 v7, 0
	global_store_dword v[2:3], v0, off
                                        ; implicit-def: $sgpr0_sgpr1
	s_branch .LBB613_124
.LBB613_122:                            ;   in Loop: Header=BB613_124 Depth=1
	s_or_b64 exec, exec, s[8:9]
.LBB613_123:                            ;   in Loop: Header=BB613_124 Depth=1
	s_or_b64 exec, exec, s[6:7]
	v_and_b32_e32 v4, 0x3fffffff, v11
	v_add_u32_e32 v7, v4, v7
	v_cmp_eq_u32_e64 s[0:1], s14, v0
	s_and_b64 s[6:7], exec, s[0:1]
	s_or_b64 s[4:5], s[6:7], s[4:5]
	s_andn2_b64 exec, exec, s[4:5]
	s_cbranch_execz .LBB613_129
.LBB613_124:                            ; =>This Loop Header: Depth=1
                                        ;     Child Loop BB613_127 Depth 2
	s_or_b64 s[0:1], s[0:1], exec
	s_cmp_eq_u32 s15, 0
	s_cbranch_scc1 .LBB613_128
; %bb.125:                              ;   in Loop: Header=BB613_124 Depth=1
	s_add_i32 s15, s15, -1
	v_lshl_or_b32 v0, s15, 8, v10
	v_lshlrev_b64 v[4:5], 2, v[0:1]
	v_add_co_u32_e64 v4, s[0:1], s30, v4
	v_addc_co_u32_e64 v5, s[0:1], v6, v5, s[0:1]
	global_load_dword v11, v[4:5], off glc
	s_waitcnt vmcnt(0)
	v_and_b32_e32 v0, -2.0, v11
	v_cmp_eq_u32_e64 s[0:1], 0, v0
	s_and_saveexec_b64 s[6:7], s[0:1]
	s_cbranch_execz .LBB613_123
; %bb.126:                              ;   in Loop: Header=BB613_124 Depth=1
	s_mov_b64 s[8:9], 0
.LBB613_127:                            ;   Parent Loop BB613_124 Depth=1
                                        ; =>  This Inner Loop Header: Depth=2
	global_load_dword v11, v[4:5], off glc
	s_waitcnt vmcnt(0)
	v_and_b32_e32 v0, -2.0, v11
	v_cmp_ne_u32_e64 s[0:1], 0, v0
	s_or_b64 s[8:9], s[0:1], s[8:9]
	s_andn2_b64 exec, exec, s[8:9]
	s_cbranch_execnz .LBB613_127
	s_branch .LBB613_122
.LBB613_128:                            ;   in Loop: Header=BB613_124 Depth=1
                                        ; implicit-def: $sgpr15
	s_and_b64 s[6:7], exec, s[0:1]
	s_or_b64 s[4:5], s[6:7], s[4:5]
	s_andn2_b64 exec, exec, s[4:5]
	s_cbranch_execnz .LBB613_124
.LBB613_129:
	s_or_b64 exec, exec, s[4:5]
	v_add_u32_e32 v0, v7, v33
	v_or_b32_e32 v0, 0x80000000, v0
	global_store_dword v[2:3], v0, off
	global_load_dword v0, v44, s[44:45]
	v_mov_b32_e32 v11, 0
	v_sub_u32_e32 v1, v7, v30
	v_pk_mov_b32 v[14:15], v[10:11], v[10:11] op_sel:[0,1]
	s_waitcnt vmcnt(0)
	v_add_u32_e32 v0, v1, v0
	ds_write_b32 v44, v0
.LBB613_130:
	s_or_b64 exec, exec, s[2:3]
	s_waitcnt lgkmcnt(0)
	s_barrier
	ds_read_u8 v1, v14 offset:1024
	ds_read_u8 v11, v10 offset:2048
	;; [unrolled: 1-line block ×8, first 2 shown]
	s_waitcnt lgkmcnt(7)
	v_lshrrev_b32_sdwa v0, s48, v1 dst_sel:DWORD dst_unused:UNUSED_PAD src0_sel:DWORD src1_sel:BYTE_0
	v_and_b32_e32 v0, s17, v0
	v_xor_b32_e32 v44, 0x80, v1
	s_waitcnt lgkmcnt(6)
	v_lshrrev_b32_sdwa v1, s48, v11 dst_sel:DWORD dst_unused:UNUSED_PAD src0_sel:DWORD src1_sel:BYTE_0
	v_lshlrev_b32_e32 v2, 2, v0
	v_and_b32_e32 v1, s17, v1
	s_waitcnt lgkmcnt(5)
	v_lshrrev_b32_sdwa v4, s48, v22 dst_sel:DWORD dst_unused:UNUSED_PAD src0_sel:DWORD src1_sel:BYTE_0
	v_lshlrev_b32_e32 v3, 2, v1
	ds_read_b32 v45, v2
	ds_read_b32 v46, v3
	v_and_b32_e32 v2, s17, v4
	v_lshlrev_b32_e32 v3, 2, v2
	ds_read_b32 v47, v3
	s_waitcnt lgkmcnt(7)
	v_lshrrev_b32_sdwa v3, s48, v28 dst_sel:DWORD dst_unused:UNUSED_PAD src0_sel:DWORD src1_sel:BYTE_0
	v_and_b32_e32 v3, s17, v3
	v_lshlrev_b32_e32 v4, 2, v3
	ds_read_b32 v48, v4
	s_waitcnt lgkmcnt(7)
	v_lshrrev_b32_sdwa v4, s48, v32 dst_sel:DWORD dst_unused:UNUSED_PAD src0_sel:DWORD src1_sel:BYTE_0
	;; [unrolled: 5-line block ×5, first 2 shown]
	v_and_b32_e32 v7, s17, v7
	s_waitcnt lgkmcnt(6)
	v_add_u32_e32 v45, v45, v10
	s_movk_i32 s2, 0x400
	v_lshlrev_b32_e32 v52, 2, v7
	global_store_byte v45, v44, s[38:39]
	v_xor_b32_e32 v11, 0x80, v11
	s_waitcnt lgkmcnt(5)
	v_add3_u32 v44, v46, v10, s2
	s_movk_i32 s0, 0x800
	ds_read_b32 v52, v52
	global_store_byte v44, v11, s[38:39]
	v_xor_b32_e32 v11, 0x80, v22
	s_waitcnt lgkmcnt(5)
	v_add3_u32 v22, v47, v10, s0
	s_movk_i32 s0, 0xc00
	global_store_byte v22, v11, s[38:39]
	v_xor_b32_e32 v11, 0x80, v28
	s_waitcnt lgkmcnt(4)
	v_add3_u32 v22, v48, v10, s0
	s_movk_i32 s0, 0x1000
	;; [unrolled: 5-line block ×5, first 2 shown]
	global_store_byte v22, v11, s[38:39]
	s_waitcnt lgkmcnt(0)
	v_add3_u32 v22, v52, v10, s0
	s_lshl_b64 s[0:1], s[12:13], 3
	s_add_u32 s0, s40, s0
	v_add3_u32 v37, v13, v37, v9
	v_lshlrev_b32_e32 v9, 3, v12
	s_addc_u32 s1, s41, s1
	v_mov_b32_e32 v12, s1
	v_add_co_u32_e64 v9, s[0:1], s0, v9
	v_lshlrev_b32_e32 v8, 3, v8
	v_addc_co_u32_e64 v12, s[0:1], 0, v12, s[0:1]
	v_xor_b32_e32 v11, 0x80, v43
	v_add_co_u32_e64 v28, s[0:1], v9, v8
	global_store_byte v22, v11, s[38:39]
	v_add3_u32 v31, v31, v41, v29
	v_addc_co_u32_e64 v29, s[0:1], 0, v12, s[0:1]
	v_or_b32_e32 v8, 0x400, v10
	v_mul_u32_u24_e32 v9, 7, v10
	v_add3_u32 v11, v25, v42, v24
	v_add3_u32 v32, v27, v40, v23
	;; [unrolled: 1-line block ×5, first 2 shown]
	v_add_u32_e32 v39, v8, v9
	global_load_dwordx2 v[8:9], v[28:29], off
	global_load_dwordx2 v[12:13], v[28:29], off offset:512
	global_load_dwordx2 v[16:17], v[28:29], off offset:1024
	;; [unrolled: 1-line block ×7, first 2 shown]
	s_mov_b32 s3, 0
	s_mov_b32 s4, 1
	v_lshlrev_b32_e32 v40, 3, v14
	v_mov_b32_e32 v29, 0
	s_barrier
	s_waitcnt vmcnt(0)
.LBB613_131:                            ; =>This Inner Loop Header: Depth=1
	v_add_u32_e32 v28, s3, v35
	v_min_u32_e32 v28, 0x800, v28
	v_lshlrev_b32_e32 v28, 3, v28
	ds_write_b64 v28, v[8:9] offset:1024
	v_add_u32_e32 v28, s3, v37
	v_min_u32_e32 v28, 0x800, v28
	v_lshlrev_b32_e32 v28, 3, v28
	ds_write_b64 v28, v[12:13] offset:1024
	;; [unrolled: 4-line block ×7, first 2 shown]
	v_add_u32_e32 v28, s3, v11
	s_add_i32 s5, s4, -1
	v_min_u32_e32 v28, 0x800, v28
	s_cmp_eq_u32 s5, 1
	v_lshlrev_b32_e32 v28, 3, v28
	s_cselect_b64 s[0:1], -1, 0
	s_cmp_eq_u32 s5, 2
	ds_write_b64 v28, v[26:27] offset:1024
	v_cndmask_b32_e64 v28, v0, v1, s[0:1]
	s_cselect_b64 s[0:1], -1, 0
	s_cmp_eq_u32 s5, 3
	v_cndmask_b32_e64 v28, v28, v2, s[0:1]
	s_cselect_b64 s[0:1], -1, 0
	s_cmp_eq_u32 s5, 4
	;; [unrolled: 3-line block ×10, first 2 shown]
	v_lshlrev_b32_e32 v28, 2, v28
	v_cndmask_b32_e64 v41, v41, v4, s[0:1]
	s_cselect_b64 s[0:1], -1, 0
	s_cmp_eq_u32 s4, 6
	s_waitcnt lgkmcnt(0)
	s_barrier
	ds_read_b32 v28, v28
	v_cndmask_b32_e64 v41, v41, v5, s[0:1]
	s_cselect_b64 s[0:1], -1, 0
	s_cmp_eq_u32 s4, 7
	v_cndmask_b32_e64 v41, v41, v6, s[0:1]
	s_cselect_b64 s[0:1], -1, 0
	v_cndmask_b32_e64 v41, v41, v7, s[0:1]
	v_lshlrev_b32_e32 v41, 2, v41
	ds_read_b32 v41, v41
	ds_read_b64 v[42:43], v39 offset:8192
	ds_read_b64 v[46:47], v40 offset:1024
	s_waitcnt lgkmcnt(3)
	v_add_u32_e32 v28, v10, v28
	v_lshlrev_b64 v[44:45], 3, v[28:29]
	v_mov_b32_e32 v48, s43
	v_add_co_u32_e64 v44, s[0:1], s42, v44
	v_addc_co_u32_e64 v45, s[0:1], v48, v45, s[0:1]
	s_waitcnt lgkmcnt(2)
	v_add3_u32 v28, v10, v41, s2
	s_waitcnt lgkmcnt(0)
	global_store_dwordx2 v[44:45], v[46:47], off
	v_lshlrev_b64 v[44:45], 3, v[28:29]
	v_add_co_u32_e64 v44, s[0:1], s42, v44
	s_addk_i32 s3, 0xf800
	s_add_i32 s4, s4, 2
	v_addc_co_u32_e64 v45, s[0:1], v48, v45, s[0:1]
	s_cmpk_lg_i32 s3, 0xe000
	v_add_u32_e32 v10, 0x800, v10
	global_store_dwordx2 v[44:45], v[42:43], off
	s_barrier
	s_cbranch_scc1 .LBB613_131
; %bb.132:
	s_add_i32 s16, s16, -1
	s_cmp_eq_u32 s16, s33
	s_cselect_b64 s[0:1], -1, 0
	s_and_b64 s[2:3], vcc, s[0:1]
                                        ; implicit-def: $vgpr2
	s_and_saveexec_b64 s[0:1], s[2:3]
; %bb.133:
	v_add_u32_e32 v2, v30, v33
	s_or_b64 s[10:11], s[10:11], exec
; %bb.134:
	s_or_b64 exec, exec, s[0:1]
	v_mov_b32_e32 v10, v14
.LBB613_135:
	s_and_saveexec_b64 s[0:1], s[10:11]
	s_cbranch_execnz .LBB613_137
; %bb.136:
	s_endpgm
.LBB613_137:
	v_lshlrev_b32_e32 v3, 2, v10
	ds_read_b32 v3, v3
	v_lshlrev_b64 v[0:1], 2, v[14:15]
	v_mov_b32_e32 v4, s47
	v_add_co_u32_e32 v0, vcc, s46, v0
	v_addc_co_u32_e32 v1, vcc, v4, v1, vcc
	s_waitcnt lgkmcnt(0)
	v_add_u32_e32 v2, v3, v2
	global_store_dword v[0:1], v2, off
	s_endpgm
.LBB613_138:
	global_load_dwordx2 v[12:13], v[28:29], off
	s_or_b64 exec, exec, s[20:21]
                                        ; implicit-def: $vgpr14_vgpr15
	s_and_saveexec_b64 s[20:21], s[2:3]
	s_cbranch_execz .LBB613_75
.LBB613_139:
	global_load_dwordx2 v[14:15], v[28:29], off offset:512
	s_or_b64 exec, exec, s[20:21]
                                        ; implicit-def: $vgpr16_vgpr17
	s_and_saveexec_b64 s[2:3], s[26:27]
	s_cbranch_execz .LBB613_76
.LBB613_140:
	global_load_dwordx2 v[16:17], v[28:29], off offset:1024
	s_or_b64 exec, exec, s[2:3]
                                        ; implicit-def: $vgpr18_vgpr19
	s_and_saveexec_b64 s[2:3], s[8:9]
	s_cbranch_execz .LBB613_77
.LBB613_141:
	global_load_dwordx2 v[18:19], v[28:29], off offset:1536
	s_or_b64 exec, exec, s[2:3]
                                        ; implicit-def: $vgpr20_vgpr21
	s_and_saveexec_b64 s[2:3], s[10:11]
	s_cbranch_execz .LBB613_78
.LBB613_142:
	global_load_dwordx2 v[20:21], v[28:29], off offset:2048
	s_or_b64 exec, exec, s[2:3]
                                        ; implicit-def: $vgpr22_vgpr23
	s_and_saveexec_b64 s[2:3], s[12:13]
	s_cbranch_execz .LBB613_79
.LBB613_143:
	global_load_dwordx2 v[22:23], v[28:29], off offset:2560
	s_or_b64 exec, exec, s[2:3]
                                        ; implicit-def: $vgpr24_vgpr25
	s_and_saveexec_b64 s[2:3], s[14:15]
	s_cbranch_execz .LBB613_80
.LBB613_144:
	global_load_dwordx2 v[24:25], v[28:29], off offset:3072
	s_or_b64 exec, exec, s[2:3]
                                        ; implicit-def: $vgpr26_vgpr27
	s_and_saveexec_b64 s[2:3], s[16:17]
	s_cbranch_execnz .LBB613_81
	s_branch .LBB613_82
	.section	.rodata,"a",@progbits
	.p2align	6, 0x0
	.amdhsa_kernel _ZN7rocprim17ROCPRIM_400000_NS6detail17trampoline_kernelINS0_14default_configENS1_35radix_sort_onesweep_config_selectorIalEEZZNS1_29radix_sort_onesweep_iterationIS3_Lb0EPaS7_N6thrust23THRUST_200600_302600_NS10device_ptrIlEESB_jNS0_19identity_decomposerENS1_16block_id_wrapperIjLb1EEEEE10hipError_tT1_PNSt15iterator_traitsISG_E10value_typeET2_T3_PNSH_ISM_E10value_typeET4_T5_PSR_SS_PNS1_23onesweep_lookback_stateEbbT6_jjT7_P12ihipStream_tbENKUlT_T0_SG_SL_E_clIS7_S7_SB_PlEEDaSZ_S10_SG_SL_EUlSZ_E_NS1_11comp_targetILNS1_3genE4ELNS1_11target_archE910ELNS1_3gpuE8ELNS1_3repE0EEENS1_47radix_sort_onesweep_sort_config_static_selectorELNS0_4arch9wavefront6targetE1EEEvSG_
		.amdhsa_group_segment_fixed_size 20552
		.amdhsa_private_segment_fixed_size 0
		.amdhsa_kernarg_size 344
		.amdhsa_user_sgpr_count 6
		.amdhsa_user_sgpr_private_segment_buffer 1
		.amdhsa_user_sgpr_dispatch_ptr 0
		.amdhsa_user_sgpr_queue_ptr 0
		.amdhsa_user_sgpr_kernarg_segment_ptr 1
		.amdhsa_user_sgpr_dispatch_id 0
		.amdhsa_user_sgpr_flat_scratch_init 0
		.amdhsa_user_sgpr_kernarg_preload_length 0
		.amdhsa_user_sgpr_kernarg_preload_offset 0
		.amdhsa_user_sgpr_private_segment_size 0
		.amdhsa_uses_dynamic_stack 0
		.amdhsa_system_sgpr_private_segment_wavefront_offset 0
		.amdhsa_system_sgpr_workgroup_id_x 1
		.amdhsa_system_sgpr_workgroup_id_y 0
		.amdhsa_system_sgpr_workgroup_id_z 0
		.amdhsa_system_sgpr_workgroup_info 0
		.amdhsa_system_vgpr_workitem_id 2
		.amdhsa_next_free_vgpr 55
		.amdhsa_next_free_sgpr 56
		.amdhsa_accum_offset 56
		.amdhsa_reserve_vcc 1
		.amdhsa_reserve_flat_scratch 0
		.amdhsa_float_round_mode_32 0
		.amdhsa_float_round_mode_16_64 0
		.amdhsa_float_denorm_mode_32 3
		.amdhsa_float_denorm_mode_16_64 3
		.amdhsa_dx10_clamp 1
		.amdhsa_ieee_mode 1
		.amdhsa_fp16_overflow 0
		.amdhsa_tg_split 0
		.amdhsa_exception_fp_ieee_invalid_op 0
		.amdhsa_exception_fp_denorm_src 0
		.amdhsa_exception_fp_ieee_div_zero 0
		.amdhsa_exception_fp_ieee_overflow 0
		.amdhsa_exception_fp_ieee_underflow 0
		.amdhsa_exception_fp_ieee_inexact 0
		.amdhsa_exception_int_div_zero 0
	.end_amdhsa_kernel
	.section	.text._ZN7rocprim17ROCPRIM_400000_NS6detail17trampoline_kernelINS0_14default_configENS1_35radix_sort_onesweep_config_selectorIalEEZZNS1_29radix_sort_onesweep_iterationIS3_Lb0EPaS7_N6thrust23THRUST_200600_302600_NS10device_ptrIlEESB_jNS0_19identity_decomposerENS1_16block_id_wrapperIjLb1EEEEE10hipError_tT1_PNSt15iterator_traitsISG_E10value_typeET2_T3_PNSH_ISM_E10value_typeET4_T5_PSR_SS_PNS1_23onesweep_lookback_stateEbbT6_jjT7_P12ihipStream_tbENKUlT_T0_SG_SL_E_clIS7_S7_SB_PlEEDaSZ_S10_SG_SL_EUlSZ_E_NS1_11comp_targetILNS1_3genE4ELNS1_11target_archE910ELNS1_3gpuE8ELNS1_3repE0EEENS1_47radix_sort_onesweep_sort_config_static_selectorELNS0_4arch9wavefront6targetE1EEEvSG_,"axG",@progbits,_ZN7rocprim17ROCPRIM_400000_NS6detail17trampoline_kernelINS0_14default_configENS1_35radix_sort_onesweep_config_selectorIalEEZZNS1_29radix_sort_onesweep_iterationIS3_Lb0EPaS7_N6thrust23THRUST_200600_302600_NS10device_ptrIlEESB_jNS0_19identity_decomposerENS1_16block_id_wrapperIjLb1EEEEE10hipError_tT1_PNSt15iterator_traitsISG_E10value_typeET2_T3_PNSH_ISM_E10value_typeET4_T5_PSR_SS_PNS1_23onesweep_lookback_stateEbbT6_jjT7_P12ihipStream_tbENKUlT_T0_SG_SL_E_clIS7_S7_SB_PlEEDaSZ_S10_SG_SL_EUlSZ_E_NS1_11comp_targetILNS1_3genE4ELNS1_11target_archE910ELNS1_3gpuE8ELNS1_3repE0EEENS1_47radix_sort_onesweep_sort_config_static_selectorELNS0_4arch9wavefront6targetE1EEEvSG_,comdat
.Lfunc_end613:
	.size	_ZN7rocprim17ROCPRIM_400000_NS6detail17trampoline_kernelINS0_14default_configENS1_35radix_sort_onesweep_config_selectorIalEEZZNS1_29radix_sort_onesweep_iterationIS3_Lb0EPaS7_N6thrust23THRUST_200600_302600_NS10device_ptrIlEESB_jNS0_19identity_decomposerENS1_16block_id_wrapperIjLb1EEEEE10hipError_tT1_PNSt15iterator_traitsISG_E10value_typeET2_T3_PNSH_ISM_E10value_typeET4_T5_PSR_SS_PNS1_23onesweep_lookback_stateEbbT6_jjT7_P12ihipStream_tbENKUlT_T0_SG_SL_E_clIS7_S7_SB_PlEEDaSZ_S10_SG_SL_EUlSZ_E_NS1_11comp_targetILNS1_3genE4ELNS1_11target_archE910ELNS1_3gpuE8ELNS1_3repE0EEENS1_47radix_sort_onesweep_sort_config_static_selectorELNS0_4arch9wavefront6targetE1EEEvSG_, .Lfunc_end613-_ZN7rocprim17ROCPRIM_400000_NS6detail17trampoline_kernelINS0_14default_configENS1_35radix_sort_onesweep_config_selectorIalEEZZNS1_29radix_sort_onesweep_iterationIS3_Lb0EPaS7_N6thrust23THRUST_200600_302600_NS10device_ptrIlEESB_jNS0_19identity_decomposerENS1_16block_id_wrapperIjLb1EEEEE10hipError_tT1_PNSt15iterator_traitsISG_E10value_typeET2_T3_PNSH_ISM_E10value_typeET4_T5_PSR_SS_PNS1_23onesweep_lookback_stateEbbT6_jjT7_P12ihipStream_tbENKUlT_T0_SG_SL_E_clIS7_S7_SB_PlEEDaSZ_S10_SG_SL_EUlSZ_E_NS1_11comp_targetILNS1_3genE4ELNS1_11target_archE910ELNS1_3gpuE8ELNS1_3repE0EEENS1_47radix_sort_onesweep_sort_config_static_selectorELNS0_4arch9wavefront6targetE1EEEvSG_
                                        ; -- End function
	.section	.AMDGPU.csdata,"",@progbits
; Kernel info:
; codeLenInByte = 13156
; NumSgprs: 60
; NumVgprs: 55
; NumAgprs: 0
; TotalNumVgprs: 55
; ScratchSize: 0
; MemoryBound: 0
; FloatMode: 240
; IeeeMode: 1
; LDSByteSize: 20552 bytes/workgroup (compile time only)
; SGPRBlocks: 7
; VGPRBlocks: 6
; NumSGPRsForWavesPerEU: 60
; NumVGPRsForWavesPerEU: 55
; AccumOffset: 56
; Occupancy: 8
; WaveLimiterHint : 1
; COMPUTE_PGM_RSRC2:SCRATCH_EN: 0
; COMPUTE_PGM_RSRC2:USER_SGPR: 6
; COMPUTE_PGM_RSRC2:TRAP_HANDLER: 0
; COMPUTE_PGM_RSRC2:TGID_X_EN: 1
; COMPUTE_PGM_RSRC2:TGID_Y_EN: 0
; COMPUTE_PGM_RSRC2:TGID_Z_EN: 0
; COMPUTE_PGM_RSRC2:TIDIG_COMP_CNT: 2
; COMPUTE_PGM_RSRC3_GFX90A:ACCUM_OFFSET: 13
; COMPUTE_PGM_RSRC3_GFX90A:TG_SPLIT: 0
	.section	.text._ZN7rocprim17ROCPRIM_400000_NS6detail17trampoline_kernelINS0_14default_configENS1_35radix_sort_onesweep_config_selectorIalEEZZNS1_29radix_sort_onesweep_iterationIS3_Lb0EPaS7_N6thrust23THRUST_200600_302600_NS10device_ptrIlEESB_jNS0_19identity_decomposerENS1_16block_id_wrapperIjLb1EEEEE10hipError_tT1_PNSt15iterator_traitsISG_E10value_typeET2_T3_PNSH_ISM_E10value_typeET4_T5_PSR_SS_PNS1_23onesweep_lookback_stateEbbT6_jjT7_P12ihipStream_tbENKUlT_T0_SG_SL_E_clIS7_S7_SB_PlEEDaSZ_S10_SG_SL_EUlSZ_E_NS1_11comp_targetILNS1_3genE3ELNS1_11target_archE908ELNS1_3gpuE7ELNS1_3repE0EEENS1_47radix_sort_onesweep_sort_config_static_selectorELNS0_4arch9wavefront6targetE1EEEvSG_,"axG",@progbits,_ZN7rocprim17ROCPRIM_400000_NS6detail17trampoline_kernelINS0_14default_configENS1_35radix_sort_onesweep_config_selectorIalEEZZNS1_29radix_sort_onesweep_iterationIS3_Lb0EPaS7_N6thrust23THRUST_200600_302600_NS10device_ptrIlEESB_jNS0_19identity_decomposerENS1_16block_id_wrapperIjLb1EEEEE10hipError_tT1_PNSt15iterator_traitsISG_E10value_typeET2_T3_PNSH_ISM_E10value_typeET4_T5_PSR_SS_PNS1_23onesweep_lookback_stateEbbT6_jjT7_P12ihipStream_tbENKUlT_T0_SG_SL_E_clIS7_S7_SB_PlEEDaSZ_S10_SG_SL_EUlSZ_E_NS1_11comp_targetILNS1_3genE3ELNS1_11target_archE908ELNS1_3gpuE7ELNS1_3repE0EEENS1_47radix_sort_onesweep_sort_config_static_selectorELNS0_4arch9wavefront6targetE1EEEvSG_,comdat
	.protected	_ZN7rocprim17ROCPRIM_400000_NS6detail17trampoline_kernelINS0_14default_configENS1_35radix_sort_onesweep_config_selectorIalEEZZNS1_29radix_sort_onesweep_iterationIS3_Lb0EPaS7_N6thrust23THRUST_200600_302600_NS10device_ptrIlEESB_jNS0_19identity_decomposerENS1_16block_id_wrapperIjLb1EEEEE10hipError_tT1_PNSt15iterator_traitsISG_E10value_typeET2_T3_PNSH_ISM_E10value_typeET4_T5_PSR_SS_PNS1_23onesweep_lookback_stateEbbT6_jjT7_P12ihipStream_tbENKUlT_T0_SG_SL_E_clIS7_S7_SB_PlEEDaSZ_S10_SG_SL_EUlSZ_E_NS1_11comp_targetILNS1_3genE3ELNS1_11target_archE908ELNS1_3gpuE7ELNS1_3repE0EEENS1_47radix_sort_onesweep_sort_config_static_selectorELNS0_4arch9wavefront6targetE1EEEvSG_ ; -- Begin function _ZN7rocprim17ROCPRIM_400000_NS6detail17trampoline_kernelINS0_14default_configENS1_35radix_sort_onesweep_config_selectorIalEEZZNS1_29radix_sort_onesweep_iterationIS3_Lb0EPaS7_N6thrust23THRUST_200600_302600_NS10device_ptrIlEESB_jNS0_19identity_decomposerENS1_16block_id_wrapperIjLb1EEEEE10hipError_tT1_PNSt15iterator_traitsISG_E10value_typeET2_T3_PNSH_ISM_E10value_typeET4_T5_PSR_SS_PNS1_23onesweep_lookback_stateEbbT6_jjT7_P12ihipStream_tbENKUlT_T0_SG_SL_E_clIS7_S7_SB_PlEEDaSZ_S10_SG_SL_EUlSZ_E_NS1_11comp_targetILNS1_3genE3ELNS1_11target_archE908ELNS1_3gpuE7ELNS1_3repE0EEENS1_47radix_sort_onesweep_sort_config_static_selectorELNS0_4arch9wavefront6targetE1EEEvSG_
	.globl	_ZN7rocprim17ROCPRIM_400000_NS6detail17trampoline_kernelINS0_14default_configENS1_35radix_sort_onesweep_config_selectorIalEEZZNS1_29radix_sort_onesweep_iterationIS3_Lb0EPaS7_N6thrust23THRUST_200600_302600_NS10device_ptrIlEESB_jNS0_19identity_decomposerENS1_16block_id_wrapperIjLb1EEEEE10hipError_tT1_PNSt15iterator_traitsISG_E10value_typeET2_T3_PNSH_ISM_E10value_typeET4_T5_PSR_SS_PNS1_23onesweep_lookback_stateEbbT6_jjT7_P12ihipStream_tbENKUlT_T0_SG_SL_E_clIS7_S7_SB_PlEEDaSZ_S10_SG_SL_EUlSZ_E_NS1_11comp_targetILNS1_3genE3ELNS1_11target_archE908ELNS1_3gpuE7ELNS1_3repE0EEENS1_47radix_sort_onesweep_sort_config_static_selectorELNS0_4arch9wavefront6targetE1EEEvSG_
	.p2align	8
	.type	_ZN7rocprim17ROCPRIM_400000_NS6detail17trampoline_kernelINS0_14default_configENS1_35radix_sort_onesweep_config_selectorIalEEZZNS1_29radix_sort_onesweep_iterationIS3_Lb0EPaS7_N6thrust23THRUST_200600_302600_NS10device_ptrIlEESB_jNS0_19identity_decomposerENS1_16block_id_wrapperIjLb1EEEEE10hipError_tT1_PNSt15iterator_traitsISG_E10value_typeET2_T3_PNSH_ISM_E10value_typeET4_T5_PSR_SS_PNS1_23onesweep_lookback_stateEbbT6_jjT7_P12ihipStream_tbENKUlT_T0_SG_SL_E_clIS7_S7_SB_PlEEDaSZ_S10_SG_SL_EUlSZ_E_NS1_11comp_targetILNS1_3genE3ELNS1_11target_archE908ELNS1_3gpuE7ELNS1_3repE0EEENS1_47radix_sort_onesweep_sort_config_static_selectorELNS0_4arch9wavefront6targetE1EEEvSG_,@function
_ZN7rocprim17ROCPRIM_400000_NS6detail17trampoline_kernelINS0_14default_configENS1_35radix_sort_onesweep_config_selectorIalEEZZNS1_29radix_sort_onesweep_iterationIS3_Lb0EPaS7_N6thrust23THRUST_200600_302600_NS10device_ptrIlEESB_jNS0_19identity_decomposerENS1_16block_id_wrapperIjLb1EEEEE10hipError_tT1_PNSt15iterator_traitsISG_E10value_typeET2_T3_PNSH_ISM_E10value_typeET4_T5_PSR_SS_PNS1_23onesweep_lookback_stateEbbT6_jjT7_P12ihipStream_tbENKUlT_T0_SG_SL_E_clIS7_S7_SB_PlEEDaSZ_S10_SG_SL_EUlSZ_E_NS1_11comp_targetILNS1_3genE3ELNS1_11target_archE908ELNS1_3gpuE7ELNS1_3repE0EEENS1_47radix_sort_onesweep_sort_config_static_selectorELNS0_4arch9wavefront6targetE1EEEvSG_: ; @_ZN7rocprim17ROCPRIM_400000_NS6detail17trampoline_kernelINS0_14default_configENS1_35radix_sort_onesweep_config_selectorIalEEZZNS1_29radix_sort_onesweep_iterationIS3_Lb0EPaS7_N6thrust23THRUST_200600_302600_NS10device_ptrIlEESB_jNS0_19identity_decomposerENS1_16block_id_wrapperIjLb1EEEEE10hipError_tT1_PNSt15iterator_traitsISG_E10value_typeET2_T3_PNSH_ISM_E10value_typeET4_T5_PSR_SS_PNS1_23onesweep_lookback_stateEbbT6_jjT7_P12ihipStream_tbENKUlT_T0_SG_SL_E_clIS7_S7_SB_PlEEDaSZ_S10_SG_SL_EUlSZ_E_NS1_11comp_targetILNS1_3genE3ELNS1_11target_archE908ELNS1_3gpuE7ELNS1_3repE0EEENS1_47radix_sort_onesweep_sort_config_static_selectorELNS0_4arch9wavefront6targetE1EEEvSG_
; %bb.0:
	.section	.rodata,"a",@progbits
	.p2align	6, 0x0
	.amdhsa_kernel _ZN7rocprim17ROCPRIM_400000_NS6detail17trampoline_kernelINS0_14default_configENS1_35radix_sort_onesweep_config_selectorIalEEZZNS1_29radix_sort_onesweep_iterationIS3_Lb0EPaS7_N6thrust23THRUST_200600_302600_NS10device_ptrIlEESB_jNS0_19identity_decomposerENS1_16block_id_wrapperIjLb1EEEEE10hipError_tT1_PNSt15iterator_traitsISG_E10value_typeET2_T3_PNSH_ISM_E10value_typeET4_T5_PSR_SS_PNS1_23onesweep_lookback_stateEbbT6_jjT7_P12ihipStream_tbENKUlT_T0_SG_SL_E_clIS7_S7_SB_PlEEDaSZ_S10_SG_SL_EUlSZ_E_NS1_11comp_targetILNS1_3genE3ELNS1_11target_archE908ELNS1_3gpuE7ELNS1_3repE0EEENS1_47radix_sort_onesweep_sort_config_static_selectorELNS0_4arch9wavefront6targetE1EEEvSG_
		.amdhsa_group_segment_fixed_size 0
		.amdhsa_private_segment_fixed_size 0
		.amdhsa_kernarg_size 88
		.amdhsa_user_sgpr_count 6
		.amdhsa_user_sgpr_private_segment_buffer 1
		.amdhsa_user_sgpr_dispatch_ptr 0
		.amdhsa_user_sgpr_queue_ptr 0
		.amdhsa_user_sgpr_kernarg_segment_ptr 1
		.amdhsa_user_sgpr_dispatch_id 0
		.amdhsa_user_sgpr_flat_scratch_init 0
		.amdhsa_user_sgpr_kernarg_preload_length 0
		.amdhsa_user_sgpr_kernarg_preload_offset 0
		.amdhsa_user_sgpr_private_segment_size 0
		.amdhsa_uses_dynamic_stack 0
		.amdhsa_system_sgpr_private_segment_wavefront_offset 0
		.amdhsa_system_sgpr_workgroup_id_x 1
		.amdhsa_system_sgpr_workgroup_id_y 0
		.amdhsa_system_sgpr_workgroup_id_z 0
		.amdhsa_system_sgpr_workgroup_info 0
		.amdhsa_system_vgpr_workitem_id 0
		.amdhsa_next_free_vgpr 1
		.amdhsa_next_free_sgpr 0
		.amdhsa_accum_offset 4
		.amdhsa_reserve_vcc 0
		.amdhsa_reserve_flat_scratch 0
		.amdhsa_float_round_mode_32 0
		.amdhsa_float_round_mode_16_64 0
		.amdhsa_float_denorm_mode_32 3
		.amdhsa_float_denorm_mode_16_64 3
		.amdhsa_dx10_clamp 1
		.amdhsa_ieee_mode 1
		.amdhsa_fp16_overflow 0
		.amdhsa_tg_split 0
		.amdhsa_exception_fp_ieee_invalid_op 0
		.amdhsa_exception_fp_denorm_src 0
		.amdhsa_exception_fp_ieee_div_zero 0
		.amdhsa_exception_fp_ieee_overflow 0
		.amdhsa_exception_fp_ieee_underflow 0
		.amdhsa_exception_fp_ieee_inexact 0
		.amdhsa_exception_int_div_zero 0
	.end_amdhsa_kernel
	.section	.text._ZN7rocprim17ROCPRIM_400000_NS6detail17trampoline_kernelINS0_14default_configENS1_35radix_sort_onesweep_config_selectorIalEEZZNS1_29radix_sort_onesweep_iterationIS3_Lb0EPaS7_N6thrust23THRUST_200600_302600_NS10device_ptrIlEESB_jNS0_19identity_decomposerENS1_16block_id_wrapperIjLb1EEEEE10hipError_tT1_PNSt15iterator_traitsISG_E10value_typeET2_T3_PNSH_ISM_E10value_typeET4_T5_PSR_SS_PNS1_23onesweep_lookback_stateEbbT6_jjT7_P12ihipStream_tbENKUlT_T0_SG_SL_E_clIS7_S7_SB_PlEEDaSZ_S10_SG_SL_EUlSZ_E_NS1_11comp_targetILNS1_3genE3ELNS1_11target_archE908ELNS1_3gpuE7ELNS1_3repE0EEENS1_47radix_sort_onesweep_sort_config_static_selectorELNS0_4arch9wavefront6targetE1EEEvSG_,"axG",@progbits,_ZN7rocprim17ROCPRIM_400000_NS6detail17trampoline_kernelINS0_14default_configENS1_35radix_sort_onesweep_config_selectorIalEEZZNS1_29radix_sort_onesweep_iterationIS3_Lb0EPaS7_N6thrust23THRUST_200600_302600_NS10device_ptrIlEESB_jNS0_19identity_decomposerENS1_16block_id_wrapperIjLb1EEEEE10hipError_tT1_PNSt15iterator_traitsISG_E10value_typeET2_T3_PNSH_ISM_E10value_typeET4_T5_PSR_SS_PNS1_23onesweep_lookback_stateEbbT6_jjT7_P12ihipStream_tbENKUlT_T0_SG_SL_E_clIS7_S7_SB_PlEEDaSZ_S10_SG_SL_EUlSZ_E_NS1_11comp_targetILNS1_3genE3ELNS1_11target_archE908ELNS1_3gpuE7ELNS1_3repE0EEENS1_47radix_sort_onesweep_sort_config_static_selectorELNS0_4arch9wavefront6targetE1EEEvSG_,comdat
.Lfunc_end614:
	.size	_ZN7rocprim17ROCPRIM_400000_NS6detail17trampoline_kernelINS0_14default_configENS1_35radix_sort_onesweep_config_selectorIalEEZZNS1_29radix_sort_onesweep_iterationIS3_Lb0EPaS7_N6thrust23THRUST_200600_302600_NS10device_ptrIlEESB_jNS0_19identity_decomposerENS1_16block_id_wrapperIjLb1EEEEE10hipError_tT1_PNSt15iterator_traitsISG_E10value_typeET2_T3_PNSH_ISM_E10value_typeET4_T5_PSR_SS_PNS1_23onesweep_lookback_stateEbbT6_jjT7_P12ihipStream_tbENKUlT_T0_SG_SL_E_clIS7_S7_SB_PlEEDaSZ_S10_SG_SL_EUlSZ_E_NS1_11comp_targetILNS1_3genE3ELNS1_11target_archE908ELNS1_3gpuE7ELNS1_3repE0EEENS1_47radix_sort_onesweep_sort_config_static_selectorELNS0_4arch9wavefront6targetE1EEEvSG_, .Lfunc_end614-_ZN7rocprim17ROCPRIM_400000_NS6detail17trampoline_kernelINS0_14default_configENS1_35radix_sort_onesweep_config_selectorIalEEZZNS1_29radix_sort_onesweep_iterationIS3_Lb0EPaS7_N6thrust23THRUST_200600_302600_NS10device_ptrIlEESB_jNS0_19identity_decomposerENS1_16block_id_wrapperIjLb1EEEEE10hipError_tT1_PNSt15iterator_traitsISG_E10value_typeET2_T3_PNSH_ISM_E10value_typeET4_T5_PSR_SS_PNS1_23onesweep_lookback_stateEbbT6_jjT7_P12ihipStream_tbENKUlT_T0_SG_SL_E_clIS7_S7_SB_PlEEDaSZ_S10_SG_SL_EUlSZ_E_NS1_11comp_targetILNS1_3genE3ELNS1_11target_archE908ELNS1_3gpuE7ELNS1_3repE0EEENS1_47radix_sort_onesweep_sort_config_static_selectorELNS0_4arch9wavefront6targetE1EEEvSG_
                                        ; -- End function
	.section	.AMDGPU.csdata,"",@progbits
; Kernel info:
; codeLenInByte = 0
; NumSgprs: 4
; NumVgprs: 0
; NumAgprs: 0
; TotalNumVgprs: 0
; ScratchSize: 0
; MemoryBound: 0
; FloatMode: 240
; IeeeMode: 1
; LDSByteSize: 0 bytes/workgroup (compile time only)
; SGPRBlocks: 0
; VGPRBlocks: 0
; NumSGPRsForWavesPerEU: 4
; NumVGPRsForWavesPerEU: 1
; AccumOffset: 4
; Occupancy: 8
; WaveLimiterHint : 0
; COMPUTE_PGM_RSRC2:SCRATCH_EN: 0
; COMPUTE_PGM_RSRC2:USER_SGPR: 6
; COMPUTE_PGM_RSRC2:TRAP_HANDLER: 0
; COMPUTE_PGM_RSRC2:TGID_X_EN: 1
; COMPUTE_PGM_RSRC2:TGID_Y_EN: 0
; COMPUTE_PGM_RSRC2:TGID_Z_EN: 0
; COMPUTE_PGM_RSRC2:TIDIG_COMP_CNT: 0
; COMPUTE_PGM_RSRC3_GFX90A:ACCUM_OFFSET: 0
; COMPUTE_PGM_RSRC3_GFX90A:TG_SPLIT: 0
	.section	.text._ZN7rocprim17ROCPRIM_400000_NS6detail17trampoline_kernelINS0_14default_configENS1_35radix_sort_onesweep_config_selectorIalEEZZNS1_29radix_sort_onesweep_iterationIS3_Lb0EPaS7_N6thrust23THRUST_200600_302600_NS10device_ptrIlEESB_jNS0_19identity_decomposerENS1_16block_id_wrapperIjLb1EEEEE10hipError_tT1_PNSt15iterator_traitsISG_E10value_typeET2_T3_PNSH_ISM_E10value_typeET4_T5_PSR_SS_PNS1_23onesweep_lookback_stateEbbT6_jjT7_P12ihipStream_tbENKUlT_T0_SG_SL_E_clIS7_S7_SB_PlEEDaSZ_S10_SG_SL_EUlSZ_E_NS1_11comp_targetILNS1_3genE10ELNS1_11target_archE1201ELNS1_3gpuE5ELNS1_3repE0EEENS1_47radix_sort_onesweep_sort_config_static_selectorELNS0_4arch9wavefront6targetE1EEEvSG_,"axG",@progbits,_ZN7rocprim17ROCPRIM_400000_NS6detail17trampoline_kernelINS0_14default_configENS1_35radix_sort_onesweep_config_selectorIalEEZZNS1_29radix_sort_onesweep_iterationIS3_Lb0EPaS7_N6thrust23THRUST_200600_302600_NS10device_ptrIlEESB_jNS0_19identity_decomposerENS1_16block_id_wrapperIjLb1EEEEE10hipError_tT1_PNSt15iterator_traitsISG_E10value_typeET2_T3_PNSH_ISM_E10value_typeET4_T5_PSR_SS_PNS1_23onesweep_lookback_stateEbbT6_jjT7_P12ihipStream_tbENKUlT_T0_SG_SL_E_clIS7_S7_SB_PlEEDaSZ_S10_SG_SL_EUlSZ_E_NS1_11comp_targetILNS1_3genE10ELNS1_11target_archE1201ELNS1_3gpuE5ELNS1_3repE0EEENS1_47radix_sort_onesweep_sort_config_static_selectorELNS0_4arch9wavefront6targetE1EEEvSG_,comdat
	.protected	_ZN7rocprim17ROCPRIM_400000_NS6detail17trampoline_kernelINS0_14default_configENS1_35radix_sort_onesweep_config_selectorIalEEZZNS1_29radix_sort_onesweep_iterationIS3_Lb0EPaS7_N6thrust23THRUST_200600_302600_NS10device_ptrIlEESB_jNS0_19identity_decomposerENS1_16block_id_wrapperIjLb1EEEEE10hipError_tT1_PNSt15iterator_traitsISG_E10value_typeET2_T3_PNSH_ISM_E10value_typeET4_T5_PSR_SS_PNS1_23onesweep_lookback_stateEbbT6_jjT7_P12ihipStream_tbENKUlT_T0_SG_SL_E_clIS7_S7_SB_PlEEDaSZ_S10_SG_SL_EUlSZ_E_NS1_11comp_targetILNS1_3genE10ELNS1_11target_archE1201ELNS1_3gpuE5ELNS1_3repE0EEENS1_47radix_sort_onesweep_sort_config_static_selectorELNS0_4arch9wavefront6targetE1EEEvSG_ ; -- Begin function _ZN7rocprim17ROCPRIM_400000_NS6detail17trampoline_kernelINS0_14default_configENS1_35radix_sort_onesweep_config_selectorIalEEZZNS1_29radix_sort_onesweep_iterationIS3_Lb0EPaS7_N6thrust23THRUST_200600_302600_NS10device_ptrIlEESB_jNS0_19identity_decomposerENS1_16block_id_wrapperIjLb1EEEEE10hipError_tT1_PNSt15iterator_traitsISG_E10value_typeET2_T3_PNSH_ISM_E10value_typeET4_T5_PSR_SS_PNS1_23onesweep_lookback_stateEbbT6_jjT7_P12ihipStream_tbENKUlT_T0_SG_SL_E_clIS7_S7_SB_PlEEDaSZ_S10_SG_SL_EUlSZ_E_NS1_11comp_targetILNS1_3genE10ELNS1_11target_archE1201ELNS1_3gpuE5ELNS1_3repE0EEENS1_47radix_sort_onesweep_sort_config_static_selectorELNS0_4arch9wavefront6targetE1EEEvSG_
	.globl	_ZN7rocprim17ROCPRIM_400000_NS6detail17trampoline_kernelINS0_14default_configENS1_35radix_sort_onesweep_config_selectorIalEEZZNS1_29radix_sort_onesweep_iterationIS3_Lb0EPaS7_N6thrust23THRUST_200600_302600_NS10device_ptrIlEESB_jNS0_19identity_decomposerENS1_16block_id_wrapperIjLb1EEEEE10hipError_tT1_PNSt15iterator_traitsISG_E10value_typeET2_T3_PNSH_ISM_E10value_typeET4_T5_PSR_SS_PNS1_23onesweep_lookback_stateEbbT6_jjT7_P12ihipStream_tbENKUlT_T0_SG_SL_E_clIS7_S7_SB_PlEEDaSZ_S10_SG_SL_EUlSZ_E_NS1_11comp_targetILNS1_3genE10ELNS1_11target_archE1201ELNS1_3gpuE5ELNS1_3repE0EEENS1_47radix_sort_onesweep_sort_config_static_selectorELNS0_4arch9wavefront6targetE1EEEvSG_
	.p2align	8
	.type	_ZN7rocprim17ROCPRIM_400000_NS6detail17trampoline_kernelINS0_14default_configENS1_35radix_sort_onesweep_config_selectorIalEEZZNS1_29radix_sort_onesweep_iterationIS3_Lb0EPaS7_N6thrust23THRUST_200600_302600_NS10device_ptrIlEESB_jNS0_19identity_decomposerENS1_16block_id_wrapperIjLb1EEEEE10hipError_tT1_PNSt15iterator_traitsISG_E10value_typeET2_T3_PNSH_ISM_E10value_typeET4_T5_PSR_SS_PNS1_23onesweep_lookback_stateEbbT6_jjT7_P12ihipStream_tbENKUlT_T0_SG_SL_E_clIS7_S7_SB_PlEEDaSZ_S10_SG_SL_EUlSZ_E_NS1_11comp_targetILNS1_3genE10ELNS1_11target_archE1201ELNS1_3gpuE5ELNS1_3repE0EEENS1_47radix_sort_onesweep_sort_config_static_selectorELNS0_4arch9wavefront6targetE1EEEvSG_,@function
_ZN7rocprim17ROCPRIM_400000_NS6detail17trampoline_kernelINS0_14default_configENS1_35radix_sort_onesweep_config_selectorIalEEZZNS1_29radix_sort_onesweep_iterationIS3_Lb0EPaS7_N6thrust23THRUST_200600_302600_NS10device_ptrIlEESB_jNS0_19identity_decomposerENS1_16block_id_wrapperIjLb1EEEEE10hipError_tT1_PNSt15iterator_traitsISG_E10value_typeET2_T3_PNSH_ISM_E10value_typeET4_T5_PSR_SS_PNS1_23onesweep_lookback_stateEbbT6_jjT7_P12ihipStream_tbENKUlT_T0_SG_SL_E_clIS7_S7_SB_PlEEDaSZ_S10_SG_SL_EUlSZ_E_NS1_11comp_targetILNS1_3genE10ELNS1_11target_archE1201ELNS1_3gpuE5ELNS1_3repE0EEENS1_47radix_sort_onesweep_sort_config_static_selectorELNS0_4arch9wavefront6targetE1EEEvSG_: ; @_ZN7rocprim17ROCPRIM_400000_NS6detail17trampoline_kernelINS0_14default_configENS1_35radix_sort_onesweep_config_selectorIalEEZZNS1_29radix_sort_onesweep_iterationIS3_Lb0EPaS7_N6thrust23THRUST_200600_302600_NS10device_ptrIlEESB_jNS0_19identity_decomposerENS1_16block_id_wrapperIjLb1EEEEE10hipError_tT1_PNSt15iterator_traitsISG_E10value_typeET2_T3_PNSH_ISM_E10value_typeET4_T5_PSR_SS_PNS1_23onesweep_lookback_stateEbbT6_jjT7_P12ihipStream_tbENKUlT_T0_SG_SL_E_clIS7_S7_SB_PlEEDaSZ_S10_SG_SL_EUlSZ_E_NS1_11comp_targetILNS1_3genE10ELNS1_11target_archE1201ELNS1_3gpuE5ELNS1_3repE0EEENS1_47radix_sort_onesweep_sort_config_static_selectorELNS0_4arch9wavefront6targetE1EEEvSG_
; %bb.0:
	.section	.rodata,"a",@progbits
	.p2align	6, 0x0
	.amdhsa_kernel _ZN7rocprim17ROCPRIM_400000_NS6detail17trampoline_kernelINS0_14default_configENS1_35radix_sort_onesweep_config_selectorIalEEZZNS1_29radix_sort_onesweep_iterationIS3_Lb0EPaS7_N6thrust23THRUST_200600_302600_NS10device_ptrIlEESB_jNS0_19identity_decomposerENS1_16block_id_wrapperIjLb1EEEEE10hipError_tT1_PNSt15iterator_traitsISG_E10value_typeET2_T3_PNSH_ISM_E10value_typeET4_T5_PSR_SS_PNS1_23onesweep_lookback_stateEbbT6_jjT7_P12ihipStream_tbENKUlT_T0_SG_SL_E_clIS7_S7_SB_PlEEDaSZ_S10_SG_SL_EUlSZ_E_NS1_11comp_targetILNS1_3genE10ELNS1_11target_archE1201ELNS1_3gpuE5ELNS1_3repE0EEENS1_47radix_sort_onesweep_sort_config_static_selectorELNS0_4arch9wavefront6targetE1EEEvSG_
		.amdhsa_group_segment_fixed_size 0
		.amdhsa_private_segment_fixed_size 0
		.amdhsa_kernarg_size 88
		.amdhsa_user_sgpr_count 6
		.amdhsa_user_sgpr_private_segment_buffer 1
		.amdhsa_user_sgpr_dispatch_ptr 0
		.amdhsa_user_sgpr_queue_ptr 0
		.amdhsa_user_sgpr_kernarg_segment_ptr 1
		.amdhsa_user_sgpr_dispatch_id 0
		.amdhsa_user_sgpr_flat_scratch_init 0
		.amdhsa_user_sgpr_kernarg_preload_length 0
		.amdhsa_user_sgpr_kernarg_preload_offset 0
		.amdhsa_user_sgpr_private_segment_size 0
		.amdhsa_uses_dynamic_stack 0
		.amdhsa_system_sgpr_private_segment_wavefront_offset 0
		.amdhsa_system_sgpr_workgroup_id_x 1
		.amdhsa_system_sgpr_workgroup_id_y 0
		.amdhsa_system_sgpr_workgroup_id_z 0
		.amdhsa_system_sgpr_workgroup_info 0
		.amdhsa_system_vgpr_workitem_id 0
		.amdhsa_next_free_vgpr 1
		.amdhsa_next_free_sgpr 0
		.amdhsa_accum_offset 4
		.amdhsa_reserve_vcc 0
		.amdhsa_reserve_flat_scratch 0
		.amdhsa_float_round_mode_32 0
		.amdhsa_float_round_mode_16_64 0
		.amdhsa_float_denorm_mode_32 3
		.amdhsa_float_denorm_mode_16_64 3
		.amdhsa_dx10_clamp 1
		.amdhsa_ieee_mode 1
		.amdhsa_fp16_overflow 0
		.amdhsa_tg_split 0
		.amdhsa_exception_fp_ieee_invalid_op 0
		.amdhsa_exception_fp_denorm_src 0
		.amdhsa_exception_fp_ieee_div_zero 0
		.amdhsa_exception_fp_ieee_overflow 0
		.amdhsa_exception_fp_ieee_underflow 0
		.amdhsa_exception_fp_ieee_inexact 0
		.amdhsa_exception_int_div_zero 0
	.end_amdhsa_kernel
	.section	.text._ZN7rocprim17ROCPRIM_400000_NS6detail17trampoline_kernelINS0_14default_configENS1_35radix_sort_onesweep_config_selectorIalEEZZNS1_29radix_sort_onesweep_iterationIS3_Lb0EPaS7_N6thrust23THRUST_200600_302600_NS10device_ptrIlEESB_jNS0_19identity_decomposerENS1_16block_id_wrapperIjLb1EEEEE10hipError_tT1_PNSt15iterator_traitsISG_E10value_typeET2_T3_PNSH_ISM_E10value_typeET4_T5_PSR_SS_PNS1_23onesweep_lookback_stateEbbT6_jjT7_P12ihipStream_tbENKUlT_T0_SG_SL_E_clIS7_S7_SB_PlEEDaSZ_S10_SG_SL_EUlSZ_E_NS1_11comp_targetILNS1_3genE10ELNS1_11target_archE1201ELNS1_3gpuE5ELNS1_3repE0EEENS1_47radix_sort_onesweep_sort_config_static_selectorELNS0_4arch9wavefront6targetE1EEEvSG_,"axG",@progbits,_ZN7rocprim17ROCPRIM_400000_NS6detail17trampoline_kernelINS0_14default_configENS1_35radix_sort_onesweep_config_selectorIalEEZZNS1_29radix_sort_onesweep_iterationIS3_Lb0EPaS7_N6thrust23THRUST_200600_302600_NS10device_ptrIlEESB_jNS0_19identity_decomposerENS1_16block_id_wrapperIjLb1EEEEE10hipError_tT1_PNSt15iterator_traitsISG_E10value_typeET2_T3_PNSH_ISM_E10value_typeET4_T5_PSR_SS_PNS1_23onesweep_lookback_stateEbbT6_jjT7_P12ihipStream_tbENKUlT_T0_SG_SL_E_clIS7_S7_SB_PlEEDaSZ_S10_SG_SL_EUlSZ_E_NS1_11comp_targetILNS1_3genE10ELNS1_11target_archE1201ELNS1_3gpuE5ELNS1_3repE0EEENS1_47radix_sort_onesweep_sort_config_static_selectorELNS0_4arch9wavefront6targetE1EEEvSG_,comdat
.Lfunc_end615:
	.size	_ZN7rocprim17ROCPRIM_400000_NS6detail17trampoline_kernelINS0_14default_configENS1_35radix_sort_onesweep_config_selectorIalEEZZNS1_29radix_sort_onesweep_iterationIS3_Lb0EPaS7_N6thrust23THRUST_200600_302600_NS10device_ptrIlEESB_jNS0_19identity_decomposerENS1_16block_id_wrapperIjLb1EEEEE10hipError_tT1_PNSt15iterator_traitsISG_E10value_typeET2_T3_PNSH_ISM_E10value_typeET4_T5_PSR_SS_PNS1_23onesweep_lookback_stateEbbT6_jjT7_P12ihipStream_tbENKUlT_T0_SG_SL_E_clIS7_S7_SB_PlEEDaSZ_S10_SG_SL_EUlSZ_E_NS1_11comp_targetILNS1_3genE10ELNS1_11target_archE1201ELNS1_3gpuE5ELNS1_3repE0EEENS1_47radix_sort_onesweep_sort_config_static_selectorELNS0_4arch9wavefront6targetE1EEEvSG_, .Lfunc_end615-_ZN7rocprim17ROCPRIM_400000_NS6detail17trampoline_kernelINS0_14default_configENS1_35radix_sort_onesweep_config_selectorIalEEZZNS1_29radix_sort_onesweep_iterationIS3_Lb0EPaS7_N6thrust23THRUST_200600_302600_NS10device_ptrIlEESB_jNS0_19identity_decomposerENS1_16block_id_wrapperIjLb1EEEEE10hipError_tT1_PNSt15iterator_traitsISG_E10value_typeET2_T3_PNSH_ISM_E10value_typeET4_T5_PSR_SS_PNS1_23onesweep_lookback_stateEbbT6_jjT7_P12ihipStream_tbENKUlT_T0_SG_SL_E_clIS7_S7_SB_PlEEDaSZ_S10_SG_SL_EUlSZ_E_NS1_11comp_targetILNS1_3genE10ELNS1_11target_archE1201ELNS1_3gpuE5ELNS1_3repE0EEENS1_47radix_sort_onesweep_sort_config_static_selectorELNS0_4arch9wavefront6targetE1EEEvSG_
                                        ; -- End function
	.section	.AMDGPU.csdata,"",@progbits
; Kernel info:
; codeLenInByte = 0
; NumSgprs: 4
; NumVgprs: 0
; NumAgprs: 0
; TotalNumVgprs: 0
; ScratchSize: 0
; MemoryBound: 0
; FloatMode: 240
; IeeeMode: 1
; LDSByteSize: 0 bytes/workgroup (compile time only)
; SGPRBlocks: 0
; VGPRBlocks: 0
; NumSGPRsForWavesPerEU: 4
; NumVGPRsForWavesPerEU: 1
; AccumOffset: 4
; Occupancy: 8
; WaveLimiterHint : 0
; COMPUTE_PGM_RSRC2:SCRATCH_EN: 0
; COMPUTE_PGM_RSRC2:USER_SGPR: 6
; COMPUTE_PGM_RSRC2:TRAP_HANDLER: 0
; COMPUTE_PGM_RSRC2:TGID_X_EN: 1
; COMPUTE_PGM_RSRC2:TGID_Y_EN: 0
; COMPUTE_PGM_RSRC2:TGID_Z_EN: 0
; COMPUTE_PGM_RSRC2:TIDIG_COMP_CNT: 0
; COMPUTE_PGM_RSRC3_GFX90A:ACCUM_OFFSET: 0
; COMPUTE_PGM_RSRC3_GFX90A:TG_SPLIT: 0
	.section	.text._ZN7rocprim17ROCPRIM_400000_NS6detail17trampoline_kernelINS0_14default_configENS1_35radix_sort_onesweep_config_selectorIalEEZZNS1_29radix_sort_onesweep_iterationIS3_Lb0EPaS7_N6thrust23THRUST_200600_302600_NS10device_ptrIlEESB_jNS0_19identity_decomposerENS1_16block_id_wrapperIjLb1EEEEE10hipError_tT1_PNSt15iterator_traitsISG_E10value_typeET2_T3_PNSH_ISM_E10value_typeET4_T5_PSR_SS_PNS1_23onesweep_lookback_stateEbbT6_jjT7_P12ihipStream_tbENKUlT_T0_SG_SL_E_clIS7_S7_SB_PlEEDaSZ_S10_SG_SL_EUlSZ_E_NS1_11comp_targetILNS1_3genE9ELNS1_11target_archE1100ELNS1_3gpuE3ELNS1_3repE0EEENS1_47radix_sort_onesweep_sort_config_static_selectorELNS0_4arch9wavefront6targetE1EEEvSG_,"axG",@progbits,_ZN7rocprim17ROCPRIM_400000_NS6detail17trampoline_kernelINS0_14default_configENS1_35radix_sort_onesweep_config_selectorIalEEZZNS1_29radix_sort_onesweep_iterationIS3_Lb0EPaS7_N6thrust23THRUST_200600_302600_NS10device_ptrIlEESB_jNS0_19identity_decomposerENS1_16block_id_wrapperIjLb1EEEEE10hipError_tT1_PNSt15iterator_traitsISG_E10value_typeET2_T3_PNSH_ISM_E10value_typeET4_T5_PSR_SS_PNS1_23onesweep_lookback_stateEbbT6_jjT7_P12ihipStream_tbENKUlT_T0_SG_SL_E_clIS7_S7_SB_PlEEDaSZ_S10_SG_SL_EUlSZ_E_NS1_11comp_targetILNS1_3genE9ELNS1_11target_archE1100ELNS1_3gpuE3ELNS1_3repE0EEENS1_47radix_sort_onesweep_sort_config_static_selectorELNS0_4arch9wavefront6targetE1EEEvSG_,comdat
	.protected	_ZN7rocprim17ROCPRIM_400000_NS6detail17trampoline_kernelINS0_14default_configENS1_35radix_sort_onesweep_config_selectorIalEEZZNS1_29radix_sort_onesweep_iterationIS3_Lb0EPaS7_N6thrust23THRUST_200600_302600_NS10device_ptrIlEESB_jNS0_19identity_decomposerENS1_16block_id_wrapperIjLb1EEEEE10hipError_tT1_PNSt15iterator_traitsISG_E10value_typeET2_T3_PNSH_ISM_E10value_typeET4_T5_PSR_SS_PNS1_23onesweep_lookback_stateEbbT6_jjT7_P12ihipStream_tbENKUlT_T0_SG_SL_E_clIS7_S7_SB_PlEEDaSZ_S10_SG_SL_EUlSZ_E_NS1_11comp_targetILNS1_3genE9ELNS1_11target_archE1100ELNS1_3gpuE3ELNS1_3repE0EEENS1_47radix_sort_onesweep_sort_config_static_selectorELNS0_4arch9wavefront6targetE1EEEvSG_ ; -- Begin function _ZN7rocprim17ROCPRIM_400000_NS6detail17trampoline_kernelINS0_14default_configENS1_35radix_sort_onesweep_config_selectorIalEEZZNS1_29radix_sort_onesweep_iterationIS3_Lb0EPaS7_N6thrust23THRUST_200600_302600_NS10device_ptrIlEESB_jNS0_19identity_decomposerENS1_16block_id_wrapperIjLb1EEEEE10hipError_tT1_PNSt15iterator_traitsISG_E10value_typeET2_T3_PNSH_ISM_E10value_typeET4_T5_PSR_SS_PNS1_23onesweep_lookback_stateEbbT6_jjT7_P12ihipStream_tbENKUlT_T0_SG_SL_E_clIS7_S7_SB_PlEEDaSZ_S10_SG_SL_EUlSZ_E_NS1_11comp_targetILNS1_3genE9ELNS1_11target_archE1100ELNS1_3gpuE3ELNS1_3repE0EEENS1_47radix_sort_onesweep_sort_config_static_selectorELNS0_4arch9wavefront6targetE1EEEvSG_
	.globl	_ZN7rocprim17ROCPRIM_400000_NS6detail17trampoline_kernelINS0_14default_configENS1_35radix_sort_onesweep_config_selectorIalEEZZNS1_29radix_sort_onesweep_iterationIS3_Lb0EPaS7_N6thrust23THRUST_200600_302600_NS10device_ptrIlEESB_jNS0_19identity_decomposerENS1_16block_id_wrapperIjLb1EEEEE10hipError_tT1_PNSt15iterator_traitsISG_E10value_typeET2_T3_PNSH_ISM_E10value_typeET4_T5_PSR_SS_PNS1_23onesweep_lookback_stateEbbT6_jjT7_P12ihipStream_tbENKUlT_T0_SG_SL_E_clIS7_S7_SB_PlEEDaSZ_S10_SG_SL_EUlSZ_E_NS1_11comp_targetILNS1_3genE9ELNS1_11target_archE1100ELNS1_3gpuE3ELNS1_3repE0EEENS1_47radix_sort_onesweep_sort_config_static_selectorELNS0_4arch9wavefront6targetE1EEEvSG_
	.p2align	8
	.type	_ZN7rocprim17ROCPRIM_400000_NS6detail17trampoline_kernelINS0_14default_configENS1_35radix_sort_onesweep_config_selectorIalEEZZNS1_29radix_sort_onesweep_iterationIS3_Lb0EPaS7_N6thrust23THRUST_200600_302600_NS10device_ptrIlEESB_jNS0_19identity_decomposerENS1_16block_id_wrapperIjLb1EEEEE10hipError_tT1_PNSt15iterator_traitsISG_E10value_typeET2_T3_PNSH_ISM_E10value_typeET4_T5_PSR_SS_PNS1_23onesweep_lookback_stateEbbT6_jjT7_P12ihipStream_tbENKUlT_T0_SG_SL_E_clIS7_S7_SB_PlEEDaSZ_S10_SG_SL_EUlSZ_E_NS1_11comp_targetILNS1_3genE9ELNS1_11target_archE1100ELNS1_3gpuE3ELNS1_3repE0EEENS1_47radix_sort_onesweep_sort_config_static_selectorELNS0_4arch9wavefront6targetE1EEEvSG_,@function
_ZN7rocprim17ROCPRIM_400000_NS6detail17trampoline_kernelINS0_14default_configENS1_35radix_sort_onesweep_config_selectorIalEEZZNS1_29radix_sort_onesweep_iterationIS3_Lb0EPaS7_N6thrust23THRUST_200600_302600_NS10device_ptrIlEESB_jNS0_19identity_decomposerENS1_16block_id_wrapperIjLb1EEEEE10hipError_tT1_PNSt15iterator_traitsISG_E10value_typeET2_T3_PNSH_ISM_E10value_typeET4_T5_PSR_SS_PNS1_23onesweep_lookback_stateEbbT6_jjT7_P12ihipStream_tbENKUlT_T0_SG_SL_E_clIS7_S7_SB_PlEEDaSZ_S10_SG_SL_EUlSZ_E_NS1_11comp_targetILNS1_3genE9ELNS1_11target_archE1100ELNS1_3gpuE3ELNS1_3repE0EEENS1_47radix_sort_onesweep_sort_config_static_selectorELNS0_4arch9wavefront6targetE1EEEvSG_: ; @_ZN7rocprim17ROCPRIM_400000_NS6detail17trampoline_kernelINS0_14default_configENS1_35radix_sort_onesweep_config_selectorIalEEZZNS1_29radix_sort_onesweep_iterationIS3_Lb0EPaS7_N6thrust23THRUST_200600_302600_NS10device_ptrIlEESB_jNS0_19identity_decomposerENS1_16block_id_wrapperIjLb1EEEEE10hipError_tT1_PNSt15iterator_traitsISG_E10value_typeET2_T3_PNSH_ISM_E10value_typeET4_T5_PSR_SS_PNS1_23onesweep_lookback_stateEbbT6_jjT7_P12ihipStream_tbENKUlT_T0_SG_SL_E_clIS7_S7_SB_PlEEDaSZ_S10_SG_SL_EUlSZ_E_NS1_11comp_targetILNS1_3genE9ELNS1_11target_archE1100ELNS1_3gpuE3ELNS1_3repE0EEENS1_47radix_sort_onesweep_sort_config_static_selectorELNS0_4arch9wavefront6targetE1EEEvSG_
; %bb.0:
	.section	.rodata,"a",@progbits
	.p2align	6, 0x0
	.amdhsa_kernel _ZN7rocprim17ROCPRIM_400000_NS6detail17trampoline_kernelINS0_14default_configENS1_35radix_sort_onesweep_config_selectorIalEEZZNS1_29radix_sort_onesweep_iterationIS3_Lb0EPaS7_N6thrust23THRUST_200600_302600_NS10device_ptrIlEESB_jNS0_19identity_decomposerENS1_16block_id_wrapperIjLb1EEEEE10hipError_tT1_PNSt15iterator_traitsISG_E10value_typeET2_T3_PNSH_ISM_E10value_typeET4_T5_PSR_SS_PNS1_23onesweep_lookback_stateEbbT6_jjT7_P12ihipStream_tbENKUlT_T0_SG_SL_E_clIS7_S7_SB_PlEEDaSZ_S10_SG_SL_EUlSZ_E_NS1_11comp_targetILNS1_3genE9ELNS1_11target_archE1100ELNS1_3gpuE3ELNS1_3repE0EEENS1_47radix_sort_onesweep_sort_config_static_selectorELNS0_4arch9wavefront6targetE1EEEvSG_
		.amdhsa_group_segment_fixed_size 0
		.amdhsa_private_segment_fixed_size 0
		.amdhsa_kernarg_size 88
		.amdhsa_user_sgpr_count 6
		.amdhsa_user_sgpr_private_segment_buffer 1
		.amdhsa_user_sgpr_dispatch_ptr 0
		.amdhsa_user_sgpr_queue_ptr 0
		.amdhsa_user_sgpr_kernarg_segment_ptr 1
		.amdhsa_user_sgpr_dispatch_id 0
		.amdhsa_user_sgpr_flat_scratch_init 0
		.amdhsa_user_sgpr_kernarg_preload_length 0
		.amdhsa_user_sgpr_kernarg_preload_offset 0
		.amdhsa_user_sgpr_private_segment_size 0
		.amdhsa_uses_dynamic_stack 0
		.amdhsa_system_sgpr_private_segment_wavefront_offset 0
		.amdhsa_system_sgpr_workgroup_id_x 1
		.amdhsa_system_sgpr_workgroup_id_y 0
		.amdhsa_system_sgpr_workgroup_id_z 0
		.amdhsa_system_sgpr_workgroup_info 0
		.amdhsa_system_vgpr_workitem_id 0
		.amdhsa_next_free_vgpr 1
		.amdhsa_next_free_sgpr 0
		.amdhsa_accum_offset 4
		.amdhsa_reserve_vcc 0
		.amdhsa_reserve_flat_scratch 0
		.amdhsa_float_round_mode_32 0
		.amdhsa_float_round_mode_16_64 0
		.amdhsa_float_denorm_mode_32 3
		.amdhsa_float_denorm_mode_16_64 3
		.amdhsa_dx10_clamp 1
		.amdhsa_ieee_mode 1
		.amdhsa_fp16_overflow 0
		.amdhsa_tg_split 0
		.amdhsa_exception_fp_ieee_invalid_op 0
		.amdhsa_exception_fp_denorm_src 0
		.amdhsa_exception_fp_ieee_div_zero 0
		.amdhsa_exception_fp_ieee_overflow 0
		.amdhsa_exception_fp_ieee_underflow 0
		.amdhsa_exception_fp_ieee_inexact 0
		.amdhsa_exception_int_div_zero 0
	.end_amdhsa_kernel
	.section	.text._ZN7rocprim17ROCPRIM_400000_NS6detail17trampoline_kernelINS0_14default_configENS1_35radix_sort_onesweep_config_selectorIalEEZZNS1_29radix_sort_onesweep_iterationIS3_Lb0EPaS7_N6thrust23THRUST_200600_302600_NS10device_ptrIlEESB_jNS0_19identity_decomposerENS1_16block_id_wrapperIjLb1EEEEE10hipError_tT1_PNSt15iterator_traitsISG_E10value_typeET2_T3_PNSH_ISM_E10value_typeET4_T5_PSR_SS_PNS1_23onesweep_lookback_stateEbbT6_jjT7_P12ihipStream_tbENKUlT_T0_SG_SL_E_clIS7_S7_SB_PlEEDaSZ_S10_SG_SL_EUlSZ_E_NS1_11comp_targetILNS1_3genE9ELNS1_11target_archE1100ELNS1_3gpuE3ELNS1_3repE0EEENS1_47radix_sort_onesweep_sort_config_static_selectorELNS0_4arch9wavefront6targetE1EEEvSG_,"axG",@progbits,_ZN7rocprim17ROCPRIM_400000_NS6detail17trampoline_kernelINS0_14default_configENS1_35radix_sort_onesweep_config_selectorIalEEZZNS1_29radix_sort_onesweep_iterationIS3_Lb0EPaS7_N6thrust23THRUST_200600_302600_NS10device_ptrIlEESB_jNS0_19identity_decomposerENS1_16block_id_wrapperIjLb1EEEEE10hipError_tT1_PNSt15iterator_traitsISG_E10value_typeET2_T3_PNSH_ISM_E10value_typeET4_T5_PSR_SS_PNS1_23onesweep_lookback_stateEbbT6_jjT7_P12ihipStream_tbENKUlT_T0_SG_SL_E_clIS7_S7_SB_PlEEDaSZ_S10_SG_SL_EUlSZ_E_NS1_11comp_targetILNS1_3genE9ELNS1_11target_archE1100ELNS1_3gpuE3ELNS1_3repE0EEENS1_47radix_sort_onesweep_sort_config_static_selectorELNS0_4arch9wavefront6targetE1EEEvSG_,comdat
.Lfunc_end616:
	.size	_ZN7rocprim17ROCPRIM_400000_NS6detail17trampoline_kernelINS0_14default_configENS1_35radix_sort_onesweep_config_selectorIalEEZZNS1_29radix_sort_onesweep_iterationIS3_Lb0EPaS7_N6thrust23THRUST_200600_302600_NS10device_ptrIlEESB_jNS0_19identity_decomposerENS1_16block_id_wrapperIjLb1EEEEE10hipError_tT1_PNSt15iterator_traitsISG_E10value_typeET2_T3_PNSH_ISM_E10value_typeET4_T5_PSR_SS_PNS1_23onesweep_lookback_stateEbbT6_jjT7_P12ihipStream_tbENKUlT_T0_SG_SL_E_clIS7_S7_SB_PlEEDaSZ_S10_SG_SL_EUlSZ_E_NS1_11comp_targetILNS1_3genE9ELNS1_11target_archE1100ELNS1_3gpuE3ELNS1_3repE0EEENS1_47radix_sort_onesweep_sort_config_static_selectorELNS0_4arch9wavefront6targetE1EEEvSG_, .Lfunc_end616-_ZN7rocprim17ROCPRIM_400000_NS6detail17trampoline_kernelINS0_14default_configENS1_35radix_sort_onesweep_config_selectorIalEEZZNS1_29radix_sort_onesweep_iterationIS3_Lb0EPaS7_N6thrust23THRUST_200600_302600_NS10device_ptrIlEESB_jNS0_19identity_decomposerENS1_16block_id_wrapperIjLb1EEEEE10hipError_tT1_PNSt15iterator_traitsISG_E10value_typeET2_T3_PNSH_ISM_E10value_typeET4_T5_PSR_SS_PNS1_23onesweep_lookback_stateEbbT6_jjT7_P12ihipStream_tbENKUlT_T0_SG_SL_E_clIS7_S7_SB_PlEEDaSZ_S10_SG_SL_EUlSZ_E_NS1_11comp_targetILNS1_3genE9ELNS1_11target_archE1100ELNS1_3gpuE3ELNS1_3repE0EEENS1_47radix_sort_onesweep_sort_config_static_selectorELNS0_4arch9wavefront6targetE1EEEvSG_
                                        ; -- End function
	.section	.AMDGPU.csdata,"",@progbits
; Kernel info:
; codeLenInByte = 0
; NumSgprs: 4
; NumVgprs: 0
; NumAgprs: 0
; TotalNumVgprs: 0
; ScratchSize: 0
; MemoryBound: 0
; FloatMode: 240
; IeeeMode: 1
; LDSByteSize: 0 bytes/workgroup (compile time only)
; SGPRBlocks: 0
; VGPRBlocks: 0
; NumSGPRsForWavesPerEU: 4
; NumVGPRsForWavesPerEU: 1
; AccumOffset: 4
; Occupancy: 8
; WaveLimiterHint : 0
; COMPUTE_PGM_RSRC2:SCRATCH_EN: 0
; COMPUTE_PGM_RSRC2:USER_SGPR: 6
; COMPUTE_PGM_RSRC2:TRAP_HANDLER: 0
; COMPUTE_PGM_RSRC2:TGID_X_EN: 1
; COMPUTE_PGM_RSRC2:TGID_Y_EN: 0
; COMPUTE_PGM_RSRC2:TGID_Z_EN: 0
; COMPUTE_PGM_RSRC2:TIDIG_COMP_CNT: 0
; COMPUTE_PGM_RSRC3_GFX90A:ACCUM_OFFSET: 0
; COMPUTE_PGM_RSRC3_GFX90A:TG_SPLIT: 0
	.section	.text._ZN7rocprim17ROCPRIM_400000_NS6detail17trampoline_kernelINS0_14default_configENS1_35radix_sort_onesweep_config_selectorIalEEZZNS1_29radix_sort_onesweep_iterationIS3_Lb0EPaS7_N6thrust23THRUST_200600_302600_NS10device_ptrIlEESB_jNS0_19identity_decomposerENS1_16block_id_wrapperIjLb1EEEEE10hipError_tT1_PNSt15iterator_traitsISG_E10value_typeET2_T3_PNSH_ISM_E10value_typeET4_T5_PSR_SS_PNS1_23onesweep_lookback_stateEbbT6_jjT7_P12ihipStream_tbENKUlT_T0_SG_SL_E_clIS7_S7_SB_PlEEDaSZ_S10_SG_SL_EUlSZ_E_NS1_11comp_targetILNS1_3genE8ELNS1_11target_archE1030ELNS1_3gpuE2ELNS1_3repE0EEENS1_47radix_sort_onesweep_sort_config_static_selectorELNS0_4arch9wavefront6targetE1EEEvSG_,"axG",@progbits,_ZN7rocprim17ROCPRIM_400000_NS6detail17trampoline_kernelINS0_14default_configENS1_35radix_sort_onesweep_config_selectorIalEEZZNS1_29radix_sort_onesweep_iterationIS3_Lb0EPaS7_N6thrust23THRUST_200600_302600_NS10device_ptrIlEESB_jNS0_19identity_decomposerENS1_16block_id_wrapperIjLb1EEEEE10hipError_tT1_PNSt15iterator_traitsISG_E10value_typeET2_T3_PNSH_ISM_E10value_typeET4_T5_PSR_SS_PNS1_23onesweep_lookback_stateEbbT6_jjT7_P12ihipStream_tbENKUlT_T0_SG_SL_E_clIS7_S7_SB_PlEEDaSZ_S10_SG_SL_EUlSZ_E_NS1_11comp_targetILNS1_3genE8ELNS1_11target_archE1030ELNS1_3gpuE2ELNS1_3repE0EEENS1_47radix_sort_onesweep_sort_config_static_selectorELNS0_4arch9wavefront6targetE1EEEvSG_,comdat
	.protected	_ZN7rocprim17ROCPRIM_400000_NS6detail17trampoline_kernelINS0_14default_configENS1_35radix_sort_onesweep_config_selectorIalEEZZNS1_29radix_sort_onesweep_iterationIS3_Lb0EPaS7_N6thrust23THRUST_200600_302600_NS10device_ptrIlEESB_jNS0_19identity_decomposerENS1_16block_id_wrapperIjLb1EEEEE10hipError_tT1_PNSt15iterator_traitsISG_E10value_typeET2_T3_PNSH_ISM_E10value_typeET4_T5_PSR_SS_PNS1_23onesweep_lookback_stateEbbT6_jjT7_P12ihipStream_tbENKUlT_T0_SG_SL_E_clIS7_S7_SB_PlEEDaSZ_S10_SG_SL_EUlSZ_E_NS1_11comp_targetILNS1_3genE8ELNS1_11target_archE1030ELNS1_3gpuE2ELNS1_3repE0EEENS1_47radix_sort_onesweep_sort_config_static_selectorELNS0_4arch9wavefront6targetE1EEEvSG_ ; -- Begin function _ZN7rocprim17ROCPRIM_400000_NS6detail17trampoline_kernelINS0_14default_configENS1_35radix_sort_onesweep_config_selectorIalEEZZNS1_29radix_sort_onesweep_iterationIS3_Lb0EPaS7_N6thrust23THRUST_200600_302600_NS10device_ptrIlEESB_jNS0_19identity_decomposerENS1_16block_id_wrapperIjLb1EEEEE10hipError_tT1_PNSt15iterator_traitsISG_E10value_typeET2_T3_PNSH_ISM_E10value_typeET4_T5_PSR_SS_PNS1_23onesweep_lookback_stateEbbT6_jjT7_P12ihipStream_tbENKUlT_T0_SG_SL_E_clIS7_S7_SB_PlEEDaSZ_S10_SG_SL_EUlSZ_E_NS1_11comp_targetILNS1_3genE8ELNS1_11target_archE1030ELNS1_3gpuE2ELNS1_3repE0EEENS1_47radix_sort_onesweep_sort_config_static_selectorELNS0_4arch9wavefront6targetE1EEEvSG_
	.globl	_ZN7rocprim17ROCPRIM_400000_NS6detail17trampoline_kernelINS0_14default_configENS1_35radix_sort_onesweep_config_selectorIalEEZZNS1_29radix_sort_onesweep_iterationIS3_Lb0EPaS7_N6thrust23THRUST_200600_302600_NS10device_ptrIlEESB_jNS0_19identity_decomposerENS1_16block_id_wrapperIjLb1EEEEE10hipError_tT1_PNSt15iterator_traitsISG_E10value_typeET2_T3_PNSH_ISM_E10value_typeET4_T5_PSR_SS_PNS1_23onesweep_lookback_stateEbbT6_jjT7_P12ihipStream_tbENKUlT_T0_SG_SL_E_clIS7_S7_SB_PlEEDaSZ_S10_SG_SL_EUlSZ_E_NS1_11comp_targetILNS1_3genE8ELNS1_11target_archE1030ELNS1_3gpuE2ELNS1_3repE0EEENS1_47radix_sort_onesweep_sort_config_static_selectorELNS0_4arch9wavefront6targetE1EEEvSG_
	.p2align	8
	.type	_ZN7rocprim17ROCPRIM_400000_NS6detail17trampoline_kernelINS0_14default_configENS1_35radix_sort_onesweep_config_selectorIalEEZZNS1_29radix_sort_onesweep_iterationIS3_Lb0EPaS7_N6thrust23THRUST_200600_302600_NS10device_ptrIlEESB_jNS0_19identity_decomposerENS1_16block_id_wrapperIjLb1EEEEE10hipError_tT1_PNSt15iterator_traitsISG_E10value_typeET2_T3_PNSH_ISM_E10value_typeET4_T5_PSR_SS_PNS1_23onesweep_lookback_stateEbbT6_jjT7_P12ihipStream_tbENKUlT_T0_SG_SL_E_clIS7_S7_SB_PlEEDaSZ_S10_SG_SL_EUlSZ_E_NS1_11comp_targetILNS1_3genE8ELNS1_11target_archE1030ELNS1_3gpuE2ELNS1_3repE0EEENS1_47radix_sort_onesweep_sort_config_static_selectorELNS0_4arch9wavefront6targetE1EEEvSG_,@function
_ZN7rocprim17ROCPRIM_400000_NS6detail17trampoline_kernelINS0_14default_configENS1_35radix_sort_onesweep_config_selectorIalEEZZNS1_29radix_sort_onesweep_iterationIS3_Lb0EPaS7_N6thrust23THRUST_200600_302600_NS10device_ptrIlEESB_jNS0_19identity_decomposerENS1_16block_id_wrapperIjLb1EEEEE10hipError_tT1_PNSt15iterator_traitsISG_E10value_typeET2_T3_PNSH_ISM_E10value_typeET4_T5_PSR_SS_PNS1_23onesweep_lookback_stateEbbT6_jjT7_P12ihipStream_tbENKUlT_T0_SG_SL_E_clIS7_S7_SB_PlEEDaSZ_S10_SG_SL_EUlSZ_E_NS1_11comp_targetILNS1_3genE8ELNS1_11target_archE1030ELNS1_3gpuE2ELNS1_3repE0EEENS1_47radix_sort_onesweep_sort_config_static_selectorELNS0_4arch9wavefront6targetE1EEEvSG_: ; @_ZN7rocprim17ROCPRIM_400000_NS6detail17trampoline_kernelINS0_14default_configENS1_35radix_sort_onesweep_config_selectorIalEEZZNS1_29radix_sort_onesweep_iterationIS3_Lb0EPaS7_N6thrust23THRUST_200600_302600_NS10device_ptrIlEESB_jNS0_19identity_decomposerENS1_16block_id_wrapperIjLb1EEEEE10hipError_tT1_PNSt15iterator_traitsISG_E10value_typeET2_T3_PNSH_ISM_E10value_typeET4_T5_PSR_SS_PNS1_23onesweep_lookback_stateEbbT6_jjT7_P12ihipStream_tbENKUlT_T0_SG_SL_E_clIS7_S7_SB_PlEEDaSZ_S10_SG_SL_EUlSZ_E_NS1_11comp_targetILNS1_3genE8ELNS1_11target_archE1030ELNS1_3gpuE2ELNS1_3repE0EEENS1_47radix_sort_onesweep_sort_config_static_selectorELNS0_4arch9wavefront6targetE1EEEvSG_
; %bb.0:
	.section	.rodata,"a",@progbits
	.p2align	6, 0x0
	.amdhsa_kernel _ZN7rocprim17ROCPRIM_400000_NS6detail17trampoline_kernelINS0_14default_configENS1_35radix_sort_onesweep_config_selectorIalEEZZNS1_29radix_sort_onesweep_iterationIS3_Lb0EPaS7_N6thrust23THRUST_200600_302600_NS10device_ptrIlEESB_jNS0_19identity_decomposerENS1_16block_id_wrapperIjLb1EEEEE10hipError_tT1_PNSt15iterator_traitsISG_E10value_typeET2_T3_PNSH_ISM_E10value_typeET4_T5_PSR_SS_PNS1_23onesweep_lookback_stateEbbT6_jjT7_P12ihipStream_tbENKUlT_T0_SG_SL_E_clIS7_S7_SB_PlEEDaSZ_S10_SG_SL_EUlSZ_E_NS1_11comp_targetILNS1_3genE8ELNS1_11target_archE1030ELNS1_3gpuE2ELNS1_3repE0EEENS1_47radix_sort_onesweep_sort_config_static_selectorELNS0_4arch9wavefront6targetE1EEEvSG_
		.amdhsa_group_segment_fixed_size 0
		.amdhsa_private_segment_fixed_size 0
		.amdhsa_kernarg_size 88
		.amdhsa_user_sgpr_count 6
		.amdhsa_user_sgpr_private_segment_buffer 1
		.amdhsa_user_sgpr_dispatch_ptr 0
		.amdhsa_user_sgpr_queue_ptr 0
		.amdhsa_user_sgpr_kernarg_segment_ptr 1
		.amdhsa_user_sgpr_dispatch_id 0
		.amdhsa_user_sgpr_flat_scratch_init 0
		.amdhsa_user_sgpr_kernarg_preload_length 0
		.amdhsa_user_sgpr_kernarg_preload_offset 0
		.amdhsa_user_sgpr_private_segment_size 0
		.amdhsa_uses_dynamic_stack 0
		.amdhsa_system_sgpr_private_segment_wavefront_offset 0
		.amdhsa_system_sgpr_workgroup_id_x 1
		.amdhsa_system_sgpr_workgroup_id_y 0
		.amdhsa_system_sgpr_workgroup_id_z 0
		.amdhsa_system_sgpr_workgroup_info 0
		.amdhsa_system_vgpr_workitem_id 0
		.amdhsa_next_free_vgpr 1
		.amdhsa_next_free_sgpr 0
		.amdhsa_accum_offset 4
		.amdhsa_reserve_vcc 0
		.amdhsa_reserve_flat_scratch 0
		.amdhsa_float_round_mode_32 0
		.amdhsa_float_round_mode_16_64 0
		.amdhsa_float_denorm_mode_32 3
		.amdhsa_float_denorm_mode_16_64 3
		.amdhsa_dx10_clamp 1
		.amdhsa_ieee_mode 1
		.amdhsa_fp16_overflow 0
		.amdhsa_tg_split 0
		.amdhsa_exception_fp_ieee_invalid_op 0
		.amdhsa_exception_fp_denorm_src 0
		.amdhsa_exception_fp_ieee_div_zero 0
		.amdhsa_exception_fp_ieee_overflow 0
		.amdhsa_exception_fp_ieee_underflow 0
		.amdhsa_exception_fp_ieee_inexact 0
		.amdhsa_exception_int_div_zero 0
	.end_amdhsa_kernel
	.section	.text._ZN7rocprim17ROCPRIM_400000_NS6detail17trampoline_kernelINS0_14default_configENS1_35radix_sort_onesweep_config_selectorIalEEZZNS1_29radix_sort_onesweep_iterationIS3_Lb0EPaS7_N6thrust23THRUST_200600_302600_NS10device_ptrIlEESB_jNS0_19identity_decomposerENS1_16block_id_wrapperIjLb1EEEEE10hipError_tT1_PNSt15iterator_traitsISG_E10value_typeET2_T3_PNSH_ISM_E10value_typeET4_T5_PSR_SS_PNS1_23onesweep_lookback_stateEbbT6_jjT7_P12ihipStream_tbENKUlT_T0_SG_SL_E_clIS7_S7_SB_PlEEDaSZ_S10_SG_SL_EUlSZ_E_NS1_11comp_targetILNS1_3genE8ELNS1_11target_archE1030ELNS1_3gpuE2ELNS1_3repE0EEENS1_47radix_sort_onesweep_sort_config_static_selectorELNS0_4arch9wavefront6targetE1EEEvSG_,"axG",@progbits,_ZN7rocprim17ROCPRIM_400000_NS6detail17trampoline_kernelINS0_14default_configENS1_35radix_sort_onesweep_config_selectorIalEEZZNS1_29radix_sort_onesweep_iterationIS3_Lb0EPaS7_N6thrust23THRUST_200600_302600_NS10device_ptrIlEESB_jNS0_19identity_decomposerENS1_16block_id_wrapperIjLb1EEEEE10hipError_tT1_PNSt15iterator_traitsISG_E10value_typeET2_T3_PNSH_ISM_E10value_typeET4_T5_PSR_SS_PNS1_23onesweep_lookback_stateEbbT6_jjT7_P12ihipStream_tbENKUlT_T0_SG_SL_E_clIS7_S7_SB_PlEEDaSZ_S10_SG_SL_EUlSZ_E_NS1_11comp_targetILNS1_3genE8ELNS1_11target_archE1030ELNS1_3gpuE2ELNS1_3repE0EEENS1_47radix_sort_onesweep_sort_config_static_selectorELNS0_4arch9wavefront6targetE1EEEvSG_,comdat
.Lfunc_end617:
	.size	_ZN7rocprim17ROCPRIM_400000_NS6detail17trampoline_kernelINS0_14default_configENS1_35radix_sort_onesweep_config_selectorIalEEZZNS1_29radix_sort_onesweep_iterationIS3_Lb0EPaS7_N6thrust23THRUST_200600_302600_NS10device_ptrIlEESB_jNS0_19identity_decomposerENS1_16block_id_wrapperIjLb1EEEEE10hipError_tT1_PNSt15iterator_traitsISG_E10value_typeET2_T3_PNSH_ISM_E10value_typeET4_T5_PSR_SS_PNS1_23onesweep_lookback_stateEbbT6_jjT7_P12ihipStream_tbENKUlT_T0_SG_SL_E_clIS7_S7_SB_PlEEDaSZ_S10_SG_SL_EUlSZ_E_NS1_11comp_targetILNS1_3genE8ELNS1_11target_archE1030ELNS1_3gpuE2ELNS1_3repE0EEENS1_47radix_sort_onesweep_sort_config_static_selectorELNS0_4arch9wavefront6targetE1EEEvSG_, .Lfunc_end617-_ZN7rocprim17ROCPRIM_400000_NS6detail17trampoline_kernelINS0_14default_configENS1_35radix_sort_onesweep_config_selectorIalEEZZNS1_29radix_sort_onesweep_iterationIS3_Lb0EPaS7_N6thrust23THRUST_200600_302600_NS10device_ptrIlEESB_jNS0_19identity_decomposerENS1_16block_id_wrapperIjLb1EEEEE10hipError_tT1_PNSt15iterator_traitsISG_E10value_typeET2_T3_PNSH_ISM_E10value_typeET4_T5_PSR_SS_PNS1_23onesweep_lookback_stateEbbT6_jjT7_P12ihipStream_tbENKUlT_T0_SG_SL_E_clIS7_S7_SB_PlEEDaSZ_S10_SG_SL_EUlSZ_E_NS1_11comp_targetILNS1_3genE8ELNS1_11target_archE1030ELNS1_3gpuE2ELNS1_3repE0EEENS1_47radix_sort_onesweep_sort_config_static_selectorELNS0_4arch9wavefront6targetE1EEEvSG_
                                        ; -- End function
	.section	.AMDGPU.csdata,"",@progbits
; Kernel info:
; codeLenInByte = 0
; NumSgprs: 4
; NumVgprs: 0
; NumAgprs: 0
; TotalNumVgprs: 0
; ScratchSize: 0
; MemoryBound: 0
; FloatMode: 240
; IeeeMode: 1
; LDSByteSize: 0 bytes/workgroup (compile time only)
; SGPRBlocks: 0
; VGPRBlocks: 0
; NumSGPRsForWavesPerEU: 4
; NumVGPRsForWavesPerEU: 1
; AccumOffset: 4
; Occupancy: 8
; WaveLimiterHint : 0
; COMPUTE_PGM_RSRC2:SCRATCH_EN: 0
; COMPUTE_PGM_RSRC2:USER_SGPR: 6
; COMPUTE_PGM_RSRC2:TRAP_HANDLER: 0
; COMPUTE_PGM_RSRC2:TGID_X_EN: 1
; COMPUTE_PGM_RSRC2:TGID_Y_EN: 0
; COMPUTE_PGM_RSRC2:TGID_Z_EN: 0
; COMPUTE_PGM_RSRC2:TIDIG_COMP_CNT: 0
; COMPUTE_PGM_RSRC3_GFX90A:ACCUM_OFFSET: 0
; COMPUTE_PGM_RSRC3_GFX90A:TG_SPLIT: 0
	.section	.text._ZN7rocprim17ROCPRIM_400000_NS6detail17trampoline_kernelINS0_14default_configENS1_35radix_sort_onesweep_config_selectorIalEEZZNS1_29radix_sort_onesweep_iterationIS3_Lb0EPaS7_N6thrust23THRUST_200600_302600_NS10device_ptrIlEESB_jNS0_19identity_decomposerENS1_16block_id_wrapperIjLb1EEEEE10hipError_tT1_PNSt15iterator_traitsISG_E10value_typeET2_T3_PNSH_ISM_E10value_typeET4_T5_PSR_SS_PNS1_23onesweep_lookback_stateEbbT6_jjT7_P12ihipStream_tbENKUlT_T0_SG_SL_E_clIS7_S7_PlSB_EEDaSZ_S10_SG_SL_EUlSZ_E_NS1_11comp_targetILNS1_3genE0ELNS1_11target_archE4294967295ELNS1_3gpuE0ELNS1_3repE0EEENS1_47radix_sort_onesweep_sort_config_static_selectorELNS0_4arch9wavefront6targetE1EEEvSG_,"axG",@progbits,_ZN7rocprim17ROCPRIM_400000_NS6detail17trampoline_kernelINS0_14default_configENS1_35radix_sort_onesweep_config_selectorIalEEZZNS1_29radix_sort_onesweep_iterationIS3_Lb0EPaS7_N6thrust23THRUST_200600_302600_NS10device_ptrIlEESB_jNS0_19identity_decomposerENS1_16block_id_wrapperIjLb1EEEEE10hipError_tT1_PNSt15iterator_traitsISG_E10value_typeET2_T3_PNSH_ISM_E10value_typeET4_T5_PSR_SS_PNS1_23onesweep_lookback_stateEbbT6_jjT7_P12ihipStream_tbENKUlT_T0_SG_SL_E_clIS7_S7_PlSB_EEDaSZ_S10_SG_SL_EUlSZ_E_NS1_11comp_targetILNS1_3genE0ELNS1_11target_archE4294967295ELNS1_3gpuE0ELNS1_3repE0EEENS1_47radix_sort_onesweep_sort_config_static_selectorELNS0_4arch9wavefront6targetE1EEEvSG_,comdat
	.protected	_ZN7rocprim17ROCPRIM_400000_NS6detail17trampoline_kernelINS0_14default_configENS1_35radix_sort_onesweep_config_selectorIalEEZZNS1_29radix_sort_onesweep_iterationIS3_Lb0EPaS7_N6thrust23THRUST_200600_302600_NS10device_ptrIlEESB_jNS0_19identity_decomposerENS1_16block_id_wrapperIjLb1EEEEE10hipError_tT1_PNSt15iterator_traitsISG_E10value_typeET2_T3_PNSH_ISM_E10value_typeET4_T5_PSR_SS_PNS1_23onesweep_lookback_stateEbbT6_jjT7_P12ihipStream_tbENKUlT_T0_SG_SL_E_clIS7_S7_PlSB_EEDaSZ_S10_SG_SL_EUlSZ_E_NS1_11comp_targetILNS1_3genE0ELNS1_11target_archE4294967295ELNS1_3gpuE0ELNS1_3repE0EEENS1_47radix_sort_onesweep_sort_config_static_selectorELNS0_4arch9wavefront6targetE1EEEvSG_ ; -- Begin function _ZN7rocprim17ROCPRIM_400000_NS6detail17trampoline_kernelINS0_14default_configENS1_35radix_sort_onesweep_config_selectorIalEEZZNS1_29radix_sort_onesweep_iterationIS3_Lb0EPaS7_N6thrust23THRUST_200600_302600_NS10device_ptrIlEESB_jNS0_19identity_decomposerENS1_16block_id_wrapperIjLb1EEEEE10hipError_tT1_PNSt15iterator_traitsISG_E10value_typeET2_T3_PNSH_ISM_E10value_typeET4_T5_PSR_SS_PNS1_23onesweep_lookback_stateEbbT6_jjT7_P12ihipStream_tbENKUlT_T0_SG_SL_E_clIS7_S7_PlSB_EEDaSZ_S10_SG_SL_EUlSZ_E_NS1_11comp_targetILNS1_3genE0ELNS1_11target_archE4294967295ELNS1_3gpuE0ELNS1_3repE0EEENS1_47radix_sort_onesweep_sort_config_static_selectorELNS0_4arch9wavefront6targetE1EEEvSG_
	.globl	_ZN7rocprim17ROCPRIM_400000_NS6detail17trampoline_kernelINS0_14default_configENS1_35radix_sort_onesweep_config_selectorIalEEZZNS1_29radix_sort_onesweep_iterationIS3_Lb0EPaS7_N6thrust23THRUST_200600_302600_NS10device_ptrIlEESB_jNS0_19identity_decomposerENS1_16block_id_wrapperIjLb1EEEEE10hipError_tT1_PNSt15iterator_traitsISG_E10value_typeET2_T3_PNSH_ISM_E10value_typeET4_T5_PSR_SS_PNS1_23onesweep_lookback_stateEbbT6_jjT7_P12ihipStream_tbENKUlT_T0_SG_SL_E_clIS7_S7_PlSB_EEDaSZ_S10_SG_SL_EUlSZ_E_NS1_11comp_targetILNS1_3genE0ELNS1_11target_archE4294967295ELNS1_3gpuE0ELNS1_3repE0EEENS1_47radix_sort_onesweep_sort_config_static_selectorELNS0_4arch9wavefront6targetE1EEEvSG_
	.p2align	8
	.type	_ZN7rocprim17ROCPRIM_400000_NS6detail17trampoline_kernelINS0_14default_configENS1_35radix_sort_onesweep_config_selectorIalEEZZNS1_29radix_sort_onesweep_iterationIS3_Lb0EPaS7_N6thrust23THRUST_200600_302600_NS10device_ptrIlEESB_jNS0_19identity_decomposerENS1_16block_id_wrapperIjLb1EEEEE10hipError_tT1_PNSt15iterator_traitsISG_E10value_typeET2_T3_PNSH_ISM_E10value_typeET4_T5_PSR_SS_PNS1_23onesweep_lookback_stateEbbT6_jjT7_P12ihipStream_tbENKUlT_T0_SG_SL_E_clIS7_S7_PlSB_EEDaSZ_S10_SG_SL_EUlSZ_E_NS1_11comp_targetILNS1_3genE0ELNS1_11target_archE4294967295ELNS1_3gpuE0ELNS1_3repE0EEENS1_47radix_sort_onesweep_sort_config_static_selectorELNS0_4arch9wavefront6targetE1EEEvSG_,@function
_ZN7rocprim17ROCPRIM_400000_NS6detail17trampoline_kernelINS0_14default_configENS1_35radix_sort_onesweep_config_selectorIalEEZZNS1_29radix_sort_onesweep_iterationIS3_Lb0EPaS7_N6thrust23THRUST_200600_302600_NS10device_ptrIlEESB_jNS0_19identity_decomposerENS1_16block_id_wrapperIjLb1EEEEE10hipError_tT1_PNSt15iterator_traitsISG_E10value_typeET2_T3_PNSH_ISM_E10value_typeET4_T5_PSR_SS_PNS1_23onesweep_lookback_stateEbbT6_jjT7_P12ihipStream_tbENKUlT_T0_SG_SL_E_clIS7_S7_PlSB_EEDaSZ_S10_SG_SL_EUlSZ_E_NS1_11comp_targetILNS1_3genE0ELNS1_11target_archE4294967295ELNS1_3gpuE0ELNS1_3repE0EEENS1_47radix_sort_onesweep_sort_config_static_selectorELNS0_4arch9wavefront6targetE1EEEvSG_: ; @_ZN7rocprim17ROCPRIM_400000_NS6detail17trampoline_kernelINS0_14default_configENS1_35radix_sort_onesweep_config_selectorIalEEZZNS1_29radix_sort_onesweep_iterationIS3_Lb0EPaS7_N6thrust23THRUST_200600_302600_NS10device_ptrIlEESB_jNS0_19identity_decomposerENS1_16block_id_wrapperIjLb1EEEEE10hipError_tT1_PNSt15iterator_traitsISG_E10value_typeET2_T3_PNSH_ISM_E10value_typeET4_T5_PSR_SS_PNS1_23onesweep_lookback_stateEbbT6_jjT7_P12ihipStream_tbENKUlT_T0_SG_SL_E_clIS7_S7_PlSB_EEDaSZ_S10_SG_SL_EUlSZ_E_NS1_11comp_targetILNS1_3genE0ELNS1_11target_archE4294967295ELNS1_3gpuE0ELNS1_3repE0EEENS1_47radix_sort_onesweep_sort_config_static_selectorELNS0_4arch9wavefront6targetE1EEEvSG_
; %bb.0:
	.section	.rodata,"a",@progbits
	.p2align	6, 0x0
	.amdhsa_kernel _ZN7rocprim17ROCPRIM_400000_NS6detail17trampoline_kernelINS0_14default_configENS1_35radix_sort_onesweep_config_selectorIalEEZZNS1_29radix_sort_onesweep_iterationIS3_Lb0EPaS7_N6thrust23THRUST_200600_302600_NS10device_ptrIlEESB_jNS0_19identity_decomposerENS1_16block_id_wrapperIjLb1EEEEE10hipError_tT1_PNSt15iterator_traitsISG_E10value_typeET2_T3_PNSH_ISM_E10value_typeET4_T5_PSR_SS_PNS1_23onesweep_lookback_stateEbbT6_jjT7_P12ihipStream_tbENKUlT_T0_SG_SL_E_clIS7_S7_PlSB_EEDaSZ_S10_SG_SL_EUlSZ_E_NS1_11comp_targetILNS1_3genE0ELNS1_11target_archE4294967295ELNS1_3gpuE0ELNS1_3repE0EEENS1_47radix_sort_onesweep_sort_config_static_selectorELNS0_4arch9wavefront6targetE1EEEvSG_
		.amdhsa_group_segment_fixed_size 0
		.amdhsa_private_segment_fixed_size 0
		.amdhsa_kernarg_size 88
		.amdhsa_user_sgpr_count 6
		.amdhsa_user_sgpr_private_segment_buffer 1
		.amdhsa_user_sgpr_dispatch_ptr 0
		.amdhsa_user_sgpr_queue_ptr 0
		.amdhsa_user_sgpr_kernarg_segment_ptr 1
		.amdhsa_user_sgpr_dispatch_id 0
		.amdhsa_user_sgpr_flat_scratch_init 0
		.amdhsa_user_sgpr_kernarg_preload_length 0
		.amdhsa_user_sgpr_kernarg_preload_offset 0
		.amdhsa_user_sgpr_private_segment_size 0
		.amdhsa_uses_dynamic_stack 0
		.amdhsa_system_sgpr_private_segment_wavefront_offset 0
		.amdhsa_system_sgpr_workgroup_id_x 1
		.amdhsa_system_sgpr_workgroup_id_y 0
		.amdhsa_system_sgpr_workgroup_id_z 0
		.amdhsa_system_sgpr_workgroup_info 0
		.amdhsa_system_vgpr_workitem_id 0
		.amdhsa_next_free_vgpr 1
		.amdhsa_next_free_sgpr 0
		.amdhsa_accum_offset 4
		.amdhsa_reserve_vcc 0
		.amdhsa_reserve_flat_scratch 0
		.amdhsa_float_round_mode_32 0
		.amdhsa_float_round_mode_16_64 0
		.amdhsa_float_denorm_mode_32 3
		.amdhsa_float_denorm_mode_16_64 3
		.amdhsa_dx10_clamp 1
		.amdhsa_ieee_mode 1
		.amdhsa_fp16_overflow 0
		.amdhsa_tg_split 0
		.amdhsa_exception_fp_ieee_invalid_op 0
		.amdhsa_exception_fp_denorm_src 0
		.amdhsa_exception_fp_ieee_div_zero 0
		.amdhsa_exception_fp_ieee_overflow 0
		.amdhsa_exception_fp_ieee_underflow 0
		.amdhsa_exception_fp_ieee_inexact 0
		.amdhsa_exception_int_div_zero 0
	.end_amdhsa_kernel
	.section	.text._ZN7rocprim17ROCPRIM_400000_NS6detail17trampoline_kernelINS0_14default_configENS1_35radix_sort_onesweep_config_selectorIalEEZZNS1_29radix_sort_onesweep_iterationIS3_Lb0EPaS7_N6thrust23THRUST_200600_302600_NS10device_ptrIlEESB_jNS0_19identity_decomposerENS1_16block_id_wrapperIjLb1EEEEE10hipError_tT1_PNSt15iterator_traitsISG_E10value_typeET2_T3_PNSH_ISM_E10value_typeET4_T5_PSR_SS_PNS1_23onesweep_lookback_stateEbbT6_jjT7_P12ihipStream_tbENKUlT_T0_SG_SL_E_clIS7_S7_PlSB_EEDaSZ_S10_SG_SL_EUlSZ_E_NS1_11comp_targetILNS1_3genE0ELNS1_11target_archE4294967295ELNS1_3gpuE0ELNS1_3repE0EEENS1_47radix_sort_onesweep_sort_config_static_selectorELNS0_4arch9wavefront6targetE1EEEvSG_,"axG",@progbits,_ZN7rocprim17ROCPRIM_400000_NS6detail17trampoline_kernelINS0_14default_configENS1_35radix_sort_onesweep_config_selectorIalEEZZNS1_29radix_sort_onesweep_iterationIS3_Lb0EPaS7_N6thrust23THRUST_200600_302600_NS10device_ptrIlEESB_jNS0_19identity_decomposerENS1_16block_id_wrapperIjLb1EEEEE10hipError_tT1_PNSt15iterator_traitsISG_E10value_typeET2_T3_PNSH_ISM_E10value_typeET4_T5_PSR_SS_PNS1_23onesweep_lookback_stateEbbT6_jjT7_P12ihipStream_tbENKUlT_T0_SG_SL_E_clIS7_S7_PlSB_EEDaSZ_S10_SG_SL_EUlSZ_E_NS1_11comp_targetILNS1_3genE0ELNS1_11target_archE4294967295ELNS1_3gpuE0ELNS1_3repE0EEENS1_47radix_sort_onesweep_sort_config_static_selectorELNS0_4arch9wavefront6targetE1EEEvSG_,comdat
.Lfunc_end618:
	.size	_ZN7rocprim17ROCPRIM_400000_NS6detail17trampoline_kernelINS0_14default_configENS1_35radix_sort_onesweep_config_selectorIalEEZZNS1_29radix_sort_onesweep_iterationIS3_Lb0EPaS7_N6thrust23THRUST_200600_302600_NS10device_ptrIlEESB_jNS0_19identity_decomposerENS1_16block_id_wrapperIjLb1EEEEE10hipError_tT1_PNSt15iterator_traitsISG_E10value_typeET2_T3_PNSH_ISM_E10value_typeET4_T5_PSR_SS_PNS1_23onesweep_lookback_stateEbbT6_jjT7_P12ihipStream_tbENKUlT_T0_SG_SL_E_clIS7_S7_PlSB_EEDaSZ_S10_SG_SL_EUlSZ_E_NS1_11comp_targetILNS1_3genE0ELNS1_11target_archE4294967295ELNS1_3gpuE0ELNS1_3repE0EEENS1_47radix_sort_onesweep_sort_config_static_selectorELNS0_4arch9wavefront6targetE1EEEvSG_, .Lfunc_end618-_ZN7rocprim17ROCPRIM_400000_NS6detail17trampoline_kernelINS0_14default_configENS1_35radix_sort_onesweep_config_selectorIalEEZZNS1_29radix_sort_onesweep_iterationIS3_Lb0EPaS7_N6thrust23THRUST_200600_302600_NS10device_ptrIlEESB_jNS0_19identity_decomposerENS1_16block_id_wrapperIjLb1EEEEE10hipError_tT1_PNSt15iterator_traitsISG_E10value_typeET2_T3_PNSH_ISM_E10value_typeET4_T5_PSR_SS_PNS1_23onesweep_lookback_stateEbbT6_jjT7_P12ihipStream_tbENKUlT_T0_SG_SL_E_clIS7_S7_PlSB_EEDaSZ_S10_SG_SL_EUlSZ_E_NS1_11comp_targetILNS1_3genE0ELNS1_11target_archE4294967295ELNS1_3gpuE0ELNS1_3repE0EEENS1_47radix_sort_onesweep_sort_config_static_selectorELNS0_4arch9wavefront6targetE1EEEvSG_
                                        ; -- End function
	.section	.AMDGPU.csdata,"",@progbits
; Kernel info:
; codeLenInByte = 0
; NumSgprs: 4
; NumVgprs: 0
; NumAgprs: 0
; TotalNumVgprs: 0
; ScratchSize: 0
; MemoryBound: 0
; FloatMode: 240
; IeeeMode: 1
; LDSByteSize: 0 bytes/workgroup (compile time only)
; SGPRBlocks: 0
; VGPRBlocks: 0
; NumSGPRsForWavesPerEU: 4
; NumVGPRsForWavesPerEU: 1
; AccumOffset: 4
; Occupancy: 8
; WaveLimiterHint : 0
; COMPUTE_PGM_RSRC2:SCRATCH_EN: 0
; COMPUTE_PGM_RSRC2:USER_SGPR: 6
; COMPUTE_PGM_RSRC2:TRAP_HANDLER: 0
; COMPUTE_PGM_RSRC2:TGID_X_EN: 1
; COMPUTE_PGM_RSRC2:TGID_Y_EN: 0
; COMPUTE_PGM_RSRC2:TGID_Z_EN: 0
; COMPUTE_PGM_RSRC2:TIDIG_COMP_CNT: 0
; COMPUTE_PGM_RSRC3_GFX90A:ACCUM_OFFSET: 0
; COMPUTE_PGM_RSRC3_GFX90A:TG_SPLIT: 0
	.section	.text._ZN7rocprim17ROCPRIM_400000_NS6detail17trampoline_kernelINS0_14default_configENS1_35radix_sort_onesweep_config_selectorIalEEZZNS1_29radix_sort_onesweep_iterationIS3_Lb0EPaS7_N6thrust23THRUST_200600_302600_NS10device_ptrIlEESB_jNS0_19identity_decomposerENS1_16block_id_wrapperIjLb1EEEEE10hipError_tT1_PNSt15iterator_traitsISG_E10value_typeET2_T3_PNSH_ISM_E10value_typeET4_T5_PSR_SS_PNS1_23onesweep_lookback_stateEbbT6_jjT7_P12ihipStream_tbENKUlT_T0_SG_SL_E_clIS7_S7_PlSB_EEDaSZ_S10_SG_SL_EUlSZ_E_NS1_11comp_targetILNS1_3genE6ELNS1_11target_archE950ELNS1_3gpuE13ELNS1_3repE0EEENS1_47radix_sort_onesweep_sort_config_static_selectorELNS0_4arch9wavefront6targetE1EEEvSG_,"axG",@progbits,_ZN7rocprim17ROCPRIM_400000_NS6detail17trampoline_kernelINS0_14default_configENS1_35radix_sort_onesweep_config_selectorIalEEZZNS1_29radix_sort_onesweep_iterationIS3_Lb0EPaS7_N6thrust23THRUST_200600_302600_NS10device_ptrIlEESB_jNS0_19identity_decomposerENS1_16block_id_wrapperIjLb1EEEEE10hipError_tT1_PNSt15iterator_traitsISG_E10value_typeET2_T3_PNSH_ISM_E10value_typeET4_T5_PSR_SS_PNS1_23onesweep_lookback_stateEbbT6_jjT7_P12ihipStream_tbENKUlT_T0_SG_SL_E_clIS7_S7_PlSB_EEDaSZ_S10_SG_SL_EUlSZ_E_NS1_11comp_targetILNS1_3genE6ELNS1_11target_archE950ELNS1_3gpuE13ELNS1_3repE0EEENS1_47radix_sort_onesweep_sort_config_static_selectorELNS0_4arch9wavefront6targetE1EEEvSG_,comdat
	.protected	_ZN7rocprim17ROCPRIM_400000_NS6detail17trampoline_kernelINS0_14default_configENS1_35radix_sort_onesweep_config_selectorIalEEZZNS1_29radix_sort_onesweep_iterationIS3_Lb0EPaS7_N6thrust23THRUST_200600_302600_NS10device_ptrIlEESB_jNS0_19identity_decomposerENS1_16block_id_wrapperIjLb1EEEEE10hipError_tT1_PNSt15iterator_traitsISG_E10value_typeET2_T3_PNSH_ISM_E10value_typeET4_T5_PSR_SS_PNS1_23onesweep_lookback_stateEbbT6_jjT7_P12ihipStream_tbENKUlT_T0_SG_SL_E_clIS7_S7_PlSB_EEDaSZ_S10_SG_SL_EUlSZ_E_NS1_11comp_targetILNS1_3genE6ELNS1_11target_archE950ELNS1_3gpuE13ELNS1_3repE0EEENS1_47radix_sort_onesweep_sort_config_static_selectorELNS0_4arch9wavefront6targetE1EEEvSG_ ; -- Begin function _ZN7rocprim17ROCPRIM_400000_NS6detail17trampoline_kernelINS0_14default_configENS1_35radix_sort_onesweep_config_selectorIalEEZZNS1_29radix_sort_onesweep_iterationIS3_Lb0EPaS7_N6thrust23THRUST_200600_302600_NS10device_ptrIlEESB_jNS0_19identity_decomposerENS1_16block_id_wrapperIjLb1EEEEE10hipError_tT1_PNSt15iterator_traitsISG_E10value_typeET2_T3_PNSH_ISM_E10value_typeET4_T5_PSR_SS_PNS1_23onesweep_lookback_stateEbbT6_jjT7_P12ihipStream_tbENKUlT_T0_SG_SL_E_clIS7_S7_PlSB_EEDaSZ_S10_SG_SL_EUlSZ_E_NS1_11comp_targetILNS1_3genE6ELNS1_11target_archE950ELNS1_3gpuE13ELNS1_3repE0EEENS1_47radix_sort_onesweep_sort_config_static_selectorELNS0_4arch9wavefront6targetE1EEEvSG_
	.globl	_ZN7rocprim17ROCPRIM_400000_NS6detail17trampoline_kernelINS0_14default_configENS1_35radix_sort_onesweep_config_selectorIalEEZZNS1_29radix_sort_onesweep_iterationIS3_Lb0EPaS7_N6thrust23THRUST_200600_302600_NS10device_ptrIlEESB_jNS0_19identity_decomposerENS1_16block_id_wrapperIjLb1EEEEE10hipError_tT1_PNSt15iterator_traitsISG_E10value_typeET2_T3_PNSH_ISM_E10value_typeET4_T5_PSR_SS_PNS1_23onesweep_lookback_stateEbbT6_jjT7_P12ihipStream_tbENKUlT_T0_SG_SL_E_clIS7_S7_PlSB_EEDaSZ_S10_SG_SL_EUlSZ_E_NS1_11comp_targetILNS1_3genE6ELNS1_11target_archE950ELNS1_3gpuE13ELNS1_3repE0EEENS1_47radix_sort_onesweep_sort_config_static_selectorELNS0_4arch9wavefront6targetE1EEEvSG_
	.p2align	8
	.type	_ZN7rocprim17ROCPRIM_400000_NS6detail17trampoline_kernelINS0_14default_configENS1_35radix_sort_onesweep_config_selectorIalEEZZNS1_29radix_sort_onesweep_iterationIS3_Lb0EPaS7_N6thrust23THRUST_200600_302600_NS10device_ptrIlEESB_jNS0_19identity_decomposerENS1_16block_id_wrapperIjLb1EEEEE10hipError_tT1_PNSt15iterator_traitsISG_E10value_typeET2_T3_PNSH_ISM_E10value_typeET4_T5_PSR_SS_PNS1_23onesweep_lookback_stateEbbT6_jjT7_P12ihipStream_tbENKUlT_T0_SG_SL_E_clIS7_S7_PlSB_EEDaSZ_S10_SG_SL_EUlSZ_E_NS1_11comp_targetILNS1_3genE6ELNS1_11target_archE950ELNS1_3gpuE13ELNS1_3repE0EEENS1_47radix_sort_onesweep_sort_config_static_selectorELNS0_4arch9wavefront6targetE1EEEvSG_,@function
_ZN7rocprim17ROCPRIM_400000_NS6detail17trampoline_kernelINS0_14default_configENS1_35radix_sort_onesweep_config_selectorIalEEZZNS1_29radix_sort_onesweep_iterationIS3_Lb0EPaS7_N6thrust23THRUST_200600_302600_NS10device_ptrIlEESB_jNS0_19identity_decomposerENS1_16block_id_wrapperIjLb1EEEEE10hipError_tT1_PNSt15iterator_traitsISG_E10value_typeET2_T3_PNSH_ISM_E10value_typeET4_T5_PSR_SS_PNS1_23onesweep_lookback_stateEbbT6_jjT7_P12ihipStream_tbENKUlT_T0_SG_SL_E_clIS7_S7_PlSB_EEDaSZ_S10_SG_SL_EUlSZ_E_NS1_11comp_targetILNS1_3genE6ELNS1_11target_archE950ELNS1_3gpuE13ELNS1_3repE0EEENS1_47radix_sort_onesweep_sort_config_static_selectorELNS0_4arch9wavefront6targetE1EEEvSG_: ; @_ZN7rocprim17ROCPRIM_400000_NS6detail17trampoline_kernelINS0_14default_configENS1_35radix_sort_onesweep_config_selectorIalEEZZNS1_29radix_sort_onesweep_iterationIS3_Lb0EPaS7_N6thrust23THRUST_200600_302600_NS10device_ptrIlEESB_jNS0_19identity_decomposerENS1_16block_id_wrapperIjLb1EEEEE10hipError_tT1_PNSt15iterator_traitsISG_E10value_typeET2_T3_PNSH_ISM_E10value_typeET4_T5_PSR_SS_PNS1_23onesweep_lookback_stateEbbT6_jjT7_P12ihipStream_tbENKUlT_T0_SG_SL_E_clIS7_S7_PlSB_EEDaSZ_S10_SG_SL_EUlSZ_E_NS1_11comp_targetILNS1_3genE6ELNS1_11target_archE950ELNS1_3gpuE13ELNS1_3repE0EEENS1_47radix_sort_onesweep_sort_config_static_selectorELNS0_4arch9wavefront6targetE1EEEvSG_
; %bb.0:
	.section	.rodata,"a",@progbits
	.p2align	6, 0x0
	.amdhsa_kernel _ZN7rocprim17ROCPRIM_400000_NS6detail17trampoline_kernelINS0_14default_configENS1_35radix_sort_onesweep_config_selectorIalEEZZNS1_29radix_sort_onesweep_iterationIS3_Lb0EPaS7_N6thrust23THRUST_200600_302600_NS10device_ptrIlEESB_jNS0_19identity_decomposerENS1_16block_id_wrapperIjLb1EEEEE10hipError_tT1_PNSt15iterator_traitsISG_E10value_typeET2_T3_PNSH_ISM_E10value_typeET4_T5_PSR_SS_PNS1_23onesweep_lookback_stateEbbT6_jjT7_P12ihipStream_tbENKUlT_T0_SG_SL_E_clIS7_S7_PlSB_EEDaSZ_S10_SG_SL_EUlSZ_E_NS1_11comp_targetILNS1_3genE6ELNS1_11target_archE950ELNS1_3gpuE13ELNS1_3repE0EEENS1_47radix_sort_onesweep_sort_config_static_selectorELNS0_4arch9wavefront6targetE1EEEvSG_
		.amdhsa_group_segment_fixed_size 0
		.amdhsa_private_segment_fixed_size 0
		.amdhsa_kernarg_size 88
		.amdhsa_user_sgpr_count 6
		.amdhsa_user_sgpr_private_segment_buffer 1
		.amdhsa_user_sgpr_dispatch_ptr 0
		.amdhsa_user_sgpr_queue_ptr 0
		.amdhsa_user_sgpr_kernarg_segment_ptr 1
		.amdhsa_user_sgpr_dispatch_id 0
		.amdhsa_user_sgpr_flat_scratch_init 0
		.amdhsa_user_sgpr_kernarg_preload_length 0
		.amdhsa_user_sgpr_kernarg_preload_offset 0
		.amdhsa_user_sgpr_private_segment_size 0
		.amdhsa_uses_dynamic_stack 0
		.amdhsa_system_sgpr_private_segment_wavefront_offset 0
		.amdhsa_system_sgpr_workgroup_id_x 1
		.amdhsa_system_sgpr_workgroup_id_y 0
		.amdhsa_system_sgpr_workgroup_id_z 0
		.amdhsa_system_sgpr_workgroup_info 0
		.amdhsa_system_vgpr_workitem_id 0
		.amdhsa_next_free_vgpr 1
		.amdhsa_next_free_sgpr 0
		.amdhsa_accum_offset 4
		.amdhsa_reserve_vcc 0
		.amdhsa_reserve_flat_scratch 0
		.amdhsa_float_round_mode_32 0
		.amdhsa_float_round_mode_16_64 0
		.amdhsa_float_denorm_mode_32 3
		.amdhsa_float_denorm_mode_16_64 3
		.amdhsa_dx10_clamp 1
		.amdhsa_ieee_mode 1
		.amdhsa_fp16_overflow 0
		.amdhsa_tg_split 0
		.amdhsa_exception_fp_ieee_invalid_op 0
		.amdhsa_exception_fp_denorm_src 0
		.amdhsa_exception_fp_ieee_div_zero 0
		.amdhsa_exception_fp_ieee_overflow 0
		.amdhsa_exception_fp_ieee_underflow 0
		.amdhsa_exception_fp_ieee_inexact 0
		.amdhsa_exception_int_div_zero 0
	.end_amdhsa_kernel
	.section	.text._ZN7rocprim17ROCPRIM_400000_NS6detail17trampoline_kernelINS0_14default_configENS1_35radix_sort_onesweep_config_selectorIalEEZZNS1_29radix_sort_onesweep_iterationIS3_Lb0EPaS7_N6thrust23THRUST_200600_302600_NS10device_ptrIlEESB_jNS0_19identity_decomposerENS1_16block_id_wrapperIjLb1EEEEE10hipError_tT1_PNSt15iterator_traitsISG_E10value_typeET2_T3_PNSH_ISM_E10value_typeET4_T5_PSR_SS_PNS1_23onesweep_lookback_stateEbbT6_jjT7_P12ihipStream_tbENKUlT_T0_SG_SL_E_clIS7_S7_PlSB_EEDaSZ_S10_SG_SL_EUlSZ_E_NS1_11comp_targetILNS1_3genE6ELNS1_11target_archE950ELNS1_3gpuE13ELNS1_3repE0EEENS1_47radix_sort_onesweep_sort_config_static_selectorELNS0_4arch9wavefront6targetE1EEEvSG_,"axG",@progbits,_ZN7rocprim17ROCPRIM_400000_NS6detail17trampoline_kernelINS0_14default_configENS1_35radix_sort_onesweep_config_selectorIalEEZZNS1_29radix_sort_onesweep_iterationIS3_Lb0EPaS7_N6thrust23THRUST_200600_302600_NS10device_ptrIlEESB_jNS0_19identity_decomposerENS1_16block_id_wrapperIjLb1EEEEE10hipError_tT1_PNSt15iterator_traitsISG_E10value_typeET2_T3_PNSH_ISM_E10value_typeET4_T5_PSR_SS_PNS1_23onesweep_lookback_stateEbbT6_jjT7_P12ihipStream_tbENKUlT_T0_SG_SL_E_clIS7_S7_PlSB_EEDaSZ_S10_SG_SL_EUlSZ_E_NS1_11comp_targetILNS1_3genE6ELNS1_11target_archE950ELNS1_3gpuE13ELNS1_3repE0EEENS1_47radix_sort_onesweep_sort_config_static_selectorELNS0_4arch9wavefront6targetE1EEEvSG_,comdat
.Lfunc_end619:
	.size	_ZN7rocprim17ROCPRIM_400000_NS6detail17trampoline_kernelINS0_14default_configENS1_35radix_sort_onesweep_config_selectorIalEEZZNS1_29radix_sort_onesweep_iterationIS3_Lb0EPaS7_N6thrust23THRUST_200600_302600_NS10device_ptrIlEESB_jNS0_19identity_decomposerENS1_16block_id_wrapperIjLb1EEEEE10hipError_tT1_PNSt15iterator_traitsISG_E10value_typeET2_T3_PNSH_ISM_E10value_typeET4_T5_PSR_SS_PNS1_23onesweep_lookback_stateEbbT6_jjT7_P12ihipStream_tbENKUlT_T0_SG_SL_E_clIS7_S7_PlSB_EEDaSZ_S10_SG_SL_EUlSZ_E_NS1_11comp_targetILNS1_3genE6ELNS1_11target_archE950ELNS1_3gpuE13ELNS1_3repE0EEENS1_47radix_sort_onesweep_sort_config_static_selectorELNS0_4arch9wavefront6targetE1EEEvSG_, .Lfunc_end619-_ZN7rocprim17ROCPRIM_400000_NS6detail17trampoline_kernelINS0_14default_configENS1_35radix_sort_onesweep_config_selectorIalEEZZNS1_29radix_sort_onesweep_iterationIS3_Lb0EPaS7_N6thrust23THRUST_200600_302600_NS10device_ptrIlEESB_jNS0_19identity_decomposerENS1_16block_id_wrapperIjLb1EEEEE10hipError_tT1_PNSt15iterator_traitsISG_E10value_typeET2_T3_PNSH_ISM_E10value_typeET4_T5_PSR_SS_PNS1_23onesweep_lookback_stateEbbT6_jjT7_P12ihipStream_tbENKUlT_T0_SG_SL_E_clIS7_S7_PlSB_EEDaSZ_S10_SG_SL_EUlSZ_E_NS1_11comp_targetILNS1_3genE6ELNS1_11target_archE950ELNS1_3gpuE13ELNS1_3repE0EEENS1_47radix_sort_onesweep_sort_config_static_selectorELNS0_4arch9wavefront6targetE1EEEvSG_
                                        ; -- End function
	.section	.AMDGPU.csdata,"",@progbits
; Kernel info:
; codeLenInByte = 0
; NumSgprs: 4
; NumVgprs: 0
; NumAgprs: 0
; TotalNumVgprs: 0
; ScratchSize: 0
; MemoryBound: 0
; FloatMode: 240
; IeeeMode: 1
; LDSByteSize: 0 bytes/workgroup (compile time only)
; SGPRBlocks: 0
; VGPRBlocks: 0
; NumSGPRsForWavesPerEU: 4
; NumVGPRsForWavesPerEU: 1
; AccumOffset: 4
; Occupancy: 8
; WaveLimiterHint : 0
; COMPUTE_PGM_RSRC2:SCRATCH_EN: 0
; COMPUTE_PGM_RSRC2:USER_SGPR: 6
; COMPUTE_PGM_RSRC2:TRAP_HANDLER: 0
; COMPUTE_PGM_RSRC2:TGID_X_EN: 1
; COMPUTE_PGM_RSRC2:TGID_Y_EN: 0
; COMPUTE_PGM_RSRC2:TGID_Z_EN: 0
; COMPUTE_PGM_RSRC2:TIDIG_COMP_CNT: 0
; COMPUTE_PGM_RSRC3_GFX90A:ACCUM_OFFSET: 0
; COMPUTE_PGM_RSRC3_GFX90A:TG_SPLIT: 0
	.section	.text._ZN7rocprim17ROCPRIM_400000_NS6detail17trampoline_kernelINS0_14default_configENS1_35radix_sort_onesweep_config_selectorIalEEZZNS1_29radix_sort_onesweep_iterationIS3_Lb0EPaS7_N6thrust23THRUST_200600_302600_NS10device_ptrIlEESB_jNS0_19identity_decomposerENS1_16block_id_wrapperIjLb1EEEEE10hipError_tT1_PNSt15iterator_traitsISG_E10value_typeET2_T3_PNSH_ISM_E10value_typeET4_T5_PSR_SS_PNS1_23onesweep_lookback_stateEbbT6_jjT7_P12ihipStream_tbENKUlT_T0_SG_SL_E_clIS7_S7_PlSB_EEDaSZ_S10_SG_SL_EUlSZ_E_NS1_11comp_targetILNS1_3genE5ELNS1_11target_archE942ELNS1_3gpuE9ELNS1_3repE0EEENS1_47radix_sort_onesweep_sort_config_static_selectorELNS0_4arch9wavefront6targetE1EEEvSG_,"axG",@progbits,_ZN7rocprim17ROCPRIM_400000_NS6detail17trampoline_kernelINS0_14default_configENS1_35radix_sort_onesweep_config_selectorIalEEZZNS1_29radix_sort_onesweep_iterationIS3_Lb0EPaS7_N6thrust23THRUST_200600_302600_NS10device_ptrIlEESB_jNS0_19identity_decomposerENS1_16block_id_wrapperIjLb1EEEEE10hipError_tT1_PNSt15iterator_traitsISG_E10value_typeET2_T3_PNSH_ISM_E10value_typeET4_T5_PSR_SS_PNS1_23onesweep_lookback_stateEbbT6_jjT7_P12ihipStream_tbENKUlT_T0_SG_SL_E_clIS7_S7_PlSB_EEDaSZ_S10_SG_SL_EUlSZ_E_NS1_11comp_targetILNS1_3genE5ELNS1_11target_archE942ELNS1_3gpuE9ELNS1_3repE0EEENS1_47radix_sort_onesweep_sort_config_static_selectorELNS0_4arch9wavefront6targetE1EEEvSG_,comdat
	.protected	_ZN7rocprim17ROCPRIM_400000_NS6detail17trampoline_kernelINS0_14default_configENS1_35radix_sort_onesweep_config_selectorIalEEZZNS1_29radix_sort_onesweep_iterationIS3_Lb0EPaS7_N6thrust23THRUST_200600_302600_NS10device_ptrIlEESB_jNS0_19identity_decomposerENS1_16block_id_wrapperIjLb1EEEEE10hipError_tT1_PNSt15iterator_traitsISG_E10value_typeET2_T3_PNSH_ISM_E10value_typeET4_T5_PSR_SS_PNS1_23onesweep_lookback_stateEbbT6_jjT7_P12ihipStream_tbENKUlT_T0_SG_SL_E_clIS7_S7_PlSB_EEDaSZ_S10_SG_SL_EUlSZ_E_NS1_11comp_targetILNS1_3genE5ELNS1_11target_archE942ELNS1_3gpuE9ELNS1_3repE0EEENS1_47radix_sort_onesweep_sort_config_static_selectorELNS0_4arch9wavefront6targetE1EEEvSG_ ; -- Begin function _ZN7rocprim17ROCPRIM_400000_NS6detail17trampoline_kernelINS0_14default_configENS1_35radix_sort_onesweep_config_selectorIalEEZZNS1_29radix_sort_onesweep_iterationIS3_Lb0EPaS7_N6thrust23THRUST_200600_302600_NS10device_ptrIlEESB_jNS0_19identity_decomposerENS1_16block_id_wrapperIjLb1EEEEE10hipError_tT1_PNSt15iterator_traitsISG_E10value_typeET2_T3_PNSH_ISM_E10value_typeET4_T5_PSR_SS_PNS1_23onesweep_lookback_stateEbbT6_jjT7_P12ihipStream_tbENKUlT_T0_SG_SL_E_clIS7_S7_PlSB_EEDaSZ_S10_SG_SL_EUlSZ_E_NS1_11comp_targetILNS1_3genE5ELNS1_11target_archE942ELNS1_3gpuE9ELNS1_3repE0EEENS1_47radix_sort_onesweep_sort_config_static_selectorELNS0_4arch9wavefront6targetE1EEEvSG_
	.globl	_ZN7rocprim17ROCPRIM_400000_NS6detail17trampoline_kernelINS0_14default_configENS1_35radix_sort_onesweep_config_selectorIalEEZZNS1_29radix_sort_onesweep_iterationIS3_Lb0EPaS7_N6thrust23THRUST_200600_302600_NS10device_ptrIlEESB_jNS0_19identity_decomposerENS1_16block_id_wrapperIjLb1EEEEE10hipError_tT1_PNSt15iterator_traitsISG_E10value_typeET2_T3_PNSH_ISM_E10value_typeET4_T5_PSR_SS_PNS1_23onesweep_lookback_stateEbbT6_jjT7_P12ihipStream_tbENKUlT_T0_SG_SL_E_clIS7_S7_PlSB_EEDaSZ_S10_SG_SL_EUlSZ_E_NS1_11comp_targetILNS1_3genE5ELNS1_11target_archE942ELNS1_3gpuE9ELNS1_3repE0EEENS1_47radix_sort_onesweep_sort_config_static_selectorELNS0_4arch9wavefront6targetE1EEEvSG_
	.p2align	8
	.type	_ZN7rocprim17ROCPRIM_400000_NS6detail17trampoline_kernelINS0_14default_configENS1_35radix_sort_onesweep_config_selectorIalEEZZNS1_29radix_sort_onesweep_iterationIS3_Lb0EPaS7_N6thrust23THRUST_200600_302600_NS10device_ptrIlEESB_jNS0_19identity_decomposerENS1_16block_id_wrapperIjLb1EEEEE10hipError_tT1_PNSt15iterator_traitsISG_E10value_typeET2_T3_PNSH_ISM_E10value_typeET4_T5_PSR_SS_PNS1_23onesweep_lookback_stateEbbT6_jjT7_P12ihipStream_tbENKUlT_T0_SG_SL_E_clIS7_S7_PlSB_EEDaSZ_S10_SG_SL_EUlSZ_E_NS1_11comp_targetILNS1_3genE5ELNS1_11target_archE942ELNS1_3gpuE9ELNS1_3repE0EEENS1_47radix_sort_onesweep_sort_config_static_selectorELNS0_4arch9wavefront6targetE1EEEvSG_,@function
_ZN7rocprim17ROCPRIM_400000_NS6detail17trampoline_kernelINS0_14default_configENS1_35radix_sort_onesweep_config_selectorIalEEZZNS1_29radix_sort_onesweep_iterationIS3_Lb0EPaS7_N6thrust23THRUST_200600_302600_NS10device_ptrIlEESB_jNS0_19identity_decomposerENS1_16block_id_wrapperIjLb1EEEEE10hipError_tT1_PNSt15iterator_traitsISG_E10value_typeET2_T3_PNSH_ISM_E10value_typeET4_T5_PSR_SS_PNS1_23onesweep_lookback_stateEbbT6_jjT7_P12ihipStream_tbENKUlT_T0_SG_SL_E_clIS7_S7_PlSB_EEDaSZ_S10_SG_SL_EUlSZ_E_NS1_11comp_targetILNS1_3genE5ELNS1_11target_archE942ELNS1_3gpuE9ELNS1_3repE0EEENS1_47radix_sort_onesweep_sort_config_static_selectorELNS0_4arch9wavefront6targetE1EEEvSG_: ; @_ZN7rocprim17ROCPRIM_400000_NS6detail17trampoline_kernelINS0_14default_configENS1_35radix_sort_onesweep_config_selectorIalEEZZNS1_29radix_sort_onesweep_iterationIS3_Lb0EPaS7_N6thrust23THRUST_200600_302600_NS10device_ptrIlEESB_jNS0_19identity_decomposerENS1_16block_id_wrapperIjLb1EEEEE10hipError_tT1_PNSt15iterator_traitsISG_E10value_typeET2_T3_PNSH_ISM_E10value_typeET4_T5_PSR_SS_PNS1_23onesweep_lookback_stateEbbT6_jjT7_P12ihipStream_tbENKUlT_T0_SG_SL_E_clIS7_S7_PlSB_EEDaSZ_S10_SG_SL_EUlSZ_E_NS1_11comp_targetILNS1_3genE5ELNS1_11target_archE942ELNS1_3gpuE9ELNS1_3repE0EEENS1_47radix_sort_onesweep_sort_config_static_selectorELNS0_4arch9wavefront6targetE1EEEvSG_
; %bb.0:
	.section	.rodata,"a",@progbits
	.p2align	6, 0x0
	.amdhsa_kernel _ZN7rocprim17ROCPRIM_400000_NS6detail17trampoline_kernelINS0_14default_configENS1_35radix_sort_onesweep_config_selectorIalEEZZNS1_29radix_sort_onesweep_iterationIS3_Lb0EPaS7_N6thrust23THRUST_200600_302600_NS10device_ptrIlEESB_jNS0_19identity_decomposerENS1_16block_id_wrapperIjLb1EEEEE10hipError_tT1_PNSt15iterator_traitsISG_E10value_typeET2_T3_PNSH_ISM_E10value_typeET4_T5_PSR_SS_PNS1_23onesweep_lookback_stateEbbT6_jjT7_P12ihipStream_tbENKUlT_T0_SG_SL_E_clIS7_S7_PlSB_EEDaSZ_S10_SG_SL_EUlSZ_E_NS1_11comp_targetILNS1_3genE5ELNS1_11target_archE942ELNS1_3gpuE9ELNS1_3repE0EEENS1_47radix_sort_onesweep_sort_config_static_selectorELNS0_4arch9wavefront6targetE1EEEvSG_
		.amdhsa_group_segment_fixed_size 0
		.amdhsa_private_segment_fixed_size 0
		.amdhsa_kernarg_size 88
		.amdhsa_user_sgpr_count 6
		.amdhsa_user_sgpr_private_segment_buffer 1
		.amdhsa_user_sgpr_dispatch_ptr 0
		.amdhsa_user_sgpr_queue_ptr 0
		.amdhsa_user_sgpr_kernarg_segment_ptr 1
		.amdhsa_user_sgpr_dispatch_id 0
		.amdhsa_user_sgpr_flat_scratch_init 0
		.amdhsa_user_sgpr_kernarg_preload_length 0
		.amdhsa_user_sgpr_kernarg_preload_offset 0
		.amdhsa_user_sgpr_private_segment_size 0
		.amdhsa_uses_dynamic_stack 0
		.amdhsa_system_sgpr_private_segment_wavefront_offset 0
		.amdhsa_system_sgpr_workgroup_id_x 1
		.amdhsa_system_sgpr_workgroup_id_y 0
		.amdhsa_system_sgpr_workgroup_id_z 0
		.amdhsa_system_sgpr_workgroup_info 0
		.amdhsa_system_vgpr_workitem_id 0
		.amdhsa_next_free_vgpr 1
		.amdhsa_next_free_sgpr 0
		.amdhsa_accum_offset 4
		.amdhsa_reserve_vcc 0
		.amdhsa_reserve_flat_scratch 0
		.amdhsa_float_round_mode_32 0
		.amdhsa_float_round_mode_16_64 0
		.amdhsa_float_denorm_mode_32 3
		.amdhsa_float_denorm_mode_16_64 3
		.amdhsa_dx10_clamp 1
		.amdhsa_ieee_mode 1
		.amdhsa_fp16_overflow 0
		.amdhsa_tg_split 0
		.amdhsa_exception_fp_ieee_invalid_op 0
		.amdhsa_exception_fp_denorm_src 0
		.amdhsa_exception_fp_ieee_div_zero 0
		.amdhsa_exception_fp_ieee_overflow 0
		.amdhsa_exception_fp_ieee_underflow 0
		.amdhsa_exception_fp_ieee_inexact 0
		.amdhsa_exception_int_div_zero 0
	.end_amdhsa_kernel
	.section	.text._ZN7rocprim17ROCPRIM_400000_NS6detail17trampoline_kernelINS0_14default_configENS1_35radix_sort_onesweep_config_selectorIalEEZZNS1_29radix_sort_onesweep_iterationIS3_Lb0EPaS7_N6thrust23THRUST_200600_302600_NS10device_ptrIlEESB_jNS0_19identity_decomposerENS1_16block_id_wrapperIjLb1EEEEE10hipError_tT1_PNSt15iterator_traitsISG_E10value_typeET2_T3_PNSH_ISM_E10value_typeET4_T5_PSR_SS_PNS1_23onesweep_lookback_stateEbbT6_jjT7_P12ihipStream_tbENKUlT_T0_SG_SL_E_clIS7_S7_PlSB_EEDaSZ_S10_SG_SL_EUlSZ_E_NS1_11comp_targetILNS1_3genE5ELNS1_11target_archE942ELNS1_3gpuE9ELNS1_3repE0EEENS1_47radix_sort_onesweep_sort_config_static_selectorELNS0_4arch9wavefront6targetE1EEEvSG_,"axG",@progbits,_ZN7rocprim17ROCPRIM_400000_NS6detail17trampoline_kernelINS0_14default_configENS1_35radix_sort_onesweep_config_selectorIalEEZZNS1_29radix_sort_onesweep_iterationIS3_Lb0EPaS7_N6thrust23THRUST_200600_302600_NS10device_ptrIlEESB_jNS0_19identity_decomposerENS1_16block_id_wrapperIjLb1EEEEE10hipError_tT1_PNSt15iterator_traitsISG_E10value_typeET2_T3_PNSH_ISM_E10value_typeET4_T5_PSR_SS_PNS1_23onesweep_lookback_stateEbbT6_jjT7_P12ihipStream_tbENKUlT_T0_SG_SL_E_clIS7_S7_PlSB_EEDaSZ_S10_SG_SL_EUlSZ_E_NS1_11comp_targetILNS1_3genE5ELNS1_11target_archE942ELNS1_3gpuE9ELNS1_3repE0EEENS1_47radix_sort_onesweep_sort_config_static_selectorELNS0_4arch9wavefront6targetE1EEEvSG_,comdat
.Lfunc_end620:
	.size	_ZN7rocprim17ROCPRIM_400000_NS6detail17trampoline_kernelINS0_14default_configENS1_35radix_sort_onesweep_config_selectorIalEEZZNS1_29radix_sort_onesweep_iterationIS3_Lb0EPaS7_N6thrust23THRUST_200600_302600_NS10device_ptrIlEESB_jNS0_19identity_decomposerENS1_16block_id_wrapperIjLb1EEEEE10hipError_tT1_PNSt15iterator_traitsISG_E10value_typeET2_T3_PNSH_ISM_E10value_typeET4_T5_PSR_SS_PNS1_23onesweep_lookback_stateEbbT6_jjT7_P12ihipStream_tbENKUlT_T0_SG_SL_E_clIS7_S7_PlSB_EEDaSZ_S10_SG_SL_EUlSZ_E_NS1_11comp_targetILNS1_3genE5ELNS1_11target_archE942ELNS1_3gpuE9ELNS1_3repE0EEENS1_47radix_sort_onesweep_sort_config_static_selectorELNS0_4arch9wavefront6targetE1EEEvSG_, .Lfunc_end620-_ZN7rocprim17ROCPRIM_400000_NS6detail17trampoline_kernelINS0_14default_configENS1_35radix_sort_onesweep_config_selectorIalEEZZNS1_29radix_sort_onesweep_iterationIS3_Lb0EPaS7_N6thrust23THRUST_200600_302600_NS10device_ptrIlEESB_jNS0_19identity_decomposerENS1_16block_id_wrapperIjLb1EEEEE10hipError_tT1_PNSt15iterator_traitsISG_E10value_typeET2_T3_PNSH_ISM_E10value_typeET4_T5_PSR_SS_PNS1_23onesweep_lookback_stateEbbT6_jjT7_P12ihipStream_tbENKUlT_T0_SG_SL_E_clIS7_S7_PlSB_EEDaSZ_S10_SG_SL_EUlSZ_E_NS1_11comp_targetILNS1_3genE5ELNS1_11target_archE942ELNS1_3gpuE9ELNS1_3repE0EEENS1_47radix_sort_onesweep_sort_config_static_selectorELNS0_4arch9wavefront6targetE1EEEvSG_
                                        ; -- End function
	.section	.AMDGPU.csdata,"",@progbits
; Kernel info:
; codeLenInByte = 0
; NumSgprs: 4
; NumVgprs: 0
; NumAgprs: 0
; TotalNumVgprs: 0
; ScratchSize: 0
; MemoryBound: 0
; FloatMode: 240
; IeeeMode: 1
; LDSByteSize: 0 bytes/workgroup (compile time only)
; SGPRBlocks: 0
; VGPRBlocks: 0
; NumSGPRsForWavesPerEU: 4
; NumVGPRsForWavesPerEU: 1
; AccumOffset: 4
; Occupancy: 8
; WaveLimiterHint : 0
; COMPUTE_PGM_RSRC2:SCRATCH_EN: 0
; COMPUTE_PGM_RSRC2:USER_SGPR: 6
; COMPUTE_PGM_RSRC2:TRAP_HANDLER: 0
; COMPUTE_PGM_RSRC2:TGID_X_EN: 1
; COMPUTE_PGM_RSRC2:TGID_Y_EN: 0
; COMPUTE_PGM_RSRC2:TGID_Z_EN: 0
; COMPUTE_PGM_RSRC2:TIDIG_COMP_CNT: 0
; COMPUTE_PGM_RSRC3_GFX90A:ACCUM_OFFSET: 0
; COMPUTE_PGM_RSRC3_GFX90A:TG_SPLIT: 0
	.section	.text._ZN7rocprim17ROCPRIM_400000_NS6detail17trampoline_kernelINS0_14default_configENS1_35radix_sort_onesweep_config_selectorIalEEZZNS1_29radix_sort_onesweep_iterationIS3_Lb0EPaS7_N6thrust23THRUST_200600_302600_NS10device_ptrIlEESB_jNS0_19identity_decomposerENS1_16block_id_wrapperIjLb1EEEEE10hipError_tT1_PNSt15iterator_traitsISG_E10value_typeET2_T3_PNSH_ISM_E10value_typeET4_T5_PSR_SS_PNS1_23onesweep_lookback_stateEbbT6_jjT7_P12ihipStream_tbENKUlT_T0_SG_SL_E_clIS7_S7_PlSB_EEDaSZ_S10_SG_SL_EUlSZ_E_NS1_11comp_targetILNS1_3genE2ELNS1_11target_archE906ELNS1_3gpuE6ELNS1_3repE0EEENS1_47radix_sort_onesweep_sort_config_static_selectorELNS0_4arch9wavefront6targetE1EEEvSG_,"axG",@progbits,_ZN7rocprim17ROCPRIM_400000_NS6detail17trampoline_kernelINS0_14default_configENS1_35radix_sort_onesweep_config_selectorIalEEZZNS1_29radix_sort_onesweep_iterationIS3_Lb0EPaS7_N6thrust23THRUST_200600_302600_NS10device_ptrIlEESB_jNS0_19identity_decomposerENS1_16block_id_wrapperIjLb1EEEEE10hipError_tT1_PNSt15iterator_traitsISG_E10value_typeET2_T3_PNSH_ISM_E10value_typeET4_T5_PSR_SS_PNS1_23onesweep_lookback_stateEbbT6_jjT7_P12ihipStream_tbENKUlT_T0_SG_SL_E_clIS7_S7_PlSB_EEDaSZ_S10_SG_SL_EUlSZ_E_NS1_11comp_targetILNS1_3genE2ELNS1_11target_archE906ELNS1_3gpuE6ELNS1_3repE0EEENS1_47radix_sort_onesweep_sort_config_static_selectorELNS0_4arch9wavefront6targetE1EEEvSG_,comdat
	.protected	_ZN7rocprim17ROCPRIM_400000_NS6detail17trampoline_kernelINS0_14default_configENS1_35radix_sort_onesweep_config_selectorIalEEZZNS1_29radix_sort_onesweep_iterationIS3_Lb0EPaS7_N6thrust23THRUST_200600_302600_NS10device_ptrIlEESB_jNS0_19identity_decomposerENS1_16block_id_wrapperIjLb1EEEEE10hipError_tT1_PNSt15iterator_traitsISG_E10value_typeET2_T3_PNSH_ISM_E10value_typeET4_T5_PSR_SS_PNS1_23onesweep_lookback_stateEbbT6_jjT7_P12ihipStream_tbENKUlT_T0_SG_SL_E_clIS7_S7_PlSB_EEDaSZ_S10_SG_SL_EUlSZ_E_NS1_11comp_targetILNS1_3genE2ELNS1_11target_archE906ELNS1_3gpuE6ELNS1_3repE0EEENS1_47radix_sort_onesweep_sort_config_static_selectorELNS0_4arch9wavefront6targetE1EEEvSG_ ; -- Begin function _ZN7rocprim17ROCPRIM_400000_NS6detail17trampoline_kernelINS0_14default_configENS1_35radix_sort_onesweep_config_selectorIalEEZZNS1_29radix_sort_onesweep_iterationIS3_Lb0EPaS7_N6thrust23THRUST_200600_302600_NS10device_ptrIlEESB_jNS0_19identity_decomposerENS1_16block_id_wrapperIjLb1EEEEE10hipError_tT1_PNSt15iterator_traitsISG_E10value_typeET2_T3_PNSH_ISM_E10value_typeET4_T5_PSR_SS_PNS1_23onesweep_lookback_stateEbbT6_jjT7_P12ihipStream_tbENKUlT_T0_SG_SL_E_clIS7_S7_PlSB_EEDaSZ_S10_SG_SL_EUlSZ_E_NS1_11comp_targetILNS1_3genE2ELNS1_11target_archE906ELNS1_3gpuE6ELNS1_3repE0EEENS1_47radix_sort_onesweep_sort_config_static_selectorELNS0_4arch9wavefront6targetE1EEEvSG_
	.globl	_ZN7rocprim17ROCPRIM_400000_NS6detail17trampoline_kernelINS0_14default_configENS1_35radix_sort_onesweep_config_selectorIalEEZZNS1_29radix_sort_onesweep_iterationIS3_Lb0EPaS7_N6thrust23THRUST_200600_302600_NS10device_ptrIlEESB_jNS0_19identity_decomposerENS1_16block_id_wrapperIjLb1EEEEE10hipError_tT1_PNSt15iterator_traitsISG_E10value_typeET2_T3_PNSH_ISM_E10value_typeET4_T5_PSR_SS_PNS1_23onesweep_lookback_stateEbbT6_jjT7_P12ihipStream_tbENKUlT_T0_SG_SL_E_clIS7_S7_PlSB_EEDaSZ_S10_SG_SL_EUlSZ_E_NS1_11comp_targetILNS1_3genE2ELNS1_11target_archE906ELNS1_3gpuE6ELNS1_3repE0EEENS1_47radix_sort_onesweep_sort_config_static_selectorELNS0_4arch9wavefront6targetE1EEEvSG_
	.p2align	8
	.type	_ZN7rocprim17ROCPRIM_400000_NS6detail17trampoline_kernelINS0_14default_configENS1_35radix_sort_onesweep_config_selectorIalEEZZNS1_29radix_sort_onesweep_iterationIS3_Lb0EPaS7_N6thrust23THRUST_200600_302600_NS10device_ptrIlEESB_jNS0_19identity_decomposerENS1_16block_id_wrapperIjLb1EEEEE10hipError_tT1_PNSt15iterator_traitsISG_E10value_typeET2_T3_PNSH_ISM_E10value_typeET4_T5_PSR_SS_PNS1_23onesweep_lookback_stateEbbT6_jjT7_P12ihipStream_tbENKUlT_T0_SG_SL_E_clIS7_S7_PlSB_EEDaSZ_S10_SG_SL_EUlSZ_E_NS1_11comp_targetILNS1_3genE2ELNS1_11target_archE906ELNS1_3gpuE6ELNS1_3repE0EEENS1_47radix_sort_onesweep_sort_config_static_selectorELNS0_4arch9wavefront6targetE1EEEvSG_,@function
_ZN7rocprim17ROCPRIM_400000_NS6detail17trampoline_kernelINS0_14default_configENS1_35radix_sort_onesweep_config_selectorIalEEZZNS1_29radix_sort_onesweep_iterationIS3_Lb0EPaS7_N6thrust23THRUST_200600_302600_NS10device_ptrIlEESB_jNS0_19identity_decomposerENS1_16block_id_wrapperIjLb1EEEEE10hipError_tT1_PNSt15iterator_traitsISG_E10value_typeET2_T3_PNSH_ISM_E10value_typeET4_T5_PSR_SS_PNS1_23onesweep_lookback_stateEbbT6_jjT7_P12ihipStream_tbENKUlT_T0_SG_SL_E_clIS7_S7_PlSB_EEDaSZ_S10_SG_SL_EUlSZ_E_NS1_11comp_targetILNS1_3genE2ELNS1_11target_archE906ELNS1_3gpuE6ELNS1_3repE0EEENS1_47radix_sort_onesweep_sort_config_static_selectorELNS0_4arch9wavefront6targetE1EEEvSG_: ; @_ZN7rocprim17ROCPRIM_400000_NS6detail17trampoline_kernelINS0_14default_configENS1_35radix_sort_onesweep_config_selectorIalEEZZNS1_29radix_sort_onesweep_iterationIS3_Lb0EPaS7_N6thrust23THRUST_200600_302600_NS10device_ptrIlEESB_jNS0_19identity_decomposerENS1_16block_id_wrapperIjLb1EEEEE10hipError_tT1_PNSt15iterator_traitsISG_E10value_typeET2_T3_PNSH_ISM_E10value_typeET4_T5_PSR_SS_PNS1_23onesweep_lookback_stateEbbT6_jjT7_P12ihipStream_tbENKUlT_T0_SG_SL_E_clIS7_S7_PlSB_EEDaSZ_S10_SG_SL_EUlSZ_E_NS1_11comp_targetILNS1_3genE2ELNS1_11target_archE906ELNS1_3gpuE6ELNS1_3repE0EEENS1_47radix_sort_onesweep_sort_config_static_selectorELNS0_4arch9wavefront6targetE1EEEvSG_
; %bb.0:
	.section	.rodata,"a",@progbits
	.p2align	6, 0x0
	.amdhsa_kernel _ZN7rocprim17ROCPRIM_400000_NS6detail17trampoline_kernelINS0_14default_configENS1_35radix_sort_onesweep_config_selectorIalEEZZNS1_29radix_sort_onesweep_iterationIS3_Lb0EPaS7_N6thrust23THRUST_200600_302600_NS10device_ptrIlEESB_jNS0_19identity_decomposerENS1_16block_id_wrapperIjLb1EEEEE10hipError_tT1_PNSt15iterator_traitsISG_E10value_typeET2_T3_PNSH_ISM_E10value_typeET4_T5_PSR_SS_PNS1_23onesweep_lookback_stateEbbT6_jjT7_P12ihipStream_tbENKUlT_T0_SG_SL_E_clIS7_S7_PlSB_EEDaSZ_S10_SG_SL_EUlSZ_E_NS1_11comp_targetILNS1_3genE2ELNS1_11target_archE906ELNS1_3gpuE6ELNS1_3repE0EEENS1_47radix_sort_onesweep_sort_config_static_selectorELNS0_4arch9wavefront6targetE1EEEvSG_
		.amdhsa_group_segment_fixed_size 0
		.amdhsa_private_segment_fixed_size 0
		.amdhsa_kernarg_size 88
		.amdhsa_user_sgpr_count 6
		.amdhsa_user_sgpr_private_segment_buffer 1
		.amdhsa_user_sgpr_dispatch_ptr 0
		.amdhsa_user_sgpr_queue_ptr 0
		.amdhsa_user_sgpr_kernarg_segment_ptr 1
		.amdhsa_user_sgpr_dispatch_id 0
		.amdhsa_user_sgpr_flat_scratch_init 0
		.amdhsa_user_sgpr_kernarg_preload_length 0
		.amdhsa_user_sgpr_kernarg_preload_offset 0
		.amdhsa_user_sgpr_private_segment_size 0
		.amdhsa_uses_dynamic_stack 0
		.amdhsa_system_sgpr_private_segment_wavefront_offset 0
		.amdhsa_system_sgpr_workgroup_id_x 1
		.amdhsa_system_sgpr_workgroup_id_y 0
		.amdhsa_system_sgpr_workgroup_id_z 0
		.amdhsa_system_sgpr_workgroup_info 0
		.amdhsa_system_vgpr_workitem_id 0
		.amdhsa_next_free_vgpr 1
		.amdhsa_next_free_sgpr 0
		.amdhsa_accum_offset 4
		.amdhsa_reserve_vcc 0
		.amdhsa_reserve_flat_scratch 0
		.amdhsa_float_round_mode_32 0
		.amdhsa_float_round_mode_16_64 0
		.amdhsa_float_denorm_mode_32 3
		.amdhsa_float_denorm_mode_16_64 3
		.amdhsa_dx10_clamp 1
		.amdhsa_ieee_mode 1
		.amdhsa_fp16_overflow 0
		.amdhsa_tg_split 0
		.amdhsa_exception_fp_ieee_invalid_op 0
		.amdhsa_exception_fp_denorm_src 0
		.amdhsa_exception_fp_ieee_div_zero 0
		.amdhsa_exception_fp_ieee_overflow 0
		.amdhsa_exception_fp_ieee_underflow 0
		.amdhsa_exception_fp_ieee_inexact 0
		.amdhsa_exception_int_div_zero 0
	.end_amdhsa_kernel
	.section	.text._ZN7rocprim17ROCPRIM_400000_NS6detail17trampoline_kernelINS0_14default_configENS1_35radix_sort_onesweep_config_selectorIalEEZZNS1_29radix_sort_onesweep_iterationIS3_Lb0EPaS7_N6thrust23THRUST_200600_302600_NS10device_ptrIlEESB_jNS0_19identity_decomposerENS1_16block_id_wrapperIjLb1EEEEE10hipError_tT1_PNSt15iterator_traitsISG_E10value_typeET2_T3_PNSH_ISM_E10value_typeET4_T5_PSR_SS_PNS1_23onesweep_lookback_stateEbbT6_jjT7_P12ihipStream_tbENKUlT_T0_SG_SL_E_clIS7_S7_PlSB_EEDaSZ_S10_SG_SL_EUlSZ_E_NS1_11comp_targetILNS1_3genE2ELNS1_11target_archE906ELNS1_3gpuE6ELNS1_3repE0EEENS1_47radix_sort_onesweep_sort_config_static_selectorELNS0_4arch9wavefront6targetE1EEEvSG_,"axG",@progbits,_ZN7rocprim17ROCPRIM_400000_NS6detail17trampoline_kernelINS0_14default_configENS1_35radix_sort_onesweep_config_selectorIalEEZZNS1_29radix_sort_onesweep_iterationIS3_Lb0EPaS7_N6thrust23THRUST_200600_302600_NS10device_ptrIlEESB_jNS0_19identity_decomposerENS1_16block_id_wrapperIjLb1EEEEE10hipError_tT1_PNSt15iterator_traitsISG_E10value_typeET2_T3_PNSH_ISM_E10value_typeET4_T5_PSR_SS_PNS1_23onesweep_lookback_stateEbbT6_jjT7_P12ihipStream_tbENKUlT_T0_SG_SL_E_clIS7_S7_PlSB_EEDaSZ_S10_SG_SL_EUlSZ_E_NS1_11comp_targetILNS1_3genE2ELNS1_11target_archE906ELNS1_3gpuE6ELNS1_3repE0EEENS1_47radix_sort_onesweep_sort_config_static_selectorELNS0_4arch9wavefront6targetE1EEEvSG_,comdat
.Lfunc_end621:
	.size	_ZN7rocprim17ROCPRIM_400000_NS6detail17trampoline_kernelINS0_14default_configENS1_35radix_sort_onesweep_config_selectorIalEEZZNS1_29radix_sort_onesweep_iterationIS3_Lb0EPaS7_N6thrust23THRUST_200600_302600_NS10device_ptrIlEESB_jNS0_19identity_decomposerENS1_16block_id_wrapperIjLb1EEEEE10hipError_tT1_PNSt15iterator_traitsISG_E10value_typeET2_T3_PNSH_ISM_E10value_typeET4_T5_PSR_SS_PNS1_23onesweep_lookback_stateEbbT6_jjT7_P12ihipStream_tbENKUlT_T0_SG_SL_E_clIS7_S7_PlSB_EEDaSZ_S10_SG_SL_EUlSZ_E_NS1_11comp_targetILNS1_3genE2ELNS1_11target_archE906ELNS1_3gpuE6ELNS1_3repE0EEENS1_47radix_sort_onesweep_sort_config_static_selectorELNS0_4arch9wavefront6targetE1EEEvSG_, .Lfunc_end621-_ZN7rocprim17ROCPRIM_400000_NS6detail17trampoline_kernelINS0_14default_configENS1_35radix_sort_onesweep_config_selectorIalEEZZNS1_29radix_sort_onesweep_iterationIS3_Lb0EPaS7_N6thrust23THRUST_200600_302600_NS10device_ptrIlEESB_jNS0_19identity_decomposerENS1_16block_id_wrapperIjLb1EEEEE10hipError_tT1_PNSt15iterator_traitsISG_E10value_typeET2_T3_PNSH_ISM_E10value_typeET4_T5_PSR_SS_PNS1_23onesweep_lookback_stateEbbT6_jjT7_P12ihipStream_tbENKUlT_T0_SG_SL_E_clIS7_S7_PlSB_EEDaSZ_S10_SG_SL_EUlSZ_E_NS1_11comp_targetILNS1_3genE2ELNS1_11target_archE906ELNS1_3gpuE6ELNS1_3repE0EEENS1_47radix_sort_onesweep_sort_config_static_selectorELNS0_4arch9wavefront6targetE1EEEvSG_
                                        ; -- End function
	.section	.AMDGPU.csdata,"",@progbits
; Kernel info:
; codeLenInByte = 0
; NumSgprs: 4
; NumVgprs: 0
; NumAgprs: 0
; TotalNumVgprs: 0
; ScratchSize: 0
; MemoryBound: 0
; FloatMode: 240
; IeeeMode: 1
; LDSByteSize: 0 bytes/workgroup (compile time only)
; SGPRBlocks: 0
; VGPRBlocks: 0
; NumSGPRsForWavesPerEU: 4
; NumVGPRsForWavesPerEU: 1
; AccumOffset: 4
; Occupancy: 8
; WaveLimiterHint : 0
; COMPUTE_PGM_RSRC2:SCRATCH_EN: 0
; COMPUTE_PGM_RSRC2:USER_SGPR: 6
; COMPUTE_PGM_RSRC2:TRAP_HANDLER: 0
; COMPUTE_PGM_RSRC2:TGID_X_EN: 1
; COMPUTE_PGM_RSRC2:TGID_Y_EN: 0
; COMPUTE_PGM_RSRC2:TGID_Z_EN: 0
; COMPUTE_PGM_RSRC2:TIDIG_COMP_CNT: 0
; COMPUTE_PGM_RSRC3_GFX90A:ACCUM_OFFSET: 0
; COMPUTE_PGM_RSRC3_GFX90A:TG_SPLIT: 0
	.section	.text._ZN7rocprim17ROCPRIM_400000_NS6detail17trampoline_kernelINS0_14default_configENS1_35radix_sort_onesweep_config_selectorIalEEZZNS1_29radix_sort_onesweep_iterationIS3_Lb0EPaS7_N6thrust23THRUST_200600_302600_NS10device_ptrIlEESB_jNS0_19identity_decomposerENS1_16block_id_wrapperIjLb1EEEEE10hipError_tT1_PNSt15iterator_traitsISG_E10value_typeET2_T3_PNSH_ISM_E10value_typeET4_T5_PSR_SS_PNS1_23onesweep_lookback_stateEbbT6_jjT7_P12ihipStream_tbENKUlT_T0_SG_SL_E_clIS7_S7_PlSB_EEDaSZ_S10_SG_SL_EUlSZ_E_NS1_11comp_targetILNS1_3genE4ELNS1_11target_archE910ELNS1_3gpuE8ELNS1_3repE0EEENS1_47radix_sort_onesweep_sort_config_static_selectorELNS0_4arch9wavefront6targetE1EEEvSG_,"axG",@progbits,_ZN7rocprim17ROCPRIM_400000_NS6detail17trampoline_kernelINS0_14default_configENS1_35radix_sort_onesweep_config_selectorIalEEZZNS1_29radix_sort_onesweep_iterationIS3_Lb0EPaS7_N6thrust23THRUST_200600_302600_NS10device_ptrIlEESB_jNS0_19identity_decomposerENS1_16block_id_wrapperIjLb1EEEEE10hipError_tT1_PNSt15iterator_traitsISG_E10value_typeET2_T3_PNSH_ISM_E10value_typeET4_T5_PSR_SS_PNS1_23onesweep_lookback_stateEbbT6_jjT7_P12ihipStream_tbENKUlT_T0_SG_SL_E_clIS7_S7_PlSB_EEDaSZ_S10_SG_SL_EUlSZ_E_NS1_11comp_targetILNS1_3genE4ELNS1_11target_archE910ELNS1_3gpuE8ELNS1_3repE0EEENS1_47radix_sort_onesweep_sort_config_static_selectorELNS0_4arch9wavefront6targetE1EEEvSG_,comdat
	.protected	_ZN7rocprim17ROCPRIM_400000_NS6detail17trampoline_kernelINS0_14default_configENS1_35radix_sort_onesweep_config_selectorIalEEZZNS1_29radix_sort_onesweep_iterationIS3_Lb0EPaS7_N6thrust23THRUST_200600_302600_NS10device_ptrIlEESB_jNS0_19identity_decomposerENS1_16block_id_wrapperIjLb1EEEEE10hipError_tT1_PNSt15iterator_traitsISG_E10value_typeET2_T3_PNSH_ISM_E10value_typeET4_T5_PSR_SS_PNS1_23onesweep_lookback_stateEbbT6_jjT7_P12ihipStream_tbENKUlT_T0_SG_SL_E_clIS7_S7_PlSB_EEDaSZ_S10_SG_SL_EUlSZ_E_NS1_11comp_targetILNS1_3genE4ELNS1_11target_archE910ELNS1_3gpuE8ELNS1_3repE0EEENS1_47radix_sort_onesweep_sort_config_static_selectorELNS0_4arch9wavefront6targetE1EEEvSG_ ; -- Begin function _ZN7rocprim17ROCPRIM_400000_NS6detail17trampoline_kernelINS0_14default_configENS1_35radix_sort_onesweep_config_selectorIalEEZZNS1_29radix_sort_onesweep_iterationIS3_Lb0EPaS7_N6thrust23THRUST_200600_302600_NS10device_ptrIlEESB_jNS0_19identity_decomposerENS1_16block_id_wrapperIjLb1EEEEE10hipError_tT1_PNSt15iterator_traitsISG_E10value_typeET2_T3_PNSH_ISM_E10value_typeET4_T5_PSR_SS_PNS1_23onesweep_lookback_stateEbbT6_jjT7_P12ihipStream_tbENKUlT_T0_SG_SL_E_clIS7_S7_PlSB_EEDaSZ_S10_SG_SL_EUlSZ_E_NS1_11comp_targetILNS1_3genE4ELNS1_11target_archE910ELNS1_3gpuE8ELNS1_3repE0EEENS1_47radix_sort_onesweep_sort_config_static_selectorELNS0_4arch9wavefront6targetE1EEEvSG_
	.globl	_ZN7rocprim17ROCPRIM_400000_NS6detail17trampoline_kernelINS0_14default_configENS1_35radix_sort_onesweep_config_selectorIalEEZZNS1_29radix_sort_onesweep_iterationIS3_Lb0EPaS7_N6thrust23THRUST_200600_302600_NS10device_ptrIlEESB_jNS0_19identity_decomposerENS1_16block_id_wrapperIjLb1EEEEE10hipError_tT1_PNSt15iterator_traitsISG_E10value_typeET2_T3_PNSH_ISM_E10value_typeET4_T5_PSR_SS_PNS1_23onesweep_lookback_stateEbbT6_jjT7_P12ihipStream_tbENKUlT_T0_SG_SL_E_clIS7_S7_PlSB_EEDaSZ_S10_SG_SL_EUlSZ_E_NS1_11comp_targetILNS1_3genE4ELNS1_11target_archE910ELNS1_3gpuE8ELNS1_3repE0EEENS1_47radix_sort_onesweep_sort_config_static_selectorELNS0_4arch9wavefront6targetE1EEEvSG_
	.p2align	8
	.type	_ZN7rocprim17ROCPRIM_400000_NS6detail17trampoline_kernelINS0_14default_configENS1_35radix_sort_onesweep_config_selectorIalEEZZNS1_29radix_sort_onesweep_iterationIS3_Lb0EPaS7_N6thrust23THRUST_200600_302600_NS10device_ptrIlEESB_jNS0_19identity_decomposerENS1_16block_id_wrapperIjLb1EEEEE10hipError_tT1_PNSt15iterator_traitsISG_E10value_typeET2_T3_PNSH_ISM_E10value_typeET4_T5_PSR_SS_PNS1_23onesweep_lookback_stateEbbT6_jjT7_P12ihipStream_tbENKUlT_T0_SG_SL_E_clIS7_S7_PlSB_EEDaSZ_S10_SG_SL_EUlSZ_E_NS1_11comp_targetILNS1_3genE4ELNS1_11target_archE910ELNS1_3gpuE8ELNS1_3repE0EEENS1_47radix_sort_onesweep_sort_config_static_selectorELNS0_4arch9wavefront6targetE1EEEvSG_,@function
_ZN7rocprim17ROCPRIM_400000_NS6detail17trampoline_kernelINS0_14default_configENS1_35radix_sort_onesweep_config_selectorIalEEZZNS1_29radix_sort_onesweep_iterationIS3_Lb0EPaS7_N6thrust23THRUST_200600_302600_NS10device_ptrIlEESB_jNS0_19identity_decomposerENS1_16block_id_wrapperIjLb1EEEEE10hipError_tT1_PNSt15iterator_traitsISG_E10value_typeET2_T3_PNSH_ISM_E10value_typeET4_T5_PSR_SS_PNS1_23onesweep_lookback_stateEbbT6_jjT7_P12ihipStream_tbENKUlT_T0_SG_SL_E_clIS7_S7_PlSB_EEDaSZ_S10_SG_SL_EUlSZ_E_NS1_11comp_targetILNS1_3genE4ELNS1_11target_archE910ELNS1_3gpuE8ELNS1_3repE0EEENS1_47radix_sort_onesweep_sort_config_static_selectorELNS0_4arch9wavefront6targetE1EEEvSG_: ; @_ZN7rocprim17ROCPRIM_400000_NS6detail17trampoline_kernelINS0_14default_configENS1_35radix_sort_onesweep_config_selectorIalEEZZNS1_29radix_sort_onesweep_iterationIS3_Lb0EPaS7_N6thrust23THRUST_200600_302600_NS10device_ptrIlEESB_jNS0_19identity_decomposerENS1_16block_id_wrapperIjLb1EEEEE10hipError_tT1_PNSt15iterator_traitsISG_E10value_typeET2_T3_PNSH_ISM_E10value_typeET4_T5_PSR_SS_PNS1_23onesweep_lookback_stateEbbT6_jjT7_P12ihipStream_tbENKUlT_T0_SG_SL_E_clIS7_S7_PlSB_EEDaSZ_S10_SG_SL_EUlSZ_E_NS1_11comp_targetILNS1_3genE4ELNS1_11target_archE910ELNS1_3gpuE8ELNS1_3repE0EEENS1_47radix_sort_onesweep_sort_config_static_selectorELNS0_4arch9wavefront6targetE1EEEvSG_
; %bb.0:
	s_load_dwordx4 s[44:47], s[4:5], 0x28
	s_load_dwordx2 s[30:31], s[4:5], 0x38
	s_load_dwordx4 s[48:51], s[4:5], 0x44
	v_and_b32_e32 v10, 0x3ff, v0
	v_cmp_eq_u32_e64 s[0:1], 0, v10
	s_and_saveexec_b64 s[2:3], s[0:1]
	s_cbranch_execz .LBB622_4
; %bb.1:
	s_mov_b64 s[10:11], exec
	v_mbcnt_lo_u32_b32 v1, s10, 0
	v_mbcnt_hi_u32_b32 v1, s11, v1
	v_cmp_eq_u32_e32 vcc, 0, v1
                                        ; implicit-def: $vgpr2
	s_and_saveexec_b64 s[8:9], vcc
	s_cbranch_execz .LBB622_3
; %bb.2:
	s_load_dwordx2 s[12:13], s[4:5], 0x50
	s_bcnt1_i32_b64 s7, s[10:11]
	v_mov_b32_e32 v2, 0
	v_mov_b32_e32 v3, s7
	s_waitcnt lgkmcnt(0)
	global_atomic_add v2, v2, v3, s[12:13] glc
.LBB622_3:
	s_or_b64 exec, exec, s[8:9]
	s_waitcnt vmcnt(0)
	v_readfirstlane_b32 s7, v2
	v_add_u32_e32 v1, s7, v1
	v_mov_b32_e32 v2, 0
	ds_write_b32 v2, v1 offset:20544
.LBB622_4:
	s_or_b64 exec, exec, s[2:3]
	v_mov_b32_e32 v1, 0
	s_load_dwordx8 s[36:43], s[4:5], 0x0
	s_load_dword s2, s[4:5], 0x20
	s_waitcnt lgkmcnt(0)
	s_barrier
	ds_read_b32 v1, v1 offset:20544
	v_mbcnt_lo_u32_b32 v30, -1, 0
	s_waitcnt lgkmcnt(0)
	s_barrier
	v_cmp_le_u32_e32 vcc, s50, v1
	v_readfirstlane_b32 s33, v1
	v_lshlrev_b32_e32 v1, 3, v10
	s_cbranch_vccz .LBB622_88
; %bb.5:
	s_lshl_b32 s3, s50, 13
	s_sub_i32 s7, s2, s3
	s_lshl_b32 s34, s33, 13
	s_add_u32 s2, s36, s34
	v_mbcnt_hi_u32_b32 v6, -1, v30
	s_addc_u32 s3, s37, 0
	v_and_b32_e32 v14, 63, v6
	v_mov_b32_e32 v2, s3
	v_add_co_u32_e32 v3, vcc, s2, v14
	v_and_b32_e32 v12, 0x1e00, v1
	v_addc_co_u32_e32 v4, vcc, 0, v2, vcc
	v_add_co_u32_e32 v2, vcc, v3, v12
	v_addc_co_u32_e32 v3, vcc, 0, v4, vcc
	v_or_b32_e32 v5, v14, v12
	s_mov_b32 s35, 0
	v_cmp_gt_u32_e32 vcc, s7, v5
	v_mov_b32_e32 v4, 0x7f
	v_mov_b32_e32 v7, 0x7f
	;; [unrolled: 1-line block ×8, first 2 shown]
	s_and_saveexec_b64 s[2:3], vcc
	s_cbranch_execz .LBB622_7
; %bb.6:
	global_load_ubyte v4, v[2:3], off
	v_mov_b32_e32 v11, 0x7f
	v_mov_b32_e32 v21, 0x7f
	;; [unrolled: 1-line block ×7, first 2 shown]
.LBB622_7:
	s_or_b64 exec, exec, s[2:3]
	v_or_b32_e32 v8, 64, v5
	v_cmp_gt_u32_e64 s[2:3], s7, v8
	s_and_saveexec_b64 s[8:9], s[2:3]
	s_cbranch_execz .LBB622_9
; %bb.8:
	global_load_ubyte v11, v[2:3], off offset:64
.LBB622_9:
	s_or_b64 exec, exec, s[8:9]
	v_or_b32_e32 v8, 0x80, v5
	v_cmp_gt_u32_e64 s[26:27], s7, v8
	s_and_saveexec_b64 s[8:9], s[26:27]
	s_cbranch_execz .LBB622_11
; %bb.10:
	global_load_ubyte v21, v[2:3], off offset:128
.LBB622_11:
	;; [unrolled: 8-line block ×7, first 2 shown]
	s_or_b64 exec, exec, s[18:19]
	s_load_dword s18, s[4:5], 0x64
	s_load_dword s52, s[4:5], 0x58
	s_add_u32 s19, s4, 0x58
	s_addc_u32 s20, s5, 0
	v_mov_b32_e32 v2, 0
	s_waitcnt lgkmcnt(0)
	s_lshr_b32 s21, s18, 16
	s_cmp_lt_u32 s6, s52
	s_cselect_b32 s18, 12, 18
	s_add_u32 s18, s19, s18
	s_addc_u32 s19, s20, 0
	global_load_ushort v5, v2, s[18:19]
	s_waitcnt vmcnt(1)
	v_xor_b32_e32 v8, 0xffffff80, v4
	s_lshl_b32 s18, -1, s49
	v_lshrrev_b32_sdwa v15, s48, v8 dst_sel:DWORD dst_unused:UNUSED_PAD src0_sel:DWORD src1_sel:BYTE_0
	s_not_b32 s53, s18
	v_and_b32_e32 v15, s53, v15
	v_and_b32_e32 v18, 1, v15
	v_bfe_u32 v3, v0, 10, 10
	v_bfe_u32 v4, v0, 20, 10
	v_add_co_u32_e64 v19, s[18:19], -1, v18
	v_mad_u32_u24 v4, v4, s21, v3
	v_lshlrev_b32_e32 v3, 30, v15
	v_addc_co_u32_e64 v22, s[18:19], 0, -1, s[18:19]
	v_cmp_ne_u32_e64 s[18:19], 0, v18
	v_cmp_gt_i64_e64 s[20:21], 0, v[2:3]
	v_not_b32_e32 v18, v3
	v_lshlrev_b32_e32 v3, 29, v15
	v_xor_b32_e32 v22, s19, v22
	v_xor_b32_e32 v19, s18, v19
	v_ashrrev_i32_e32 v18, 31, v18
	v_cmp_gt_i64_e64 s[18:19], 0, v[2:3]
	v_not_b32_e32 v24, v3
	v_lshlrev_b32_e32 v3, 28, v15
	v_and_b32_e32 v22, exec_hi, v22
	v_and_b32_e32 v19, exec_lo, v19
	v_xor_b32_e32 v25, s21, v18
	v_xor_b32_e32 v18, s20, v18
	v_ashrrev_i32_e32 v24, 31, v24
	v_cmp_gt_i64_e64 s[20:21], 0, v[2:3]
	v_not_b32_e32 v26, v3
	v_lshlrev_b32_e32 v3, 27, v15
	v_and_b32_e32 v22, v22, v25
	v_and_b32_e32 v18, v19, v18
	v_xor_b32_e32 v19, s19, v24
	v_xor_b32_e32 v24, s18, v24
	v_ashrrev_i32_e32 v25, 31, v26
	v_cmp_gt_i64_e64 s[18:19], 0, v[2:3]
	v_not_b32_e32 v26, v3
	v_lshlrev_b32_e32 v3, 26, v15
	v_and_b32_e32 v19, v22, v19
	v_and_b32_e32 v18, v18, v24
	;; [unrolled: 8-line block ×3, first 2 shown]
	v_xor_b32_e32 v22, s19, v25
	v_xor_b32_e32 v24, s18, v25
	v_ashrrev_i32_e32 v25, 31, v26
	v_cmp_gt_i64_e64 s[18:19], 0, v[2:3]
	v_not_b32_e32 v26, v3
	v_lshlrev_b32_e32 v3, 24, v15
	v_mul_u32_u24_e32 v17, 17, v15
	v_and_b32_e32 v15, v19, v22
	v_and_b32_e32 v18, v18, v24
	v_xor_b32_e32 v19, s21, v25
	v_xor_b32_e32 v22, s20, v25
	v_ashrrev_i32_e32 v24, 31, v26
	v_cmp_gt_i64_e64 s[20:21], 0, v[2:3]
	v_not_b32_e32 v3, v3
	v_and_b32_e32 v15, v15, v19
	v_and_b32_e32 v18, v18, v22
	v_xor_b32_e32 v19, s19, v24
	v_xor_b32_e32 v22, s18, v24
	v_ashrrev_i32_e32 v3, 31, v3
	v_and_b32_e32 v15, v15, v19
	v_and_b32_e32 v19, v18, v22
	v_mul_u32_u24_e32 v13, 5, v10
	v_lshlrev_b32_e32 v13, 2, v13
	ds_write2_b32 v13, v2, v2 offset0:16 offset1:17
	ds_write2_b32 v13, v2, v2 offset0:18 offset1:19
	ds_write_b32 v13, v2 offset:80
	s_waitcnt lgkmcnt(0)
	s_barrier
	s_waitcnt lgkmcnt(0)
	; wave barrier
	s_waitcnt vmcnt(0)
	v_mad_u64_u32 v[4:5], s[18:19], v4, v5, v[10:11]
	v_lshrrev_b32_e32 v24, 6, v4
	v_xor_b32_e32 v4, s21, v3
	v_xor_b32_e32 v3, s20, v3
	v_and_b32_e32 v5, v15, v4
	v_and_b32_e32 v4, v19, v3
	v_mbcnt_lo_u32_b32 v3, v4, 0
	v_mbcnt_hi_u32_b32 v15, v5, v3
	v_cmp_eq_u32_e64 s[18:19], 0, v15
	v_cmp_ne_u64_e64 s[20:21], 0, v[4:5]
	v_add_lshl_u32 v18, v24, v17, 2
	s_and_b64 s[20:21], s[20:21], s[18:19]
	s_and_saveexec_b64 s[18:19], s[20:21]
	s_cbranch_execz .LBB622_23
; %bb.22:
	v_bcnt_u32_b32 v3, v4, 0
	v_bcnt_u32_b32 v3, v5, v3
	ds_write_b32 v18, v3 offset:64
.LBB622_23:
	s_or_b64 exec, exec, s[18:19]
	v_xor_b32_e32 v17, 0xffffff80, v11
	v_lshrrev_b32_sdwa v3, s48, v17 dst_sel:DWORD dst_unused:UNUSED_PAD src0_sel:DWORD src1_sel:BYTE_0
	v_and_b32_e32 v4, s53, v3
	v_mul_u32_u24_e32 v3, 17, v4
	v_add_lshl_u32 v19, v24, v3, 2
	v_and_b32_e32 v3, 1, v4
	v_add_co_u32_e64 v5, s[18:19], -1, v3
	v_addc_co_u32_e64 v22, s[18:19], 0, -1, s[18:19]
	v_cmp_ne_u32_e64 s[18:19], 0, v3
	v_xor_b32_e32 v3, s19, v22
	v_and_b32_e32 v22, exec_hi, v3
	v_lshlrev_b32_e32 v3, 30, v4
	v_xor_b32_e32 v5, s18, v5
	v_cmp_gt_i64_e64 s[18:19], 0, v[2:3]
	v_not_b32_e32 v3, v3
	v_ashrrev_i32_e32 v3, 31, v3
	v_and_b32_e32 v5, exec_lo, v5
	v_xor_b32_e32 v25, s19, v3
	v_xor_b32_e32 v3, s18, v3
	v_and_b32_e32 v5, v5, v3
	v_lshlrev_b32_e32 v3, 29, v4
	v_cmp_gt_i64_e64 s[18:19], 0, v[2:3]
	v_not_b32_e32 v3, v3
	v_ashrrev_i32_e32 v3, 31, v3
	v_and_b32_e32 v22, v22, v25
	v_xor_b32_e32 v25, s19, v3
	v_xor_b32_e32 v3, s18, v3
	v_and_b32_e32 v5, v5, v3
	v_lshlrev_b32_e32 v3, 28, v4
	v_cmp_gt_i64_e64 s[18:19], 0, v[2:3]
	v_not_b32_e32 v3, v3
	v_ashrrev_i32_e32 v3, 31, v3
	v_and_b32_e32 v22, v22, v25
	;; [unrolled: 8-line block ×5, first 2 shown]
	v_xor_b32_e32 v25, s19, v3
	v_xor_b32_e32 v3, s18, v3
	v_and_b32_e32 v5, v5, v3
	v_lshlrev_b32_e32 v3, 24, v4
	v_cmp_gt_i64_e64 s[18:19], 0, v[2:3]
	v_not_b32_e32 v2, v3
	v_ashrrev_i32_e32 v2, 31, v2
	v_xor_b32_e32 v3, s19, v2
	v_xor_b32_e32 v2, s18, v2
	; wave barrier
	ds_read_b32 v11, v19 offset:64
	v_and_b32_e32 v22, v22, v25
	v_and_b32_e32 v2, v5, v2
	;; [unrolled: 1-line block ×3, first 2 shown]
	v_mbcnt_lo_u32_b32 v4, v2, 0
	v_mbcnt_hi_u32_b32 v31, v3, v4
	v_cmp_eq_u32_e64 s[18:19], 0, v31
	v_cmp_ne_u64_e64 s[20:21], 0, v[2:3]
	s_and_b64 s[20:21], s[20:21], s[18:19]
	; wave barrier
	s_and_saveexec_b64 s[18:19], s[20:21]
	s_cbranch_execz .LBB622_25
; %bb.24:
	v_bcnt_u32_b32 v2, v2, 0
	v_bcnt_u32_b32 v2, v3, v2
	s_waitcnt lgkmcnt(0)
	v_add_u32_e32 v2, v11, v2
	ds_write_b32 v19, v2 offset:64
.LBB622_25:
	s_or_b64 exec, exec, s[18:19]
	v_xor_b32_e32 v21, 0xffffff80, v21
	v_lshrrev_b32_sdwa v2, s48, v21 dst_sel:DWORD dst_unused:UNUSED_PAD src0_sel:DWORD src1_sel:BYTE_0
	v_and_b32_e32 v4, s53, v2
	v_and_b32_e32 v3, 1, v4
	v_add_co_u32_e64 v5, s[18:19], -1, v3
	v_addc_co_u32_e64 v25, s[18:19], 0, -1, s[18:19]
	v_cmp_ne_u32_e64 s[18:19], 0, v3
	v_mul_u32_u24_e32 v2, 17, v4
	v_xor_b32_e32 v3, s19, v25
	v_add_lshl_u32 v22, v24, v2, 2
	v_mov_b32_e32 v2, 0
	v_and_b32_e32 v25, exec_hi, v3
	v_lshlrev_b32_e32 v3, 30, v4
	v_xor_b32_e32 v5, s18, v5
	v_cmp_gt_i64_e64 s[18:19], 0, v[2:3]
	v_not_b32_e32 v3, v3
	v_ashrrev_i32_e32 v3, 31, v3
	v_and_b32_e32 v5, exec_lo, v5
	v_xor_b32_e32 v26, s19, v3
	v_xor_b32_e32 v3, s18, v3
	v_and_b32_e32 v5, v5, v3
	v_lshlrev_b32_e32 v3, 29, v4
	v_cmp_gt_i64_e64 s[18:19], 0, v[2:3]
	v_not_b32_e32 v3, v3
	v_ashrrev_i32_e32 v3, 31, v3
	v_and_b32_e32 v25, v25, v26
	v_xor_b32_e32 v26, s19, v3
	v_xor_b32_e32 v3, s18, v3
	v_and_b32_e32 v5, v5, v3
	v_lshlrev_b32_e32 v3, 28, v4
	v_cmp_gt_i64_e64 s[18:19], 0, v[2:3]
	v_not_b32_e32 v3, v3
	v_ashrrev_i32_e32 v3, 31, v3
	v_and_b32_e32 v25, v25, v26
	;; [unrolled: 8-line block ×5, first 2 shown]
	v_xor_b32_e32 v26, s19, v3
	v_xor_b32_e32 v3, s18, v3
	v_and_b32_e32 v25, v25, v26
	v_and_b32_e32 v26, v5, v3
	v_lshlrev_b32_e32 v3, 24, v4
	v_cmp_gt_i64_e64 s[18:19], 0, v[2:3]
	v_not_b32_e32 v3, v3
	v_ashrrev_i32_e32 v3, 31, v3
	v_xor_b32_e32 v4, s19, v3
	v_xor_b32_e32 v3, s18, v3
	; wave barrier
	ds_read_b32 v32, v22 offset:64
	v_and_b32_e32 v5, v25, v4
	v_and_b32_e32 v4, v26, v3
	v_mbcnt_lo_u32_b32 v3, v4, 0
	v_mbcnt_hi_u32_b32 v33, v5, v3
	v_cmp_eq_u32_e64 s[18:19], 0, v33
	v_cmp_ne_u64_e64 s[20:21], 0, v[4:5]
	s_and_b64 s[20:21], s[20:21], s[18:19]
	; wave barrier
	s_and_saveexec_b64 s[18:19], s[20:21]
	s_cbranch_execz .LBB622_27
; %bb.26:
	v_bcnt_u32_b32 v3, v4, 0
	v_bcnt_u32_b32 v3, v5, v3
	s_waitcnt lgkmcnt(0)
	v_add_u32_e32 v3, v32, v3
	ds_write_b32 v22, v3 offset:64
.LBB622_27:
	s_or_b64 exec, exec, s[18:19]
	v_xor_b32_e32 v23, 0xffffff80, v23
	v_lshrrev_b32_sdwa v3, s48, v23 dst_sel:DWORD dst_unused:UNUSED_PAD src0_sel:DWORD src1_sel:BYTE_0
	v_and_b32_e32 v4, s53, v3
	v_mul_u32_u24_e32 v3, 17, v4
	v_add_lshl_u32 v25, v24, v3, 2
	v_and_b32_e32 v3, 1, v4
	v_add_co_u32_e64 v5, s[18:19], -1, v3
	v_addc_co_u32_e64 v26, s[18:19], 0, -1, s[18:19]
	v_cmp_ne_u32_e64 s[18:19], 0, v3
	v_xor_b32_e32 v3, s19, v26
	v_and_b32_e32 v26, exec_hi, v3
	v_lshlrev_b32_e32 v3, 30, v4
	v_xor_b32_e32 v5, s18, v5
	v_cmp_gt_i64_e64 s[18:19], 0, v[2:3]
	v_not_b32_e32 v3, v3
	v_ashrrev_i32_e32 v3, 31, v3
	v_and_b32_e32 v5, exec_lo, v5
	v_xor_b32_e32 v27, s19, v3
	v_xor_b32_e32 v3, s18, v3
	v_and_b32_e32 v5, v5, v3
	v_lshlrev_b32_e32 v3, 29, v4
	v_cmp_gt_i64_e64 s[18:19], 0, v[2:3]
	v_not_b32_e32 v3, v3
	v_ashrrev_i32_e32 v3, 31, v3
	v_and_b32_e32 v26, v26, v27
	v_xor_b32_e32 v27, s19, v3
	v_xor_b32_e32 v3, s18, v3
	v_and_b32_e32 v5, v5, v3
	v_lshlrev_b32_e32 v3, 28, v4
	v_cmp_gt_i64_e64 s[18:19], 0, v[2:3]
	v_not_b32_e32 v3, v3
	v_ashrrev_i32_e32 v3, 31, v3
	v_and_b32_e32 v26, v26, v27
	;; [unrolled: 8-line block ×5, first 2 shown]
	v_xor_b32_e32 v27, s19, v3
	v_xor_b32_e32 v3, s18, v3
	v_and_b32_e32 v5, v5, v3
	v_lshlrev_b32_e32 v3, 24, v4
	v_cmp_gt_i64_e64 s[18:19], 0, v[2:3]
	v_not_b32_e32 v2, v3
	v_ashrrev_i32_e32 v2, 31, v2
	v_xor_b32_e32 v3, s19, v2
	v_xor_b32_e32 v2, s18, v2
	; wave barrier
	ds_read_b32 v34, v25 offset:64
	v_and_b32_e32 v26, v26, v27
	v_and_b32_e32 v2, v5, v2
	;; [unrolled: 1-line block ×3, first 2 shown]
	v_mbcnt_lo_u32_b32 v4, v2, 0
	v_mbcnt_hi_u32_b32 v35, v3, v4
	v_cmp_eq_u32_e64 s[18:19], 0, v35
	v_cmp_ne_u64_e64 s[20:21], 0, v[2:3]
	s_and_b64 s[20:21], s[20:21], s[18:19]
	; wave barrier
	s_and_saveexec_b64 s[18:19], s[20:21]
	s_cbranch_execz .LBB622_29
; %bb.28:
	v_bcnt_u32_b32 v2, v2, 0
	v_bcnt_u32_b32 v2, v3, v2
	s_waitcnt lgkmcnt(0)
	v_add_u32_e32 v2, v34, v2
	ds_write_b32 v25, v2 offset:64
.LBB622_29:
	s_or_b64 exec, exec, s[18:19]
	v_xor_b32_e32 v20, 0xffffff80, v20
	v_lshrrev_b32_sdwa v2, s48, v20 dst_sel:DWORD dst_unused:UNUSED_PAD src0_sel:DWORD src1_sel:BYTE_0
	v_and_b32_e32 v4, s53, v2
	v_and_b32_e32 v3, 1, v4
	v_add_co_u32_e64 v5, s[18:19], -1, v3
	v_addc_co_u32_e64 v27, s[18:19], 0, -1, s[18:19]
	v_cmp_ne_u32_e64 s[18:19], 0, v3
	v_mul_u32_u24_e32 v2, 17, v4
	v_xor_b32_e32 v3, s19, v27
	v_add_lshl_u32 v26, v24, v2, 2
	v_mov_b32_e32 v2, 0
	v_and_b32_e32 v27, exec_hi, v3
	v_lshlrev_b32_e32 v3, 30, v4
	v_xor_b32_e32 v5, s18, v5
	v_cmp_gt_i64_e64 s[18:19], 0, v[2:3]
	v_not_b32_e32 v3, v3
	v_ashrrev_i32_e32 v3, 31, v3
	v_and_b32_e32 v5, exec_lo, v5
	v_xor_b32_e32 v28, s19, v3
	v_xor_b32_e32 v3, s18, v3
	v_and_b32_e32 v5, v5, v3
	v_lshlrev_b32_e32 v3, 29, v4
	v_cmp_gt_i64_e64 s[18:19], 0, v[2:3]
	v_not_b32_e32 v3, v3
	v_ashrrev_i32_e32 v3, 31, v3
	v_and_b32_e32 v27, v27, v28
	v_xor_b32_e32 v28, s19, v3
	v_xor_b32_e32 v3, s18, v3
	v_and_b32_e32 v5, v5, v3
	v_lshlrev_b32_e32 v3, 28, v4
	v_cmp_gt_i64_e64 s[18:19], 0, v[2:3]
	v_not_b32_e32 v3, v3
	v_ashrrev_i32_e32 v3, 31, v3
	v_and_b32_e32 v27, v27, v28
	;; [unrolled: 8-line block ×5, first 2 shown]
	v_xor_b32_e32 v28, s19, v3
	v_xor_b32_e32 v3, s18, v3
	v_and_b32_e32 v27, v27, v28
	v_and_b32_e32 v28, v5, v3
	v_lshlrev_b32_e32 v3, 24, v4
	v_cmp_gt_i64_e64 s[18:19], 0, v[2:3]
	v_not_b32_e32 v3, v3
	v_ashrrev_i32_e32 v3, 31, v3
	v_xor_b32_e32 v4, s19, v3
	v_xor_b32_e32 v3, s18, v3
	; wave barrier
	ds_read_b32 v36, v26 offset:64
	v_and_b32_e32 v5, v27, v4
	v_and_b32_e32 v4, v28, v3
	v_mbcnt_lo_u32_b32 v3, v4, 0
	v_mbcnt_hi_u32_b32 v37, v5, v3
	v_cmp_eq_u32_e64 s[18:19], 0, v37
	v_cmp_ne_u64_e64 s[20:21], 0, v[4:5]
	s_and_b64 s[20:21], s[20:21], s[18:19]
	; wave barrier
	s_and_saveexec_b64 s[18:19], s[20:21]
	s_cbranch_execz .LBB622_31
; %bb.30:
	v_bcnt_u32_b32 v3, v4, 0
	v_bcnt_u32_b32 v3, v5, v3
	s_waitcnt lgkmcnt(0)
	v_add_u32_e32 v3, v36, v3
	ds_write_b32 v26, v3 offset:64
.LBB622_31:
	s_or_b64 exec, exec, s[18:19]
	v_xor_b32_e32 v16, 0xffffff80, v16
	v_lshrrev_b32_sdwa v3, s48, v16 dst_sel:DWORD dst_unused:UNUSED_PAD src0_sel:DWORD src1_sel:BYTE_0
	v_and_b32_e32 v4, s53, v3
	v_mul_u32_u24_e32 v3, 17, v4
	v_add_lshl_u32 v27, v24, v3, 2
	v_and_b32_e32 v3, 1, v4
	v_add_co_u32_e64 v5, s[18:19], -1, v3
	v_addc_co_u32_e64 v28, s[18:19], 0, -1, s[18:19]
	v_cmp_ne_u32_e64 s[18:19], 0, v3
	v_xor_b32_e32 v3, s19, v28
	v_and_b32_e32 v28, exec_hi, v3
	v_lshlrev_b32_e32 v3, 30, v4
	v_xor_b32_e32 v5, s18, v5
	v_cmp_gt_i64_e64 s[18:19], 0, v[2:3]
	v_not_b32_e32 v3, v3
	v_ashrrev_i32_e32 v3, 31, v3
	v_and_b32_e32 v5, exec_lo, v5
	v_xor_b32_e32 v29, s19, v3
	v_xor_b32_e32 v3, s18, v3
	v_and_b32_e32 v5, v5, v3
	v_lshlrev_b32_e32 v3, 29, v4
	v_cmp_gt_i64_e64 s[18:19], 0, v[2:3]
	v_not_b32_e32 v3, v3
	v_ashrrev_i32_e32 v3, 31, v3
	v_and_b32_e32 v28, v28, v29
	v_xor_b32_e32 v29, s19, v3
	v_xor_b32_e32 v3, s18, v3
	v_and_b32_e32 v5, v5, v3
	v_lshlrev_b32_e32 v3, 28, v4
	v_cmp_gt_i64_e64 s[18:19], 0, v[2:3]
	v_not_b32_e32 v3, v3
	v_ashrrev_i32_e32 v3, 31, v3
	v_and_b32_e32 v28, v28, v29
	;; [unrolled: 8-line block ×5, first 2 shown]
	v_xor_b32_e32 v29, s19, v3
	v_xor_b32_e32 v3, s18, v3
	v_and_b32_e32 v5, v5, v3
	v_lshlrev_b32_e32 v3, 24, v4
	v_cmp_gt_i64_e64 s[18:19], 0, v[2:3]
	v_not_b32_e32 v2, v3
	v_ashrrev_i32_e32 v2, 31, v2
	v_xor_b32_e32 v3, s19, v2
	v_xor_b32_e32 v2, s18, v2
	; wave barrier
	ds_read_b32 v38, v27 offset:64
	v_and_b32_e32 v28, v28, v29
	v_and_b32_e32 v2, v5, v2
	;; [unrolled: 1-line block ×3, first 2 shown]
	v_mbcnt_lo_u32_b32 v4, v2, 0
	v_mbcnt_hi_u32_b32 v39, v3, v4
	v_cmp_eq_u32_e64 s[18:19], 0, v39
	v_cmp_ne_u64_e64 s[20:21], 0, v[2:3]
	s_and_b64 s[20:21], s[20:21], s[18:19]
	; wave barrier
	s_and_saveexec_b64 s[18:19], s[20:21]
	s_cbranch_execz .LBB622_33
; %bb.32:
	v_bcnt_u32_b32 v2, v2, 0
	v_bcnt_u32_b32 v2, v3, v2
	s_waitcnt lgkmcnt(0)
	v_add_u32_e32 v2, v38, v2
	ds_write_b32 v27, v2 offset:64
.LBB622_33:
	s_or_b64 exec, exec, s[18:19]
	v_xor_b32_e32 v9, 0xffffff80, v9
	v_lshrrev_b32_sdwa v2, s48, v9 dst_sel:DWORD dst_unused:UNUSED_PAD src0_sel:DWORD src1_sel:BYTE_0
	v_and_b32_e32 v4, s53, v2
	v_and_b32_e32 v3, 1, v4
	v_add_co_u32_e64 v5, s[18:19], -1, v3
	v_addc_co_u32_e64 v29, s[18:19], 0, -1, s[18:19]
	v_cmp_ne_u32_e64 s[18:19], 0, v3
	v_mul_u32_u24_e32 v2, 17, v4
	v_xor_b32_e32 v3, s19, v29
	v_add_lshl_u32 v28, v24, v2, 2
	v_mov_b32_e32 v2, 0
	v_and_b32_e32 v29, exec_hi, v3
	v_lshlrev_b32_e32 v3, 30, v4
	v_xor_b32_e32 v5, s18, v5
	v_cmp_gt_i64_e64 s[18:19], 0, v[2:3]
	v_not_b32_e32 v3, v3
	v_ashrrev_i32_e32 v3, 31, v3
	v_and_b32_e32 v5, exec_lo, v5
	v_xor_b32_e32 v41, s19, v3
	v_xor_b32_e32 v3, s18, v3
	v_and_b32_e32 v5, v5, v3
	v_lshlrev_b32_e32 v3, 29, v4
	v_cmp_gt_i64_e64 s[18:19], 0, v[2:3]
	v_not_b32_e32 v3, v3
	v_ashrrev_i32_e32 v3, 31, v3
	v_and_b32_e32 v29, v29, v41
	v_xor_b32_e32 v41, s19, v3
	v_xor_b32_e32 v3, s18, v3
	v_and_b32_e32 v5, v5, v3
	v_lshlrev_b32_e32 v3, 28, v4
	v_cmp_gt_i64_e64 s[18:19], 0, v[2:3]
	v_not_b32_e32 v3, v3
	v_ashrrev_i32_e32 v3, 31, v3
	v_and_b32_e32 v29, v29, v41
	;; [unrolled: 8-line block ×5, first 2 shown]
	v_xor_b32_e32 v41, s19, v3
	v_xor_b32_e32 v3, s18, v3
	v_and_b32_e32 v29, v29, v41
	v_and_b32_e32 v41, v5, v3
	v_lshlrev_b32_e32 v3, 24, v4
	v_cmp_gt_i64_e64 s[18:19], 0, v[2:3]
	v_not_b32_e32 v3, v3
	v_ashrrev_i32_e32 v3, 31, v3
	v_xor_b32_e32 v4, s19, v3
	v_xor_b32_e32 v3, s18, v3
	; wave barrier
	ds_read_b32 v40, v28 offset:64
	v_and_b32_e32 v5, v29, v4
	v_and_b32_e32 v4, v41, v3
	v_mbcnt_lo_u32_b32 v3, v4, 0
	v_mbcnt_hi_u32_b32 v41, v5, v3
	v_cmp_eq_u32_e64 s[18:19], 0, v41
	v_cmp_ne_u64_e64 s[20:21], 0, v[4:5]
	s_and_b64 s[20:21], s[20:21], s[18:19]
	; wave barrier
	s_and_saveexec_b64 s[18:19], s[20:21]
	s_cbranch_execz .LBB622_35
; %bb.34:
	v_bcnt_u32_b32 v3, v4, 0
	v_bcnt_u32_b32 v3, v5, v3
	s_waitcnt lgkmcnt(0)
	v_add_u32_e32 v3, v40, v3
	ds_write_b32 v28, v3 offset:64
.LBB622_35:
	s_or_b64 exec, exec, s[18:19]
	v_xor_b32_e32 v7, 0xffffff80, v7
	v_lshrrev_b32_sdwa v3, s48, v7 dst_sel:DWORD dst_unused:UNUSED_PAD src0_sel:DWORD src1_sel:BYTE_0
	v_and_b32_e32 v4, s53, v3
	v_mul_u32_u24_e32 v3, 17, v4
	v_add_lshl_u32 v24, v24, v3, 2
	v_and_b32_e32 v3, 1, v4
	v_add_co_u32_e64 v5, s[18:19], -1, v3
	v_addc_co_u32_e64 v43, s[18:19], 0, -1, s[18:19]
	v_cmp_ne_u32_e64 s[18:19], 0, v3
	v_xor_b32_e32 v3, s19, v43
	v_and_b32_e32 v43, exec_hi, v3
	v_lshlrev_b32_e32 v3, 30, v4
	v_xor_b32_e32 v5, s18, v5
	v_cmp_gt_i64_e64 s[18:19], 0, v[2:3]
	v_not_b32_e32 v3, v3
	v_ashrrev_i32_e32 v3, 31, v3
	v_and_b32_e32 v5, exec_lo, v5
	v_xor_b32_e32 v44, s19, v3
	v_xor_b32_e32 v3, s18, v3
	v_and_b32_e32 v5, v5, v3
	v_lshlrev_b32_e32 v3, 29, v4
	v_cmp_gt_i64_e64 s[18:19], 0, v[2:3]
	v_not_b32_e32 v3, v3
	v_ashrrev_i32_e32 v3, 31, v3
	v_and_b32_e32 v43, v43, v44
	v_xor_b32_e32 v44, s19, v3
	v_xor_b32_e32 v3, s18, v3
	v_and_b32_e32 v5, v5, v3
	v_lshlrev_b32_e32 v3, 28, v4
	v_cmp_gt_i64_e64 s[18:19], 0, v[2:3]
	v_not_b32_e32 v3, v3
	v_ashrrev_i32_e32 v3, 31, v3
	v_and_b32_e32 v43, v43, v44
	;; [unrolled: 8-line block ×5, first 2 shown]
	v_xor_b32_e32 v44, s19, v3
	v_xor_b32_e32 v3, s18, v3
	v_and_b32_e32 v5, v5, v3
	v_lshlrev_b32_e32 v3, 24, v4
	v_cmp_gt_i64_e64 s[18:19], 0, v[2:3]
	v_not_b32_e32 v2, v3
	v_ashrrev_i32_e32 v2, 31, v2
	v_xor_b32_e32 v3, s19, v2
	v_xor_b32_e32 v2, s18, v2
	; wave barrier
	ds_read_b32 v42, v24 offset:64
	v_and_b32_e32 v43, v43, v44
	v_and_b32_e32 v2, v5, v2
	;; [unrolled: 1-line block ×3, first 2 shown]
	v_mbcnt_lo_u32_b32 v4, v2, 0
	v_mbcnt_hi_u32_b32 v45, v3, v4
	v_cmp_eq_u32_e64 s[18:19], 0, v45
	v_cmp_ne_u64_e64 s[20:21], 0, v[2:3]
	v_add_u32_e32 v29, 64, v13
	s_and_b64 s[20:21], s[20:21], s[18:19]
	; wave barrier
	s_and_saveexec_b64 s[18:19], s[20:21]
	s_cbranch_execz .LBB622_37
; %bb.36:
	v_bcnt_u32_b32 v2, v2, 0
	v_bcnt_u32_b32 v2, v3, v2
	s_waitcnt lgkmcnt(0)
	v_add_u32_e32 v2, v42, v2
	ds_write_b32 v24, v2 offset:64
.LBB622_37:
	s_or_b64 exec, exec, s[18:19]
	; wave barrier
	s_waitcnt lgkmcnt(0)
	s_barrier
	ds_read2_b32 v[4:5], v13 offset0:16 offset1:17
	ds_read2_b32 v[2:3], v29 offset0:2 offset1:3
	ds_read_b32 v43, v29 offset:16
	v_cmp_lt_u32_e64 s[28:29], 31, v6
	s_waitcnt lgkmcnt(1)
	v_add3_u32 v44, v5, v4, v2
	s_waitcnt lgkmcnt(0)
	v_add3_u32 v43, v44, v3, v43
	v_and_b32_e32 v44, 15, v6
	v_cmp_eq_u32_e64 s[18:19], 0, v44
	v_mov_b32_dpp v46, v43 row_shr:1 row_mask:0xf bank_mask:0xf
	v_cndmask_b32_e64 v46, v46, 0, s[18:19]
	v_add_u32_e32 v43, v46, v43
	v_cmp_lt_u32_e64 s[20:21], 1, v44
	v_cmp_lt_u32_e64 s[22:23], 3, v44
	v_mov_b32_dpp v46, v43 row_shr:2 row_mask:0xf bank_mask:0xf
	v_cndmask_b32_e64 v46, 0, v46, s[20:21]
	v_add_u32_e32 v43, v43, v46
	v_cmp_lt_u32_e64 s[24:25], 7, v44
	s_nop 0
	v_mov_b32_dpp v46, v43 row_shr:4 row_mask:0xf bank_mask:0xf
	v_cndmask_b32_e64 v46, 0, v46, s[22:23]
	v_add_u32_e32 v43, v43, v46
	s_nop 1
	v_mov_b32_dpp v46, v43 row_shr:8 row_mask:0xf bank_mask:0xf
	v_cndmask_b32_e64 v44, 0, v46, s[24:25]
	v_add_u32_e32 v43, v43, v44
	v_bfe_i32 v46, v6, 4, 1
	s_nop 0
	v_mov_b32_dpp v44, v43 row_bcast:15 row_mask:0xf bank_mask:0xf
	v_and_b32_e32 v44, v46, v44
	v_add_u32_e32 v43, v43, v44
	v_and_b32_e32 v46, 63, v10
	s_nop 0
	v_mov_b32_dpp v44, v43 row_bcast:31 row_mask:0xf bank_mask:0xf
	v_cndmask_b32_e64 v44, 0, v44, s[28:29]
	v_add_u32_e32 v43, v43, v44
	v_lshrrev_b32_e32 v44, 6, v10
	v_cmp_eq_u32_e64 s[28:29], 63, v46
	s_and_saveexec_b64 s[50:51], s[28:29]
	s_cbranch_execz .LBB622_39
; %bb.38:
	v_lshlrev_b32_e32 v46, 2, v44
	ds_write_b32 v46, v43
.LBB622_39:
	s_or_b64 exec, exec, s[50:51]
	v_cmp_gt_u32_e64 s[28:29], 16, v10
	s_waitcnt lgkmcnt(0)
	s_barrier
	s_and_saveexec_b64 s[50:51], s[28:29]
	s_cbranch_execz .LBB622_41
; %bb.40:
	v_lshlrev_b32_e32 v46, 2, v10
	ds_read_b32 v47, v46
	s_waitcnt lgkmcnt(0)
	s_nop 0
	v_mov_b32_dpp v48, v47 row_shr:1 row_mask:0xf bank_mask:0xf
	v_cndmask_b32_e64 v48, v48, 0, s[18:19]
	v_add_u32_e32 v47, v48, v47
	s_nop 1
	v_mov_b32_dpp v48, v47 row_shr:2 row_mask:0xf bank_mask:0xf
	v_cndmask_b32_e64 v48, 0, v48, s[20:21]
	v_add_u32_e32 v47, v47, v48
	;; [unrolled: 4-line block ×4, first 2 shown]
	ds_write_b32 v46, v47
.LBB622_41:
	s_or_b64 exec, exec, s[50:51]
	v_cmp_lt_u32_e64 s[18:19], 63, v10
	v_mov_b32_e32 v46, 0
	s_waitcnt lgkmcnt(0)
	s_barrier
	s_and_saveexec_b64 s[20:21], s[18:19]
	s_cbranch_execz .LBB622_43
; %bb.42:
	v_lshl_add_u32 v44, v44, 2, -4
	ds_read_b32 v46, v44
.LBB622_43:
	s_or_b64 exec, exec, s[20:21]
	v_add_u32_e32 v44, -1, v6
	v_and_b32_e32 v47, 64, v6
	v_cmp_lt_i32_e64 s[18:19], v44, v47
	v_cndmask_b32_e64 v44, v44, v6, s[18:19]
	s_waitcnt lgkmcnt(0)
	v_add_u32_e32 v43, v46, v43
	v_lshlrev_b32_e32 v44, 2, v44
	ds_bpermute_b32 v43, v44, v43
	v_cmp_eq_u32_e64 s[18:19], 0, v6
                                        ; implicit-def: $vgpr44
	s_waitcnt lgkmcnt(0)
	v_cndmask_b32_e64 v6, v43, v46, s[18:19]
	v_cndmask_b32_e64 v6, v6, 0, s[0:1]
	v_add_u32_e32 v4, v6, v4
	v_add_u32_e32 v5, v4, v5
	v_add_u32_e32 v2, v5, v2
	v_add_u32_e32 v3, v2, v3
	ds_write2_b32 v13, v6, v4 offset0:16 offset1:17
	ds_write2_b32 v29, v5, v2 offset0:2 offset1:3
	ds_write_b32 v29, v3 offset:16
	s_waitcnt lgkmcnt(0)
	s_barrier
	ds_read_b32 v2, v18 offset:64
	ds_read_b32 v47, v19 offset:64
	;; [unrolled: 1-line block ×8, first 2 shown]
	s_movk_i32 s18, 0x100
	v_cmp_gt_u32_e64 s[18:19], s18, v10
                                        ; implicit-def: $vgpr43
	s_and_saveexec_b64 s[22:23], s[18:19]
	s_cbranch_execz .LBB622_47
; %bb.44:
	v_mul_u32_u24_e32 v3, 17, v10
	v_lshlrev_b32_e32 v4, 2, v3
	ds_read_b32 v43, v4 offset:64
	s_movk_i32 s20, 0xff
	v_cmp_ne_u32_e64 s[20:21], s20, v10
	v_mov_b32_e32 v3, 0x2000
	s_and_saveexec_b64 s[24:25], s[20:21]
	s_cbranch_execz .LBB622_46
; %bb.45:
	ds_read_b32 v3, v4 offset:132
.LBB622_46:
	s_or_b64 exec, exec, s[24:25]
	s_waitcnt lgkmcnt(0)
	v_sub_u32_e32 v44, v3, v43
.LBB622_47:
	s_or_b64 exec, exec, s[22:23]
	s_waitcnt lgkmcnt(7)
	v_add_u32_e32 v46, v2, v15
	s_waitcnt lgkmcnt(6)
	v_add3_u32 v2, v31, v11, v47
	s_waitcnt lgkmcnt(5)
	v_add3_u32 v3, v33, v32, v48
	s_waitcnt lgkmcnt(4)
	v_add3_u32 v4, v35, v34, v49
	s_waitcnt lgkmcnt(3)
	v_add3_u32 v5, v37, v36, v50
	s_waitcnt lgkmcnt(2)
	v_add3_u32 v6, v39, v38, v51
	s_waitcnt lgkmcnt(1)
	v_add3_u32 v13, v41, v40, v52
	s_waitcnt lgkmcnt(0)
	v_add3_u32 v15, v45, v42, v53
	s_barrier
	ds_write_b8 v46, v8 offset:1024
	ds_write_b8 v2, v17 offset:1024
	;; [unrolled: 1-line block ×8, first 2 shown]
	s_and_saveexec_b64 s[22:23], s[18:19]
	s_cbranch_execz .LBB622_57
; %bb.48:
	v_lshl_or_b32 v2, s33, 8, v10
	v_mov_b32_e32 v3, 0
	v_lshlrev_b64 v[4:5], 2, v[2:3]
	v_mov_b32_e32 v8, s31
	v_add_co_u32_e64 v4, s[20:21], s30, v4
	v_addc_co_u32_e64 v5, s[20:21], v8, v5, s[20:21]
	v_or_b32_e32 v2, 2.0, v44
	s_mov_b64 s[24:25], 0
	s_brev_b32 s54, 1
	s_mov_b32 s55, s33
	v_mov_b32_e32 v9, 0
	global_store_dword v[4:5], v2, off
                                        ; implicit-def: $sgpr20_sgpr21
	s_branch .LBB622_50
.LBB622_49:                             ;   in Loop: Header=BB622_50 Depth=1
	s_or_b64 exec, exec, s[28:29]
	v_and_b32_e32 v6, 0x3fffffff, v13
	v_add_u32_e32 v9, v6, v9
	v_cmp_eq_u32_e64 s[20:21], s54, v2
	s_and_b64 s[28:29], exec, s[20:21]
	s_or_b64 s[24:25], s[28:29], s[24:25]
	s_andn2_b64 exec, exec, s[24:25]
	s_cbranch_execz .LBB622_56
.LBB622_50:                             ; =>This Loop Header: Depth=1
                                        ;     Child Loop BB622_53 Depth 2
	s_or_b64 s[20:21], s[20:21], exec
	s_cmp_eq_u32 s55, 0
	s_cbranch_scc1 .LBB622_55
; %bb.51:                               ;   in Loop: Header=BB622_50 Depth=1
	s_add_i32 s55, s55, -1
	v_lshl_or_b32 v2, s55, 8, v10
	v_lshlrev_b64 v[6:7], 2, v[2:3]
	v_add_co_u32_e64 v6, s[20:21], s30, v6
	v_addc_co_u32_e64 v7, s[20:21], v8, v7, s[20:21]
	global_load_dword v13, v[6:7], off glc
	s_waitcnt vmcnt(0)
	v_and_b32_e32 v2, -2.0, v13
	v_cmp_eq_u32_e64 s[20:21], 0, v2
	s_and_saveexec_b64 s[28:29], s[20:21]
	s_cbranch_execz .LBB622_49
; %bb.52:                               ;   in Loop: Header=BB622_50 Depth=1
	s_mov_b64 s[50:51], 0
.LBB622_53:                             ;   Parent Loop BB622_50 Depth=1
                                        ; =>  This Inner Loop Header: Depth=2
	global_load_dword v13, v[6:7], off glc
	s_waitcnt vmcnt(0)
	v_and_b32_e32 v2, -2.0, v13
	v_cmp_ne_u32_e64 s[20:21], 0, v2
	s_or_b64 s[50:51], s[20:21], s[50:51]
	s_andn2_b64 exec, exec, s[50:51]
	s_cbranch_execnz .LBB622_53
; %bb.54:                               ;   in Loop: Header=BB622_50 Depth=1
	s_or_b64 exec, exec, s[50:51]
	s_branch .LBB622_49
.LBB622_55:                             ;   in Loop: Header=BB622_50 Depth=1
                                        ; implicit-def: $sgpr55
	s_and_b64 s[28:29], exec, s[20:21]
	s_or_b64 s[24:25], s[28:29], s[24:25]
	s_andn2_b64 exec, exec, s[24:25]
	s_cbranch_execnz .LBB622_50
.LBB622_56:
	s_or_b64 exec, exec, s[24:25]
	v_add_u32_e32 v2, v9, v44
	v_or_b32_e32 v2, 0x80000000, v2
	global_store_dword v[4:5], v2, off
	v_lshlrev_b32_e32 v2, 2, v10
	global_load_dword v3, v2, s[44:45]
	v_sub_u32_e32 v4, v9, v43
	s_waitcnt vmcnt(0)
	v_add_u32_e32 v3, v4, v3
	ds_write_b32 v2, v3
.LBB622_57:
	s_or_b64 exec, exec, s[22:23]
	v_cmp_gt_u32_e64 s[20:21], s7, v10
	s_waitcnt lgkmcnt(0)
	s_barrier
	s_waitcnt lgkmcnt(0)
                                        ; implicit-def: $vgpr2_vgpr3_vgpr4_vgpr5_vgpr6_vgpr7_vgpr8_vgpr9
	s_and_saveexec_b64 s[22:23], s[20:21]
	s_cbranch_execz .LBB622_59
; %bb.58:
	ds_read_u8 v3, v10 offset:1024
	s_waitcnt lgkmcnt(0)
	v_lshrrev_b32_sdwa v2, s48, v3 dst_sel:DWORD dst_unused:UNUSED_PAD src0_sel:DWORD src1_sel:BYTE_0
	v_and_b32_e32 v2, s53, v2
	v_lshlrev_b32_e32 v4, 2, v2
	ds_read_b32 v4, v4
	v_xor_b32_e32 v3, 0x80, v3
	s_waitcnt lgkmcnt(0)
	v_add_u32_e32 v4, v4, v10
	global_store_byte v4, v3, s[38:39]
.LBB622_59:
	s_or_b64 exec, exec, s[22:23]
	v_or_b32_e32 v13, 0x400, v10
	v_cmp_gt_u32_e64 s[20:21], s7, v13
	s_and_saveexec_b64 s[22:23], s[20:21]
	s_cbranch_execz .LBB622_61
; %bb.60:
	ds_read_u8 v15, v10 offset:2048
	s_waitcnt lgkmcnt(0)
	v_lshrrev_b32_sdwa v3, s48, v15 dst_sel:DWORD dst_unused:UNUSED_PAD src0_sel:DWORD src1_sel:BYTE_0
	v_and_b32_e32 v3, s53, v3
	v_lshlrev_b32_e32 v16, 2, v3
	ds_read_b32 v16, v16
	v_xor_b32_e32 v15, 0x80, v15
	s_waitcnt lgkmcnt(0)
	v_add_u32_e32 v13, v16, v13
	global_store_byte v13, v15, s[38:39]
.LBB622_61:
	s_or_b64 exec, exec, s[22:23]
	v_or_b32_e32 v13, 0x800, v10
	v_cmp_gt_u32_e64 s[20:21], s7, v13
	;; [unrolled: 17-line block ×7, first 2 shown]
	s_and_saveexec_b64 s[22:23], s[20:21]
	s_cbranch_execz .LBB622_73
; %bb.72:
	ds_read_u8 v15, v10 offset:8192
	s_waitcnt lgkmcnt(0)
	v_lshrrev_b32_sdwa v9, s48, v15 dst_sel:DWORD dst_unused:UNUSED_PAD src0_sel:DWORD src1_sel:BYTE_0
	v_and_b32_e32 v9, s53, v9
	v_lshlrev_b32_e32 v16, 2, v9
	ds_read_b32 v16, v16
	v_xor_b32_e32 v15, 0x80, v15
	s_waitcnt lgkmcnt(0)
	v_add_u32_e32 v13, v16, v13
	global_store_byte v13, v15, s[38:39]
.LBB622_73:
	s_or_b64 exec, exec, s[22:23]
	s_lshl_b64 s[20:21], s[34:35], 3
	s_add_u32 s20, s40, s20
	s_addc_u32 s21, s41, s21
	v_lshlrev_b32_e32 v13, 3, v14
	v_mov_b32_e32 v14, s21
	v_add_co_u32_e64 v13, s[20:21], s20, v13
	v_addc_co_u32_e64 v14, s[20:21], 0, v14, s[20:21]
	v_lshlrev_b32_e32 v12, 3, v12
	v_add_co_u32_e64 v28, s[20:21], v13, v12
	v_addc_co_u32_e64 v29, s[20:21], 0, v14, s[20:21]
                                        ; implicit-def: $vgpr12_vgpr13
	s_and_saveexec_b64 s[20:21], vcc
	s_xor_b64 s[20:21], exec, s[20:21]
	s_cbranch_execnz .LBB622_138
; %bb.74:
	s_or_b64 exec, exec, s[20:21]
                                        ; implicit-def: $vgpr14_vgpr15
	s_and_saveexec_b64 s[20:21], s[2:3]
	s_cbranch_execnz .LBB622_139
.LBB622_75:
	s_or_b64 exec, exec, s[20:21]
                                        ; implicit-def: $vgpr16_vgpr17
	s_and_saveexec_b64 s[2:3], s[26:27]
	s_cbranch_execnz .LBB622_140
.LBB622_76:
	s_or_b64 exec, exec, s[2:3]
                                        ; implicit-def: $vgpr18_vgpr19
	s_and_saveexec_b64 s[2:3], s[8:9]
	s_cbranch_execnz .LBB622_141
.LBB622_77:
	s_or_b64 exec, exec, s[2:3]
                                        ; implicit-def: $vgpr20_vgpr21
	s_and_saveexec_b64 s[2:3], s[10:11]
	s_cbranch_execnz .LBB622_142
.LBB622_78:
	s_or_b64 exec, exec, s[2:3]
                                        ; implicit-def: $vgpr22_vgpr23
	s_and_saveexec_b64 s[2:3], s[12:13]
	s_cbranch_execnz .LBB622_143
.LBB622_79:
	s_or_b64 exec, exec, s[2:3]
                                        ; implicit-def: $vgpr24_vgpr25
	s_and_saveexec_b64 s[2:3], s[14:15]
	s_cbranch_execnz .LBB622_144
.LBB622_80:
	s_or_b64 exec, exec, s[2:3]
                                        ; implicit-def: $vgpr26_vgpr27
	s_and_saveexec_b64 s[2:3], s[16:17]
	s_cbranch_execz .LBB622_82
.LBB622_81:
	global_load_dwordx2 v[26:27], v[28:29], off offset:3584
.LBB622_82:
	s_or_b64 exec, exec, s[2:3]
	s_movk_i32 s8, 0x400
	v_add_u32_e32 v54, 0x400, v1
	v_add3_u32 v42, v45, v53, v42
	v_add3_u32 v40, v41, v52, v40
	;; [unrolled: 1-line block ×7, first 2 shown]
	s_mov_b32 s9, 0
	v_mov_b32_e32 v29, 0
	s_mov_b32 s10, 0
	v_mov_b32_e32 v31, v10
	s_barrier
	s_waitcnt vmcnt(0)
	s_branch .LBB622_84
.LBB622_83:                             ;   in Loop: Header=BB622_84 Depth=1
	s_or_b64 exec, exec, s[2:3]
	s_addk_i32 s10, 0xf800
	s_add_i32 s9, s9, 2
	s_cmpk_eq_i32 s10, 0xe000
	v_add_u32_e32 v31, 0x800, v31
	s_barrier
	s_cbranch_scc1 .LBB622_89
.LBB622_84:                             ; =>This Inner Loop Header: Depth=1
	v_add_u32_e32 v28, s10, v46
	v_min_u32_e32 v28, 0x800, v28
	v_lshlrev_b32_e32 v28, 3, v28
	ds_write_b64 v28, v[12:13] offset:1024
	v_add_u32_e32 v28, s10, v11
	v_min_u32_e32 v28, 0x800, v28
	v_lshlrev_b32_e32 v28, 3, v28
	ds_write_b64 v28, v[14:15] offset:1024
	;; [unrolled: 4-line block ×7, first 2 shown]
	v_add_u32_e32 v28, s10, v42
	v_min_u32_e32 v28, 0x800, v28
	v_lshlrev_b32_e32 v28, 3, v28
	v_cmp_gt_u32_e32 vcc, s7, v31
	ds_write_b64 v28, v[26:27] offset:1024
	s_waitcnt lgkmcnt(0)
	s_barrier
	s_and_saveexec_b64 s[2:3], vcc
	s_cbranch_execz .LBB622_86
; %bb.85:                               ;   in Loop: Header=BB622_84 Depth=1
	s_cmp_eq_u32 s9, 1
	s_cselect_b64 vcc, -1, 0
	s_cmp_eq_u32 s9, 2
	v_cndmask_b32_e32 v28, v2, v3, vcc
	s_cselect_b64 vcc, -1, 0
	s_cmp_eq_u32 s9, 3
	v_cndmask_b32_e32 v28, v28, v4, vcc
	;; [unrolled: 3-line block ×6, first 2 shown]
	s_cselect_b64 vcc, -1, 0
	v_cndmask_b32_e32 v28, v28, v9, vcc
	v_lshlrev_b32_e32 v28, 2, v28
	ds_read_b32 v28, v28
	ds_read_b64 v[48:49], v1 offset:1024
	s_waitcnt lgkmcnt(1)
	v_add_u32_e32 v28, v31, v28
	v_lshlrev_b64 v[50:51], 3, v[28:29]
	v_mov_b32_e32 v28, s43
	v_add_co_u32_e32 v50, vcc, s42, v50
	v_addc_co_u32_e32 v51, vcc, v28, v51, vcc
	s_waitcnt lgkmcnt(0)
	global_store_dwordx2 v[50:51], v[48:49], off
.LBB622_86:                             ;   in Loop: Header=BB622_84 Depth=1
	s_or_b64 exec, exec, s[2:3]
	v_add_u32_e32 v28, 0x400, v31
	v_cmp_gt_u32_e32 vcc, s7, v28
	s_and_saveexec_b64 s[2:3], vcc
	s_cbranch_execz .LBB622_83
; %bb.87:                               ;   in Loop: Header=BB622_84 Depth=1
	s_add_i32 s11, s9, 1
	s_cmp_eq_u32 s11, 1
	s_cselect_b64 vcc, -1, 0
	s_cmp_eq_u32 s11, 2
	v_cndmask_b32_e32 v28, v2, v3, vcc
	s_cselect_b64 vcc, -1, 0
	s_cmp_eq_u32 s11, 3
	v_cndmask_b32_e32 v28, v28, v4, vcc
	;; [unrolled: 3-line block ×6, first 2 shown]
	s_cselect_b64 vcc, -1, 0
	v_cndmask_b32_e32 v28, v28, v9, vcc
	v_lshlrev_b32_e32 v28, 2, v28
	ds_read_b32 v28, v28
	ds_read_b64 v[48:49], v54 offset:8192
	s_waitcnt lgkmcnt(1)
	v_add3_u32 v28, v31, v28, s8
	v_lshlrev_b64 v[50:51], 3, v[28:29]
	v_mov_b32_e32 v28, s43
	v_add_co_u32_e32 v50, vcc, s42, v50
	v_addc_co_u32_e32 v51, vcc, v28, v51, vcc
	s_waitcnt lgkmcnt(0)
	global_store_dwordx2 v[50:51], v[48:49], off
	s_branch .LBB622_83
.LBB622_88:
	s_mov_b64 s[10:11], 0
                                        ; implicit-def: $vgpr2
                                        ; implicit-def: $vgpr14_vgpr15
	s_cbranch_execnz .LBB622_92
	s_branch .LBB622_135
.LBB622_89:
	s_add_i32 s52, s52, -1
	s_cmp_eq_u32 s52, s33
	s_cselect_b64 s[2:3], -1, 0
	s_and_b64 s[8:9], s[18:19], s[2:3]
	s_mov_b64 s[2:3], 0
	s_mov_b64 s[10:11], 0
                                        ; implicit-def: $vgpr2
                                        ; implicit-def: $vgpr14_vgpr15
	s_and_saveexec_b64 s[12:13], s[8:9]
	s_xor_b64 s[8:9], exec, s[12:13]
; %bb.90:
	v_mov_b32_e32 v11, 0
	s_mov_b64 s[10:11], exec
	v_add_u32_e32 v2, v43, v44
	v_pk_mov_b32 v[14:15], v[10:11], v[10:11] op_sel:[0,1]
; %bb.91:
	s_or_b64 exec, exec, s[8:9]
	s_and_b64 vcc, exec, s[2:3]
	s_cbranch_vccz .LBB622_135
.LBB622_92:
	s_lshl_b32 s12, s33, 13
	v_mbcnt_hi_u32_b32 v5, -1, v30
	s_add_u32 s2, s36, s12
	v_and_b32_e32 v12, 63, v5
	v_add_co_u32_e32 v3, vcc, s2, v12
	s_load_dword s16, s[4:5], 0x58
	s_load_dword s2, s[4:5], 0x64
	s_addc_u32 s3, s37, 0
	v_and_b32_e32 v8, 0x1e00, v1
	v_mov_b32_e32 v1, s3
	v_addc_co_u32_e32 v1, vcc, 0, v1, vcc
	s_add_u32 s3, s4, 0x58
	v_add_co_u32_e32 v14, vcc, v3, v8
	s_addc_u32 s4, s5, 0
	s_waitcnt lgkmcnt(0)
	s_lshr_b32 s5, s2, 16
	v_addc_co_u32_e32 v15, vcc, 0, v1, vcc
	s_cmp_lt_u32 s6, s16
	global_load_ubyte v1, v[14:15], off
	s_cselect_b32 s2, 12, 18
	s_add_u32 s2, s3, s2
	v_mov_b32_e32 v2, 0
	s_addc_u32 s3, s4, 0
	global_load_ushort v7, v2, s[2:3]
	v_mul_u32_u24_e32 v4, 5, v10
	v_lshlrev_b32_e32 v6, 2, v4
	ds_write2_b32 v6, v2, v2 offset0:16 offset1:17
	ds_write2_b32 v6, v2, v2 offset0:18 offset1:19
	ds_write_b32 v6, v2 offset:80
	global_load_ubyte v9, v[14:15], off offset:64
	global_load_ubyte v16, v[14:15], off offset:128
	;; [unrolled: 1-line block ×7, first 2 shown]
	s_lshl_b32 s2, -1, s49
	v_bfe_u32 v3, v0, 10, 10
	v_bfe_u32 v0, v0, 20, 10
	s_not_b32 s17, s2
	v_mad_u32_u24 v0, v0, s5, v3
	s_mov_b32 s13, 0
	s_waitcnt lgkmcnt(0)
	s_barrier
	s_waitcnt lgkmcnt(0)
	; wave barrier
	s_waitcnt vmcnt(8)
	v_xor_b32_e32 v4, 0x80, v1
	v_lshrrev_b32_e32 v1, s48, v4
	v_and_b32_e32 v11, s17, v1
	v_and_b32_e32 v14, 1, v11
	v_lshlrev_b32_e32 v3, 30, v11
	s_waitcnt vmcnt(7)
	v_mad_u64_u32 v[0:1], s[2:3], v0, v7, v[10:11]
	v_add_co_u32_e32 v1, vcc, -1, v14
	v_addc_co_u32_e64 v7, s[2:3], 0, -1, vcc
	v_cmp_ne_u32_e32 vcc, 0, v14
	v_cmp_gt_i64_e64 s[2:3], 0, v[2:3]
	v_not_b32_e32 v14, v3
	v_lshlrev_b32_e32 v3, 29, v11
	v_mul_u32_u24_e32 v13, 17, v11
	v_lshrrev_b32_e32 v25, 6, v0
	v_xor_b32_e32 v0, vcc_hi, v7
	v_xor_b32_e32 v1, vcc_lo, v1
	v_ashrrev_i32_e32 v14, 31, v14
	v_cmp_gt_i64_e32 vcc, 0, v[2:3]
	v_not_b32_e32 v15, v3
	v_lshlrev_b32_e32 v3, 28, v11
	v_add_lshl_u32 v7, v25, v13, 2
	v_and_b32_e32 v0, exec_hi, v0
	v_and_b32_e32 v1, exec_lo, v1
	v_xor_b32_e32 v13, s3, v14
	v_xor_b32_e32 v14, s2, v14
	v_ashrrev_i32_e32 v15, 31, v15
	v_cmp_gt_i64_e64 s[2:3], 0, v[2:3]
	v_not_b32_e32 v17, v3
	v_lshlrev_b32_e32 v3, 27, v11
	v_and_b32_e32 v0, v0, v13
	v_and_b32_e32 v1, v1, v14
	v_xor_b32_e32 v13, vcc_hi, v15
	v_xor_b32_e32 v14, vcc_lo, v15
	v_ashrrev_i32_e32 v15, 31, v17
	v_cmp_gt_i64_e32 vcc, 0, v[2:3]
	v_not_b32_e32 v3, v3
	v_and_b32_e32 v0, v0, v13
	v_and_b32_e32 v1, v1, v14
	v_xor_b32_e32 v13, s3, v15
	v_xor_b32_e32 v14, s2, v15
	v_ashrrev_i32_e32 v3, 31, v3
	v_and_b32_e32 v0, v0, v13
	v_and_b32_e32 v1, v1, v14
	v_xor_b32_e32 v13, vcc_hi, v3
	v_xor_b32_e32 v3, vcc_lo, v3
	v_and_b32_e32 v1, v1, v3
	v_lshlrev_b32_e32 v3, 26, v11
	v_cmp_gt_i64_e32 vcc, 0, v[2:3]
	v_not_b32_e32 v3, v3
	v_ashrrev_i32_e32 v3, 31, v3
	v_and_b32_e32 v0, v0, v13
	v_xor_b32_e32 v13, vcc_hi, v3
	v_xor_b32_e32 v3, vcc_lo, v3
	v_and_b32_e32 v1, v1, v3
	v_lshlrev_b32_e32 v3, 25, v11
	v_cmp_gt_i64_e32 vcc, 0, v[2:3]
	v_not_b32_e32 v3, v3
	v_ashrrev_i32_e32 v3, 31, v3
	v_and_b32_e32 v0, v0, v13
	v_xor_b32_e32 v13, vcc_hi, v3
	v_xor_b32_e32 v3, vcc_lo, v3
	v_and_b32_e32 v0, v0, v13
	v_and_b32_e32 v13, v1, v3
	v_lshlrev_b32_e32 v3, 24, v11
	v_not_b32_e32 v1, v3
	v_cmp_gt_i64_e32 vcc, 0, v[2:3]
	v_ashrrev_i32_e32 v1, 31, v1
	v_xor_b32_e32 v3, vcc_hi, v1
	v_xor_b32_e32 v11, vcc_lo, v1
	v_and_b32_e32 v1, v0, v3
	v_and_b32_e32 v0, v13, v11
	v_mbcnt_lo_u32_b32 v3, v0, 0
	v_mbcnt_hi_u32_b32 v11, v1, v3
	v_cmp_eq_u32_e32 vcc, 0, v11
	v_cmp_ne_u64_e64 s[2:3], 0, v[0:1]
	s_and_b64 s[4:5], s[2:3], vcc
	s_and_saveexec_b64 s[2:3], s[4:5]
	s_cbranch_execz .LBB622_94
; %bb.93:
	v_bcnt_u32_b32 v0, v0, 0
	v_bcnt_u32_b32 v0, v1, v0
	ds_write_b32 v7, v0 offset:64
.LBB622_94:
	s_or_b64 exec, exec, s[2:3]
	s_waitcnt vmcnt(6)
	v_xor_b32_e32 v14, 0xffffff80, v9
	v_lshrrev_b32_sdwa v0, s48, v14 dst_sel:DWORD dst_unused:UNUSED_PAD src0_sel:DWORD src1_sel:BYTE_0
	v_and_b32_e32 v0, s17, v0
	v_mul_u32_u24_e32 v1, 17, v0
	v_add_lshl_u32 v15, v25, v1, 2
	v_and_b32_e32 v1, 1, v0
	v_add_co_u32_e32 v3, vcc, -1, v1
	v_addc_co_u32_e64 v13, s[2:3], 0, -1, vcc
	v_cmp_ne_u32_e32 vcc, 0, v1
	v_xor_b32_e32 v3, vcc_lo, v3
	v_xor_b32_e32 v1, vcc_hi, v13
	v_and_b32_e32 v13, exec_lo, v3
	v_lshlrev_b32_e32 v3, 30, v0
	v_cmp_gt_i64_e32 vcc, 0, v[2:3]
	v_not_b32_e32 v3, v3
	v_ashrrev_i32_e32 v3, 31, v3
	v_xor_b32_e32 v17, vcc_hi, v3
	v_xor_b32_e32 v3, vcc_lo, v3
	v_and_b32_e32 v13, v13, v3
	v_lshlrev_b32_e32 v3, 29, v0
	v_cmp_gt_i64_e32 vcc, 0, v[2:3]
	v_not_b32_e32 v3, v3
	v_and_b32_e32 v1, exec_hi, v1
	v_ashrrev_i32_e32 v3, 31, v3
	v_and_b32_e32 v1, v1, v17
	v_xor_b32_e32 v17, vcc_hi, v3
	v_xor_b32_e32 v3, vcc_lo, v3
	v_and_b32_e32 v13, v13, v3
	v_lshlrev_b32_e32 v3, 28, v0
	v_cmp_gt_i64_e32 vcc, 0, v[2:3]
	v_not_b32_e32 v3, v3
	v_ashrrev_i32_e32 v3, 31, v3
	v_and_b32_e32 v1, v1, v17
	v_xor_b32_e32 v17, vcc_hi, v3
	v_xor_b32_e32 v3, vcc_lo, v3
	v_and_b32_e32 v13, v13, v3
	v_lshlrev_b32_e32 v3, 27, v0
	v_cmp_gt_i64_e32 vcc, 0, v[2:3]
	v_not_b32_e32 v3, v3
	;; [unrolled: 8-line block ×4, first 2 shown]
	v_ashrrev_i32_e32 v3, 31, v3
	v_and_b32_e32 v1, v1, v17
	v_xor_b32_e32 v17, vcc_hi, v3
	v_xor_b32_e32 v3, vcc_lo, v3
	v_and_b32_e32 v13, v13, v3
	v_lshlrev_b32_e32 v3, 24, v0
	v_not_b32_e32 v0, v3
	v_cmp_gt_i64_e32 vcc, 0, v[2:3]
	v_ashrrev_i32_e32 v0, 31, v0
	v_xor_b32_e32 v2, vcc_hi, v0
	v_xor_b32_e32 v0, vcc_lo, v0
	; wave barrier
	ds_read_b32 v9, v15 offset:64
	v_and_b32_e32 v1, v1, v17
	v_and_b32_e32 v0, v13, v0
	;; [unrolled: 1-line block ×3, first 2 shown]
	v_mbcnt_lo_u32_b32 v2, v0, 0
	v_mbcnt_hi_u32_b32 v13, v1, v2
	v_cmp_eq_u32_e32 vcc, 0, v13
	v_cmp_ne_u64_e64 s[2:3], 0, v[0:1]
	s_and_b64 s[4:5], s[2:3], vcc
	; wave barrier
	s_and_saveexec_b64 s[2:3], s[4:5]
	s_cbranch_execz .LBB622_96
; %bb.95:
	v_bcnt_u32_b32 v0, v0, 0
	v_bcnt_u32_b32 v0, v1, v0
	s_waitcnt lgkmcnt(0)
	v_add_u32_e32 v0, v9, v0
	ds_write_b32 v15, v0 offset:64
.LBB622_96:
	s_or_b64 exec, exec, s[2:3]
	s_waitcnt vmcnt(5)
	v_xor_b32_e32 v22, 0xffffff80, v16
	v_lshrrev_b32_sdwa v0, s48, v22 dst_sel:DWORD dst_unused:UNUSED_PAD src0_sel:DWORD src1_sel:BYTE_0
	v_and_b32_e32 v2, s17, v0
	v_and_b32_e32 v1, 1, v2
	v_add_co_u32_e32 v3, vcc, -1, v1
	v_addc_co_u32_e64 v17, s[2:3], 0, -1, vcc
	v_cmp_ne_u32_e32 vcc, 0, v1
	v_mul_u32_u24_e32 v0, 17, v2
	v_xor_b32_e32 v1, vcc_hi, v17
	v_add_lshl_u32 v26, v25, v0, 2
	v_mov_b32_e32 v0, 0
	v_and_b32_e32 v17, exec_hi, v1
	v_lshlrev_b32_e32 v1, 30, v2
	v_xor_b32_e32 v3, vcc_lo, v3
	v_cmp_gt_i64_e32 vcc, 0, v[0:1]
	v_not_b32_e32 v1, v1
	v_ashrrev_i32_e32 v1, 31, v1
	v_and_b32_e32 v3, exec_lo, v3
	v_xor_b32_e32 v19, vcc_hi, v1
	v_xor_b32_e32 v1, vcc_lo, v1
	v_and_b32_e32 v3, v3, v1
	v_lshlrev_b32_e32 v1, 29, v2
	v_cmp_gt_i64_e32 vcc, 0, v[0:1]
	v_not_b32_e32 v1, v1
	v_ashrrev_i32_e32 v1, 31, v1
	v_and_b32_e32 v17, v17, v19
	v_xor_b32_e32 v19, vcc_hi, v1
	v_xor_b32_e32 v1, vcc_lo, v1
	v_and_b32_e32 v3, v3, v1
	v_lshlrev_b32_e32 v1, 28, v2
	v_cmp_gt_i64_e32 vcc, 0, v[0:1]
	v_not_b32_e32 v1, v1
	v_ashrrev_i32_e32 v1, 31, v1
	v_and_b32_e32 v17, v17, v19
	;; [unrolled: 8-line block ×5, first 2 shown]
	v_xor_b32_e32 v19, vcc_hi, v1
	v_xor_b32_e32 v1, vcc_lo, v1
	v_and_b32_e32 v17, v17, v19
	v_and_b32_e32 v19, v3, v1
	v_lshlrev_b32_e32 v1, 24, v2
	v_cmp_gt_i64_e32 vcc, 0, v[0:1]
	v_not_b32_e32 v1, v1
	v_ashrrev_i32_e32 v1, 31, v1
	v_xor_b32_e32 v2, vcc_hi, v1
	v_xor_b32_e32 v1, vcc_lo, v1
	; wave barrier
	ds_read_b32 v16, v26 offset:64
	v_and_b32_e32 v3, v17, v2
	v_and_b32_e32 v2, v19, v1
	v_mbcnt_lo_u32_b32 v1, v2, 0
	v_mbcnt_hi_u32_b32 v17, v3, v1
	v_cmp_eq_u32_e32 vcc, 0, v17
	v_cmp_ne_u64_e64 s[2:3], 0, v[2:3]
	s_and_b64 s[4:5], s[2:3], vcc
	; wave barrier
	s_and_saveexec_b64 s[2:3], s[4:5]
	s_cbranch_execz .LBB622_98
; %bb.97:
	v_bcnt_u32_b32 v1, v2, 0
	v_bcnt_u32_b32 v1, v3, v1
	s_waitcnt lgkmcnt(0)
	v_add_u32_e32 v1, v16, v1
	ds_write_b32 v26, v1 offset:64
.LBB622_98:
	s_or_b64 exec, exec, s[2:3]
	s_waitcnt vmcnt(4)
	v_xor_b32_e32 v28, 0xffffff80, v18
	v_lshrrev_b32_sdwa v1, s48, v28 dst_sel:DWORD dst_unused:UNUSED_PAD src0_sel:DWORD src1_sel:BYTE_0
	v_and_b32_e32 v2, s17, v1
	v_mul_u32_u24_e32 v1, 17, v2
	v_add_lshl_u32 v30, v25, v1, 2
	v_and_b32_e32 v1, 1, v2
	v_add_co_u32_e32 v3, vcc, -1, v1
	v_addc_co_u32_e64 v19, s[2:3], 0, -1, vcc
	v_cmp_ne_u32_e32 vcc, 0, v1
	v_xor_b32_e32 v1, vcc_hi, v19
	v_and_b32_e32 v19, exec_hi, v1
	v_lshlrev_b32_e32 v1, 30, v2
	v_xor_b32_e32 v3, vcc_lo, v3
	v_cmp_gt_i64_e32 vcc, 0, v[0:1]
	v_not_b32_e32 v1, v1
	v_ashrrev_i32_e32 v1, 31, v1
	v_and_b32_e32 v3, exec_lo, v3
	v_xor_b32_e32 v21, vcc_hi, v1
	v_xor_b32_e32 v1, vcc_lo, v1
	v_and_b32_e32 v3, v3, v1
	v_lshlrev_b32_e32 v1, 29, v2
	v_cmp_gt_i64_e32 vcc, 0, v[0:1]
	v_not_b32_e32 v1, v1
	v_ashrrev_i32_e32 v1, 31, v1
	v_and_b32_e32 v19, v19, v21
	v_xor_b32_e32 v21, vcc_hi, v1
	v_xor_b32_e32 v1, vcc_lo, v1
	v_and_b32_e32 v3, v3, v1
	v_lshlrev_b32_e32 v1, 28, v2
	v_cmp_gt_i64_e32 vcc, 0, v[0:1]
	v_not_b32_e32 v1, v1
	v_ashrrev_i32_e32 v1, 31, v1
	v_and_b32_e32 v19, v19, v21
	;; [unrolled: 8-line block ×5, first 2 shown]
	v_xor_b32_e32 v21, vcc_hi, v1
	v_xor_b32_e32 v1, vcc_lo, v1
	v_and_b32_e32 v3, v3, v1
	v_lshlrev_b32_e32 v1, 24, v2
	v_cmp_gt_i64_e32 vcc, 0, v[0:1]
	v_not_b32_e32 v0, v1
	v_ashrrev_i32_e32 v0, 31, v0
	v_xor_b32_e32 v1, vcc_hi, v0
	v_xor_b32_e32 v0, vcc_lo, v0
	; wave barrier
	ds_read_b32 v18, v30 offset:64
	v_and_b32_e32 v19, v19, v21
	v_and_b32_e32 v0, v3, v0
	;; [unrolled: 1-line block ×3, first 2 shown]
	v_mbcnt_lo_u32_b32 v2, v0, 0
	v_mbcnt_hi_u32_b32 v19, v1, v2
	v_cmp_eq_u32_e32 vcc, 0, v19
	v_cmp_ne_u64_e64 s[2:3], 0, v[0:1]
	s_and_b64 s[4:5], s[2:3], vcc
	; wave barrier
	s_and_saveexec_b64 s[2:3], s[4:5]
	s_cbranch_execz .LBB622_100
; %bb.99:
	v_bcnt_u32_b32 v0, v0, 0
	v_bcnt_u32_b32 v0, v1, v0
	s_waitcnt lgkmcnt(0)
	v_add_u32_e32 v0, v18, v0
	ds_write_b32 v30, v0 offset:64
.LBB622_100:
	s_or_b64 exec, exec, s[2:3]
	s_waitcnt vmcnt(3)
	v_xor_b32_e32 v32, 0xffffff80, v20
	v_lshrrev_b32_sdwa v0, s48, v32 dst_sel:DWORD dst_unused:UNUSED_PAD src0_sel:DWORD src1_sel:BYTE_0
	v_and_b32_e32 v2, s17, v0
	v_and_b32_e32 v1, 1, v2
	v_add_co_u32_e32 v3, vcc, -1, v1
	v_addc_co_u32_e64 v21, s[2:3], 0, -1, vcc
	v_cmp_ne_u32_e32 vcc, 0, v1
	v_mul_u32_u24_e32 v0, 17, v2
	v_xor_b32_e32 v1, vcc_hi, v21
	v_add_lshl_u32 v33, v25, v0, 2
	v_mov_b32_e32 v0, 0
	v_and_b32_e32 v21, exec_hi, v1
	v_lshlrev_b32_e32 v1, 30, v2
	v_xor_b32_e32 v3, vcc_lo, v3
	v_cmp_gt_i64_e32 vcc, 0, v[0:1]
	v_not_b32_e32 v1, v1
	v_ashrrev_i32_e32 v1, 31, v1
	v_and_b32_e32 v3, exec_lo, v3
	v_xor_b32_e32 v27, vcc_hi, v1
	v_xor_b32_e32 v1, vcc_lo, v1
	v_and_b32_e32 v3, v3, v1
	v_lshlrev_b32_e32 v1, 29, v2
	v_cmp_gt_i64_e32 vcc, 0, v[0:1]
	v_not_b32_e32 v1, v1
	v_ashrrev_i32_e32 v1, 31, v1
	v_and_b32_e32 v21, v21, v27
	v_xor_b32_e32 v27, vcc_hi, v1
	v_xor_b32_e32 v1, vcc_lo, v1
	v_and_b32_e32 v3, v3, v1
	v_lshlrev_b32_e32 v1, 28, v2
	v_cmp_gt_i64_e32 vcc, 0, v[0:1]
	v_not_b32_e32 v1, v1
	v_ashrrev_i32_e32 v1, 31, v1
	v_and_b32_e32 v21, v21, v27
	;; [unrolled: 8-line block ×5, first 2 shown]
	v_xor_b32_e32 v27, vcc_hi, v1
	v_xor_b32_e32 v1, vcc_lo, v1
	v_and_b32_e32 v21, v21, v27
	v_and_b32_e32 v27, v3, v1
	v_lshlrev_b32_e32 v1, 24, v2
	v_cmp_gt_i64_e32 vcc, 0, v[0:1]
	v_not_b32_e32 v1, v1
	v_ashrrev_i32_e32 v1, 31, v1
	v_xor_b32_e32 v2, vcc_hi, v1
	v_xor_b32_e32 v1, vcc_lo, v1
	; wave barrier
	ds_read_b32 v20, v33 offset:64
	v_and_b32_e32 v3, v21, v2
	v_and_b32_e32 v2, v27, v1
	v_mbcnt_lo_u32_b32 v1, v2, 0
	v_mbcnt_hi_u32_b32 v21, v3, v1
	v_cmp_eq_u32_e32 vcc, 0, v21
	v_cmp_ne_u64_e64 s[2:3], 0, v[2:3]
	s_and_b64 s[4:5], s[2:3], vcc
	; wave barrier
	s_and_saveexec_b64 s[2:3], s[4:5]
	s_cbranch_execz .LBB622_102
; %bb.101:
	v_bcnt_u32_b32 v1, v2, 0
	v_bcnt_u32_b32 v1, v3, v1
	s_waitcnt lgkmcnt(0)
	v_add_u32_e32 v1, v20, v1
	ds_write_b32 v33, v1 offset:64
.LBB622_102:
	s_or_b64 exec, exec, s[2:3]
	s_waitcnt vmcnt(2)
	v_xor_b32_e32 v34, 0xffffff80, v23
	v_lshrrev_b32_sdwa v1, s48, v34 dst_sel:DWORD dst_unused:UNUSED_PAD src0_sel:DWORD src1_sel:BYTE_0
	v_and_b32_e32 v2, s17, v1
	v_mul_u32_u24_e32 v1, 17, v2
	v_add_lshl_u32 v35, v25, v1, 2
	v_and_b32_e32 v1, 1, v2
	v_add_co_u32_e32 v3, vcc, -1, v1
	v_addc_co_u32_e64 v27, s[2:3], 0, -1, vcc
	v_cmp_ne_u32_e32 vcc, 0, v1
	v_xor_b32_e32 v1, vcc_hi, v27
	v_and_b32_e32 v27, exec_hi, v1
	v_lshlrev_b32_e32 v1, 30, v2
	v_xor_b32_e32 v3, vcc_lo, v3
	v_cmp_gt_i64_e32 vcc, 0, v[0:1]
	v_not_b32_e32 v1, v1
	v_ashrrev_i32_e32 v1, 31, v1
	v_and_b32_e32 v3, exec_lo, v3
	v_xor_b32_e32 v31, vcc_hi, v1
	v_xor_b32_e32 v1, vcc_lo, v1
	v_and_b32_e32 v3, v3, v1
	v_lshlrev_b32_e32 v1, 29, v2
	v_cmp_gt_i64_e32 vcc, 0, v[0:1]
	v_not_b32_e32 v1, v1
	v_ashrrev_i32_e32 v1, 31, v1
	v_and_b32_e32 v27, v27, v31
	v_xor_b32_e32 v31, vcc_hi, v1
	v_xor_b32_e32 v1, vcc_lo, v1
	v_and_b32_e32 v3, v3, v1
	v_lshlrev_b32_e32 v1, 28, v2
	v_cmp_gt_i64_e32 vcc, 0, v[0:1]
	v_not_b32_e32 v1, v1
	v_ashrrev_i32_e32 v1, 31, v1
	v_and_b32_e32 v27, v27, v31
	;; [unrolled: 8-line block ×5, first 2 shown]
	v_xor_b32_e32 v31, vcc_hi, v1
	v_xor_b32_e32 v1, vcc_lo, v1
	v_and_b32_e32 v3, v3, v1
	v_lshlrev_b32_e32 v1, 24, v2
	v_cmp_gt_i64_e32 vcc, 0, v[0:1]
	v_not_b32_e32 v0, v1
	v_ashrrev_i32_e32 v0, 31, v0
	v_xor_b32_e32 v1, vcc_hi, v0
	v_xor_b32_e32 v0, vcc_lo, v0
	; wave barrier
	ds_read_b32 v23, v35 offset:64
	v_and_b32_e32 v27, v27, v31
	v_and_b32_e32 v0, v3, v0
	;; [unrolled: 1-line block ×3, first 2 shown]
	v_mbcnt_lo_u32_b32 v2, v0, 0
	v_mbcnt_hi_u32_b32 v27, v1, v2
	v_cmp_eq_u32_e32 vcc, 0, v27
	v_cmp_ne_u64_e64 s[2:3], 0, v[0:1]
	s_and_b64 s[4:5], s[2:3], vcc
	; wave barrier
	s_and_saveexec_b64 s[2:3], s[4:5]
	s_cbranch_execz .LBB622_104
; %bb.103:
	v_bcnt_u32_b32 v0, v0, 0
	v_bcnt_u32_b32 v0, v1, v0
	s_waitcnt lgkmcnt(0)
	v_add_u32_e32 v0, v23, v0
	ds_write_b32 v35, v0 offset:64
.LBB622_104:
	s_or_b64 exec, exec, s[2:3]
	s_waitcnt vmcnt(1)
	v_xor_b32_e32 v36, 0xffffff80, v29
	v_lshrrev_b32_sdwa v0, s48, v36 dst_sel:DWORD dst_unused:UNUSED_PAD src0_sel:DWORD src1_sel:BYTE_0
	v_and_b32_e32 v2, s17, v0
	v_and_b32_e32 v1, 1, v2
	v_add_co_u32_e32 v3, vcc, -1, v1
	v_addc_co_u32_e64 v31, s[2:3], 0, -1, vcc
	v_cmp_ne_u32_e32 vcc, 0, v1
	v_mul_u32_u24_e32 v0, 17, v2
	v_xor_b32_e32 v1, vcc_hi, v31
	v_add_lshl_u32 v41, v25, v0, 2
	v_mov_b32_e32 v0, 0
	v_and_b32_e32 v31, exec_hi, v1
	v_lshlrev_b32_e32 v1, 30, v2
	v_xor_b32_e32 v3, vcc_lo, v3
	v_cmp_gt_i64_e32 vcc, 0, v[0:1]
	v_not_b32_e32 v1, v1
	v_ashrrev_i32_e32 v1, 31, v1
	v_and_b32_e32 v3, exec_lo, v3
	v_xor_b32_e32 v37, vcc_hi, v1
	v_xor_b32_e32 v1, vcc_lo, v1
	v_and_b32_e32 v3, v3, v1
	v_lshlrev_b32_e32 v1, 29, v2
	v_cmp_gt_i64_e32 vcc, 0, v[0:1]
	v_not_b32_e32 v1, v1
	v_ashrrev_i32_e32 v1, 31, v1
	v_and_b32_e32 v31, v31, v37
	v_xor_b32_e32 v37, vcc_hi, v1
	v_xor_b32_e32 v1, vcc_lo, v1
	v_and_b32_e32 v3, v3, v1
	v_lshlrev_b32_e32 v1, 28, v2
	v_cmp_gt_i64_e32 vcc, 0, v[0:1]
	v_not_b32_e32 v1, v1
	v_ashrrev_i32_e32 v1, 31, v1
	v_and_b32_e32 v31, v31, v37
	;; [unrolled: 8-line block ×5, first 2 shown]
	v_xor_b32_e32 v37, vcc_hi, v1
	v_xor_b32_e32 v1, vcc_lo, v1
	v_and_b32_e32 v31, v31, v37
	v_and_b32_e32 v37, v3, v1
	v_lshlrev_b32_e32 v1, 24, v2
	v_cmp_gt_i64_e32 vcc, 0, v[0:1]
	v_not_b32_e32 v1, v1
	v_ashrrev_i32_e32 v1, 31, v1
	v_xor_b32_e32 v2, vcc_hi, v1
	v_xor_b32_e32 v1, vcc_lo, v1
	; wave barrier
	ds_read_b32 v29, v41 offset:64
	v_and_b32_e32 v3, v31, v2
	v_and_b32_e32 v2, v37, v1
	v_mbcnt_lo_u32_b32 v1, v2, 0
	v_mbcnt_hi_u32_b32 v31, v3, v1
	v_cmp_eq_u32_e32 vcc, 0, v31
	v_cmp_ne_u64_e64 s[2:3], 0, v[2:3]
	s_and_b64 s[4:5], s[2:3], vcc
	; wave barrier
	s_and_saveexec_b64 s[2:3], s[4:5]
	s_cbranch_execz .LBB622_106
; %bb.105:
	v_bcnt_u32_b32 v1, v2, 0
	v_bcnt_u32_b32 v1, v3, v1
	s_waitcnt lgkmcnt(0)
	v_add_u32_e32 v1, v29, v1
	ds_write_b32 v41, v1 offset:64
.LBB622_106:
	s_or_b64 exec, exec, s[2:3]
	s_waitcnt vmcnt(0)
	v_xor_b32_e32 v43, 0xffffff80, v24
	v_lshrrev_b32_sdwa v1, s48, v43 dst_sel:DWORD dst_unused:UNUSED_PAD src0_sel:DWORD src1_sel:BYTE_0
	v_and_b32_e32 v2, s17, v1
	v_mul_u32_u24_e32 v1, 17, v2
	v_add_lshl_u32 v42, v25, v1, 2
	v_and_b32_e32 v1, 1, v2
	v_add_co_u32_e32 v3, vcc, -1, v1
	v_addc_co_u32_e64 v25, s[2:3], 0, -1, vcc
	v_cmp_ne_u32_e32 vcc, 0, v1
	v_xor_b32_e32 v1, vcc_hi, v25
	v_and_b32_e32 v25, exec_hi, v1
	v_lshlrev_b32_e32 v1, 30, v2
	v_xor_b32_e32 v3, vcc_lo, v3
	v_cmp_gt_i64_e32 vcc, 0, v[0:1]
	v_not_b32_e32 v1, v1
	v_ashrrev_i32_e32 v1, 31, v1
	v_and_b32_e32 v3, exec_lo, v3
	v_xor_b32_e32 v38, vcc_hi, v1
	v_xor_b32_e32 v1, vcc_lo, v1
	v_and_b32_e32 v3, v3, v1
	v_lshlrev_b32_e32 v1, 29, v2
	v_cmp_gt_i64_e32 vcc, 0, v[0:1]
	v_not_b32_e32 v1, v1
	v_ashrrev_i32_e32 v1, 31, v1
	v_and_b32_e32 v25, v25, v38
	v_xor_b32_e32 v38, vcc_hi, v1
	v_xor_b32_e32 v1, vcc_lo, v1
	v_and_b32_e32 v3, v3, v1
	v_lshlrev_b32_e32 v1, 28, v2
	v_cmp_gt_i64_e32 vcc, 0, v[0:1]
	v_not_b32_e32 v1, v1
	v_ashrrev_i32_e32 v1, 31, v1
	v_and_b32_e32 v25, v25, v38
	;; [unrolled: 8-line block ×5, first 2 shown]
	v_xor_b32_e32 v38, vcc_hi, v1
	v_xor_b32_e32 v1, vcc_lo, v1
	v_and_b32_e32 v3, v3, v1
	v_lshlrev_b32_e32 v1, 24, v2
	v_cmp_gt_i64_e32 vcc, 0, v[0:1]
	v_not_b32_e32 v0, v1
	v_ashrrev_i32_e32 v0, 31, v0
	v_xor_b32_e32 v1, vcc_hi, v0
	v_xor_b32_e32 v0, vcc_lo, v0
	; wave barrier
	ds_read_b32 v24, v42 offset:64
	v_and_b32_e32 v25, v25, v38
	v_and_b32_e32 v0, v3, v0
	;; [unrolled: 1-line block ×3, first 2 shown]
	v_mbcnt_lo_u32_b32 v2, v0, 0
	v_mbcnt_hi_u32_b32 v25, v1, v2
	v_cmp_eq_u32_e32 vcc, 0, v25
	v_cmp_ne_u64_e64 s[2:3], 0, v[0:1]
	v_add_u32_e32 v37, 64, v6
	s_and_b64 s[4:5], s[2:3], vcc
	; wave barrier
	s_and_saveexec_b64 s[2:3], s[4:5]
	s_cbranch_execz .LBB622_108
; %bb.107:
	v_bcnt_u32_b32 v0, v0, 0
	v_bcnt_u32_b32 v0, v1, v0
	s_waitcnt lgkmcnt(0)
	v_add_u32_e32 v0, v24, v0
	ds_write_b32 v42, v0 offset:64
.LBB622_108:
	s_or_b64 exec, exec, s[2:3]
	; wave barrier
	s_waitcnt lgkmcnt(0)
	s_barrier
	ds_read2_b32 v[2:3], v6 offset0:16 offset1:17
	ds_read2_b32 v[0:1], v37 offset0:2 offset1:3
	ds_read_b32 v38, v37 offset:16
	v_cmp_lt_u32_e64 s[8:9], 31, v5
	s_waitcnt lgkmcnt(1)
	v_add3_u32 v39, v3, v2, v0
	s_waitcnt lgkmcnt(0)
	v_add3_u32 v38, v39, v1, v38
	v_and_b32_e32 v39, 15, v5
	v_cmp_eq_u32_e32 vcc, 0, v39
	v_mov_b32_dpp v40, v38 row_shr:1 row_mask:0xf bank_mask:0xf
	v_cndmask_b32_e64 v40, v40, 0, vcc
	v_add_u32_e32 v38, v40, v38
	v_cmp_lt_u32_e64 s[2:3], 1, v39
	v_cmp_lt_u32_e64 s[4:5], 3, v39
	v_mov_b32_dpp v40, v38 row_shr:2 row_mask:0xf bank_mask:0xf
	v_cndmask_b32_e64 v40, 0, v40, s[2:3]
	v_add_u32_e32 v38, v38, v40
	v_cmp_lt_u32_e64 s[6:7], 7, v39
	s_nop 0
	v_mov_b32_dpp v40, v38 row_shr:4 row_mask:0xf bank_mask:0xf
	v_cndmask_b32_e64 v40, 0, v40, s[4:5]
	v_add_u32_e32 v38, v38, v40
	s_nop 1
	v_mov_b32_dpp v40, v38 row_shr:8 row_mask:0xf bank_mask:0xf
	v_cndmask_b32_e64 v39, 0, v40, s[6:7]
	v_add_u32_e32 v38, v38, v39
	v_bfe_i32 v40, v5, 4, 1
	s_nop 0
	v_mov_b32_dpp v39, v38 row_bcast:15 row_mask:0xf bank_mask:0xf
	v_and_b32_e32 v39, v40, v39
	v_add_u32_e32 v38, v38, v39
	v_and_b32_e32 v40, 63, v10
	s_nop 0
	v_mov_b32_dpp v39, v38 row_bcast:31 row_mask:0xf bank_mask:0xf
	v_cndmask_b32_e64 v39, 0, v39, s[8:9]
	v_add_u32_e32 v38, v38, v39
	v_lshrrev_b32_e32 v39, 6, v10
	v_cmp_eq_u32_e64 s[8:9], 63, v40
	s_and_saveexec_b64 s[14:15], s[8:9]
	s_cbranch_execz .LBB622_110
; %bb.109:
	v_lshlrev_b32_e32 v40, 2, v39
	ds_write_b32 v40, v38
.LBB622_110:
	s_or_b64 exec, exec, s[14:15]
	v_cmp_gt_u32_e64 s[8:9], 16, v10
	v_lshlrev_b32_e32 v44, 2, v10
	s_waitcnt lgkmcnt(0)
	s_barrier
	s_and_saveexec_b64 s[14:15], s[8:9]
	s_cbranch_execz .LBB622_112
; %bb.111:
	ds_read_b32 v40, v44
	s_waitcnt lgkmcnt(0)
	s_nop 0
	v_mov_b32_dpp v45, v40 row_shr:1 row_mask:0xf bank_mask:0xf
	v_cndmask_b32_e64 v45, v45, 0, vcc
	v_add_u32_e32 v40, v45, v40
	s_nop 1
	v_mov_b32_dpp v45, v40 row_shr:2 row_mask:0xf bank_mask:0xf
	v_cndmask_b32_e64 v45, 0, v45, s[2:3]
	v_add_u32_e32 v40, v40, v45
	s_nop 1
	v_mov_b32_dpp v45, v40 row_shr:4 row_mask:0xf bank_mask:0xf
	v_cndmask_b32_e64 v45, 0, v45, s[4:5]
	;; [unrolled: 4-line block ×3, first 2 shown]
	v_add_u32_e32 v40, v40, v45
	ds_write_b32 v44, v40
.LBB622_112:
	s_or_b64 exec, exec, s[14:15]
	v_cmp_lt_u32_e32 vcc, 63, v10
	v_mov_b32_e32 v40, 0
	s_waitcnt lgkmcnt(0)
	s_barrier
	s_and_saveexec_b64 s[2:3], vcc
	s_cbranch_execz .LBB622_114
; %bb.113:
	v_lshl_add_u32 v39, v39, 2, -4
	ds_read_b32 v40, v39
.LBB622_114:
	s_or_b64 exec, exec, s[2:3]
	v_add_u32_e32 v39, -1, v5
	v_and_b32_e32 v45, 64, v5
	v_cmp_lt_i32_e32 vcc, v39, v45
	v_cndmask_b32_e32 v39, v39, v5, vcc
	s_waitcnt lgkmcnt(0)
	v_add_u32_e32 v38, v40, v38
	v_lshlrev_b32_e32 v39, 2, v39
	ds_bpermute_b32 v38, v39, v38
	v_cmp_eq_u32_e32 vcc, 0, v5
	s_movk_i32 s2, 0xff
	s_movk_i32 s3, 0x100
	s_waitcnt lgkmcnt(0)
	v_cndmask_b32_e32 v5, v38, v40, vcc
	v_cndmask_b32_e64 v5, v5, 0, s[0:1]
	v_add_u32_e32 v2, v5, v2
	v_add_u32_e32 v3, v2, v3
	;; [unrolled: 1-line block ×4, first 2 shown]
	ds_write2_b32 v6, v5, v2 offset0:16 offset1:17
	ds_write2_b32 v37, v3, v0 offset0:2 offset1:3
	ds_write_b32 v37, v1 offset:16
	s_waitcnt lgkmcnt(0)
	s_barrier
	ds_read_b32 v0, v7 offset:64
	ds_read_b32 v37, v15 offset:64
	;; [unrolled: 1-line block ×8, first 2 shown]
	v_cmp_lt_u32_e64 s[0:1], s2, v10
	v_cmp_gt_u32_e32 vcc, s3, v10
                                        ; implicit-def: $vgpr30
                                        ; implicit-def: $vgpr33
	s_and_saveexec_b64 s[4:5], vcc
	s_cbranch_execz .LBB622_118
; %bb.115:
	v_mul_u32_u24_e32 v1, 17, v10
	v_lshlrev_b32_e32 v2, 2, v1
	ds_read_b32 v30, v2 offset:64
	v_cmp_ne_u32_e64 s[2:3], s2, v10
	v_mov_b32_e32 v1, 0x2000
	s_and_saveexec_b64 s[6:7], s[2:3]
	s_cbranch_execz .LBB622_117
; %bb.116:
	ds_read_b32 v1, v2 offset:132
.LBB622_117:
	s_or_b64 exec, exec, s[6:7]
	s_waitcnt lgkmcnt(0)
	v_sub_u32_e32 v33, v1, v30
.LBB622_118:
	s_or_b64 exec, exec, s[4:5]
	s_waitcnt lgkmcnt(7)
	v_add_u32_e32 v35, v0, v11
	s_waitcnt lgkmcnt(6)
	v_add3_u32 v0, v13, v9, v37
	s_waitcnt lgkmcnt(5)
	v_add3_u32 v1, v17, v16, v26
	s_waitcnt lgkmcnt(4)
	v_add3_u32 v2, v19, v18, v38
	s_waitcnt lgkmcnt(3)
	v_add3_u32 v3, v21, v20, v39
	s_waitcnt lgkmcnt(2)
	v_add3_u32 v5, v27, v23, v40
	s_waitcnt lgkmcnt(1)
	v_add3_u32 v6, v31, v29, v41
	s_waitcnt lgkmcnt(0)
	v_add3_u32 v7, v25, v24, v42
	s_barrier
	ds_write_b8 v35, v4 offset:1024
	ds_write_b8 v0, v14 offset:1024
	;; [unrolled: 1-line block ×8, first 2 shown]
                                        ; implicit-def: $vgpr14_vgpr15
	s_and_saveexec_b64 s[2:3], s[0:1]
	s_xor_b64 s[0:1], exec, s[2:3]
; %bb.119:
	v_mov_b32_e32 v11, 0
	v_pk_mov_b32 v[14:15], v[10:11], v[10:11] op_sel:[0,1]
                                        ; implicit-def: $vgpr44
; %bb.120:
	s_andn2_saveexec_b64 s[2:3], s[0:1]
	s_cbranch_execz .LBB622_130
; %bb.121:
	v_lshl_or_b32 v0, s33, 8, v10
	v_mov_b32_e32 v1, 0
	v_lshlrev_b64 v[2:3], 2, v[0:1]
	v_mov_b32_e32 v6, s31
	v_add_co_u32_e64 v2, s[0:1], s30, v2
	v_addc_co_u32_e64 v3, s[0:1], v6, v3, s[0:1]
	v_or_b32_e32 v0, 2.0, v33
	s_mov_b64 s[4:5], 0
	s_brev_b32 s14, 1
	s_mov_b32 s15, s33
	v_mov_b32_e32 v7, 0
	global_store_dword v[2:3], v0, off
                                        ; implicit-def: $sgpr0_sgpr1
	s_branch .LBB622_124
.LBB622_122:                            ;   in Loop: Header=BB622_124 Depth=1
	s_or_b64 exec, exec, s[8:9]
.LBB622_123:                            ;   in Loop: Header=BB622_124 Depth=1
	s_or_b64 exec, exec, s[6:7]
	v_and_b32_e32 v4, 0x3fffffff, v11
	v_add_u32_e32 v7, v4, v7
	v_cmp_eq_u32_e64 s[0:1], s14, v0
	s_and_b64 s[6:7], exec, s[0:1]
	s_or_b64 s[4:5], s[6:7], s[4:5]
	s_andn2_b64 exec, exec, s[4:5]
	s_cbranch_execz .LBB622_129
.LBB622_124:                            ; =>This Loop Header: Depth=1
                                        ;     Child Loop BB622_127 Depth 2
	s_or_b64 s[0:1], s[0:1], exec
	s_cmp_eq_u32 s15, 0
	s_cbranch_scc1 .LBB622_128
; %bb.125:                              ;   in Loop: Header=BB622_124 Depth=1
	s_add_i32 s15, s15, -1
	v_lshl_or_b32 v0, s15, 8, v10
	v_lshlrev_b64 v[4:5], 2, v[0:1]
	v_add_co_u32_e64 v4, s[0:1], s30, v4
	v_addc_co_u32_e64 v5, s[0:1], v6, v5, s[0:1]
	global_load_dword v11, v[4:5], off glc
	s_waitcnt vmcnt(0)
	v_and_b32_e32 v0, -2.0, v11
	v_cmp_eq_u32_e64 s[0:1], 0, v0
	s_and_saveexec_b64 s[6:7], s[0:1]
	s_cbranch_execz .LBB622_123
; %bb.126:                              ;   in Loop: Header=BB622_124 Depth=1
	s_mov_b64 s[8:9], 0
.LBB622_127:                            ;   Parent Loop BB622_124 Depth=1
                                        ; =>  This Inner Loop Header: Depth=2
	global_load_dword v11, v[4:5], off glc
	s_waitcnt vmcnt(0)
	v_and_b32_e32 v0, -2.0, v11
	v_cmp_ne_u32_e64 s[0:1], 0, v0
	s_or_b64 s[8:9], s[0:1], s[8:9]
	s_andn2_b64 exec, exec, s[8:9]
	s_cbranch_execnz .LBB622_127
	s_branch .LBB622_122
.LBB622_128:                            ;   in Loop: Header=BB622_124 Depth=1
                                        ; implicit-def: $sgpr15
	s_and_b64 s[6:7], exec, s[0:1]
	s_or_b64 s[4:5], s[6:7], s[4:5]
	s_andn2_b64 exec, exec, s[4:5]
	s_cbranch_execnz .LBB622_124
.LBB622_129:
	s_or_b64 exec, exec, s[4:5]
	v_add_u32_e32 v0, v7, v33
	v_or_b32_e32 v0, 0x80000000, v0
	global_store_dword v[2:3], v0, off
	global_load_dword v0, v44, s[44:45]
	v_mov_b32_e32 v11, 0
	v_sub_u32_e32 v1, v7, v30
	v_pk_mov_b32 v[14:15], v[10:11], v[10:11] op_sel:[0,1]
	s_waitcnt vmcnt(0)
	v_add_u32_e32 v0, v1, v0
	ds_write_b32 v44, v0
.LBB622_130:
	s_or_b64 exec, exec, s[2:3]
	s_waitcnt lgkmcnt(0)
	s_barrier
	ds_read_u8 v1, v14 offset:1024
	ds_read_u8 v11, v10 offset:2048
	;; [unrolled: 1-line block ×8, first 2 shown]
	s_waitcnt lgkmcnt(7)
	v_lshrrev_b32_sdwa v0, s48, v1 dst_sel:DWORD dst_unused:UNUSED_PAD src0_sel:DWORD src1_sel:BYTE_0
	v_and_b32_e32 v0, s17, v0
	v_xor_b32_e32 v44, 0x80, v1
	s_waitcnt lgkmcnt(6)
	v_lshrrev_b32_sdwa v1, s48, v11 dst_sel:DWORD dst_unused:UNUSED_PAD src0_sel:DWORD src1_sel:BYTE_0
	v_lshlrev_b32_e32 v2, 2, v0
	v_and_b32_e32 v1, s17, v1
	s_waitcnt lgkmcnt(5)
	v_lshrrev_b32_sdwa v4, s48, v22 dst_sel:DWORD dst_unused:UNUSED_PAD src0_sel:DWORD src1_sel:BYTE_0
	v_lshlrev_b32_e32 v3, 2, v1
	ds_read_b32 v45, v2
	ds_read_b32 v46, v3
	v_and_b32_e32 v2, s17, v4
	v_lshlrev_b32_e32 v3, 2, v2
	ds_read_b32 v47, v3
	s_waitcnt lgkmcnt(7)
	v_lshrrev_b32_sdwa v3, s48, v28 dst_sel:DWORD dst_unused:UNUSED_PAD src0_sel:DWORD src1_sel:BYTE_0
	v_and_b32_e32 v3, s17, v3
	v_lshlrev_b32_e32 v4, 2, v3
	ds_read_b32 v48, v4
	s_waitcnt lgkmcnt(7)
	v_lshrrev_b32_sdwa v4, s48, v32 dst_sel:DWORD dst_unused:UNUSED_PAD src0_sel:DWORD src1_sel:BYTE_0
	;; [unrolled: 5-line block ×5, first 2 shown]
	v_and_b32_e32 v7, s17, v7
	s_waitcnt lgkmcnt(6)
	v_add_u32_e32 v45, v45, v10
	s_movk_i32 s2, 0x400
	v_lshlrev_b32_e32 v52, 2, v7
	global_store_byte v45, v44, s[38:39]
	v_xor_b32_e32 v11, 0x80, v11
	s_waitcnt lgkmcnt(5)
	v_add3_u32 v44, v46, v10, s2
	s_movk_i32 s0, 0x800
	ds_read_b32 v52, v52
	global_store_byte v44, v11, s[38:39]
	v_xor_b32_e32 v11, 0x80, v22
	s_waitcnt lgkmcnt(5)
	v_add3_u32 v22, v47, v10, s0
	s_movk_i32 s0, 0xc00
	global_store_byte v22, v11, s[38:39]
	v_xor_b32_e32 v11, 0x80, v28
	s_waitcnt lgkmcnt(4)
	v_add3_u32 v22, v48, v10, s0
	s_movk_i32 s0, 0x1000
	;; [unrolled: 5-line block ×5, first 2 shown]
	global_store_byte v22, v11, s[38:39]
	s_waitcnt lgkmcnt(0)
	v_add3_u32 v22, v52, v10, s0
	s_lshl_b64 s[0:1], s[12:13], 3
	s_add_u32 s0, s40, s0
	v_add3_u32 v37, v13, v37, v9
	v_lshlrev_b32_e32 v9, 3, v12
	s_addc_u32 s1, s41, s1
	v_mov_b32_e32 v12, s1
	v_add_co_u32_e64 v9, s[0:1], s0, v9
	v_lshlrev_b32_e32 v8, 3, v8
	v_addc_co_u32_e64 v12, s[0:1], 0, v12, s[0:1]
	v_xor_b32_e32 v11, 0x80, v43
	v_add_co_u32_e64 v28, s[0:1], v9, v8
	global_store_byte v22, v11, s[38:39]
	v_add3_u32 v31, v31, v41, v29
	v_addc_co_u32_e64 v29, s[0:1], 0, v12, s[0:1]
	v_or_b32_e32 v8, 0x400, v10
	v_mul_u32_u24_e32 v9, 7, v10
	v_add3_u32 v11, v25, v42, v24
	v_add3_u32 v32, v27, v40, v23
	;; [unrolled: 1-line block ×5, first 2 shown]
	v_add_u32_e32 v39, v8, v9
	global_load_dwordx2 v[8:9], v[28:29], off
	global_load_dwordx2 v[12:13], v[28:29], off offset:512
	global_load_dwordx2 v[16:17], v[28:29], off offset:1024
	;; [unrolled: 1-line block ×7, first 2 shown]
	s_mov_b32 s3, 0
	s_mov_b32 s4, 1
	v_lshlrev_b32_e32 v40, 3, v14
	v_mov_b32_e32 v29, 0
	s_barrier
	s_waitcnt vmcnt(0)
.LBB622_131:                            ; =>This Inner Loop Header: Depth=1
	v_add_u32_e32 v28, s3, v35
	v_min_u32_e32 v28, 0x800, v28
	v_lshlrev_b32_e32 v28, 3, v28
	ds_write_b64 v28, v[8:9] offset:1024
	v_add_u32_e32 v28, s3, v37
	v_min_u32_e32 v28, 0x800, v28
	v_lshlrev_b32_e32 v28, 3, v28
	ds_write_b64 v28, v[12:13] offset:1024
	;; [unrolled: 4-line block ×7, first 2 shown]
	v_add_u32_e32 v28, s3, v11
	s_add_i32 s5, s4, -1
	v_min_u32_e32 v28, 0x800, v28
	s_cmp_eq_u32 s5, 1
	v_lshlrev_b32_e32 v28, 3, v28
	s_cselect_b64 s[0:1], -1, 0
	s_cmp_eq_u32 s5, 2
	ds_write_b64 v28, v[26:27] offset:1024
	v_cndmask_b32_e64 v28, v0, v1, s[0:1]
	s_cselect_b64 s[0:1], -1, 0
	s_cmp_eq_u32 s5, 3
	v_cndmask_b32_e64 v28, v28, v2, s[0:1]
	s_cselect_b64 s[0:1], -1, 0
	s_cmp_eq_u32 s5, 4
	;; [unrolled: 3-line block ×10, first 2 shown]
	v_lshlrev_b32_e32 v28, 2, v28
	v_cndmask_b32_e64 v41, v41, v4, s[0:1]
	s_cselect_b64 s[0:1], -1, 0
	s_cmp_eq_u32 s4, 6
	s_waitcnt lgkmcnt(0)
	s_barrier
	ds_read_b32 v28, v28
	v_cndmask_b32_e64 v41, v41, v5, s[0:1]
	s_cselect_b64 s[0:1], -1, 0
	s_cmp_eq_u32 s4, 7
	v_cndmask_b32_e64 v41, v41, v6, s[0:1]
	s_cselect_b64 s[0:1], -1, 0
	v_cndmask_b32_e64 v41, v41, v7, s[0:1]
	v_lshlrev_b32_e32 v41, 2, v41
	ds_read_b32 v41, v41
	ds_read_b64 v[42:43], v39 offset:8192
	ds_read_b64 v[46:47], v40 offset:1024
	s_waitcnt lgkmcnt(3)
	v_add_u32_e32 v28, v10, v28
	v_lshlrev_b64 v[44:45], 3, v[28:29]
	v_mov_b32_e32 v48, s43
	v_add_co_u32_e64 v44, s[0:1], s42, v44
	v_addc_co_u32_e64 v45, s[0:1], v48, v45, s[0:1]
	s_waitcnt lgkmcnt(2)
	v_add3_u32 v28, v10, v41, s2
	s_waitcnt lgkmcnt(0)
	global_store_dwordx2 v[44:45], v[46:47], off
	v_lshlrev_b64 v[44:45], 3, v[28:29]
	v_add_co_u32_e64 v44, s[0:1], s42, v44
	s_addk_i32 s3, 0xf800
	s_add_i32 s4, s4, 2
	v_addc_co_u32_e64 v45, s[0:1], v48, v45, s[0:1]
	s_cmpk_lg_i32 s3, 0xe000
	v_add_u32_e32 v10, 0x800, v10
	global_store_dwordx2 v[44:45], v[42:43], off
	s_barrier
	s_cbranch_scc1 .LBB622_131
; %bb.132:
	s_add_i32 s16, s16, -1
	s_cmp_eq_u32 s16, s33
	s_cselect_b64 s[0:1], -1, 0
	s_and_b64 s[2:3], vcc, s[0:1]
                                        ; implicit-def: $vgpr2
	s_and_saveexec_b64 s[0:1], s[2:3]
; %bb.133:
	v_add_u32_e32 v2, v30, v33
	s_or_b64 s[10:11], s[10:11], exec
; %bb.134:
	s_or_b64 exec, exec, s[0:1]
	v_mov_b32_e32 v10, v14
.LBB622_135:
	s_and_saveexec_b64 s[0:1], s[10:11]
	s_cbranch_execnz .LBB622_137
; %bb.136:
	s_endpgm
.LBB622_137:
	v_lshlrev_b32_e32 v3, 2, v10
	ds_read_b32 v3, v3
	v_lshlrev_b64 v[0:1], 2, v[14:15]
	v_mov_b32_e32 v4, s47
	v_add_co_u32_e32 v0, vcc, s46, v0
	v_addc_co_u32_e32 v1, vcc, v4, v1, vcc
	s_waitcnt lgkmcnt(0)
	v_add_u32_e32 v2, v3, v2
	global_store_dword v[0:1], v2, off
	s_endpgm
.LBB622_138:
	global_load_dwordx2 v[12:13], v[28:29], off
	s_or_b64 exec, exec, s[20:21]
                                        ; implicit-def: $vgpr14_vgpr15
	s_and_saveexec_b64 s[20:21], s[2:3]
	s_cbranch_execz .LBB622_75
.LBB622_139:
	global_load_dwordx2 v[14:15], v[28:29], off offset:512
	s_or_b64 exec, exec, s[20:21]
                                        ; implicit-def: $vgpr16_vgpr17
	s_and_saveexec_b64 s[2:3], s[26:27]
	s_cbranch_execz .LBB622_76
.LBB622_140:
	global_load_dwordx2 v[16:17], v[28:29], off offset:1024
	s_or_b64 exec, exec, s[2:3]
                                        ; implicit-def: $vgpr18_vgpr19
	s_and_saveexec_b64 s[2:3], s[8:9]
	s_cbranch_execz .LBB622_77
.LBB622_141:
	global_load_dwordx2 v[18:19], v[28:29], off offset:1536
	s_or_b64 exec, exec, s[2:3]
                                        ; implicit-def: $vgpr20_vgpr21
	s_and_saveexec_b64 s[2:3], s[10:11]
	s_cbranch_execz .LBB622_78
.LBB622_142:
	global_load_dwordx2 v[20:21], v[28:29], off offset:2048
	s_or_b64 exec, exec, s[2:3]
                                        ; implicit-def: $vgpr22_vgpr23
	s_and_saveexec_b64 s[2:3], s[12:13]
	s_cbranch_execz .LBB622_79
.LBB622_143:
	global_load_dwordx2 v[22:23], v[28:29], off offset:2560
	s_or_b64 exec, exec, s[2:3]
                                        ; implicit-def: $vgpr24_vgpr25
	s_and_saveexec_b64 s[2:3], s[14:15]
	s_cbranch_execz .LBB622_80
.LBB622_144:
	global_load_dwordx2 v[24:25], v[28:29], off offset:3072
	s_or_b64 exec, exec, s[2:3]
                                        ; implicit-def: $vgpr26_vgpr27
	s_and_saveexec_b64 s[2:3], s[16:17]
	s_cbranch_execnz .LBB622_81
	s_branch .LBB622_82
	.section	.rodata,"a",@progbits
	.p2align	6, 0x0
	.amdhsa_kernel _ZN7rocprim17ROCPRIM_400000_NS6detail17trampoline_kernelINS0_14default_configENS1_35radix_sort_onesweep_config_selectorIalEEZZNS1_29radix_sort_onesweep_iterationIS3_Lb0EPaS7_N6thrust23THRUST_200600_302600_NS10device_ptrIlEESB_jNS0_19identity_decomposerENS1_16block_id_wrapperIjLb1EEEEE10hipError_tT1_PNSt15iterator_traitsISG_E10value_typeET2_T3_PNSH_ISM_E10value_typeET4_T5_PSR_SS_PNS1_23onesweep_lookback_stateEbbT6_jjT7_P12ihipStream_tbENKUlT_T0_SG_SL_E_clIS7_S7_PlSB_EEDaSZ_S10_SG_SL_EUlSZ_E_NS1_11comp_targetILNS1_3genE4ELNS1_11target_archE910ELNS1_3gpuE8ELNS1_3repE0EEENS1_47radix_sort_onesweep_sort_config_static_selectorELNS0_4arch9wavefront6targetE1EEEvSG_
		.amdhsa_group_segment_fixed_size 20552
		.amdhsa_private_segment_fixed_size 0
		.amdhsa_kernarg_size 344
		.amdhsa_user_sgpr_count 6
		.amdhsa_user_sgpr_private_segment_buffer 1
		.amdhsa_user_sgpr_dispatch_ptr 0
		.amdhsa_user_sgpr_queue_ptr 0
		.amdhsa_user_sgpr_kernarg_segment_ptr 1
		.amdhsa_user_sgpr_dispatch_id 0
		.amdhsa_user_sgpr_flat_scratch_init 0
		.amdhsa_user_sgpr_kernarg_preload_length 0
		.amdhsa_user_sgpr_kernarg_preload_offset 0
		.amdhsa_user_sgpr_private_segment_size 0
		.amdhsa_uses_dynamic_stack 0
		.amdhsa_system_sgpr_private_segment_wavefront_offset 0
		.amdhsa_system_sgpr_workgroup_id_x 1
		.amdhsa_system_sgpr_workgroup_id_y 0
		.amdhsa_system_sgpr_workgroup_id_z 0
		.amdhsa_system_sgpr_workgroup_info 0
		.amdhsa_system_vgpr_workitem_id 2
		.amdhsa_next_free_vgpr 55
		.amdhsa_next_free_sgpr 56
		.amdhsa_accum_offset 56
		.amdhsa_reserve_vcc 1
		.amdhsa_reserve_flat_scratch 0
		.amdhsa_float_round_mode_32 0
		.amdhsa_float_round_mode_16_64 0
		.amdhsa_float_denorm_mode_32 3
		.amdhsa_float_denorm_mode_16_64 3
		.amdhsa_dx10_clamp 1
		.amdhsa_ieee_mode 1
		.amdhsa_fp16_overflow 0
		.amdhsa_tg_split 0
		.amdhsa_exception_fp_ieee_invalid_op 0
		.amdhsa_exception_fp_denorm_src 0
		.amdhsa_exception_fp_ieee_div_zero 0
		.amdhsa_exception_fp_ieee_overflow 0
		.amdhsa_exception_fp_ieee_underflow 0
		.amdhsa_exception_fp_ieee_inexact 0
		.amdhsa_exception_int_div_zero 0
	.end_amdhsa_kernel
	.section	.text._ZN7rocprim17ROCPRIM_400000_NS6detail17trampoline_kernelINS0_14default_configENS1_35radix_sort_onesweep_config_selectorIalEEZZNS1_29radix_sort_onesweep_iterationIS3_Lb0EPaS7_N6thrust23THRUST_200600_302600_NS10device_ptrIlEESB_jNS0_19identity_decomposerENS1_16block_id_wrapperIjLb1EEEEE10hipError_tT1_PNSt15iterator_traitsISG_E10value_typeET2_T3_PNSH_ISM_E10value_typeET4_T5_PSR_SS_PNS1_23onesweep_lookback_stateEbbT6_jjT7_P12ihipStream_tbENKUlT_T0_SG_SL_E_clIS7_S7_PlSB_EEDaSZ_S10_SG_SL_EUlSZ_E_NS1_11comp_targetILNS1_3genE4ELNS1_11target_archE910ELNS1_3gpuE8ELNS1_3repE0EEENS1_47radix_sort_onesweep_sort_config_static_selectorELNS0_4arch9wavefront6targetE1EEEvSG_,"axG",@progbits,_ZN7rocprim17ROCPRIM_400000_NS6detail17trampoline_kernelINS0_14default_configENS1_35radix_sort_onesweep_config_selectorIalEEZZNS1_29radix_sort_onesweep_iterationIS3_Lb0EPaS7_N6thrust23THRUST_200600_302600_NS10device_ptrIlEESB_jNS0_19identity_decomposerENS1_16block_id_wrapperIjLb1EEEEE10hipError_tT1_PNSt15iterator_traitsISG_E10value_typeET2_T3_PNSH_ISM_E10value_typeET4_T5_PSR_SS_PNS1_23onesweep_lookback_stateEbbT6_jjT7_P12ihipStream_tbENKUlT_T0_SG_SL_E_clIS7_S7_PlSB_EEDaSZ_S10_SG_SL_EUlSZ_E_NS1_11comp_targetILNS1_3genE4ELNS1_11target_archE910ELNS1_3gpuE8ELNS1_3repE0EEENS1_47radix_sort_onesweep_sort_config_static_selectorELNS0_4arch9wavefront6targetE1EEEvSG_,comdat
.Lfunc_end622:
	.size	_ZN7rocprim17ROCPRIM_400000_NS6detail17trampoline_kernelINS0_14default_configENS1_35radix_sort_onesweep_config_selectorIalEEZZNS1_29radix_sort_onesweep_iterationIS3_Lb0EPaS7_N6thrust23THRUST_200600_302600_NS10device_ptrIlEESB_jNS0_19identity_decomposerENS1_16block_id_wrapperIjLb1EEEEE10hipError_tT1_PNSt15iterator_traitsISG_E10value_typeET2_T3_PNSH_ISM_E10value_typeET4_T5_PSR_SS_PNS1_23onesweep_lookback_stateEbbT6_jjT7_P12ihipStream_tbENKUlT_T0_SG_SL_E_clIS7_S7_PlSB_EEDaSZ_S10_SG_SL_EUlSZ_E_NS1_11comp_targetILNS1_3genE4ELNS1_11target_archE910ELNS1_3gpuE8ELNS1_3repE0EEENS1_47radix_sort_onesweep_sort_config_static_selectorELNS0_4arch9wavefront6targetE1EEEvSG_, .Lfunc_end622-_ZN7rocprim17ROCPRIM_400000_NS6detail17trampoline_kernelINS0_14default_configENS1_35radix_sort_onesweep_config_selectorIalEEZZNS1_29radix_sort_onesweep_iterationIS3_Lb0EPaS7_N6thrust23THRUST_200600_302600_NS10device_ptrIlEESB_jNS0_19identity_decomposerENS1_16block_id_wrapperIjLb1EEEEE10hipError_tT1_PNSt15iterator_traitsISG_E10value_typeET2_T3_PNSH_ISM_E10value_typeET4_T5_PSR_SS_PNS1_23onesweep_lookback_stateEbbT6_jjT7_P12ihipStream_tbENKUlT_T0_SG_SL_E_clIS7_S7_PlSB_EEDaSZ_S10_SG_SL_EUlSZ_E_NS1_11comp_targetILNS1_3genE4ELNS1_11target_archE910ELNS1_3gpuE8ELNS1_3repE0EEENS1_47radix_sort_onesweep_sort_config_static_selectorELNS0_4arch9wavefront6targetE1EEEvSG_
                                        ; -- End function
	.section	.AMDGPU.csdata,"",@progbits
; Kernel info:
; codeLenInByte = 13156
; NumSgprs: 60
; NumVgprs: 55
; NumAgprs: 0
; TotalNumVgprs: 55
; ScratchSize: 0
; MemoryBound: 0
; FloatMode: 240
; IeeeMode: 1
; LDSByteSize: 20552 bytes/workgroup (compile time only)
; SGPRBlocks: 7
; VGPRBlocks: 6
; NumSGPRsForWavesPerEU: 60
; NumVGPRsForWavesPerEU: 55
; AccumOffset: 56
; Occupancy: 8
; WaveLimiterHint : 1
; COMPUTE_PGM_RSRC2:SCRATCH_EN: 0
; COMPUTE_PGM_RSRC2:USER_SGPR: 6
; COMPUTE_PGM_RSRC2:TRAP_HANDLER: 0
; COMPUTE_PGM_RSRC2:TGID_X_EN: 1
; COMPUTE_PGM_RSRC2:TGID_Y_EN: 0
; COMPUTE_PGM_RSRC2:TGID_Z_EN: 0
; COMPUTE_PGM_RSRC2:TIDIG_COMP_CNT: 2
; COMPUTE_PGM_RSRC3_GFX90A:ACCUM_OFFSET: 13
; COMPUTE_PGM_RSRC3_GFX90A:TG_SPLIT: 0
	.section	.text._ZN7rocprim17ROCPRIM_400000_NS6detail17trampoline_kernelINS0_14default_configENS1_35radix_sort_onesweep_config_selectorIalEEZZNS1_29radix_sort_onesweep_iterationIS3_Lb0EPaS7_N6thrust23THRUST_200600_302600_NS10device_ptrIlEESB_jNS0_19identity_decomposerENS1_16block_id_wrapperIjLb1EEEEE10hipError_tT1_PNSt15iterator_traitsISG_E10value_typeET2_T3_PNSH_ISM_E10value_typeET4_T5_PSR_SS_PNS1_23onesweep_lookback_stateEbbT6_jjT7_P12ihipStream_tbENKUlT_T0_SG_SL_E_clIS7_S7_PlSB_EEDaSZ_S10_SG_SL_EUlSZ_E_NS1_11comp_targetILNS1_3genE3ELNS1_11target_archE908ELNS1_3gpuE7ELNS1_3repE0EEENS1_47radix_sort_onesweep_sort_config_static_selectorELNS0_4arch9wavefront6targetE1EEEvSG_,"axG",@progbits,_ZN7rocprim17ROCPRIM_400000_NS6detail17trampoline_kernelINS0_14default_configENS1_35radix_sort_onesweep_config_selectorIalEEZZNS1_29radix_sort_onesweep_iterationIS3_Lb0EPaS7_N6thrust23THRUST_200600_302600_NS10device_ptrIlEESB_jNS0_19identity_decomposerENS1_16block_id_wrapperIjLb1EEEEE10hipError_tT1_PNSt15iterator_traitsISG_E10value_typeET2_T3_PNSH_ISM_E10value_typeET4_T5_PSR_SS_PNS1_23onesweep_lookback_stateEbbT6_jjT7_P12ihipStream_tbENKUlT_T0_SG_SL_E_clIS7_S7_PlSB_EEDaSZ_S10_SG_SL_EUlSZ_E_NS1_11comp_targetILNS1_3genE3ELNS1_11target_archE908ELNS1_3gpuE7ELNS1_3repE0EEENS1_47radix_sort_onesweep_sort_config_static_selectorELNS0_4arch9wavefront6targetE1EEEvSG_,comdat
	.protected	_ZN7rocprim17ROCPRIM_400000_NS6detail17trampoline_kernelINS0_14default_configENS1_35radix_sort_onesweep_config_selectorIalEEZZNS1_29radix_sort_onesweep_iterationIS3_Lb0EPaS7_N6thrust23THRUST_200600_302600_NS10device_ptrIlEESB_jNS0_19identity_decomposerENS1_16block_id_wrapperIjLb1EEEEE10hipError_tT1_PNSt15iterator_traitsISG_E10value_typeET2_T3_PNSH_ISM_E10value_typeET4_T5_PSR_SS_PNS1_23onesweep_lookback_stateEbbT6_jjT7_P12ihipStream_tbENKUlT_T0_SG_SL_E_clIS7_S7_PlSB_EEDaSZ_S10_SG_SL_EUlSZ_E_NS1_11comp_targetILNS1_3genE3ELNS1_11target_archE908ELNS1_3gpuE7ELNS1_3repE0EEENS1_47radix_sort_onesweep_sort_config_static_selectorELNS0_4arch9wavefront6targetE1EEEvSG_ ; -- Begin function _ZN7rocprim17ROCPRIM_400000_NS6detail17trampoline_kernelINS0_14default_configENS1_35radix_sort_onesweep_config_selectorIalEEZZNS1_29radix_sort_onesweep_iterationIS3_Lb0EPaS7_N6thrust23THRUST_200600_302600_NS10device_ptrIlEESB_jNS0_19identity_decomposerENS1_16block_id_wrapperIjLb1EEEEE10hipError_tT1_PNSt15iterator_traitsISG_E10value_typeET2_T3_PNSH_ISM_E10value_typeET4_T5_PSR_SS_PNS1_23onesweep_lookback_stateEbbT6_jjT7_P12ihipStream_tbENKUlT_T0_SG_SL_E_clIS7_S7_PlSB_EEDaSZ_S10_SG_SL_EUlSZ_E_NS1_11comp_targetILNS1_3genE3ELNS1_11target_archE908ELNS1_3gpuE7ELNS1_3repE0EEENS1_47radix_sort_onesweep_sort_config_static_selectorELNS0_4arch9wavefront6targetE1EEEvSG_
	.globl	_ZN7rocprim17ROCPRIM_400000_NS6detail17trampoline_kernelINS0_14default_configENS1_35radix_sort_onesweep_config_selectorIalEEZZNS1_29radix_sort_onesweep_iterationIS3_Lb0EPaS7_N6thrust23THRUST_200600_302600_NS10device_ptrIlEESB_jNS0_19identity_decomposerENS1_16block_id_wrapperIjLb1EEEEE10hipError_tT1_PNSt15iterator_traitsISG_E10value_typeET2_T3_PNSH_ISM_E10value_typeET4_T5_PSR_SS_PNS1_23onesweep_lookback_stateEbbT6_jjT7_P12ihipStream_tbENKUlT_T0_SG_SL_E_clIS7_S7_PlSB_EEDaSZ_S10_SG_SL_EUlSZ_E_NS1_11comp_targetILNS1_3genE3ELNS1_11target_archE908ELNS1_3gpuE7ELNS1_3repE0EEENS1_47radix_sort_onesweep_sort_config_static_selectorELNS0_4arch9wavefront6targetE1EEEvSG_
	.p2align	8
	.type	_ZN7rocprim17ROCPRIM_400000_NS6detail17trampoline_kernelINS0_14default_configENS1_35radix_sort_onesweep_config_selectorIalEEZZNS1_29radix_sort_onesweep_iterationIS3_Lb0EPaS7_N6thrust23THRUST_200600_302600_NS10device_ptrIlEESB_jNS0_19identity_decomposerENS1_16block_id_wrapperIjLb1EEEEE10hipError_tT1_PNSt15iterator_traitsISG_E10value_typeET2_T3_PNSH_ISM_E10value_typeET4_T5_PSR_SS_PNS1_23onesweep_lookback_stateEbbT6_jjT7_P12ihipStream_tbENKUlT_T0_SG_SL_E_clIS7_S7_PlSB_EEDaSZ_S10_SG_SL_EUlSZ_E_NS1_11comp_targetILNS1_3genE3ELNS1_11target_archE908ELNS1_3gpuE7ELNS1_3repE0EEENS1_47radix_sort_onesweep_sort_config_static_selectorELNS0_4arch9wavefront6targetE1EEEvSG_,@function
_ZN7rocprim17ROCPRIM_400000_NS6detail17trampoline_kernelINS0_14default_configENS1_35radix_sort_onesweep_config_selectorIalEEZZNS1_29radix_sort_onesweep_iterationIS3_Lb0EPaS7_N6thrust23THRUST_200600_302600_NS10device_ptrIlEESB_jNS0_19identity_decomposerENS1_16block_id_wrapperIjLb1EEEEE10hipError_tT1_PNSt15iterator_traitsISG_E10value_typeET2_T3_PNSH_ISM_E10value_typeET4_T5_PSR_SS_PNS1_23onesweep_lookback_stateEbbT6_jjT7_P12ihipStream_tbENKUlT_T0_SG_SL_E_clIS7_S7_PlSB_EEDaSZ_S10_SG_SL_EUlSZ_E_NS1_11comp_targetILNS1_3genE3ELNS1_11target_archE908ELNS1_3gpuE7ELNS1_3repE0EEENS1_47radix_sort_onesweep_sort_config_static_selectorELNS0_4arch9wavefront6targetE1EEEvSG_: ; @_ZN7rocprim17ROCPRIM_400000_NS6detail17trampoline_kernelINS0_14default_configENS1_35radix_sort_onesweep_config_selectorIalEEZZNS1_29radix_sort_onesweep_iterationIS3_Lb0EPaS7_N6thrust23THRUST_200600_302600_NS10device_ptrIlEESB_jNS0_19identity_decomposerENS1_16block_id_wrapperIjLb1EEEEE10hipError_tT1_PNSt15iterator_traitsISG_E10value_typeET2_T3_PNSH_ISM_E10value_typeET4_T5_PSR_SS_PNS1_23onesweep_lookback_stateEbbT6_jjT7_P12ihipStream_tbENKUlT_T0_SG_SL_E_clIS7_S7_PlSB_EEDaSZ_S10_SG_SL_EUlSZ_E_NS1_11comp_targetILNS1_3genE3ELNS1_11target_archE908ELNS1_3gpuE7ELNS1_3repE0EEENS1_47radix_sort_onesweep_sort_config_static_selectorELNS0_4arch9wavefront6targetE1EEEvSG_
; %bb.0:
	.section	.rodata,"a",@progbits
	.p2align	6, 0x0
	.amdhsa_kernel _ZN7rocprim17ROCPRIM_400000_NS6detail17trampoline_kernelINS0_14default_configENS1_35radix_sort_onesweep_config_selectorIalEEZZNS1_29radix_sort_onesweep_iterationIS3_Lb0EPaS7_N6thrust23THRUST_200600_302600_NS10device_ptrIlEESB_jNS0_19identity_decomposerENS1_16block_id_wrapperIjLb1EEEEE10hipError_tT1_PNSt15iterator_traitsISG_E10value_typeET2_T3_PNSH_ISM_E10value_typeET4_T5_PSR_SS_PNS1_23onesweep_lookback_stateEbbT6_jjT7_P12ihipStream_tbENKUlT_T0_SG_SL_E_clIS7_S7_PlSB_EEDaSZ_S10_SG_SL_EUlSZ_E_NS1_11comp_targetILNS1_3genE3ELNS1_11target_archE908ELNS1_3gpuE7ELNS1_3repE0EEENS1_47radix_sort_onesweep_sort_config_static_selectorELNS0_4arch9wavefront6targetE1EEEvSG_
		.amdhsa_group_segment_fixed_size 0
		.amdhsa_private_segment_fixed_size 0
		.amdhsa_kernarg_size 88
		.amdhsa_user_sgpr_count 6
		.amdhsa_user_sgpr_private_segment_buffer 1
		.amdhsa_user_sgpr_dispatch_ptr 0
		.amdhsa_user_sgpr_queue_ptr 0
		.amdhsa_user_sgpr_kernarg_segment_ptr 1
		.amdhsa_user_sgpr_dispatch_id 0
		.amdhsa_user_sgpr_flat_scratch_init 0
		.amdhsa_user_sgpr_kernarg_preload_length 0
		.amdhsa_user_sgpr_kernarg_preload_offset 0
		.amdhsa_user_sgpr_private_segment_size 0
		.amdhsa_uses_dynamic_stack 0
		.amdhsa_system_sgpr_private_segment_wavefront_offset 0
		.amdhsa_system_sgpr_workgroup_id_x 1
		.amdhsa_system_sgpr_workgroup_id_y 0
		.amdhsa_system_sgpr_workgroup_id_z 0
		.amdhsa_system_sgpr_workgroup_info 0
		.amdhsa_system_vgpr_workitem_id 0
		.amdhsa_next_free_vgpr 1
		.amdhsa_next_free_sgpr 0
		.amdhsa_accum_offset 4
		.amdhsa_reserve_vcc 0
		.amdhsa_reserve_flat_scratch 0
		.amdhsa_float_round_mode_32 0
		.amdhsa_float_round_mode_16_64 0
		.amdhsa_float_denorm_mode_32 3
		.amdhsa_float_denorm_mode_16_64 3
		.amdhsa_dx10_clamp 1
		.amdhsa_ieee_mode 1
		.amdhsa_fp16_overflow 0
		.amdhsa_tg_split 0
		.amdhsa_exception_fp_ieee_invalid_op 0
		.amdhsa_exception_fp_denorm_src 0
		.amdhsa_exception_fp_ieee_div_zero 0
		.amdhsa_exception_fp_ieee_overflow 0
		.amdhsa_exception_fp_ieee_underflow 0
		.amdhsa_exception_fp_ieee_inexact 0
		.amdhsa_exception_int_div_zero 0
	.end_amdhsa_kernel
	.section	.text._ZN7rocprim17ROCPRIM_400000_NS6detail17trampoline_kernelINS0_14default_configENS1_35radix_sort_onesweep_config_selectorIalEEZZNS1_29radix_sort_onesweep_iterationIS3_Lb0EPaS7_N6thrust23THRUST_200600_302600_NS10device_ptrIlEESB_jNS0_19identity_decomposerENS1_16block_id_wrapperIjLb1EEEEE10hipError_tT1_PNSt15iterator_traitsISG_E10value_typeET2_T3_PNSH_ISM_E10value_typeET4_T5_PSR_SS_PNS1_23onesweep_lookback_stateEbbT6_jjT7_P12ihipStream_tbENKUlT_T0_SG_SL_E_clIS7_S7_PlSB_EEDaSZ_S10_SG_SL_EUlSZ_E_NS1_11comp_targetILNS1_3genE3ELNS1_11target_archE908ELNS1_3gpuE7ELNS1_3repE0EEENS1_47radix_sort_onesweep_sort_config_static_selectorELNS0_4arch9wavefront6targetE1EEEvSG_,"axG",@progbits,_ZN7rocprim17ROCPRIM_400000_NS6detail17trampoline_kernelINS0_14default_configENS1_35radix_sort_onesweep_config_selectorIalEEZZNS1_29radix_sort_onesweep_iterationIS3_Lb0EPaS7_N6thrust23THRUST_200600_302600_NS10device_ptrIlEESB_jNS0_19identity_decomposerENS1_16block_id_wrapperIjLb1EEEEE10hipError_tT1_PNSt15iterator_traitsISG_E10value_typeET2_T3_PNSH_ISM_E10value_typeET4_T5_PSR_SS_PNS1_23onesweep_lookback_stateEbbT6_jjT7_P12ihipStream_tbENKUlT_T0_SG_SL_E_clIS7_S7_PlSB_EEDaSZ_S10_SG_SL_EUlSZ_E_NS1_11comp_targetILNS1_3genE3ELNS1_11target_archE908ELNS1_3gpuE7ELNS1_3repE0EEENS1_47radix_sort_onesweep_sort_config_static_selectorELNS0_4arch9wavefront6targetE1EEEvSG_,comdat
.Lfunc_end623:
	.size	_ZN7rocprim17ROCPRIM_400000_NS6detail17trampoline_kernelINS0_14default_configENS1_35radix_sort_onesweep_config_selectorIalEEZZNS1_29radix_sort_onesweep_iterationIS3_Lb0EPaS7_N6thrust23THRUST_200600_302600_NS10device_ptrIlEESB_jNS0_19identity_decomposerENS1_16block_id_wrapperIjLb1EEEEE10hipError_tT1_PNSt15iterator_traitsISG_E10value_typeET2_T3_PNSH_ISM_E10value_typeET4_T5_PSR_SS_PNS1_23onesweep_lookback_stateEbbT6_jjT7_P12ihipStream_tbENKUlT_T0_SG_SL_E_clIS7_S7_PlSB_EEDaSZ_S10_SG_SL_EUlSZ_E_NS1_11comp_targetILNS1_3genE3ELNS1_11target_archE908ELNS1_3gpuE7ELNS1_3repE0EEENS1_47radix_sort_onesweep_sort_config_static_selectorELNS0_4arch9wavefront6targetE1EEEvSG_, .Lfunc_end623-_ZN7rocprim17ROCPRIM_400000_NS6detail17trampoline_kernelINS0_14default_configENS1_35radix_sort_onesweep_config_selectorIalEEZZNS1_29radix_sort_onesweep_iterationIS3_Lb0EPaS7_N6thrust23THRUST_200600_302600_NS10device_ptrIlEESB_jNS0_19identity_decomposerENS1_16block_id_wrapperIjLb1EEEEE10hipError_tT1_PNSt15iterator_traitsISG_E10value_typeET2_T3_PNSH_ISM_E10value_typeET4_T5_PSR_SS_PNS1_23onesweep_lookback_stateEbbT6_jjT7_P12ihipStream_tbENKUlT_T0_SG_SL_E_clIS7_S7_PlSB_EEDaSZ_S10_SG_SL_EUlSZ_E_NS1_11comp_targetILNS1_3genE3ELNS1_11target_archE908ELNS1_3gpuE7ELNS1_3repE0EEENS1_47radix_sort_onesweep_sort_config_static_selectorELNS0_4arch9wavefront6targetE1EEEvSG_
                                        ; -- End function
	.section	.AMDGPU.csdata,"",@progbits
; Kernel info:
; codeLenInByte = 0
; NumSgprs: 4
; NumVgprs: 0
; NumAgprs: 0
; TotalNumVgprs: 0
; ScratchSize: 0
; MemoryBound: 0
; FloatMode: 240
; IeeeMode: 1
; LDSByteSize: 0 bytes/workgroup (compile time only)
; SGPRBlocks: 0
; VGPRBlocks: 0
; NumSGPRsForWavesPerEU: 4
; NumVGPRsForWavesPerEU: 1
; AccumOffset: 4
; Occupancy: 8
; WaveLimiterHint : 0
; COMPUTE_PGM_RSRC2:SCRATCH_EN: 0
; COMPUTE_PGM_RSRC2:USER_SGPR: 6
; COMPUTE_PGM_RSRC2:TRAP_HANDLER: 0
; COMPUTE_PGM_RSRC2:TGID_X_EN: 1
; COMPUTE_PGM_RSRC2:TGID_Y_EN: 0
; COMPUTE_PGM_RSRC2:TGID_Z_EN: 0
; COMPUTE_PGM_RSRC2:TIDIG_COMP_CNT: 0
; COMPUTE_PGM_RSRC3_GFX90A:ACCUM_OFFSET: 0
; COMPUTE_PGM_RSRC3_GFX90A:TG_SPLIT: 0
	.section	.text._ZN7rocprim17ROCPRIM_400000_NS6detail17trampoline_kernelINS0_14default_configENS1_35radix_sort_onesweep_config_selectorIalEEZZNS1_29radix_sort_onesweep_iterationIS3_Lb0EPaS7_N6thrust23THRUST_200600_302600_NS10device_ptrIlEESB_jNS0_19identity_decomposerENS1_16block_id_wrapperIjLb1EEEEE10hipError_tT1_PNSt15iterator_traitsISG_E10value_typeET2_T3_PNSH_ISM_E10value_typeET4_T5_PSR_SS_PNS1_23onesweep_lookback_stateEbbT6_jjT7_P12ihipStream_tbENKUlT_T0_SG_SL_E_clIS7_S7_PlSB_EEDaSZ_S10_SG_SL_EUlSZ_E_NS1_11comp_targetILNS1_3genE10ELNS1_11target_archE1201ELNS1_3gpuE5ELNS1_3repE0EEENS1_47radix_sort_onesweep_sort_config_static_selectorELNS0_4arch9wavefront6targetE1EEEvSG_,"axG",@progbits,_ZN7rocprim17ROCPRIM_400000_NS6detail17trampoline_kernelINS0_14default_configENS1_35radix_sort_onesweep_config_selectorIalEEZZNS1_29radix_sort_onesweep_iterationIS3_Lb0EPaS7_N6thrust23THRUST_200600_302600_NS10device_ptrIlEESB_jNS0_19identity_decomposerENS1_16block_id_wrapperIjLb1EEEEE10hipError_tT1_PNSt15iterator_traitsISG_E10value_typeET2_T3_PNSH_ISM_E10value_typeET4_T5_PSR_SS_PNS1_23onesweep_lookback_stateEbbT6_jjT7_P12ihipStream_tbENKUlT_T0_SG_SL_E_clIS7_S7_PlSB_EEDaSZ_S10_SG_SL_EUlSZ_E_NS1_11comp_targetILNS1_3genE10ELNS1_11target_archE1201ELNS1_3gpuE5ELNS1_3repE0EEENS1_47radix_sort_onesweep_sort_config_static_selectorELNS0_4arch9wavefront6targetE1EEEvSG_,comdat
	.protected	_ZN7rocprim17ROCPRIM_400000_NS6detail17trampoline_kernelINS0_14default_configENS1_35radix_sort_onesweep_config_selectorIalEEZZNS1_29radix_sort_onesweep_iterationIS3_Lb0EPaS7_N6thrust23THRUST_200600_302600_NS10device_ptrIlEESB_jNS0_19identity_decomposerENS1_16block_id_wrapperIjLb1EEEEE10hipError_tT1_PNSt15iterator_traitsISG_E10value_typeET2_T3_PNSH_ISM_E10value_typeET4_T5_PSR_SS_PNS1_23onesweep_lookback_stateEbbT6_jjT7_P12ihipStream_tbENKUlT_T0_SG_SL_E_clIS7_S7_PlSB_EEDaSZ_S10_SG_SL_EUlSZ_E_NS1_11comp_targetILNS1_3genE10ELNS1_11target_archE1201ELNS1_3gpuE5ELNS1_3repE0EEENS1_47radix_sort_onesweep_sort_config_static_selectorELNS0_4arch9wavefront6targetE1EEEvSG_ ; -- Begin function _ZN7rocprim17ROCPRIM_400000_NS6detail17trampoline_kernelINS0_14default_configENS1_35radix_sort_onesweep_config_selectorIalEEZZNS1_29radix_sort_onesweep_iterationIS3_Lb0EPaS7_N6thrust23THRUST_200600_302600_NS10device_ptrIlEESB_jNS0_19identity_decomposerENS1_16block_id_wrapperIjLb1EEEEE10hipError_tT1_PNSt15iterator_traitsISG_E10value_typeET2_T3_PNSH_ISM_E10value_typeET4_T5_PSR_SS_PNS1_23onesweep_lookback_stateEbbT6_jjT7_P12ihipStream_tbENKUlT_T0_SG_SL_E_clIS7_S7_PlSB_EEDaSZ_S10_SG_SL_EUlSZ_E_NS1_11comp_targetILNS1_3genE10ELNS1_11target_archE1201ELNS1_3gpuE5ELNS1_3repE0EEENS1_47radix_sort_onesweep_sort_config_static_selectorELNS0_4arch9wavefront6targetE1EEEvSG_
	.globl	_ZN7rocprim17ROCPRIM_400000_NS6detail17trampoline_kernelINS0_14default_configENS1_35radix_sort_onesweep_config_selectorIalEEZZNS1_29radix_sort_onesweep_iterationIS3_Lb0EPaS7_N6thrust23THRUST_200600_302600_NS10device_ptrIlEESB_jNS0_19identity_decomposerENS1_16block_id_wrapperIjLb1EEEEE10hipError_tT1_PNSt15iterator_traitsISG_E10value_typeET2_T3_PNSH_ISM_E10value_typeET4_T5_PSR_SS_PNS1_23onesweep_lookback_stateEbbT6_jjT7_P12ihipStream_tbENKUlT_T0_SG_SL_E_clIS7_S7_PlSB_EEDaSZ_S10_SG_SL_EUlSZ_E_NS1_11comp_targetILNS1_3genE10ELNS1_11target_archE1201ELNS1_3gpuE5ELNS1_3repE0EEENS1_47radix_sort_onesweep_sort_config_static_selectorELNS0_4arch9wavefront6targetE1EEEvSG_
	.p2align	8
	.type	_ZN7rocprim17ROCPRIM_400000_NS6detail17trampoline_kernelINS0_14default_configENS1_35radix_sort_onesweep_config_selectorIalEEZZNS1_29radix_sort_onesweep_iterationIS3_Lb0EPaS7_N6thrust23THRUST_200600_302600_NS10device_ptrIlEESB_jNS0_19identity_decomposerENS1_16block_id_wrapperIjLb1EEEEE10hipError_tT1_PNSt15iterator_traitsISG_E10value_typeET2_T3_PNSH_ISM_E10value_typeET4_T5_PSR_SS_PNS1_23onesweep_lookback_stateEbbT6_jjT7_P12ihipStream_tbENKUlT_T0_SG_SL_E_clIS7_S7_PlSB_EEDaSZ_S10_SG_SL_EUlSZ_E_NS1_11comp_targetILNS1_3genE10ELNS1_11target_archE1201ELNS1_3gpuE5ELNS1_3repE0EEENS1_47radix_sort_onesweep_sort_config_static_selectorELNS0_4arch9wavefront6targetE1EEEvSG_,@function
_ZN7rocprim17ROCPRIM_400000_NS6detail17trampoline_kernelINS0_14default_configENS1_35radix_sort_onesweep_config_selectorIalEEZZNS1_29radix_sort_onesweep_iterationIS3_Lb0EPaS7_N6thrust23THRUST_200600_302600_NS10device_ptrIlEESB_jNS0_19identity_decomposerENS1_16block_id_wrapperIjLb1EEEEE10hipError_tT1_PNSt15iterator_traitsISG_E10value_typeET2_T3_PNSH_ISM_E10value_typeET4_T5_PSR_SS_PNS1_23onesweep_lookback_stateEbbT6_jjT7_P12ihipStream_tbENKUlT_T0_SG_SL_E_clIS7_S7_PlSB_EEDaSZ_S10_SG_SL_EUlSZ_E_NS1_11comp_targetILNS1_3genE10ELNS1_11target_archE1201ELNS1_3gpuE5ELNS1_3repE0EEENS1_47radix_sort_onesweep_sort_config_static_selectorELNS0_4arch9wavefront6targetE1EEEvSG_: ; @_ZN7rocprim17ROCPRIM_400000_NS6detail17trampoline_kernelINS0_14default_configENS1_35radix_sort_onesweep_config_selectorIalEEZZNS1_29radix_sort_onesweep_iterationIS3_Lb0EPaS7_N6thrust23THRUST_200600_302600_NS10device_ptrIlEESB_jNS0_19identity_decomposerENS1_16block_id_wrapperIjLb1EEEEE10hipError_tT1_PNSt15iterator_traitsISG_E10value_typeET2_T3_PNSH_ISM_E10value_typeET4_T5_PSR_SS_PNS1_23onesweep_lookback_stateEbbT6_jjT7_P12ihipStream_tbENKUlT_T0_SG_SL_E_clIS7_S7_PlSB_EEDaSZ_S10_SG_SL_EUlSZ_E_NS1_11comp_targetILNS1_3genE10ELNS1_11target_archE1201ELNS1_3gpuE5ELNS1_3repE0EEENS1_47radix_sort_onesweep_sort_config_static_selectorELNS0_4arch9wavefront6targetE1EEEvSG_
; %bb.0:
	.section	.rodata,"a",@progbits
	.p2align	6, 0x0
	.amdhsa_kernel _ZN7rocprim17ROCPRIM_400000_NS6detail17trampoline_kernelINS0_14default_configENS1_35radix_sort_onesweep_config_selectorIalEEZZNS1_29radix_sort_onesweep_iterationIS3_Lb0EPaS7_N6thrust23THRUST_200600_302600_NS10device_ptrIlEESB_jNS0_19identity_decomposerENS1_16block_id_wrapperIjLb1EEEEE10hipError_tT1_PNSt15iterator_traitsISG_E10value_typeET2_T3_PNSH_ISM_E10value_typeET4_T5_PSR_SS_PNS1_23onesweep_lookback_stateEbbT6_jjT7_P12ihipStream_tbENKUlT_T0_SG_SL_E_clIS7_S7_PlSB_EEDaSZ_S10_SG_SL_EUlSZ_E_NS1_11comp_targetILNS1_3genE10ELNS1_11target_archE1201ELNS1_3gpuE5ELNS1_3repE0EEENS1_47radix_sort_onesweep_sort_config_static_selectorELNS0_4arch9wavefront6targetE1EEEvSG_
		.amdhsa_group_segment_fixed_size 0
		.amdhsa_private_segment_fixed_size 0
		.amdhsa_kernarg_size 88
		.amdhsa_user_sgpr_count 6
		.amdhsa_user_sgpr_private_segment_buffer 1
		.amdhsa_user_sgpr_dispatch_ptr 0
		.amdhsa_user_sgpr_queue_ptr 0
		.amdhsa_user_sgpr_kernarg_segment_ptr 1
		.amdhsa_user_sgpr_dispatch_id 0
		.amdhsa_user_sgpr_flat_scratch_init 0
		.amdhsa_user_sgpr_kernarg_preload_length 0
		.amdhsa_user_sgpr_kernarg_preload_offset 0
		.amdhsa_user_sgpr_private_segment_size 0
		.amdhsa_uses_dynamic_stack 0
		.amdhsa_system_sgpr_private_segment_wavefront_offset 0
		.amdhsa_system_sgpr_workgroup_id_x 1
		.amdhsa_system_sgpr_workgroup_id_y 0
		.amdhsa_system_sgpr_workgroup_id_z 0
		.amdhsa_system_sgpr_workgroup_info 0
		.amdhsa_system_vgpr_workitem_id 0
		.amdhsa_next_free_vgpr 1
		.amdhsa_next_free_sgpr 0
		.amdhsa_accum_offset 4
		.amdhsa_reserve_vcc 0
		.amdhsa_reserve_flat_scratch 0
		.amdhsa_float_round_mode_32 0
		.amdhsa_float_round_mode_16_64 0
		.amdhsa_float_denorm_mode_32 3
		.amdhsa_float_denorm_mode_16_64 3
		.amdhsa_dx10_clamp 1
		.amdhsa_ieee_mode 1
		.amdhsa_fp16_overflow 0
		.amdhsa_tg_split 0
		.amdhsa_exception_fp_ieee_invalid_op 0
		.amdhsa_exception_fp_denorm_src 0
		.amdhsa_exception_fp_ieee_div_zero 0
		.amdhsa_exception_fp_ieee_overflow 0
		.amdhsa_exception_fp_ieee_underflow 0
		.amdhsa_exception_fp_ieee_inexact 0
		.amdhsa_exception_int_div_zero 0
	.end_amdhsa_kernel
	.section	.text._ZN7rocprim17ROCPRIM_400000_NS6detail17trampoline_kernelINS0_14default_configENS1_35radix_sort_onesweep_config_selectorIalEEZZNS1_29radix_sort_onesweep_iterationIS3_Lb0EPaS7_N6thrust23THRUST_200600_302600_NS10device_ptrIlEESB_jNS0_19identity_decomposerENS1_16block_id_wrapperIjLb1EEEEE10hipError_tT1_PNSt15iterator_traitsISG_E10value_typeET2_T3_PNSH_ISM_E10value_typeET4_T5_PSR_SS_PNS1_23onesweep_lookback_stateEbbT6_jjT7_P12ihipStream_tbENKUlT_T0_SG_SL_E_clIS7_S7_PlSB_EEDaSZ_S10_SG_SL_EUlSZ_E_NS1_11comp_targetILNS1_3genE10ELNS1_11target_archE1201ELNS1_3gpuE5ELNS1_3repE0EEENS1_47radix_sort_onesweep_sort_config_static_selectorELNS0_4arch9wavefront6targetE1EEEvSG_,"axG",@progbits,_ZN7rocprim17ROCPRIM_400000_NS6detail17trampoline_kernelINS0_14default_configENS1_35radix_sort_onesweep_config_selectorIalEEZZNS1_29radix_sort_onesweep_iterationIS3_Lb0EPaS7_N6thrust23THRUST_200600_302600_NS10device_ptrIlEESB_jNS0_19identity_decomposerENS1_16block_id_wrapperIjLb1EEEEE10hipError_tT1_PNSt15iterator_traitsISG_E10value_typeET2_T3_PNSH_ISM_E10value_typeET4_T5_PSR_SS_PNS1_23onesweep_lookback_stateEbbT6_jjT7_P12ihipStream_tbENKUlT_T0_SG_SL_E_clIS7_S7_PlSB_EEDaSZ_S10_SG_SL_EUlSZ_E_NS1_11comp_targetILNS1_3genE10ELNS1_11target_archE1201ELNS1_3gpuE5ELNS1_3repE0EEENS1_47radix_sort_onesweep_sort_config_static_selectorELNS0_4arch9wavefront6targetE1EEEvSG_,comdat
.Lfunc_end624:
	.size	_ZN7rocprim17ROCPRIM_400000_NS6detail17trampoline_kernelINS0_14default_configENS1_35radix_sort_onesweep_config_selectorIalEEZZNS1_29radix_sort_onesweep_iterationIS3_Lb0EPaS7_N6thrust23THRUST_200600_302600_NS10device_ptrIlEESB_jNS0_19identity_decomposerENS1_16block_id_wrapperIjLb1EEEEE10hipError_tT1_PNSt15iterator_traitsISG_E10value_typeET2_T3_PNSH_ISM_E10value_typeET4_T5_PSR_SS_PNS1_23onesweep_lookback_stateEbbT6_jjT7_P12ihipStream_tbENKUlT_T0_SG_SL_E_clIS7_S7_PlSB_EEDaSZ_S10_SG_SL_EUlSZ_E_NS1_11comp_targetILNS1_3genE10ELNS1_11target_archE1201ELNS1_3gpuE5ELNS1_3repE0EEENS1_47radix_sort_onesweep_sort_config_static_selectorELNS0_4arch9wavefront6targetE1EEEvSG_, .Lfunc_end624-_ZN7rocprim17ROCPRIM_400000_NS6detail17trampoline_kernelINS0_14default_configENS1_35radix_sort_onesweep_config_selectorIalEEZZNS1_29radix_sort_onesweep_iterationIS3_Lb0EPaS7_N6thrust23THRUST_200600_302600_NS10device_ptrIlEESB_jNS0_19identity_decomposerENS1_16block_id_wrapperIjLb1EEEEE10hipError_tT1_PNSt15iterator_traitsISG_E10value_typeET2_T3_PNSH_ISM_E10value_typeET4_T5_PSR_SS_PNS1_23onesweep_lookback_stateEbbT6_jjT7_P12ihipStream_tbENKUlT_T0_SG_SL_E_clIS7_S7_PlSB_EEDaSZ_S10_SG_SL_EUlSZ_E_NS1_11comp_targetILNS1_3genE10ELNS1_11target_archE1201ELNS1_3gpuE5ELNS1_3repE0EEENS1_47radix_sort_onesweep_sort_config_static_selectorELNS0_4arch9wavefront6targetE1EEEvSG_
                                        ; -- End function
	.section	.AMDGPU.csdata,"",@progbits
; Kernel info:
; codeLenInByte = 0
; NumSgprs: 4
; NumVgprs: 0
; NumAgprs: 0
; TotalNumVgprs: 0
; ScratchSize: 0
; MemoryBound: 0
; FloatMode: 240
; IeeeMode: 1
; LDSByteSize: 0 bytes/workgroup (compile time only)
; SGPRBlocks: 0
; VGPRBlocks: 0
; NumSGPRsForWavesPerEU: 4
; NumVGPRsForWavesPerEU: 1
; AccumOffset: 4
; Occupancy: 8
; WaveLimiterHint : 0
; COMPUTE_PGM_RSRC2:SCRATCH_EN: 0
; COMPUTE_PGM_RSRC2:USER_SGPR: 6
; COMPUTE_PGM_RSRC2:TRAP_HANDLER: 0
; COMPUTE_PGM_RSRC2:TGID_X_EN: 1
; COMPUTE_PGM_RSRC2:TGID_Y_EN: 0
; COMPUTE_PGM_RSRC2:TGID_Z_EN: 0
; COMPUTE_PGM_RSRC2:TIDIG_COMP_CNT: 0
; COMPUTE_PGM_RSRC3_GFX90A:ACCUM_OFFSET: 0
; COMPUTE_PGM_RSRC3_GFX90A:TG_SPLIT: 0
	.section	.text._ZN7rocprim17ROCPRIM_400000_NS6detail17trampoline_kernelINS0_14default_configENS1_35radix_sort_onesweep_config_selectorIalEEZZNS1_29radix_sort_onesweep_iterationIS3_Lb0EPaS7_N6thrust23THRUST_200600_302600_NS10device_ptrIlEESB_jNS0_19identity_decomposerENS1_16block_id_wrapperIjLb1EEEEE10hipError_tT1_PNSt15iterator_traitsISG_E10value_typeET2_T3_PNSH_ISM_E10value_typeET4_T5_PSR_SS_PNS1_23onesweep_lookback_stateEbbT6_jjT7_P12ihipStream_tbENKUlT_T0_SG_SL_E_clIS7_S7_PlSB_EEDaSZ_S10_SG_SL_EUlSZ_E_NS1_11comp_targetILNS1_3genE9ELNS1_11target_archE1100ELNS1_3gpuE3ELNS1_3repE0EEENS1_47radix_sort_onesweep_sort_config_static_selectorELNS0_4arch9wavefront6targetE1EEEvSG_,"axG",@progbits,_ZN7rocprim17ROCPRIM_400000_NS6detail17trampoline_kernelINS0_14default_configENS1_35radix_sort_onesweep_config_selectorIalEEZZNS1_29radix_sort_onesweep_iterationIS3_Lb0EPaS7_N6thrust23THRUST_200600_302600_NS10device_ptrIlEESB_jNS0_19identity_decomposerENS1_16block_id_wrapperIjLb1EEEEE10hipError_tT1_PNSt15iterator_traitsISG_E10value_typeET2_T3_PNSH_ISM_E10value_typeET4_T5_PSR_SS_PNS1_23onesweep_lookback_stateEbbT6_jjT7_P12ihipStream_tbENKUlT_T0_SG_SL_E_clIS7_S7_PlSB_EEDaSZ_S10_SG_SL_EUlSZ_E_NS1_11comp_targetILNS1_3genE9ELNS1_11target_archE1100ELNS1_3gpuE3ELNS1_3repE0EEENS1_47radix_sort_onesweep_sort_config_static_selectorELNS0_4arch9wavefront6targetE1EEEvSG_,comdat
	.protected	_ZN7rocprim17ROCPRIM_400000_NS6detail17trampoline_kernelINS0_14default_configENS1_35radix_sort_onesweep_config_selectorIalEEZZNS1_29radix_sort_onesweep_iterationIS3_Lb0EPaS7_N6thrust23THRUST_200600_302600_NS10device_ptrIlEESB_jNS0_19identity_decomposerENS1_16block_id_wrapperIjLb1EEEEE10hipError_tT1_PNSt15iterator_traitsISG_E10value_typeET2_T3_PNSH_ISM_E10value_typeET4_T5_PSR_SS_PNS1_23onesweep_lookback_stateEbbT6_jjT7_P12ihipStream_tbENKUlT_T0_SG_SL_E_clIS7_S7_PlSB_EEDaSZ_S10_SG_SL_EUlSZ_E_NS1_11comp_targetILNS1_3genE9ELNS1_11target_archE1100ELNS1_3gpuE3ELNS1_3repE0EEENS1_47radix_sort_onesweep_sort_config_static_selectorELNS0_4arch9wavefront6targetE1EEEvSG_ ; -- Begin function _ZN7rocprim17ROCPRIM_400000_NS6detail17trampoline_kernelINS0_14default_configENS1_35radix_sort_onesweep_config_selectorIalEEZZNS1_29radix_sort_onesweep_iterationIS3_Lb0EPaS7_N6thrust23THRUST_200600_302600_NS10device_ptrIlEESB_jNS0_19identity_decomposerENS1_16block_id_wrapperIjLb1EEEEE10hipError_tT1_PNSt15iterator_traitsISG_E10value_typeET2_T3_PNSH_ISM_E10value_typeET4_T5_PSR_SS_PNS1_23onesweep_lookback_stateEbbT6_jjT7_P12ihipStream_tbENKUlT_T0_SG_SL_E_clIS7_S7_PlSB_EEDaSZ_S10_SG_SL_EUlSZ_E_NS1_11comp_targetILNS1_3genE9ELNS1_11target_archE1100ELNS1_3gpuE3ELNS1_3repE0EEENS1_47radix_sort_onesweep_sort_config_static_selectorELNS0_4arch9wavefront6targetE1EEEvSG_
	.globl	_ZN7rocprim17ROCPRIM_400000_NS6detail17trampoline_kernelINS0_14default_configENS1_35radix_sort_onesweep_config_selectorIalEEZZNS1_29radix_sort_onesweep_iterationIS3_Lb0EPaS7_N6thrust23THRUST_200600_302600_NS10device_ptrIlEESB_jNS0_19identity_decomposerENS1_16block_id_wrapperIjLb1EEEEE10hipError_tT1_PNSt15iterator_traitsISG_E10value_typeET2_T3_PNSH_ISM_E10value_typeET4_T5_PSR_SS_PNS1_23onesweep_lookback_stateEbbT6_jjT7_P12ihipStream_tbENKUlT_T0_SG_SL_E_clIS7_S7_PlSB_EEDaSZ_S10_SG_SL_EUlSZ_E_NS1_11comp_targetILNS1_3genE9ELNS1_11target_archE1100ELNS1_3gpuE3ELNS1_3repE0EEENS1_47radix_sort_onesweep_sort_config_static_selectorELNS0_4arch9wavefront6targetE1EEEvSG_
	.p2align	8
	.type	_ZN7rocprim17ROCPRIM_400000_NS6detail17trampoline_kernelINS0_14default_configENS1_35radix_sort_onesweep_config_selectorIalEEZZNS1_29radix_sort_onesweep_iterationIS3_Lb0EPaS7_N6thrust23THRUST_200600_302600_NS10device_ptrIlEESB_jNS0_19identity_decomposerENS1_16block_id_wrapperIjLb1EEEEE10hipError_tT1_PNSt15iterator_traitsISG_E10value_typeET2_T3_PNSH_ISM_E10value_typeET4_T5_PSR_SS_PNS1_23onesweep_lookback_stateEbbT6_jjT7_P12ihipStream_tbENKUlT_T0_SG_SL_E_clIS7_S7_PlSB_EEDaSZ_S10_SG_SL_EUlSZ_E_NS1_11comp_targetILNS1_3genE9ELNS1_11target_archE1100ELNS1_3gpuE3ELNS1_3repE0EEENS1_47radix_sort_onesweep_sort_config_static_selectorELNS0_4arch9wavefront6targetE1EEEvSG_,@function
_ZN7rocprim17ROCPRIM_400000_NS6detail17trampoline_kernelINS0_14default_configENS1_35radix_sort_onesweep_config_selectorIalEEZZNS1_29radix_sort_onesweep_iterationIS3_Lb0EPaS7_N6thrust23THRUST_200600_302600_NS10device_ptrIlEESB_jNS0_19identity_decomposerENS1_16block_id_wrapperIjLb1EEEEE10hipError_tT1_PNSt15iterator_traitsISG_E10value_typeET2_T3_PNSH_ISM_E10value_typeET4_T5_PSR_SS_PNS1_23onesweep_lookback_stateEbbT6_jjT7_P12ihipStream_tbENKUlT_T0_SG_SL_E_clIS7_S7_PlSB_EEDaSZ_S10_SG_SL_EUlSZ_E_NS1_11comp_targetILNS1_3genE9ELNS1_11target_archE1100ELNS1_3gpuE3ELNS1_3repE0EEENS1_47radix_sort_onesweep_sort_config_static_selectorELNS0_4arch9wavefront6targetE1EEEvSG_: ; @_ZN7rocprim17ROCPRIM_400000_NS6detail17trampoline_kernelINS0_14default_configENS1_35radix_sort_onesweep_config_selectorIalEEZZNS1_29radix_sort_onesweep_iterationIS3_Lb0EPaS7_N6thrust23THRUST_200600_302600_NS10device_ptrIlEESB_jNS0_19identity_decomposerENS1_16block_id_wrapperIjLb1EEEEE10hipError_tT1_PNSt15iterator_traitsISG_E10value_typeET2_T3_PNSH_ISM_E10value_typeET4_T5_PSR_SS_PNS1_23onesweep_lookback_stateEbbT6_jjT7_P12ihipStream_tbENKUlT_T0_SG_SL_E_clIS7_S7_PlSB_EEDaSZ_S10_SG_SL_EUlSZ_E_NS1_11comp_targetILNS1_3genE9ELNS1_11target_archE1100ELNS1_3gpuE3ELNS1_3repE0EEENS1_47radix_sort_onesweep_sort_config_static_selectorELNS0_4arch9wavefront6targetE1EEEvSG_
; %bb.0:
	.section	.rodata,"a",@progbits
	.p2align	6, 0x0
	.amdhsa_kernel _ZN7rocprim17ROCPRIM_400000_NS6detail17trampoline_kernelINS0_14default_configENS1_35radix_sort_onesweep_config_selectorIalEEZZNS1_29radix_sort_onesweep_iterationIS3_Lb0EPaS7_N6thrust23THRUST_200600_302600_NS10device_ptrIlEESB_jNS0_19identity_decomposerENS1_16block_id_wrapperIjLb1EEEEE10hipError_tT1_PNSt15iterator_traitsISG_E10value_typeET2_T3_PNSH_ISM_E10value_typeET4_T5_PSR_SS_PNS1_23onesweep_lookback_stateEbbT6_jjT7_P12ihipStream_tbENKUlT_T0_SG_SL_E_clIS7_S7_PlSB_EEDaSZ_S10_SG_SL_EUlSZ_E_NS1_11comp_targetILNS1_3genE9ELNS1_11target_archE1100ELNS1_3gpuE3ELNS1_3repE0EEENS1_47radix_sort_onesweep_sort_config_static_selectorELNS0_4arch9wavefront6targetE1EEEvSG_
		.amdhsa_group_segment_fixed_size 0
		.amdhsa_private_segment_fixed_size 0
		.amdhsa_kernarg_size 88
		.amdhsa_user_sgpr_count 6
		.amdhsa_user_sgpr_private_segment_buffer 1
		.amdhsa_user_sgpr_dispatch_ptr 0
		.amdhsa_user_sgpr_queue_ptr 0
		.amdhsa_user_sgpr_kernarg_segment_ptr 1
		.amdhsa_user_sgpr_dispatch_id 0
		.amdhsa_user_sgpr_flat_scratch_init 0
		.amdhsa_user_sgpr_kernarg_preload_length 0
		.amdhsa_user_sgpr_kernarg_preload_offset 0
		.amdhsa_user_sgpr_private_segment_size 0
		.amdhsa_uses_dynamic_stack 0
		.amdhsa_system_sgpr_private_segment_wavefront_offset 0
		.amdhsa_system_sgpr_workgroup_id_x 1
		.amdhsa_system_sgpr_workgroup_id_y 0
		.amdhsa_system_sgpr_workgroup_id_z 0
		.amdhsa_system_sgpr_workgroup_info 0
		.amdhsa_system_vgpr_workitem_id 0
		.amdhsa_next_free_vgpr 1
		.amdhsa_next_free_sgpr 0
		.amdhsa_accum_offset 4
		.amdhsa_reserve_vcc 0
		.amdhsa_reserve_flat_scratch 0
		.amdhsa_float_round_mode_32 0
		.amdhsa_float_round_mode_16_64 0
		.amdhsa_float_denorm_mode_32 3
		.amdhsa_float_denorm_mode_16_64 3
		.amdhsa_dx10_clamp 1
		.amdhsa_ieee_mode 1
		.amdhsa_fp16_overflow 0
		.amdhsa_tg_split 0
		.amdhsa_exception_fp_ieee_invalid_op 0
		.amdhsa_exception_fp_denorm_src 0
		.amdhsa_exception_fp_ieee_div_zero 0
		.amdhsa_exception_fp_ieee_overflow 0
		.amdhsa_exception_fp_ieee_underflow 0
		.amdhsa_exception_fp_ieee_inexact 0
		.amdhsa_exception_int_div_zero 0
	.end_amdhsa_kernel
	.section	.text._ZN7rocprim17ROCPRIM_400000_NS6detail17trampoline_kernelINS0_14default_configENS1_35radix_sort_onesweep_config_selectorIalEEZZNS1_29radix_sort_onesweep_iterationIS3_Lb0EPaS7_N6thrust23THRUST_200600_302600_NS10device_ptrIlEESB_jNS0_19identity_decomposerENS1_16block_id_wrapperIjLb1EEEEE10hipError_tT1_PNSt15iterator_traitsISG_E10value_typeET2_T3_PNSH_ISM_E10value_typeET4_T5_PSR_SS_PNS1_23onesweep_lookback_stateEbbT6_jjT7_P12ihipStream_tbENKUlT_T0_SG_SL_E_clIS7_S7_PlSB_EEDaSZ_S10_SG_SL_EUlSZ_E_NS1_11comp_targetILNS1_3genE9ELNS1_11target_archE1100ELNS1_3gpuE3ELNS1_3repE0EEENS1_47radix_sort_onesweep_sort_config_static_selectorELNS0_4arch9wavefront6targetE1EEEvSG_,"axG",@progbits,_ZN7rocprim17ROCPRIM_400000_NS6detail17trampoline_kernelINS0_14default_configENS1_35radix_sort_onesweep_config_selectorIalEEZZNS1_29radix_sort_onesweep_iterationIS3_Lb0EPaS7_N6thrust23THRUST_200600_302600_NS10device_ptrIlEESB_jNS0_19identity_decomposerENS1_16block_id_wrapperIjLb1EEEEE10hipError_tT1_PNSt15iterator_traitsISG_E10value_typeET2_T3_PNSH_ISM_E10value_typeET4_T5_PSR_SS_PNS1_23onesweep_lookback_stateEbbT6_jjT7_P12ihipStream_tbENKUlT_T0_SG_SL_E_clIS7_S7_PlSB_EEDaSZ_S10_SG_SL_EUlSZ_E_NS1_11comp_targetILNS1_3genE9ELNS1_11target_archE1100ELNS1_3gpuE3ELNS1_3repE0EEENS1_47radix_sort_onesweep_sort_config_static_selectorELNS0_4arch9wavefront6targetE1EEEvSG_,comdat
.Lfunc_end625:
	.size	_ZN7rocprim17ROCPRIM_400000_NS6detail17trampoline_kernelINS0_14default_configENS1_35radix_sort_onesweep_config_selectorIalEEZZNS1_29radix_sort_onesweep_iterationIS3_Lb0EPaS7_N6thrust23THRUST_200600_302600_NS10device_ptrIlEESB_jNS0_19identity_decomposerENS1_16block_id_wrapperIjLb1EEEEE10hipError_tT1_PNSt15iterator_traitsISG_E10value_typeET2_T3_PNSH_ISM_E10value_typeET4_T5_PSR_SS_PNS1_23onesweep_lookback_stateEbbT6_jjT7_P12ihipStream_tbENKUlT_T0_SG_SL_E_clIS7_S7_PlSB_EEDaSZ_S10_SG_SL_EUlSZ_E_NS1_11comp_targetILNS1_3genE9ELNS1_11target_archE1100ELNS1_3gpuE3ELNS1_3repE0EEENS1_47radix_sort_onesweep_sort_config_static_selectorELNS0_4arch9wavefront6targetE1EEEvSG_, .Lfunc_end625-_ZN7rocprim17ROCPRIM_400000_NS6detail17trampoline_kernelINS0_14default_configENS1_35radix_sort_onesweep_config_selectorIalEEZZNS1_29radix_sort_onesweep_iterationIS3_Lb0EPaS7_N6thrust23THRUST_200600_302600_NS10device_ptrIlEESB_jNS0_19identity_decomposerENS1_16block_id_wrapperIjLb1EEEEE10hipError_tT1_PNSt15iterator_traitsISG_E10value_typeET2_T3_PNSH_ISM_E10value_typeET4_T5_PSR_SS_PNS1_23onesweep_lookback_stateEbbT6_jjT7_P12ihipStream_tbENKUlT_T0_SG_SL_E_clIS7_S7_PlSB_EEDaSZ_S10_SG_SL_EUlSZ_E_NS1_11comp_targetILNS1_3genE9ELNS1_11target_archE1100ELNS1_3gpuE3ELNS1_3repE0EEENS1_47radix_sort_onesweep_sort_config_static_selectorELNS0_4arch9wavefront6targetE1EEEvSG_
                                        ; -- End function
	.section	.AMDGPU.csdata,"",@progbits
; Kernel info:
; codeLenInByte = 0
; NumSgprs: 4
; NumVgprs: 0
; NumAgprs: 0
; TotalNumVgprs: 0
; ScratchSize: 0
; MemoryBound: 0
; FloatMode: 240
; IeeeMode: 1
; LDSByteSize: 0 bytes/workgroup (compile time only)
; SGPRBlocks: 0
; VGPRBlocks: 0
; NumSGPRsForWavesPerEU: 4
; NumVGPRsForWavesPerEU: 1
; AccumOffset: 4
; Occupancy: 8
; WaveLimiterHint : 0
; COMPUTE_PGM_RSRC2:SCRATCH_EN: 0
; COMPUTE_PGM_RSRC2:USER_SGPR: 6
; COMPUTE_PGM_RSRC2:TRAP_HANDLER: 0
; COMPUTE_PGM_RSRC2:TGID_X_EN: 1
; COMPUTE_PGM_RSRC2:TGID_Y_EN: 0
; COMPUTE_PGM_RSRC2:TGID_Z_EN: 0
; COMPUTE_PGM_RSRC2:TIDIG_COMP_CNT: 0
; COMPUTE_PGM_RSRC3_GFX90A:ACCUM_OFFSET: 0
; COMPUTE_PGM_RSRC3_GFX90A:TG_SPLIT: 0
	.section	.text._ZN7rocprim17ROCPRIM_400000_NS6detail17trampoline_kernelINS0_14default_configENS1_35radix_sort_onesweep_config_selectorIalEEZZNS1_29radix_sort_onesweep_iterationIS3_Lb0EPaS7_N6thrust23THRUST_200600_302600_NS10device_ptrIlEESB_jNS0_19identity_decomposerENS1_16block_id_wrapperIjLb1EEEEE10hipError_tT1_PNSt15iterator_traitsISG_E10value_typeET2_T3_PNSH_ISM_E10value_typeET4_T5_PSR_SS_PNS1_23onesweep_lookback_stateEbbT6_jjT7_P12ihipStream_tbENKUlT_T0_SG_SL_E_clIS7_S7_PlSB_EEDaSZ_S10_SG_SL_EUlSZ_E_NS1_11comp_targetILNS1_3genE8ELNS1_11target_archE1030ELNS1_3gpuE2ELNS1_3repE0EEENS1_47radix_sort_onesweep_sort_config_static_selectorELNS0_4arch9wavefront6targetE1EEEvSG_,"axG",@progbits,_ZN7rocprim17ROCPRIM_400000_NS6detail17trampoline_kernelINS0_14default_configENS1_35radix_sort_onesweep_config_selectorIalEEZZNS1_29radix_sort_onesweep_iterationIS3_Lb0EPaS7_N6thrust23THRUST_200600_302600_NS10device_ptrIlEESB_jNS0_19identity_decomposerENS1_16block_id_wrapperIjLb1EEEEE10hipError_tT1_PNSt15iterator_traitsISG_E10value_typeET2_T3_PNSH_ISM_E10value_typeET4_T5_PSR_SS_PNS1_23onesweep_lookback_stateEbbT6_jjT7_P12ihipStream_tbENKUlT_T0_SG_SL_E_clIS7_S7_PlSB_EEDaSZ_S10_SG_SL_EUlSZ_E_NS1_11comp_targetILNS1_3genE8ELNS1_11target_archE1030ELNS1_3gpuE2ELNS1_3repE0EEENS1_47radix_sort_onesweep_sort_config_static_selectorELNS0_4arch9wavefront6targetE1EEEvSG_,comdat
	.protected	_ZN7rocprim17ROCPRIM_400000_NS6detail17trampoline_kernelINS0_14default_configENS1_35radix_sort_onesweep_config_selectorIalEEZZNS1_29radix_sort_onesweep_iterationIS3_Lb0EPaS7_N6thrust23THRUST_200600_302600_NS10device_ptrIlEESB_jNS0_19identity_decomposerENS1_16block_id_wrapperIjLb1EEEEE10hipError_tT1_PNSt15iterator_traitsISG_E10value_typeET2_T3_PNSH_ISM_E10value_typeET4_T5_PSR_SS_PNS1_23onesweep_lookback_stateEbbT6_jjT7_P12ihipStream_tbENKUlT_T0_SG_SL_E_clIS7_S7_PlSB_EEDaSZ_S10_SG_SL_EUlSZ_E_NS1_11comp_targetILNS1_3genE8ELNS1_11target_archE1030ELNS1_3gpuE2ELNS1_3repE0EEENS1_47radix_sort_onesweep_sort_config_static_selectorELNS0_4arch9wavefront6targetE1EEEvSG_ ; -- Begin function _ZN7rocprim17ROCPRIM_400000_NS6detail17trampoline_kernelINS0_14default_configENS1_35radix_sort_onesweep_config_selectorIalEEZZNS1_29radix_sort_onesweep_iterationIS3_Lb0EPaS7_N6thrust23THRUST_200600_302600_NS10device_ptrIlEESB_jNS0_19identity_decomposerENS1_16block_id_wrapperIjLb1EEEEE10hipError_tT1_PNSt15iterator_traitsISG_E10value_typeET2_T3_PNSH_ISM_E10value_typeET4_T5_PSR_SS_PNS1_23onesweep_lookback_stateEbbT6_jjT7_P12ihipStream_tbENKUlT_T0_SG_SL_E_clIS7_S7_PlSB_EEDaSZ_S10_SG_SL_EUlSZ_E_NS1_11comp_targetILNS1_3genE8ELNS1_11target_archE1030ELNS1_3gpuE2ELNS1_3repE0EEENS1_47radix_sort_onesweep_sort_config_static_selectorELNS0_4arch9wavefront6targetE1EEEvSG_
	.globl	_ZN7rocprim17ROCPRIM_400000_NS6detail17trampoline_kernelINS0_14default_configENS1_35radix_sort_onesweep_config_selectorIalEEZZNS1_29radix_sort_onesweep_iterationIS3_Lb0EPaS7_N6thrust23THRUST_200600_302600_NS10device_ptrIlEESB_jNS0_19identity_decomposerENS1_16block_id_wrapperIjLb1EEEEE10hipError_tT1_PNSt15iterator_traitsISG_E10value_typeET2_T3_PNSH_ISM_E10value_typeET4_T5_PSR_SS_PNS1_23onesweep_lookback_stateEbbT6_jjT7_P12ihipStream_tbENKUlT_T0_SG_SL_E_clIS7_S7_PlSB_EEDaSZ_S10_SG_SL_EUlSZ_E_NS1_11comp_targetILNS1_3genE8ELNS1_11target_archE1030ELNS1_3gpuE2ELNS1_3repE0EEENS1_47radix_sort_onesweep_sort_config_static_selectorELNS0_4arch9wavefront6targetE1EEEvSG_
	.p2align	8
	.type	_ZN7rocprim17ROCPRIM_400000_NS6detail17trampoline_kernelINS0_14default_configENS1_35radix_sort_onesweep_config_selectorIalEEZZNS1_29radix_sort_onesweep_iterationIS3_Lb0EPaS7_N6thrust23THRUST_200600_302600_NS10device_ptrIlEESB_jNS0_19identity_decomposerENS1_16block_id_wrapperIjLb1EEEEE10hipError_tT1_PNSt15iterator_traitsISG_E10value_typeET2_T3_PNSH_ISM_E10value_typeET4_T5_PSR_SS_PNS1_23onesweep_lookback_stateEbbT6_jjT7_P12ihipStream_tbENKUlT_T0_SG_SL_E_clIS7_S7_PlSB_EEDaSZ_S10_SG_SL_EUlSZ_E_NS1_11comp_targetILNS1_3genE8ELNS1_11target_archE1030ELNS1_3gpuE2ELNS1_3repE0EEENS1_47radix_sort_onesweep_sort_config_static_selectorELNS0_4arch9wavefront6targetE1EEEvSG_,@function
_ZN7rocprim17ROCPRIM_400000_NS6detail17trampoline_kernelINS0_14default_configENS1_35radix_sort_onesweep_config_selectorIalEEZZNS1_29radix_sort_onesweep_iterationIS3_Lb0EPaS7_N6thrust23THRUST_200600_302600_NS10device_ptrIlEESB_jNS0_19identity_decomposerENS1_16block_id_wrapperIjLb1EEEEE10hipError_tT1_PNSt15iterator_traitsISG_E10value_typeET2_T3_PNSH_ISM_E10value_typeET4_T5_PSR_SS_PNS1_23onesweep_lookback_stateEbbT6_jjT7_P12ihipStream_tbENKUlT_T0_SG_SL_E_clIS7_S7_PlSB_EEDaSZ_S10_SG_SL_EUlSZ_E_NS1_11comp_targetILNS1_3genE8ELNS1_11target_archE1030ELNS1_3gpuE2ELNS1_3repE0EEENS1_47radix_sort_onesweep_sort_config_static_selectorELNS0_4arch9wavefront6targetE1EEEvSG_: ; @_ZN7rocprim17ROCPRIM_400000_NS6detail17trampoline_kernelINS0_14default_configENS1_35radix_sort_onesweep_config_selectorIalEEZZNS1_29radix_sort_onesweep_iterationIS3_Lb0EPaS7_N6thrust23THRUST_200600_302600_NS10device_ptrIlEESB_jNS0_19identity_decomposerENS1_16block_id_wrapperIjLb1EEEEE10hipError_tT1_PNSt15iterator_traitsISG_E10value_typeET2_T3_PNSH_ISM_E10value_typeET4_T5_PSR_SS_PNS1_23onesweep_lookback_stateEbbT6_jjT7_P12ihipStream_tbENKUlT_T0_SG_SL_E_clIS7_S7_PlSB_EEDaSZ_S10_SG_SL_EUlSZ_E_NS1_11comp_targetILNS1_3genE8ELNS1_11target_archE1030ELNS1_3gpuE2ELNS1_3repE0EEENS1_47radix_sort_onesweep_sort_config_static_selectorELNS0_4arch9wavefront6targetE1EEEvSG_
; %bb.0:
	.section	.rodata,"a",@progbits
	.p2align	6, 0x0
	.amdhsa_kernel _ZN7rocprim17ROCPRIM_400000_NS6detail17trampoline_kernelINS0_14default_configENS1_35radix_sort_onesweep_config_selectorIalEEZZNS1_29radix_sort_onesweep_iterationIS3_Lb0EPaS7_N6thrust23THRUST_200600_302600_NS10device_ptrIlEESB_jNS0_19identity_decomposerENS1_16block_id_wrapperIjLb1EEEEE10hipError_tT1_PNSt15iterator_traitsISG_E10value_typeET2_T3_PNSH_ISM_E10value_typeET4_T5_PSR_SS_PNS1_23onesweep_lookback_stateEbbT6_jjT7_P12ihipStream_tbENKUlT_T0_SG_SL_E_clIS7_S7_PlSB_EEDaSZ_S10_SG_SL_EUlSZ_E_NS1_11comp_targetILNS1_3genE8ELNS1_11target_archE1030ELNS1_3gpuE2ELNS1_3repE0EEENS1_47radix_sort_onesweep_sort_config_static_selectorELNS0_4arch9wavefront6targetE1EEEvSG_
		.amdhsa_group_segment_fixed_size 0
		.amdhsa_private_segment_fixed_size 0
		.amdhsa_kernarg_size 88
		.amdhsa_user_sgpr_count 6
		.amdhsa_user_sgpr_private_segment_buffer 1
		.amdhsa_user_sgpr_dispatch_ptr 0
		.amdhsa_user_sgpr_queue_ptr 0
		.amdhsa_user_sgpr_kernarg_segment_ptr 1
		.amdhsa_user_sgpr_dispatch_id 0
		.amdhsa_user_sgpr_flat_scratch_init 0
		.amdhsa_user_sgpr_kernarg_preload_length 0
		.amdhsa_user_sgpr_kernarg_preload_offset 0
		.amdhsa_user_sgpr_private_segment_size 0
		.amdhsa_uses_dynamic_stack 0
		.amdhsa_system_sgpr_private_segment_wavefront_offset 0
		.amdhsa_system_sgpr_workgroup_id_x 1
		.amdhsa_system_sgpr_workgroup_id_y 0
		.amdhsa_system_sgpr_workgroup_id_z 0
		.amdhsa_system_sgpr_workgroup_info 0
		.amdhsa_system_vgpr_workitem_id 0
		.amdhsa_next_free_vgpr 1
		.amdhsa_next_free_sgpr 0
		.amdhsa_accum_offset 4
		.amdhsa_reserve_vcc 0
		.amdhsa_reserve_flat_scratch 0
		.amdhsa_float_round_mode_32 0
		.amdhsa_float_round_mode_16_64 0
		.amdhsa_float_denorm_mode_32 3
		.amdhsa_float_denorm_mode_16_64 3
		.amdhsa_dx10_clamp 1
		.amdhsa_ieee_mode 1
		.amdhsa_fp16_overflow 0
		.amdhsa_tg_split 0
		.amdhsa_exception_fp_ieee_invalid_op 0
		.amdhsa_exception_fp_denorm_src 0
		.amdhsa_exception_fp_ieee_div_zero 0
		.amdhsa_exception_fp_ieee_overflow 0
		.amdhsa_exception_fp_ieee_underflow 0
		.amdhsa_exception_fp_ieee_inexact 0
		.amdhsa_exception_int_div_zero 0
	.end_amdhsa_kernel
	.section	.text._ZN7rocprim17ROCPRIM_400000_NS6detail17trampoline_kernelINS0_14default_configENS1_35radix_sort_onesweep_config_selectorIalEEZZNS1_29radix_sort_onesweep_iterationIS3_Lb0EPaS7_N6thrust23THRUST_200600_302600_NS10device_ptrIlEESB_jNS0_19identity_decomposerENS1_16block_id_wrapperIjLb1EEEEE10hipError_tT1_PNSt15iterator_traitsISG_E10value_typeET2_T3_PNSH_ISM_E10value_typeET4_T5_PSR_SS_PNS1_23onesweep_lookback_stateEbbT6_jjT7_P12ihipStream_tbENKUlT_T0_SG_SL_E_clIS7_S7_PlSB_EEDaSZ_S10_SG_SL_EUlSZ_E_NS1_11comp_targetILNS1_3genE8ELNS1_11target_archE1030ELNS1_3gpuE2ELNS1_3repE0EEENS1_47radix_sort_onesweep_sort_config_static_selectorELNS0_4arch9wavefront6targetE1EEEvSG_,"axG",@progbits,_ZN7rocprim17ROCPRIM_400000_NS6detail17trampoline_kernelINS0_14default_configENS1_35radix_sort_onesweep_config_selectorIalEEZZNS1_29radix_sort_onesweep_iterationIS3_Lb0EPaS7_N6thrust23THRUST_200600_302600_NS10device_ptrIlEESB_jNS0_19identity_decomposerENS1_16block_id_wrapperIjLb1EEEEE10hipError_tT1_PNSt15iterator_traitsISG_E10value_typeET2_T3_PNSH_ISM_E10value_typeET4_T5_PSR_SS_PNS1_23onesweep_lookback_stateEbbT6_jjT7_P12ihipStream_tbENKUlT_T0_SG_SL_E_clIS7_S7_PlSB_EEDaSZ_S10_SG_SL_EUlSZ_E_NS1_11comp_targetILNS1_3genE8ELNS1_11target_archE1030ELNS1_3gpuE2ELNS1_3repE0EEENS1_47radix_sort_onesweep_sort_config_static_selectorELNS0_4arch9wavefront6targetE1EEEvSG_,comdat
.Lfunc_end626:
	.size	_ZN7rocprim17ROCPRIM_400000_NS6detail17trampoline_kernelINS0_14default_configENS1_35radix_sort_onesweep_config_selectorIalEEZZNS1_29radix_sort_onesweep_iterationIS3_Lb0EPaS7_N6thrust23THRUST_200600_302600_NS10device_ptrIlEESB_jNS0_19identity_decomposerENS1_16block_id_wrapperIjLb1EEEEE10hipError_tT1_PNSt15iterator_traitsISG_E10value_typeET2_T3_PNSH_ISM_E10value_typeET4_T5_PSR_SS_PNS1_23onesweep_lookback_stateEbbT6_jjT7_P12ihipStream_tbENKUlT_T0_SG_SL_E_clIS7_S7_PlSB_EEDaSZ_S10_SG_SL_EUlSZ_E_NS1_11comp_targetILNS1_3genE8ELNS1_11target_archE1030ELNS1_3gpuE2ELNS1_3repE0EEENS1_47radix_sort_onesweep_sort_config_static_selectorELNS0_4arch9wavefront6targetE1EEEvSG_, .Lfunc_end626-_ZN7rocprim17ROCPRIM_400000_NS6detail17trampoline_kernelINS0_14default_configENS1_35radix_sort_onesweep_config_selectorIalEEZZNS1_29radix_sort_onesweep_iterationIS3_Lb0EPaS7_N6thrust23THRUST_200600_302600_NS10device_ptrIlEESB_jNS0_19identity_decomposerENS1_16block_id_wrapperIjLb1EEEEE10hipError_tT1_PNSt15iterator_traitsISG_E10value_typeET2_T3_PNSH_ISM_E10value_typeET4_T5_PSR_SS_PNS1_23onesweep_lookback_stateEbbT6_jjT7_P12ihipStream_tbENKUlT_T0_SG_SL_E_clIS7_S7_PlSB_EEDaSZ_S10_SG_SL_EUlSZ_E_NS1_11comp_targetILNS1_3genE8ELNS1_11target_archE1030ELNS1_3gpuE2ELNS1_3repE0EEENS1_47radix_sort_onesweep_sort_config_static_selectorELNS0_4arch9wavefront6targetE1EEEvSG_
                                        ; -- End function
	.section	.AMDGPU.csdata,"",@progbits
; Kernel info:
; codeLenInByte = 0
; NumSgprs: 4
; NumVgprs: 0
; NumAgprs: 0
; TotalNumVgprs: 0
; ScratchSize: 0
; MemoryBound: 0
; FloatMode: 240
; IeeeMode: 1
; LDSByteSize: 0 bytes/workgroup (compile time only)
; SGPRBlocks: 0
; VGPRBlocks: 0
; NumSGPRsForWavesPerEU: 4
; NumVGPRsForWavesPerEU: 1
; AccumOffset: 4
; Occupancy: 8
; WaveLimiterHint : 0
; COMPUTE_PGM_RSRC2:SCRATCH_EN: 0
; COMPUTE_PGM_RSRC2:USER_SGPR: 6
; COMPUTE_PGM_RSRC2:TRAP_HANDLER: 0
; COMPUTE_PGM_RSRC2:TGID_X_EN: 1
; COMPUTE_PGM_RSRC2:TGID_Y_EN: 0
; COMPUTE_PGM_RSRC2:TGID_Z_EN: 0
; COMPUTE_PGM_RSRC2:TIDIG_COMP_CNT: 0
; COMPUTE_PGM_RSRC3_GFX90A:ACCUM_OFFSET: 0
; COMPUTE_PGM_RSRC3_GFX90A:TG_SPLIT: 0
	.section	.text._ZN7rocprim17ROCPRIM_400000_NS6detail17trampoline_kernelINS0_14default_configENS1_35radix_sort_onesweep_config_selectorIalEEZZNS1_29radix_sort_onesweep_iterationIS3_Lb0EPaS7_N6thrust23THRUST_200600_302600_NS10device_ptrIlEESB_jNS0_19identity_decomposerENS1_16block_id_wrapperIjLb0EEEEE10hipError_tT1_PNSt15iterator_traitsISG_E10value_typeET2_T3_PNSH_ISM_E10value_typeET4_T5_PSR_SS_PNS1_23onesweep_lookback_stateEbbT6_jjT7_P12ihipStream_tbENKUlT_T0_SG_SL_E_clIS7_S7_SB_SB_EEDaSZ_S10_SG_SL_EUlSZ_E_NS1_11comp_targetILNS1_3genE0ELNS1_11target_archE4294967295ELNS1_3gpuE0ELNS1_3repE0EEENS1_47radix_sort_onesweep_sort_config_static_selectorELNS0_4arch9wavefront6targetE1EEEvSG_,"axG",@progbits,_ZN7rocprim17ROCPRIM_400000_NS6detail17trampoline_kernelINS0_14default_configENS1_35radix_sort_onesweep_config_selectorIalEEZZNS1_29radix_sort_onesweep_iterationIS3_Lb0EPaS7_N6thrust23THRUST_200600_302600_NS10device_ptrIlEESB_jNS0_19identity_decomposerENS1_16block_id_wrapperIjLb0EEEEE10hipError_tT1_PNSt15iterator_traitsISG_E10value_typeET2_T3_PNSH_ISM_E10value_typeET4_T5_PSR_SS_PNS1_23onesweep_lookback_stateEbbT6_jjT7_P12ihipStream_tbENKUlT_T0_SG_SL_E_clIS7_S7_SB_SB_EEDaSZ_S10_SG_SL_EUlSZ_E_NS1_11comp_targetILNS1_3genE0ELNS1_11target_archE4294967295ELNS1_3gpuE0ELNS1_3repE0EEENS1_47radix_sort_onesweep_sort_config_static_selectorELNS0_4arch9wavefront6targetE1EEEvSG_,comdat
	.protected	_ZN7rocprim17ROCPRIM_400000_NS6detail17trampoline_kernelINS0_14default_configENS1_35radix_sort_onesweep_config_selectorIalEEZZNS1_29radix_sort_onesweep_iterationIS3_Lb0EPaS7_N6thrust23THRUST_200600_302600_NS10device_ptrIlEESB_jNS0_19identity_decomposerENS1_16block_id_wrapperIjLb0EEEEE10hipError_tT1_PNSt15iterator_traitsISG_E10value_typeET2_T3_PNSH_ISM_E10value_typeET4_T5_PSR_SS_PNS1_23onesweep_lookback_stateEbbT6_jjT7_P12ihipStream_tbENKUlT_T0_SG_SL_E_clIS7_S7_SB_SB_EEDaSZ_S10_SG_SL_EUlSZ_E_NS1_11comp_targetILNS1_3genE0ELNS1_11target_archE4294967295ELNS1_3gpuE0ELNS1_3repE0EEENS1_47radix_sort_onesweep_sort_config_static_selectorELNS0_4arch9wavefront6targetE1EEEvSG_ ; -- Begin function _ZN7rocprim17ROCPRIM_400000_NS6detail17trampoline_kernelINS0_14default_configENS1_35radix_sort_onesweep_config_selectorIalEEZZNS1_29radix_sort_onesweep_iterationIS3_Lb0EPaS7_N6thrust23THRUST_200600_302600_NS10device_ptrIlEESB_jNS0_19identity_decomposerENS1_16block_id_wrapperIjLb0EEEEE10hipError_tT1_PNSt15iterator_traitsISG_E10value_typeET2_T3_PNSH_ISM_E10value_typeET4_T5_PSR_SS_PNS1_23onesweep_lookback_stateEbbT6_jjT7_P12ihipStream_tbENKUlT_T0_SG_SL_E_clIS7_S7_SB_SB_EEDaSZ_S10_SG_SL_EUlSZ_E_NS1_11comp_targetILNS1_3genE0ELNS1_11target_archE4294967295ELNS1_3gpuE0ELNS1_3repE0EEENS1_47radix_sort_onesweep_sort_config_static_selectorELNS0_4arch9wavefront6targetE1EEEvSG_
	.globl	_ZN7rocprim17ROCPRIM_400000_NS6detail17trampoline_kernelINS0_14default_configENS1_35radix_sort_onesweep_config_selectorIalEEZZNS1_29radix_sort_onesweep_iterationIS3_Lb0EPaS7_N6thrust23THRUST_200600_302600_NS10device_ptrIlEESB_jNS0_19identity_decomposerENS1_16block_id_wrapperIjLb0EEEEE10hipError_tT1_PNSt15iterator_traitsISG_E10value_typeET2_T3_PNSH_ISM_E10value_typeET4_T5_PSR_SS_PNS1_23onesweep_lookback_stateEbbT6_jjT7_P12ihipStream_tbENKUlT_T0_SG_SL_E_clIS7_S7_SB_SB_EEDaSZ_S10_SG_SL_EUlSZ_E_NS1_11comp_targetILNS1_3genE0ELNS1_11target_archE4294967295ELNS1_3gpuE0ELNS1_3repE0EEENS1_47radix_sort_onesweep_sort_config_static_selectorELNS0_4arch9wavefront6targetE1EEEvSG_
	.p2align	8
	.type	_ZN7rocprim17ROCPRIM_400000_NS6detail17trampoline_kernelINS0_14default_configENS1_35radix_sort_onesweep_config_selectorIalEEZZNS1_29radix_sort_onesweep_iterationIS3_Lb0EPaS7_N6thrust23THRUST_200600_302600_NS10device_ptrIlEESB_jNS0_19identity_decomposerENS1_16block_id_wrapperIjLb0EEEEE10hipError_tT1_PNSt15iterator_traitsISG_E10value_typeET2_T3_PNSH_ISM_E10value_typeET4_T5_PSR_SS_PNS1_23onesweep_lookback_stateEbbT6_jjT7_P12ihipStream_tbENKUlT_T0_SG_SL_E_clIS7_S7_SB_SB_EEDaSZ_S10_SG_SL_EUlSZ_E_NS1_11comp_targetILNS1_3genE0ELNS1_11target_archE4294967295ELNS1_3gpuE0ELNS1_3repE0EEENS1_47radix_sort_onesweep_sort_config_static_selectorELNS0_4arch9wavefront6targetE1EEEvSG_,@function
_ZN7rocprim17ROCPRIM_400000_NS6detail17trampoline_kernelINS0_14default_configENS1_35radix_sort_onesweep_config_selectorIalEEZZNS1_29radix_sort_onesweep_iterationIS3_Lb0EPaS7_N6thrust23THRUST_200600_302600_NS10device_ptrIlEESB_jNS0_19identity_decomposerENS1_16block_id_wrapperIjLb0EEEEE10hipError_tT1_PNSt15iterator_traitsISG_E10value_typeET2_T3_PNSH_ISM_E10value_typeET4_T5_PSR_SS_PNS1_23onesweep_lookback_stateEbbT6_jjT7_P12ihipStream_tbENKUlT_T0_SG_SL_E_clIS7_S7_SB_SB_EEDaSZ_S10_SG_SL_EUlSZ_E_NS1_11comp_targetILNS1_3genE0ELNS1_11target_archE4294967295ELNS1_3gpuE0ELNS1_3repE0EEENS1_47radix_sort_onesweep_sort_config_static_selectorELNS0_4arch9wavefront6targetE1EEEvSG_: ; @_ZN7rocprim17ROCPRIM_400000_NS6detail17trampoline_kernelINS0_14default_configENS1_35radix_sort_onesweep_config_selectorIalEEZZNS1_29radix_sort_onesweep_iterationIS3_Lb0EPaS7_N6thrust23THRUST_200600_302600_NS10device_ptrIlEESB_jNS0_19identity_decomposerENS1_16block_id_wrapperIjLb0EEEEE10hipError_tT1_PNSt15iterator_traitsISG_E10value_typeET2_T3_PNSH_ISM_E10value_typeET4_T5_PSR_SS_PNS1_23onesweep_lookback_stateEbbT6_jjT7_P12ihipStream_tbENKUlT_T0_SG_SL_E_clIS7_S7_SB_SB_EEDaSZ_S10_SG_SL_EUlSZ_E_NS1_11comp_targetILNS1_3genE0ELNS1_11target_archE4294967295ELNS1_3gpuE0ELNS1_3repE0EEENS1_47radix_sort_onesweep_sort_config_static_selectorELNS0_4arch9wavefront6targetE1EEEvSG_
; %bb.0:
	.section	.rodata,"a",@progbits
	.p2align	6, 0x0
	.amdhsa_kernel _ZN7rocprim17ROCPRIM_400000_NS6detail17trampoline_kernelINS0_14default_configENS1_35radix_sort_onesweep_config_selectorIalEEZZNS1_29radix_sort_onesweep_iterationIS3_Lb0EPaS7_N6thrust23THRUST_200600_302600_NS10device_ptrIlEESB_jNS0_19identity_decomposerENS1_16block_id_wrapperIjLb0EEEEE10hipError_tT1_PNSt15iterator_traitsISG_E10value_typeET2_T3_PNSH_ISM_E10value_typeET4_T5_PSR_SS_PNS1_23onesweep_lookback_stateEbbT6_jjT7_P12ihipStream_tbENKUlT_T0_SG_SL_E_clIS7_S7_SB_SB_EEDaSZ_S10_SG_SL_EUlSZ_E_NS1_11comp_targetILNS1_3genE0ELNS1_11target_archE4294967295ELNS1_3gpuE0ELNS1_3repE0EEENS1_47radix_sort_onesweep_sort_config_static_selectorELNS0_4arch9wavefront6targetE1EEEvSG_
		.amdhsa_group_segment_fixed_size 0
		.amdhsa_private_segment_fixed_size 0
		.amdhsa_kernarg_size 88
		.amdhsa_user_sgpr_count 6
		.amdhsa_user_sgpr_private_segment_buffer 1
		.amdhsa_user_sgpr_dispatch_ptr 0
		.amdhsa_user_sgpr_queue_ptr 0
		.amdhsa_user_sgpr_kernarg_segment_ptr 1
		.amdhsa_user_sgpr_dispatch_id 0
		.amdhsa_user_sgpr_flat_scratch_init 0
		.amdhsa_user_sgpr_kernarg_preload_length 0
		.amdhsa_user_sgpr_kernarg_preload_offset 0
		.amdhsa_user_sgpr_private_segment_size 0
		.amdhsa_uses_dynamic_stack 0
		.amdhsa_system_sgpr_private_segment_wavefront_offset 0
		.amdhsa_system_sgpr_workgroup_id_x 1
		.amdhsa_system_sgpr_workgroup_id_y 0
		.amdhsa_system_sgpr_workgroup_id_z 0
		.amdhsa_system_sgpr_workgroup_info 0
		.amdhsa_system_vgpr_workitem_id 0
		.amdhsa_next_free_vgpr 1
		.amdhsa_next_free_sgpr 0
		.amdhsa_accum_offset 4
		.amdhsa_reserve_vcc 0
		.amdhsa_reserve_flat_scratch 0
		.amdhsa_float_round_mode_32 0
		.amdhsa_float_round_mode_16_64 0
		.amdhsa_float_denorm_mode_32 3
		.amdhsa_float_denorm_mode_16_64 3
		.amdhsa_dx10_clamp 1
		.amdhsa_ieee_mode 1
		.amdhsa_fp16_overflow 0
		.amdhsa_tg_split 0
		.amdhsa_exception_fp_ieee_invalid_op 0
		.amdhsa_exception_fp_denorm_src 0
		.amdhsa_exception_fp_ieee_div_zero 0
		.amdhsa_exception_fp_ieee_overflow 0
		.amdhsa_exception_fp_ieee_underflow 0
		.amdhsa_exception_fp_ieee_inexact 0
		.amdhsa_exception_int_div_zero 0
	.end_amdhsa_kernel
	.section	.text._ZN7rocprim17ROCPRIM_400000_NS6detail17trampoline_kernelINS0_14default_configENS1_35radix_sort_onesweep_config_selectorIalEEZZNS1_29radix_sort_onesweep_iterationIS3_Lb0EPaS7_N6thrust23THRUST_200600_302600_NS10device_ptrIlEESB_jNS0_19identity_decomposerENS1_16block_id_wrapperIjLb0EEEEE10hipError_tT1_PNSt15iterator_traitsISG_E10value_typeET2_T3_PNSH_ISM_E10value_typeET4_T5_PSR_SS_PNS1_23onesweep_lookback_stateEbbT6_jjT7_P12ihipStream_tbENKUlT_T0_SG_SL_E_clIS7_S7_SB_SB_EEDaSZ_S10_SG_SL_EUlSZ_E_NS1_11comp_targetILNS1_3genE0ELNS1_11target_archE4294967295ELNS1_3gpuE0ELNS1_3repE0EEENS1_47radix_sort_onesweep_sort_config_static_selectorELNS0_4arch9wavefront6targetE1EEEvSG_,"axG",@progbits,_ZN7rocprim17ROCPRIM_400000_NS6detail17trampoline_kernelINS0_14default_configENS1_35radix_sort_onesweep_config_selectorIalEEZZNS1_29radix_sort_onesweep_iterationIS3_Lb0EPaS7_N6thrust23THRUST_200600_302600_NS10device_ptrIlEESB_jNS0_19identity_decomposerENS1_16block_id_wrapperIjLb0EEEEE10hipError_tT1_PNSt15iterator_traitsISG_E10value_typeET2_T3_PNSH_ISM_E10value_typeET4_T5_PSR_SS_PNS1_23onesweep_lookback_stateEbbT6_jjT7_P12ihipStream_tbENKUlT_T0_SG_SL_E_clIS7_S7_SB_SB_EEDaSZ_S10_SG_SL_EUlSZ_E_NS1_11comp_targetILNS1_3genE0ELNS1_11target_archE4294967295ELNS1_3gpuE0ELNS1_3repE0EEENS1_47radix_sort_onesweep_sort_config_static_selectorELNS0_4arch9wavefront6targetE1EEEvSG_,comdat
.Lfunc_end627:
	.size	_ZN7rocprim17ROCPRIM_400000_NS6detail17trampoline_kernelINS0_14default_configENS1_35radix_sort_onesweep_config_selectorIalEEZZNS1_29radix_sort_onesweep_iterationIS3_Lb0EPaS7_N6thrust23THRUST_200600_302600_NS10device_ptrIlEESB_jNS0_19identity_decomposerENS1_16block_id_wrapperIjLb0EEEEE10hipError_tT1_PNSt15iterator_traitsISG_E10value_typeET2_T3_PNSH_ISM_E10value_typeET4_T5_PSR_SS_PNS1_23onesweep_lookback_stateEbbT6_jjT7_P12ihipStream_tbENKUlT_T0_SG_SL_E_clIS7_S7_SB_SB_EEDaSZ_S10_SG_SL_EUlSZ_E_NS1_11comp_targetILNS1_3genE0ELNS1_11target_archE4294967295ELNS1_3gpuE0ELNS1_3repE0EEENS1_47radix_sort_onesweep_sort_config_static_selectorELNS0_4arch9wavefront6targetE1EEEvSG_, .Lfunc_end627-_ZN7rocprim17ROCPRIM_400000_NS6detail17trampoline_kernelINS0_14default_configENS1_35radix_sort_onesweep_config_selectorIalEEZZNS1_29radix_sort_onesweep_iterationIS3_Lb0EPaS7_N6thrust23THRUST_200600_302600_NS10device_ptrIlEESB_jNS0_19identity_decomposerENS1_16block_id_wrapperIjLb0EEEEE10hipError_tT1_PNSt15iterator_traitsISG_E10value_typeET2_T3_PNSH_ISM_E10value_typeET4_T5_PSR_SS_PNS1_23onesweep_lookback_stateEbbT6_jjT7_P12ihipStream_tbENKUlT_T0_SG_SL_E_clIS7_S7_SB_SB_EEDaSZ_S10_SG_SL_EUlSZ_E_NS1_11comp_targetILNS1_3genE0ELNS1_11target_archE4294967295ELNS1_3gpuE0ELNS1_3repE0EEENS1_47radix_sort_onesweep_sort_config_static_selectorELNS0_4arch9wavefront6targetE1EEEvSG_
                                        ; -- End function
	.section	.AMDGPU.csdata,"",@progbits
; Kernel info:
; codeLenInByte = 0
; NumSgprs: 4
; NumVgprs: 0
; NumAgprs: 0
; TotalNumVgprs: 0
; ScratchSize: 0
; MemoryBound: 0
; FloatMode: 240
; IeeeMode: 1
; LDSByteSize: 0 bytes/workgroup (compile time only)
; SGPRBlocks: 0
; VGPRBlocks: 0
; NumSGPRsForWavesPerEU: 4
; NumVGPRsForWavesPerEU: 1
; AccumOffset: 4
; Occupancy: 8
; WaveLimiterHint : 0
; COMPUTE_PGM_RSRC2:SCRATCH_EN: 0
; COMPUTE_PGM_RSRC2:USER_SGPR: 6
; COMPUTE_PGM_RSRC2:TRAP_HANDLER: 0
; COMPUTE_PGM_RSRC2:TGID_X_EN: 1
; COMPUTE_PGM_RSRC2:TGID_Y_EN: 0
; COMPUTE_PGM_RSRC2:TGID_Z_EN: 0
; COMPUTE_PGM_RSRC2:TIDIG_COMP_CNT: 0
; COMPUTE_PGM_RSRC3_GFX90A:ACCUM_OFFSET: 0
; COMPUTE_PGM_RSRC3_GFX90A:TG_SPLIT: 0
	.section	.text._ZN7rocprim17ROCPRIM_400000_NS6detail17trampoline_kernelINS0_14default_configENS1_35radix_sort_onesweep_config_selectorIalEEZZNS1_29radix_sort_onesweep_iterationIS3_Lb0EPaS7_N6thrust23THRUST_200600_302600_NS10device_ptrIlEESB_jNS0_19identity_decomposerENS1_16block_id_wrapperIjLb0EEEEE10hipError_tT1_PNSt15iterator_traitsISG_E10value_typeET2_T3_PNSH_ISM_E10value_typeET4_T5_PSR_SS_PNS1_23onesweep_lookback_stateEbbT6_jjT7_P12ihipStream_tbENKUlT_T0_SG_SL_E_clIS7_S7_SB_SB_EEDaSZ_S10_SG_SL_EUlSZ_E_NS1_11comp_targetILNS1_3genE6ELNS1_11target_archE950ELNS1_3gpuE13ELNS1_3repE0EEENS1_47radix_sort_onesweep_sort_config_static_selectorELNS0_4arch9wavefront6targetE1EEEvSG_,"axG",@progbits,_ZN7rocprim17ROCPRIM_400000_NS6detail17trampoline_kernelINS0_14default_configENS1_35radix_sort_onesweep_config_selectorIalEEZZNS1_29radix_sort_onesweep_iterationIS3_Lb0EPaS7_N6thrust23THRUST_200600_302600_NS10device_ptrIlEESB_jNS0_19identity_decomposerENS1_16block_id_wrapperIjLb0EEEEE10hipError_tT1_PNSt15iterator_traitsISG_E10value_typeET2_T3_PNSH_ISM_E10value_typeET4_T5_PSR_SS_PNS1_23onesweep_lookback_stateEbbT6_jjT7_P12ihipStream_tbENKUlT_T0_SG_SL_E_clIS7_S7_SB_SB_EEDaSZ_S10_SG_SL_EUlSZ_E_NS1_11comp_targetILNS1_3genE6ELNS1_11target_archE950ELNS1_3gpuE13ELNS1_3repE0EEENS1_47radix_sort_onesweep_sort_config_static_selectorELNS0_4arch9wavefront6targetE1EEEvSG_,comdat
	.protected	_ZN7rocprim17ROCPRIM_400000_NS6detail17trampoline_kernelINS0_14default_configENS1_35radix_sort_onesweep_config_selectorIalEEZZNS1_29radix_sort_onesweep_iterationIS3_Lb0EPaS7_N6thrust23THRUST_200600_302600_NS10device_ptrIlEESB_jNS0_19identity_decomposerENS1_16block_id_wrapperIjLb0EEEEE10hipError_tT1_PNSt15iterator_traitsISG_E10value_typeET2_T3_PNSH_ISM_E10value_typeET4_T5_PSR_SS_PNS1_23onesweep_lookback_stateEbbT6_jjT7_P12ihipStream_tbENKUlT_T0_SG_SL_E_clIS7_S7_SB_SB_EEDaSZ_S10_SG_SL_EUlSZ_E_NS1_11comp_targetILNS1_3genE6ELNS1_11target_archE950ELNS1_3gpuE13ELNS1_3repE0EEENS1_47radix_sort_onesweep_sort_config_static_selectorELNS0_4arch9wavefront6targetE1EEEvSG_ ; -- Begin function _ZN7rocprim17ROCPRIM_400000_NS6detail17trampoline_kernelINS0_14default_configENS1_35radix_sort_onesweep_config_selectorIalEEZZNS1_29radix_sort_onesweep_iterationIS3_Lb0EPaS7_N6thrust23THRUST_200600_302600_NS10device_ptrIlEESB_jNS0_19identity_decomposerENS1_16block_id_wrapperIjLb0EEEEE10hipError_tT1_PNSt15iterator_traitsISG_E10value_typeET2_T3_PNSH_ISM_E10value_typeET4_T5_PSR_SS_PNS1_23onesweep_lookback_stateEbbT6_jjT7_P12ihipStream_tbENKUlT_T0_SG_SL_E_clIS7_S7_SB_SB_EEDaSZ_S10_SG_SL_EUlSZ_E_NS1_11comp_targetILNS1_3genE6ELNS1_11target_archE950ELNS1_3gpuE13ELNS1_3repE0EEENS1_47radix_sort_onesweep_sort_config_static_selectorELNS0_4arch9wavefront6targetE1EEEvSG_
	.globl	_ZN7rocprim17ROCPRIM_400000_NS6detail17trampoline_kernelINS0_14default_configENS1_35radix_sort_onesweep_config_selectorIalEEZZNS1_29radix_sort_onesweep_iterationIS3_Lb0EPaS7_N6thrust23THRUST_200600_302600_NS10device_ptrIlEESB_jNS0_19identity_decomposerENS1_16block_id_wrapperIjLb0EEEEE10hipError_tT1_PNSt15iterator_traitsISG_E10value_typeET2_T3_PNSH_ISM_E10value_typeET4_T5_PSR_SS_PNS1_23onesweep_lookback_stateEbbT6_jjT7_P12ihipStream_tbENKUlT_T0_SG_SL_E_clIS7_S7_SB_SB_EEDaSZ_S10_SG_SL_EUlSZ_E_NS1_11comp_targetILNS1_3genE6ELNS1_11target_archE950ELNS1_3gpuE13ELNS1_3repE0EEENS1_47radix_sort_onesweep_sort_config_static_selectorELNS0_4arch9wavefront6targetE1EEEvSG_
	.p2align	8
	.type	_ZN7rocprim17ROCPRIM_400000_NS6detail17trampoline_kernelINS0_14default_configENS1_35radix_sort_onesweep_config_selectorIalEEZZNS1_29radix_sort_onesweep_iterationIS3_Lb0EPaS7_N6thrust23THRUST_200600_302600_NS10device_ptrIlEESB_jNS0_19identity_decomposerENS1_16block_id_wrapperIjLb0EEEEE10hipError_tT1_PNSt15iterator_traitsISG_E10value_typeET2_T3_PNSH_ISM_E10value_typeET4_T5_PSR_SS_PNS1_23onesweep_lookback_stateEbbT6_jjT7_P12ihipStream_tbENKUlT_T0_SG_SL_E_clIS7_S7_SB_SB_EEDaSZ_S10_SG_SL_EUlSZ_E_NS1_11comp_targetILNS1_3genE6ELNS1_11target_archE950ELNS1_3gpuE13ELNS1_3repE0EEENS1_47radix_sort_onesweep_sort_config_static_selectorELNS0_4arch9wavefront6targetE1EEEvSG_,@function
_ZN7rocprim17ROCPRIM_400000_NS6detail17trampoline_kernelINS0_14default_configENS1_35radix_sort_onesweep_config_selectorIalEEZZNS1_29radix_sort_onesweep_iterationIS3_Lb0EPaS7_N6thrust23THRUST_200600_302600_NS10device_ptrIlEESB_jNS0_19identity_decomposerENS1_16block_id_wrapperIjLb0EEEEE10hipError_tT1_PNSt15iterator_traitsISG_E10value_typeET2_T3_PNSH_ISM_E10value_typeET4_T5_PSR_SS_PNS1_23onesweep_lookback_stateEbbT6_jjT7_P12ihipStream_tbENKUlT_T0_SG_SL_E_clIS7_S7_SB_SB_EEDaSZ_S10_SG_SL_EUlSZ_E_NS1_11comp_targetILNS1_3genE6ELNS1_11target_archE950ELNS1_3gpuE13ELNS1_3repE0EEENS1_47radix_sort_onesweep_sort_config_static_selectorELNS0_4arch9wavefront6targetE1EEEvSG_: ; @_ZN7rocprim17ROCPRIM_400000_NS6detail17trampoline_kernelINS0_14default_configENS1_35radix_sort_onesweep_config_selectorIalEEZZNS1_29radix_sort_onesweep_iterationIS3_Lb0EPaS7_N6thrust23THRUST_200600_302600_NS10device_ptrIlEESB_jNS0_19identity_decomposerENS1_16block_id_wrapperIjLb0EEEEE10hipError_tT1_PNSt15iterator_traitsISG_E10value_typeET2_T3_PNSH_ISM_E10value_typeET4_T5_PSR_SS_PNS1_23onesweep_lookback_stateEbbT6_jjT7_P12ihipStream_tbENKUlT_T0_SG_SL_E_clIS7_S7_SB_SB_EEDaSZ_S10_SG_SL_EUlSZ_E_NS1_11comp_targetILNS1_3genE6ELNS1_11target_archE950ELNS1_3gpuE13ELNS1_3repE0EEENS1_47radix_sort_onesweep_sort_config_static_selectorELNS0_4arch9wavefront6targetE1EEEvSG_
; %bb.0:
	.section	.rodata,"a",@progbits
	.p2align	6, 0x0
	.amdhsa_kernel _ZN7rocprim17ROCPRIM_400000_NS6detail17trampoline_kernelINS0_14default_configENS1_35radix_sort_onesweep_config_selectorIalEEZZNS1_29radix_sort_onesweep_iterationIS3_Lb0EPaS7_N6thrust23THRUST_200600_302600_NS10device_ptrIlEESB_jNS0_19identity_decomposerENS1_16block_id_wrapperIjLb0EEEEE10hipError_tT1_PNSt15iterator_traitsISG_E10value_typeET2_T3_PNSH_ISM_E10value_typeET4_T5_PSR_SS_PNS1_23onesweep_lookback_stateEbbT6_jjT7_P12ihipStream_tbENKUlT_T0_SG_SL_E_clIS7_S7_SB_SB_EEDaSZ_S10_SG_SL_EUlSZ_E_NS1_11comp_targetILNS1_3genE6ELNS1_11target_archE950ELNS1_3gpuE13ELNS1_3repE0EEENS1_47radix_sort_onesweep_sort_config_static_selectorELNS0_4arch9wavefront6targetE1EEEvSG_
		.amdhsa_group_segment_fixed_size 0
		.amdhsa_private_segment_fixed_size 0
		.amdhsa_kernarg_size 88
		.amdhsa_user_sgpr_count 6
		.amdhsa_user_sgpr_private_segment_buffer 1
		.amdhsa_user_sgpr_dispatch_ptr 0
		.amdhsa_user_sgpr_queue_ptr 0
		.amdhsa_user_sgpr_kernarg_segment_ptr 1
		.amdhsa_user_sgpr_dispatch_id 0
		.amdhsa_user_sgpr_flat_scratch_init 0
		.amdhsa_user_sgpr_kernarg_preload_length 0
		.amdhsa_user_sgpr_kernarg_preload_offset 0
		.amdhsa_user_sgpr_private_segment_size 0
		.amdhsa_uses_dynamic_stack 0
		.amdhsa_system_sgpr_private_segment_wavefront_offset 0
		.amdhsa_system_sgpr_workgroup_id_x 1
		.amdhsa_system_sgpr_workgroup_id_y 0
		.amdhsa_system_sgpr_workgroup_id_z 0
		.amdhsa_system_sgpr_workgroup_info 0
		.amdhsa_system_vgpr_workitem_id 0
		.amdhsa_next_free_vgpr 1
		.amdhsa_next_free_sgpr 0
		.amdhsa_accum_offset 4
		.amdhsa_reserve_vcc 0
		.amdhsa_reserve_flat_scratch 0
		.amdhsa_float_round_mode_32 0
		.amdhsa_float_round_mode_16_64 0
		.amdhsa_float_denorm_mode_32 3
		.amdhsa_float_denorm_mode_16_64 3
		.amdhsa_dx10_clamp 1
		.amdhsa_ieee_mode 1
		.amdhsa_fp16_overflow 0
		.amdhsa_tg_split 0
		.amdhsa_exception_fp_ieee_invalid_op 0
		.amdhsa_exception_fp_denorm_src 0
		.amdhsa_exception_fp_ieee_div_zero 0
		.amdhsa_exception_fp_ieee_overflow 0
		.amdhsa_exception_fp_ieee_underflow 0
		.amdhsa_exception_fp_ieee_inexact 0
		.amdhsa_exception_int_div_zero 0
	.end_amdhsa_kernel
	.section	.text._ZN7rocprim17ROCPRIM_400000_NS6detail17trampoline_kernelINS0_14default_configENS1_35radix_sort_onesweep_config_selectorIalEEZZNS1_29radix_sort_onesweep_iterationIS3_Lb0EPaS7_N6thrust23THRUST_200600_302600_NS10device_ptrIlEESB_jNS0_19identity_decomposerENS1_16block_id_wrapperIjLb0EEEEE10hipError_tT1_PNSt15iterator_traitsISG_E10value_typeET2_T3_PNSH_ISM_E10value_typeET4_T5_PSR_SS_PNS1_23onesweep_lookback_stateEbbT6_jjT7_P12ihipStream_tbENKUlT_T0_SG_SL_E_clIS7_S7_SB_SB_EEDaSZ_S10_SG_SL_EUlSZ_E_NS1_11comp_targetILNS1_3genE6ELNS1_11target_archE950ELNS1_3gpuE13ELNS1_3repE0EEENS1_47radix_sort_onesweep_sort_config_static_selectorELNS0_4arch9wavefront6targetE1EEEvSG_,"axG",@progbits,_ZN7rocprim17ROCPRIM_400000_NS6detail17trampoline_kernelINS0_14default_configENS1_35radix_sort_onesweep_config_selectorIalEEZZNS1_29radix_sort_onesweep_iterationIS3_Lb0EPaS7_N6thrust23THRUST_200600_302600_NS10device_ptrIlEESB_jNS0_19identity_decomposerENS1_16block_id_wrapperIjLb0EEEEE10hipError_tT1_PNSt15iterator_traitsISG_E10value_typeET2_T3_PNSH_ISM_E10value_typeET4_T5_PSR_SS_PNS1_23onesweep_lookback_stateEbbT6_jjT7_P12ihipStream_tbENKUlT_T0_SG_SL_E_clIS7_S7_SB_SB_EEDaSZ_S10_SG_SL_EUlSZ_E_NS1_11comp_targetILNS1_3genE6ELNS1_11target_archE950ELNS1_3gpuE13ELNS1_3repE0EEENS1_47radix_sort_onesweep_sort_config_static_selectorELNS0_4arch9wavefront6targetE1EEEvSG_,comdat
.Lfunc_end628:
	.size	_ZN7rocprim17ROCPRIM_400000_NS6detail17trampoline_kernelINS0_14default_configENS1_35radix_sort_onesweep_config_selectorIalEEZZNS1_29radix_sort_onesweep_iterationIS3_Lb0EPaS7_N6thrust23THRUST_200600_302600_NS10device_ptrIlEESB_jNS0_19identity_decomposerENS1_16block_id_wrapperIjLb0EEEEE10hipError_tT1_PNSt15iterator_traitsISG_E10value_typeET2_T3_PNSH_ISM_E10value_typeET4_T5_PSR_SS_PNS1_23onesweep_lookback_stateEbbT6_jjT7_P12ihipStream_tbENKUlT_T0_SG_SL_E_clIS7_S7_SB_SB_EEDaSZ_S10_SG_SL_EUlSZ_E_NS1_11comp_targetILNS1_3genE6ELNS1_11target_archE950ELNS1_3gpuE13ELNS1_3repE0EEENS1_47radix_sort_onesweep_sort_config_static_selectorELNS0_4arch9wavefront6targetE1EEEvSG_, .Lfunc_end628-_ZN7rocprim17ROCPRIM_400000_NS6detail17trampoline_kernelINS0_14default_configENS1_35radix_sort_onesweep_config_selectorIalEEZZNS1_29radix_sort_onesweep_iterationIS3_Lb0EPaS7_N6thrust23THRUST_200600_302600_NS10device_ptrIlEESB_jNS0_19identity_decomposerENS1_16block_id_wrapperIjLb0EEEEE10hipError_tT1_PNSt15iterator_traitsISG_E10value_typeET2_T3_PNSH_ISM_E10value_typeET4_T5_PSR_SS_PNS1_23onesweep_lookback_stateEbbT6_jjT7_P12ihipStream_tbENKUlT_T0_SG_SL_E_clIS7_S7_SB_SB_EEDaSZ_S10_SG_SL_EUlSZ_E_NS1_11comp_targetILNS1_3genE6ELNS1_11target_archE950ELNS1_3gpuE13ELNS1_3repE0EEENS1_47radix_sort_onesweep_sort_config_static_selectorELNS0_4arch9wavefront6targetE1EEEvSG_
                                        ; -- End function
	.section	.AMDGPU.csdata,"",@progbits
; Kernel info:
; codeLenInByte = 0
; NumSgprs: 4
; NumVgprs: 0
; NumAgprs: 0
; TotalNumVgprs: 0
; ScratchSize: 0
; MemoryBound: 0
; FloatMode: 240
; IeeeMode: 1
; LDSByteSize: 0 bytes/workgroup (compile time only)
; SGPRBlocks: 0
; VGPRBlocks: 0
; NumSGPRsForWavesPerEU: 4
; NumVGPRsForWavesPerEU: 1
; AccumOffset: 4
; Occupancy: 8
; WaveLimiterHint : 0
; COMPUTE_PGM_RSRC2:SCRATCH_EN: 0
; COMPUTE_PGM_RSRC2:USER_SGPR: 6
; COMPUTE_PGM_RSRC2:TRAP_HANDLER: 0
; COMPUTE_PGM_RSRC2:TGID_X_EN: 1
; COMPUTE_PGM_RSRC2:TGID_Y_EN: 0
; COMPUTE_PGM_RSRC2:TGID_Z_EN: 0
; COMPUTE_PGM_RSRC2:TIDIG_COMP_CNT: 0
; COMPUTE_PGM_RSRC3_GFX90A:ACCUM_OFFSET: 0
; COMPUTE_PGM_RSRC3_GFX90A:TG_SPLIT: 0
	.section	.text._ZN7rocprim17ROCPRIM_400000_NS6detail17trampoline_kernelINS0_14default_configENS1_35radix_sort_onesweep_config_selectorIalEEZZNS1_29radix_sort_onesweep_iterationIS3_Lb0EPaS7_N6thrust23THRUST_200600_302600_NS10device_ptrIlEESB_jNS0_19identity_decomposerENS1_16block_id_wrapperIjLb0EEEEE10hipError_tT1_PNSt15iterator_traitsISG_E10value_typeET2_T3_PNSH_ISM_E10value_typeET4_T5_PSR_SS_PNS1_23onesweep_lookback_stateEbbT6_jjT7_P12ihipStream_tbENKUlT_T0_SG_SL_E_clIS7_S7_SB_SB_EEDaSZ_S10_SG_SL_EUlSZ_E_NS1_11comp_targetILNS1_3genE5ELNS1_11target_archE942ELNS1_3gpuE9ELNS1_3repE0EEENS1_47radix_sort_onesweep_sort_config_static_selectorELNS0_4arch9wavefront6targetE1EEEvSG_,"axG",@progbits,_ZN7rocprim17ROCPRIM_400000_NS6detail17trampoline_kernelINS0_14default_configENS1_35radix_sort_onesweep_config_selectorIalEEZZNS1_29radix_sort_onesweep_iterationIS3_Lb0EPaS7_N6thrust23THRUST_200600_302600_NS10device_ptrIlEESB_jNS0_19identity_decomposerENS1_16block_id_wrapperIjLb0EEEEE10hipError_tT1_PNSt15iterator_traitsISG_E10value_typeET2_T3_PNSH_ISM_E10value_typeET4_T5_PSR_SS_PNS1_23onesweep_lookback_stateEbbT6_jjT7_P12ihipStream_tbENKUlT_T0_SG_SL_E_clIS7_S7_SB_SB_EEDaSZ_S10_SG_SL_EUlSZ_E_NS1_11comp_targetILNS1_3genE5ELNS1_11target_archE942ELNS1_3gpuE9ELNS1_3repE0EEENS1_47radix_sort_onesweep_sort_config_static_selectorELNS0_4arch9wavefront6targetE1EEEvSG_,comdat
	.protected	_ZN7rocprim17ROCPRIM_400000_NS6detail17trampoline_kernelINS0_14default_configENS1_35radix_sort_onesweep_config_selectorIalEEZZNS1_29radix_sort_onesweep_iterationIS3_Lb0EPaS7_N6thrust23THRUST_200600_302600_NS10device_ptrIlEESB_jNS0_19identity_decomposerENS1_16block_id_wrapperIjLb0EEEEE10hipError_tT1_PNSt15iterator_traitsISG_E10value_typeET2_T3_PNSH_ISM_E10value_typeET4_T5_PSR_SS_PNS1_23onesweep_lookback_stateEbbT6_jjT7_P12ihipStream_tbENKUlT_T0_SG_SL_E_clIS7_S7_SB_SB_EEDaSZ_S10_SG_SL_EUlSZ_E_NS1_11comp_targetILNS1_3genE5ELNS1_11target_archE942ELNS1_3gpuE9ELNS1_3repE0EEENS1_47radix_sort_onesweep_sort_config_static_selectorELNS0_4arch9wavefront6targetE1EEEvSG_ ; -- Begin function _ZN7rocprim17ROCPRIM_400000_NS6detail17trampoline_kernelINS0_14default_configENS1_35radix_sort_onesweep_config_selectorIalEEZZNS1_29radix_sort_onesweep_iterationIS3_Lb0EPaS7_N6thrust23THRUST_200600_302600_NS10device_ptrIlEESB_jNS0_19identity_decomposerENS1_16block_id_wrapperIjLb0EEEEE10hipError_tT1_PNSt15iterator_traitsISG_E10value_typeET2_T3_PNSH_ISM_E10value_typeET4_T5_PSR_SS_PNS1_23onesweep_lookback_stateEbbT6_jjT7_P12ihipStream_tbENKUlT_T0_SG_SL_E_clIS7_S7_SB_SB_EEDaSZ_S10_SG_SL_EUlSZ_E_NS1_11comp_targetILNS1_3genE5ELNS1_11target_archE942ELNS1_3gpuE9ELNS1_3repE0EEENS1_47radix_sort_onesweep_sort_config_static_selectorELNS0_4arch9wavefront6targetE1EEEvSG_
	.globl	_ZN7rocprim17ROCPRIM_400000_NS6detail17trampoline_kernelINS0_14default_configENS1_35radix_sort_onesweep_config_selectorIalEEZZNS1_29radix_sort_onesweep_iterationIS3_Lb0EPaS7_N6thrust23THRUST_200600_302600_NS10device_ptrIlEESB_jNS0_19identity_decomposerENS1_16block_id_wrapperIjLb0EEEEE10hipError_tT1_PNSt15iterator_traitsISG_E10value_typeET2_T3_PNSH_ISM_E10value_typeET4_T5_PSR_SS_PNS1_23onesweep_lookback_stateEbbT6_jjT7_P12ihipStream_tbENKUlT_T0_SG_SL_E_clIS7_S7_SB_SB_EEDaSZ_S10_SG_SL_EUlSZ_E_NS1_11comp_targetILNS1_3genE5ELNS1_11target_archE942ELNS1_3gpuE9ELNS1_3repE0EEENS1_47radix_sort_onesweep_sort_config_static_selectorELNS0_4arch9wavefront6targetE1EEEvSG_
	.p2align	8
	.type	_ZN7rocprim17ROCPRIM_400000_NS6detail17trampoline_kernelINS0_14default_configENS1_35radix_sort_onesweep_config_selectorIalEEZZNS1_29radix_sort_onesweep_iterationIS3_Lb0EPaS7_N6thrust23THRUST_200600_302600_NS10device_ptrIlEESB_jNS0_19identity_decomposerENS1_16block_id_wrapperIjLb0EEEEE10hipError_tT1_PNSt15iterator_traitsISG_E10value_typeET2_T3_PNSH_ISM_E10value_typeET4_T5_PSR_SS_PNS1_23onesweep_lookback_stateEbbT6_jjT7_P12ihipStream_tbENKUlT_T0_SG_SL_E_clIS7_S7_SB_SB_EEDaSZ_S10_SG_SL_EUlSZ_E_NS1_11comp_targetILNS1_3genE5ELNS1_11target_archE942ELNS1_3gpuE9ELNS1_3repE0EEENS1_47radix_sort_onesweep_sort_config_static_selectorELNS0_4arch9wavefront6targetE1EEEvSG_,@function
_ZN7rocprim17ROCPRIM_400000_NS6detail17trampoline_kernelINS0_14default_configENS1_35radix_sort_onesweep_config_selectorIalEEZZNS1_29radix_sort_onesweep_iterationIS3_Lb0EPaS7_N6thrust23THRUST_200600_302600_NS10device_ptrIlEESB_jNS0_19identity_decomposerENS1_16block_id_wrapperIjLb0EEEEE10hipError_tT1_PNSt15iterator_traitsISG_E10value_typeET2_T3_PNSH_ISM_E10value_typeET4_T5_PSR_SS_PNS1_23onesweep_lookback_stateEbbT6_jjT7_P12ihipStream_tbENKUlT_T0_SG_SL_E_clIS7_S7_SB_SB_EEDaSZ_S10_SG_SL_EUlSZ_E_NS1_11comp_targetILNS1_3genE5ELNS1_11target_archE942ELNS1_3gpuE9ELNS1_3repE0EEENS1_47radix_sort_onesweep_sort_config_static_selectorELNS0_4arch9wavefront6targetE1EEEvSG_: ; @_ZN7rocprim17ROCPRIM_400000_NS6detail17trampoline_kernelINS0_14default_configENS1_35radix_sort_onesweep_config_selectorIalEEZZNS1_29radix_sort_onesweep_iterationIS3_Lb0EPaS7_N6thrust23THRUST_200600_302600_NS10device_ptrIlEESB_jNS0_19identity_decomposerENS1_16block_id_wrapperIjLb0EEEEE10hipError_tT1_PNSt15iterator_traitsISG_E10value_typeET2_T3_PNSH_ISM_E10value_typeET4_T5_PSR_SS_PNS1_23onesweep_lookback_stateEbbT6_jjT7_P12ihipStream_tbENKUlT_T0_SG_SL_E_clIS7_S7_SB_SB_EEDaSZ_S10_SG_SL_EUlSZ_E_NS1_11comp_targetILNS1_3genE5ELNS1_11target_archE942ELNS1_3gpuE9ELNS1_3repE0EEENS1_47radix_sort_onesweep_sort_config_static_selectorELNS0_4arch9wavefront6targetE1EEEvSG_
; %bb.0:
	.section	.rodata,"a",@progbits
	.p2align	6, 0x0
	.amdhsa_kernel _ZN7rocprim17ROCPRIM_400000_NS6detail17trampoline_kernelINS0_14default_configENS1_35radix_sort_onesweep_config_selectorIalEEZZNS1_29radix_sort_onesweep_iterationIS3_Lb0EPaS7_N6thrust23THRUST_200600_302600_NS10device_ptrIlEESB_jNS0_19identity_decomposerENS1_16block_id_wrapperIjLb0EEEEE10hipError_tT1_PNSt15iterator_traitsISG_E10value_typeET2_T3_PNSH_ISM_E10value_typeET4_T5_PSR_SS_PNS1_23onesweep_lookback_stateEbbT6_jjT7_P12ihipStream_tbENKUlT_T0_SG_SL_E_clIS7_S7_SB_SB_EEDaSZ_S10_SG_SL_EUlSZ_E_NS1_11comp_targetILNS1_3genE5ELNS1_11target_archE942ELNS1_3gpuE9ELNS1_3repE0EEENS1_47radix_sort_onesweep_sort_config_static_selectorELNS0_4arch9wavefront6targetE1EEEvSG_
		.amdhsa_group_segment_fixed_size 0
		.amdhsa_private_segment_fixed_size 0
		.amdhsa_kernarg_size 88
		.amdhsa_user_sgpr_count 6
		.amdhsa_user_sgpr_private_segment_buffer 1
		.amdhsa_user_sgpr_dispatch_ptr 0
		.amdhsa_user_sgpr_queue_ptr 0
		.amdhsa_user_sgpr_kernarg_segment_ptr 1
		.amdhsa_user_sgpr_dispatch_id 0
		.amdhsa_user_sgpr_flat_scratch_init 0
		.amdhsa_user_sgpr_kernarg_preload_length 0
		.amdhsa_user_sgpr_kernarg_preload_offset 0
		.amdhsa_user_sgpr_private_segment_size 0
		.amdhsa_uses_dynamic_stack 0
		.amdhsa_system_sgpr_private_segment_wavefront_offset 0
		.amdhsa_system_sgpr_workgroup_id_x 1
		.amdhsa_system_sgpr_workgroup_id_y 0
		.amdhsa_system_sgpr_workgroup_id_z 0
		.amdhsa_system_sgpr_workgroup_info 0
		.amdhsa_system_vgpr_workitem_id 0
		.amdhsa_next_free_vgpr 1
		.amdhsa_next_free_sgpr 0
		.amdhsa_accum_offset 4
		.amdhsa_reserve_vcc 0
		.amdhsa_reserve_flat_scratch 0
		.amdhsa_float_round_mode_32 0
		.amdhsa_float_round_mode_16_64 0
		.amdhsa_float_denorm_mode_32 3
		.amdhsa_float_denorm_mode_16_64 3
		.amdhsa_dx10_clamp 1
		.amdhsa_ieee_mode 1
		.amdhsa_fp16_overflow 0
		.amdhsa_tg_split 0
		.amdhsa_exception_fp_ieee_invalid_op 0
		.amdhsa_exception_fp_denorm_src 0
		.amdhsa_exception_fp_ieee_div_zero 0
		.amdhsa_exception_fp_ieee_overflow 0
		.amdhsa_exception_fp_ieee_underflow 0
		.amdhsa_exception_fp_ieee_inexact 0
		.amdhsa_exception_int_div_zero 0
	.end_amdhsa_kernel
	.section	.text._ZN7rocprim17ROCPRIM_400000_NS6detail17trampoline_kernelINS0_14default_configENS1_35radix_sort_onesweep_config_selectorIalEEZZNS1_29radix_sort_onesweep_iterationIS3_Lb0EPaS7_N6thrust23THRUST_200600_302600_NS10device_ptrIlEESB_jNS0_19identity_decomposerENS1_16block_id_wrapperIjLb0EEEEE10hipError_tT1_PNSt15iterator_traitsISG_E10value_typeET2_T3_PNSH_ISM_E10value_typeET4_T5_PSR_SS_PNS1_23onesweep_lookback_stateEbbT6_jjT7_P12ihipStream_tbENKUlT_T0_SG_SL_E_clIS7_S7_SB_SB_EEDaSZ_S10_SG_SL_EUlSZ_E_NS1_11comp_targetILNS1_3genE5ELNS1_11target_archE942ELNS1_3gpuE9ELNS1_3repE0EEENS1_47radix_sort_onesweep_sort_config_static_selectorELNS0_4arch9wavefront6targetE1EEEvSG_,"axG",@progbits,_ZN7rocprim17ROCPRIM_400000_NS6detail17trampoline_kernelINS0_14default_configENS1_35radix_sort_onesweep_config_selectorIalEEZZNS1_29radix_sort_onesweep_iterationIS3_Lb0EPaS7_N6thrust23THRUST_200600_302600_NS10device_ptrIlEESB_jNS0_19identity_decomposerENS1_16block_id_wrapperIjLb0EEEEE10hipError_tT1_PNSt15iterator_traitsISG_E10value_typeET2_T3_PNSH_ISM_E10value_typeET4_T5_PSR_SS_PNS1_23onesweep_lookback_stateEbbT6_jjT7_P12ihipStream_tbENKUlT_T0_SG_SL_E_clIS7_S7_SB_SB_EEDaSZ_S10_SG_SL_EUlSZ_E_NS1_11comp_targetILNS1_3genE5ELNS1_11target_archE942ELNS1_3gpuE9ELNS1_3repE0EEENS1_47radix_sort_onesweep_sort_config_static_selectorELNS0_4arch9wavefront6targetE1EEEvSG_,comdat
.Lfunc_end629:
	.size	_ZN7rocprim17ROCPRIM_400000_NS6detail17trampoline_kernelINS0_14default_configENS1_35radix_sort_onesweep_config_selectorIalEEZZNS1_29radix_sort_onesweep_iterationIS3_Lb0EPaS7_N6thrust23THRUST_200600_302600_NS10device_ptrIlEESB_jNS0_19identity_decomposerENS1_16block_id_wrapperIjLb0EEEEE10hipError_tT1_PNSt15iterator_traitsISG_E10value_typeET2_T3_PNSH_ISM_E10value_typeET4_T5_PSR_SS_PNS1_23onesweep_lookback_stateEbbT6_jjT7_P12ihipStream_tbENKUlT_T0_SG_SL_E_clIS7_S7_SB_SB_EEDaSZ_S10_SG_SL_EUlSZ_E_NS1_11comp_targetILNS1_3genE5ELNS1_11target_archE942ELNS1_3gpuE9ELNS1_3repE0EEENS1_47radix_sort_onesweep_sort_config_static_selectorELNS0_4arch9wavefront6targetE1EEEvSG_, .Lfunc_end629-_ZN7rocprim17ROCPRIM_400000_NS6detail17trampoline_kernelINS0_14default_configENS1_35radix_sort_onesweep_config_selectorIalEEZZNS1_29radix_sort_onesweep_iterationIS3_Lb0EPaS7_N6thrust23THRUST_200600_302600_NS10device_ptrIlEESB_jNS0_19identity_decomposerENS1_16block_id_wrapperIjLb0EEEEE10hipError_tT1_PNSt15iterator_traitsISG_E10value_typeET2_T3_PNSH_ISM_E10value_typeET4_T5_PSR_SS_PNS1_23onesweep_lookback_stateEbbT6_jjT7_P12ihipStream_tbENKUlT_T0_SG_SL_E_clIS7_S7_SB_SB_EEDaSZ_S10_SG_SL_EUlSZ_E_NS1_11comp_targetILNS1_3genE5ELNS1_11target_archE942ELNS1_3gpuE9ELNS1_3repE0EEENS1_47radix_sort_onesweep_sort_config_static_selectorELNS0_4arch9wavefront6targetE1EEEvSG_
                                        ; -- End function
	.section	.AMDGPU.csdata,"",@progbits
; Kernel info:
; codeLenInByte = 0
; NumSgprs: 4
; NumVgprs: 0
; NumAgprs: 0
; TotalNumVgprs: 0
; ScratchSize: 0
; MemoryBound: 0
; FloatMode: 240
; IeeeMode: 1
; LDSByteSize: 0 bytes/workgroup (compile time only)
; SGPRBlocks: 0
; VGPRBlocks: 0
; NumSGPRsForWavesPerEU: 4
; NumVGPRsForWavesPerEU: 1
; AccumOffset: 4
; Occupancy: 8
; WaveLimiterHint : 0
; COMPUTE_PGM_RSRC2:SCRATCH_EN: 0
; COMPUTE_PGM_RSRC2:USER_SGPR: 6
; COMPUTE_PGM_RSRC2:TRAP_HANDLER: 0
; COMPUTE_PGM_RSRC2:TGID_X_EN: 1
; COMPUTE_PGM_RSRC2:TGID_Y_EN: 0
; COMPUTE_PGM_RSRC2:TGID_Z_EN: 0
; COMPUTE_PGM_RSRC2:TIDIG_COMP_CNT: 0
; COMPUTE_PGM_RSRC3_GFX90A:ACCUM_OFFSET: 0
; COMPUTE_PGM_RSRC3_GFX90A:TG_SPLIT: 0
	.section	.text._ZN7rocprim17ROCPRIM_400000_NS6detail17trampoline_kernelINS0_14default_configENS1_35radix_sort_onesweep_config_selectorIalEEZZNS1_29radix_sort_onesweep_iterationIS3_Lb0EPaS7_N6thrust23THRUST_200600_302600_NS10device_ptrIlEESB_jNS0_19identity_decomposerENS1_16block_id_wrapperIjLb0EEEEE10hipError_tT1_PNSt15iterator_traitsISG_E10value_typeET2_T3_PNSH_ISM_E10value_typeET4_T5_PSR_SS_PNS1_23onesweep_lookback_stateEbbT6_jjT7_P12ihipStream_tbENKUlT_T0_SG_SL_E_clIS7_S7_SB_SB_EEDaSZ_S10_SG_SL_EUlSZ_E_NS1_11comp_targetILNS1_3genE2ELNS1_11target_archE906ELNS1_3gpuE6ELNS1_3repE0EEENS1_47radix_sort_onesweep_sort_config_static_selectorELNS0_4arch9wavefront6targetE1EEEvSG_,"axG",@progbits,_ZN7rocprim17ROCPRIM_400000_NS6detail17trampoline_kernelINS0_14default_configENS1_35radix_sort_onesweep_config_selectorIalEEZZNS1_29radix_sort_onesweep_iterationIS3_Lb0EPaS7_N6thrust23THRUST_200600_302600_NS10device_ptrIlEESB_jNS0_19identity_decomposerENS1_16block_id_wrapperIjLb0EEEEE10hipError_tT1_PNSt15iterator_traitsISG_E10value_typeET2_T3_PNSH_ISM_E10value_typeET4_T5_PSR_SS_PNS1_23onesweep_lookback_stateEbbT6_jjT7_P12ihipStream_tbENKUlT_T0_SG_SL_E_clIS7_S7_SB_SB_EEDaSZ_S10_SG_SL_EUlSZ_E_NS1_11comp_targetILNS1_3genE2ELNS1_11target_archE906ELNS1_3gpuE6ELNS1_3repE0EEENS1_47radix_sort_onesweep_sort_config_static_selectorELNS0_4arch9wavefront6targetE1EEEvSG_,comdat
	.protected	_ZN7rocprim17ROCPRIM_400000_NS6detail17trampoline_kernelINS0_14default_configENS1_35radix_sort_onesweep_config_selectorIalEEZZNS1_29radix_sort_onesweep_iterationIS3_Lb0EPaS7_N6thrust23THRUST_200600_302600_NS10device_ptrIlEESB_jNS0_19identity_decomposerENS1_16block_id_wrapperIjLb0EEEEE10hipError_tT1_PNSt15iterator_traitsISG_E10value_typeET2_T3_PNSH_ISM_E10value_typeET4_T5_PSR_SS_PNS1_23onesweep_lookback_stateEbbT6_jjT7_P12ihipStream_tbENKUlT_T0_SG_SL_E_clIS7_S7_SB_SB_EEDaSZ_S10_SG_SL_EUlSZ_E_NS1_11comp_targetILNS1_3genE2ELNS1_11target_archE906ELNS1_3gpuE6ELNS1_3repE0EEENS1_47radix_sort_onesweep_sort_config_static_selectorELNS0_4arch9wavefront6targetE1EEEvSG_ ; -- Begin function _ZN7rocprim17ROCPRIM_400000_NS6detail17trampoline_kernelINS0_14default_configENS1_35radix_sort_onesweep_config_selectorIalEEZZNS1_29radix_sort_onesweep_iterationIS3_Lb0EPaS7_N6thrust23THRUST_200600_302600_NS10device_ptrIlEESB_jNS0_19identity_decomposerENS1_16block_id_wrapperIjLb0EEEEE10hipError_tT1_PNSt15iterator_traitsISG_E10value_typeET2_T3_PNSH_ISM_E10value_typeET4_T5_PSR_SS_PNS1_23onesweep_lookback_stateEbbT6_jjT7_P12ihipStream_tbENKUlT_T0_SG_SL_E_clIS7_S7_SB_SB_EEDaSZ_S10_SG_SL_EUlSZ_E_NS1_11comp_targetILNS1_3genE2ELNS1_11target_archE906ELNS1_3gpuE6ELNS1_3repE0EEENS1_47radix_sort_onesweep_sort_config_static_selectorELNS0_4arch9wavefront6targetE1EEEvSG_
	.globl	_ZN7rocprim17ROCPRIM_400000_NS6detail17trampoline_kernelINS0_14default_configENS1_35radix_sort_onesweep_config_selectorIalEEZZNS1_29radix_sort_onesweep_iterationIS3_Lb0EPaS7_N6thrust23THRUST_200600_302600_NS10device_ptrIlEESB_jNS0_19identity_decomposerENS1_16block_id_wrapperIjLb0EEEEE10hipError_tT1_PNSt15iterator_traitsISG_E10value_typeET2_T3_PNSH_ISM_E10value_typeET4_T5_PSR_SS_PNS1_23onesweep_lookback_stateEbbT6_jjT7_P12ihipStream_tbENKUlT_T0_SG_SL_E_clIS7_S7_SB_SB_EEDaSZ_S10_SG_SL_EUlSZ_E_NS1_11comp_targetILNS1_3genE2ELNS1_11target_archE906ELNS1_3gpuE6ELNS1_3repE0EEENS1_47radix_sort_onesweep_sort_config_static_selectorELNS0_4arch9wavefront6targetE1EEEvSG_
	.p2align	8
	.type	_ZN7rocprim17ROCPRIM_400000_NS6detail17trampoline_kernelINS0_14default_configENS1_35radix_sort_onesweep_config_selectorIalEEZZNS1_29radix_sort_onesweep_iterationIS3_Lb0EPaS7_N6thrust23THRUST_200600_302600_NS10device_ptrIlEESB_jNS0_19identity_decomposerENS1_16block_id_wrapperIjLb0EEEEE10hipError_tT1_PNSt15iterator_traitsISG_E10value_typeET2_T3_PNSH_ISM_E10value_typeET4_T5_PSR_SS_PNS1_23onesweep_lookback_stateEbbT6_jjT7_P12ihipStream_tbENKUlT_T0_SG_SL_E_clIS7_S7_SB_SB_EEDaSZ_S10_SG_SL_EUlSZ_E_NS1_11comp_targetILNS1_3genE2ELNS1_11target_archE906ELNS1_3gpuE6ELNS1_3repE0EEENS1_47radix_sort_onesweep_sort_config_static_selectorELNS0_4arch9wavefront6targetE1EEEvSG_,@function
_ZN7rocprim17ROCPRIM_400000_NS6detail17trampoline_kernelINS0_14default_configENS1_35radix_sort_onesweep_config_selectorIalEEZZNS1_29radix_sort_onesweep_iterationIS3_Lb0EPaS7_N6thrust23THRUST_200600_302600_NS10device_ptrIlEESB_jNS0_19identity_decomposerENS1_16block_id_wrapperIjLb0EEEEE10hipError_tT1_PNSt15iterator_traitsISG_E10value_typeET2_T3_PNSH_ISM_E10value_typeET4_T5_PSR_SS_PNS1_23onesweep_lookback_stateEbbT6_jjT7_P12ihipStream_tbENKUlT_T0_SG_SL_E_clIS7_S7_SB_SB_EEDaSZ_S10_SG_SL_EUlSZ_E_NS1_11comp_targetILNS1_3genE2ELNS1_11target_archE906ELNS1_3gpuE6ELNS1_3repE0EEENS1_47radix_sort_onesweep_sort_config_static_selectorELNS0_4arch9wavefront6targetE1EEEvSG_: ; @_ZN7rocprim17ROCPRIM_400000_NS6detail17trampoline_kernelINS0_14default_configENS1_35radix_sort_onesweep_config_selectorIalEEZZNS1_29radix_sort_onesweep_iterationIS3_Lb0EPaS7_N6thrust23THRUST_200600_302600_NS10device_ptrIlEESB_jNS0_19identity_decomposerENS1_16block_id_wrapperIjLb0EEEEE10hipError_tT1_PNSt15iterator_traitsISG_E10value_typeET2_T3_PNSH_ISM_E10value_typeET4_T5_PSR_SS_PNS1_23onesweep_lookback_stateEbbT6_jjT7_P12ihipStream_tbENKUlT_T0_SG_SL_E_clIS7_S7_SB_SB_EEDaSZ_S10_SG_SL_EUlSZ_E_NS1_11comp_targetILNS1_3genE2ELNS1_11target_archE906ELNS1_3gpuE6ELNS1_3repE0EEENS1_47radix_sort_onesweep_sort_config_static_selectorELNS0_4arch9wavefront6targetE1EEEvSG_
; %bb.0:
	.section	.rodata,"a",@progbits
	.p2align	6, 0x0
	.amdhsa_kernel _ZN7rocprim17ROCPRIM_400000_NS6detail17trampoline_kernelINS0_14default_configENS1_35radix_sort_onesweep_config_selectorIalEEZZNS1_29radix_sort_onesweep_iterationIS3_Lb0EPaS7_N6thrust23THRUST_200600_302600_NS10device_ptrIlEESB_jNS0_19identity_decomposerENS1_16block_id_wrapperIjLb0EEEEE10hipError_tT1_PNSt15iterator_traitsISG_E10value_typeET2_T3_PNSH_ISM_E10value_typeET4_T5_PSR_SS_PNS1_23onesweep_lookback_stateEbbT6_jjT7_P12ihipStream_tbENKUlT_T0_SG_SL_E_clIS7_S7_SB_SB_EEDaSZ_S10_SG_SL_EUlSZ_E_NS1_11comp_targetILNS1_3genE2ELNS1_11target_archE906ELNS1_3gpuE6ELNS1_3repE0EEENS1_47radix_sort_onesweep_sort_config_static_selectorELNS0_4arch9wavefront6targetE1EEEvSG_
		.amdhsa_group_segment_fixed_size 0
		.amdhsa_private_segment_fixed_size 0
		.amdhsa_kernarg_size 88
		.amdhsa_user_sgpr_count 6
		.amdhsa_user_sgpr_private_segment_buffer 1
		.amdhsa_user_sgpr_dispatch_ptr 0
		.amdhsa_user_sgpr_queue_ptr 0
		.amdhsa_user_sgpr_kernarg_segment_ptr 1
		.amdhsa_user_sgpr_dispatch_id 0
		.amdhsa_user_sgpr_flat_scratch_init 0
		.amdhsa_user_sgpr_kernarg_preload_length 0
		.amdhsa_user_sgpr_kernarg_preload_offset 0
		.amdhsa_user_sgpr_private_segment_size 0
		.amdhsa_uses_dynamic_stack 0
		.amdhsa_system_sgpr_private_segment_wavefront_offset 0
		.amdhsa_system_sgpr_workgroup_id_x 1
		.amdhsa_system_sgpr_workgroup_id_y 0
		.amdhsa_system_sgpr_workgroup_id_z 0
		.amdhsa_system_sgpr_workgroup_info 0
		.amdhsa_system_vgpr_workitem_id 0
		.amdhsa_next_free_vgpr 1
		.amdhsa_next_free_sgpr 0
		.amdhsa_accum_offset 4
		.amdhsa_reserve_vcc 0
		.amdhsa_reserve_flat_scratch 0
		.amdhsa_float_round_mode_32 0
		.amdhsa_float_round_mode_16_64 0
		.amdhsa_float_denorm_mode_32 3
		.amdhsa_float_denorm_mode_16_64 3
		.amdhsa_dx10_clamp 1
		.amdhsa_ieee_mode 1
		.amdhsa_fp16_overflow 0
		.amdhsa_tg_split 0
		.amdhsa_exception_fp_ieee_invalid_op 0
		.amdhsa_exception_fp_denorm_src 0
		.amdhsa_exception_fp_ieee_div_zero 0
		.amdhsa_exception_fp_ieee_overflow 0
		.amdhsa_exception_fp_ieee_underflow 0
		.amdhsa_exception_fp_ieee_inexact 0
		.amdhsa_exception_int_div_zero 0
	.end_amdhsa_kernel
	.section	.text._ZN7rocprim17ROCPRIM_400000_NS6detail17trampoline_kernelINS0_14default_configENS1_35radix_sort_onesweep_config_selectorIalEEZZNS1_29radix_sort_onesweep_iterationIS3_Lb0EPaS7_N6thrust23THRUST_200600_302600_NS10device_ptrIlEESB_jNS0_19identity_decomposerENS1_16block_id_wrapperIjLb0EEEEE10hipError_tT1_PNSt15iterator_traitsISG_E10value_typeET2_T3_PNSH_ISM_E10value_typeET4_T5_PSR_SS_PNS1_23onesweep_lookback_stateEbbT6_jjT7_P12ihipStream_tbENKUlT_T0_SG_SL_E_clIS7_S7_SB_SB_EEDaSZ_S10_SG_SL_EUlSZ_E_NS1_11comp_targetILNS1_3genE2ELNS1_11target_archE906ELNS1_3gpuE6ELNS1_3repE0EEENS1_47radix_sort_onesweep_sort_config_static_selectorELNS0_4arch9wavefront6targetE1EEEvSG_,"axG",@progbits,_ZN7rocprim17ROCPRIM_400000_NS6detail17trampoline_kernelINS0_14default_configENS1_35radix_sort_onesweep_config_selectorIalEEZZNS1_29radix_sort_onesweep_iterationIS3_Lb0EPaS7_N6thrust23THRUST_200600_302600_NS10device_ptrIlEESB_jNS0_19identity_decomposerENS1_16block_id_wrapperIjLb0EEEEE10hipError_tT1_PNSt15iterator_traitsISG_E10value_typeET2_T3_PNSH_ISM_E10value_typeET4_T5_PSR_SS_PNS1_23onesweep_lookback_stateEbbT6_jjT7_P12ihipStream_tbENKUlT_T0_SG_SL_E_clIS7_S7_SB_SB_EEDaSZ_S10_SG_SL_EUlSZ_E_NS1_11comp_targetILNS1_3genE2ELNS1_11target_archE906ELNS1_3gpuE6ELNS1_3repE0EEENS1_47radix_sort_onesweep_sort_config_static_selectorELNS0_4arch9wavefront6targetE1EEEvSG_,comdat
.Lfunc_end630:
	.size	_ZN7rocprim17ROCPRIM_400000_NS6detail17trampoline_kernelINS0_14default_configENS1_35radix_sort_onesweep_config_selectorIalEEZZNS1_29radix_sort_onesweep_iterationIS3_Lb0EPaS7_N6thrust23THRUST_200600_302600_NS10device_ptrIlEESB_jNS0_19identity_decomposerENS1_16block_id_wrapperIjLb0EEEEE10hipError_tT1_PNSt15iterator_traitsISG_E10value_typeET2_T3_PNSH_ISM_E10value_typeET4_T5_PSR_SS_PNS1_23onesweep_lookback_stateEbbT6_jjT7_P12ihipStream_tbENKUlT_T0_SG_SL_E_clIS7_S7_SB_SB_EEDaSZ_S10_SG_SL_EUlSZ_E_NS1_11comp_targetILNS1_3genE2ELNS1_11target_archE906ELNS1_3gpuE6ELNS1_3repE0EEENS1_47radix_sort_onesweep_sort_config_static_selectorELNS0_4arch9wavefront6targetE1EEEvSG_, .Lfunc_end630-_ZN7rocprim17ROCPRIM_400000_NS6detail17trampoline_kernelINS0_14default_configENS1_35radix_sort_onesweep_config_selectorIalEEZZNS1_29radix_sort_onesweep_iterationIS3_Lb0EPaS7_N6thrust23THRUST_200600_302600_NS10device_ptrIlEESB_jNS0_19identity_decomposerENS1_16block_id_wrapperIjLb0EEEEE10hipError_tT1_PNSt15iterator_traitsISG_E10value_typeET2_T3_PNSH_ISM_E10value_typeET4_T5_PSR_SS_PNS1_23onesweep_lookback_stateEbbT6_jjT7_P12ihipStream_tbENKUlT_T0_SG_SL_E_clIS7_S7_SB_SB_EEDaSZ_S10_SG_SL_EUlSZ_E_NS1_11comp_targetILNS1_3genE2ELNS1_11target_archE906ELNS1_3gpuE6ELNS1_3repE0EEENS1_47radix_sort_onesweep_sort_config_static_selectorELNS0_4arch9wavefront6targetE1EEEvSG_
                                        ; -- End function
	.section	.AMDGPU.csdata,"",@progbits
; Kernel info:
; codeLenInByte = 0
; NumSgprs: 4
; NumVgprs: 0
; NumAgprs: 0
; TotalNumVgprs: 0
; ScratchSize: 0
; MemoryBound: 0
; FloatMode: 240
; IeeeMode: 1
; LDSByteSize: 0 bytes/workgroup (compile time only)
; SGPRBlocks: 0
; VGPRBlocks: 0
; NumSGPRsForWavesPerEU: 4
; NumVGPRsForWavesPerEU: 1
; AccumOffset: 4
; Occupancy: 8
; WaveLimiterHint : 0
; COMPUTE_PGM_RSRC2:SCRATCH_EN: 0
; COMPUTE_PGM_RSRC2:USER_SGPR: 6
; COMPUTE_PGM_RSRC2:TRAP_HANDLER: 0
; COMPUTE_PGM_RSRC2:TGID_X_EN: 1
; COMPUTE_PGM_RSRC2:TGID_Y_EN: 0
; COMPUTE_PGM_RSRC2:TGID_Z_EN: 0
; COMPUTE_PGM_RSRC2:TIDIG_COMP_CNT: 0
; COMPUTE_PGM_RSRC3_GFX90A:ACCUM_OFFSET: 0
; COMPUTE_PGM_RSRC3_GFX90A:TG_SPLIT: 0
	.section	.text._ZN7rocprim17ROCPRIM_400000_NS6detail17trampoline_kernelINS0_14default_configENS1_35radix_sort_onesweep_config_selectorIalEEZZNS1_29radix_sort_onesweep_iterationIS3_Lb0EPaS7_N6thrust23THRUST_200600_302600_NS10device_ptrIlEESB_jNS0_19identity_decomposerENS1_16block_id_wrapperIjLb0EEEEE10hipError_tT1_PNSt15iterator_traitsISG_E10value_typeET2_T3_PNSH_ISM_E10value_typeET4_T5_PSR_SS_PNS1_23onesweep_lookback_stateEbbT6_jjT7_P12ihipStream_tbENKUlT_T0_SG_SL_E_clIS7_S7_SB_SB_EEDaSZ_S10_SG_SL_EUlSZ_E_NS1_11comp_targetILNS1_3genE4ELNS1_11target_archE910ELNS1_3gpuE8ELNS1_3repE0EEENS1_47radix_sort_onesweep_sort_config_static_selectorELNS0_4arch9wavefront6targetE1EEEvSG_,"axG",@progbits,_ZN7rocprim17ROCPRIM_400000_NS6detail17trampoline_kernelINS0_14default_configENS1_35radix_sort_onesweep_config_selectorIalEEZZNS1_29radix_sort_onesweep_iterationIS3_Lb0EPaS7_N6thrust23THRUST_200600_302600_NS10device_ptrIlEESB_jNS0_19identity_decomposerENS1_16block_id_wrapperIjLb0EEEEE10hipError_tT1_PNSt15iterator_traitsISG_E10value_typeET2_T3_PNSH_ISM_E10value_typeET4_T5_PSR_SS_PNS1_23onesweep_lookback_stateEbbT6_jjT7_P12ihipStream_tbENKUlT_T0_SG_SL_E_clIS7_S7_SB_SB_EEDaSZ_S10_SG_SL_EUlSZ_E_NS1_11comp_targetILNS1_3genE4ELNS1_11target_archE910ELNS1_3gpuE8ELNS1_3repE0EEENS1_47radix_sort_onesweep_sort_config_static_selectorELNS0_4arch9wavefront6targetE1EEEvSG_,comdat
	.protected	_ZN7rocprim17ROCPRIM_400000_NS6detail17trampoline_kernelINS0_14default_configENS1_35radix_sort_onesweep_config_selectorIalEEZZNS1_29radix_sort_onesweep_iterationIS3_Lb0EPaS7_N6thrust23THRUST_200600_302600_NS10device_ptrIlEESB_jNS0_19identity_decomposerENS1_16block_id_wrapperIjLb0EEEEE10hipError_tT1_PNSt15iterator_traitsISG_E10value_typeET2_T3_PNSH_ISM_E10value_typeET4_T5_PSR_SS_PNS1_23onesweep_lookback_stateEbbT6_jjT7_P12ihipStream_tbENKUlT_T0_SG_SL_E_clIS7_S7_SB_SB_EEDaSZ_S10_SG_SL_EUlSZ_E_NS1_11comp_targetILNS1_3genE4ELNS1_11target_archE910ELNS1_3gpuE8ELNS1_3repE0EEENS1_47radix_sort_onesweep_sort_config_static_selectorELNS0_4arch9wavefront6targetE1EEEvSG_ ; -- Begin function _ZN7rocprim17ROCPRIM_400000_NS6detail17trampoline_kernelINS0_14default_configENS1_35radix_sort_onesweep_config_selectorIalEEZZNS1_29radix_sort_onesweep_iterationIS3_Lb0EPaS7_N6thrust23THRUST_200600_302600_NS10device_ptrIlEESB_jNS0_19identity_decomposerENS1_16block_id_wrapperIjLb0EEEEE10hipError_tT1_PNSt15iterator_traitsISG_E10value_typeET2_T3_PNSH_ISM_E10value_typeET4_T5_PSR_SS_PNS1_23onesweep_lookback_stateEbbT6_jjT7_P12ihipStream_tbENKUlT_T0_SG_SL_E_clIS7_S7_SB_SB_EEDaSZ_S10_SG_SL_EUlSZ_E_NS1_11comp_targetILNS1_3genE4ELNS1_11target_archE910ELNS1_3gpuE8ELNS1_3repE0EEENS1_47radix_sort_onesweep_sort_config_static_selectorELNS0_4arch9wavefront6targetE1EEEvSG_
	.globl	_ZN7rocprim17ROCPRIM_400000_NS6detail17trampoline_kernelINS0_14default_configENS1_35radix_sort_onesweep_config_selectorIalEEZZNS1_29radix_sort_onesweep_iterationIS3_Lb0EPaS7_N6thrust23THRUST_200600_302600_NS10device_ptrIlEESB_jNS0_19identity_decomposerENS1_16block_id_wrapperIjLb0EEEEE10hipError_tT1_PNSt15iterator_traitsISG_E10value_typeET2_T3_PNSH_ISM_E10value_typeET4_T5_PSR_SS_PNS1_23onesweep_lookback_stateEbbT6_jjT7_P12ihipStream_tbENKUlT_T0_SG_SL_E_clIS7_S7_SB_SB_EEDaSZ_S10_SG_SL_EUlSZ_E_NS1_11comp_targetILNS1_3genE4ELNS1_11target_archE910ELNS1_3gpuE8ELNS1_3repE0EEENS1_47radix_sort_onesweep_sort_config_static_selectorELNS0_4arch9wavefront6targetE1EEEvSG_
	.p2align	8
	.type	_ZN7rocprim17ROCPRIM_400000_NS6detail17trampoline_kernelINS0_14default_configENS1_35radix_sort_onesweep_config_selectorIalEEZZNS1_29radix_sort_onesweep_iterationIS3_Lb0EPaS7_N6thrust23THRUST_200600_302600_NS10device_ptrIlEESB_jNS0_19identity_decomposerENS1_16block_id_wrapperIjLb0EEEEE10hipError_tT1_PNSt15iterator_traitsISG_E10value_typeET2_T3_PNSH_ISM_E10value_typeET4_T5_PSR_SS_PNS1_23onesweep_lookback_stateEbbT6_jjT7_P12ihipStream_tbENKUlT_T0_SG_SL_E_clIS7_S7_SB_SB_EEDaSZ_S10_SG_SL_EUlSZ_E_NS1_11comp_targetILNS1_3genE4ELNS1_11target_archE910ELNS1_3gpuE8ELNS1_3repE0EEENS1_47radix_sort_onesweep_sort_config_static_selectorELNS0_4arch9wavefront6targetE1EEEvSG_,@function
_ZN7rocprim17ROCPRIM_400000_NS6detail17trampoline_kernelINS0_14default_configENS1_35radix_sort_onesweep_config_selectorIalEEZZNS1_29radix_sort_onesweep_iterationIS3_Lb0EPaS7_N6thrust23THRUST_200600_302600_NS10device_ptrIlEESB_jNS0_19identity_decomposerENS1_16block_id_wrapperIjLb0EEEEE10hipError_tT1_PNSt15iterator_traitsISG_E10value_typeET2_T3_PNSH_ISM_E10value_typeET4_T5_PSR_SS_PNS1_23onesweep_lookback_stateEbbT6_jjT7_P12ihipStream_tbENKUlT_T0_SG_SL_E_clIS7_S7_SB_SB_EEDaSZ_S10_SG_SL_EUlSZ_E_NS1_11comp_targetILNS1_3genE4ELNS1_11target_archE910ELNS1_3gpuE8ELNS1_3repE0EEENS1_47radix_sort_onesweep_sort_config_static_selectorELNS0_4arch9wavefront6targetE1EEEvSG_: ; @_ZN7rocprim17ROCPRIM_400000_NS6detail17trampoline_kernelINS0_14default_configENS1_35radix_sort_onesweep_config_selectorIalEEZZNS1_29radix_sort_onesweep_iterationIS3_Lb0EPaS7_N6thrust23THRUST_200600_302600_NS10device_ptrIlEESB_jNS0_19identity_decomposerENS1_16block_id_wrapperIjLb0EEEEE10hipError_tT1_PNSt15iterator_traitsISG_E10value_typeET2_T3_PNSH_ISM_E10value_typeET4_T5_PSR_SS_PNS1_23onesweep_lookback_stateEbbT6_jjT7_P12ihipStream_tbENKUlT_T0_SG_SL_E_clIS7_S7_SB_SB_EEDaSZ_S10_SG_SL_EUlSZ_E_NS1_11comp_targetILNS1_3genE4ELNS1_11target_archE910ELNS1_3gpuE8ELNS1_3repE0EEENS1_47radix_sort_onesweep_sort_config_static_selectorELNS0_4arch9wavefront6targetE1EEEvSG_
; %bb.0:
	s_load_dwordx8 s[36:43], s[4:5], 0x0
	s_load_dwordx4 s[44:47], s[4:5], 0x44
	s_load_dwordx4 s[28:31], s[4:5], 0x28
	s_load_dwordx2 s[34:35], s[4:5], 0x38
	v_mbcnt_lo_u32_b32 v1, -1, 0
	s_waitcnt lgkmcnt(0)
	s_cmp_ge_u32 s6, s46
	s_cbranch_scc0 .LBB631_84
; %bb.1:
	s_load_dword s0, s[4:5], 0x20
	s_lshl_b32 s1, s46, 13
	s_lshl_b32 s46, s6, 13
	v_mbcnt_hi_u32_b32 v6, -1, v1
	v_and_b32_e32 v10, 0x3ff, v0
	s_waitcnt lgkmcnt(0)
	s_sub_i32 s7, s0, s1
	s_add_u32 s0, s36, s46
	s_addc_u32 s1, s37, 0
	v_and_b32_e32 v14, 63, v6
	v_lshlrev_b32_e32 v11, 3, v10
	v_mov_b32_e32 v2, s1
	v_add_co_u32_e32 v3, vcc, s0, v14
	v_and_b32_e32 v12, 0x1e00, v11
	v_addc_co_u32_e32 v4, vcc, 0, v2, vcc
	v_add_co_u32_e32 v2, vcc, v3, v12
	v_addc_co_u32_e32 v3, vcc, 0, v4, vcc
	v_or_b32_e32 v5, v14, v12
	s_mov_b32 s47, 0
	v_cmp_gt_u32_e32 vcc, s7, v5
	v_mov_b32_e32 v4, 0x7f
	v_mov_b32_e32 v7, 0x7f
	;; [unrolled: 1-line block ×8, first 2 shown]
	s_and_saveexec_b64 s[0:1], vcc
	s_cbranch_execz .LBB631_3
; %bb.2:
	global_load_ubyte v4, v[2:3], off
	v_mov_b32_e32 v17, 0x7f
	v_mov_b32_e32 v21, 0x7f
	;; [unrolled: 1-line block ×7, first 2 shown]
.LBB631_3:
	s_or_b64 exec, exec, s[0:1]
	v_or_b32_e32 v8, 64, v5
	v_cmp_gt_u32_e64 s[0:1], s7, v8
	s_and_saveexec_b64 s[2:3], s[0:1]
	s_cbranch_execz .LBB631_5
; %bb.4:
	global_load_ubyte v17, v[2:3], off offset:64
.LBB631_5:
	s_or_b64 exec, exec, s[2:3]
	v_or_b32_e32 v8, 0x80, v5
	v_cmp_gt_u32_e64 s[2:3], s7, v8
	s_and_saveexec_b64 s[8:9], s[2:3]
	s_cbranch_execz .LBB631_7
; %bb.6:
	global_load_ubyte v21, v[2:3], off offset:128
.LBB631_7:
	;; [unrolled: 8-line block ×7, first 2 shown]
	s_or_b64 exec, exec, s[16:17]
	s_load_dword s16, s[4:5], 0x64
	s_load_dword s33, s[4:5], 0x58
	s_add_u32 s17, s4, 0x58
	s_addc_u32 s18, s5, 0
	v_mov_b32_e32 v2, 0
	s_waitcnt lgkmcnt(0)
	s_lshr_b32 s19, s16, 16
	s_cmp_lt_u32 s6, s33
	s_cselect_b32 s16, 12, 18
	s_add_u32 s16, s17, s16
	s_addc_u32 s17, s18, 0
	global_load_ushort v5, v2, s[16:17]
	s_waitcnt vmcnt(1)
	v_xor_b32_e32 v8, 0xffffff80, v4
	s_lshl_b32 s16, -1, s45
	v_lshrrev_b32_sdwa v15, s44, v8 dst_sel:DWORD dst_unused:UNUSED_PAD src0_sel:DWORD src1_sel:BYTE_0
	s_not_b32 s50, s16
	v_and_b32_e32 v15, s50, v15
	v_and_b32_e32 v19, 1, v15
	v_bfe_u32 v3, v0, 10, 10
	v_bfe_u32 v4, v0, 20, 10
	v_add_co_u32_e64 v22, s[16:17], -1, v19
	v_mad_u32_u24 v4, v4, s19, v3
	v_lshlrev_b32_e32 v3, 30, v15
	v_addc_co_u32_e64 v24, s[16:17], 0, -1, s[16:17]
	v_cmp_ne_u32_e64 s[16:17], 0, v19
	v_cmp_gt_i64_e64 s[18:19], 0, v[2:3]
	v_not_b32_e32 v19, v3
	v_lshlrev_b32_e32 v3, 29, v15
	v_xor_b32_e32 v24, s17, v24
	v_xor_b32_e32 v22, s16, v22
	v_ashrrev_i32_e32 v19, 31, v19
	v_cmp_gt_i64_e64 s[16:17], 0, v[2:3]
	v_not_b32_e32 v25, v3
	v_lshlrev_b32_e32 v3, 28, v15
	v_and_b32_e32 v24, exec_hi, v24
	v_and_b32_e32 v22, exec_lo, v22
	v_xor_b32_e32 v26, s19, v19
	v_xor_b32_e32 v19, s18, v19
	v_ashrrev_i32_e32 v25, 31, v25
	v_cmp_gt_i64_e64 s[18:19], 0, v[2:3]
	v_not_b32_e32 v27, v3
	v_lshlrev_b32_e32 v3, 27, v15
	v_and_b32_e32 v24, v24, v26
	v_and_b32_e32 v19, v22, v19
	v_xor_b32_e32 v22, s17, v25
	v_xor_b32_e32 v25, s16, v25
	v_ashrrev_i32_e32 v26, 31, v27
	v_cmp_gt_i64_e64 s[16:17], 0, v[2:3]
	v_not_b32_e32 v27, v3
	v_lshlrev_b32_e32 v3, 26, v15
	v_and_b32_e32 v22, v24, v22
	v_and_b32_e32 v19, v19, v25
	;; [unrolled: 8-line block ×3, first 2 shown]
	v_xor_b32_e32 v24, s17, v26
	v_xor_b32_e32 v25, s16, v26
	v_ashrrev_i32_e32 v26, 31, v27
	v_cmp_gt_i64_e64 s[16:17], 0, v[2:3]
	v_not_b32_e32 v27, v3
	v_lshlrev_b32_e32 v3, 24, v15
	v_mul_u32_u24_e32 v18, 17, v15
	v_and_b32_e32 v15, v22, v24
	v_and_b32_e32 v19, v19, v25
	v_xor_b32_e32 v22, s19, v26
	v_xor_b32_e32 v24, s18, v26
	v_ashrrev_i32_e32 v25, 31, v27
	v_cmp_gt_i64_e64 s[18:19], 0, v[2:3]
	v_not_b32_e32 v3, v3
	v_and_b32_e32 v15, v15, v22
	v_and_b32_e32 v19, v19, v24
	v_xor_b32_e32 v22, s17, v25
	v_xor_b32_e32 v24, s16, v25
	v_ashrrev_i32_e32 v3, 31, v3
	v_and_b32_e32 v15, v15, v22
	v_and_b32_e32 v19, v19, v24
	v_mul_u32_u24_e32 v13, 5, v10
	v_lshlrev_b32_e32 v13, 2, v13
	ds_write2_b32 v13, v2, v2 offset0:16 offset1:17
	ds_write2_b32 v13, v2, v2 offset0:18 offset1:19
	ds_write_b32 v13, v2 offset:80
	s_waitcnt lgkmcnt(0)
	s_barrier
	s_waitcnt lgkmcnt(0)
	; wave barrier
	s_waitcnt vmcnt(0)
	v_mad_u64_u32 v[4:5], s[16:17], v4, v5, v[10:11]
	v_lshrrev_b32_e32 v24, 6, v4
	v_xor_b32_e32 v4, s19, v3
	v_xor_b32_e32 v3, s18, v3
	v_and_b32_e32 v5, v15, v4
	v_and_b32_e32 v4, v19, v3
	v_mbcnt_lo_u32_b32 v3, v4, 0
	v_mbcnt_hi_u32_b32 v15, v5, v3
	v_cmp_eq_u32_e64 s[16:17], 0, v15
	v_cmp_ne_u64_e64 s[18:19], 0, v[4:5]
	v_add_lshl_u32 v18, v24, v18, 2
	s_and_b64 s[18:19], s[18:19], s[16:17]
	s_and_saveexec_b64 s[16:17], s[18:19]
	s_cbranch_execz .LBB631_19
; %bb.18:
	v_bcnt_u32_b32 v3, v4, 0
	v_bcnt_u32_b32 v3, v5, v3
	ds_write_b32 v18, v3 offset:64
.LBB631_19:
	s_or_b64 exec, exec, s[16:17]
	v_xor_b32_e32 v17, 0xffffff80, v17
	v_lshrrev_b32_sdwa v3, s44, v17 dst_sel:DWORD dst_unused:UNUSED_PAD src0_sel:DWORD src1_sel:BYTE_0
	v_and_b32_e32 v4, s50, v3
	v_mul_u32_u24_e32 v3, 17, v4
	v_add_lshl_u32 v19, v24, v3, 2
	v_and_b32_e32 v3, 1, v4
	v_add_co_u32_e64 v5, s[16:17], -1, v3
	v_addc_co_u32_e64 v22, s[16:17], 0, -1, s[16:17]
	v_cmp_ne_u32_e64 s[16:17], 0, v3
	v_xor_b32_e32 v3, s17, v22
	v_and_b32_e32 v22, exec_hi, v3
	v_lshlrev_b32_e32 v3, 30, v4
	v_xor_b32_e32 v5, s16, v5
	v_cmp_gt_i64_e64 s[16:17], 0, v[2:3]
	v_not_b32_e32 v3, v3
	v_ashrrev_i32_e32 v3, 31, v3
	v_and_b32_e32 v5, exec_lo, v5
	v_xor_b32_e32 v25, s17, v3
	v_xor_b32_e32 v3, s16, v3
	v_and_b32_e32 v5, v5, v3
	v_lshlrev_b32_e32 v3, 29, v4
	v_cmp_gt_i64_e64 s[16:17], 0, v[2:3]
	v_not_b32_e32 v3, v3
	v_ashrrev_i32_e32 v3, 31, v3
	v_and_b32_e32 v22, v22, v25
	v_xor_b32_e32 v25, s17, v3
	v_xor_b32_e32 v3, s16, v3
	v_and_b32_e32 v5, v5, v3
	v_lshlrev_b32_e32 v3, 28, v4
	v_cmp_gt_i64_e64 s[16:17], 0, v[2:3]
	v_not_b32_e32 v3, v3
	v_ashrrev_i32_e32 v3, 31, v3
	v_and_b32_e32 v22, v22, v25
	;; [unrolled: 8-line block ×5, first 2 shown]
	v_xor_b32_e32 v25, s17, v3
	v_xor_b32_e32 v3, s16, v3
	v_and_b32_e32 v5, v5, v3
	v_lshlrev_b32_e32 v3, 24, v4
	v_cmp_gt_i64_e64 s[16:17], 0, v[2:3]
	v_not_b32_e32 v2, v3
	v_ashrrev_i32_e32 v2, 31, v2
	v_xor_b32_e32 v3, s17, v2
	v_xor_b32_e32 v2, s16, v2
	; wave barrier
	ds_read_b32 v30, v19 offset:64
	v_and_b32_e32 v22, v22, v25
	v_and_b32_e32 v2, v5, v2
	;; [unrolled: 1-line block ×3, first 2 shown]
	v_mbcnt_lo_u32_b32 v4, v2, 0
	v_mbcnt_hi_u32_b32 v31, v3, v4
	v_cmp_eq_u32_e64 s[16:17], 0, v31
	v_cmp_ne_u64_e64 s[18:19], 0, v[2:3]
	s_and_b64 s[18:19], s[18:19], s[16:17]
	; wave barrier
	s_and_saveexec_b64 s[16:17], s[18:19]
	s_cbranch_execz .LBB631_21
; %bb.20:
	v_bcnt_u32_b32 v2, v2, 0
	v_bcnt_u32_b32 v2, v3, v2
	s_waitcnt lgkmcnt(0)
	v_add_u32_e32 v2, v30, v2
	ds_write_b32 v19, v2 offset:64
.LBB631_21:
	s_or_b64 exec, exec, s[16:17]
	v_xor_b32_e32 v21, 0xffffff80, v21
	v_lshrrev_b32_sdwa v2, s44, v21 dst_sel:DWORD dst_unused:UNUSED_PAD src0_sel:DWORD src1_sel:BYTE_0
	v_and_b32_e32 v4, s50, v2
	v_and_b32_e32 v3, 1, v4
	v_add_co_u32_e64 v5, s[16:17], -1, v3
	v_addc_co_u32_e64 v25, s[16:17], 0, -1, s[16:17]
	v_cmp_ne_u32_e64 s[16:17], 0, v3
	v_mul_u32_u24_e32 v2, 17, v4
	v_xor_b32_e32 v3, s17, v25
	v_add_lshl_u32 v22, v24, v2, 2
	v_mov_b32_e32 v2, 0
	v_and_b32_e32 v25, exec_hi, v3
	v_lshlrev_b32_e32 v3, 30, v4
	v_xor_b32_e32 v5, s16, v5
	v_cmp_gt_i64_e64 s[16:17], 0, v[2:3]
	v_not_b32_e32 v3, v3
	v_ashrrev_i32_e32 v3, 31, v3
	v_and_b32_e32 v5, exec_lo, v5
	v_xor_b32_e32 v26, s17, v3
	v_xor_b32_e32 v3, s16, v3
	v_and_b32_e32 v5, v5, v3
	v_lshlrev_b32_e32 v3, 29, v4
	v_cmp_gt_i64_e64 s[16:17], 0, v[2:3]
	v_not_b32_e32 v3, v3
	v_ashrrev_i32_e32 v3, 31, v3
	v_and_b32_e32 v25, v25, v26
	v_xor_b32_e32 v26, s17, v3
	v_xor_b32_e32 v3, s16, v3
	v_and_b32_e32 v5, v5, v3
	v_lshlrev_b32_e32 v3, 28, v4
	v_cmp_gt_i64_e64 s[16:17], 0, v[2:3]
	v_not_b32_e32 v3, v3
	v_ashrrev_i32_e32 v3, 31, v3
	v_and_b32_e32 v25, v25, v26
	;; [unrolled: 8-line block ×5, first 2 shown]
	v_xor_b32_e32 v26, s17, v3
	v_xor_b32_e32 v3, s16, v3
	v_and_b32_e32 v25, v25, v26
	v_and_b32_e32 v26, v5, v3
	v_lshlrev_b32_e32 v3, 24, v4
	v_cmp_gt_i64_e64 s[16:17], 0, v[2:3]
	v_not_b32_e32 v3, v3
	v_ashrrev_i32_e32 v3, 31, v3
	v_xor_b32_e32 v4, s17, v3
	v_xor_b32_e32 v3, s16, v3
	; wave barrier
	ds_read_b32 v32, v22 offset:64
	v_and_b32_e32 v5, v25, v4
	v_and_b32_e32 v4, v26, v3
	v_mbcnt_lo_u32_b32 v3, v4, 0
	v_mbcnt_hi_u32_b32 v33, v5, v3
	v_cmp_eq_u32_e64 s[16:17], 0, v33
	v_cmp_ne_u64_e64 s[18:19], 0, v[4:5]
	s_and_b64 s[18:19], s[18:19], s[16:17]
	; wave barrier
	s_and_saveexec_b64 s[16:17], s[18:19]
	s_cbranch_execz .LBB631_23
; %bb.22:
	v_bcnt_u32_b32 v3, v4, 0
	v_bcnt_u32_b32 v3, v5, v3
	s_waitcnt lgkmcnt(0)
	v_add_u32_e32 v3, v32, v3
	ds_write_b32 v22, v3 offset:64
.LBB631_23:
	s_or_b64 exec, exec, s[16:17]
	v_xor_b32_e32 v23, 0xffffff80, v23
	v_lshrrev_b32_sdwa v3, s44, v23 dst_sel:DWORD dst_unused:UNUSED_PAD src0_sel:DWORD src1_sel:BYTE_0
	v_and_b32_e32 v4, s50, v3
	v_mul_u32_u24_e32 v3, 17, v4
	v_add_lshl_u32 v25, v24, v3, 2
	v_and_b32_e32 v3, 1, v4
	v_add_co_u32_e64 v5, s[16:17], -1, v3
	v_addc_co_u32_e64 v26, s[16:17], 0, -1, s[16:17]
	v_cmp_ne_u32_e64 s[16:17], 0, v3
	v_xor_b32_e32 v3, s17, v26
	v_and_b32_e32 v26, exec_hi, v3
	v_lshlrev_b32_e32 v3, 30, v4
	v_xor_b32_e32 v5, s16, v5
	v_cmp_gt_i64_e64 s[16:17], 0, v[2:3]
	v_not_b32_e32 v3, v3
	v_ashrrev_i32_e32 v3, 31, v3
	v_and_b32_e32 v5, exec_lo, v5
	v_xor_b32_e32 v27, s17, v3
	v_xor_b32_e32 v3, s16, v3
	v_and_b32_e32 v5, v5, v3
	v_lshlrev_b32_e32 v3, 29, v4
	v_cmp_gt_i64_e64 s[16:17], 0, v[2:3]
	v_not_b32_e32 v3, v3
	v_ashrrev_i32_e32 v3, 31, v3
	v_and_b32_e32 v26, v26, v27
	v_xor_b32_e32 v27, s17, v3
	v_xor_b32_e32 v3, s16, v3
	v_and_b32_e32 v5, v5, v3
	v_lshlrev_b32_e32 v3, 28, v4
	v_cmp_gt_i64_e64 s[16:17], 0, v[2:3]
	v_not_b32_e32 v3, v3
	v_ashrrev_i32_e32 v3, 31, v3
	v_and_b32_e32 v26, v26, v27
	;; [unrolled: 8-line block ×5, first 2 shown]
	v_xor_b32_e32 v27, s17, v3
	v_xor_b32_e32 v3, s16, v3
	v_and_b32_e32 v5, v5, v3
	v_lshlrev_b32_e32 v3, 24, v4
	v_cmp_gt_i64_e64 s[16:17], 0, v[2:3]
	v_not_b32_e32 v2, v3
	v_ashrrev_i32_e32 v2, 31, v2
	v_xor_b32_e32 v3, s17, v2
	v_xor_b32_e32 v2, s16, v2
	; wave barrier
	ds_read_b32 v34, v25 offset:64
	v_and_b32_e32 v26, v26, v27
	v_and_b32_e32 v2, v5, v2
	;; [unrolled: 1-line block ×3, first 2 shown]
	v_mbcnt_lo_u32_b32 v4, v2, 0
	v_mbcnt_hi_u32_b32 v35, v3, v4
	v_cmp_eq_u32_e64 s[16:17], 0, v35
	v_cmp_ne_u64_e64 s[18:19], 0, v[2:3]
	s_and_b64 s[18:19], s[18:19], s[16:17]
	; wave barrier
	s_and_saveexec_b64 s[16:17], s[18:19]
	s_cbranch_execz .LBB631_25
; %bb.24:
	v_bcnt_u32_b32 v2, v2, 0
	v_bcnt_u32_b32 v2, v3, v2
	s_waitcnt lgkmcnt(0)
	v_add_u32_e32 v2, v34, v2
	ds_write_b32 v25, v2 offset:64
.LBB631_25:
	s_or_b64 exec, exec, s[16:17]
	v_xor_b32_e32 v20, 0xffffff80, v20
	v_lshrrev_b32_sdwa v2, s44, v20 dst_sel:DWORD dst_unused:UNUSED_PAD src0_sel:DWORD src1_sel:BYTE_0
	v_and_b32_e32 v4, s50, v2
	v_and_b32_e32 v3, 1, v4
	v_add_co_u32_e64 v5, s[16:17], -1, v3
	v_addc_co_u32_e64 v27, s[16:17], 0, -1, s[16:17]
	v_cmp_ne_u32_e64 s[16:17], 0, v3
	v_mul_u32_u24_e32 v2, 17, v4
	v_xor_b32_e32 v3, s17, v27
	v_add_lshl_u32 v26, v24, v2, 2
	v_mov_b32_e32 v2, 0
	v_and_b32_e32 v27, exec_hi, v3
	v_lshlrev_b32_e32 v3, 30, v4
	v_xor_b32_e32 v5, s16, v5
	v_cmp_gt_i64_e64 s[16:17], 0, v[2:3]
	v_not_b32_e32 v3, v3
	v_ashrrev_i32_e32 v3, 31, v3
	v_and_b32_e32 v5, exec_lo, v5
	v_xor_b32_e32 v28, s17, v3
	v_xor_b32_e32 v3, s16, v3
	v_and_b32_e32 v5, v5, v3
	v_lshlrev_b32_e32 v3, 29, v4
	v_cmp_gt_i64_e64 s[16:17], 0, v[2:3]
	v_not_b32_e32 v3, v3
	v_ashrrev_i32_e32 v3, 31, v3
	v_and_b32_e32 v27, v27, v28
	v_xor_b32_e32 v28, s17, v3
	v_xor_b32_e32 v3, s16, v3
	v_and_b32_e32 v5, v5, v3
	v_lshlrev_b32_e32 v3, 28, v4
	v_cmp_gt_i64_e64 s[16:17], 0, v[2:3]
	v_not_b32_e32 v3, v3
	v_ashrrev_i32_e32 v3, 31, v3
	v_and_b32_e32 v27, v27, v28
	;; [unrolled: 8-line block ×5, first 2 shown]
	v_xor_b32_e32 v28, s17, v3
	v_xor_b32_e32 v3, s16, v3
	v_and_b32_e32 v27, v27, v28
	v_and_b32_e32 v28, v5, v3
	v_lshlrev_b32_e32 v3, 24, v4
	v_cmp_gt_i64_e64 s[16:17], 0, v[2:3]
	v_not_b32_e32 v3, v3
	v_ashrrev_i32_e32 v3, 31, v3
	v_xor_b32_e32 v4, s17, v3
	v_xor_b32_e32 v3, s16, v3
	; wave barrier
	ds_read_b32 v36, v26 offset:64
	v_and_b32_e32 v5, v27, v4
	v_and_b32_e32 v4, v28, v3
	v_mbcnt_lo_u32_b32 v3, v4, 0
	v_mbcnt_hi_u32_b32 v37, v5, v3
	v_cmp_eq_u32_e64 s[16:17], 0, v37
	v_cmp_ne_u64_e64 s[18:19], 0, v[4:5]
	s_and_b64 s[18:19], s[18:19], s[16:17]
	; wave barrier
	s_and_saveexec_b64 s[16:17], s[18:19]
	s_cbranch_execz .LBB631_27
; %bb.26:
	v_bcnt_u32_b32 v3, v4, 0
	v_bcnt_u32_b32 v3, v5, v3
	s_waitcnt lgkmcnt(0)
	v_add_u32_e32 v3, v36, v3
	ds_write_b32 v26, v3 offset:64
.LBB631_27:
	s_or_b64 exec, exec, s[16:17]
	v_xor_b32_e32 v16, 0xffffff80, v16
	v_lshrrev_b32_sdwa v3, s44, v16 dst_sel:DWORD dst_unused:UNUSED_PAD src0_sel:DWORD src1_sel:BYTE_0
	v_and_b32_e32 v4, s50, v3
	v_mul_u32_u24_e32 v3, 17, v4
	v_add_lshl_u32 v27, v24, v3, 2
	v_and_b32_e32 v3, 1, v4
	v_add_co_u32_e64 v5, s[16:17], -1, v3
	v_addc_co_u32_e64 v28, s[16:17], 0, -1, s[16:17]
	v_cmp_ne_u32_e64 s[16:17], 0, v3
	v_xor_b32_e32 v3, s17, v28
	v_and_b32_e32 v28, exec_hi, v3
	v_lshlrev_b32_e32 v3, 30, v4
	v_xor_b32_e32 v5, s16, v5
	v_cmp_gt_i64_e64 s[16:17], 0, v[2:3]
	v_not_b32_e32 v3, v3
	v_ashrrev_i32_e32 v3, 31, v3
	v_and_b32_e32 v5, exec_lo, v5
	v_xor_b32_e32 v29, s17, v3
	v_xor_b32_e32 v3, s16, v3
	v_and_b32_e32 v5, v5, v3
	v_lshlrev_b32_e32 v3, 29, v4
	v_cmp_gt_i64_e64 s[16:17], 0, v[2:3]
	v_not_b32_e32 v3, v3
	v_ashrrev_i32_e32 v3, 31, v3
	v_and_b32_e32 v28, v28, v29
	v_xor_b32_e32 v29, s17, v3
	v_xor_b32_e32 v3, s16, v3
	v_and_b32_e32 v5, v5, v3
	v_lshlrev_b32_e32 v3, 28, v4
	v_cmp_gt_i64_e64 s[16:17], 0, v[2:3]
	v_not_b32_e32 v3, v3
	v_ashrrev_i32_e32 v3, 31, v3
	v_and_b32_e32 v28, v28, v29
	;; [unrolled: 8-line block ×5, first 2 shown]
	v_xor_b32_e32 v29, s17, v3
	v_xor_b32_e32 v3, s16, v3
	v_and_b32_e32 v5, v5, v3
	v_lshlrev_b32_e32 v3, 24, v4
	v_cmp_gt_i64_e64 s[16:17], 0, v[2:3]
	v_not_b32_e32 v2, v3
	v_ashrrev_i32_e32 v2, 31, v2
	v_xor_b32_e32 v3, s17, v2
	v_xor_b32_e32 v2, s16, v2
	; wave barrier
	ds_read_b32 v38, v27 offset:64
	v_and_b32_e32 v28, v28, v29
	v_and_b32_e32 v2, v5, v2
	;; [unrolled: 1-line block ×3, first 2 shown]
	v_mbcnt_lo_u32_b32 v4, v2, 0
	v_mbcnt_hi_u32_b32 v39, v3, v4
	v_cmp_eq_u32_e64 s[16:17], 0, v39
	v_cmp_ne_u64_e64 s[18:19], 0, v[2:3]
	s_and_b64 s[18:19], s[18:19], s[16:17]
	; wave barrier
	s_and_saveexec_b64 s[16:17], s[18:19]
	s_cbranch_execz .LBB631_29
; %bb.28:
	v_bcnt_u32_b32 v2, v2, 0
	v_bcnt_u32_b32 v2, v3, v2
	s_waitcnt lgkmcnt(0)
	v_add_u32_e32 v2, v38, v2
	ds_write_b32 v27, v2 offset:64
.LBB631_29:
	s_or_b64 exec, exec, s[16:17]
	v_xor_b32_e32 v9, 0xffffff80, v9
	v_lshrrev_b32_sdwa v2, s44, v9 dst_sel:DWORD dst_unused:UNUSED_PAD src0_sel:DWORD src1_sel:BYTE_0
	v_and_b32_e32 v4, s50, v2
	v_and_b32_e32 v3, 1, v4
	v_add_co_u32_e64 v5, s[16:17], -1, v3
	v_addc_co_u32_e64 v29, s[16:17], 0, -1, s[16:17]
	v_cmp_ne_u32_e64 s[16:17], 0, v3
	v_mul_u32_u24_e32 v2, 17, v4
	v_xor_b32_e32 v3, s17, v29
	v_add_lshl_u32 v28, v24, v2, 2
	v_mov_b32_e32 v2, 0
	v_and_b32_e32 v29, exec_hi, v3
	v_lshlrev_b32_e32 v3, 30, v4
	v_xor_b32_e32 v5, s16, v5
	v_cmp_gt_i64_e64 s[16:17], 0, v[2:3]
	v_not_b32_e32 v3, v3
	v_ashrrev_i32_e32 v3, 31, v3
	v_and_b32_e32 v5, exec_lo, v5
	v_xor_b32_e32 v41, s17, v3
	v_xor_b32_e32 v3, s16, v3
	v_and_b32_e32 v5, v5, v3
	v_lshlrev_b32_e32 v3, 29, v4
	v_cmp_gt_i64_e64 s[16:17], 0, v[2:3]
	v_not_b32_e32 v3, v3
	v_ashrrev_i32_e32 v3, 31, v3
	v_and_b32_e32 v29, v29, v41
	v_xor_b32_e32 v41, s17, v3
	v_xor_b32_e32 v3, s16, v3
	v_and_b32_e32 v5, v5, v3
	v_lshlrev_b32_e32 v3, 28, v4
	v_cmp_gt_i64_e64 s[16:17], 0, v[2:3]
	v_not_b32_e32 v3, v3
	v_ashrrev_i32_e32 v3, 31, v3
	v_and_b32_e32 v29, v29, v41
	;; [unrolled: 8-line block ×5, first 2 shown]
	v_xor_b32_e32 v41, s17, v3
	v_xor_b32_e32 v3, s16, v3
	v_and_b32_e32 v29, v29, v41
	v_and_b32_e32 v41, v5, v3
	v_lshlrev_b32_e32 v3, 24, v4
	v_cmp_gt_i64_e64 s[16:17], 0, v[2:3]
	v_not_b32_e32 v3, v3
	v_ashrrev_i32_e32 v3, 31, v3
	v_xor_b32_e32 v4, s17, v3
	v_xor_b32_e32 v3, s16, v3
	; wave barrier
	ds_read_b32 v40, v28 offset:64
	v_and_b32_e32 v5, v29, v4
	v_and_b32_e32 v4, v41, v3
	v_mbcnt_lo_u32_b32 v3, v4, 0
	v_mbcnt_hi_u32_b32 v41, v5, v3
	v_cmp_eq_u32_e64 s[16:17], 0, v41
	v_cmp_ne_u64_e64 s[18:19], 0, v[4:5]
	s_and_b64 s[18:19], s[18:19], s[16:17]
	; wave barrier
	s_and_saveexec_b64 s[16:17], s[18:19]
	s_cbranch_execz .LBB631_31
; %bb.30:
	v_bcnt_u32_b32 v3, v4, 0
	v_bcnt_u32_b32 v3, v5, v3
	s_waitcnt lgkmcnt(0)
	v_add_u32_e32 v3, v40, v3
	ds_write_b32 v28, v3 offset:64
.LBB631_31:
	s_or_b64 exec, exec, s[16:17]
	v_xor_b32_e32 v7, 0xffffff80, v7
	v_lshrrev_b32_sdwa v3, s44, v7 dst_sel:DWORD dst_unused:UNUSED_PAD src0_sel:DWORD src1_sel:BYTE_0
	v_and_b32_e32 v4, s50, v3
	v_mul_u32_u24_e32 v3, 17, v4
	v_add_lshl_u32 v29, v24, v3, 2
	v_and_b32_e32 v3, 1, v4
	v_add_co_u32_e64 v5, s[16:17], -1, v3
	v_addc_co_u32_e64 v24, s[16:17], 0, -1, s[16:17]
	v_cmp_ne_u32_e64 s[16:17], 0, v3
	v_xor_b32_e32 v3, s17, v24
	v_and_b32_e32 v24, exec_hi, v3
	v_lshlrev_b32_e32 v3, 30, v4
	v_xor_b32_e32 v5, s16, v5
	v_cmp_gt_i64_e64 s[16:17], 0, v[2:3]
	v_not_b32_e32 v3, v3
	v_ashrrev_i32_e32 v3, 31, v3
	v_and_b32_e32 v5, exec_lo, v5
	v_xor_b32_e32 v44, s17, v3
	v_xor_b32_e32 v3, s16, v3
	v_and_b32_e32 v5, v5, v3
	v_lshlrev_b32_e32 v3, 29, v4
	v_cmp_gt_i64_e64 s[16:17], 0, v[2:3]
	v_not_b32_e32 v3, v3
	v_ashrrev_i32_e32 v3, 31, v3
	v_and_b32_e32 v24, v24, v44
	v_xor_b32_e32 v44, s17, v3
	v_xor_b32_e32 v3, s16, v3
	v_and_b32_e32 v5, v5, v3
	v_lshlrev_b32_e32 v3, 28, v4
	v_cmp_gt_i64_e64 s[16:17], 0, v[2:3]
	v_not_b32_e32 v3, v3
	v_ashrrev_i32_e32 v3, 31, v3
	v_and_b32_e32 v24, v24, v44
	;; [unrolled: 8-line block ×5, first 2 shown]
	v_xor_b32_e32 v44, s17, v3
	v_xor_b32_e32 v3, s16, v3
	v_and_b32_e32 v5, v5, v3
	v_lshlrev_b32_e32 v3, 24, v4
	v_cmp_gt_i64_e64 s[16:17], 0, v[2:3]
	v_not_b32_e32 v2, v3
	v_ashrrev_i32_e32 v2, 31, v2
	v_xor_b32_e32 v3, s17, v2
	v_xor_b32_e32 v2, s16, v2
	; wave barrier
	ds_read_b32 v42, v29 offset:64
	v_and_b32_e32 v24, v24, v44
	v_and_b32_e32 v2, v5, v2
	;; [unrolled: 1-line block ×3, first 2 shown]
	v_mbcnt_lo_u32_b32 v4, v2, 0
	v_mbcnt_hi_u32_b32 v45, v3, v4
	v_cmp_eq_u32_e64 s[16:17], 0, v45
	v_cmp_ne_u64_e64 s[18:19], 0, v[2:3]
	v_add_u32_e32 v43, 64, v13
	s_and_b64 s[18:19], s[18:19], s[16:17]
	; wave barrier
	s_and_saveexec_b64 s[16:17], s[18:19]
	s_cbranch_execz .LBB631_33
; %bb.32:
	v_bcnt_u32_b32 v2, v2, 0
	v_bcnt_u32_b32 v2, v3, v2
	s_waitcnt lgkmcnt(0)
	v_add_u32_e32 v2, v42, v2
	ds_write_b32 v29, v2 offset:64
.LBB631_33:
	s_or_b64 exec, exec, s[16:17]
	; wave barrier
	s_waitcnt lgkmcnt(0)
	s_barrier
	ds_read2_b32 v[4:5], v13 offset0:16 offset1:17
	ds_read2_b32 v[2:3], v43 offset0:2 offset1:3
	ds_read_b32 v24, v43 offset:16
	v_cmp_lt_u32_e64 s[26:27], 31, v6
	s_waitcnt lgkmcnt(1)
	v_add3_u32 v44, v5, v4, v2
	s_waitcnt lgkmcnt(0)
	v_add3_u32 v24, v44, v3, v24
	v_and_b32_e32 v44, 15, v6
	v_cmp_eq_u32_e64 s[16:17], 0, v44
	v_mov_b32_dpp v46, v24 row_shr:1 row_mask:0xf bank_mask:0xf
	v_cndmask_b32_e64 v46, v46, 0, s[16:17]
	v_add_u32_e32 v24, v46, v24
	v_cmp_lt_u32_e64 s[18:19], 1, v44
	v_cmp_lt_u32_e64 s[20:21], 3, v44
	v_mov_b32_dpp v46, v24 row_shr:2 row_mask:0xf bank_mask:0xf
	v_cndmask_b32_e64 v46, 0, v46, s[18:19]
	v_add_u32_e32 v24, v24, v46
	v_cmp_lt_u32_e64 s[22:23], 7, v44
	s_nop 0
	v_mov_b32_dpp v46, v24 row_shr:4 row_mask:0xf bank_mask:0xf
	v_cndmask_b32_e64 v46, 0, v46, s[20:21]
	v_add_u32_e32 v24, v24, v46
	s_nop 1
	v_mov_b32_dpp v46, v24 row_shr:8 row_mask:0xf bank_mask:0xf
	v_cndmask_b32_e64 v44, 0, v46, s[22:23]
	v_add_u32_e32 v24, v24, v44
	v_bfe_i32 v46, v6, 4, 1
	s_nop 0
	v_mov_b32_dpp v44, v24 row_bcast:15 row_mask:0xf bank_mask:0xf
	v_and_b32_e32 v44, v46, v44
	v_add_u32_e32 v24, v24, v44
	v_lshrrev_b32_e32 v46, 6, v10
	s_nop 0
	v_mov_b32_dpp v44, v24 row_bcast:31 row_mask:0xf bank_mask:0xf
	v_cndmask_b32_e64 v44, 0, v44, s[26:27]
	v_add_u32_e32 v44, v24, v44
	v_and_b32_e32 v24, 63, v10
	v_cmp_eq_u32_e64 s[26:27], 63, v24
	s_and_saveexec_b64 s[48:49], s[26:27]
	s_cbranch_execz .LBB631_35
; %bb.34:
	v_lshlrev_b32_e32 v24, 2, v46
	ds_write_b32 v24, v44
.LBB631_35:
	s_or_b64 exec, exec, s[48:49]
	v_cmp_gt_u32_e64 s[26:27], 16, v10
	v_lshlrev_b32_e32 v24, 2, v10
	s_waitcnt lgkmcnt(0)
	s_barrier
	s_and_saveexec_b64 s[48:49], s[26:27]
	s_cbranch_execz .LBB631_37
; %bb.36:
	ds_read_b32 v47, v24
	s_waitcnt lgkmcnt(0)
	s_nop 0
	v_mov_b32_dpp v48, v47 row_shr:1 row_mask:0xf bank_mask:0xf
	v_cndmask_b32_e64 v48, v48, 0, s[16:17]
	v_add_u32_e32 v47, v48, v47
	s_nop 1
	v_mov_b32_dpp v48, v47 row_shr:2 row_mask:0xf bank_mask:0xf
	v_cndmask_b32_e64 v48, 0, v48, s[18:19]
	v_add_u32_e32 v47, v47, v48
	;; [unrolled: 4-line block ×4, first 2 shown]
	ds_write_b32 v24, v47
.LBB631_37:
	s_or_b64 exec, exec, s[48:49]
	v_cmp_lt_u32_e64 s[16:17], 63, v10
	v_mov_b32_e32 v47, 0
	s_waitcnt lgkmcnt(0)
	s_barrier
	s_and_saveexec_b64 s[18:19], s[16:17]
	s_cbranch_execz .LBB631_39
; %bb.38:
	v_lshl_add_u32 v46, v46, 2, -4
	ds_read_b32 v47, v46
.LBB631_39:
	s_or_b64 exec, exec, s[18:19]
	v_add_u32_e32 v46, -1, v6
	v_and_b32_e32 v48, 64, v6
	v_cmp_lt_i32_e64 s[16:17], v46, v48
	v_cndmask_b32_e64 v46, v46, v6, s[16:17]
	s_waitcnt lgkmcnt(0)
	v_add_u32_e32 v44, v47, v44
	v_lshlrev_b32_e32 v46, 2, v46
	ds_bpermute_b32 v44, v46, v44
	v_cmp_eq_u32_e64 s[16:17], 0, v6
	s_waitcnt lgkmcnt(0)
	v_cndmask_b32_e64 v6, v44, v47, s[16:17]
	v_cmp_ne_u32_e64 s[16:17], 0, v10
	v_cndmask_b32_e64 v6, 0, v6, s[16:17]
	v_add_u32_e32 v4, v6, v4
	v_add_u32_e32 v5, v4, v5
	;; [unrolled: 1-line block ×4, first 2 shown]
	ds_write2_b32 v13, v6, v4 offset0:16 offset1:17
	ds_write2_b32 v43, v5, v2 offset0:2 offset1:3
	ds_write_b32 v43, v3 offset:16
	s_waitcnt lgkmcnt(0)
	s_barrier
	ds_read_b32 v2, v18 offset:64
	ds_read_b32 v47, v19 offset:64
	;; [unrolled: 1-line block ×8, first 2 shown]
	s_movk_i32 s16, 0x100
	v_cmp_gt_u32_e64 s[16:17], s16, v10
                                        ; implicit-def: $vgpr43
                                        ; implicit-def: $vgpr44
	s_and_saveexec_b64 s[20:21], s[16:17]
	s_cbranch_execz .LBB631_43
; %bb.40:
	v_mul_u32_u24_e32 v3, 17, v10
	v_lshlrev_b32_e32 v4, 2, v3
	ds_read_b32 v43, v4 offset:64
	s_movk_i32 s18, 0xff
	v_cmp_ne_u32_e64 s[18:19], s18, v10
	v_mov_b32_e32 v3, 0x2000
	s_and_saveexec_b64 s[22:23], s[18:19]
	s_cbranch_execz .LBB631_42
; %bb.41:
	ds_read_b32 v3, v4 offset:132
.LBB631_42:
	s_or_b64 exec, exec, s[22:23]
	s_waitcnt lgkmcnt(0)
	v_sub_u32_e32 v44, v3, v43
.LBB631_43:
	s_or_b64 exec, exec, s[20:21]
	s_waitcnt lgkmcnt(7)
	v_add_u32_e32 v46, v2, v15
	s_waitcnt lgkmcnt(6)
	v_add3_u32 v2, v31, v30, v47
	s_waitcnt lgkmcnt(5)
	v_add3_u32 v3, v33, v32, v48
	;; [unrolled: 2-line block ×7, first 2 shown]
	s_barrier
	ds_write_b8 v46, v8 offset:1024
	ds_write_b8 v2, v17 offset:1024
	;; [unrolled: 1-line block ×8, first 2 shown]
	s_and_saveexec_b64 s[20:21], s[16:17]
	s_cbranch_execz .LBB631_53
; %bb.44:
	v_lshl_or_b32 v2, s6, 8, v10
	v_mov_b32_e32 v3, 0
	v_lshlrev_b64 v[4:5], 2, v[2:3]
	v_mov_b32_e32 v8, s35
	v_add_co_u32_e64 v4, s[18:19], s34, v4
	v_addc_co_u32_e64 v5, s[18:19], v8, v5, s[18:19]
	v_or_b32_e32 v2, 2.0, v44
	s_mov_b64 s[22:23], 0
	s_brev_b32 s51, 1
	s_mov_b32 s52, s6
	v_mov_b32_e32 v9, 0
	global_store_dword v[4:5], v2, off
                                        ; implicit-def: $sgpr18_sgpr19
	s_branch .LBB631_46
.LBB631_45:                             ;   in Loop: Header=BB631_46 Depth=1
	s_or_b64 exec, exec, s[26:27]
	v_and_b32_e32 v6, 0x3fffffff, v13
	v_add_u32_e32 v9, v6, v9
	v_cmp_eq_u32_e64 s[18:19], s51, v2
	s_and_b64 s[26:27], exec, s[18:19]
	s_or_b64 s[22:23], s[26:27], s[22:23]
	s_andn2_b64 exec, exec, s[22:23]
	s_cbranch_execz .LBB631_52
.LBB631_46:                             ; =>This Loop Header: Depth=1
                                        ;     Child Loop BB631_49 Depth 2
	s_or_b64 s[18:19], s[18:19], exec
	s_cmp_eq_u32 s52, 0
	s_cbranch_scc1 .LBB631_51
; %bb.47:                               ;   in Loop: Header=BB631_46 Depth=1
	s_add_i32 s52, s52, -1
	v_lshl_or_b32 v2, s52, 8, v10
	v_lshlrev_b64 v[6:7], 2, v[2:3]
	v_add_co_u32_e64 v6, s[18:19], s34, v6
	v_addc_co_u32_e64 v7, s[18:19], v8, v7, s[18:19]
	global_load_dword v13, v[6:7], off glc
	s_waitcnt vmcnt(0)
	v_and_b32_e32 v2, -2.0, v13
	v_cmp_eq_u32_e64 s[18:19], 0, v2
	s_and_saveexec_b64 s[26:27], s[18:19]
	s_cbranch_execz .LBB631_45
; %bb.48:                               ;   in Loop: Header=BB631_46 Depth=1
	s_mov_b64 s[48:49], 0
.LBB631_49:                             ;   Parent Loop BB631_46 Depth=1
                                        ; =>  This Inner Loop Header: Depth=2
	global_load_dword v13, v[6:7], off glc
	s_waitcnt vmcnt(0)
	v_and_b32_e32 v2, -2.0, v13
	v_cmp_ne_u32_e64 s[18:19], 0, v2
	s_or_b64 s[48:49], s[18:19], s[48:49]
	s_andn2_b64 exec, exec, s[48:49]
	s_cbranch_execnz .LBB631_49
; %bb.50:                               ;   in Loop: Header=BB631_46 Depth=1
	s_or_b64 exec, exec, s[48:49]
	s_branch .LBB631_45
.LBB631_51:                             ;   in Loop: Header=BB631_46 Depth=1
                                        ; implicit-def: $sgpr52
	s_and_b64 s[26:27], exec, s[18:19]
	s_or_b64 s[22:23], s[26:27], s[22:23]
	s_andn2_b64 exec, exec, s[22:23]
	s_cbranch_execnz .LBB631_46
.LBB631_52:
	s_or_b64 exec, exec, s[22:23]
	v_add_u32_e32 v2, v9, v44
	v_or_b32_e32 v2, 0x80000000, v2
	global_store_dword v[4:5], v2, off
	global_load_dword v2, v24, s[28:29]
	v_sub_u32_e32 v3, v9, v43
	s_waitcnt vmcnt(0)
	v_add_u32_e32 v2, v3, v2
	ds_write_b32 v24, v2
.LBB631_53:
	s_or_b64 exec, exec, s[20:21]
	v_cmp_gt_u32_e64 s[18:19], s7, v10
	s_waitcnt lgkmcnt(0)
	s_barrier
	s_waitcnt lgkmcnt(0)
                                        ; implicit-def: $vgpr2_vgpr3_vgpr4_vgpr5_vgpr6_vgpr7_vgpr8_vgpr9
	s_and_saveexec_b64 s[20:21], s[18:19]
	s_cbranch_execz .LBB631_55
; %bb.54:
	ds_read_u8 v3, v10 offset:1024
	s_waitcnt lgkmcnt(0)
	v_lshrrev_b32_sdwa v2, s44, v3 dst_sel:DWORD dst_unused:UNUSED_PAD src0_sel:DWORD src1_sel:BYTE_0
	v_and_b32_e32 v2, s50, v2
	v_lshlrev_b32_e32 v4, 2, v2
	ds_read_b32 v4, v4
	v_xor_b32_e32 v3, 0x80, v3
	s_waitcnt lgkmcnt(0)
	v_add_u32_e32 v4, v4, v10
	global_store_byte v4, v3, s[38:39]
.LBB631_55:
	s_or_b64 exec, exec, s[20:21]
	v_or_b32_e32 v13, 0x400, v10
	v_cmp_gt_u32_e64 s[18:19], s7, v13
	s_and_saveexec_b64 s[20:21], s[18:19]
	s_cbranch_execz .LBB631_57
; %bb.56:
	ds_read_u8 v15, v10 offset:2048
	s_waitcnt lgkmcnt(0)
	v_lshrrev_b32_sdwa v3, s44, v15 dst_sel:DWORD dst_unused:UNUSED_PAD src0_sel:DWORD src1_sel:BYTE_0
	v_and_b32_e32 v3, s50, v3
	v_lshlrev_b32_e32 v16, 2, v3
	ds_read_b32 v16, v16
	v_xor_b32_e32 v15, 0x80, v15
	s_waitcnt lgkmcnt(0)
	v_add_u32_e32 v13, v16, v13
	global_store_byte v13, v15, s[38:39]
.LBB631_57:
	s_or_b64 exec, exec, s[20:21]
	v_or_b32_e32 v13, 0x800, v10
	v_cmp_gt_u32_e64 s[18:19], s7, v13
	;; [unrolled: 17-line block ×7, first 2 shown]
	s_and_saveexec_b64 s[20:21], s[18:19]
	s_cbranch_execz .LBB631_69
; %bb.68:
	ds_read_u8 v15, v10 offset:8192
	s_waitcnt lgkmcnt(0)
	v_lshrrev_b32_sdwa v9, s44, v15 dst_sel:DWORD dst_unused:UNUSED_PAD src0_sel:DWORD src1_sel:BYTE_0
	v_and_b32_e32 v9, s50, v9
	v_lshlrev_b32_e32 v16, 2, v9
	ds_read_b32 v16, v16
	v_xor_b32_e32 v15, 0x80, v15
	s_waitcnt lgkmcnt(0)
	v_add_u32_e32 v13, v16, v13
	global_store_byte v13, v15, s[38:39]
.LBB631_69:
	s_or_b64 exec, exec, s[20:21]
	s_lshl_b64 s[18:19], s[46:47], 3
	s_add_u32 s18, s40, s18
	s_addc_u32 s19, s41, s19
	v_lshlrev_b32_e32 v13, 3, v14
	v_mov_b32_e32 v14, s19
	v_add_co_u32_e64 v13, s[18:19], s18, v13
	v_addc_co_u32_e64 v14, s[18:19], 0, v14, s[18:19]
	v_lshlrev_b32_e32 v12, 3, v12
	v_add_co_u32_e64 v28, s[18:19], v13, v12
	v_addc_co_u32_e64 v29, s[18:19], 0, v14, s[18:19]
                                        ; implicit-def: $vgpr12_vgpr13
	s_and_saveexec_b64 s[18:19], vcc
	s_xor_b64 s[18:19], exec, s[18:19]
	s_cbranch_execnz .LBB631_134
; %bb.70:
	s_or_b64 exec, exec, s[18:19]
                                        ; implicit-def: $vgpr14_vgpr15
	s_and_saveexec_b64 s[18:19], s[0:1]
	s_cbranch_execnz .LBB631_135
.LBB631_71:
	s_or_b64 exec, exec, s[18:19]
                                        ; implicit-def: $vgpr16_vgpr17
	s_and_saveexec_b64 s[0:1], s[2:3]
	s_cbranch_execnz .LBB631_136
.LBB631_72:
	s_or_b64 exec, exec, s[0:1]
                                        ; implicit-def: $vgpr18_vgpr19
	s_and_saveexec_b64 s[0:1], s[24:25]
	s_cbranch_execnz .LBB631_137
.LBB631_73:
	s_or_b64 exec, exec, s[0:1]
                                        ; implicit-def: $vgpr20_vgpr21
	s_and_saveexec_b64 s[0:1], s[8:9]
	s_cbranch_execnz .LBB631_138
.LBB631_74:
	s_or_b64 exec, exec, s[0:1]
                                        ; implicit-def: $vgpr22_vgpr23
	s_and_saveexec_b64 s[0:1], s[10:11]
	s_cbranch_execnz .LBB631_139
.LBB631_75:
	s_or_b64 exec, exec, s[0:1]
                                        ; implicit-def: $vgpr24_vgpr25
	s_and_saveexec_b64 s[0:1], s[12:13]
	s_cbranch_execnz .LBB631_140
.LBB631_76:
	s_or_b64 exec, exec, s[0:1]
                                        ; implicit-def: $vgpr26_vgpr27
	s_and_saveexec_b64 s[0:1], s[14:15]
	s_cbranch_execz .LBB631_78
.LBB631_77:
	global_load_dwordx2 v[26:27], v[28:29], off offset:3584
.LBB631_78:
	s_or_b64 exec, exec, s[0:1]
	s_movk_i32 s2, 0x400
	v_add_u32_e32 v54, 0x400, v11
	v_add3_u32 v42, v45, v53, v42
	v_add3_u32 v40, v41, v52, v40
	;; [unrolled: 1-line block ×7, first 2 shown]
	s_mov_b32 s3, 0
	v_mov_b32_e32 v29, 0
	s_mov_b32 s8, 0
	v_mov_b32_e32 v31, v10
	s_barrier
	s_waitcnt vmcnt(0)
	s_branch .LBB631_80
.LBB631_79:                             ;   in Loop: Header=BB631_80 Depth=1
	s_or_b64 exec, exec, s[0:1]
	s_addk_i32 s8, 0xf800
	s_add_i32 s3, s3, 2
	s_cmpk_eq_i32 s8, 0xe000
	v_add_u32_e32 v31, 0x800, v31
	s_barrier
	s_cbranch_scc1 .LBB631_85
.LBB631_80:                             ; =>This Inner Loop Header: Depth=1
	v_add_u32_e32 v28, s8, v46
	v_min_u32_e32 v28, 0x800, v28
	v_lshlrev_b32_e32 v28, 3, v28
	ds_write_b64 v28, v[12:13] offset:1024
	v_add_u32_e32 v28, s8, v30
	v_min_u32_e32 v28, 0x800, v28
	v_lshlrev_b32_e32 v28, 3, v28
	ds_write_b64 v28, v[14:15] offset:1024
	;; [unrolled: 4-line block ×7, first 2 shown]
	v_add_u32_e32 v28, s8, v42
	v_min_u32_e32 v28, 0x800, v28
	v_lshlrev_b32_e32 v28, 3, v28
	v_cmp_gt_u32_e32 vcc, s7, v31
	ds_write_b64 v28, v[26:27] offset:1024
	s_waitcnt lgkmcnt(0)
	s_barrier
	s_and_saveexec_b64 s[0:1], vcc
	s_cbranch_execz .LBB631_82
; %bb.81:                               ;   in Loop: Header=BB631_80 Depth=1
	s_cmp_eq_u32 s3, 1
	s_cselect_b64 vcc, -1, 0
	s_cmp_eq_u32 s3, 2
	v_cndmask_b32_e32 v28, v2, v3, vcc
	s_cselect_b64 vcc, -1, 0
	s_cmp_eq_u32 s3, 3
	v_cndmask_b32_e32 v28, v28, v4, vcc
	;; [unrolled: 3-line block ×6, first 2 shown]
	s_cselect_b64 vcc, -1, 0
	v_cndmask_b32_e32 v28, v28, v9, vcc
	v_lshlrev_b32_e32 v28, 2, v28
	ds_read_b32 v28, v28
	ds_read_b64 v[48:49], v11 offset:1024
	s_waitcnt lgkmcnt(1)
	v_add_u32_e32 v28, v31, v28
	v_lshlrev_b64 v[50:51], 3, v[28:29]
	v_mov_b32_e32 v28, s43
	v_add_co_u32_e32 v50, vcc, s42, v50
	v_addc_co_u32_e32 v51, vcc, v28, v51, vcc
	s_waitcnt lgkmcnt(0)
	global_store_dwordx2 v[50:51], v[48:49], off
.LBB631_82:                             ;   in Loop: Header=BB631_80 Depth=1
	s_or_b64 exec, exec, s[0:1]
	v_add_u32_e32 v28, 0x400, v31
	v_cmp_gt_u32_e32 vcc, s7, v28
	s_and_saveexec_b64 s[0:1], vcc
	s_cbranch_execz .LBB631_79
; %bb.83:                               ;   in Loop: Header=BB631_80 Depth=1
	s_add_i32 s9, s3, 1
	s_cmp_eq_u32 s9, 1
	s_cselect_b64 vcc, -1, 0
	s_cmp_eq_u32 s9, 2
	v_cndmask_b32_e32 v28, v2, v3, vcc
	s_cselect_b64 vcc, -1, 0
	s_cmp_eq_u32 s9, 3
	v_cndmask_b32_e32 v28, v28, v4, vcc
	s_cselect_b64 vcc, -1, 0
	s_cmp_eq_u32 s9, 4
	v_cndmask_b32_e32 v28, v28, v5, vcc
	s_cselect_b64 vcc, -1, 0
	s_cmp_eq_u32 s9, 5
	v_cndmask_b32_e32 v28, v28, v6, vcc
	s_cselect_b64 vcc, -1, 0
	s_cmp_eq_u32 s9, 6
	v_cndmask_b32_e32 v28, v28, v7, vcc
	s_cselect_b64 vcc, -1, 0
	s_cmp_eq_u32 s9, 7
	v_cndmask_b32_e32 v28, v28, v8, vcc
	s_cselect_b64 vcc, -1, 0
	v_cndmask_b32_e32 v28, v28, v9, vcc
	v_lshlrev_b32_e32 v28, 2, v28
	ds_read_b32 v28, v28
	ds_read_b64 v[48:49], v54 offset:8192
	s_waitcnt lgkmcnt(1)
	v_add3_u32 v28, v31, v28, s2
	v_lshlrev_b64 v[50:51], 3, v[28:29]
	v_mov_b32_e32 v28, s43
	v_add_co_u32_e32 v50, vcc, s42, v50
	v_addc_co_u32_e32 v51, vcc, v28, v51, vcc
	s_waitcnt lgkmcnt(0)
	global_store_dwordx2 v[50:51], v[48:49], off
	s_branch .LBB631_79
.LBB631_84:
	s_mov_b64 s[10:11], 0
                                        ; implicit-def: $vgpr2
                                        ; implicit-def: $vgpr10_vgpr11
	s_cbranch_execnz .LBB631_88
	s_branch .LBB631_131
.LBB631_85:
	s_add_i32 s33, s33, -1
	s_cmp_eq_u32 s33, s6
	s_cselect_b64 s[0:1], -1, 0
	s_and_b64 s[2:3], s[16:17], s[0:1]
	s_mov_b64 s[0:1], 0
	s_mov_b64 s[10:11], 0
                                        ; implicit-def: $vgpr2
	s_and_saveexec_b64 s[8:9], s[2:3]
	s_xor_b64 s[2:3], exec, s[8:9]
; %bb.86:
	s_mov_b64 s[10:11], exec
	v_mov_b32_e32 v11, 0
	v_add_u32_e32 v2, v43, v44
; %bb.87:
	s_or_b64 exec, exec, s[2:3]
	s_and_b64 vcc, exec, s[0:1]
	s_cbranch_vccz .LBB631_131
.LBB631_88:
	s_lshl_b32 s12, s6, 13
	v_mbcnt_hi_u32_b32 v5, -1, v1
	s_add_u32 s0, s36, s12
	v_and_b32_e32 v12, 63, v5
	v_add_co_u32_e32 v3, vcc, s0, v12
	s_load_dword s7, s[4:5], 0x58
	s_load_dword s0, s[4:5], 0x64
	v_and_b32_e32 v8, 0x3ff, v0
	s_addc_u32 s1, s37, 0
	v_lshlrev_b32_e32 v1, 3, v8
	v_and_b32_e32 v14, 0x1e00, v1
	v_mov_b32_e32 v1, s1
	v_addc_co_u32_e32 v1, vcc, 0, v1, vcc
	s_add_u32 s1, s4, 0x58
	v_add_co_u32_e32 v26, vcc, v3, v14
	s_addc_u32 s2, s5, 0
	s_waitcnt lgkmcnt(0)
	s_lshr_b32 s3, s0, 16
	v_addc_co_u32_e32 v27, vcc, 0, v1, vcc
	s_cmp_lt_u32 s6, s7
	global_load_ubyte v1, v[26:27], off
	s_cselect_b32 s0, 12, 18
	s_add_u32 s0, s1, s0
	v_mov_b32_e32 v2, 0
	s_addc_u32 s1, s2, 0
	global_load_ushort v7, v2, s[0:1]
	v_mul_u32_u24_e32 v4, 5, v8
	v_lshlrev_b32_e32 v6, 2, v4
	ds_write2_b32 v6, v2, v2 offset0:16 offset1:17
	ds_write2_b32 v6, v2, v2 offset0:18 offset1:19
	ds_write_b32 v6, v2 offset:80
	global_load_ubyte v10, v[26:27], off offset:64
	global_load_ubyte v16, v[26:27], off offset:128
	;; [unrolled: 1-line block ×7, first 2 shown]
	s_lshl_b32 s0, -1, s45
	v_bfe_u32 v3, v0, 10, 10
	v_bfe_u32 v0, v0, 20, 10
	s_not_b32 s16, s0
	v_mad_u32_u24 v0, v0, s3, v3
	s_mov_b32 s13, 0
	s_waitcnt lgkmcnt(0)
	s_barrier
	s_waitcnt lgkmcnt(0)
	; wave barrier
	s_waitcnt vmcnt(8)
	v_xor_b32_e32 v4, 0x80, v1
	v_lshrrev_b32_e32 v1, s44, v4
	v_and_b32_e32 v9, s16, v1
	v_and_b32_e32 v13, 1, v9
	v_lshlrev_b32_e32 v3, 30, v9
	s_waitcnt vmcnt(7)
	v_mad_u64_u32 v[0:1], s[0:1], v0, v7, v[8:9]
	v_add_co_u32_e32 v1, vcc, -1, v13
	v_addc_co_u32_e64 v7, s[0:1], 0, -1, vcc
	v_cmp_ne_u32_e32 vcc, 0, v13
	v_cmp_gt_i64_e64 s[0:1], 0, v[2:3]
	v_not_b32_e32 v13, v3
	v_lshlrev_b32_e32 v3, 29, v9
	v_mul_u32_u24_e32 v11, 17, v9
	v_lshrrev_b32_e32 v26, 6, v0
	v_xor_b32_e32 v0, vcc_hi, v7
	v_xor_b32_e32 v1, vcc_lo, v1
	v_ashrrev_i32_e32 v13, 31, v13
	v_cmp_gt_i64_e32 vcc, 0, v[2:3]
	v_not_b32_e32 v15, v3
	v_lshlrev_b32_e32 v3, 28, v9
	v_add_lshl_u32 v7, v26, v11, 2
	v_and_b32_e32 v0, exec_hi, v0
	v_and_b32_e32 v1, exec_lo, v1
	v_xor_b32_e32 v11, s1, v13
	v_xor_b32_e32 v13, s0, v13
	v_ashrrev_i32_e32 v15, 31, v15
	v_cmp_gt_i64_e64 s[0:1], 0, v[2:3]
	v_not_b32_e32 v17, v3
	v_lshlrev_b32_e32 v3, 27, v9
	v_and_b32_e32 v0, v0, v11
	v_and_b32_e32 v1, v1, v13
	v_xor_b32_e32 v11, vcc_hi, v15
	v_xor_b32_e32 v13, vcc_lo, v15
	v_ashrrev_i32_e32 v15, 31, v17
	v_cmp_gt_i64_e32 vcc, 0, v[2:3]
	v_not_b32_e32 v3, v3
	v_and_b32_e32 v0, v0, v11
	v_and_b32_e32 v1, v1, v13
	v_xor_b32_e32 v11, s1, v15
	v_xor_b32_e32 v13, s0, v15
	v_ashrrev_i32_e32 v3, 31, v3
	v_and_b32_e32 v0, v0, v11
	v_and_b32_e32 v1, v1, v13
	v_xor_b32_e32 v11, vcc_hi, v3
	v_xor_b32_e32 v3, vcc_lo, v3
	v_and_b32_e32 v1, v1, v3
	v_lshlrev_b32_e32 v3, 26, v9
	v_cmp_gt_i64_e32 vcc, 0, v[2:3]
	v_not_b32_e32 v3, v3
	v_ashrrev_i32_e32 v3, 31, v3
	v_and_b32_e32 v0, v0, v11
	v_xor_b32_e32 v11, vcc_hi, v3
	v_xor_b32_e32 v3, vcc_lo, v3
	v_and_b32_e32 v1, v1, v3
	v_lshlrev_b32_e32 v3, 25, v9
	v_cmp_gt_i64_e32 vcc, 0, v[2:3]
	v_not_b32_e32 v3, v3
	v_ashrrev_i32_e32 v3, 31, v3
	v_and_b32_e32 v0, v0, v11
	v_xor_b32_e32 v11, vcc_hi, v3
	v_xor_b32_e32 v3, vcc_lo, v3
	v_and_b32_e32 v0, v0, v11
	v_and_b32_e32 v11, v1, v3
	v_lshlrev_b32_e32 v3, 24, v9
	v_not_b32_e32 v1, v3
	v_cmp_gt_i64_e32 vcc, 0, v[2:3]
	v_ashrrev_i32_e32 v1, 31, v1
	v_xor_b32_e32 v3, vcc_hi, v1
	v_xor_b32_e32 v9, vcc_lo, v1
	v_and_b32_e32 v1, v0, v3
	v_and_b32_e32 v0, v11, v9
	v_mbcnt_lo_u32_b32 v3, v0, 0
	v_mbcnt_hi_u32_b32 v9, v1, v3
	v_cmp_eq_u32_e32 vcc, 0, v9
	v_cmp_ne_u64_e64 s[0:1], 0, v[0:1]
	s_and_b64 s[2:3], s[0:1], vcc
	s_and_saveexec_b64 s[0:1], s[2:3]
	s_cbranch_execz .LBB631_90
; %bb.89:
	v_bcnt_u32_b32 v0, v0, 0
	v_bcnt_u32_b32 v0, v1, v0
	ds_write_b32 v7, v0 offset:64
.LBB631_90:
	s_or_b64 exec, exec, s[0:1]
	s_waitcnt vmcnt(6)
	v_xor_b32_e32 v10, 0xffffff80, v10
	v_lshrrev_b32_sdwa v0, s44, v10 dst_sel:DWORD dst_unused:UNUSED_PAD src0_sel:DWORD src1_sel:BYTE_0
	v_and_b32_e32 v0, s16, v0
	v_mul_u32_u24_e32 v1, 17, v0
	v_add_lshl_u32 v11, v26, v1, 2
	v_and_b32_e32 v1, 1, v0
	v_add_co_u32_e32 v3, vcc, -1, v1
	v_addc_co_u32_e64 v15, s[0:1], 0, -1, vcc
	v_cmp_ne_u32_e32 vcc, 0, v1
	v_xor_b32_e32 v3, vcc_lo, v3
	v_xor_b32_e32 v1, vcc_hi, v15
	v_and_b32_e32 v15, exec_lo, v3
	v_lshlrev_b32_e32 v3, 30, v0
	v_cmp_gt_i64_e32 vcc, 0, v[2:3]
	v_not_b32_e32 v3, v3
	v_ashrrev_i32_e32 v3, 31, v3
	v_xor_b32_e32 v17, vcc_hi, v3
	v_xor_b32_e32 v3, vcc_lo, v3
	v_and_b32_e32 v15, v15, v3
	v_lshlrev_b32_e32 v3, 29, v0
	v_cmp_gt_i64_e32 vcc, 0, v[2:3]
	v_not_b32_e32 v3, v3
	v_and_b32_e32 v1, exec_hi, v1
	v_ashrrev_i32_e32 v3, 31, v3
	v_and_b32_e32 v1, v1, v17
	v_xor_b32_e32 v17, vcc_hi, v3
	v_xor_b32_e32 v3, vcc_lo, v3
	v_and_b32_e32 v15, v15, v3
	v_lshlrev_b32_e32 v3, 28, v0
	v_cmp_gt_i64_e32 vcc, 0, v[2:3]
	v_not_b32_e32 v3, v3
	v_ashrrev_i32_e32 v3, 31, v3
	v_and_b32_e32 v1, v1, v17
	v_xor_b32_e32 v17, vcc_hi, v3
	v_xor_b32_e32 v3, vcc_lo, v3
	v_and_b32_e32 v15, v15, v3
	v_lshlrev_b32_e32 v3, 27, v0
	v_cmp_gt_i64_e32 vcc, 0, v[2:3]
	v_not_b32_e32 v3, v3
	;; [unrolled: 8-line block ×4, first 2 shown]
	v_ashrrev_i32_e32 v3, 31, v3
	v_and_b32_e32 v1, v1, v17
	v_xor_b32_e32 v17, vcc_hi, v3
	v_xor_b32_e32 v3, vcc_lo, v3
	v_and_b32_e32 v15, v15, v3
	v_lshlrev_b32_e32 v3, 24, v0
	v_not_b32_e32 v0, v3
	v_cmp_gt_i64_e32 vcc, 0, v[2:3]
	v_ashrrev_i32_e32 v0, 31, v0
	v_xor_b32_e32 v2, vcc_hi, v0
	v_xor_b32_e32 v0, vcc_lo, v0
	; wave barrier
	ds_read_b32 v13, v11 offset:64
	v_and_b32_e32 v1, v1, v17
	v_and_b32_e32 v0, v15, v0
	;; [unrolled: 1-line block ×3, first 2 shown]
	v_mbcnt_lo_u32_b32 v2, v0, 0
	v_mbcnt_hi_u32_b32 v15, v1, v2
	v_cmp_eq_u32_e32 vcc, 0, v15
	v_cmp_ne_u64_e64 s[0:1], 0, v[0:1]
	s_and_b64 s[2:3], s[0:1], vcc
	; wave barrier
	s_and_saveexec_b64 s[0:1], s[2:3]
	s_cbranch_execz .LBB631_92
; %bb.91:
	v_bcnt_u32_b32 v0, v0, 0
	v_bcnt_u32_b32 v0, v1, v0
	s_waitcnt lgkmcnt(0)
	v_add_u32_e32 v0, v13, v0
	ds_write_b32 v11, v0 offset:64
.LBB631_92:
	s_or_b64 exec, exec, s[0:1]
	s_waitcnt vmcnt(5)
	v_xor_b32_e32 v22, 0xffffff80, v16
	v_lshrrev_b32_sdwa v0, s44, v22 dst_sel:DWORD dst_unused:UNUSED_PAD src0_sel:DWORD src1_sel:BYTE_0
	v_and_b32_e32 v2, s16, v0
	v_and_b32_e32 v1, 1, v2
	v_add_co_u32_e32 v3, vcc, -1, v1
	v_addc_co_u32_e64 v17, s[0:1], 0, -1, vcc
	v_cmp_ne_u32_e32 vcc, 0, v1
	v_mul_u32_u24_e32 v0, 17, v2
	v_xor_b32_e32 v1, vcc_hi, v17
	v_add_lshl_u32 v25, v26, v0, 2
	v_mov_b32_e32 v0, 0
	v_and_b32_e32 v17, exec_hi, v1
	v_lshlrev_b32_e32 v1, 30, v2
	v_xor_b32_e32 v3, vcc_lo, v3
	v_cmp_gt_i64_e32 vcc, 0, v[0:1]
	v_not_b32_e32 v1, v1
	v_ashrrev_i32_e32 v1, 31, v1
	v_and_b32_e32 v3, exec_lo, v3
	v_xor_b32_e32 v19, vcc_hi, v1
	v_xor_b32_e32 v1, vcc_lo, v1
	v_and_b32_e32 v3, v3, v1
	v_lshlrev_b32_e32 v1, 29, v2
	v_cmp_gt_i64_e32 vcc, 0, v[0:1]
	v_not_b32_e32 v1, v1
	v_ashrrev_i32_e32 v1, 31, v1
	v_and_b32_e32 v17, v17, v19
	v_xor_b32_e32 v19, vcc_hi, v1
	v_xor_b32_e32 v1, vcc_lo, v1
	v_and_b32_e32 v3, v3, v1
	v_lshlrev_b32_e32 v1, 28, v2
	v_cmp_gt_i64_e32 vcc, 0, v[0:1]
	v_not_b32_e32 v1, v1
	v_ashrrev_i32_e32 v1, 31, v1
	v_and_b32_e32 v17, v17, v19
	;; [unrolled: 8-line block ×5, first 2 shown]
	v_xor_b32_e32 v19, vcc_hi, v1
	v_xor_b32_e32 v1, vcc_lo, v1
	v_and_b32_e32 v17, v17, v19
	v_and_b32_e32 v19, v3, v1
	v_lshlrev_b32_e32 v1, 24, v2
	v_cmp_gt_i64_e32 vcc, 0, v[0:1]
	v_not_b32_e32 v1, v1
	v_ashrrev_i32_e32 v1, 31, v1
	v_xor_b32_e32 v2, vcc_hi, v1
	v_xor_b32_e32 v1, vcc_lo, v1
	; wave barrier
	ds_read_b32 v16, v25 offset:64
	v_and_b32_e32 v3, v17, v2
	v_and_b32_e32 v2, v19, v1
	v_mbcnt_lo_u32_b32 v1, v2, 0
	v_mbcnt_hi_u32_b32 v17, v3, v1
	v_cmp_eq_u32_e32 vcc, 0, v17
	v_cmp_ne_u64_e64 s[0:1], 0, v[2:3]
	s_and_b64 s[2:3], s[0:1], vcc
	; wave barrier
	s_and_saveexec_b64 s[0:1], s[2:3]
	s_cbranch_execz .LBB631_94
; %bb.93:
	v_bcnt_u32_b32 v1, v2, 0
	v_bcnt_u32_b32 v1, v3, v1
	s_waitcnt lgkmcnt(0)
	v_add_u32_e32 v1, v16, v1
	ds_write_b32 v25, v1 offset:64
.LBB631_94:
	s_or_b64 exec, exec, s[0:1]
	s_waitcnt vmcnt(4)
	v_xor_b32_e32 v28, 0xffffff80, v18
	v_lshrrev_b32_sdwa v1, s44, v28 dst_sel:DWORD dst_unused:UNUSED_PAD src0_sel:DWORD src1_sel:BYTE_0
	v_and_b32_e32 v2, s16, v1
	v_mul_u32_u24_e32 v1, 17, v2
	v_add_lshl_u32 v30, v26, v1, 2
	v_and_b32_e32 v1, 1, v2
	v_add_co_u32_e32 v3, vcc, -1, v1
	v_addc_co_u32_e64 v19, s[0:1], 0, -1, vcc
	v_cmp_ne_u32_e32 vcc, 0, v1
	v_xor_b32_e32 v1, vcc_hi, v19
	v_and_b32_e32 v19, exec_hi, v1
	v_lshlrev_b32_e32 v1, 30, v2
	v_xor_b32_e32 v3, vcc_lo, v3
	v_cmp_gt_i64_e32 vcc, 0, v[0:1]
	v_not_b32_e32 v1, v1
	v_ashrrev_i32_e32 v1, 31, v1
	v_and_b32_e32 v3, exec_lo, v3
	v_xor_b32_e32 v21, vcc_hi, v1
	v_xor_b32_e32 v1, vcc_lo, v1
	v_and_b32_e32 v3, v3, v1
	v_lshlrev_b32_e32 v1, 29, v2
	v_cmp_gt_i64_e32 vcc, 0, v[0:1]
	v_not_b32_e32 v1, v1
	v_ashrrev_i32_e32 v1, 31, v1
	v_and_b32_e32 v19, v19, v21
	v_xor_b32_e32 v21, vcc_hi, v1
	v_xor_b32_e32 v1, vcc_lo, v1
	v_and_b32_e32 v3, v3, v1
	v_lshlrev_b32_e32 v1, 28, v2
	v_cmp_gt_i64_e32 vcc, 0, v[0:1]
	v_not_b32_e32 v1, v1
	v_ashrrev_i32_e32 v1, 31, v1
	v_and_b32_e32 v19, v19, v21
	;; [unrolled: 8-line block ×5, first 2 shown]
	v_xor_b32_e32 v21, vcc_hi, v1
	v_xor_b32_e32 v1, vcc_lo, v1
	v_and_b32_e32 v3, v3, v1
	v_lshlrev_b32_e32 v1, 24, v2
	v_cmp_gt_i64_e32 vcc, 0, v[0:1]
	v_not_b32_e32 v0, v1
	v_ashrrev_i32_e32 v0, 31, v0
	v_xor_b32_e32 v1, vcc_hi, v0
	v_xor_b32_e32 v0, vcc_lo, v0
	; wave barrier
	ds_read_b32 v18, v30 offset:64
	v_and_b32_e32 v19, v19, v21
	v_and_b32_e32 v0, v3, v0
	;; [unrolled: 1-line block ×3, first 2 shown]
	v_mbcnt_lo_u32_b32 v2, v0, 0
	v_mbcnt_hi_u32_b32 v19, v1, v2
	v_cmp_eq_u32_e32 vcc, 0, v19
	v_cmp_ne_u64_e64 s[0:1], 0, v[0:1]
	s_and_b64 s[2:3], s[0:1], vcc
	; wave barrier
	s_and_saveexec_b64 s[0:1], s[2:3]
	s_cbranch_execz .LBB631_96
; %bb.95:
	v_bcnt_u32_b32 v0, v0, 0
	v_bcnt_u32_b32 v0, v1, v0
	s_waitcnt lgkmcnt(0)
	v_add_u32_e32 v0, v18, v0
	ds_write_b32 v30, v0 offset:64
.LBB631_96:
	s_or_b64 exec, exec, s[0:1]
	s_waitcnt vmcnt(3)
	v_xor_b32_e32 v32, 0xffffff80, v20
	v_lshrrev_b32_sdwa v0, s44, v32 dst_sel:DWORD dst_unused:UNUSED_PAD src0_sel:DWORD src1_sel:BYTE_0
	v_and_b32_e32 v2, s16, v0
	v_and_b32_e32 v1, 1, v2
	v_add_co_u32_e32 v3, vcc, -1, v1
	v_addc_co_u32_e64 v21, s[0:1], 0, -1, vcc
	v_cmp_ne_u32_e32 vcc, 0, v1
	v_mul_u32_u24_e32 v0, 17, v2
	v_xor_b32_e32 v1, vcc_hi, v21
	v_add_lshl_u32 v33, v26, v0, 2
	v_mov_b32_e32 v0, 0
	v_and_b32_e32 v21, exec_hi, v1
	v_lshlrev_b32_e32 v1, 30, v2
	v_xor_b32_e32 v3, vcc_lo, v3
	v_cmp_gt_i64_e32 vcc, 0, v[0:1]
	v_not_b32_e32 v1, v1
	v_ashrrev_i32_e32 v1, 31, v1
	v_and_b32_e32 v3, exec_lo, v3
	v_xor_b32_e32 v27, vcc_hi, v1
	v_xor_b32_e32 v1, vcc_lo, v1
	v_and_b32_e32 v3, v3, v1
	v_lshlrev_b32_e32 v1, 29, v2
	v_cmp_gt_i64_e32 vcc, 0, v[0:1]
	v_not_b32_e32 v1, v1
	v_ashrrev_i32_e32 v1, 31, v1
	v_and_b32_e32 v21, v21, v27
	v_xor_b32_e32 v27, vcc_hi, v1
	v_xor_b32_e32 v1, vcc_lo, v1
	v_and_b32_e32 v3, v3, v1
	v_lshlrev_b32_e32 v1, 28, v2
	v_cmp_gt_i64_e32 vcc, 0, v[0:1]
	v_not_b32_e32 v1, v1
	v_ashrrev_i32_e32 v1, 31, v1
	v_and_b32_e32 v21, v21, v27
	;; [unrolled: 8-line block ×5, first 2 shown]
	v_xor_b32_e32 v27, vcc_hi, v1
	v_xor_b32_e32 v1, vcc_lo, v1
	v_and_b32_e32 v21, v21, v27
	v_and_b32_e32 v27, v3, v1
	v_lshlrev_b32_e32 v1, 24, v2
	v_cmp_gt_i64_e32 vcc, 0, v[0:1]
	v_not_b32_e32 v1, v1
	v_ashrrev_i32_e32 v1, 31, v1
	v_xor_b32_e32 v2, vcc_hi, v1
	v_xor_b32_e32 v1, vcc_lo, v1
	; wave barrier
	ds_read_b32 v20, v33 offset:64
	v_and_b32_e32 v3, v21, v2
	v_and_b32_e32 v2, v27, v1
	v_mbcnt_lo_u32_b32 v1, v2, 0
	v_mbcnt_hi_u32_b32 v21, v3, v1
	v_cmp_eq_u32_e32 vcc, 0, v21
	v_cmp_ne_u64_e64 s[0:1], 0, v[2:3]
	s_and_b64 s[2:3], s[0:1], vcc
	; wave barrier
	s_and_saveexec_b64 s[0:1], s[2:3]
	s_cbranch_execz .LBB631_98
; %bb.97:
	v_bcnt_u32_b32 v1, v2, 0
	v_bcnt_u32_b32 v1, v3, v1
	s_waitcnt lgkmcnt(0)
	v_add_u32_e32 v1, v20, v1
	ds_write_b32 v33, v1 offset:64
.LBB631_98:
	s_or_b64 exec, exec, s[0:1]
	s_waitcnt vmcnt(2)
	v_xor_b32_e32 v34, 0xffffff80, v23
	v_lshrrev_b32_sdwa v1, s44, v34 dst_sel:DWORD dst_unused:UNUSED_PAD src0_sel:DWORD src1_sel:BYTE_0
	v_and_b32_e32 v2, s16, v1
	v_mul_u32_u24_e32 v1, 17, v2
	v_add_lshl_u32 v35, v26, v1, 2
	v_and_b32_e32 v1, 1, v2
	v_add_co_u32_e32 v3, vcc, -1, v1
	v_addc_co_u32_e64 v27, s[0:1], 0, -1, vcc
	v_cmp_ne_u32_e32 vcc, 0, v1
	v_xor_b32_e32 v1, vcc_hi, v27
	v_and_b32_e32 v27, exec_hi, v1
	v_lshlrev_b32_e32 v1, 30, v2
	v_xor_b32_e32 v3, vcc_lo, v3
	v_cmp_gt_i64_e32 vcc, 0, v[0:1]
	v_not_b32_e32 v1, v1
	v_ashrrev_i32_e32 v1, 31, v1
	v_and_b32_e32 v3, exec_lo, v3
	v_xor_b32_e32 v31, vcc_hi, v1
	v_xor_b32_e32 v1, vcc_lo, v1
	v_and_b32_e32 v3, v3, v1
	v_lshlrev_b32_e32 v1, 29, v2
	v_cmp_gt_i64_e32 vcc, 0, v[0:1]
	v_not_b32_e32 v1, v1
	v_ashrrev_i32_e32 v1, 31, v1
	v_and_b32_e32 v27, v27, v31
	v_xor_b32_e32 v31, vcc_hi, v1
	v_xor_b32_e32 v1, vcc_lo, v1
	v_and_b32_e32 v3, v3, v1
	v_lshlrev_b32_e32 v1, 28, v2
	v_cmp_gt_i64_e32 vcc, 0, v[0:1]
	v_not_b32_e32 v1, v1
	v_ashrrev_i32_e32 v1, 31, v1
	v_and_b32_e32 v27, v27, v31
	;; [unrolled: 8-line block ×5, first 2 shown]
	v_xor_b32_e32 v31, vcc_hi, v1
	v_xor_b32_e32 v1, vcc_lo, v1
	v_and_b32_e32 v3, v3, v1
	v_lshlrev_b32_e32 v1, 24, v2
	v_cmp_gt_i64_e32 vcc, 0, v[0:1]
	v_not_b32_e32 v0, v1
	v_ashrrev_i32_e32 v0, 31, v0
	v_xor_b32_e32 v1, vcc_hi, v0
	v_xor_b32_e32 v0, vcc_lo, v0
	; wave barrier
	ds_read_b32 v23, v35 offset:64
	v_and_b32_e32 v27, v27, v31
	v_and_b32_e32 v0, v3, v0
	;; [unrolled: 1-line block ×3, first 2 shown]
	v_mbcnt_lo_u32_b32 v2, v0, 0
	v_mbcnt_hi_u32_b32 v27, v1, v2
	v_cmp_eq_u32_e32 vcc, 0, v27
	v_cmp_ne_u64_e64 s[0:1], 0, v[0:1]
	s_and_b64 s[2:3], s[0:1], vcc
	; wave barrier
	s_and_saveexec_b64 s[0:1], s[2:3]
	s_cbranch_execz .LBB631_100
; %bb.99:
	v_bcnt_u32_b32 v0, v0, 0
	v_bcnt_u32_b32 v0, v1, v0
	s_waitcnt lgkmcnt(0)
	v_add_u32_e32 v0, v23, v0
	ds_write_b32 v35, v0 offset:64
.LBB631_100:
	s_or_b64 exec, exec, s[0:1]
	s_waitcnt vmcnt(1)
	v_xor_b32_e32 v36, 0xffffff80, v29
	v_lshrrev_b32_sdwa v0, s44, v36 dst_sel:DWORD dst_unused:UNUSED_PAD src0_sel:DWORD src1_sel:BYTE_0
	v_and_b32_e32 v2, s16, v0
	v_and_b32_e32 v1, 1, v2
	v_add_co_u32_e32 v3, vcc, -1, v1
	v_addc_co_u32_e64 v31, s[0:1], 0, -1, vcc
	v_cmp_ne_u32_e32 vcc, 0, v1
	v_mul_u32_u24_e32 v0, 17, v2
	v_xor_b32_e32 v1, vcc_hi, v31
	v_add_lshl_u32 v41, v26, v0, 2
	v_mov_b32_e32 v0, 0
	v_and_b32_e32 v31, exec_hi, v1
	v_lshlrev_b32_e32 v1, 30, v2
	v_xor_b32_e32 v3, vcc_lo, v3
	v_cmp_gt_i64_e32 vcc, 0, v[0:1]
	v_not_b32_e32 v1, v1
	v_ashrrev_i32_e32 v1, 31, v1
	v_and_b32_e32 v3, exec_lo, v3
	v_xor_b32_e32 v37, vcc_hi, v1
	v_xor_b32_e32 v1, vcc_lo, v1
	v_and_b32_e32 v3, v3, v1
	v_lshlrev_b32_e32 v1, 29, v2
	v_cmp_gt_i64_e32 vcc, 0, v[0:1]
	v_not_b32_e32 v1, v1
	v_ashrrev_i32_e32 v1, 31, v1
	v_and_b32_e32 v31, v31, v37
	v_xor_b32_e32 v37, vcc_hi, v1
	v_xor_b32_e32 v1, vcc_lo, v1
	v_and_b32_e32 v3, v3, v1
	v_lshlrev_b32_e32 v1, 28, v2
	v_cmp_gt_i64_e32 vcc, 0, v[0:1]
	v_not_b32_e32 v1, v1
	v_ashrrev_i32_e32 v1, 31, v1
	v_and_b32_e32 v31, v31, v37
	;; [unrolled: 8-line block ×5, first 2 shown]
	v_xor_b32_e32 v37, vcc_hi, v1
	v_xor_b32_e32 v1, vcc_lo, v1
	v_and_b32_e32 v31, v31, v37
	v_and_b32_e32 v37, v3, v1
	v_lshlrev_b32_e32 v1, 24, v2
	v_cmp_gt_i64_e32 vcc, 0, v[0:1]
	v_not_b32_e32 v1, v1
	v_ashrrev_i32_e32 v1, 31, v1
	v_xor_b32_e32 v2, vcc_hi, v1
	v_xor_b32_e32 v1, vcc_lo, v1
	; wave barrier
	ds_read_b32 v29, v41 offset:64
	v_and_b32_e32 v3, v31, v2
	v_and_b32_e32 v2, v37, v1
	v_mbcnt_lo_u32_b32 v1, v2, 0
	v_mbcnt_hi_u32_b32 v31, v3, v1
	v_cmp_eq_u32_e32 vcc, 0, v31
	v_cmp_ne_u64_e64 s[0:1], 0, v[2:3]
	s_and_b64 s[2:3], s[0:1], vcc
	; wave barrier
	s_and_saveexec_b64 s[0:1], s[2:3]
	s_cbranch_execz .LBB631_102
; %bb.101:
	v_bcnt_u32_b32 v1, v2, 0
	v_bcnt_u32_b32 v1, v3, v1
	s_waitcnt lgkmcnt(0)
	v_add_u32_e32 v1, v29, v1
	ds_write_b32 v41, v1 offset:64
.LBB631_102:
	s_or_b64 exec, exec, s[0:1]
	s_waitcnt vmcnt(0)
	v_xor_b32_e32 v43, 0xffffff80, v24
	v_lshrrev_b32_sdwa v1, s44, v43 dst_sel:DWORD dst_unused:UNUSED_PAD src0_sel:DWORD src1_sel:BYTE_0
	v_and_b32_e32 v2, s16, v1
	v_mul_u32_u24_e32 v1, 17, v2
	v_add_lshl_u32 v42, v26, v1, 2
	v_and_b32_e32 v1, 1, v2
	v_add_co_u32_e32 v3, vcc, -1, v1
	v_addc_co_u32_e64 v26, s[0:1], 0, -1, vcc
	v_cmp_ne_u32_e32 vcc, 0, v1
	v_xor_b32_e32 v1, vcc_hi, v26
	v_and_b32_e32 v26, exec_hi, v1
	v_lshlrev_b32_e32 v1, 30, v2
	v_xor_b32_e32 v3, vcc_lo, v3
	v_cmp_gt_i64_e32 vcc, 0, v[0:1]
	v_not_b32_e32 v1, v1
	v_ashrrev_i32_e32 v1, 31, v1
	v_and_b32_e32 v3, exec_lo, v3
	v_xor_b32_e32 v38, vcc_hi, v1
	v_xor_b32_e32 v1, vcc_lo, v1
	v_and_b32_e32 v3, v3, v1
	v_lshlrev_b32_e32 v1, 29, v2
	v_cmp_gt_i64_e32 vcc, 0, v[0:1]
	v_not_b32_e32 v1, v1
	v_ashrrev_i32_e32 v1, 31, v1
	v_and_b32_e32 v26, v26, v38
	v_xor_b32_e32 v38, vcc_hi, v1
	v_xor_b32_e32 v1, vcc_lo, v1
	v_and_b32_e32 v3, v3, v1
	v_lshlrev_b32_e32 v1, 28, v2
	v_cmp_gt_i64_e32 vcc, 0, v[0:1]
	v_not_b32_e32 v1, v1
	v_ashrrev_i32_e32 v1, 31, v1
	v_and_b32_e32 v26, v26, v38
	;; [unrolled: 8-line block ×5, first 2 shown]
	v_xor_b32_e32 v38, vcc_hi, v1
	v_xor_b32_e32 v1, vcc_lo, v1
	v_and_b32_e32 v3, v3, v1
	v_lshlrev_b32_e32 v1, 24, v2
	v_cmp_gt_i64_e32 vcc, 0, v[0:1]
	v_not_b32_e32 v0, v1
	v_ashrrev_i32_e32 v0, 31, v0
	v_xor_b32_e32 v1, vcc_hi, v0
	v_xor_b32_e32 v0, vcc_lo, v0
	; wave barrier
	ds_read_b32 v24, v42 offset:64
	v_and_b32_e32 v26, v26, v38
	v_and_b32_e32 v0, v3, v0
	;; [unrolled: 1-line block ×3, first 2 shown]
	v_mbcnt_lo_u32_b32 v2, v0, 0
	v_mbcnt_hi_u32_b32 v26, v1, v2
	v_cmp_eq_u32_e32 vcc, 0, v26
	v_cmp_ne_u64_e64 s[0:1], 0, v[0:1]
	v_add_u32_e32 v37, 64, v6
	s_and_b64 s[2:3], s[0:1], vcc
	; wave barrier
	s_and_saveexec_b64 s[0:1], s[2:3]
	s_cbranch_execz .LBB631_104
; %bb.103:
	v_bcnt_u32_b32 v0, v0, 0
	v_bcnt_u32_b32 v0, v1, v0
	s_waitcnt lgkmcnt(0)
	v_add_u32_e32 v0, v24, v0
	ds_write_b32 v42, v0 offset:64
.LBB631_104:
	s_or_b64 exec, exec, s[0:1]
	; wave barrier
	s_waitcnt lgkmcnt(0)
	s_barrier
	ds_read2_b32 v[2:3], v6 offset0:16 offset1:17
	ds_read2_b32 v[0:1], v37 offset0:2 offset1:3
	ds_read_b32 v38, v37 offset:16
	v_cmp_lt_u32_e64 s[8:9], 31, v5
	s_waitcnt lgkmcnt(1)
	v_add3_u32 v39, v3, v2, v0
	s_waitcnt lgkmcnt(0)
	v_add3_u32 v38, v39, v1, v38
	v_and_b32_e32 v39, 15, v5
	v_cmp_eq_u32_e32 vcc, 0, v39
	v_mov_b32_dpp v40, v38 row_shr:1 row_mask:0xf bank_mask:0xf
	v_cndmask_b32_e64 v40, v40, 0, vcc
	v_add_u32_e32 v38, v40, v38
	v_cmp_lt_u32_e64 s[0:1], 1, v39
	v_cmp_lt_u32_e64 s[2:3], 3, v39
	v_mov_b32_dpp v40, v38 row_shr:2 row_mask:0xf bank_mask:0xf
	v_cndmask_b32_e64 v40, 0, v40, s[0:1]
	v_add_u32_e32 v38, v38, v40
	v_cmp_lt_u32_e64 s[4:5], 7, v39
	s_nop 0
	v_mov_b32_dpp v40, v38 row_shr:4 row_mask:0xf bank_mask:0xf
	v_cndmask_b32_e64 v40, 0, v40, s[2:3]
	v_add_u32_e32 v38, v38, v40
	s_nop 1
	v_mov_b32_dpp v40, v38 row_shr:8 row_mask:0xf bank_mask:0xf
	v_cndmask_b32_e64 v39, 0, v40, s[4:5]
	v_add_u32_e32 v38, v38, v39
	v_bfe_i32 v40, v5, 4, 1
	s_nop 0
	v_mov_b32_dpp v39, v38 row_bcast:15 row_mask:0xf bank_mask:0xf
	v_and_b32_e32 v39, v40, v39
	v_add_u32_e32 v38, v38, v39
	v_and_b32_e32 v40, 63, v8
	s_nop 0
	v_mov_b32_dpp v39, v38 row_bcast:31 row_mask:0xf bank_mask:0xf
	v_cndmask_b32_e64 v39, 0, v39, s[8:9]
	v_add_u32_e32 v38, v38, v39
	v_lshrrev_b32_e32 v39, 6, v8
	v_cmp_eq_u32_e64 s[8:9], 63, v40
	s_and_saveexec_b64 s[14:15], s[8:9]
	s_cbranch_execz .LBB631_106
; %bb.105:
	v_lshlrev_b32_e32 v40, 2, v39
	ds_write_b32 v40, v38
.LBB631_106:
	s_or_b64 exec, exec, s[14:15]
	v_cmp_gt_u32_e64 s[8:9], 16, v8
	v_lshlrev_b32_e32 v44, 2, v8
	s_waitcnt lgkmcnt(0)
	s_barrier
	s_and_saveexec_b64 s[14:15], s[8:9]
	s_cbranch_execz .LBB631_108
; %bb.107:
	ds_read_b32 v40, v44
	s_waitcnt lgkmcnt(0)
	s_nop 0
	v_mov_b32_dpp v45, v40 row_shr:1 row_mask:0xf bank_mask:0xf
	v_cndmask_b32_e64 v45, v45, 0, vcc
	v_add_u32_e32 v40, v45, v40
	s_nop 1
	v_mov_b32_dpp v45, v40 row_shr:2 row_mask:0xf bank_mask:0xf
	v_cndmask_b32_e64 v45, 0, v45, s[0:1]
	v_add_u32_e32 v40, v40, v45
	s_nop 1
	v_mov_b32_dpp v45, v40 row_shr:4 row_mask:0xf bank_mask:0xf
	v_cndmask_b32_e64 v45, 0, v45, s[2:3]
	;; [unrolled: 4-line block ×3, first 2 shown]
	v_add_u32_e32 v40, v40, v45
	ds_write_b32 v44, v40
.LBB631_108:
	s_or_b64 exec, exec, s[14:15]
	v_cmp_lt_u32_e32 vcc, 63, v8
	v_mov_b32_e32 v40, 0
	s_waitcnt lgkmcnt(0)
	s_barrier
	s_and_saveexec_b64 s[0:1], vcc
	s_cbranch_execz .LBB631_110
; %bb.109:
	v_lshl_add_u32 v39, v39, 2, -4
	ds_read_b32 v40, v39
.LBB631_110:
	s_or_b64 exec, exec, s[0:1]
	v_add_u32_e32 v39, -1, v5
	v_and_b32_e32 v45, 64, v5
	v_cmp_lt_i32_e32 vcc, v39, v45
	v_cndmask_b32_e32 v39, v39, v5, vcc
	s_waitcnt lgkmcnt(0)
	v_add_u32_e32 v38, v40, v38
	v_lshlrev_b32_e32 v39, 2, v39
	ds_bpermute_b32 v38, v39, v38
	v_cmp_eq_u32_e32 vcc, 0, v5
	s_movk_i32 s2, 0xff
	s_movk_i32 s3, 0x100
	v_cmp_lt_u32_e64 s[0:1], s2, v8
	s_waitcnt lgkmcnt(0)
	v_cndmask_b32_e32 v5, v38, v40, vcc
	v_cmp_ne_u32_e32 vcc, 0, v8
	v_cndmask_b32_e32 v5, 0, v5, vcc
	v_add_u32_e32 v2, v5, v2
	v_add_u32_e32 v3, v2, v3
	;; [unrolled: 1-line block ×4, first 2 shown]
	ds_write2_b32 v6, v5, v2 offset0:16 offset1:17
	ds_write2_b32 v37, v3, v0 offset0:2 offset1:3
	ds_write_b32 v37, v1 offset:16
	s_waitcnt lgkmcnt(0)
	s_barrier
	ds_read_b32 v0, v7 offset:64
	ds_read_b32 v37, v11 offset:64
	ds_read_b32 v25, v25 offset:64
	ds_read_b32 v38, v30 offset:64
	ds_read_b32 v39, v33 offset:64
	ds_read_b32 v40, v35 offset:64
	ds_read_b32 v41, v41 offset:64
	ds_read_b32 v42, v42 offset:64
	v_cmp_gt_u32_e32 vcc, s3, v8
                                        ; implicit-def: $vgpr30
                                        ; implicit-def: $vgpr33
	s_and_saveexec_b64 s[4:5], vcc
	s_cbranch_execz .LBB631_114
; %bb.111:
	v_mul_u32_u24_e32 v1, 17, v8
	v_lshlrev_b32_e32 v2, 2, v1
	ds_read_b32 v30, v2 offset:64
	v_cmp_ne_u32_e64 s[2:3], s2, v8
	v_mov_b32_e32 v1, 0x2000
	s_and_saveexec_b64 s[8:9], s[2:3]
	s_cbranch_execz .LBB631_113
; %bb.112:
	ds_read_b32 v1, v2 offset:132
.LBB631_113:
	s_or_b64 exec, exec, s[8:9]
	s_waitcnt lgkmcnt(0)
	v_sub_u32_e32 v33, v1, v30
.LBB631_114:
	s_or_b64 exec, exec, s[4:5]
	s_waitcnt lgkmcnt(7)
	v_add_u32_e32 v35, v0, v9
	s_waitcnt lgkmcnt(6)
	v_add3_u32 v0, v15, v13, v37
	s_waitcnt lgkmcnt(5)
	v_add3_u32 v1, v17, v16, v25
	;; [unrolled: 2-line block ×7, first 2 shown]
	s_barrier
	ds_write_b8 v35, v4 offset:1024
	ds_write_b8 v0, v10 offset:1024
	;; [unrolled: 1-line block ×8, first 2 shown]
                                        ; implicit-def: $vgpr10_vgpr11
	s_and_saveexec_b64 s[2:3], s[0:1]
	s_xor_b64 s[0:1], exec, s[2:3]
; %bb.115:
	v_mov_b32_e32 v9, 0
	v_pk_mov_b32 v[10:11], v[8:9], v[8:9] op_sel:[0,1]
                                        ; implicit-def: $vgpr44
; %bb.116:
	s_andn2_saveexec_b64 s[2:3], s[0:1]
	s_cbranch_execz .LBB631_126
; %bb.117:
	v_lshl_or_b32 v0, s6, 8, v8
	v_mov_b32_e32 v1, 0
	v_lshlrev_b64 v[2:3], 2, v[0:1]
	v_mov_b32_e32 v6, s35
	v_add_co_u32_e64 v2, s[0:1], s34, v2
	v_addc_co_u32_e64 v3, s[0:1], v6, v3, s[0:1]
	v_or_b32_e32 v0, 2.0, v33
	s_mov_b64 s[4:5], 0
	s_brev_b32 s17, 1
	s_mov_b32 s18, s6
	v_mov_b32_e32 v7, 0
	global_store_dword v[2:3], v0, off
                                        ; implicit-def: $sgpr0_sgpr1
	s_branch .LBB631_120
.LBB631_118:                            ;   in Loop: Header=BB631_120 Depth=1
	s_or_b64 exec, exec, s[14:15]
.LBB631_119:                            ;   in Loop: Header=BB631_120 Depth=1
	s_or_b64 exec, exec, s[8:9]
	v_and_b32_e32 v4, 0x3fffffff, v9
	v_add_u32_e32 v7, v4, v7
	v_cmp_eq_u32_e64 s[0:1], s17, v0
	s_and_b64 s[8:9], exec, s[0:1]
	s_or_b64 s[4:5], s[8:9], s[4:5]
	s_andn2_b64 exec, exec, s[4:5]
	s_cbranch_execz .LBB631_125
.LBB631_120:                            ; =>This Loop Header: Depth=1
                                        ;     Child Loop BB631_123 Depth 2
	s_or_b64 s[0:1], s[0:1], exec
	s_cmp_eq_u32 s18, 0
	s_cbranch_scc1 .LBB631_124
; %bb.121:                              ;   in Loop: Header=BB631_120 Depth=1
	s_add_i32 s18, s18, -1
	v_lshl_or_b32 v0, s18, 8, v8
	v_lshlrev_b64 v[4:5], 2, v[0:1]
	v_add_co_u32_e64 v4, s[0:1], s34, v4
	v_addc_co_u32_e64 v5, s[0:1], v6, v5, s[0:1]
	global_load_dword v9, v[4:5], off glc
	s_waitcnt vmcnt(0)
	v_and_b32_e32 v0, -2.0, v9
	v_cmp_eq_u32_e64 s[0:1], 0, v0
	s_and_saveexec_b64 s[8:9], s[0:1]
	s_cbranch_execz .LBB631_119
; %bb.122:                              ;   in Loop: Header=BB631_120 Depth=1
	s_mov_b64 s[14:15], 0
.LBB631_123:                            ;   Parent Loop BB631_120 Depth=1
                                        ; =>  This Inner Loop Header: Depth=2
	global_load_dword v9, v[4:5], off glc
	s_waitcnt vmcnt(0)
	v_and_b32_e32 v0, -2.0, v9
	v_cmp_ne_u32_e64 s[0:1], 0, v0
	s_or_b64 s[14:15], s[0:1], s[14:15]
	s_andn2_b64 exec, exec, s[14:15]
	s_cbranch_execnz .LBB631_123
	s_branch .LBB631_118
.LBB631_124:                            ;   in Loop: Header=BB631_120 Depth=1
                                        ; implicit-def: $sgpr18
	s_and_b64 s[8:9], exec, s[0:1]
	s_or_b64 s[4:5], s[8:9], s[4:5]
	s_andn2_b64 exec, exec, s[4:5]
	s_cbranch_execnz .LBB631_120
.LBB631_125:
	s_or_b64 exec, exec, s[4:5]
	v_add_u32_e32 v0, v7, v33
	v_or_b32_e32 v0, 0x80000000, v0
	global_store_dword v[2:3], v0, off
	global_load_dword v0, v44, s[28:29]
	v_mov_b32_e32 v9, 0
	v_sub_u32_e32 v1, v7, v30
	v_pk_mov_b32 v[10:11], v[8:9], v[8:9] op_sel:[0,1]
	s_waitcnt vmcnt(0)
	v_add_u32_e32 v0, v1, v0
	ds_write_b32 v44, v0
.LBB631_126:
	s_or_b64 exec, exec, s[2:3]
	s_waitcnt lgkmcnt(0)
	s_barrier
	ds_read_u8 v1, v10 offset:1024
	ds_read_u8 v9, v8 offset:2048
	ds_read_u8 v22, v8 offset:3072
	ds_read_u8 v28, v8 offset:4096
	ds_read_u8 v32, v8 offset:5120
	ds_read_u8 v34, v8 offset:6144
	ds_read_u8 v36, v8 offset:7168
	ds_read_u8 v43, v8 offset:8192
	s_waitcnt lgkmcnt(7)
	v_lshrrev_b32_sdwa v0, s44, v1 dst_sel:DWORD dst_unused:UNUSED_PAD src0_sel:DWORD src1_sel:BYTE_0
	v_and_b32_e32 v0, s16, v0
	v_xor_b32_e32 v44, 0x80, v1
	s_waitcnt lgkmcnt(6)
	v_lshrrev_b32_sdwa v1, s44, v9 dst_sel:DWORD dst_unused:UNUSED_PAD src0_sel:DWORD src1_sel:BYTE_0
	v_lshlrev_b32_e32 v2, 2, v0
	v_and_b32_e32 v1, s16, v1
	s_waitcnt lgkmcnt(5)
	v_lshrrev_b32_sdwa v4, s44, v22 dst_sel:DWORD dst_unused:UNUSED_PAD src0_sel:DWORD src1_sel:BYTE_0
	v_lshlrev_b32_e32 v3, 2, v1
	ds_read_b32 v45, v2
	ds_read_b32 v46, v3
	v_and_b32_e32 v2, s16, v4
	v_lshlrev_b32_e32 v3, 2, v2
	ds_read_b32 v47, v3
	s_waitcnt lgkmcnt(7)
	v_lshrrev_b32_sdwa v3, s44, v28 dst_sel:DWORD dst_unused:UNUSED_PAD src0_sel:DWORD src1_sel:BYTE_0
	v_and_b32_e32 v3, s16, v3
	v_lshlrev_b32_e32 v4, 2, v3
	ds_read_b32 v48, v4
	s_waitcnt lgkmcnt(7)
	v_lshrrev_b32_sdwa v4, s44, v32 dst_sel:DWORD dst_unused:UNUSED_PAD src0_sel:DWORD src1_sel:BYTE_0
	;; [unrolled: 5-line block ×5, first 2 shown]
	v_and_b32_e32 v7, s16, v7
	s_waitcnt lgkmcnt(6)
	v_add_u32_e32 v45, v45, v8
	s_movk_i32 s2, 0x400
	v_lshlrev_b32_e32 v52, 2, v7
	global_store_byte v45, v44, s[38:39]
	v_xor_b32_e32 v9, 0x80, v9
	s_waitcnt lgkmcnt(5)
	v_add3_u32 v44, v46, v8, s2
	s_movk_i32 s0, 0x800
	ds_read_b32 v52, v52
	global_store_byte v44, v9, s[38:39]
	v_xor_b32_e32 v9, 0x80, v22
	s_waitcnt lgkmcnt(5)
	v_add3_u32 v22, v47, v8, s0
	s_movk_i32 s0, 0xc00
	global_store_byte v22, v9, s[38:39]
	v_xor_b32_e32 v9, 0x80, v28
	s_waitcnt lgkmcnt(4)
	v_add3_u32 v22, v48, v8, s0
	s_movk_i32 s0, 0x1000
	;; [unrolled: 5-line block ×5, first 2 shown]
	global_store_byte v22, v9, s[38:39]
	s_waitcnt lgkmcnt(0)
	v_add3_u32 v22, v52, v8, s0
	s_lshl_b64 s[0:1], s[12:13], 3
	s_add_u32 s0, s40, s0
	v_lshlrev_b32_e32 v12, 3, v12
	s_addc_u32 s1, s41, s1
	v_add3_u32 v37, v15, v37, v13
	v_lshlrev_b32_e32 v13, 3, v14
	v_mov_b32_e32 v14, s1
	v_add_co_u32_e64 v12, s[0:1], s0, v12
	v_addc_co_u32_e64 v14, s[0:1], 0, v14, s[0:1]
	v_xor_b32_e32 v9, 0x80, v43
	v_add_co_u32_e64 v28, s[0:1], v12, v13
	global_store_byte v22, v9, s[38:39]
	v_add3_u32 v31, v31, v41, v29
	v_addc_co_u32_e64 v29, s[0:1], 0, v14, s[0:1]
	v_or_b32_e32 v12, 0x400, v8
	v_mul_u32_u24_e32 v13, 7, v8
	v_add3_u32 v9, v26, v42, v24
	v_add3_u32 v32, v27, v40, v23
	;; [unrolled: 1-line block ×5, first 2 shown]
	v_add_u32_e32 v39, v12, v13
	global_load_dwordx2 v[12:13], v[28:29], off
	global_load_dwordx2 v[14:15], v[28:29], off offset:512
	global_load_dwordx2 v[16:17], v[28:29], off offset:1024
	;; [unrolled: 1-line block ×7, first 2 shown]
	s_mov_b32 s3, 0
	s_mov_b32 s4, 1
	v_lshlrev_b32_e32 v40, 3, v10
	v_mov_b32_e32 v29, 0
	s_barrier
	s_waitcnt vmcnt(0)
.LBB631_127:                            ; =>This Inner Loop Header: Depth=1
	v_add_u32_e32 v28, s3, v35
	v_min_u32_e32 v28, 0x800, v28
	v_lshlrev_b32_e32 v28, 3, v28
	ds_write_b64 v28, v[12:13] offset:1024
	v_add_u32_e32 v28, s3, v37
	v_min_u32_e32 v28, 0x800, v28
	v_lshlrev_b32_e32 v28, 3, v28
	ds_write_b64 v28, v[14:15] offset:1024
	;; [unrolled: 4-line block ×7, first 2 shown]
	v_add_u32_e32 v28, s3, v9
	s_add_i32 s5, s4, -1
	v_min_u32_e32 v28, 0x800, v28
	s_cmp_eq_u32 s5, 1
	v_lshlrev_b32_e32 v28, 3, v28
	s_cselect_b64 s[0:1], -1, 0
	s_cmp_eq_u32 s5, 2
	ds_write_b64 v28, v[26:27] offset:1024
	v_cndmask_b32_e64 v28, v0, v1, s[0:1]
	s_cselect_b64 s[0:1], -1, 0
	s_cmp_eq_u32 s5, 3
	v_cndmask_b32_e64 v28, v28, v2, s[0:1]
	s_cselect_b64 s[0:1], -1, 0
	s_cmp_eq_u32 s5, 4
	;; [unrolled: 3-line block ×10, first 2 shown]
	v_lshlrev_b32_e32 v28, 2, v28
	v_cndmask_b32_e64 v41, v41, v4, s[0:1]
	s_cselect_b64 s[0:1], -1, 0
	s_cmp_eq_u32 s4, 6
	s_waitcnt lgkmcnt(0)
	s_barrier
	ds_read_b32 v28, v28
	v_cndmask_b32_e64 v41, v41, v5, s[0:1]
	s_cselect_b64 s[0:1], -1, 0
	s_cmp_eq_u32 s4, 7
	v_cndmask_b32_e64 v41, v41, v6, s[0:1]
	s_cselect_b64 s[0:1], -1, 0
	v_cndmask_b32_e64 v41, v41, v7, s[0:1]
	v_lshlrev_b32_e32 v41, 2, v41
	ds_read_b32 v41, v41
	ds_read_b64 v[42:43], v39 offset:8192
	ds_read_b64 v[46:47], v40 offset:1024
	s_waitcnt lgkmcnt(3)
	v_add_u32_e32 v28, v8, v28
	v_lshlrev_b64 v[44:45], 3, v[28:29]
	v_mov_b32_e32 v48, s43
	v_add_co_u32_e64 v44, s[0:1], s42, v44
	v_addc_co_u32_e64 v45, s[0:1], v48, v45, s[0:1]
	s_waitcnt lgkmcnt(2)
	v_add3_u32 v28, v8, v41, s2
	s_waitcnt lgkmcnt(0)
	global_store_dwordx2 v[44:45], v[46:47], off
	v_lshlrev_b64 v[44:45], 3, v[28:29]
	v_add_co_u32_e64 v44, s[0:1], s42, v44
	s_addk_i32 s3, 0xf800
	s_add_i32 s4, s4, 2
	v_addc_co_u32_e64 v45, s[0:1], v48, v45, s[0:1]
	s_cmpk_lg_i32 s3, 0xe000
	v_add_u32_e32 v8, 0x800, v8
	global_store_dwordx2 v[44:45], v[42:43], off
	s_barrier
	s_cbranch_scc1 .LBB631_127
; %bb.128:
	s_add_i32 s7, s7, -1
	s_cmp_eq_u32 s7, s6
	s_cselect_b64 s[0:1], -1, 0
	s_and_b64 s[2:3], vcc, s[0:1]
                                        ; implicit-def: $vgpr2
	s_and_saveexec_b64 s[0:1], s[2:3]
; %bb.129:
	v_add_u32_e32 v2, v30, v33
	s_or_b64 s[10:11], s[10:11], exec
; %bb.130:
	s_or_b64 exec, exec, s[0:1]
.LBB631_131:
	s_and_saveexec_b64 s[0:1], s[10:11]
	s_cbranch_execnz .LBB631_133
; %bb.132:
	s_endpgm
.LBB631_133:
	v_lshlrev_b32_e32 v3, 2, v10
	ds_read_b32 v3, v3
	v_lshlrev_b64 v[0:1], 2, v[10:11]
	v_mov_b32_e32 v4, s31
	v_add_co_u32_e32 v0, vcc, s30, v0
	v_addc_co_u32_e32 v1, vcc, v4, v1, vcc
	s_waitcnt lgkmcnt(0)
	v_add_u32_e32 v2, v3, v2
	global_store_dword v[0:1], v2, off
	s_endpgm
.LBB631_134:
	global_load_dwordx2 v[12:13], v[28:29], off
	s_or_b64 exec, exec, s[18:19]
                                        ; implicit-def: $vgpr14_vgpr15
	s_and_saveexec_b64 s[18:19], s[0:1]
	s_cbranch_execz .LBB631_71
.LBB631_135:
	global_load_dwordx2 v[14:15], v[28:29], off offset:512
	s_or_b64 exec, exec, s[18:19]
                                        ; implicit-def: $vgpr16_vgpr17
	s_and_saveexec_b64 s[0:1], s[2:3]
	s_cbranch_execz .LBB631_72
.LBB631_136:
	global_load_dwordx2 v[16:17], v[28:29], off offset:1024
	s_or_b64 exec, exec, s[0:1]
                                        ; implicit-def: $vgpr18_vgpr19
	s_and_saveexec_b64 s[0:1], s[24:25]
	s_cbranch_execz .LBB631_73
.LBB631_137:
	global_load_dwordx2 v[18:19], v[28:29], off offset:1536
	s_or_b64 exec, exec, s[0:1]
                                        ; implicit-def: $vgpr20_vgpr21
	s_and_saveexec_b64 s[0:1], s[8:9]
	s_cbranch_execz .LBB631_74
.LBB631_138:
	global_load_dwordx2 v[20:21], v[28:29], off offset:2048
	s_or_b64 exec, exec, s[0:1]
                                        ; implicit-def: $vgpr22_vgpr23
	s_and_saveexec_b64 s[0:1], s[10:11]
	s_cbranch_execz .LBB631_75
.LBB631_139:
	global_load_dwordx2 v[22:23], v[28:29], off offset:2560
	s_or_b64 exec, exec, s[0:1]
                                        ; implicit-def: $vgpr24_vgpr25
	s_and_saveexec_b64 s[0:1], s[12:13]
	s_cbranch_execz .LBB631_76
.LBB631_140:
	global_load_dwordx2 v[24:25], v[28:29], off offset:3072
	s_or_b64 exec, exec, s[0:1]
                                        ; implicit-def: $vgpr26_vgpr27
	s_and_saveexec_b64 s[0:1], s[14:15]
	s_cbranch_execnz .LBB631_77
	s_branch .LBB631_78
	.section	.rodata,"a",@progbits
	.p2align	6, 0x0
	.amdhsa_kernel _ZN7rocprim17ROCPRIM_400000_NS6detail17trampoline_kernelINS0_14default_configENS1_35radix_sort_onesweep_config_selectorIalEEZZNS1_29radix_sort_onesweep_iterationIS3_Lb0EPaS7_N6thrust23THRUST_200600_302600_NS10device_ptrIlEESB_jNS0_19identity_decomposerENS1_16block_id_wrapperIjLb0EEEEE10hipError_tT1_PNSt15iterator_traitsISG_E10value_typeET2_T3_PNSH_ISM_E10value_typeET4_T5_PSR_SS_PNS1_23onesweep_lookback_stateEbbT6_jjT7_P12ihipStream_tbENKUlT_T0_SG_SL_E_clIS7_S7_SB_SB_EEDaSZ_S10_SG_SL_EUlSZ_E_NS1_11comp_targetILNS1_3genE4ELNS1_11target_archE910ELNS1_3gpuE8ELNS1_3repE0EEENS1_47radix_sort_onesweep_sort_config_static_selectorELNS0_4arch9wavefront6targetE1EEEvSG_
		.amdhsa_group_segment_fixed_size 20552
		.amdhsa_private_segment_fixed_size 0
		.amdhsa_kernarg_size 344
		.amdhsa_user_sgpr_count 6
		.amdhsa_user_sgpr_private_segment_buffer 1
		.amdhsa_user_sgpr_dispatch_ptr 0
		.amdhsa_user_sgpr_queue_ptr 0
		.amdhsa_user_sgpr_kernarg_segment_ptr 1
		.amdhsa_user_sgpr_dispatch_id 0
		.amdhsa_user_sgpr_flat_scratch_init 0
		.amdhsa_user_sgpr_kernarg_preload_length 0
		.amdhsa_user_sgpr_kernarg_preload_offset 0
		.amdhsa_user_sgpr_private_segment_size 0
		.amdhsa_uses_dynamic_stack 0
		.amdhsa_system_sgpr_private_segment_wavefront_offset 0
		.amdhsa_system_sgpr_workgroup_id_x 1
		.amdhsa_system_sgpr_workgroup_id_y 0
		.amdhsa_system_sgpr_workgroup_id_z 0
		.amdhsa_system_sgpr_workgroup_info 0
		.amdhsa_system_vgpr_workitem_id 2
		.amdhsa_next_free_vgpr 55
		.amdhsa_next_free_sgpr 53
		.amdhsa_accum_offset 56
		.amdhsa_reserve_vcc 1
		.amdhsa_reserve_flat_scratch 0
		.amdhsa_float_round_mode_32 0
		.amdhsa_float_round_mode_16_64 0
		.amdhsa_float_denorm_mode_32 3
		.amdhsa_float_denorm_mode_16_64 3
		.amdhsa_dx10_clamp 1
		.amdhsa_ieee_mode 1
		.amdhsa_fp16_overflow 0
		.amdhsa_tg_split 0
		.amdhsa_exception_fp_ieee_invalid_op 0
		.amdhsa_exception_fp_denorm_src 0
		.amdhsa_exception_fp_ieee_div_zero 0
		.amdhsa_exception_fp_ieee_overflow 0
		.amdhsa_exception_fp_ieee_underflow 0
		.amdhsa_exception_fp_ieee_inexact 0
		.amdhsa_exception_int_div_zero 0
	.end_amdhsa_kernel
	.section	.text._ZN7rocprim17ROCPRIM_400000_NS6detail17trampoline_kernelINS0_14default_configENS1_35radix_sort_onesweep_config_selectorIalEEZZNS1_29radix_sort_onesweep_iterationIS3_Lb0EPaS7_N6thrust23THRUST_200600_302600_NS10device_ptrIlEESB_jNS0_19identity_decomposerENS1_16block_id_wrapperIjLb0EEEEE10hipError_tT1_PNSt15iterator_traitsISG_E10value_typeET2_T3_PNSH_ISM_E10value_typeET4_T5_PSR_SS_PNS1_23onesweep_lookback_stateEbbT6_jjT7_P12ihipStream_tbENKUlT_T0_SG_SL_E_clIS7_S7_SB_SB_EEDaSZ_S10_SG_SL_EUlSZ_E_NS1_11comp_targetILNS1_3genE4ELNS1_11target_archE910ELNS1_3gpuE8ELNS1_3repE0EEENS1_47radix_sort_onesweep_sort_config_static_selectorELNS0_4arch9wavefront6targetE1EEEvSG_,"axG",@progbits,_ZN7rocprim17ROCPRIM_400000_NS6detail17trampoline_kernelINS0_14default_configENS1_35radix_sort_onesweep_config_selectorIalEEZZNS1_29radix_sort_onesweep_iterationIS3_Lb0EPaS7_N6thrust23THRUST_200600_302600_NS10device_ptrIlEESB_jNS0_19identity_decomposerENS1_16block_id_wrapperIjLb0EEEEE10hipError_tT1_PNSt15iterator_traitsISG_E10value_typeET2_T3_PNSH_ISM_E10value_typeET4_T5_PSR_SS_PNS1_23onesweep_lookback_stateEbbT6_jjT7_P12ihipStream_tbENKUlT_T0_SG_SL_E_clIS7_S7_SB_SB_EEDaSZ_S10_SG_SL_EUlSZ_E_NS1_11comp_targetILNS1_3genE4ELNS1_11target_archE910ELNS1_3gpuE8ELNS1_3repE0EEENS1_47radix_sort_onesweep_sort_config_static_selectorELNS0_4arch9wavefront6targetE1EEEvSG_,comdat
.Lfunc_end631:
	.size	_ZN7rocprim17ROCPRIM_400000_NS6detail17trampoline_kernelINS0_14default_configENS1_35radix_sort_onesweep_config_selectorIalEEZZNS1_29radix_sort_onesweep_iterationIS3_Lb0EPaS7_N6thrust23THRUST_200600_302600_NS10device_ptrIlEESB_jNS0_19identity_decomposerENS1_16block_id_wrapperIjLb0EEEEE10hipError_tT1_PNSt15iterator_traitsISG_E10value_typeET2_T3_PNSH_ISM_E10value_typeET4_T5_PSR_SS_PNS1_23onesweep_lookback_stateEbbT6_jjT7_P12ihipStream_tbENKUlT_T0_SG_SL_E_clIS7_S7_SB_SB_EEDaSZ_S10_SG_SL_EUlSZ_E_NS1_11comp_targetILNS1_3genE4ELNS1_11target_archE910ELNS1_3gpuE8ELNS1_3repE0EEENS1_47radix_sort_onesweep_sort_config_static_selectorELNS0_4arch9wavefront6targetE1EEEvSG_, .Lfunc_end631-_ZN7rocprim17ROCPRIM_400000_NS6detail17trampoline_kernelINS0_14default_configENS1_35radix_sort_onesweep_config_selectorIalEEZZNS1_29radix_sort_onesweep_iterationIS3_Lb0EPaS7_N6thrust23THRUST_200600_302600_NS10device_ptrIlEESB_jNS0_19identity_decomposerENS1_16block_id_wrapperIjLb0EEEEE10hipError_tT1_PNSt15iterator_traitsISG_E10value_typeET2_T3_PNSH_ISM_E10value_typeET4_T5_PSR_SS_PNS1_23onesweep_lookback_stateEbbT6_jjT7_P12ihipStream_tbENKUlT_T0_SG_SL_E_clIS7_S7_SB_SB_EEDaSZ_S10_SG_SL_EUlSZ_E_NS1_11comp_targetILNS1_3genE4ELNS1_11target_archE910ELNS1_3gpuE8ELNS1_3repE0EEENS1_47radix_sort_onesweep_sort_config_static_selectorELNS0_4arch9wavefront6targetE1EEEvSG_
                                        ; -- End function
	.section	.AMDGPU.csdata,"",@progbits
; Kernel info:
; codeLenInByte = 13024
; NumSgprs: 57
; NumVgprs: 55
; NumAgprs: 0
; TotalNumVgprs: 55
; ScratchSize: 0
; MemoryBound: 0
; FloatMode: 240
; IeeeMode: 1
; LDSByteSize: 20552 bytes/workgroup (compile time only)
; SGPRBlocks: 7
; VGPRBlocks: 6
; NumSGPRsForWavesPerEU: 57
; NumVGPRsForWavesPerEU: 55
; AccumOffset: 56
; Occupancy: 8
; WaveLimiterHint : 1
; COMPUTE_PGM_RSRC2:SCRATCH_EN: 0
; COMPUTE_PGM_RSRC2:USER_SGPR: 6
; COMPUTE_PGM_RSRC2:TRAP_HANDLER: 0
; COMPUTE_PGM_RSRC2:TGID_X_EN: 1
; COMPUTE_PGM_RSRC2:TGID_Y_EN: 0
; COMPUTE_PGM_RSRC2:TGID_Z_EN: 0
; COMPUTE_PGM_RSRC2:TIDIG_COMP_CNT: 2
; COMPUTE_PGM_RSRC3_GFX90A:ACCUM_OFFSET: 13
; COMPUTE_PGM_RSRC3_GFX90A:TG_SPLIT: 0
	.section	.text._ZN7rocprim17ROCPRIM_400000_NS6detail17trampoline_kernelINS0_14default_configENS1_35radix_sort_onesweep_config_selectorIalEEZZNS1_29radix_sort_onesweep_iterationIS3_Lb0EPaS7_N6thrust23THRUST_200600_302600_NS10device_ptrIlEESB_jNS0_19identity_decomposerENS1_16block_id_wrapperIjLb0EEEEE10hipError_tT1_PNSt15iterator_traitsISG_E10value_typeET2_T3_PNSH_ISM_E10value_typeET4_T5_PSR_SS_PNS1_23onesweep_lookback_stateEbbT6_jjT7_P12ihipStream_tbENKUlT_T0_SG_SL_E_clIS7_S7_SB_SB_EEDaSZ_S10_SG_SL_EUlSZ_E_NS1_11comp_targetILNS1_3genE3ELNS1_11target_archE908ELNS1_3gpuE7ELNS1_3repE0EEENS1_47radix_sort_onesweep_sort_config_static_selectorELNS0_4arch9wavefront6targetE1EEEvSG_,"axG",@progbits,_ZN7rocprim17ROCPRIM_400000_NS6detail17trampoline_kernelINS0_14default_configENS1_35radix_sort_onesweep_config_selectorIalEEZZNS1_29radix_sort_onesweep_iterationIS3_Lb0EPaS7_N6thrust23THRUST_200600_302600_NS10device_ptrIlEESB_jNS0_19identity_decomposerENS1_16block_id_wrapperIjLb0EEEEE10hipError_tT1_PNSt15iterator_traitsISG_E10value_typeET2_T3_PNSH_ISM_E10value_typeET4_T5_PSR_SS_PNS1_23onesweep_lookback_stateEbbT6_jjT7_P12ihipStream_tbENKUlT_T0_SG_SL_E_clIS7_S7_SB_SB_EEDaSZ_S10_SG_SL_EUlSZ_E_NS1_11comp_targetILNS1_3genE3ELNS1_11target_archE908ELNS1_3gpuE7ELNS1_3repE0EEENS1_47radix_sort_onesweep_sort_config_static_selectorELNS0_4arch9wavefront6targetE1EEEvSG_,comdat
	.protected	_ZN7rocprim17ROCPRIM_400000_NS6detail17trampoline_kernelINS0_14default_configENS1_35radix_sort_onesweep_config_selectorIalEEZZNS1_29radix_sort_onesweep_iterationIS3_Lb0EPaS7_N6thrust23THRUST_200600_302600_NS10device_ptrIlEESB_jNS0_19identity_decomposerENS1_16block_id_wrapperIjLb0EEEEE10hipError_tT1_PNSt15iterator_traitsISG_E10value_typeET2_T3_PNSH_ISM_E10value_typeET4_T5_PSR_SS_PNS1_23onesweep_lookback_stateEbbT6_jjT7_P12ihipStream_tbENKUlT_T0_SG_SL_E_clIS7_S7_SB_SB_EEDaSZ_S10_SG_SL_EUlSZ_E_NS1_11comp_targetILNS1_3genE3ELNS1_11target_archE908ELNS1_3gpuE7ELNS1_3repE0EEENS1_47radix_sort_onesweep_sort_config_static_selectorELNS0_4arch9wavefront6targetE1EEEvSG_ ; -- Begin function _ZN7rocprim17ROCPRIM_400000_NS6detail17trampoline_kernelINS0_14default_configENS1_35radix_sort_onesweep_config_selectorIalEEZZNS1_29radix_sort_onesweep_iterationIS3_Lb0EPaS7_N6thrust23THRUST_200600_302600_NS10device_ptrIlEESB_jNS0_19identity_decomposerENS1_16block_id_wrapperIjLb0EEEEE10hipError_tT1_PNSt15iterator_traitsISG_E10value_typeET2_T3_PNSH_ISM_E10value_typeET4_T5_PSR_SS_PNS1_23onesweep_lookback_stateEbbT6_jjT7_P12ihipStream_tbENKUlT_T0_SG_SL_E_clIS7_S7_SB_SB_EEDaSZ_S10_SG_SL_EUlSZ_E_NS1_11comp_targetILNS1_3genE3ELNS1_11target_archE908ELNS1_3gpuE7ELNS1_3repE0EEENS1_47radix_sort_onesweep_sort_config_static_selectorELNS0_4arch9wavefront6targetE1EEEvSG_
	.globl	_ZN7rocprim17ROCPRIM_400000_NS6detail17trampoline_kernelINS0_14default_configENS1_35radix_sort_onesweep_config_selectorIalEEZZNS1_29radix_sort_onesweep_iterationIS3_Lb0EPaS7_N6thrust23THRUST_200600_302600_NS10device_ptrIlEESB_jNS0_19identity_decomposerENS1_16block_id_wrapperIjLb0EEEEE10hipError_tT1_PNSt15iterator_traitsISG_E10value_typeET2_T3_PNSH_ISM_E10value_typeET4_T5_PSR_SS_PNS1_23onesweep_lookback_stateEbbT6_jjT7_P12ihipStream_tbENKUlT_T0_SG_SL_E_clIS7_S7_SB_SB_EEDaSZ_S10_SG_SL_EUlSZ_E_NS1_11comp_targetILNS1_3genE3ELNS1_11target_archE908ELNS1_3gpuE7ELNS1_3repE0EEENS1_47radix_sort_onesweep_sort_config_static_selectorELNS0_4arch9wavefront6targetE1EEEvSG_
	.p2align	8
	.type	_ZN7rocprim17ROCPRIM_400000_NS6detail17trampoline_kernelINS0_14default_configENS1_35radix_sort_onesweep_config_selectorIalEEZZNS1_29radix_sort_onesweep_iterationIS3_Lb0EPaS7_N6thrust23THRUST_200600_302600_NS10device_ptrIlEESB_jNS0_19identity_decomposerENS1_16block_id_wrapperIjLb0EEEEE10hipError_tT1_PNSt15iterator_traitsISG_E10value_typeET2_T3_PNSH_ISM_E10value_typeET4_T5_PSR_SS_PNS1_23onesweep_lookback_stateEbbT6_jjT7_P12ihipStream_tbENKUlT_T0_SG_SL_E_clIS7_S7_SB_SB_EEDaSZ_S10_SG_SL_EUlSZ_E_NS1_11comp_targetILNS1_3genE3ELNS1_11target_archE908ELNS1_3gpuE7ELNS1_3repE0EEENS1_47radix_sort_onesweep_sort_config_static_selectorELNS0_4arch9wavefront6targetE1EEEvSG_,@function
_ZN7rocprim17ROCPRIM_400000_NS6detail17trampoline_kernelINS0_14default_configENS1_35radix_sort_onesweep_config_selectorIalEEZZNS1_29radix_sort_onesweep_iterationIS3_Lb0EPaS7_N6thrust23THRUST_200600_302600_NS10device_ptrIlEESB_jNS0_19identity_decomposerENS1_16block_id_wrapperIjLb0EEEEE10hipError_tT1_PNSt15iterator_traitsISG_E10value_typeET2_T3_PNSH_ISM_E10value_typeET4_T5_PSR_SS_PNS1_23onesweep_lookback_stateEbbT6_jjT7_P12ihipStream_tbENKUlT_T0_SG_SL_E_clIS7_S7_SB_SB_EEDaSZ_S10_SG_SL_EUlSZ_E_NS1_11comp_targetILNS1_3genE3ELNS1_11target_archE908ELNS1_3gpuE7ELNS1_3repE0EEENS1_47radix_sort_onesweep_sort_config_static_selectorELNS0_4arch9wavefront6targetE1EEEvSG_: ; @_ZN7rocprim17ROCPRIM_400000_NS6detail17trampoline_kernelINS0_14default_configENS1_35radix_sort_onesweep_config_selectorIalEEZZNS1_29radix_sort_onesweep_iterationIS3_Lb0EPaS7_N6thrust23THRUST_200600_302600_NS10device_ptrIlEESB_jNS0_19identity_decomposerENS1_16block_id_wrapperIjLb0EEEEE10hipError_tT1_PNSt15iterator_traitsISG_E10value_typeET2_T3_PNSH_ISM_E10value_typeET4_T5_PSR_SS_PNS1_23onesweep_lookback_stateEbbT6_jjT7_P12ihipStream_tbENKUlT_T0_SG_SL_E_clIS7_S7_SB_SB_EEDaSZ_S10_SG_SL_EUlSZ_E_NS1_11comp_targetILNS1_3genE3ELNS1_11target_archE908ELNS1_3gpuE7ELNS1_3repE0EEENS1_47radix_sort_onesweep_sort_config_static_selectorELNS0_4arch9wavefront6targetE1EEEvSG_
; %bb.0:
	.section	.rodata,"a",@progbits
	.p2align	6, 0x0
	.amdhsa_kernel _ZN7rocprim17ROCPRIM_400000_NS6detail17trampoline_kernelINS0_14default_configENS1_35radix_sort_onesweep_config_selectorIalEEZZNS1_29radix_sort_onesweep_iterationIS3_Lb0EPaS7_N6thrust23THRUST_200600_302600_NS10device_ptrIlEESB_jNS0_19identity_decomposerENS1_16block_id_wrapperIjLb0EEEEE10hipError_tT1_PNSt15iterator_traitsISG_E10value_typeET2_T3_PNSH_ISM_E10value_typeET4_T5_PSR_SS_PNS1_23onesweep_lookback_stateEbbT6_jjT7_P12ihipStream_tbENKUlT_T0_SG_SL_E_clIS7_S7_SB_SB_EEDaSZ_S10_SG_SL_EUlSZ_E_NS1_11comp_targetILNS1_3genE3ELNS1_11target_archE908ELNS1_3gpuE7ELNS1_3repE0EEENS1_47radix_sort_onesweep_sort_config_static_selectorELNS0_4arch9wavefront6targetE1EEEvSG_
		.amdhsa_group_segment_fixed_size 0
		.amdhsa_private_segment_fixed_size 0
		.amdhsa_kernarg_size 88
		.amdhsa_user_sgpr_count 6
		.amdhsa_user_sgpr_private_segment_buffer 1
		.amdhsa_user_sgpr_dispatch_ptr 0
		.amdhsa_user_sgpr_queue_ptr 0
		.amdhsa_user_sgpr_kernarg_segment_ptr 1
		.amdhsa_user_sgpr_dispatch_id 0
		.amdhsa_user_sgpr_flat_scratch_init 0
		.amdhsa_user_sgpr_kernarg_preload_length 0
		.amdhsa_user_sgpr_kernarg_preload_offset 0
		.amdhsa_user_sgpr_private_segment_size 0
		.amdhsa_uses_dynamic_stack 0
		.amdhsa_system_sgpr_private_segment_wavefront_offset 0
		.amdhsa_system_sgpr_workgroup_id_x 1
		.amdhsa_system_sgpr_workgroup_id_y 0
		.amdhsa_system_sgpr_workgroup_id_z 0
		.amdhsa_system_sgpr_workgroup_info 0
		.amdhsa_system_vgpr_workitem_id 0
		.amdhsa_next_free_vgpr 1
		.amdhsa_next_free_sgpr 0
		.amdhsa_accum_offset 4
		.amdhsa_reserve_vcc 0
		.amdhsa_reserve_flat_scratch 0
		.amdhsa_float_round_mode_32 0
		.amdhsa_float_round_mode_16_64 0
		.amdhsa_float_denorm_mode_32 3
		.amdhsa_float_denorm_mode_16_64 3
		.amdhsa_dx10_clamp 1
		.amdhsa_ieee_mode 1
		.amdhsa_fp16_overflow 0
		.amdhsa_tg_split 0
		.amdhsa_exception_fp_ieee_invalid_op 0
		.amdhsa_exception_fp_denorm_src 0
		.amdhsa_exception_fp_ieee_div_zero 0
		.amdhsa_exception_fp_ieee_overflow 0
		.amdhsa_exception_fp_ieee_underflow 0
		.amdhsa_exception_fp_ieee_inexact 0
		.amdhsa_exception_int_div_zero 0
	.end_amdhsa_kernel
	.section	.text._ZN7rocprim17ROCPRIM_400000_NS6detail17trampoline_kernelINS0_14default_configENS1_35radix_sort_onesweep_config_selectorIalEEZZNS1_29radix_sort_onesweep_iterationIS3_Lb0EPaS7_N6thrust23THRUST_200600_302600_NS10device_ptrIlEESB_jNS0_19identity_decomposerENS1_16block_id_wrapperIjLb0EEEEE10hipError_tT1_PNSt15iterator_traitsISG_E10value_typeET2_T3_PNSH_ISM_E10value_typeET4_T5_PSR_SS_PNS1_23onesweep_lookback_stateEbbT6_jjT7_P12ihipStream_tbENKUlT_T0_SG_SL_E_clIS7_S7_SB_SB_EEDaSZ_S10_SG_SL_EUlSZ_E_NS1_11comp_targetILNS1_3genE3ELNS1_11target_archE908ELNS1_3gpuE7ELNS1_3repE0EEENS1_47radix_sort_onesweep_sort_config_static_selectorELNS0_4arch9wavefront6targetE1EEEvSG_,"axG",@progbits,_ZN7rocprim17ROCPRIM_400000_NS6detail17trampoline_kernelINS0_14default_configENS1_35radix_sort_onesweep_config_selectorIalEEZZNS1_29radix_sort_onesweep_iterationIS3_Lb0EPaS7_N6thrust23THRUST_200600_302600_NS10device_ptrIlEESB_jNS0_19identity_decomposerENS1_16block_id_wrapperIjLb0EEEEE10hipError_tT1_PNSt15iterator_traitsISG_E10value_typeET2_T3_PNSH_ISM_E10value_typeET4_T5_PSR_SS_PNS1_23onesweep_lookback_stateEbbT6_jjT7_P12ihipStream_tbENKUlT_T0_SG_SL_E_clIS7_S7_SB_SB_EEDaSZ_S10_SG_SL_EUlSZ_E_NS1_11comp_targetILNS1_3genE3ELNS1_11target_archE908ELNS1_3gpuE7ELNS1_3repE0EEENS1_47radix_sort_onesweep_sort_config_static_selectorELNS0_4arch9wavefront6targetE1EEEvSG_,comdat
.Lfunc_end632:
	.size	_ZN7rocprim17ROCPRIM_400000_NS6detail17trampoline_kernelINS0_14default_configENS1_35radix_sort_onesweep_config_selectorIalEEZZNS1_29radix_sort_onesweep_iterationIS3_Lb0EPaS7_N6thrust23THRUST_200600_302600_NS10device_ptrIlEESB_jNS0_19identity_decomposerENS1_16block_id_wrapperIjLb0EEEEE10hipError_tT1_PNSt15iterator_traitsISG_E10value_typeET2_T3_PNSH_ISM_E10value_typeET4_T5_PSR_SS_PNS1_23onesweep_lookback_stateEbbT6_jjT7_P12ihipStream_tbENKUlT_T0_SG_SL_E_clIS7_S7_SB_SB_EEDaSZ_S10_SG_SL_EUlSZ_E_NS1_11comp_targetILNS1_3genE3ELNS1_11target_archE908ELNS1_3gpuE7ELNS1_3repE0EEENS1_47radix_sort_onesweep_sort_config_static_selectorELNS0_4arch9wavefront6targetE1EEEvSG_, .Lfunc_end632-_ZN7rocprim17ROCPRIM_400000_NS6detail17trampoline_kernelINS0_14default_configENS1_35radix_sort_onesweep_config_selectorIalEEZZNS1_29radix_sort_onesweep_iterationIS3_Lb0EPaS7_N6thrust23THRUST_200600_302600_NS10device_ptrIlEESB_jNS0_19identity_decomposerENS1_16block_id_wrapperIjLb0EEEEE10hipError_tT1_PNSt15iterator_traitsISG_E10value_typeET2_T3_PNSH_ISM_E10value_typeET4_T5_PSR_SS_PNS1_23onesweep_lookback_stateEbbT6_jjT7_P12ihipStream_tbENKUlT_T0_SG_SL_E_clIS7_S7_SB_SB_EEDaSZ_S10_SG_SL_EUlSZ_E_NS1_11comp_targetILNS1_3genE3ELNS1_11target_archE908ELNS1_3gpuE7ELNS1_3repE0EEENS1_47radix_sort_onesweep_sort_config_static_selectorELNS0_4arch9wavefront6targetE1EEEvSG_
                                        ; -- End function
	.section	.AMDGPU.csdata,"",@progbits
; Kernel info:
; codeLenInByte = 0
; NumSgprs: 4
; NumVgprs: 0
; NumAgprs: 0
; TotalNumVgprs: 0
; ScratchSize: 0
; MemoryBound: 0
; FloatMode: 240
; IeeeMode: 1
; LDSByteSize: 0 bytes/workgroup (compile time only)
; SGPRBlocks: 0
; VGPRBlocks: 0
; NumSGPRsForWavesPerEU: 4
; NumVGPRsForWavesPerEU: 1
; AccumOffset: 4
; Occupancy: 8
; WaveLimiterHint : 0
; COMPUTE_PGM_RSRC2:SCRATCH_EN: 0
; COMPUTE_PGM_RSRC2:USER_SGPR: 6
; COMPUTE_PGM_RSRC2:TRAP_HANDLER: 0
; COMPUTE_PGM_RSRC2:TGID_X_EN: 1
; COMPUTE_PGM_RSRC2:TGID_Y_EN: 0
; COMPUTE_PGM_RSRC2:TGID_Z_EN: 0
; COMPUTE_PGM_RSRC2:TIDIG_COMP_CNT: 0
; COMPUTE_PGM_RSRC3_GFX90A:ACCUM_OFFSET: 0
; COMPUTE_PGM_RSRC3_GFX90A:TG_SPLIT: 0
	.section	.text._ZN7rocprim17ROCPRIM_400000_NS6detail17trampoline_kernelINS0_14default_configENS1_35radix_sort_onesweep_config_selectorIalEEZZNS1_29radix_sort_onesweep_iterationIS3_Lb0EPaS7_N6thrust23THRUST_200600_302600_NS10device_ptrIlEESB_jNS0_19identity_decomposerENS1_16block_id_wrapperIjLb0EEEEE10hipError_tT1_PNSt15iterator_traitsISG_E10value_typeET2_T3_PNSH_ISM_E10value_typeET4_T5_PSR_SS_PNS1_23onesweep_lookback_stateEbbT6_jjT7_P12ihipStream_tbENKUlT_T0_SG_SL_E_clIS7_S7_SB_SB_EEDaSZ_S10_SG_SL_EUlSZ_E_NS1_11comp_targetILNS1_3genE10ELNS1_11target_archE1201ELNS1_3gpuE5ELNS1_3repE0EEENS1_47radix_sort_onesweep_sort_config_static_selectorELNS0_4arch9wavefront6targetE1EEEvSG_,"axG",@progbits,_ZN7rocprim17ROCPRIM_400000_NS6detail17trampoline_kernelINS0_14default_configENS1_35radix_sort_onesweep_config_selectorIalEEZZNS1_29radix_sort_onesweep_iterationIS3_Lb0EPaS7_N6thrust23THRUST_200600_302600_NS10device_ptrIlEESB_jNS0_19identity_decomposerENS1_16block_id_wrapperIjLb0EEEEE10hipError_tT1_PNSt15iterator_traitsISG_E10value_typeET2_T3_PNSH_ISM_E10value_typeET4_T5_PSR_SS_PNS1_23onesweep_lookback_stateEbbT6_jjT7_P12ihipStream_tbENKUlT_T0_SG_SL_E_clIS7_S7_SB_SB_EEDaSZ_S10_SG_SL_EUlSZ_E_NS1_11comp_targetILNS1_3genE10ELNS1_11target_archE1201ELNS1_3gpuE5ELNS1_3repE0EEENS1_47radix_sort_onesweep_sort_config_static_selectorELNS0_4arch9wavefront6targetE1EEEvSG_,comdat
	.protected	_ZN7rocprim17ROCPRIM_400000_NS6detail17trampoline_kernelINS0_14default_configENS1_35radix_sort_onesweep_config_selectorIalEEZZNS1_29radix_sort_onesweep_iterationIS3_Lb0EPaS7_N6thrust23THRUST_200600_302600_NS10device_ptrIlEESB_jNS0_19identity_decomposerENS1_16block_id_wrapperIjLb0EEEEE10hipError_tT1_PNSt15iterator_traitsISG_E10value_typeET2_T3_PNSH_ISM_E10value_typeET4_T5_PSR_SS_PNS1_23onesweep_lookback_stateEbbT6_jjT7_P12ihipStream_tbENKUlT_T0_SG_SL_E_clIS7_S7_SB_SB_EEDaSZ_S10_SG_SL_EUlSZ_E_NS1_11comp_targetILNS1_3genE10ELNS1_11target_archE1201ELNS1_3gpuE5ELNS1_3repE0EEENS1_47radix_sort_onesweep_sort_config_static_selectorELNS0_4arch9wavefront6targetE1EEEvSG_ ; -- Begin function _ZN7rocprim17ROCPRIM_400000_NS6detail17trampoline_kernelINS0_14default_configENS1_35radix_sort_onesweep_config_selectorIalEEZZNS1_29radix_sort_onesweep_iterationIS3_Lb0EPaS7_N6thrust23THRUST_200600_302600_NS10device_ptrIlEESB_jNS0_19identity_decomposerENS1_16block_id_wrapperIjLb0EEEEE10hipError_tT1_PNSt15iterator_traitsISG_E10value_typeET2_T3_PNSH_ISM_E10value_typeET4_T5_PSR_SS_PNS1_23onesweep_lookback_stateEbbT6_jjT7_P12ihipStream_tbENKUlT_T0_SG_SL_E_clIS7_S7_SB_SB_EEDaSZ_S10_SG_SL_EUlSZ_E_NS1_11comp_targetILNS1_3genE10ELNS1_11target_archE1201ELNS1_3gpuE5ELNS1_3repE0EEENS1_47radix_sort_onesweep_sort_config_static_selectorELNS0_4arch9wavefront6targetE1EEEvSG_
	.globl	_ZN7rocprim17ROCPRIM_400000_NS6detail17trampoline_kernelINS0_14default_configENS1_35radix_sort_onesweep_config_selectorIalEEZZNS1_29radix_sort_onesweep_iterationIS3_Lb0EPaS7_N6thrust23THRUST_200600_302600_NS10device_ptrIlEESB_jNS0_19identity_decomposerENS1_16block_id_wrapperIjLb0EEEEE10hipError_tT1_PNSt15iterator_traitsISG_E10value_typeET2_T3_PNSH_ISM_E10value_typeET4_T5_PSR_SS_PNS1_23onesweep_lookback_stateEbbT6_jjT7_P12ihipStream_tbENKUlT_T0_SG_SL_E_clIS7_S7_SB_SB_EEDaSZ_S10_SG_SL_EUlSZ_E_NS1_11comp_targetILNS1_3genE10ELNS1_11target_archE1201ELNS1_3gpuE5ELNS1_3repE0EEENS1_47radix_sort_onesweep_sort_config_static_selectorELNS0_4arch9wavefront6targetE1EEEvSG_
	.p2align	8
	.type	_ZN7rocprim17ROCPRIM_400000_NS6detail17trampoline_kernelINS0_14default_configENS1_35radix_sort_onesweep_config_selectorIalEEZZNS1_29radix_sort_onesweep_iterationIS3_Lb0EPaS7_N6thrust23THRUST_200600_302600_NS10device_ptrIlEESB_jNS0_19identity_decomposerENS1_16block_id_wrapperIjLb0EEEEE10hipError_tT1_PNSt15iterator_traitsISG_E10value_typeET2_T3_PNSH_ISM_E10value_typeET4_T5_PSR_SS_PNS1_23onesweep_lookback_stateEbbT6_jjT7_P12ihipStream_tbENKUlT_T0_SG_SL_E_clIS7_S7_SB_SB_EEDaSZ_S10_SG_SL_EUlSZ_E_NS1_11comp_targetILNS1_3genE10ELNS1_11target_archE1201ELNS1_3gpuE5ELNS1_3repE0EEENS1_47radix_sort_onesweep_sort_config_static_selectorELNS0_4arch9wavefront6targetE1EEEvSG_,@function
_ZN7rocprim17ROCPRIM_400000_NS6detail17trampoline_kernelINS0_14default_configENS1_35radix_sort_onesweep_config_selectorIalEEZZNS1_29radix_sort_onesweep_iterationIS3_Lb0EPaS7_N6thrust23THRUST_200600_302600_NS10device_ptrIlEESB_jNS0_19identity_decomposerENS1_16block_id_wrapperIjLb0EEEEE10hipError_tT1_PNSt15iterator_traitsISG_E10value_typeET2_T3_PNSH_ISM_E10value_typeET4_T5_PSR_SS_PNS1_23onesweep_lookback_stateEbbT6_jjT7_P12ihipStream_tbENKUlT_T0_SG_SL_E_clIS7_S7_SB_SB_EEDaSZ_S10_SG_SL_EUlSZ_E_NS1_11comp_targetILNS1_3genE10ELNS1_11target_archE1201ELNS1_3gpuE5ELNS1_3repE0EEENS1_47radix_sort_onesweep_sort_config_static_selectorELNS0_4arch9wavefront6targetE1EEEvSG_: ; @_ZN7rocprim17ROCPRIM_400000_NS6detail17trampoline_kernelINS0_14default_configENS1_35radix_sort_onesweep_config_selectorIalEEZZNS1_29radix_sort_onesweep_iterationIS3_Lb0EPaS7_N6thrust23THRUST_200600_302600_NS10device_ptrIlEESB_jNS0_19identity_decomposerENS1_16block_id_wrapperIjLb0EEEEE10hipError_tT1_PNSt15iterator_traitsISG_E10value_typeET2_T3_PNSH_ISM_E10value_typeET4_T5_PSR_SS_PNS1_23onesweep_lookback_stateEbbT6_jjT7_P12ihipStream_tbENKUlT_T0_SG_SL_E_clIS7_S7_SB_SB_EEDaSZ_S10_SG_SL_EUlSZ_E_NS1_11comp_targetILNS1_3genE10ELNS1_11target_archE1201ELNS1_3gpuE5ELNS1_3repE0EEENS1_47radix_sort_onesweep_sort_config_static_selectorELNS0_4arch9wavefront6targetE1EEEvSG_
; %bb.0:
	.section	.rodata,"a",@progbits
	.p2align	6, 0x0
	.amdhsa_kernel _ZN7rocprim17ROCPRIM_400000_NS6detail17trampoline_kernelINS0_14default_configENS1_35radix_sort_onesweep_config_selectorIalEEZZNS1_29radix_sort_onesweep_iterationIS3_Lb0EPaS7_N6thrust23THRUST_200600_302600_NS10device_ptrIlEESB_jNS0_19identity_decomposerENS1_16block_id_wrapperIjLb0EEEEE10hipError_tT1_PNSt15iterator_traitsISG_E10value_typeET2_T3_PNSH_ISM_E10value_typeET4_T5_PSR_SS_PNS1_23onesweep_lookback_stateEbbT6_jjT7_P12ihipStream_tbENKUlT_T0_SG_SL_E_clIS7_S7_SB_SB_EEDaSZ_S10_SG_SL_EUlSZ_E_NS1_11comp_targetILNS1_3genE10ELNS1_11target_archE1201ELNS1_3gpuE5ELNS1_3repE0EEENS1_47radix_sort_onesweep_sort_config_static_selectorELNS0_4arch9wavefront6targetE1EEEvSG_
		.amdhsa_group_segment_fixed_size 0
		.amdhsa_private_segment_fixed_size 0
		.amdhsa_kernarg_size 88
		.amdhsa_user_sgpr_count 6
		.amdhsa_user_sgpr_private_segment_buffer 1
		.amdhsa_user_sgpr_dispatch_ptr 0
		.amdhsa_user_sgpr_queue_ptr 0
		.amdhsa_user_sgpr_kernarg_segment_ptr 1
		.amdhsa_user_sgpr_dispatch_id 0
		.amdhsa_user_sgpr_flat_scratch_init 0
		.amdhsa_user_sgpr_kernarg_preload_length 0
		.amdhsa_user_sgpr_kernarg_preload_offset 0
		.amdhsa_user_sgpr_private_segment_size 0
		.amdhsa_uses_dynamic_stack 0
		.amdhsa_system_sgpr_private_segment_wavefront_offset 0
		.amdhsa_system_sgpr_workgroup_id_x 1
		.amdhsa_system_sgpr_workgroup_id_y 0
		.amdhsa_system_sgpr_workgroup_id_z 0
		.amdhsa_system_sgpr_workgroup_info 0
		.amdhsa_system_vgpr_workitem_id 0
		.amdhsa_next_free_vgpr 1
		.amdhsa_next_free_sgpr 0
		.amdhsa_accum_offset 4
		.amdhsa_reserve_vcc 0
		.amdhsa_reserve_flat_scratch 0
		.amdhsa_float_round_mode_32 0
		.amdhsa_float_round_mode_16_64 0
		.amdhsa_float_denorm_mode_32 3
		.amdhsa_float_denorm_mode_16_64 3
		.amdhsa_dx10_clamp 1
		.amdhsa_ieee_mode 1
		.amdhsa_fp16_overflow 0
		.amdhsa_tg_split 0
		.amdhsa_exception_fp_ieee_invalid_op 0
		.amdhsa_exception_fp_denorm_src 0
		.amdhsa_exception_fp_ieee_div_zero 0
		.amdhsa_exception_fp_ieee_overflow 0
		.amdhsa_exception_fp_ieee_underflow 0
		.amdhsa_exception_fp_ieee_inexact 0
		.amdhsa_exception_int_div_zero 0
	.end_amdhsa_kernel
	.section	.text._ZN7rocprim17ROCPRIM_400000_NS6detail17trampoline_kernelINS0_14default_configENS1_35radix_sort_onesweep_config_selectorIalEEZZNS1_29radix_sort_onesweep_iterationIS3_Lb0EPaS7_N6thrust23THRUST_200600_302600_NS10device_ptrIlEESB_jNS0_19identity_decomposerENS1_16block_id_wrapperIjLb0EEEEE10hipError_tT1_PNSt15iterator_traitsISG_E10value_typeET2_T3_PNSH_ISM_E10value_typeET4_T5_PSR_SS_PNS1_23onesweep_lookback_stateEbbT6_jjT7_P12ihipStream_tbENKUlT_T0_SG_SL_E_clIS7_S7_SB_SB_EEDaSZ_S10_SG_SL_EUlSZ_E_NS1_11comp_targetILNS1_3genE10ELNS1_11target_archE1201ELNS1_3gpuE5ELNS1_3repE0EEENS1_47radix_sort_onesweep_sort_config_static_selectorELNS0_4arch9wavefront6targetE1EEEvSG_,"axG",@progbits,_ZN7rocprim17ROCPRIM_400000_NS6detail17trampoline_kernelINS0_14default_configENS1_35radix_sort_onesweep_config_selectorIalEEZZNS1_29radix_sort_onesweep_iterationIS3_Lb0EPaS7_N6thrust23THRUST_200600_302600_NS10device_ptrIlEESB_jNS0_19identity_decomposerENS1_16block_id_wrapperIjLb0EEEEE10hipError_tT1_PNSt15iterator_traitsISG_E10value_typeET2_T3_PNSH_ISM_E10value_typeET4_T5_PSR_SS_PNS1_23onesweep_lookback_stateEbbT6_jjT7_P12ihipStream_tbENKUlT_T0_SG_SL_E_clIS7_S7_SB_SB_EEDaSZ_S10_SG_SL_EUlSZ_E_NS1_11comp_targetILNS1_3genE10ELNS1_11target_archE1201ELNS1_3gpuE5ELNS1_3repE0EEENS1_47radix_sort_onesweep_sort_config_static_selectorELNS0_4arch9wavefront6targetE1EEEvSG_,comdat
.Lfunc_end633:
	.size	_ZN7rocprim17ROCPRIM_400000_NS6detail17trampoline_kernelINS0_14default_configENS1_35radix_sort_onesweep_config_selectorIalEEZZNS1_29radix_sort_onesweep_iterationIS3_Lb0EPaS7_N6thrust23THRUST_200600_302600_NS10device_ptrIlEESB_jNS0_19identity_decomposerENS1_16block_id_wrapperIjLb0EEEEE10hipError_tT1_PNSt15iterator_traitsISG_E10value_typeET2_T3_PNSH_ISM_E10value_typeET4_T5_PSR_SS_PNS1_23onesweep_lookback_stateEbbT6_jjT7_P12ihipStream_tbENKUlT_T0_SG_SL_E_clIS7_S7_SB_SB_EEDaSZ_S10_SG_SL_EUlSZ_E_NS1_11comp_targetILNS1_3genE10ELNS1_11target_archE1201ELNS1_3gpuE5ELNS1_3repE0EEENS1_47radix_sort_onesweep_sort_config_static_selectorELNS0_4arch9wavefront6targetE1EEEvSG_, .Lfunc_end633-_ZN7rocprim17ROCPRIM_400000_NS6detail17trampoline_kernelINS0_14default_configENS1_35radix_sort_onesweep_config_selectorIalEEZZNS1_29radix_sort_onesweep_iterationIS3_Lb0EPaS7_N6thrust23THRUST_200600_302600_NS10device_ptrIlEESB_jNS0_19identity_decomposerENS1_16block_id_wrapperIjLb0EEEEE10hipError_tT1_PNSt15iterator_traitsISG_E10value_typeET2_T3_PNSH_ISM_E10value_typeET4_T5_PSR_SS_PNS1_23onesweep_lookback_stateEbbT6_jjT7_P12ihipStream_tbENKUlT_T0_SG_SL_E_clIS7_S7_SB_SB_EEDaSZ_S10_SG_SL_EUlSZ_E_NS1_11comp_targetILNS1_3genE10ELNS1_11target_archE1201ELNS1_3gpuE5ELNS1_3repE0EEENS1_47radix_sort_onesweep_sort_config_static_selectorELNS0_4arch9wavefront6targetE1EEEvSG_
                                        ; -- End function
	.section	.AMDGPU.csdata,"",@progbits
; Kernel info:
; codeLenInByte = 0
; NumSgprs: 4
; NumVgprs: 0
; NumAgprs: 0
; TotalNumVgprs: 0
; ScratchSize: 0
; MemoryBound: 0
; FloatMode: 240
; IeeeMode: 1
; LDSByteSize: 0 bytes/workgroup (compile time only)
; SGPRBlocks: 0
; VGPRBlocks: 0
; NumSGPRsForWavesPerEU: 4
; NumVGPRsForWavesPerEU: 1
; AccumOffset: 4
; Occupancy: 8
; WaveLimiterHint : 0
; COMPUTE_PGM_RSRC2:SCRATCH_EN: 0
; COMPUTE_PGM_RSRC2:USER_SGPR: 6
; COMPUTE_PGM_RSRC2:TRAP_HANDLER: 0
; COMPUTE_PGM_RSRC2:TGID_X_EN: 1
; COMPUTE_PGM_RSRC2:TGID_Y_EN: 0
; COMPUTE_PGM_RSRC2:TGID_Z_EN: 0
; COMPUTE_PGM_RSRC2:TIDIG_COMP_CNT: 0
; COMPUTE_PGM_RSRC3_GFX90A:ACCUM_OFFSET: 0
; COMPUTE_PGM_RSRC3_GFX90A:TG_SPLIT: 0
	.section	.text._ZN7rocprim17ROCPRIM_400000_NS6detail17trampoline_kernelINS0_14default_configENS1_35radix_sort_onesweep_config_selectorIalEEZZNS1_29radix_sort_onesweep_iterationIS3_Lb0EPaS7_N6thrust23THRUST_200600_302600_NS10device_ptrIlEESB_jNS0_19identity_decomposerENS1_16block_id_wrapperIjLb0EEEEE10hipError_tT1_PNSt15iterator_traitsISG_E10value_typeET2_T3_PNSH_ISM_E10value_typeET4_T5_PSR_SS_PNS1_23onesweep_lookback_stateEbbT6_jjT7_P12ihipStream_tbENKUlT_T0_SG_SL_E_clIS7_S7_SB_SB_EEDaSZ_S10_SG_SL_EUlSZ_E_NS1_11comp_targetILNS1_3genE9ELNS1_11target_archE1100ELNS1_3gpuE3ELNS1_3repE0EEENS1_47radix_sort_onesweep_sort_config_static_selectorELNS0_4arch9wavefront6targetE1EEEvSG_,"axG",@progbits,_ZN7rocprim17ROCPRIM_400000_NS6detail17trampoline_kernelINS0_14default_configENS1_35radix_sort_onesweep_config_selectorIalEEZZNS1_29radix_sort_onesweep_iterationIS3_Lb0EPaS7_N6thrust23THRUST_200600_302600_NS10device_ptrIlEESB_jNS0_19identity_decomposerENS1_16block_id_wrapperIjLb0EEEEE10hipError_tT1_PNSt15iterator_traitsISG_E10value_typeET2_T3_PNSH_ISM_E10value_typeET4_T5_PSR_SS_PNS1_23onesweep_lookback_stateEbbT6_jjT7_P12ihipStream_tbENKUlT_T0_SG_SL_E_clIS7_S7_SB_SB_EEDaSZ_S10_SG_SL_EUlSZ_E_NS1_11comp_targetILNS1_3genE9ELNS1_11target_archE1100ELNS1_3gpuE3ELNS1_3repE0EEENS1_47radix_sort_onesweep_sort_config_static_selectorELNS0_4arch9wavefront6targetE1EEEvSG_,comdat
	.protected	_ZN7rocprim17ROCPRIM_400000_NS6detail17trampoline_kernelINS0_14default_configENS1_35radix_sort_onesweep_config_selectorIalEEZZNS1_29radix_sort_onesweep_iterationIS3_Lb0EPaS7_N6thrust23THRUST_200600_302600_NS10device_ptrIlEESB_jNS0_19identity_decomposerENS1_16block_id_wrapperIjLb0EEEEE10hipError_tT1_PNSt15iterator_traitsISG_E10value_typeET2_T3_PNSH_ISM_E10value_typeET4_T5_PSR_SS_PNS1_23onesweep_lookback_stateEbbT6_jjT7_P12ihipStream_tbENKUlT_T0_SG_SL_E_clIS7_S7_SB_SB_EEDaSZ_S10_SG_SL_EUlSZ_E_NS1_11comp_targetILNS1_3genE9ELNS1_11target_archE1100ELNS1_3gpuE3ELNS1_3repE0EEENS1_47radix_sort_onesweep_sort_config_static_selectorELNS0_4arch9wavefront6targetE1EEEvSG_ ; -- Begin function _ZN7rocprim17ROCPRIM_400000_NS6detail17trampoline_kernelINS0_14default_configENS1_35radix_sort_onesweep_config_selectorIalEEZZNS1_29radix_sort_onesweep_iterationIS3_Lb0EPaS7_N6thrust23THRUST_200600_302600_NS10device_ptrIlEESB_jNS0_19identity_decomposerENS1_16block_id_wrapperIjLb0EEEEE10hipError_tT1_PNSt15iterator_traitsISG_E10value_typeET2_T3_PNSH_ISM_E10value_typeET4_T5_PSR_SS_PNS1_23onesweep_lookback_stateEbbT6_jjT7_P12ihipStream_tbENKUlT_T0_SG_SL_E_clIS7_S7_SB_SB_EEDaSZ_S10_SG_SL_EUlSZ_E_NS1_11comp_targetILNS1_3genE9ELNS1_11target_archE1100ELNS1_3gpuE3ELNS1_3repE0EEENS1_47radix_sort_onesweep_sort_config_static_selectorELNS0_4arch9wavefront6targetE1EEEvSG_
	.globl	_ZN7rocprim17ROCPRIM_400000_NS6detail17trampoline_kernelINS0_14default_configENS1_35radix_sort_onesweep_config_selectorIalEEZZNS1_29radix_sort_onesweep_iterationIS3_Lb0EPaS7_N6thrust23THRUST_200600_302600_NS10device_ptrIlEESB_jNS0_19identity_decomposerENS1_16block_id_wrapperIjLb0EEEEE10hipError_tT1_PNSt15iterator_traitsISG_E10value_typeET2_T3_PNSH_ISM_E10value_typeET4_T5_PSR_SS_PNS1_23onesweep_lookback_stateEbbT6_jjT7_P12ihipStream_tbENKUlT_T0_SG_SL_E_clIS7_S7_SB_SB_EEDaSZ_S10_SG_SL_EUlSZ_E_NS1_11comp_targetILNS1_3genE9ELNS1_11target_archE1100ELNS1_3gpuE3ELNS1_3repE0EEENS1_47radix_sort_onesweep_sort_config_static_selectorELNS0_4arch9wavefront6targetE1EEEvSG_
	.p2align	8
	.type	_ZN7rocprim17ROCPRIM_400000_NS6detail17trampoline_kernelINS0_14default_configENS1_35radix_sort_onesweep_config_selectorIalEEZZNS1_29radix_sort_onesweep_iterationIS3_Lb0EPaS7_N6thrust23THRUST_200600_302600_NS10device_ptrIlEESB_jNS0_19identity_decomposerENS1_16block_id_wrapperIjLb0EEEEE10hipError_tT1_PNSt15iterator_traitsISG_E10value_typeET2_T3_PNSH_ISM_E10value_typeET4_T5_PSR_SS_PNS1_23onesweep_lookback_stateEbbT6_jjT7_P12ihipStream_tbENKUlT_T0_SG_SL_E_clIS7_S7_SB_SB_EEDaSZ_S10_SG_SL_EUlSZ_E_NS1_11comp_targetILNS1_3genE9ELNS1_11target_archE1100ELNS1_3gpuE3ELNS1_3repE0EEENS1_47radix_sort_onesweep_sort_config_static_selectorELNS0_4arch9wavefront6targetE1EEEvSG_,@function
_ZN7rocprim17ROCPRIM_400000_NS6detail17trampoline_kernelINS0_14default_configENS1_35radix_sort_onesweep_config_selectorIalEEZZNS1_29radix_sort_onesweep_iterationIS3_Lb0EPaS7_N6thrust23THRUST_200600_302600_NS10device_ptrIlEESB_jNS0_19identity_decomposerENS1_16block_id_wrapperIjLb0EEEEE10hipError_tT1_PNSt15iterator_traitsISG_E10value_typeET2_T3_PNSH_ISM_E10value_typeET4_T5_PSR_SS_PNS1_23onesweep_lookback_stateEbbT6_jjT7_P12ihipStream_tbENKUlT_T0_SG_SL_E_clIS7_S7_SB_SB_EEDaSZ_S10_SG_SL_EUlSZ_E_NS1_11comp_targetILNS1_3genE9ELNS1_11target_archE1100ELNS1_3gpuE3ELNS1_3repE0EEENS1_47radix_sort_onesweep_sort_config_static_selectorELNS0_4arch9wavefront6targetE1EEEvSG_: ; @_ZN7rocprim17ROCPRIM_400000_NS6detail17trampoline_kernelINS0_14default_configENS1_35radix_sort_onesweep_config_selectorIalEEZZNS1_29radix_sort_onesweep_iterationIS3_Lb0EPaS7_N6thrust23THRUST_200600_302600_NS10device_ptrIlEESB_jNS0_19identity_decomposerENS1_16block_id_wrapperIjLb0EEEEE10hipError_tT1_PNSt15iterator_traitsISG_E10value_typeET2_T3_PNSH_ISM_E10value_typeET4_T5_PSR_SS_PNS1_23onesweep_lookback_stateEbbT6_jjT7_P12ihipStream_tbENKUlT_T0_SG_SL_E_clIS7_S7_SB_SB_EEDaSZ_S10_SG_SL_EUlSZ_E_NS1_11comp_targetILNS1_3genE9ELNS1_11target_archE1100ELNS1_3gpuE3ELNS1_3repE0EEENS1_47radix_sort_onesweep_sort_config_static_selectorELNS0_4arch9wavefront6targetE1EEEvSG_
; %bb.0:
	.section	.rodata,"a",@progbits
	.p2align	6, 0x0
	.amdhsa_kernel _ZN7rocprim17ROCPRIM_400000_NS6detail17trampoline_kernelINS0_14default_configENS1_35radix_sort_onesweep_config_selectorIalEEZZNS1_29radix_sort_onesweep_iterationIS3_Lb0EPaS7_N6thrust23THRUST_200600_302600_NS10device_ptrIlEESB_jNS0_19identity_decomposerENS1_16block_id_wrapperIjLb0EEEEE10hipError_tT1_PNSt15iterator_traitsISG_E10value_typeET2_T3_PNSH_ISM_E10value_typeET4_T5_PSR_SS_PNS1_23onesweep_lookback_stateEbbT6_jjT7_P12ihipStream_tbENKUlT_T0_SG_SL_E_clIS7_S7_SB_SB_EEDaSZ_S10_SG_SL_EUlSZ_E_NS1_11comp_targetILNS1_3genE9ELNS1_11target_archE1100ELNS1_3gpuE3ELNS1_3repE0EEENS1_47radix_sort_onesweep_sort_config_static_selectorELNS0_4arch9wavefront6targetE1EEEvSG_
		.amdhsa_group_segment_fixed_size 0
		.amdhsa_private_segment_fixed_size 0
		.amdhsa_kernarg_size 88
		.amdhsa_user_sgpr_count 6
		.amdhsa_user_sgpr_private_segment_buffer 1
		.amdhsa_user_sgpr_dispatch_ptr 0
		.amdhsa_user_sgpr_queue_ptr 0
		.amdhsa_user_sgpr_kernarg_segment_ptr 1
		.amdhsa_user_sgpr_dispatch_id 0
		.amdhsa_user_sgpr_flat_scratch_init 0
		.amdhsa_user_sgpr_kernarg_preload_length 0
		.amdhsa_user_sgpr_kernarg_preload_offset 0
		.amdhsa_user_sgpr_private_segment_size 0
		.amdhsa_uses_dynamic_stack 0
		.amdhsa_system_sgpr_private_segment_wavefront_offset 0
		.amdhsa_system_sgpr_workgroup_id_x 1
		.amdhsa_system_sgpr_workgroup_id_y 0
		.amdhsa_system_sgpr_workgroup_id_z 0
		.amdhsa_system_sgpr_workgroup_info 0
		.amdhsa_system_vgpr_workitem_id 0
		.amdhsa_next_free_vgpr 1
		.amdhsa_next_free_sgpr 0
		.amdhsa_accum_offset 4
		.amdhsa_reserve_vcc 0
		.amdhsa_reserve_flat_scratch 0
		.amdhsa_float_round_mode_32 0
		.amdhsa_float_round_mode_16_64 0
		.amdhsa_float_denorm_mode_32 3
		.amdhsa_float_denorm_mode_16_64 3
		.amdhsa_dx10_clamp 1
		.amdhsa_ieee_mode 1
		.amdhsa_fp16_overflow 0
		.amdhsa_tg_split 0
		.amdhsa_exception_fp_ieee_invalid_op 0
		.amdhsa_exception_fp_denorm_src 0
		.amdhsa_exception_fp_ieee_div_zero 0
		.amdhsa_exception_fp_ieee_overflow 0
		.amdhsa_exception_fp_ieee_underflow 0
		.amdhsa_exception_fp_ieee_inexact 0
		.amdhsa_exception_int_div_zero 0
	.end_amdhsa_kernel
	.section	.text._ZN7rocprim17ROCPRIM_400000_NS6detail17trampoline_kernelINS0_14default_configENS1_35radix_sort_onesweep_config_selectorIalEEZZNS1_29radix_sort_onesweep_iterationIS3_Lb0EPaS7_N6thrust23THRUST_200600_302600_NS10device_ptrIlEESB_jNS0_19identity_decomposerENS1_16block_id_wrapperIjLb0EEEEE10hipError_tT1_PNSt15iterator_traitsISG_E10value_typeET2_T3_PNSH_ISM_E10value_typeET4_T5_PSR_SS_PNS1_23onesweep_lookback_stateEbbT6_jjT7_P12ihipStream_tbENKUlT_T0_SG_SL_E_clIS7_S7_SB_SB_EEDaSZ_S10_SG_SL_EUlSZ_E_NS1_11comp_targetILNS1_3genE9ELNS1_11target_archE1100ELNS1_3gpuE3ELNS1_3repE0EEENS1_47radix_sort_onesweep_sort_config_static_selectorELNS0_4arch9wavefront6targetE1EEEvSG_,"axG",@progbits,_ZN7rocprim17ROCPRIM_400000_NS6detail17trampoline_kernelINS0_14default_configENS1_35radix_sort_onesweep_config_selectorIalEEZZNS1_29radix_sort_onesweep_iterationIS3_Lb0EPaS7_N6thrust23THRUST_200600_302600_NS10device_ptrIlEESB_jNS0_19identity_decomposerENS1_16block_id_wrapperIjLb0EEEEE10hipError_tT1_PNSt15iterator_traitsISG_E10value_typeET2_T3_PNSH_ISM_E10value_typeET4_T5_PSR_SS_PNS1_23onesweep_lookback_stateEbbT6_jjT7_P12ihipStream_tbENKUlT_T0_SG_SL_E_clIS7_S7_SB_SB_EEDaSZ_S10_SG_SL_EUlSZ_E_NS1_11comp_targetILNS1_3genE9ELNS1_11target_archE1100ELNS1_3gpuE3ELNS1_3repE0EEENS1_47radix_sort_onesweep_sort_config_static_selectorELNS0_4arch9wavefront6targetE1EEEvSG_,comdat
.Lfunc_end634:
	.size	_ZN7rocprim17ROCPRIM_400000_NS6detail17trampoline_kernelINS0_14default_configENS1_35radix_sort_onesweep_config_selectorIalEEZZNS1_29radix_sort_onesweep_iterationIS3_Lb0EPaS7_N6thrust23THRUST_200600_302600_NS10device_ptrIlEESB_jNS0_19identity_decomposerENS1_16block_id_wrapperIjLb0EEEEE10hipError_tT1_PNSt15iterator_traitsISG_E10value_typeET2_T3_PNSH_ISM_E10value_typeET4_T5_PSR_SS_PNS1_23onesweep_lookback_stateEbbT6_jjT7_P12ihipStream_tbENKUlT_T0_SG_SL_E_clIS7_S7_SB_SB_EEDaSZ_S10_SG_SL_EUlSZ_E_NS1_11comp_targetILNS1_3genE9ELNS1_11target_archE1100ELNS1_3gpuE3ELNS1_3repE0EEENS1_47radix_sort_onesweep_sort_config_static_selectorELNS0_4arch9wavefront6targetE1EEEvSG_, .Lfunc_end634-_ZN7rocprim17ROCPRIM_400000_NS6detail17trampoline_kernelINS0_14default_configENS1_35radix_sort_onesweep_config_selectorIalEEZZNS1_29radix_sort_onesweep_iterationIS3_Lb0EPaS7_N6thrust23THRUST_200600_302600_NS10device_ptrIlEESB_jNS0_19identity_decomposerENS1_16block_id_wrapperIjLb0EEEEE10hipError_tT1_PNSt15iterator_traitsISG_E10value_typeET2_T3_PNSH_ISM_E10value_typeET4_T5_PSR_SS_PNS1_23onesweep_lookback_stateEbbT6_jjT7_P12ihipStream_tbENKUlT_T0_SG_SL_E_clIS7_S7_SB_SB_EEDaSZ_S10_SG_SL_EUlSZ_E_NS1_11comp_targetILNS1_3genE9ELNS1_11target_archE1100ELNS1_3gpuE3ELNS1_3repE0EEENS1_47radix_sort_onesweep_sort_config_static_selectorELNS0_4arch9wavefront6targetE1EEEvSG_
                                        ; -- End function
	.section	.AMDGPU.csdata,"",@progbits
; Kernel info:
; codeLenInByte = 0
; NumSgprs: 4
; NumVgprs: 0
; NumAgprs: 0
; TotalNumVgprs: 0
; ScratchSize: 0
; MemoryBound: 0
; FloatMode: 240
; IeeeMode: 1
; LDSByteSize: 0 bytes/workgroup (compile time only)
; SGPRBlocks: 0
; VGPRBlocks: 0
; NumSGPRsForWavesPerEU: 4
; NumVGPRsForWavesPerEU: 1
; AccumOffset: 4
; Occupancy: 8
; WaveLimiterHint : 0
; COMPUTE_PGM_RSRC2:SCRATCH_EN: 0
; COMPUTE_PGM_RSRC2:USER_SGPR: 6
; COMPUTE_PGM_RSRC2:TRAP_HANDLER: 0
; COMPUTE_PGM_RSRC2:TGID_X_EN: 1
; COMPUTE_PGM_RSRC2:TGID_Y_EN: 0
; COMPUTE_PGM_RSRC2:TGID_Z_EN: 0
; COMPUTE_PGM_RSRC2:TIDIG_COMP_CNT: 0
; COMPUTE_PGM_RSRC3_GFX90A:ACCUM_OFFSET: 0
; COMPUTE_PGM_RSRC3_GFX90A:TG_SPLIT: 0
	.section	.text._ZN7rocprim17ROCPRIM_400000_NS6detail17trampoline_kernelINS0_14default_configENS1_35radix_sort_onesweep_config_selectorIalEEZZNS1_29radix_sort_onesweep_iterationIS3_Lb0EPaS7_N6thrust23THRUST_200600_302600_NS10device_ptrIlEESB_jNS0_19identity_decomposerENS1_16block_id_wrapperIjLb0EEEEE10hipError_tT1_PNSt15iterator_traitsISG_E10value_typeET2_T3_PNSH_ISM_E10value_typeET4_T5_PSR_SS_PNS1_23onesweep_lookback_stateEbbT6_jjT7_P12ihipStream_tbENKUlT_T0_SG_SL_E_clIS7_S7_SB_SB_EEDaSZ_S10_SG_SL_EUlSZ_E_NS1_11comp_targetILNS1_3genE8ELNS1_11target_archE1030ELNS1_3gpuE2ELNS1_3repE0EEENS1_47radix_sort_onesweep_sort_config_static_selectorELNS0_4arch9wavefront6targetE1EEEvSG_,"axG",@progbits,_ZN7rocprim17ROCPRIM_400000_NS6detail17trampoline_kernelINS0_14default_configENS1_35radix_sort_onesweep_config_selectorIalEEZZNS1_29radix_sort_onesweep_iterationIS3_Lb0EPaS7_N6thrust23THRUST_200600_302600_NS10device_ptrIlEESB_jNS0_19identity_decomposerENS1_16block_id_wrapperIjLb0EEEEE10hipError_tT1_PNSt15iterator_traitsISG_E10value_typeET2_T3_PNSH_ISM_E10value_typeET4_T5_PSR_SS_PNS1_23onesweep_lookback_stateEbbT6_jjT7_P12ihipStream_tbENKUlT_T0_SG_SL_E_clIS7_S7_SB_SB_EEDaSZ_S10_SG_SL_EUlSZ_E_NS1_11comp_targetILNS1_3genE8ELNS1_11target_archE1030ELNS1_3gpuE2ELNS1_3repE0EEENS1_47radix_sort_onesweep_sort_config_static_selectorELNS0_4arch9wavefront6targetE1EEEvSG_,comdat
	.protected	_ZN7rocprim17ROCPRIM_400000_NS6detail17trampoline_kernelINS0_14default_configENS1_35radix_sort_onesweep_config_selectorIalEEZZNS1_29radix_sort_onesweep_iterationIS3_Lb0EPaS7_N6thrust23THRUST_200600_302600_NS10device_ptrIlEESB_jNS0_19identity_decomposerENS1_16block_id_wrapperIjLb0EEEEE10hipError_tT1_PNSt15iterator_traitsISG_E10value_typeET2_T3_PNSH_ISM_E10value_typeET4_T5_PSR_SS_PNS1_23onesweep_lookback_stateEbbT6_jjT7_P12ihipStream_tbENKUlT_T0_SG_SL_E_clIS7_S7_SB_SB_EEDaSZ_S10_SG_SL_EUlSZ_E_NS1_11comp_targetILNS1_3genE8ELNS1_11target_archE1030ELNS1_3gpuE2ELNS1_3repE0EEENS1_47radix_sort_onesweep_sort_config_static_selectorELNS0_4arch9wavefront6targetE1EEEvSG_ ; -- Begin function _ZN7rocprim17ROCPRIM_400000_NS6detail17trampoline_kernelINS0_14default_configENS1_35radix_sort_onesweep_config_selectorIalEEZZNS1_29radix_sort_onesweep_iterationIS3_Lb0EPaS7_N6thrust23THRUST_200600_302600_NS10device_ptrIlEESB_jNS0_19identity_decomposerENS1_16block_id_wrapperIjLb0EEEEE10hipError_tT1_PNSt15iterator_traitsISG_E10value_typeET2_T3_PNSH_ISM_E10value_typeET4_T5_PSR_SS_PNS1_23onesweep_lookback_stateEbbT6_jjT7_P12ihipStream_tbENKUlT_T0_SG_SL_E_clIS7_S7_SB_SB_EEDaSZ_S10_SG_SL_EUlSZ_E_NS1_11comp_targetILNS1_3genE8ELNS1_11target_archE1030ELNS1_3gpuE2ELNS1_3repE0EEENS1_47radix_sort_onesweep_sort_config_static_selectorELNS0_4arch9wavefront6targetE1EEEvSG_
	.globl	_ZN7rocprim17ROCPRIM_400000_NS6detail17trampoline_kernelINS0_14default_configENS1_35radix_sort_onesweep_config_selectorIalEEZZNS1_29radix_sort_onesweep_iterationIS3_Lb0EPaS7_N6thrust23THRUST_200600_302600_NS10device_ptrIlEESB_jNS0_19identity_decomposerENS1_16block_id_wrapperIjLb0EEEEE10hipError_tT1_PNSt15iterator_traitsISG_E10value_typeET2_T3_PNSH_ISM_E10value_typeET4_T5_PSR_SS_PNS1_23onesweep_lookback_stateEbbT6_jjT7_P12ihipStream_tbENKUlT_T0_SG_SL_E_clIS7_S7_SB_SB_EEDaSZ_S10_SG_SL_EUlSZ_E_NS1_11comp_targetILNS1_3genE8ELNS1_11target_archE1030ELNS1_3gpuE2ELNS1_3repE0EEENS1_47radix_sort_onesweep_sort_config_static_selectorELNS0_4arch9wavefront6targetE1EEEvSG_
	.p2align	8
	.type	_ZN7rocprim17ROCPRIM_400000_NS6detail17trampoline_kernelINS0_14default_configENS1_35radix_sort_onesweep_config_selectorIalEEZZNS1_29radix_sort_onesweep_iterationIS3_Lb0EPaS7_N6thrust23THRUST_200600_302600_NS10device_ptrIlEESB_jNS0_19identity_decomposerENS1_16block_id_wrapperIjLb0EEEEE10hipError_tT1_PNSt15iterator_traitsISG_E10value_typeET2_T3_PNSH_ISM_E10value_typeET4_T5_PSR_SS_PNS1_23onesweep_lookback_stateEbbT6_jjT7_P12ihipStream_tbENKUlT_T0_SG_SL_E_clIS7_S7_SB_SB_EEDaSZ_S10_SG_SL_EUlSZ_E_NS1_11comp_targetILNS1_3genE8ELNS1_11target_archE1030ELNS1_3gpuE2ELNS1_3repE0EEENS1_47radix_sort_onesweep_sort_config_static_selectorELNS0_4arch9wavefront6targetE1EEEvSG_,@function
_ZN7rocprim17ROCPRIM_400000_NS6detail17trampoline_kernelINS0_14default_configENS1_35radix_sort_onesweep_config_selectorIalEEZZNS1_29radix_sort_onesweep_iterationIS3_Lb0EPaS7_N6thrust23THRUST_200600_302600_NS10device_ptrIlEESB_jNS0_19identity_decomposerENS1_16block_id_wrapperIjLb0EEEEE10hipError_tT1_PNSt15iterator_traitsISG_E10value_typeET2_T3_PNSH_ISM_E10value_typeET4_T5_PSR_SS_PNS1_23onesweep_lookback_stateEbbT6_jjT7_P12ihipStream_tbENKUlT_T0_SG_SL_E_clIS7_S7_SB_SB_EEDaSZ_S10_SG_SL_EUlSZ_E_NS1_11comp_targetILNS1_3genE8ELNS1_11target_archE1030ELNS1_3gpuE2ELNS1_3repE0EEENS1_47radix_sort_onesweep_sort_config_static_selectorELNS0_4arch9wavefront6targetE1EEEvSG_: ; @_ZN7rocprim17ROCPRIM_400000_NS6detail17trampoline_kernelINS0_14default_configENS1_35radix_sort_onesweep_config_selectorIalEEZZNS1_29radix_sort_onesweep_iterationIS3_Lb0EPaS7_N6thrust23THRUST_200600_302600_NS10device_ptrIlEESB_jNS0_19identity_decomposerENS1_16block_id_wrapperIjLb0EEEEE10hipError_tT1_PNSt15iterator_traitsISG_E10value_typeET2_T3_PNSH_ISM_E10value_typeET4_T5_PSR_SS_PNS1_23onesweep_lookback_stateEbbT6_jjT7_P12ihipStream_tbENKUlT_T0_SG_SL_E_clIS7_S7_SB_SB_EEDaSZ_S10_SG_SL_EUlSZ_E_NS1_11comp_targetILNS1_3genE8ELNS1_11target_archE1030ELNS1_3gpuE2ELNS1_3repE0EEENS1_47radix_sort_onesweep_sort_config_static_selectorELNS0_4arch9wavefront6targetE1EEEvSG_
; %bb.0:
	.section	.rodata,"a",@progbits
	.p2align	6, 0x0
	.amdhsa_kernel _ZN7rocprim17ROCPRIM_400000_NS6detail17trampoline_kernelINS0_14default_configENS1_35radix_sort_onesweep_config_selectorIalEEZZNS1_29radix_sort_onesweep_iterationIS3_Lb0EPaS7_N6thrust23THRUST_200600_302600_NS10device_ptrIlEESB_jNS0_19identity_decomposerENS1_16block_id_wrapperIjLb0EEEEE10hipError_tT1_PNSt15iterator_traitsISG_E10value_typeET2_T3_PNSH_ISM_E10value_typeET4_T5_PSR_SS_PNS1_23onesweep_lookback_stateEbbT6_jjT7_P12ihipStream_tbENKUlT_T0_SG_SL_E_clIS7_S7_SB_SB_EEDaSZ_S10_SG_SL_EUlSZ_E_NS1_11comp_targetILNS1_3genE8ELNS1_11target_archE1030ELNS1_3gpuE2ELNS1_3repE0EEENS1_47radix_sort_onesweep_sort_config_static_selectorELNS0_4arch9wavefront6targetE1EEEvSG_
		.amdhsa_group_segment_fixed_size 0
		.amdhsa_private_segment_fixed_size 0
		.amdhsa_kernarg_size 88
		.amdhsa_user_sgpr_count 6
		.amdhsa_user_sgpr_private_segment_buffer 1
		.amdhsa_user_sgpr_dispatch_ptr 0
		.amdhsa_user_sgpr_queue_ptr 0
		.amdhsa_user_sgpr_kernarg_segment_ptr 1
		.amdhsa_user_sgpr_dispatch_id 0
		.amdhsa_user_sgpr_flat_scratch_init 0
		.amdhsa_user_sgpr_kernarg_preload_length 0
		.amdhsa_user_sgpr_kernarg_preload_offset 0
		.amdhsa_user_sgpr_private_segment_size 0
		.amdhsa_uses_dynamic_stack 0
		.amdhsa_system_sgpr_private_segment_wavefront_offset 0
		.amdhsa_system_sgpr_workgroup_id_x 1
		.amdhsa_system_sgpr_workgroup_id_y 0
		.amdhsa_system_sgpr_workgroup_id_z 0
		.amdhsa_system_sgpr_workgroup_info 0
		.amdhsa_system_vgpr_workitem_id 0
		.amdhsa_next_free_vgpr 1
		.amdhsa_next_free_sgpr 0
		.amdhsa_accum_offset 4
		.amdhsa_reserve_vcc 0
		.amdhsa_reserve_flat_scratch 0
		.amdhsa_float_round_mode_32 0
		.amdhsa_float_round_mode_16_64 0
		.amdhsa_float_denorm_mode_32 3
		.amdhsa_float_denorm_mode_16_64 3
		.amdhsa_dx10_clamp 1
		.amdhsa_ieee_mode 1
		.amdhsa_fp16_overflow 0
		.amdhsa_tg_split 0
		.amdhsa_exception_fp_ieee_invalid_op 0
		.amdhsa_exception_fp_denorm_src 0
		.amdhsa_exception_fp_ieee_div_zero 0
		.amdhsa_exception_fp_ieee_overflow 0
		.amdhsa_exception_fp_ieee_underflow 0
		.amdhsa_exception_fp_ieee_inexact 0
		.amdhsa_exception_int_div_zero 0
	.end_amdhsa_kernel
	.section	.text._ZN7rocprim17ROCPRIM_400000_NS6detail17trampoline_kernelINS0_14default_configENS1_35radix_sort_onesweep_config_selectorIalEEZZNS1_29radix_sort_onesweep_iterationIS3_Lb0EPaS7_N6thrust23THRUST_200600_302600_NS10device_ptrIlEESB_jNS0_19identity_decomposerENS1_16block_id_wrapperIjLb0EEEEE10hipError_tT1_PNSt15iterator_traitsISG_E10value_typeET2_T3_PNSH_ISM_E10value_typeET4_T5_PSR_SS_PNS1_23onesweep_lookback_stateEbbT6_jjT7_P12ihipStream_tbENKUlT_T0_SG_SL_E_clIS7_S7_SB_SB_EEDaSZ_S10_SG_SL_EUlSZ_E_NS1_11comp_targetILNS1_3genE8ELNS1_11target_archE1030ELNS1_3gpuE2ELNS1_3repE0EEENS1_47radix_sort_onesweep_sort_config_static_selectorELNS0_4arch9wavefront6targetE1EEEvSG_,"axG",@progbits,_ZN7rocprim17ROCPRIM_400000_NS6detail17trampoline_kernelINS0_14default_configENS1_35radix_sort_onesweep_config_selectorIalEEZZNS1_29radix_sort_onesweep_iterationIS3_Lb0EPaS7_N6thrust23THRUST_200600_302600_NS10device_ptrIlEESB_jNS0_19identity_decomposerENS1_16block_id_wrapperIjLb0EEEEE10hipError_tT1_PNSt15iterator_traitsISG_E10value_typeET2_T3_PNSH_ISM_E10value_typeET4_T5_PSR_SS_PNS1_23onesweep_lookback_stateEbbT6_jjT7_P12ihipStream_tbENKUlT_T0_SG_SL_E_clIS7_S7_SB_SB_EEDaSZ_S10_SG_SL_EUlSZ_E_NS1_11comp_targetILNS1_3genE8ELNS1_11target_archE1030ELNS1_3gpuE2ELNS1_3repE0EEENS1_47radix_sort_onesweep_sort_config_static_selectorELNS0_4arch9wavefront6targetE1EEEvSG_,comdat
.Lfunc_end635:
	.size	_ZN7rocprim17ROCPRIM_400000_NS6detail17trampoline_kernelINS0_14default_configENS1_35radix_sort_onesweep_config_selectorIalEEZZNS1_29radix_sort_onesweep_iterationIS3_Lb0EPaS7_N6thrust23THRUST_200600_302600_NS10device_ptrIlEESB_jNS0_19identity_decomposerENS1_16block_id_wrapperIjLb0EEEEE10hipError_tT1_PNSt15iterator_traitsISG_E10value_typeET2_T3_PNSH_ISM_E10value_typeET4_T5_PSR_SS_PNS1_23onesweep_lookback_stateEbbT6_jjT7_P12ihipStream_tbENKUlT_T0_SG_SL_E_clIS7_S7_SB_SB_EEDaSZ_S10_SG_SL_EUlSZ_E_NS1_11comp_targetILNS1_3genE8ELNS1_11target_archE1030ELNS1_3gpuE2ELNS1_3repE0EEENS1_47radix_sort_onesweep_sort_config_static_selectorELNS0_4arch9wavefront6targetE1EEEvSG_, .Lfunc_end635-_ZN7rocprim17ROCPRIM_400000_NS6detail17trampoline_kernelINS0_14default_configENS1_35radix_sort_onesweep_config_selectorIalEEZZNS1_29radix_sort_onesweep_iterationIS3_Lb0EPaS7_N6thrust23THRUST_200600_302600_NS10device_ptrIlEESB_jNS0_19identity_decomposerENS1_16block_id_wrapperIjLb0EEEEE10hipError_tT1_PNSt15iterator_traitsISG_E10value_typeET2_T3_PNSH_ISM_E10value_typeET4_T5_PSR_SS_PNS1_23onesweep_lookback_stateEbbT6_jjT7_P12ihipStream_tbENKUlT_T0_SG_SL_E_clIS7_S7_SB_SB_EEDaSZ_S10_SG_SL_EUlSZ_E_NS1_11comp_targetILNS1_3genE8ELNS1_11target_archE1030ELNS1_3gpuE2ELNS1_3repE0EEENS1_47radix_sort_onesweep_sort_config_static_selectorELNS0_4arch9wavefront6targetE1EEEvSG_
                                        ; -- End function
	.section	.AMDGPU.csdata,"",@progbits
; Kernel info:
; codeLenInByte = 0
; NumSgprs: 4
; NumVgprs: 0
; NumAgprs: 0
; TotalNumVgprs: 0
; ScratchSize: 0
; MemoryBound: 0
; FloatMode: 240
; IeeeMode: 1
; LDSByteSize: 0 bytes/workgroup (compile time only)
; SGPRBlocks: 0
; VGPRBlocks: 0
; NumSGPRsForWavesPerEU: 4
; NumVGPRsForWavesPerEU: 1
; AccumOffset: 4
; Occupancy: 8
; WaveLimiterHint : 0
; COMPUTE_PGM_RSRC2:SCRATCH_EN: 0
; COMPUTE_PGM_RSRC2:USER_SGPR: 6
; COMPUTE_PGM_RSRC2:TRAP_HANDLER: 0
; COMPUTE_PGM_RSRC2:TGID_X_EN: 1
; COMPUTE_PGM_RSRC2:TGID_Y_EN: 0
; COMPUTE_PGM_RSRC2:TGID_Z_EN: 0
; COMPUTE_PGM_RSRC2:TIDIG_COMP_CNT: 0
; COMPUTE_PGM_RSRC3_GFX90A:ACCUM_OFFSET: 0
; COMPUTE_PGM_RSRC3_GFX90A:TG_SPLIT: 0
	.section	.text._ZN7rocprim17ROCPRIM_400000_NS6detail17trampoline_kernelINS0_14default_configENS1_35radix_sort_onesweep_config_selectorIalEEZZNS1_29radix_sort_onesweep_iterationIS3_Lb0EPaS7_N6thrust23THRUST_200600_302600_NS10device_ptrIlEESB_jNS0_19identity_decomposerENS1_16block_id_wrapperIjLb0EEEEE10hipError_tT1_PNSt15iterator_traitsISG_E10value_typeET2_T3_PNSH_ISM_E10value_typeET4_T5_PSR_SS_PNS1_23onesweep_lookback_stateEbbT6_jjT7_P12ihipStream_tbENKUlT_T0_SG_SL_E_clIS7_S7_SB_PlEEDaSZ_S10_SG_SL_EUlSZ_E_NS1_11comp_targetILNS1_3genE0ELNS1_11target_archE4294967295ELNS1_3gpuE0ELNS1_3repE0EEENS1_47radix_sort_onesweep_sort_config_static_selectorELNS0_4arch9wavefront6targetE1EEEvSG_,"axG",@progbits,_ZN7rocprim17ROCPRIM_400000_NS6detail17trampoline_kernelINS0_14default_configENS1_35radix_sort_onesweep_config_selectorIalEEZZNS1_29radix_sort_onesweep_iterationIS3_Lb0EPaS7_N6thrust23THRUST_200600_302600_NS10device_ptrIlEESB_jNS0_19identity_decomposerENS1_16block_id_wrapperIjLb0EEEEE10hipError_tT1_PNSt15iterator_traitsISG_E10value_typeET2_T3_PNSH_ISM_E10value_typeET4_T5_PSR_SS_PNS1_23onesweep_lookback_stateEbbT6_jjT7_P12ihipStream_tbENKUlT_T0_SG_SL_E_clIS7_S7_SB_PlEEDaSZ_S10_SG_SL_EUlSZ_E_NS1_11comp_targetILNS1_3genE0ELNS1_11target_archE4294967295ELNS1_3gpuE0ELNS1_3repE0EEENS1_47radix_sort_onesweep_sort_config_static_selectorELNS0_4arch9wavefront6targetE1EEEvSG_,comdat
	.protected	_ZN7rocprim17ROCPRIM_400000_NS6detail17trampoline_kernelINS0_14default_configENS1_35radix_sort_onesweep_config_selectorIalEEZZNS1_29radix_sort_onesweep_iterationIS3_Lb0EPaS7_N6thrust23THRUST_200600_302600_NS10device_ptrIlEESB_jNS0_19identity_decomposerENS1_16block_id_wrapperIjLb0EEEEE10hipError_tT1_PNSt15iterator_traitsISG_E10value_typeET2_T3_PNSH_ISM_E10value_typeET4_T5_PSR_SS_PNS1_23onesweep_lookback_stateEbbT6_jjT7_P12ihipStream_tbENKUlT_T0_SG_SL_E_clIS7_S7_SB_PlEEDaSZ_S10_SG_SL_EUlSZ_E_NS1_11comp_targetILNS1_3genE0ELNS1_11target_archE4294967295ELNS1_3gpuE0ELNS1_3repE0EEENS1_47radix_sort_onesweep_sort_config_static_selectorELNS0_4arch9wavefront6targetE1EEEvSG_ ; -- Begin function _ZN7rocprim17ROCPRIM_400000_NS6detail17trampoline_kernelINS0_14default_configENS1_35radix_sort_onesweep_config_selectorIalEEZZNS1_29radix_sort_onesweep_iterationIS3_Lb0EPaS7_N6thrust23THRUST_200600_302600_NS10device_ptrIlEESB_jNS0_19identity_decomposerENS1_16block_id_wrapperIjLb0EEEEE10hipError_tT1_PNSt15iterator_traitsISG_E10value_typeET2_T3_PNSH_ISM_E10value_typeET4_T5_PSR_SS_PNS1_23onesweep_lookback_stateEbbT6_jjT7_P12ihipStream_tbENKUlT_T0_SG_SL_E_clIS7_S7_SB_PlEEDaSZ_S10_SG_SL_EUlSZ_E_NS1_11comp_targetILNS1_3genE0ELNS1_11target_archE4294967295ELNS1_3gpuE0ELNS1_3repE0EEENS1_47radix_sort_onesweep_sort_config_static_selectorELNS0_4arch9wavefront6targetE1EEEvSG_
	.globl	_ZN7rocprim17ROCPRIM_400000_NS6detail17trampoline_kernelINS0_14default_configENS1_35radix_sort_onesweep_config_selectorIalEEZZNS1_29radix_sort_onesweep_iterationIS3_Lb0EPaS7_N6thrust23THRUST_200600_302600_NS10device_ptrIlEESB_jNS0_19identity_decomposerENS1_16block_id_wrapperIjLb0EEEEE10hipError_tT1_PNSt15iterator_traitsISG_E10value_typeET2_T3_PNSH_ISM_E10value_typeET4_T5_PSR_SS_PNS1_23onesweep_lookback_stateEbbT6_jjT7_P12ihipStream_tbENKUlT_T0_SG_SL_E_clIS7_S7_SB_PlEEDaSZ_S10_SG_SL_EUlSZ_E_NS1_11comp_targetILNS1_3genE0ELNS1_11target_archE4294967295ELNS1_3gpuE0ELNS1_3repE0EEENS1_47radix_sort_onesweep_sort_config_static_selectorELNS0_4arch9wavefront6targetE1EEEvSG_
	.p2align	8
	.type	_ZN7rocprim17ROCPRIM_400000_NS6detail17trampoline_kernelINS0_14default_configENS1_35radix_sort_onesweep_config_selectorIalEEZZNS1_29radix_sort_onesweep_iterationIS3_Lb0EPaS7_N6thrust23THRUST_200600_302600_NS10device_ptrIlEESB_jNS0_19identity_decomposerENS1_16block_id_wrapperIjLb0EEEEE10hipError_tT1_PNSt15iterator_traitsISG_E10value_typeET2_T3_PNSH_ISM_E10value_typeET4_T5_PSR_SS_PNS1_23onesweep_lookback_stateEbbT6_jjT7_P12ihipStream_tbENKUlT_T0_SG_SL_E_clIS7_S7_SB_PlEEDaSZ_S10_SG_SL_EUlSZ_E_NS1_11comp_targetILNS1_3genE0ELNS1_11target_archE4294967295ELNS1_3gpuE0ELNS1_3repE0EEENS1_47radix_sort_onesweep_sort_config_static_selectorELNS0_4arch9wavefront6targetE1EEEvSG_,@function
_ZN7rocprim17ROCPRIM_400000_NS6detail17trampoline_kernelINS0_14default_configENS1_35radix_sort_onesweep_config_selectorIalEEZZNS1_29radix_sort_onesweep_iterationIS3_Lb0EPaS7_N6thrust23THRUST_200600_302600_NS10device_ptrIlEESB_jNS0_19identity_decomposerENS1_16block_id_wrapperIjLb0EEEEE10hipError_tT1_PNSt15iterator_traitsISG_E10value_typeET2_T3_PNSH_ISM_E10value_typeET4_T5_PSR_SS_PNS1_23onesweep_lookback_stateEbbT6_jjT7_P12ihipStream_tbENKUlT_T0_SG_SL_E_clIS7_S7_SB_PlEEDaSZ_S10_SG_SL_EUlSZ_E_NS1_11comp_targetILNS1_3genE0ELNS1_11target_archE4294967295ELNS1_3gpuE0ELNS1_3repE0EEENS1_47radix_sort_onesweep_sort_config_static_selectorELNS0_4arch9wavefront6targetE1EEEvSG_: ; @_ZN7rocprim17ROCPRIM_400000_NS6detail17trampoline_kernelINS0_14default_configENS1_35radix_sort_onesweep_config_selectorIalEEZZNS1_29radix_sort_onesweep_iterationIS3_Lb0EPaS7_N6thrust23THRUST_200600_302600_NS10device_ptrIlEESB_jNS0_19identity_decomposerENS1_16block_id_wrapperIjLb0EEEEE10hipError_tT1_PNSt15iterator_traitsISG_E10value_typeET2_T3_PNSH_ISM_E10value_typeET4_T5_PSR_SS_PNS1_23onesweep_lookback_stateEbbT6_jjT7_P12ihipStream_tbENKUlT_T0_SG_SL_E_clIS7_S7_SB_PlEEDaSZ_S10_SG_SL_EUlSZ_E_NS1_11comp_targetILNS1_3genE0ELNS1_11target_archE4294967295ELNS1_3gpuE0ELNS1_3repE0EEENS1_47radix_sort_onesweep_sort_config_static_selectorELNS0_4arch9wavefront6targetE1EEEvSG_
; %bb.0:
	.section	.rodata,"a",@progbits
	.p2align	6, 0x0
	.amdhsa_kernel _ZN7rocprim17ROCPRIM_400000_NS6detail17trampoline_kernelINS0_14default_configENS1_35radix_sort_onesweep_config_selectorIalEEZZNS1_29radix_sort_onesweep_iterationIS3_Lb0EPaS7_N6thrust23THRUST_200600_302600_NS10device_ptrIlEESB_jNS0_19identity_decomposerENS1_16block_id_wrapperIjLb0EEEEE10hipError_tT1_PNSt15iterator_traitsISG_E10value_typeET2_T3_PNSH_ISM_E10value_typeET4_T5_PSR_SS_PNS1_23onesweep_lookback_stateEbbT6_jjT7_P12ihipStream_tbENKUlT_T0_SG_SL_E_clIS7_S7_SB_PlEEDaSZ_S10_SG_SL_EUlSZ_E_NS1_11comp_targetILNS1_3genE0ELNS1_11target_archE4294967295ELNS1_3gpuE0ELNS1_3repE0EEENS1_47radix_sort_onesweep_sort_config_static_selectorELNS0_4arch9wavefront6targetE1EEEvSG_
		.amdhsa_group_segment_fixed_size 0
		.amdhsa_private_segment_fixed_size 0
		.amdhsa_kernarg_size 88
		.amdhsa_user_sgpr_count 6
		.amdhsa_user_sgpr_private_segment_buffer 1
		.amdhsa_user_sgpr_dispatch_ptr 0
		.amdhsa_user_sgpr_queue_ptr 0
		.amdhsa_user_sgpr_kernarg_segment_ptr 1
		.amdhsa_user_sgpr_dispatch_id 0
		.amdhsa_user_sgpr_flat_scratch_init 0
		.amdhsa_user_sgpr_kernarg_preload_length 0
		.amdhsa_user_sgpr_kernarg_preload_offset 0
		.amdhsa_user_sgpr_private_segment_size 0
		.amdhsa_uses_dynamic_stack 0
		.amdhsa_system_sgpr_private_segment_wavefront_offset 0
		.amdhsa_system_sgpr_workgroup_id_x 1
		.amdhsa_system_sgpr_workgroup_id_y 0
		.amdhsa_system_sgpr_workgroup_id_z 0
		.amdhsa_system_sgpr_workgroup_info 0
		.amdhsa_system_vgpr_workitem_id 0
		.amdhsa_next_free_vgpr 1
		.amdhsa_next_free_sgpr 0
		.amdhsa_accum_offset 4
		.amdhsa_reserve_vcc 0
		.amdhsa_reserve_flat_scratch 0
		.amdhsa_float_round_mode_32 0
		.amdhsa_float_round_mode_16_64 0
		.amdhsa_float_denorm_mode_32 3
		.amdhsa_float_denorm_mode_16_64 3
		.amdhsa_dx10_clamp 1
		.amdhsa_ieee_mode 1
		.amdhsa_fp16_overflow 0
		.amdhsa_tg_split 0
		.amdhsa_exception_fp_ieee_invalid_op 0
		.amdhsa_exception_fp_denorm_src 0
		.amdhsa_exception_fp_ieee_div_zero 0
		.amdhsa_exception_fp_ieee_overflow 0
		.amdhsa_exception_fp_ieee_underflow 0
		.amdhsa_exception_fp_ieee_inexact 0
		.amdhsa_exception_int_div_zero 0
	.end_amdhsa_kernel
	.section	.text._ZN7rocprim17ROCPRIM_400000_NS6detail17trampoline_kernelINS0_14default_configENS1_35radix_sort_onesweep_config_selectorIalEEZZNS1_29radix_sort_onesweep_iterationIS3_Lb0EPaS7_N6thrust23THRUST_200600_302600_NS10device_ptrIlEESB_jNS0_19identity_decomposerENS1_16block_id_wrapperIjLb0EEEEE10hipError_tT1_PNSt15iterator_traitsISG_E10value_typeET2_T3_PNSH_ISM_E10value_typeET4_T5_PSR_SS_PNS1_23onesweep_lookback_stateEbbT6_jjT7_P12ihipStream_tbENKUlT_T0_SG_SL_E_clIS7_S7_SB_PlEEDaSZ_S10_SG_SL_EUlSZ_E_NS1_11comp_targetILNS1_3genE0ELNS1_11target_archE4294967295ELNS1_3gpuE0ELNS1_3repE0EEENS1_47radix_sort_onesweep_sort_config_static_selectorELNS0_4arch9wavefront6targetE1EEEvSG_,"axG",@progbits,_ZN7rocprim17ROCPRIM_400000_NS6detail17trampoline_kernelINS0_14default_configENS1_35radix_sort_onesweep_config_selectorIalEEZZNS1_29radix_sort_onesweep_iterationIS3_Lb0EPaS7_N6thrust23THRUST_200600_302600_NS10device_ptrIlEESB_jNS0_19identity_decomposerENS1_16block_id_wrapperIjLb0EEEEE10hipError_tT1_PNSt15iterator_traitsISG_E10value_typeET2_T3_PNSH_ISM_E10value_typeET4_T5_PSR_SS_PNS1_23onesweep_lookback_stateEbbT6_jjT7_P12ihipStream_tbENKUlT_T0_SG_SL_E_clIS7_S7_SB_PlEEDaSZ_S10_SG_SL_EUlSZ_E_NS1_11comp_targetILNS1_3genE0ELNS1_11target_archE4294967295ELNS1_3gpuE0ELNS1_3repE0EEENS1_47radix_sort_onesweep_sort_config_static_selectorELNS0_4arch9wavefront6targetE1EEEvSG_,comdat
.Lfunc_end636:
	.size	_ZN7rocprim17ROCPRIM_400000_NS6detail17trampoline_kernelINS0_14default_configENS1_35radix_sort_onesweep_config_selectorIalEEZZNS1_29radix_sort_onesweep_iterationIS3_Lb0EPaS7_N6thrust23THRUST_200600_302600_NS10device_ptrIlEESB_jNS0_19identity_decomposerENS1_16block_id_wrapperIjLb0EEEEE10hipError_tT1_PNSt15iterator_traitsISG_E10value_typeET2_T3_PNSH_ISM_E10value_typeET4_T5_PSR_SS_PNS1_23onesweep_lookback_stateEbbT6_jjT7_P12ihipStream_tbENKUlT_T0_SG_SL_E_clIS7_S7_SB_PlEEDaSZ_S10_SG_SL_EUlSZ_E_NS1_11comp_targetILNS1_3genE0ELNS1_11target_archE4294967295ELNS1_3gpuE0ELNS1_3repE0EEENS1_47radix_sort_onesweep_sort_config_static_selectorELNS0_4arch9wavefront6targetE1EEEvSG_, .Lfunc_end636-_ZN7rocprim17ROCPRIM_400000_NS6detail17trampoline_kernelINS0_14default_configENS1_35radix_sort_onesweep_config_selectorIalEEZZNS1_29radix_sort_onesweep_iterationIS3_Lb0EPaS7_N6thrust23THRUST_200600_302600_NS10device_ptrIlEESB_jNS0_19identity_decomposerENS1_16block_id_wrapperIjLb0EEEEE10hipError_tT1_PNSt15iterator_traitsISG_E10value_typeET2_T3_PNSH_ISM_E10value_typeET4_T5_PSR_SS_PNS1_23onesweep_lookback_stateEbbT6_jjT7_P12ihipStream_tbENKUlT_T0_SG_SL_E_clIS7_S7_SB_PlEEDaSZ_S10_SG_SL_EUlSZ_E_NS1_11comp_targetILNS1_3genE0ELNS1_11target_archE4294967295ELNS1_3gpuE0ELNS1_3repE0EEENS1_47radix_sort_onesweep_sort_config_static_selectorELNS0_4arch9wavefront6targetE1EEEvSG_
                                        ; -- End function
	.section	.AMDGPU.csdata,"",@progbits
; Kernel info:
; codeLenInByte = 0
; NumSgprs: 4
; NumVgprs: 0
; NumAgprs: 0
; TotalNumVgprs: 0
; ScratchSize: 0
; MemoryBound: 0
; FloatMode: 240
; IeeeMode: 1
; LDSByteSize: 0 bytes/workgroup (compile time only)
; SGPRBlocks: 0
; VGPRBlocks: 0
; NumSGPRsForWavesPerEU: 4
; NumVGPRsForWavesPerEU: 1
; AccumOffset: 4
; Occupancy: 8
; WaveLimiterHint : 0
; COMPUTE_PGM_RSRC2:SCRATCH_EN: 0
; COMPUTE_PGM_RSRC2:USER_SGPR: 6
; COMPUTE_PGM_RSRC2:TRAP_HANDLER: 0
; COMPUTE_PGM_RSRC2:TGID_X_EN: 1
; COMPUTE_PGM_RSRC2:TGID_Y_EN: 0
; COMPUTE_PGM_RSRC2:TGID_Z_EN: 0
; COMPUTE_PGM_RSRC2:TIDIG_COMP_CNT: 0
; COMPUTE_PGM_RSRC3_GFX90A:ACCUM_OFFSET: 0
; COMPUTE_PGM_RSRC3_GFX90A:TG_SPLIT: 0
	.section	.text._ZN7rocprim17ROCPRIM_400000_NS6detail17trampoline_kernelINS0_14default_configENS1_35radix_sort_onesweep_config_selectorIalEEZZNS1_29radix_sort_onesweep_iterationIS3_Lb0EPaS7_N6thrust23THRUST_200600_302600_NS10device_ptrIlEESB_jNS0_19identity_decomposerENS1_16block_id_wrapperIjLb0EEEEE10hipError_tT1_PNSt15iterator_traitsISG_E10value_typeET2_T3_PNSH_ISM_E10value_typeET4_T5_PSR_SS_PNS1_23onesweep_lookback_stateEbbT6_jjT7_P12ihipStream_tbENKUlT_T0_SG_SL_E_clIS7_S7_SB_PlEEDaSZ_S10_SG_SL_EUlSZ_E_NS1_11comp_targetILNS1_3genE6ELNS1_11target_archE950ELNS1_3gpuE13ELNS1_3repE0EEENS1_47radix_sort_onesweep_sort_config_static_selectorELNS0_4arch9wavefront6targetE1EEEvSG_,"axG",@progbits,_ZN7rocprim17ROCPRIM_400000_NS6detail17trampoline_kernelINS0_14default_configENS1_35radix_sort_onesweep_config_selectorIalEEZZNS1_29radix_sort_onesweep_iterationIS3_Lb0EPaS7_N6thrust23THRUST_200600_302600_NS10device_ptrIlEESB_jNS0_19identity_decomposerENS1_16block_id_wrapperIjLb0EEEEE10hipError_tT1_PNSt15iterator_traitsISG_E10value_typeET2_T3_PNSH_ISM_E10value_typeET4_T5_PSR_SS_PNS1_23onesweep_lookback_stateEbbT6_jjT7_P12ihipStream_tbENKUlT_T0_SG_SL_E_clIS7_S7_SB_PlEEDaSZ_S10_SG_SL_EUlSZ_E_NS1_11comp_targetILNS1_3genE6ELNS1_11target_archE950ELNS1_3gpuE13ELNS1_3repE0EEENS1_47radix_sort_onesweep_sort_config_static_selectorELNS0_4arch9wavefront6targetE1EEEvSG_,comdat
	.protected	_ZN7rocprim17ROCPRIM_400000_NS6detail17trampoline_kernelINS0_14default_configENS1_35radix_sort_onesweep_config_selectorIalEEZZNS1_29radix_sort_onesweep_iterationIS3_Lb0EPaS7_N6thrust23THRUST_200600_302600_NS10device_ptrIlEESB_jNS0_19identity_decomposerENS1_16block_id_wrapperIjLb0EEEEE10hipError_tT1_PNSt15iterator_traitsISG_E10value_typeET2_T3_PNSH_ISM_E10value_typeET4_T5_PSR_SS_PNS1_23onesweep_lookback_stateEbbT6_jjT7_P12ihipStream_tbENKUlT_T0_SG_SL_E_clIS7_S7_SB_PlEEDaSZ_S10_SG_SL_EUlSZ_E_NS1_11comp_targetILNS1_3genE6ELNS1_11target_archE950ELNS1_3gpuE13ELNS1_3repE0EEENS1_47radix_sort_onesweep_sort_config_static_selectorELNS0_4arch9wavefront6targetE1EEEvSG_ ; -- Begin function _ZN7rocprim17ROCPRIM_400000_NS6detail17trampoline_kernelINS0_14default_configENS1_35radix_sort_onesweep_config_selectorIalEEZZNS1_29radix_sort_onesweep_iterationIS3_Lb0EPaS7_N6thrust23THRUST_200600_302600_NS10device_ptrIlEESB_jNS0_19identity_decomposerENS1_16block_id_wrapperIjLb0EEEEE10hipError_tT1_PNSt15iterator_traitsISG_E10value_typeET2_T3_PNSH_ISM_E10value_typeET4_T5_PSR_SS_PNS1_23onesweep_lookback_stateEbbT6_jjT7_P12ihipStream_tbENKUlT_T0_SG_SL_E_clIS7_S7_SB_PlEEDaSZ_S10_SG_SL_EUlSZ_E_NS1_11comp_targetILNS1_3genE6ELNS1_11target_archE950ELNS1_3gpuE13ELNS1_3repE0EEENS1_47radix_sort_onesweep_sort_config_static_selectorELNS0_4arch9wavefront6targetE1EEEvSG_
	.globl	_ZN7rocprim17ROCPRIM_400000_NS6detail17trampoline_kernelINS0_14default_configENS1_35radix_sort_onesweep_config_selectorIalEEZZNS1_29radix_sort_onesweep_iterationIS3_Lb0EPaS7_N6thrust23THRUST_200600_302600_NS10device_ptrIlEESB_jNS0_19identity_decomposerENS1_16block_id_wrapperIjLb0EEEEE10hipError_tT1_PNSt15iterator_traitsISG_E10value_typeET2_T3_PNSH_ISM_E10value_typeET4_T5_PSR_SS_PNS1_23onesweep_lookback_stateEbbT6_jjT7_P12ihipStream_tbENKUlT_T0_SG_SL_E_clIS7_S7_SB_PlEEDaSZ_S10_SG_SL_EUlSZ_E_NS1_11comp_targetILNS1_3genE6ELNS1_11target_archE950ELNS1_3gpuE13ELNS1_3repE0EEENS1_47radix_sort_onesweep_sort_config_static_selectorELNS0_4arch9wavefront6targetE1EEEvSG_
	.p2align	8
	.type	_ZN7rocprim17ROCPRIM_400000_NS6detail17trampoline_kernelINS0_14default_configENS1_35radix_sort_onesweep_config_selectorIalEEZZNS1_29radix_sort_onesweep_iterationIS3_Lb0EPaS7_N6thrust23THRUST_200600_302600_NS10device_ptrIlEESB_jNS0_19identity_decomposerENS1_16block_id_wrapperIjLb0EEEEE10hipError_tT1_PNSt15iterator_traitsISG_E10value_typeET2_T3_PNSH_ISM_E10value_typeET4_T5_PSR_SS_PNS1_23onesweep_lookback_stateEbbT6_jjT7_P12ihipStream_tbENKUlT_T0_SG_SL_E_clIS7_S7_SB_PlEEDaSZ_S10_SG_SL_EUlSZ_E_NS1_11comp_targetILNS1_3genE6ELNS1_11target_archE950ELNS1_3gpuE13ELNS1_3repE0EEENS1_47radix_sort_onesweep_sort_config_static_selectorELNS0_4arch9wavefront6targetE1EEEvSG_,@function
_ZN7rocprim17ROCPRIM_400000_NS6detail17trampoline_kernelINS0_14default_configENS1_35radix_sort_onesweep_config_selectorIalEEZZNS1_29radix_sort_onesweep_iterationIS3_Lb0EPaS7_N6thrust23THRUST_200600_302600_NS10device_ptrIlEESB_jNS0_19identity_decomposerENS1_16block_id_wrapperIjLb0EEEEE10hipError_tT1_PNSt15iterator_traitsISG_E10value_typeET2_T3_PNSH_ISM_E10value_typeET4_T5_PSR_SS_PNS1_23onesweep_lookback_stateEbbT6_jjT7_P12ihipStream_tbENKUlT_T0_SG_SL_E_clIS7_S7_SB_PlEEDaSZ_S10_SG_SL_EUlSZ_E_NS1_11comp_targetILNS1_3genE6ELNS1_11target_archE950ELNS1_3gpuE13ELNS1_3repE0EEENS1_47radix_sort_onesweep_sort_config_static_selectorELNS0_4arch9wavefront6targetE1EEEvSG_: ; @_ZN7rocprim17ROCPRIM_400000_NS6detail17trampoline_kernelINS0_14default_configENS1_35radix_sort_onesweep_config_selectorIalEEZZNS1_29radix_sort_onesweep_iterationIS3_Lb0EPaS7_N6thrust23THRUST_200600_302600_NS10device_ptrIlEESB_jNS0_19identity_decomposerENS1_16block_id_wrapperIjLb0EEEEE10hipError_tT1_PNSt15iterator_traitsISG_E10value_typeET2_T3_PNSH_ISM_E10value_typeET4_T5_PSR_SS_PNS1_23onesweep_lookback_stateEbbT6_jjT7_P12ihipStream_tbENKUlT_T0_SG_SL_E_clIS7_S7_SB_PlEEDaSZ_S10_SG_SL_EUlSZ_E_NS1_11comp_targetILNS1_3genE6ELNS1_11target_archE950ELNS1_3gpuE13ELNS1_3repE0EEENS1_47radix_sort_onesweep_sort_config_static_selectorELNS0_4arch9wavefront6targetE1EEEvSG_
; %bb.0:
	.section	.rodata,"a",@progbits
	.p2align	6, 0x0
	.amdhsa_kernel _ZN7rocprim17ROCPRIM_400000_NS6detail17trampoline_kernelINS0_14default_configENS1_35radix_sort_onesweep_config_selectorIalEEZZNS1_29radix_sort_onesweep_iterationIS3_Lb0EPaS7_N6thrust23THRUST_200600_302600_NS10device_ptrIlEESB_jNS0_19identity_decomposerENS1_16block_id_wrapperIjLb0EEEEE10hipError_tT1_PNSt15iterator_traitsISG_E10value_typeET2_T3_PNSH_ISM_E10value_typeET4_T5_PSR_SS_PNS1_23onesweep_lookback_stateEbbT6_jjT7_P12ihipStream_tbENKUlT_T0_SG_SL_E_clIS7_S7_SB_PlEEDaSZ_S10_SG_SL_EUlSZ_E_NS1_11comp_targetILNS1_3genE6ELNS1_11target_archE950ELNS1_3gpuE13ELNS1_3repE0EEENS1_47radix_sort_onesweep_sort_config_static_selectorELNS0_4arch9wavefront6targetE1EEEvSG_
		.amdhsa_group_segment_fixed_size 0
		.amdhsa_private_segment_fixed_size 0
		.amdhsa_kernarg_size 88
		.amdhsa_user_sgpr_count 6
		.amdhsa_user_sgpr_private_segment_buffer 1
		.amdhsa_user_sgpr_dispatch_ptr 0
		.amdhsa_user_sgpr_queue_ptr 0
		.amdhsa_user_sgpr_kernarg_segment_ptr 1
		.amdhsa_user_sgpr_dispatch_id 0
		.amdhsa_user_sgpr_flat_scratch_init 0
		.amdhsa_user_sgpr_kernarg_preload_length 0
		.amdhsa_user_sgpr_kernarg_preload_offset 0
		.amdhsa_user_sgpr_private_segment_size 0
		.amdhsa_uses_dynamic_stack 0
		.amdhsa_system_sgpr_private_segment_wavefront_offset 0
		.amdhsa_system_sgpr_workgroup_id_x 1
		.amdhsa_system_sgpr_workgroup_id_y 0
		.amdhsa_system_sgpr_workgroup_id_z 0
		.amdhsa_system_sgpr_workgroup_info 0
		.amdhsa_system_vgpr_workitem_id 0
		.amdhsa_next_free_vgpr 1
		.amdhsa_next_free_sgpr 0
		.amdhsa_accum_offset 4
		.amdhsa_reserve_vcc 0
		.amdhsa_reserve_flat_scratch 0
		.amdhsa_float_round_mode_32 0
		.amdhsa_float_round_mode_16_64 0
		.amdhsa_float_denorm_mode_32 3
		.amdhsa_float_denorm_mode_16_64 3
		.amdhsa_dx10_clamp 1
		.amdhsa_ieee_mode 1
		.amdhsa_fp16_overflow 0
		.amdhsa_tg_split 0
		.amdhsa_exception_fp_ieee_invalid_op 0
		.amdhsa_exception_fp_denorm_src 0
		.amdhsa_exception_fp_ieee_div_zero 0
		.amdhsa_exception_fp_ieee_overflow 0
		.amdhsa_exception_fp_ieee_underflow 0
		.amdhsa_exception_fp_ieee_inexact 0
		.amdhsa_exception_int_div_zero 0
	.end_amdhsa_kernel
	.section	.text._ZN7rocprim17ROCPRIM_400000_NS6detail17trampoline_kernelINS0_14default_configENS1_35radix_sort_onesweep_config_selectorIalEEZZNS1_29radix_sort_onesweep_iterationIS3_Lb0EPaS7_N6thrust23THRUST_200600_302600_NS10device_ptrIlEESB_jNS0_19identity_decomposerENS1_16block_id_wrapperIjLb0EEEEE10hipError_tT1_PNSt15iterator_traitsISG_E10value_typeET2_T3_PNSH_ISM_E10value_typeET4_T5_PSR_SS_PNS1_23onesweep_lookback_stateEbbT6_jjT7_P12ihipStream_tbENKUlT_T0_SG_SL_E_clIS7_S7_SB_PlEEDaSZ_S10_SG_SL_EUlSZ_E_NS1_11comp_targetILNS1_3genE6ELNS1_11target_archE950ELNS1_3gpuE13ELNS1_3repE0EEENS1_47radix_sort_onesweep_sort_config_static_selectorELNS0_4arch9wavefront6targetE1EEEvSG_,"axG",@progbits,_ZN7rocprim17ROCPRIM_400000_NS6detail17trampoline_kernelINS0_14default_configENS1_35radix_sort_onesweep_config_selectorIalEEZZNS1_29radix_sort_onesweep_iterationIS3_Lb0EPaS7_N6thrust23THRUST_200600_302600_NS10device_ptrIlEESB_jNS0_19identity_decomposerENS1_16block_id_wrapperIjLb0EEEEE10hipError_tT1_PNSt15iterator_traitsISG_E10value_typeET2_T3_PNSH_ISM_E10value_typeET4_T5_PSR_SS_PNS1_23onesweep_lookback_stateEbbT6_jjT7_P12ihipStream_tbENKUlT_T0_SG_SL_E_clIS7_S7_SB_PlEEDaSZ_S10_SG_SL_EUlSZ_E_NS1_11comp_targetILNS1_3genE6ELNS1_11target_archE950ELNS1_3gpuE13ELNS1_3repE0EEENS1_47radix_sort_onesweep_sort_config_static_selectorELNS0_4arch9wavefront6targetE1EEEvSG_,comdat
.Lfunc_end637:
	.size	_ZN7rocprim17ROCPRIM_400000_NS6detail17trampoline_kernelINS0_14default_configENS1_35radix_sort_onesweep_config_selectorIalEEZZNS1_29radix_sort_onesweep_iterationIS3_Lb0EPaS7_N6thrust23THRUST_200600_302600_NS10device_ptrIlEESB_jNS0_19identity_decomposerENS1_16block_id_wrapperIjLb0EEEEE10hipError_tT1_PNSt15iterator_traitsISG_E10value_typeET2_T3_PNSH_ISM_E10value_typeET4_T5_PSR_SS_PNS1_23onesweep_lookback_stateEbbT6_jjT7_P12ihipStream_tbENKUlT_T0_SG_SL_E_clIS7_S7_SB_PlEEDaSZ_S10_SG_SL_EUlSZ_E_NS1_11comp_targetILNS1_3genE6ELNS1_11target_archE950ELNS1_3gpuE13ELNS1_3repE0EEENS1_47radix_sort_onesweep_sort_config_static_selectorELNS0_4arch9wavefront6targetE1EEEvSG_, .Lfunc_end637-_ZN7rocprim17ROCPRIM_400000_NS6detail17trampoline_kernelINS0_14default_configENS1_35radix_sort_onesweep_config_selectorIalEEZZNS1_29radix_sort_onesweep_iterationIS3_Lb0EPaS7_N6thrust23THRUST_200600_302600_NS10device_ptrIlEESB_jNS0_19identity_decomposerENS1_16block_id_wrapperIjLb0EEEEE10hipError_tT1_PNSt15iterator_traitsISG_E10value_typeET2_T3_PNSH_ISM_E10value_typeET4_T5_PSR_SS_PNS1_23onesweep_lookback_stateEbbT6_jjT7_P12ihipStream_tbENKUlT_T0_SG_SL_E_clIS7_S7_SB_PlEEDaSZ_S10_SG_SL_EUlSZ_E_NS1_11comp_targetILNS1_3genE6ELNS1_11target_archE950ELNS1_3gpuE13ELNS1_3repE0EEENS1_47radix_sort_onesweep_sort_config_static_selectorELNS0_4arch9wavefront6targetE1EEEvSG_
                                        ; -- End function
	.section	.AMDGPU.csdata,"",@progbits
; Kernel info:
; codeLenInByte = 0
; NumSgprs: 4
; NumVgprs: 0
; NumAgprs: 0
; TotalNumVgprs: 0
; ScratchSize: 0
; MemoryBound: 0
; FloatMode: 240
; IeeeMode: 1
; LDSByteSize: 0 bytes/workgroup (compile time only)
; SGPRBlocks: 0
; VGPRBlocks: 0
; NumSGPRsForWavesPerEU: 4
; NumVGPRsForWavesPerEU: 1
; AccumOffset: 4
; Occupancy: 8
; WaveLimiterHint : 0
; COMPUTE_PGM_RSRC2:SCRATCH_EN: 0
; COMPUTE_PGM_RSRC2:USER_SGPR: 6
; COMPUTE_PGM_RSRC2:TRAP_HANDLER: 0
; COMPUTE_PGM_RSRC2:TGID_X_EN: 1
; COMPUTE_PGM_RSRC2:TGID_Y_EN: 0
; COMPUTE_PGM_RSRC2:TGID_Z_EN: 0
; COMPUTE_PGM_RSRC2:TIDIG_COMP_CNT: 0
; COMPUTE_PGM_RSRC3_GFX90A:ACCUM_OFFSET: 0
; COMPUTE_PGM_RSRC3_GFX90A:TG_SPLIT: 0
	.section	.text._ZN7rocprim17ROCPRIM_400000_NS6detail17trampoline_kernelINS0_14default_configENS1_35radix_sort_onesweep_config_selectorIalEEZZNS1_29radix_sort_onesweep_iterationIS3_Lb0EPaS7_N6thrust23THRUST_200600_302600_NS10device_ptrIlEESB_jNS0_19identity_decomposerENS1_16block_id_wrapperIjLb0EEEEE10hipError_tT1_PNSt15iterator_traitsISG_E10value_typeET2_T3_PNSH_ISM_E10value_typeET4_T5_PSR_SS_PNS1_23onesweep_lookback_stateEbbT6_jjT7_P12ihipStream_tbENKUlT_T0_SG_SL_E_clIS7_S7_SB_PlEEDaSZ_S10_SG_SL_EUlSZ_E_NS1_11comp_targetILNS1_3genE5ELNS1_11target_archE942ELNS1_3gpuE9ELNS1_3repE0EEENS1_47radix_sort_onesweep_sort_config_static_selectorELNS0_4arch9wavefront6targetE1EEEvSG_,"axG",@progbits,_ZN7rocprim17ROCPRIM_400000_NS6detail17trampoline_kernelINS0_14default_configENS1_35radix_sort_onesweep_config_selectorIalEEZZNS1_29radix_sort_onesweep_iterationIS3_Lb0EPaS7_N6thrust23THRUST_200600_302600_NS10device_ptrIlEESB_jNS0_19identity_decomposerENS1_16block_id_wrapperIjLb0EEEEE10hipError_tT1_PNSt15iterator_traitsISG_E10value_typeET2_T3_PNSH_ISM_E10value_typeET4_T5_PSR_SS_PNS1_23onesweep_lookback_stateEbbT6_jjT7_P12ihipStream_tbENKUlT_T0_SG_SL_E_clIS7_S7_SB_PlEEDaSZ_S10_SG_SL_EUlSZ_E_NS1_11comp_targetILNS1_3genE5ELNS1_11target_archE942ELNS1_3gpuE9ELNS1_3repE0EEENS1_47radix_sort_onesweep_sort_config_static_selectorELNS0_4arch9wavefront6targetE1EEEvSG_,comdat
	.protected	_ZN7rocprim17ROCPRIM_400000_NS6detail17trampoline_kernelINS0_14default_configENS1_35radix_sort_onesweep_config_selectorIalEEZZNS1_29radix_sort_onesweep_iterationIS3_Lb0EPaS7_N6thrust23THRUST_200600_302600_NS10device_ptrIlEESB_jNS0_19identity_decomposerENS1_16block_id_wrapperIjLb0EEEEE10hipError_tT1_PNSt15iterator_traitsISG_E10value_typeET2_T3_PNSH_ISM_E10value_typeET4_T5_PSR_SS_PNS1_23onesweep_lookback_stateEbbT6_jjT7_P12ihipStream_tbENKUlT_T0_SG_SL_E_clIS7_S7_SB_PlEEDaSZ_S10_SG_SL_EUlSZ_E_NS1_11comp_targetILNS1_3genE5ELNS1_11target_archE942ELNS1_3gpuE9ELNS1_3repE0EEENS1_47radix_sort_onesweep_sort_config_static_selectorELNS0_4arch9wavefront6targetE1EEEvSG_ ; -- Begin function _ZN7rocprim17ROCPRIM_400000_NS6detail17trampoline_kernelINS0_14default_configENS1_35radix_sort_onesweep_config_selectorIalEEZZNS1_29radix_sort_onesweep_iterationIS3_Lb0EPaS7_N6thrust23THRUST_200600_302600_NS10device_ptrIlEESB_jNS0_19identity_decomposerENS1_16block_id_wrapperIjLb0EEEEE10hipError_tT1_PNSt15iterator_traitsISG_E10value_typeET2_T3_PNSH_ISM_E10value_typeET4_T5_PSR_SS_PNS1_23onesweep_lookback_stateEbbT6_jjT7_P12ihipStream_tbENKUlT_T0_SG_SL_E_clIS7_S7_SB_PlEEDaSZ_S10_SG_SL_EUlSZ_E_NS1_11comp_targetILNS1_3genE5ELNS1_11target_archE942ELNS1_3gpuE9ELNS1_3repE0EEENS1_47radix_sort_onesweep_sort_config_static_selectorELNS0_4arch9wavefront6targetE1EEEvSG_
	.globl	_ZN7rocprim17ROCPRIM_400000_NS6detail17trampoline_kernelINS0_14default_configENS1_35radix_sort_onesweep_config_selectorIalEEZZNS1_29radix_sort_onesweep_iterationIS3_Lb0EPaS7_N6thrust23THRUST_200600_302600_NS10device_ptrIlEESB_jNS0_19identity_decomposerENS1_16block_id_wrapperIjLb0EEEEE10hipError_tT1_PNSt15iterator_traitsISG_E10value_typeET2_T3_PNSH_ISM_E10value_typeET4_T5_PSR_SS_PNS1_23onesweep_lookback_stateEbbT6_jjT7_P12ihipStream_tbENKUlT_T0_SG_SL_E_clIS7_S7_SB_PlEEDaSZ_S10_SG_SL_EUlSZ_E_NS1_11comp_targetILNS1_3genE5ELNS1_11target_archE942ELNS1_3gpuE9ELNS1_3repE0EEENS1_47radix_sort_onesweep_sort_config_static_selectorELNS0_4arch9wavefront6targetE1EEEvSG_
	.p2align	8
	.type	_ZN7rocprim17ROCPRIM_400000_NS6detail17trampoline_kernelINS0_14default_configENS1_35radix_sort_onesweep_config_selectorIalEEZZNS1_29radix_sort_onesweep_iterationIS3_Lb0EPaS7_N6thrust23THRUST_200600_302600_NS10device_ptrIlEESB_jNS0_19identity_decomposerENS1_16block_id_wrapperIjLb0EEEEE10hipError_tT1_PNSt15iterator_traitsISG_E10value_typeET2_T3_PNSH_ISM_E10value_typeET4_T5_PSR_SS_PNS1_23onesweep_lookback_stateEbbT6_jjT7_P12ihipStream_tbENKUlT_T0_SG_SL_E_clIS7_S7_SB_PlEEDaSZ_S10_SG_SL_EUlSZ_E_NS1_11comp_targetILNS1_3genE5ELNS1_11target_archE942ELNS1_3gpuE9ELNS1_3repE0EEENS1_47radix_sort_onesweep_sort_config_static_selectorELNS0_4arch9wavefront6targetE1EEEvSG_,@function
_ZN7rocprim17ROCPRIM_400000_NS6detail17trampoline_kernelINS0_14default_configENS1_35radix_sort_onesweep_config_selectorIalEEZZNS1_29radix_sort_onesweep_iterationIS3_Lb0EPaS7_N6thrust23THRUST_200600_302600_NS10device_ptrIlEESB_jNS0_19identity_decomposerENS1_16block_id_wrapperIjLb0EEEEE10hipError_tT1_PNSt15iterator_traitsISG_E10value_typeET2_T3_PNSH_ISM_E10value_typeET4_T5_PSR_SS_PNS1_23onesweep_lookback_stateEbbT6_jjT7_P12ihipStream_tbENKUlT_T0_SG_SL_E_clIS7_S7_SB_PlEEDaSZ_S10_SG_SL_EUlSZ_E_NS1_11comp_targetILNS1_3genE5ELNS1_11target_archE942ELNS1_3gpuE9ELNS1_3repE0EEENS1_47radix_sort_onesweep_sort_config_static_selectorELNS0_4arch9wavefront6targetE1EEEvSG_: ; @_ZN7rocprim17ROCPRIM_400000_NS6detail17trampoline_kernelINS0_14default_configENS1_35radix_sort_onesweep_config_selectorIalEEZZNS1_29radix_sort_onesweep_iterationIS3_Lb0EPaS7_N6thrust23THRUST_200600_302600_NS10device_ptrIlEESB_jNS0_19identity_decomposerENS1_16block_id_wrapperIjLb0EEEEE10hipError_tT1_PNSt15iterator_traitsISG_E10value_typeET2_T3_PNSH_ISM_E10value_typeET4_T5_PSR_SS_PNS1_23onesweep_lookback_stateEbbT6_jjT7_P12ihipStream_tbENKUlT_T0_SG_SL_E_clIS7_S7_SB_PlEEDaSZ_S10_SG_SL_EUlSZ_E_NS1_11comp_targetILNS1_3genE5ELNS1_11target_archE942ELNS1_3gpuE9ELNS1_3repE0EEENS1_47radix_sort_onesweep_sort_config_static_selectorELNS0_4arch9wavefront6targetE1EEEvSG_
; %bb.0:
	.section	.rodata,"a",@progbits
	.p2align	6, 0x0
	.amdhsa_kernel _ZN7rocprim17ROCPRIM_400000_NS6detail17trampoline_kernelINS0_14default_configENS1_35radix_sort_onesweep_config_selectorIalEEZZNS1_29radix_sort_onesweep_iterationIS3_Lb0EPaS7_N6thrust23THRUST_200600_302600_NS10device_ptrIlEESB_jNS0_19identity_decomposerENS1_16block_id_wrapperIjLb0EEEEE10hipError_tT1_PNSt15iterator_traitsISG_E10value_typeET2_T3_PNSH_ISM_E10value_typeET4_T5_PSR_SS_PNS1_23onesweep_lookback_stateEbbT6_jjT7_P12ihipStream_tbENKUlT_T0_SG_SL_E_clIS7_S7_SB_PlEEDaSZ_S10_SG_SL_EUlSZ_E_NS1_11comp_targetILNS1_3genE5ELNS1_11target_archE942ELNS1_3gpuE9ELNS1_3repE0EEENS1_47radix_sort_onesweep_sort_config_static_selectorELNS0_4arch9wavefront6targetE1EEEvSG_
		.amdhsa_group_segment_fixed_size 0
		.amdhsa_private_segment_fixed_size 0
		.amdhsa_kernarg_size 88
		.amdhsa_user_sgpr_count 6
		.amdhsa_user_sgpr_private_segment_buffer 1
		.amdhsa_user_sgpr_dispatch_ptr 0
		.amdhsa_user_sgpr_queue_ptr 0
		.amdhsa_user_sgpr_kernarg_segment_ptr 1
		.amdhsa_user_sgpr_dispatch_id 0
		.amdhsa_user_sgpr_flat_scratch_init 0
		.amdhsa_user_sgpr_kernarg_preload_length 0
		.amdhsa_user_sgpr_kernarg_preload_offset 0
		.amdhsa_user_sgpr_private_segment_size 0
		.amdhsa_uses_dynamic_stack 0
		.amdhsa_system_sgpr_private_segment_wavefront_offset 0
		.amdhsa_system_sgpr_workgroup_id_x 1
		.amdhsa_system_sgpr_workgroup_id_y 0
		.amdhsa_system_sgpr_workgroup_id_z 0
		.amdhsa_system_sgpr_workgroup_info 0
		.amdhsa_system_vgpr_workitem_id 0
		.amdhsa_next_free_vgpr 1
		.amdhsa_next_free_sgpr 0
		.amdhsa_accum_offset 4
		.amdhsa_reserve_vcc 0
		.amdhsa_reserve_flat_scratch 0
		.amdhsa_float_round_mode_32 0
		.amdhsa_float_round_mode_16_64 0
		.amdhsa_float_denorm_mode_32 3
		.amdhsa_float_denorm_mode_16_64 3
		.amdhsa_dx10_clamp 1
		.amdhsa_ieee_mode 1
		.amdhsa_fp16_overflow 0
		.amdhsa_tg_split 0
		.amdhsa_exception_fp_ieee_invalid_op 0
		.amdhsa_exception_fp_denorm_src 0
		.amdhsa_exception_fp_ieee_div_zero 0
		.amdhsa_exception_fp_ieee_overflow 0
		.amdhsa_exception_fp_ieee_underflow 0
		.amdhsa_exception_fp_ieee_inexact 0
		.amdhsa_exception_int_div_zero 0
	.end_amdhsa_kernel
	.section	.text._ZN7rocprim17ROCPRIM_400000_NS6detail17trampoline_kernelINS0_14default_configENS1_35radix_sort_onesweep_config_selectorIalEEZZNS1_29radix_sort_onesweep_iterationIS3_Lb0EPaS7_N6thrust23THRUST_200600_302600_NS10device_ptrIlEESB_jNS0_19identity_decomposerENS1_16block_id_wrapperIjLb0EEEEE10hipError_tT1_PNSt15iterator_traitsISG_E10value_typeET2_T3_PNSH_ISM_E10value_typeET4_T5_PSR_SS_PNS1_23onesweep_lookback_stateEbbT6_jjT7_P12ihipStream_tbENKUlT_T0_SG_SL_E_clIS7_S7_SB_PlEEDaSZ_S10_SG_SL_EUlSZ_E_NS1_11comp_targetILNS1_3genE5ELNS1_11target_archE942ELNS1_3gpuE9ELNS1_3repE0EEENS1_47radix_sort_onesweep_sort_config_static_selectorELNS0_4arch9wavefront6targetE1EEEvSG_,"axG",@progbits,_ZN7rocprim17ROCPRIM_400000_NS6detail17trampoline_kernelINS0_14default_configENS1_35radix_sort_onesweep_config_selectorIalEEZZNS1_29radix_sort_onesweep_iterationIS3_Lb0EPaS7_N6thrust23THRUST_200600_302600_NS10device_ptrIlEESB_jNS0_19identity_decomposerENS1_16block_id_wrapperIjLb0EEEEE10hipError_tT1_PNSt15iterator_traitsISG_E10value_typeET2_T3_PNSH_ISM_E10value_typeET4_T5_PSR_SS_PNS1_23onesweep_lookback_stateEbbT6_jjT7_P12ihipStream_tbENKUlT_T0_SG_SL_E_clIS7_S7_SB_PlEEDaSZ_S10_SG_SL_EUlSZ_E_NS1_11comp_targetILNS1_3genE5ELNS1_11target_archE942ELNS1_3gpuE9ELNS1_3repE0EEENS1_47radix_sort_onesweep_sort_config_static_selectorELNS0_4arch9wavefront6targetE1EEEvSG_,comdat
.Lfunc_end638:
	.size	_ZN7rocprim17ROCPRIM_400000_NS6detail17trampoline_kernelINS0_14default_configENS1_35radix_sort_onesweep_config_selectorIalEEZZNS1_29radix_sort_onesweep_iterationIS3_Lb0EPaS7_N6thrust23THRUST_200600_302600_NS10device_ptrIlEESB_jNS0_19identity_decomposerENS1_16block_id_wrapperIjLb0EEEEE10hipError_tT1_PNSt15iterator_traitsISG_E10value_typeET2_T3_PNSH_ISM_E10value_typeET4_T5_PSR_SS_PNS1_23onesweep_lookback_stateEbbT6_jjT7_P12ihipStream_tbENKUlT_T0_SG_SL_E_clIS7_S7_SB_PlEEDaSZ_S10_SG_SL_EUlSZ_E_NS1_11comp_targetILNS1_3genE5ELNS1_11target_archE942ELNS1_3gpuE9ELNS1_3repE0EEENS1_47radix_sort_onesweep_sort_config_static_selectorELNS0_4arch9wavefront6targetE1EEEvSG_, .Lfunc_end638-_ZN7rocprim17ROCPRIM_400000_NS6detail17trampoline_kernelINS0_14default_configENS1_35radix_sort_onesweep_config_selectorIalEEZZNS1_29radix_sort_onesweep_iterationIS3_Lb0EPaS7_N6thrust23THRUST_200600_302600_NS10device_ptrIlEESB_jNS0_19identity_decomposerENS1_16block_id_wrapperIjLb0EEEEE10hipError_tT1_PNSt15iterator_traitsISG_E10value_typeET2_T3_PNSH_ISM_E10value_typeET4_T5_PSR_SS_PNS1_23onesweep_lookback_stateEbbT6_jjT7_P12ihipStream_tbENKUlT_T0_SG_SL_E_clIS7_S7_SB_PlEEDaSZ_S10_SG_SL_EUlSZ_E_NS1_11comp_targetILNS1_3genE5ELNS1_11target_archE942ELNS1_3gpuE9ELNS1_3repE0EEENS1_47radix_sort_onesweep_sort_config_static_selectorELNS0_4arch9wavefront6targetE1EEEvSG_
                                        ; -- End function
	.section	.AMDGPU.csdata,"",@progbits
; Kernel info:
; codeLenInByte = 0
; NumSgprs: 4
; NumVgprs: 0
; NumAgprs: 0
; TotalNumVgprs: 0
; ScratchSize: 0
; MemoryBound: 0
; FloatMode: 240
; IeeeMode: 1
; LDSByteSize: 0 bytes/workgroup (compile time only)
; SGPRBlocks: 0
; VGPRBlocks: 0
; NumSGPRsForWavesPerEU: 4
; NumVGPRsForWavesPerEU: 1
; AccumOffset: 4
; Occupancy: 8
; WaveLimiterHint : 0
; COMPUTE_PGM_RSRC2:SCRATCH_EN: 0
; COMPUTE_PGM_RSRC2:USER_SGPR: 6
; COMPUTE_PGM_RSRC2:TRAP_HANDLER: 0
; COMPUTE_PGM_RSRC2:TGID_X_EN: 1
; COMPUTE_PGM_RSRC2:TGID_Y_EN: 0
; COMPUTE_PGM_RSRC2:TGID_Z_EN: 0
; COMPUTE_PGM_RSRC2:TIDIG_COMP_CNT: 0
; COMPUTE_PGM_RSRC3_GFX90A:ACCUM_OFFSET: 0
; COMPUTE_PGM_RSRC3_GFX90A:TG_SPLIT: 0
	.section	.text._ZN7rocprim17ROCPRIM_400000_NS6detail17trampoline_kernelINS0_14default_configENS1_35radix_sort_onesweep_config_selectorIalEEZZNS1_29radix_sort_onesweep_iterationIS3_Lb0EPaS7_N6thrust23THRUST_200600_302600_NS10device_ptrIlEESB_jNS0_19identity_decomposerENS1_16block_id_wrapperIjLb0EEEEE10hipError_tT1_PNSt15iterator_traitsISG_E10value_typeET2_T3_PNSH_ISM_E10value_typeET4_T5_PSR_SS_PNS1_23onesweep_lookback_stateEbbT6_jjT7_P12ihipStream_tbENKUlT_T0_SG_SL_E_clIS7_S7_SB_PlEEDaSZ_S10_SG_SL_EUlSZ_E_NS1_11comp_targetILNS1_3genE2ELNS1_11target_archE906ELNS1_3gpuE6ELNS1_3repE0EEENS1_47radix_sort_onesweep_sort_config_static_selectorELNS0_4arch9wavefront6targetE1EEEvSG_,"axG",@progbits,_ZN7rocprim17ROCPRIM_400000_NS6detail17trampoline_kernelINS0_14default_configENS1_35radix_sort_onesweep_config_selectorIalEEZZNS1_29radix_sort_onesweep_iterationIS3_Lb0EPaS7_N6thrust23THRUST_200600_302600_NS10device_ptrIlEESB_jNS0_19identity_decomposerENS1_16block_id_wrapperIjLb0EEEEE10hipError_tT1_PNSt15iterator_traitsISG_E10value_typeET2_T3_PNSH_ISM_E10value_typeET4_T5_PSR_SS_PNS1_23onesweep_lookback_stateEbbT6_jjT7_P12ihipStream_tbENKUlT_T0_SG_SL_E_clIS7_S7_SB_PlEEDaSZ_S10_SG_SL_EUlSZ_E_NS1_11comp_targetILNS1_3genE2ELNS1_11target_archE906ELNS1_3gpuE6ELNS1_3repE0EEENS1_47radix_sort_onesweep_sort_config_static_selectorELNS0_4arch9wavefront6targetE1EEEvSG_,comdat
	.protected	_ZN7rocprim17ROCPRIM_400000_NS6detail17trampoline_kernelINS0_14default_configENS1_35radix_sort_onesweep_config_selectorIalEEZZNS1_29radix_sort_onesweep_iterationIS3_Lb0EPaS7_N6thrust23THRUST_200600_302600_NS10device_ptrIlEESB_jNS0_19identity_decomposerENS1_16block_id_wrapperIjLb0EEEEE10hipError_tT1_PNSt15iterator_traitsISG_E10value_typeET2_T3_PNSH_ISM_E10value_typeET4_T5_PSR_SS_PNS1_23onesweep_lookback_stateEbbT6_jjT7_P12ihipStream_tbENKUlT_T0_SG_SL_E_clIS7_S7_SB_PlEEDaSZ_S10_SG_SL_EUlSZ_E_NS1_11comp_targetILNS1_3genE2ELNS1_11target_archE906ELNS1_3gpuE6ELNS1_3repE0EEENS1_47radix_sort_onesweep_sort_config_static_selectorELNS0_4arch9wavefront6targetE1EEEvSG_ ; -- Begin function _ZN7rocprim17ROCPRIM_400000_NS6detail17trampoline_kernelINS0_14default_configENS1_35radix_sort_onesweep_config_selectorIalEEZZNS1_29radix_sort_onesweep_iterationIS3_Lb0EPaS7_N6thrust23THRUST_200600_302600_NS10device_ptrIlEESB_jNS0_19identity_decomposerENS1_16block_id_wrapperIjLb0EEEEE10hipError_tT1_PNSt15iterator_traitsISG_E10value_typeET2_T3_PNSH_ISM_E10value_typeET4_T5_PSR_SS_PNS1_23onesweep_lookback_stateEbbT6_jjT7_P12ihipStream_tbENKUlT_T0_SG_SL_E_clIS7_S7_SB_PlEEDaSZ_S10_SG_SL_EUlSZ_E_NS1_11comp_targetILNS1_3genE2ELNS1_11target_archE906ELNS1_3gpuE6ELNS1_3repE0EEENS1_47radix_sort_onesweep_sort_config_static_selectorELNS0_4arch9wavefront6targetE1EEEvSG_
	.globl	_ZN7rocprim17ROCPRIM_400000_NS6detail17trampoline_kernelINS0_14default_configENS1_35radix_sort_onesweep_config_selectorIalEEZZNS1_29radix_sort_onesweep_iterationIS3_Lb0EPaS7_N6thrust23THRUST_200600_302600_NS10device_ptrIlEESB_jNS0_19identity_decomposerENS1_16block_id_wrapperIjLb0EEEEE10hipError_tT1_PNSt15iterator_traitsISG_E10value_typeET2_T3_PNSH_ISM_E10value_typeET4_T5_PSR_SS_PNS1_23onesweep_lookback_stateEbbT6_jjT7_P12ihipStream_tbENKUlT_T0_SG_SL_E_clIS7_S7_SB_PlEEDaSZ_S10_SG_SL_EUlSZ_E_NS1_11comp_targetILNS1_3genE2ELNS1_11target_archE906ELNS1_3gpuE6ELNS1_3repE0EEENS1_47radix_sort_onesweep_sort_config_static_selectorELNS0_4arch9wavefront6targetE1EEEvSG_
	.p2align	8
	.type	_ZN7rocprim17ROCPRIM_400000_NS6detail17trampoline_kernelINS0_14default_configENS1_35radix_sort_onesweep_config_selectorIalEEZZNS1_29radix_sort_onesweep_iterationIS3_Lb0EPaS7_N6thrust23THRUST_200600_302600_NS10device_ptrIlEESB_jNS0_19identity_decomposerENS1_16block_id_wrapperIjLb0EEEEE10hipError_tT1_PNSt15iterator_traitsISG_E10value_typeET2_T3_PNSH_ISM_E10value_typeET4_T5_PSR_SS_PNS1_23onesweep_lookback_stateEbbT6_jjT7_P12ihipStream_tbENKUlT_T0_SG_SL_E_clIS7_S7_SB_PlEEDaSZ_S10_SG_SL_EUlSZ_E_NS1_11comp_targetILNS1_3genE2ELNS1_11target_archE906ELNS1_3gpuE6ELNS1_3repE0EEENS1_47radix_sort_onesweep_sort_config_static_selectorELNS0_4arch9wavefront6targetE1EEEvSG_,@function
_ZN7rocprim17ROCPRIM_400000_NS6detail17trampoline_kernelINS0_14default_configENS1_35radix_sort_onesweep_config_selectorIalEEZZNS1_29radix_sort_onesweep_iterationIS3_Lb0EPaS7_N6thrust23THRUST_200600_302600_NS10device_ptrIlEESB_jNS0_19identity_decomposerENS1_16block_id_wrapperIjLb0EEEEE10hipError_tT1_PNSt15iterator_traitsISG_E10value_typeET2_T3_PNSH_ISM_E10value_typeET4_T5_PSR_SS_PNS1_23onesweep_lookback_stateEbbT6_jjT7_P12ihipStream_tbENKUlT_T0_SG_SL_E_clIS7_S7_SB_PlEEDaSZ_S10_SG_SL_EUlSZ_E_NS1_11comp_targetILNS1_3genE2ELNS1_11target_archE906ELNS1_3gpuE6ELNS1_3repE0EEENS1_47radix_sort_onesweep_sort_config_static_selectorELNS0_4arch9wavefront6targetE1EEEvSG_: ; @_ZN7rocprim17ROCPRIM_400000_NS6detail17trampoline_kernelINS0_14default_configENS1_35radix_sort_onesweep_config_selectorIalEEZZNS1_29radix_sort_onesweep_iterationIS3_Lb0EPaS7_N6thrust23THRUST_200600_302600_NS10device_ptrIlEESB_jNS0_19identity_decomposerENS1_16block_id_wrapperIjLb0EEEEE10hipError_tT1_PNSt15iterator_traitsISG_E10value_typeET2_T3_PNSH_ISM_E10value_typeET4_T5_PSR_SS_PNS1_23onesweep_lookback_stateEbbT6_jjT7_P12ihipStream_tbENKUlT_T0_SG_SL_E_clIS7_S7_SB_PlEEDaSZ_S10_SG_SL_EUlSZ_E_NS1_11comp_targetILNS1_3genE2ELNS1_11target_archE906ELNS1_3gpuE6ELNS1_3repE0EEENS1_47radix_sort_onesweep_sort_config_static_selectorELNS0_4arch9wavefront6targetE1EEEvSG_
; %bb.0:
	.section	.rodata,"a",@progbits
	.p2align	6, 0x0
	.amdhsa_kernel _ZN7rocprim17ROCPRIM_400000_NS6detail17trampoline_kernelINS0_14default_configENS1_35radix_sort_onesweep_config_selectorIalEEZZNS1_29radix_sort_onesweep_iterationIS3_Lb0EPaS7_N6thrust23THRUST_200600_302600_NS10device_ptrIlEESB_jNS0_19identity_decomposerENS1_16block_id_wrapperIjLb0EEEEE10hipError_tT1_PNSt15iterator_traitsISG_E10value_typeET2_T3_PNSH_ISM_E10value_typeET4_T5_PSR_SS_PNS1_23onesweep_lookback_stateEbbT6_jjT7_P12ihipStream_tbENKUlT_T0_SG_SL_E_clIS7_S7_SB_PlEEDaSZ_S10_SG_SL_EUlSZ_E_NS1_11comp_targetILNS1_3genE2ELNS1_11target_archE906ELNS1_3gpuE6ELNS1_3repE0EEENS1_47radix_sort_onesweep_sort_config_static_selectorELNS0_4arch9wavefront6targetE1EEEvSG_
		.amdhsa_group_segment_fixed_size 0
		.amdhsa_private_segment_fixed_size 0
		.amdhsa_kernarg_size 88
		.amdhsa_user_sgpr_count 6
		.amdhsa_user_sgpr_private_segment_buffer 1
		.amdhsa_user_sgpr_dispatch_ptr 0
		.amdhsa_user_sgpr_queue_ptr 0
		.amdhsa_user_sgpr_kernarg_segment_ptr 1
		.amdhsa_user_sgpr_dispatch_id 0
		.amdhsa_user_sgpr_flat_scratch_init 0
		.amdhsa_user_sgpr_kernarg_preload_length 0
		.amdhsa_user_sgpr_kernarg_preload_offset 0
		.amdhsa_user_sgpr_private_segment_size 0
		.amdhsa_uses_dynamic_stack 0
		.amdhsa_system_sgpr_private_segment_wavefront_offset 0
		.amdhsa_system_sgpr_workgroup_id_x 1
		.amdhsa_system_sgpr_workgroup_id_y 0
		.amdhsa_system_sgpr_workgroup_id_z 0
		.amdhsa_system_sgpr_workgroup_info 0
		.amdhsa_system_vgpr_workitem_id 0
		.amdhsa_next_free_vgpr 1
		.amdhsa_next_free_sgpr 0
		.amdhsa_accum_offset 4
		.amdhsa_reserve_vcc 0
		.amdhsa_reserve_flat_scratch 0
		.amdhsa_float_round_mode_32 0
		.amdhsa_float_round_mode_16_64 0
		.amdhsa_float_denorm_mode_32 3
		.amdhsa_float_denorm_mode_16_64 3
		.amdhsa_dx10_clamp 1
		.amdhsa_ieee_mode 1
		.amdhsa_fp16_overflow 0
		.amdhsa_tg_split 0
		.amdhsa_exception_fp_ieee_invalid_op 0
		.amdhsa_exception_fp_denorm_src 0
		.amdhsa_exception_fp_ieee_div_zero 0
		.amdhsa_exception_fp_ieee_overflow 0
		.amdhsa_exception_fp_ieee_underflow 0
		.amdhsa_exception_fp_ieee_inexact 0
		.amdhsa_exception_int_div_zero 0
	.end_amdhsa_kernel
	.section	.text._ZN7rocprim17ROCPRIM_400000_NS6detail17trampoline_kernelINS0_14default_configENS1_35radix_sort_onesweep_config_selectorIalEEZZNS1_29radix_sort_onesweep_iterationIS3_Lb0EPaS7_N6thrust23THRUST_200600_302600_NS10device_ptrIlEESB_jNS0_19identity_decomposerENS1_16block_id_wrapperIjLb0EEEEE10hipError_tT1_PNSt15iterator_traitsISG_E10value_typeET2_T3_PNSH_ISM_E10value_typeET4_T5_PSR_SS_PNS1_23onesweep_lookback_stateEbbT6_jjT7_P12ihipStream_tbENKUlT_T0_SG_SL_E_clIS7_S7_SB_PlEEDaSZ_S10_SG_SL_EUlSZ_E_NS1_11comp_targetILNS1_3genE2ELNS1_11target_archE906ELNS1_3gpuE6ELNS1_3repE0EEENS1_47radix_sort_onesweep_sort_config_static_selectorELNS0_4arch9wavefront6targetE1EEEvSG_,"axG",@progbits,_ZN7rocprim17ROCPRIM_400000_NS6detail17trampoline_kernelINS0_14default_configENS1_35radix_sort_onesweep_config_selectorIalEEZZNS1_29radix_sort_onesweep_iterationIS3_Lb0EPaS7_N6thrust23THRUST_200600_302600_NS10device_ptrIlEESB_jNS0_19identity_decomposerENS1_16block_id_wrapperIjLb0EEEEE10hipError_tT1_PNSt15iterator_traitsISG_E10value_typeET2_T3_PNSH_ISM_E10value_typeET4_T5_PSR_SS_PNS1_23onesweep_lookback_stateEbbT6_jjT7_P12ihipStream_tbENKUlT_T0_SG_SL_E_clIS7_S7_SB_PlEEDaSZ_S10_SG_SL_EUlSZ_E_NS1_11comp_targetILNS1_3genE2ELNS1_11target_archE906ELNS1_3gpuE6ELNS1_3repE0EEENS1_47radix_sort_onesweep_sort_config_static_selectorELNS0_4arch9wavefront6targetE1EEEvSG_,comdat
.Lfunc_end639:
	.size	_ZN7rocprim17ROCPRIM_400000_NS6detail17trampoline_kernelINS0_14default_configENS1_35radix_sort_onesweep_config_selectorIalEEZZNS1_29radix_sort_onesweep_iterationIS3_Lb0EPaS7_N6thrust23THRUST_200600_302600_NS10device_ptrIlEESB_jNS0_19identity_decomposerENS1_16block_id_wrapperIjLb0EEEEE10hipError_tT1_PNSt15iterator_traitsISG_E10value_typeET2_T3_PNSH_ISM_E10value_typeET4_T5_PSR_SS_PNS1_23onesweep_lookback_stateEbbT6_jjT7_P12ihipStream_tbENKUlT_T0_SG_SL_E_clIS7_S7_SB_PlEEDaSZ_S10_SG_SL_EUlSZ_E_NS1_11comp_targetILNS1_3genE2ELNS1_11target_archE906ELNS1_3gpuE6ELNS1_3repE0EEENS1_47radix_sort_onesweep_sort_config_static_selectorELNS0_4arch9wavefront6targetE1EEEvSG_, .Lfunc_end639-_ZN7rocprim17ROCPRIM_400000_NS6detail17trampoline_kernelINS0_14default_configENS1_35radix_sort_onesweep_config_selectorIalEEZZNS1_29radix_sort_onesweep_iterationIS3_Lb0EPaS7_N6thrust23THRUST_200600_302600_NS10device_ptrIlEESB_jNS0_19identity_decomposerENS1_16block_id_wrapperIjLb0EEEEE10hipError_tT1_PNSt15iterator_traitsISG_E10value_typeET2_T3_PNSH_ISM_E10value_typeET4_T5_PSR_SS_PNS1_23onesweep_lookback_stateEbbT6_jjT7_P12ihipStream_tbENKUlT_T0_SG_SL_E_clIS7_S7_SB_PlEEDaSZ_S10_SG_SL_EUlSZ_E_NS1_11comp_targetILNS1_3genE2ELNS1_11target_archE906ELNS1_3gpuE6ELNS1_3repE0EEENS1_47radix_sort_onesweep_sort_config_static_selectorELNS0_4arch9wavefront6targetE1EEEvSG_
                                        ; -- End function
	.section	.AMDGPU.csdata,"",@progbits
; Kernel info:
; codeLenInByte = 0
; NumSgprs: 4
; NumVgprs: 0
; NumAgprs: 0
; TotalNumVgprs: 0
; ScratchSize: 0
; MemoryBound: 0
; FloatMode: 240
; IeeeMode: 1
; LDSByteSize: 0 bytes/workgroup (compile time only)
; SGPRBlocks: 0
; VGPRBlocks: 0
; NumSGPRsForWavesPerEU: 4
; NumVGPRsForWavesPerEU: 1
; AccumOffset: 4
; Occupancy: 8
; WaveLimiterHint : 0
; COMPUTE_PGM_RSRC2:SCRATCH_EN: 0
; COMPUTE_PGM_RSRC2:USER_SGPR: 6
; COMPUTE_PGM_RSRC2:TRAP_HANDLER: 0
; COMPUTE_PGM_RSRC2:TGID_X_EN: 1
; COMPUTE_PGM_RSRC2:TGID_Y_EN: 0
; COMPUTE_PGM_RSRC2:TGID_Z_EN: 0
; COMPUTE_PGM_RSRC2:TIDIG_COMP_CNT: 0
; COMPUTE_PGM_RSRC3_GFX90A:ACCUM_OFFSET: 0
; COMPUTE_PGM_RSRC3_GFX90A:TG_SPLIT: 0
	.section	.text._ZN7rocprim17ROCPRIM_400000_NS6detail17trampoline_kernelINS0_14default_configENS1_35radix_sort_onesweep_config_selectorIalEEZZNS1_29radix_sort_onesweep_iterationIS3_Lb0EPaS7_N6thrust23THRUST_200600_302600_NS10device_ptrIlEESB_jNS0_19identity_decomposerENS1_16block_id_wrapperIjLb0EEEEE10hipError_tT1_PNSt15iterator_traitsISG_E10value_typeET2_T3_PNSH_ISM_E10value_typeET4_T5_PSR_SS_PNS1_23onesweep_lookback_stateEbbT6_jjT7_P12ihipStream_tbENKUlT_T0_SG_SL_E_clIS7_S7_SB_PlEEDaSZ_S10_SG_SL_EUlSZ_E_NS1_11comp_targetILNS1_3genE4ELNS1_11target_archE910ELNS1_3gpuE8ELNS1_3repE0EEENS1_47radix_sort_onesweep_sort_config_static_selectorELNS0_4arch9wavefront6targetE1EEEvSG_,"axG",@progbits,_ZN7rocprim17ROCPRIM_400000_NS6detail17trampoline_kernelINS0_14default_configENS1_35radix_sort_onesweep_config_selectorIalEEZZNS1_29radix_sort_onesweep_iterationIS3_Lb0EPaS7_N6thrust23THRUST_200600_302600_NS10device_ptrIlEESB_jNS0_19identity_decomposerENS1_16block_id_wrapperIjLb0EEEEE10hipError_tT1_PNSt15iterator_traitsISG_E10value_typeET2_T3_PNSH_ISM_E10value_typeET4_T5_PSR_SS_PNS1_23onesweep_lookback_stateEbbT6_jjT7_P12ihipStream_tbENKUlT_T0_SG_SL_E_clIS7_S7_SB_PlEEDaSZ_S10_SG_SL_EUlSZ_E_NS1_11comp_targetILNS1_3genE4ELNS1_11target_archE910ELNS1_3gpuE8ELNS1_3repE0EEENS1_47radix_sort_onesweep_sort_config_static_selectorELNS0_4arch9wavefront6targetE1EEEvSG_,comdat
	.protected	_ZN7rocprim17ROCPRIM_400000_NS6detail17trampoline_kernelINS0_14default_configENS1_35radix_sort_onesweep_config_selectorIalEEZZNS1_29radix_sort_onesweep_iterationIS3_Lb0EPaS7_N6thrust23THRUST_200600_302600_NS10device_ptrIlEESB_jNS0_19identity_decomposerENS1_16block_id_wrapperIjLb0EEEEE10hipError_tT1_PNSt15iterator_traitsISG_E10value_typeET2_T3_PNSH_ISM_E10value_typeET4_T5_PSR_SS_PNS1_23onesweep_lookback_stateEbbT6_jjT7_P12ihipStream_tbENKUlT_T0_SG_SL_E_clIS7_S7_SB_PlEEDaSZ_S10_SG_SL_EUlSZ_E_NS1_11comp_targetILNS1_3genE4ELNS1_11target_archE910ELNS1_3gpuE8ELNS1_3repE0EEENS1_47radix_sort_onesweep_sort_config_static_selectorELNS0_4arch9wavefront6targetE1EEEvSG_ ; -- Begin function _ZN7rocprim17ROCPRIM_400000_NS6detail17trampoline_kernelINS0_14default_configENS1_35radix_sort_onesweep_config_selectorIalEEZZNS1_29radix_sort_onesweep_iterationIS3_Lb0EPaS7_N6thrust23THRUST_200600_302600_NS10device_ptrIlEESB_jNS0_19identity_decomposerENS1_16block_id_wrapperIjLb0EEEEE10hipError_tT1_PNSt15iterator_traitsISG_E10value_typeET2_T3_PNSH_ISM_E10value_typeET4_T5_PSR_SS_PNS1_23onesweep_lookback_stateEbbT6_jjT7_P12ihipStream_tbENKUlT_T0_SG_SL_E_clIS7_S7_SB_PlEEDaSZ_S10_SG_SL_EUlSZ_E_NS1_11comp_targetILNS1_3genE4ELNS1_11target_archE910ELNS1_3gpuE8ELNS1_3repE0EEENS1_47radix_sort_onesweep_sort_config_static_selectorELNS0_4arch9wavefront6targetE1EEEvSG_
	.globl	_ZN7rocprim17ROCPRIM_400000_NS6detail17trampoline_kernelINS0_14default_configENS1_35radix_sort_onesweep_config_selectorIalEEZZNS1_29radix_sort_onesweep_iterationIS3_Lb0EPaS7_N6thrust23THRUST_200600_302600_NS10device_ptrIlEESB_jNS0_19identity_decomposerENS1_16block_id_wrapperIjLb0EEEEE10hipError_tT1_PNSt15iterator_traitsISG_E10value_typeET2_T3_PNSH_ISM_E10value_typeET4_T5_PSR_SS_PNS1_23onesweep_lookback_stateEbbT6_jjT7_P12ihipStream_tbENKUlT_T0_SG_SL_E_clIS7_S7_SB_PlEEDaSZ_S10_SG_SL_EUlSZ_E_NS1_11comp_targetILNS1_3genE4ELNS1_11target_archE910ELNS1_3gpuE8ELNS1_3repE0EEENS1_47radix_sort_onesweep_sort_config_static_selectorELNS0_4arch9wavefront6targetE1EEEvSG_
	.p2align	8
	.type	_ZN7rocprim17ROCPRIM_400000_NS6detail17trampoline_kernelINS0_14default_configENS1_35radix_sort_onesweep_config_selectorIalEEZZNS1_29radix_sort_onesweep_iterationIS3_Lb0EPaS7_N6thrust23THRUST_200600_302600_NS10device_ptrIlEESB_jNS0_19identity_decomposerENS1_16block_id_wrapperIjLb0EEEEE10hipError_tT1_PNSt15iterator_traitsISG_E10value_typeET2_T3_PNSH_ISM_E10value_typeET4_T5_PSR_SS_PNS1_23onesweep_lookback_stateEbbT6_jjT7_P12ihipStream_tbENKUlT_T0_SG_SL_E_clIS7_S7_SB_PlEEDaSZ_S10_SG_SL_EUlSZ_E_NS1_11comp_targetILNS1_3genE4ELNS1_11target_archE910ELNS1_3gpuE8ELNS1_3repE0EEENS1_47radix_sort_onesweep_sort_config_static_selectorELNS0_4arch9wavefront6targetE1EEEvSG_,@function
_ZN7rocprim17ROCPRIM_400000_NS6detail17trampoline_kernelINS0_14default_configENS1_35radix_sort_onesweep_config_selectorIalEEZZNS1_29radix_sort_onesweep_iterationIS3_Lb0EPaS7_N6thrust23THRUST_200600_302600_NS10device_ptrIlEESB_jNS0_19identity_decomposerENS1_16block_id_wrapperIjLb0EEEEE10hipError_tT1_PNSt15iterator_traitsISG_E10value_typeET2_T3_PNSH_ISM_E10value_typeET4_T5_PSR_SS_PNS1_23onesweep_lookback_stateEbbT6_jjT7_P12ihipStream_tbENKUlT_T0_SG_SL_E_clIS7_S7_SB_PlEEDaSZ_S10_SG_SL_EUlSZ_E_NS1_11comp_targetILNS1_3genE4ELNS1_11target_archE910ELNS1_3gpuE8ELNS1_3repE0EEENS1_47radix_sort_onesweep_sort_config_static_selectorELNS0_4arch9wavefront6targetE1EEEvSG_: ; @_ZN7rocprim17ROCPRIM_400000_NS6detail17trampoline_kernelINS0_14default_configENS1_35radix_sort_onesweep_config_selectorIalEEZZNS1_29radix_sort_onesweep_iterationIS3_Lb0EPaS7_N6thrust23THRUST_200600_302600_NS10device_ptrIlEESB_jNS0_19identity_decomposerENS1_16block_id_wrapperIjLb0EEEEE10hipError_tT1_PNSt15iterator_traitsISG_E10value_typeET2_T3_PNSH_ISM_E10value_typeET4_T5_PSR_SS_PNS1_23onesweep_lookback_stateEbbT6_jjT7_P12ihipStream_tbENKUlT_T0_SG_SL_E_clIS7_S7_SB_PlEEDaSZ_S10_SG_SL_EUlSZ_E_NS1_11comp_targetILNS1_3genE4ELNS1_11target_archE910ELNS1_3gpuE8ELNS1_3repE0EEENS1_47radix_sort_onesweep_sort_config_static_selectorELNS0_4arch9wavefront6targetE1EEEvSG_
; %bb.0:
	s_load_dwordx8 s[36:43], s[4:5], 0x0
	s_load_dwordx4 s[44:47], s[4:5], 0x44
	s_load_dwordx4 s[28:31], s[4:5], 0x28
	s_load_dwordx2 s[34:35], s[4:5], 0x38
	v_mbcnt_lo_u32_b32 v1, -1, 0
	s_waitcnt lgkmcnt(0)
	s_cmp_ge_u32 s6, s46
	s_cbranch_scc0 .LBB640_84
; %bb.1:
	s_load_dword s0, s[4:5], 0x20
	s_lshl_b32 s1, s46, 13
	s_lshl_b32 s46, s6, 13
	v_mbcnt_hi_u32_b32 v6, -1, v1
	v_and_b32_e32 v10, 0x3ff, v0
	s_waitcnt lgkmcnt(0)
	s_sub_i32 s7, s0, s1
	s_add_u32 s0, s36, s46
	s_addc_u32 s1, s37, 0
	v_and_b32_e32 v14, 63, v6
	v_lshlrev_b32_e32 v11, 3, v10
	v_mov_b32_e32 v2, s1
	v_add_co_u32_e32 v3, vcc, s0, v14
	v_and_b32_e32 v12, 0x1e00, v11
	v_addc_co_u32_e32 v4, vcc, 0, v2, vcc
	v_add_co_u32_e32 v2, vcc, v3, v12
	v_addc_co_u32_e32 v3, vcc, 0, v4, vcc
	v_or_b32_e32 v5, v14, v12
	s_mov_b32 s47, 0
	v_cmp_gt_u32_e32 vcc, s7, v5
	v_mov_b32_e32 v4, 0x7f
	v_mov_b32_e32 v7, 0x7f
	;; [unrolled: 1-line block ×8, first 2 shown]
	s_and_saveexec_b64 s[0:1], vcc
	s_cbranch_execz .LBB640_3
; %bb.2:
	global_load_ubyte v4, v[2:3], off
	v_mov_b32_e32 v17, 0x7f
	v_mov_b32_e32 v21, 0x7f
	;; [unrolled: 1-line block ×7, first 2 shown]
.LBB640_3:
	s_or_b64 exec, exec, s[0:1]
	v_or_b32_e32 v8, 64, v5
	v_cmp_gt_u32_e64 s[0:1], s7, v8
	s_and_saveexec_b64 s[2:3], s[0:1]
	s_cbranch_execz .LBB640_5
; %bb.4:
	global_load_ubyte v17, v[2:3], off offset:64
.LBB640_5:
	s_or_b64 exec, exec, s[2:3]
	v_or_b32_e32 v8, 0x80, v5
	v_cmp_gt_u32_e64 s[2:3], s7, v8
	s_and_saveexec_b64 s[8:9], s[2:3]
	s_cbranch_execz .LBB640_7
; %bb.6:
	global_load_ubyte v21, v[2:3], off offset:128
.LBB640_7:
	;; [unrolled: 8-line block ×7, first 2 shown]
	s_or_b64 exec, exec, s[16:17]
	s_load_dword s16, s[4:5], 0x64
	s_load_dword s33, s[4:5], 0x58
	s_add_u32 s17, s4, 0x58
	s_addc_u32 s18, s5, 0
	v_mov_b32_e32 v2, 0
	s_waitcnt lgkmcnt(0)
	s_lshr_b32 s19, s16, 16
	s_cmp_lt_u32 s6, s33
	s_cselect_b32 s16, 12, 18
	s_add_u32 s16, s17, s16
	s_addc_u32 s17, s18, 0
	global_load_ushort v5, v2, s[16:17]
	s_waitcnt vmcnt(1)
	v_xor_b32_e32 v8, 0xffffff80, v4
	s_lshl_b32 s16, -1, s45
	v_lshrrev_b32_sdwa v15, s44, v8 dst_sel:DWORD dst_unused:UNUSED_PAD src0_sel:DWORD src1_sel:BYTE_0
	s_not_b32 s50, s16
	v_and_b32_e32 v15, s50, v15
	v_and_b32_e32 v19, 1, v15
	v_bfe_u32 v3, v0, 10, 10
	v_bfe_u32 v4, v0, 20, 10
	v_add_co_u32_e64 v22, s[16:17], -1, v19
	v_mad_u32_u24 v4, v4, s19, v3
	v_lshlrev_b32_e32 v3, 30, v15
	v_addc_co_u32_e64 v24, s[16:17], 0, -1, s[16:17]
	v_cmp_ne_u32_e64 s[16:17], 0, v19
	v_cmp_gt_i64_e64 s[18:19], 0, v[2:3]
	v_not_b32_e32 v19, v3
	v_lshlrev_b32_e32 v3, 29, v15
	v_xor_b32_e32 v24, s17, v24
	v_xor_b32_e32 v22, s16, v22
	v_ashrrev_i32_e32 v19, 31, v19
	v_cmp_gt_i64_e64 s[16:17], 0, v[2:3]
	v_not_b32_e32 v25, v3
	v_lshlrev_b32_e32 v3, 28, v15
	v_and_b32_e32 v24, exec_hi, v24
	v_and_b32_e32 v22, exec_lo, v22
	v_xor_b32_e32 v26, s19, v19
	v_xor_b32_e32 v19, s18, v19
	v_ashrrev_i32_e32 v25, 31, v25
	v_cmp_gt_i64_e64 s[18:19], 0, v[2:3]
	v_not_b32_e32 v27, v3
	v_lshlrev_b32_e32 v3, 27, v15
	v_and_b32_e32 v24, v24, v26
	v_and_b32_e32 v19, v22, v19
	v_xor_b32_e32 v22, s17, v25
	v_xor_b32_e32 v25, s16, v25
	v_ashrrev_i32_e32 v26, 31, v27
	v_cmp_gt_i64_e64 s[16:17], 0, v[2:3]
	v_not_b32_e32 v27, v3
	v_lshlrev_b32_e32 v3, 26, v15
	v_and_b32_e32 v22, v24, v22
	v_and_b32_e32 v19, v19, v25
	;; [unrolled: 8-line block ×3, first 2 shown]
	v_xor_b32_e32 v24, s17, v26
	v_xor_b32_e32 v25, s16, v26
	v_ashrrev_i32_e32 v26, 31, v27
	v_cmp_gt_i64_e64 s[16:17], 0, v[2:3]
	v_not_b32_e32 v27, v3
	v_lshlrev_b32_e32 v3, 24, v15
	v_mul_u32_u24_e32 v18, 17, v15
	v_and_b32_e32 v15, v22, v24
	v_and_b32_e32 v19, v19, v25
	v_xor_b32_e32 v22, s19, v26
	v_xor_b32_e32 v24, s18, v26
	v_ashrrev_i32_e32 v25, 31, v27
	v_cmp_gt_i64_e64 s[18:19], 0, v[2:3]
	v_not_b32_e32 v3, v3
	v_and_b32_e32 v15, v15, v22
	v_and_b32_e32 v19, v19, v24
	v_xor_b32_e32 v22, s17, v25
	v_xor_b32_e32 v24, s16, v25
	v_ashrrev_i32_e32 v3, 31, v3
	v_and_b32_e32 v15, v15, v22
	v_and_b32_e32 v19, v19, v24
	v_mul_u32_u24_e32 v13, 5, v10
	v_lshlrev_b32_e32 v13, 2, v13
	ds_write2_b32 v13, v2, v2 offset0:16 offset1:17
	ds_write2_b32 v13, v2, v2 offset0:18 offset1:19
	ds_write_b32 v13, v2 offset:80
	s_waitcnt lgkmcnt(0)
	s_barrier
	s_waitcnt lgkmcnt(0)
	; wave barrier
	s_waitcnt vmcnt(0)
	v_mad_u64_u32 v[4:5], s[16:17], v4, v5, v[10:11]
	v_lshrrev_b32_e32 v24, 6, v4
	v_xor_b32_e32 v4, s19, v3
	v_xor_b32_e32 v3, s18, v3
	v_and_b32_e32 v5, v15, v4
	v_and_b32_e32 v4, v19, v3
	v_mbcnt_lo_u32_b32 v3, v4, 0
	v_mbcnt_hi_u32_b32 v15, v5, v3
	v_cmp_eq_u32_e64 s[16:17], 0, v15
	v_cmp_ne_u64_e64 s[18:19], 0, v[4:5]
	v_add_lshl_u32 v18, v24, v18, 2
	s_and_b64 s[18:19], s[18:19], s[16:17]
	s_and_saveexec_b64 s[16:17], s[18:19]
	s_cbranch_execz .LBB640_19
; %bb.18:
	v_bcnt_u32_b32 v3, v4, 0
	v_bcnt_u32_b32 v3, v5, v3
	ds_write_b32 v18, v3 offset:64
.LBB640_19:
	s_or_b64 exec, exec, s[16:17]
	v_xor_b32_e32 v17, 0xffffff80, v17
	v_lshrrev_b32_sdwa v3, s44, v17 dst_sel:DWORD dst_unused:UNUSED_PAD src0_sel:DWORD src1_sel:BYTE_0
	v_and_b32_e32 v4, s50, v3
	v_mul_u32_u24_e32 v3, 17, v4
	v_add_lshl_u32 v19, v24, v3, 2
	v_and_b32_e32 v3, 1, v4
	v_add_co_u32_e64 v5, s[16:17], -1, v3
	v_addc_co_u32_e64 v22, s[16:17], 0, -1, s[16:17]
	v_cmp_ne_u32_e64 s[16:17], 0, v3
	v_xor_b32_e32 v3, s17, v22
	v_and_b32_e32 v22, exec_hi, v3
	v_lshlrev_b32_e32 v3, 30, v4
	v_xor_b32_e32 v5, s16, v5
	v_cmp_gt_i64_e64 s[16:17], 0, v[2:3]
	v_not_b32_e32 v3, v3
	v_ashrrev_i32_e32 v3, 31, v3
	v_and_b32_e32 v5, exec_lo, v5
	v_xor_b32_e32 v25, s17, v3
	v_xor_b32_e32 v3, s16, v3
	v_and_b32_e32 v5, v5, v3
	v_lshlrev_b32_e32 v3, 29, v4
	v_cmp_gt_i64_e64 s[16:17], 0, v[2:3]
	v_not_b32_e32 v3, v3
	v_ashrrev_i32_e32 v3, 31, v3
	v_and_b32_e32 v22, v22, v25
	v_xor_b32_e32 v25, s17, v3
	v_xor_b32_e32 v3, s16, v3
	v_and_b32_e32 v5, v5, v3
	v_lshlrev_b32_e32 v3, 28, v4
	v_cmp_gt_i64_e64 s[16:17], 0, v[2:3]
	v_not_b32_e32 v3, v3
	v_ashrrev_i32_e32 v3, 31, v3
	v_and_b32_e32 v22, v22, v25
	;; [unrolled: 8-line block ×5, first 2 shown]
	v_xor_b32_e32 v25, s17, v3
	v_xor_b32_e32 v3, s16, v3
	v_and_b32_e32 v5, v5, v3
	v_lshlrev_b32_e32 v3, 24, v4
	v_cmp_gt_i64_e64 s[16:17], 0, v[2:3]
	v_not_b32_e32 v2, v3
	v_ashrrev_i32_e32 v2, 31, v2
	v_xor_b32_e32 v3, s17, v2
	v_xor_b32_e32 v2, s16, v2
	; wave barrier
	ds_read_b32 v30, v19 offset:64
	v_and_b32_e32 v22, v22, v25
	v_and_b32_e32 v2, v5, v2
	;; [unrolled: 1-line block ×3, first 2 shown]
	v_mbcnt_lo_u32_b32 v4, v2, 0
	v_mbcnt_hi_u32_b32 v31, v3, v4
	v_cmp_eq_u32_e64 s[16:17], 0, v31
	v_cmp_ne_u64_e64 s[18:19], 0, v[2:3]
	s_and_b64 s[18:19], s[18:19], s[16:17]
	; wave barrier
	s_and_saveexec_b64 s[16:17], s[18:19]
	s_cbranch_execz .LBB640_21
; %bb.20:
	v_bcnt_u32_b32 v2, v2, 0
	v_bcnt_u32_b32 v2, v3, v2
	s_waitcnt lgkmcnt(0)
	v_add_u32_e32 v2, v30, v2
	ds_write_b32 v19, v2 offset:64
.LBB640_21:
	s_or_b64 exec, exec, s[16:17]
	v_xor_b32_e32 v21, 0xffffff80, v21
	v_lshrrev_b32_sdwa v2, s44, v21 dst_sel:DWORD dst_unused:UNUSED_PAD src0_sel:DWORD src1_sel:BYTE_0
	v_and_b32_e32 v4, s50, v2
	v_and_b32_e32 v3, 1, v4
	v_add_co_u32_e64 v5, s[16:17], -1, v3
	v_addc_co_u32_e64 v25, s[16:17], 0, -1, s[16:17]
	v_cmp_ne_u32_e64 s[16:17], 0, v3
	v_mul_u32_u24_e32 v2, 17, v4
	v_xor_b32_e32 v3, s17, v25
	v_add_lshl_u32 v22, v24, v2, 2
	v_mov_b32_e32 v2, 0
	v_and_b32_e32 v25, exec_hi, v3
	v_lshlrev_b32_e32 v3, 30, v4
	v_xor_b32_e32 v5, s16, v5
	v_cmp_gt_i64_e64 s[16:17], 0, v[2:3]
	v_not_b32_e32 v3, v3
	v_ashrrev_i32_e32 v3, 31, v3
	v_and_b32_e32 v5, exec_lo, v5
	v_xor_b32_e32 v26, s17, v3
	v_xor_b32_e32 v3, s16, v3
	v_and_b32_e32 v5, v5, v3
	v_lshlrev_b32_e32 v3, 29, v4
	v_cmp_gt_i64_e64 s[16:17], 0, v[2:3]
	v_not_b32_e32 v3, v3
	v_ashrrev_i32_e32 v3, 31, v3
	v_and_b32_e32 v25, v25, v26
	v_xor_b32_e32 v26, s17, v3
	v_xor_b32_e32 v3, s16, v3
	v_and_b32_e32 v5, v5, v3
	v_lshlrev_b32_e32 v3, 28, v4
	v_cmp_gt_i64_e64 s[16:17], 0, v[2:3]
	v_not_b32_e32 v3, v3
	v_ashrrev_i32_e32 v3, 31, v3
	v_and_b32_e32 v25, v25, v26
	;; [unrolled: 8-line block ×5, first 2 shown]
	v_xor_b32_e32 v26, s17, v3
	v_xor_b32_e32 v3, s16, v3
	v_and_b32_e32 v25, v25, v26
	v_and_b32_e32 v26, v5, v3
	v_lshlrev_b32_e32 v3, 24, v4
	v_cmp_gt_i64_e64 s[16:17], 0, v[2:3]
	v_not_b32_e32 v3, v3
	v_ashrrev_i32_e32 v3, 31, v3
	v_xor_b32_e32 v4, s17, v3
	v_xor_b32_e32 v3, s16, v3
	; wave barrier
	ds_read_b32 v32, v22 offset:64
	v_and_b32_e32 v5, v25, v4
	v_and_b32_e32 v4, v26, v3
	v_mbcnt_lo_u32_b32 v3, v4, 0
	v_mbcnt_hi_u32_b32 v33, v5, v3
	v_cmp_eq_u32_e64 s[16:17], 0, v33
	v_cmp_ne_u64_e64 s[18:19], 0, v[4:5]
	s_and_b64 s[18:19], s[18:19], s[16:17]
	; wave barrier
	s_and_saveexec_b64 s[16:17], s[18:19]
	s_cbranch_execz .LBB640_23
; %bb.22:
	v_bcnt_u32_b32 v3, v4, 0
	v_bcnt_u32_b32 v3, v5, v3
	s_waitcnt lgkmcnt(0)
	v_add_u32_e32 v3, v32, v3
	ds_write_b32 v22, v3 offset:64
.LBB640_23:
	s_or_b64 exec, exec, s[16:17]
	v_xor_b32_e32 v23, 0xffffff80, v23
	v_lshrrev_b32_sdwa v3, s44, v23 dst_sel:DWORD dst_unused:UNUSED_PAD src0_sel:DWORD src1_sel:BYTE_0
	v_and_b32_e32 v4, s50, v3
	v_mul_u32_u24_e32 v3, 17, v4
	v_add_lshl_u32 v25, v24, v3, 2
	v_and_b32_e32 v3, 1, v4
	v_add_co_u32_e64 v5, s[16:17], -1, v3
	v_addc_co_u32_e64 v26, s[16:17], 0, -1, s[16:17]
	v_cmp_ne_u32_e64 s[16:17], 0, v3
	v_xor_b32_e32 v3, s17, v26
	v_and_b32_e32 v26, exec_hi, v3
	v_lshlrev_b32_e32 v3, 30, v4
	v_xor_b32_e32 v5, s16, v5
	v_cmp_gt_i64_e64 s[16:17], 0, v[2:3]
	v_not_b32_e32 v3, v3
	v_ashrrev_i32_e32 v3, 31, v3
	v_and_b32_e32 v5, exec_lo, v5
	v_xor_b32_e32 v27, s17, v3
	v_xor_b32_e32 v3, s16, v3
	v_and_b32_e32 v5, v5, v3
	v_lshlrev_b32_e32 v3, 29, v4
	v_cmp_gt_i64_e64 s[16:17], 0, v[2:3]
	v_not_b32_e32 v3, v3
	v_ashrrev_i32_e32 v3, 31, v3
	v_and_b32_e32 v26, v26, v27
	v_xor_b32_e32 v27, s17, v3
	v_xor_b32_e32 v3, s16, v3
	v_and_b32_e32 v5, v5, v3
	v_lshlrev_b32_e32 v3, 28, v4
	v_cmp_gt_i64_e64 s[16:17], 0, v[2:3]
	v_not_b32_e32 v3, v3
	v_ashrrev_i32_e32 v3, 31, v3
	v_and_b32_e32 v26, v26, v27
	;; [unrolled: 8-line block ×5, first 2 shown]
	v_xor_b32_e32 v27, s17, v3
	v_xor_b32_e32 v3, s16, v3
	v_and_b32_e32 v5, v5, v3
	v_lshlrev_b32_e32 v3, 24, v4
	v_cmp_gt_i64_e64 s[16:17], 0, v[2:3]
	v_not_b32_e32 v2, v3
	v_ashrrev_i32_e32 v2, 31, v2
	v_xor_b32_e32 v3, s17, v2
	v_xor_b32_e32 v2, s16, v2
	; wave barrier
	ds_read_b32 v34, v25 offset:64
	v_and_b32_e32 v26, v26, v27
	v_and_b32_e32 v2, v5, v2
	;; [unrolled: 1-line block ×3, first 2 shown]
	v_mbcnt_lo_u32_b32 v4, v2, 0
	v_mbcnt_hi_u32_b32 v35, v3, v4
	v_cmp_eq_u32_e64 s[16:17], 0, v35
	v_cmp_ne_u64_e64 s[18:19], 0, v[2:3]
	s_and_b64 s[18:19], s[18:19], s[16:17]
	; wave barrier
	s_and_saveexec_b64 s[16:17], s[18:19]
	s_cbranch_execz .LBB640_25
; %bb.24:
	v_bcnt_u32_b32 v2, v2, 0
	v_bcnt_u32_b32 v2, v3, v2
	s_waitcnt lgkmcnt(0)
	v_add_u32_e32 v2, v34, v2
	ds_write_b32 v25, v2 offset:64
.LBB640_25:
	s_or_b64 exec, exec, s[16:17]
	v_xor_b32_e32 v20, 0xffffff80, v20
	v_lshrrev_b32_sdwa v2, s44, v20 dst_sel:DWORD dst_unused:UNUSED_PAD src0_sel:DWORD src1_sel:BYTE_0
	v_and_b32_e32 v4, s50, v2
	v_and_b32_e32 v3, 1, v4
	v_add_co_u32_e64 v5, s[16:17], -1, v3
	v_addc_co_u32_e64 v27, s[16:17], 0, -1, s[16:17]
	v_cmp_ne_u32_e64 s[16:17], 0, v3
	v_mul_u32_u24_e32 v2, 17, v4
	v_xor_b32_e32 v3, s17, v27
	v_add_lshl_u32 v26, v24, v2, 2
	v_mov_b32_e32 v2, 0
	v_and_b32_e32 v27, exec_hi, v3
	v_lshlrev_b32_e32 v3, 30, v4
	v_xor_b32_e32 v5, s16, v5
	v_cmp_gt_i64_e64 s[16:17], 0, v[2:3]
	v_not_b32_e32 v3, v3
	v_ashrrev_i32_e32 v3, 31, v3
	v_and_b32_e32 v5, exec_lo, v5
	v_xor_b32_e32 v28, s17, v3
	v_xor_b32_e32 v3, s16, v3
	v_and_b32_e32 v5, v5, v3
	v_lshlrev_b32_e32 v3, 29, v4
	v_cmp_gt_i64_e64 s[16:17], 0, v[2:3]
	v_not_b32_e32 v3, v3
	v_ashrrev_i32_e32 v3, 31, v3
	v_and_b32_e32 v27, v27, v28
	v_xor_b32_e32 v28, s17, v3
	v_xor_b32_e32 v3, s16, v3
	v_and_b32_e32 v5, v5, v3
	v_lshlrev_b32_e32 v3, 28, v4
	v_cmp_gt_i64_e64 s[16:17], 0, v[2:3]
	v_not_b32_e32 v3, v3
	v_ashrrev_i32_e32 v3, 31, v3
	v_and_b32_e32 v27, v27, v28
	;; [unrolled: 8-line block ×5, first 2 shown]
	v_xor_b32_e32 v28, s17, v3
	v_xor_b32_e32 v3, s16, v3
	v_and_b32_e32 v27, v27, v28
	v_and_b32_e32 v28, v5, v3
	v_lshlrev_b32_e32 v3, 24, v4
	v_cmp_gt_i64_e64 s[16:17], 0, v[2:3]
	v_not_b32_e32 v3, v3
	v_ashrrev_i32_e32 v3, 31, v3
	v_xor_b32_e32 v4, s17, v3
	v_xor_b32_e32 v3, s16, v3
	; wave barrier
	ds_read_b32 v36, v26 offset:64
	v_and_b32_e32 v5, v27, v4
	v_and_b32_e32 v4, v28, v3
	v_mbcnt_lo_u32_b32 v3, v4, 0
	v_mbcnt_hi_u32_b32 v37, v5, v3
	v_cmp_eq_u32_e64 s[16:17], 0, v37
	v_cmp_ne_u64_e64 s[18:19], 0, v[4:5]
	s_and_b64 s[18:19], s[18:19], s[16:17]
	; wave barrier
	s_and_saveexec_b64 s[16:17], s[18:19]
	s_cbranch_execz .LBB640_27
; %bb.26:
	v_bcnt_u32_b32 v3, v4, 0
	v_bcnt_u32_b32 v3, v5, v3
	s_waitcnt lgkmcnt(0)
	v_add_u32_e32 v3, v36, v3
	ds_write_b32 v26, v3 offset:64
.LBB640_27:
	s_or_b64 exec, exec, s[16:17]
	v_xor_b32_e32 v16, 0xffffff80, v16
	v_lshrrev_b32_sdwa v3, s44, v16 dst_sel:DWORD dst_unused:UNUSED_PAD src0_sel:DWORD src1_sel:BYTE_0
	v_and_b32_e32 v4, s50, v3
	v_mul_u32_u24_e32 v3, 17, v4
	v_add_lshl_u32 v27, v24, v3, 2
	v_and_b32_e32 v3, 1, v4
	v_add_co_u32_e64 v5, s[16:17], -1, v3
	v_addc_co_u32_e64 v28, s[16:17], 0, -1, s[16:17]
	v_cmp_ne_u32_e64 s[16:17], 0, v3
	v_xor_b32_e32 v3, s17, v28
	v_and_b32_e32 v28, exec_hi, v3
	v_lshlrev_b32_e32 v3, 30, v4
	v_xor_b32_e32 v5, s16, v5
	v_cmp_gt_i64_e64 s[16:17], 0, v[2:3]
	v_not_b32_e32 v3, v3
	v_ashrrev_i32_e32 v3, 31, v3
	v_and_b32_e32 v5, exec_lo, v5
	v_xor_b32_e32 v29, s17, v3
	v_xor_b32_e32 v3, s16, v3
	v_and_b32_e32 v5, v5, v3
	v_lshlrev_b32_e32 v3, 29, v4
	v_cmp_gt_i64_e64 s[16:17], 0, v[2:3]
	v_not_b32_e32 v3, v3
	v_ashrrev_i32_e32 v3, 31, v3
	v_and_b32_e32 v28, v28, v29
	v_xor_b32_e32 v29, s17, v3
	v_xor_b32_e32 v3, s16, v3
	v_and_b32_e32 v5, v5, v3
	v_lshlrev_b32_e32 v3, 28, v4
	v_cmp_gt_i64_e64 s[16:17], 0, v[2:3]
	v_not_b32_e32 v3, v3
	v_ashrrev_i32_e32 v3, 31, v3
	v_and_b32_e32 v28, v28, v29
	;; [unrolled: 8-line block ×5, first 2 shown]
	v_xor_b32_e32 v29, s17, v3
	v_xor_b32_e32 v3, s16, v3
	v_and_b32_e32 v5, v5, v3
	v_lshlrev_b32_e32 v3, 24, v4
	v_cmp_gt_i64_e64 s[16:17], 0, v[2:3]
	v_not_b32_e32 v2, v3
	v_ashrrev_i32_e32 v2, 31, v2
	v_xor_b32_e32 v3, s17, v2
	v_xor_b32_e32 v2, s16, v2
	; wave barrier
	ds_read_b32 v38, v27 offset:64
	v_and_b32_e32 v28, v28, v29
	v_and_b32_e32 v2, v5, v2
	v_and_b32_e32 v3, v28, v3
	v_mbcnt_lo_u32_b32 v4, v2, 0
	v_mbcnt_hi_u32_b32 v39, v3, v4
	v_cmp_eq_u32_e64 s[16:17], 0, v39
	v_cmp_ne_u64_e64 s[18:19], 0, v[2:3]
	s_and_b64 s[18:19], s[18:19], s[16:17]
	; wave barrier
	s_and_saveexec_b64 s[16:17], s[18:19]
	s_cbranch_execz .LBB640_29
; %bb.28:
	v_bcnt_u32_b32 v2, v2, 0
	v_bcnt_u32_b32 v2, v3, v2
	s_waitcnt lgkmcnt(0)
	v_add_u32_e32 v2, v38, v2
	ds_write_b32 v27, v2 offset:64
.LBB640_29:
	s_or_b64 exec, exec, s[16:17]
	v_xor_b32_e32 v9, 0xffffff80, v9
	v_lshrrev_b32_sdwa v2, s44, v9 dst_sel:DWORD dst_unused:UNUSED_PAD src0_sel:DWORD src1_sel:BYTE_0
	v_and_b32_e32 v4, s50, v2
	v_and_b32_e32 v3, 1, v4
	v_add_co_u32_e64 v5, s[16:17], -1, v3
	v_addc_co_u32_e64 v29, s[16:17], 0, -1, s[16:17]
	v_cmp_ne_u32_e64 s[16:17], 0, v3
	v_mul_u32_u24_e32 v2, 17, v4
	v_xor_b32_e32 v3, s17, v29
	v_add_lshl_u32 v28, v24, v2, 2
	v_mov_b32_e32 v2, 0
	v_and_b32_e32 v29, exec_hi, v3
	v_lshlrev_b32_e32 v3, 30, v4
	v_xor_b32_e32 v5, s16, v5
	v_cmp_gt_i64_e64 s[16:17], 0, v[2:3]
	v_not_b32_e32 v3, v3
	v_ashrrev_i32_e32 v3, 31, v3
	v_and_b32_e32 v5, exec_lo, v5
	v_xor_b32_e32 v41, s17, v3
	v_xor_b32_e32 v3, s16, v3
	v_and_b32_e32 v5, v5, v3
	v_lshlrev_b32_e32 v3, 29, v4
	v_cmp_gt_i64_e64 s[16:17], 0, v[2:3]
	v_not_b32_e32 v3, v3
	v_ashrrev_i32_e32 v3, 31, v3
	v_and_b32_e32 v29, v29, v41
	v_xor_b32_e32 v41, s17, v3
	v_xor_b32_e32 v3, s16, v3
	v_and_b32_e32 v5, v5, v3
	v_lshlrev_b32_e32 v3, 28, v4
	v_cmp_gt_i64_e64 s[16:17], 0, v[2:3]
	v_not_b32_e32 v3, v3
	v_ashrrev_i32_e32 v3, 31, v3
	v_and_b32_e32 v29, v29, v41
	;; [unrolled: 8-line block ×5, first 2 shown]
	v_xor_b32_e32 v41, s17, v3
	v_xor_b32_e32 v3, s16, v3
	v_and_b32_e32 v29, v29, v41
	v_and_b32_e32 v41, v5, v3
	v_lshlrev_b32_e32 v3, 24, v4
	v_cmp_gt_i64_e64 s[16:17], 0, v[2:3]
	v_not_b32_e32 v3, v3
	v_ashrrev_i32_e32 v3, 31, v3
	v_xor_b32_e32 v4, s17, v3
	v_xor_b32_e32 v3, s16, v3
	; wave barrier
	ds_read_b32 v40, v28 offset:64
	v_and_b32_e32 v5, v29, v4
	v_and_b32_e32 v4, v41, v3
	v_mbcnt_lo_u32_b32 v3, v4, 0
	v_mbcnt_hi_u32_b32 v41, v5, v3
	v_cmp_eq_u32_e64 s[16:17], 0, v41
	v_cmp_ne_u64_e64 s[18:19], 0, v[4:5]
	s_and_b64 s[18:19], s[18:19], s[16:17]
	; wave barrier
	s_and_saveexec_b64 s[16:17], s[18:19]
	s_cbranch_execz .LBB640_31
; %bb.30:
	v_bcnt_u32_b32 v3, v4, 0
	v_bcnt_u32_b32 v3, v5, v3
	s_waitcnt lgkmcnt(0)
	v_add_u32_e32 v3, v40, v3
	ds_write_b32 v28, v3 offset:64
.LBB640_31:
	s_or_b64 exec, exec, s[16:17]
	v_xor_b32_e32 v7, 0xffffff80, v7
	v_lshrrev_b32_sdwa v3, s44, v7 dst_sel:DWORD dst_unused:UNUSED_PAD src0_sel:DWORD src1_sel:BYTE_0
	v_and_b32_e32 v4, s50, v3
	v_mul_u32_u24_e32 v3, 17, v4
	v_add_lshl_u32 v29, v24, v3, 2
	v_and_b32_e32 v3, 1, v4
	v_add_co_u32_e64 v5, s[16:17], -1, v3
	v_addc_co_u32_e64 v24, s[16:17], 0, -1, s[16:17]
	v_cmp_ne_u32_e64 s[16:17], 0, v3
	v_xor_b32_e32 v3, s17, v24
	v_and_b32_e32 v24, exec_hi, v3
	v_lshlrev_b32_e32 v3, 30, v4
	v_xor_b32_e32 v5, s16, v5
	v_cmp_gt_i64_e64 s[16:17], 0, v[2:3]
	v_not_b32_e32 v3, v3
	v_ashrrev_i32_e32 v3, 31, v3
	v_and_b32_e32 v5, exec_lo, v5
	v_xor_b32_e32 v44, s17, v3
	v_xor_b32_e32 v3, s16, v3
	v_and_b32_e32 v5, v5, v3
	v_lshlrev_b32_e32 v3, 29, v4
	v_cmp_gt_i64_e64 s[16:17], 0, v[2:3]
	v_not_b32_e32 v3, v3
	v_ashrrev_i32_e32 v3, 31, v3
	v_and_b32_e32 v24, v24, v44
	v_xor_b32_e32 v44, s17, v3
	v_xor_b32_e32 v3, s16, v3
	v_and_b32_e32 v5, v5, v3
	v_lshlrev_b32_e32 v3, 28, v4
	v_cmp_gt_i64_e64 s[16:17], 0, v[2:3]
	v_not_b32_e32 v3, v3
	v_ashrrev_i32_e32 v3, 31, v3
	v_and_b32_e32 v24, v24, v44
	;; [unrolled: 8-line block ×5, first 2 shown]
	v_xor_b32_e32 v44, s17, v3
	v_xor_b32_e32 v3, s16, v3
	v_and_b32_e32 v5, v5, v3
	v_lshlrev_b32_e32 v3, 24, v4
	v_cmp_gt_i64_e64 s[16:17], 0, v[2:3]
	v_not_b32_e32 v2, v3
	v_ashrrev_i32_e32 v2, 31, v2
	v_xor_b32_e32 v3, s17, v2
	v_xor_b32_e32 v2, s16, v2
	; wave barrier
	ds_read_b32 v42, v29 offset:64
	v_and_b32_e32 v24, v24, v44
	v_and_b32_e32 v2, v5, v2
	;; [unrolled: 1-line block ×3, first 2 shown]
	v_mbcnt_lo_u32_b32 v4, v2, 0
	v_mbcnt_hi_u32_b32 v45, v3, v4
	v_cmp_eq_u32_e64 s[16:17], 0, v45
	v_cmp_ne_u64_e64 s[18:19], 0, v[2:3]
	v_add_u32_e32 v43, 64, v13
	s_and_b64 s[18:19], s[18:19], s[16:17]
	; wave barrier
	s_and_saveexec_b64 s[16:17], s[18:19]
	s_cbranch_execz .LBB640_33
; %bb.32:
	v_bcnt_u32_b32 v2, v2, 0
	v_bcnt_u32_b32 v2, v3, v2
	s_waitcnt lgkmcnt(0)
	v_add_u32_e32 v2, v42, v2
	ds_write_b32 v29, v2 offset:64
.LBB640_33:
	s_or_b64 exec, exec, s[16:17]
	; wave barrier
	s_waitcnt lgkmcnt(0)
	s_barrier
	ds_read2_b32 v[4:5], v13 offset0:16 offset1:17
	ds_read2_b32 v[2:3], v43 offset0:2 offset1:3
	ds_read_b32 v24, v43 offset:16
	v_cmp_lt_u32_e64 s[26:27], 31, v6
	s_waitcnt lgkmcnt(1)
	v_add3_u32 v44, v5, v4, v2
	s_waitcnt lgkmcnt(0)
	v_add3_u32 v24, v44, v3, v24
	v_and_b32_e32 v44, 15, v6
	v_cmp_eq_u32_e64 s[16:17], 0, v44
	v_mov_b32_dpp v46, v24 row_shr:1 row_mask:0xf bank_mask:0xf
	v_cndmask_b32_e64 v46, v46, 0, s[16:17]
	v_add_u32_e32 v24, v46, v24
	v_cmp_lt_u32_e64 s[18:19], 1, v44
	v_cmp_lt_u32_e64 s[20:21], 3, v44
	v_mov_b32_dpp v46, v24 row_shr:2 row_mask:0xf bank_mask:0xf
	v_cndmask_b32_e64 v46, 0, v46, s[18:19]
	v_add_u32_e32 v24, v24, v46
	v_cmp_lt_u32_e64 s[22:23], 7, v44
	s_nop 0
	v_mov_b32_dpp v46, v24 row_shr:4 row_mask:0xf bank_mask:0xf
	v_cndmask_b32_e64 v46, 0, v46, s[20:21]
	v_add_u32_e32 v24, v24, v46
	s_nop 1
	v_mov_b32_dpp v46, v24 row_shr:8 row_mask:0xf bank_mask:0xf
	v_cndmask_b32_e64 v44, 0, v46, s[22:23]
	v_add_u32_e32 v24, v24, v44
	v_bfe_i32 v46, v6, 4, 1
	s_nop 0
	v_mov_b32_dpp v44, v24 row_bcast:15 row_mask:0xf bank_mask:0xf
	v_and_b32_e32 v44, v46, v44
	v_add_u32_e32 v24, v24, v44
	v_lshrrev_b32_e32 v46, 6, v10
	s_nop 0
	v_mov_b32_dpp v44, v24 row_bcast:31 row_mask:0xf bank_mask:0xf
	v_cndmask_b32_e64 v44, 0, v44, s[26:27]
	v_add_u32_e32 v44, v24, v44
	v_and_b32_e32 v24, 63, v10
	v_cmp_eq_u32_e64 s[26:27], 63, v24
	s_and_saveexec_b64 s[48:49], s[26:27]
	s_cbranch_execz .LBB640_35
; %bb.34:
	v_lshlrev_b32_e32 v24, 2, v46
	ds_write_b32 v24, v44
.LBB640_35:
	s_or_b64 exec, exec, s[48:49]
	v_cmp_gt_u32_e64 s[26:27], 16, v10
	v_lshlrev_b32_e32 v24, 2, v10
	s_waitcnt lgkmcnt(0)
	s_barrier
	s_and_saveexec_b64 s[48:49], s[26:27]
	s_cbranch_execz .LBB640_37
; %bb.36:
	ds_read_b32 v47, v24
	s_waitcnt lgkmcnt(0)
	s_nop 0
	v_mov_b32_dpp v48, v47 row_shr:1 row_mask:0xf bank_mask:0xf
	v_cndmask_b32_e64 v48, v48, 0, s[16:17]
	v_add_u32_e32 v47, v48, v47
	s_nop 1
	v_mov_b32_dpp v48, v47 row_shr:2 row_mask:0xf bank_mask:0xf
	v_cndmask_b32_e64 v48, 0, v48, s[18:19]
	v_add_u32_e32 v47, v47, v48
	;; [unrolled: 4-line block ×4, first 2 shown]
	ds_write_b32 v24, v47
.LBB640_37:
	s_or_b64 exec, exec, s[48:49]
	v_cmp_lt_u32_e64 s[16:17], 63, v10
	v_mov_b32_e32 v47, 0
	s_waitcnt lgkmcnt(0)
	s_barrier
	s_and_saveexec_b64 s[18:19], s[16:17]
	s_cbranch_execz .LBB640_39
; %bb.38:
	v_lshl_add_u32 v46, v46, 2, -4
	ds_read_b32 v47, v46
.LBB640_39:
	s_or_b64 exec, exec, s[18:19]
	v_add_u32_e32 v46, -1, v6
	v_and_b32_e32 v48, 64, v6
	v_cmp_lt_i32_e64 s[16:17], v46, v48
	v_cndmask_b32_e64 v46, v46, v6, s[16:17]
	s_waitcnt lgkmcnt(0)
	v_add_u32_e32 v44, v47, v44
	v_lshlrev_b32_e32 v46, 2, v46
	ds_bpermute_b32 v44, v46, v44
	v_cmp_eq_u32_e64 s[16:17], 0, v6
	s_waitcnt lgkmcnt(0)
	v_cndmask_b32_e64 v6, v44, v47, s[16:17]
	v_cmp_ne_u32_e64 s[16:17], 0, v10
	v_cndmask_b32_e64 v6, 0, v6, s[16:17]
	v_add_u32_e32 v4, v6, v4
	v_add_u32_e32 v5, v4, v5
	;; [unrolled: 1-line block ×4, first 2 shown]
	ds_write2_b32 v13, v6, v4 offset0:16 offset1:17
	ds_write2_b32 v43, v5, v2 offset0:2 offset1:3
	ds_write_b32 v43, v3 offset:16
	s_waitcnt lgkmcnt(0)
	s_barrier
	ds_read_b32 v2, v18 offset:64
	ds_read_b32 v47, v19 offset:64
	ds_read_b32 v48, v22 offset:64
	ds_read_b32 v49, v25 offset:64
	ds_read_b32 v50, v26 offset:64
	ds_read_b32 v51, v27 offset:64
	ds_read_b32 v52, v28 offset:64
	ds_read_b32 v53, v29 offset:64
	s_movk_i32 s16, 0x100
	v_cmp_gt_u32_e64 s[16:17], s16, v10
                                        ; implicit-def: $vgpr43
                                        ; implicit-def: $vgpr44
	s_and_saveexec_b64 s[20:21], s[16:17]
	s_cbranch_execz .LBB640_43
; %bb.40:
	v_mul_u32_u24_e32 v3, 17, v10
	v_lshlrev_b32_e32 v4, 2, v3
	ds_read_b32 v43, v4 offset:64
	s_movk_i32 s18, 0xff
	v_cmp_ne_u32_e64 s[18:19], s18, v10
	v_mov_b32_e32 v3, 0x2000
	s_and_saveexec_b64 s[22:23], s[18:19]
	s_cbranch_execz .LBB640_42
; %bb.41:
	ds_read_b32 v3, v4 offset:132
.LBB640_42:
	s_or_b64 exec, exec, s[22:23]
	s_waitcnt lgkmcnt(0)
	v_sub_u32_e32 v44, v3, v43
.LBB640_43:
	s_or_b64 exec, exec, s[20:21]
	s_waitcnt lgkmcnt(7)
	v_add_u32_e32 v46, v2, v15
	s_waitcnt lgkmcnt(6)
	v_add3_u32 v2, v31, v30, v47
	s_waitcnt lgkmcnt(5)
	v_add3_u32 v3, v33, v32, v48
	;; [unrolled: 2-line block ×7, first 2 shown]
	s_barrier
	ds_write_b8 v46, v8 offset:1024
	ds_write_b8 v2, v17 offset:1024
	;; [unrolled: 1-line block ×8, first 2 shown]
	s_and_saveexec_b64 s[20:21], s[16:17]
	s_cbranch_execz .LBB640_53
; %bb.44:
	v_lshl_or_b32 v2, s6, 8, v10
	v_mov_b32_e32 v3, 0
	v_lshlrev_b64 v[4:5], 2, v[2:3]
	v_mov_b32_e32 v8, s35
	v_add_co_u32_e64 v4, s[18:19], s34, v4
	v_addc_co_u32_e64 v5, s[18:19], v8, v5, s[18:19]
	v_or_b32_e32 v2, 2.0, v44
	s_mov_b64 s[22:23], 0
	s_brev_b32 s51, 1
	s_mov_b32 s52, s6
	v_mov_b32_e32 v9, 0
	global_store_dword v[4:5], v2, off
                                        ; implicit-def: $sgpr18_sgpr19
	s_branch .LBB640_46
.LBB640_45:                             ;   in Loop: Header=BB640_46 Depth=1
	s_or_b64 exec, exec, s[26:27]
	v_and_b32_e32 v6, 0x3fffffff, v13
	v_add_u32_e32 v9, v6, v9
	v_cmp_eq_u32_e64 s[18:19], s51, v2
	s_and_b64 s[26:27], exec, s[18:19]
	s_or_b64 s[22:23], s[26:27], s[22:23]
	s_andn2_b64 exec, exec, s[22:23]
	s_cbranch_execz .LBB640_52
.LBB640_46:                             ; =>This Loop Header: Depth=1
                                        ;     Child Loop BB640_49 Depth 2
	s_or_b64 s[18:19], s[18:19], exec
	s_cmp_eq_u32 s52, 0
	s_cbranch_scc1 .LBB640_51
; %bb.47:                               ;   in Loop: Header=BB640_46 Depth=1
	s_add_i32 s52, s52, -1
	v_lshl_or_b32 v2, s52, 8, v10
	v_lshlrev_b64 v[6:7], 2, v[2:3]
	v_add_co_u32_e64 v6, s[18:19], s34, v6
	v_addc_co_u32_e64 v7, s[18:19], v8, v7, s[18:19]
	global_load_dword v13, v[6:7], off glc
	s_waitcnt vmcnt(0)
	v_and_b32_e32 v2, -2.0, v13
	v_cmp_eq_u32_e64 s[18:19], 0, v2
	s_and_saveexec_b64 s[26:27], s[18:19]
	s_cbranch_execz .LBB640_45
; %bb.48:                               ;   in Loop: Header=BB640_46 Depth=1
	s_mov_b64 s[48:49], 0
.LBB640_49:                             ;   Parent Loop BB640_46 Depth=1
                                        ; =>  This Inner Loop Header: Depth=2
	global_load_dword v13, v[6:7], off glc
	s_waitcnt vmcnt(0)
	v_and_b32_e32 v2, -2.0, v13
	v_cmp_ne_u32_e64 s[18:19], 0, v2
	s_or_b64 s[48:49], s[18:19], s[48:49]
	s_andn2_b64 exec, exec, s[48:49]
	s_cbranch_execnz .LBB640_49
; %bb.50:                               ;   in Loop: Header=BB640_46 Depth=1
	s_or_b64 exec, exec, s[48:49]
	s_branch .LBB640_45
.LBB640_51:                             ;   in Loop: Header=BB640_46 Depth=1
                                        ; implicit-def: $sgpr52
	s_and_b64 s[26:27], exec, s[18:19]
	s_or_b64 s[22:23], s[26:27], s[22:23]
	s_andn2_b64 exec, exec, s[22:23]
	s_cbranch_execnz .LBB640_46
.LBB640_52:
	s_or_b64 exec, exec, s[22:23]
	v_add_u32_e32 v2, v9, v44
	v_or_b32_e32 v2, 0x80000000, v2
	global_store_dword v[4:5], v2, off
	global_load_dword v2, v24, s[28:29]
	v_sub_u32_e32 v3, v9, v43
	s_waitcnt vmcnt(0)
	v_add_u32_e32 v2, v3, v2
	ds_write_b32 v24, v2
.LBB640_53:
	s_or_b64 exec, exec, s[20:21]
	v_cmp_gt_u32_e64 s[18:19], s7, v10
	s_waitcnt lgkmcnt(0)
	s_barrier
	s_waitcnt lgkmcnt(0)
                                        ; implicit-def: $vgpr2_vgpr3_vgpr4_vgpr5_vgpr6_vgpr7_vgpr8_vgpr9
	s_and_saveexec_b64 s[20:21], s[18:19]
	s_cbranch_execz .LBB640_55
; %bb.54:
	ds_read_u8 v3, v10 offset:1024
	s_waitcnt lgkmcnt(0)
	v_lshrrev_b32_sdwa v2, s44, v3 dst_sel:DWORD dst_unused:UNUSED_PAD src0_sel:DWORD src1_sel:BYTE_0
	v_and_b32_e32 v2, s50, v2
	v_lshlrev_b32_e32 v4, 2, v2
	ds_read_b32 v4, v4
	v_xor_b32_e32 v3, 0x80, v3
	s_waitcnt lgkmcnt(0)
	v_add_u32_e32 v4, v4, v10
	global_store_byte v4, v3, s[38:39]
.LBB640_55:
	s_or_b64 exec, exec, s[20:21]
	v_or_b32_e32 v13, 0x400, v10
	v_cmp_gt_u32_e64 s[18:19], s7, v13
	s_and_saveexec_b64 s[20:21], s[18:19]
	s_cbranch_execz .LBB640_57
; %bb.56:
	ds_read_u8 v15, v10 offset:2048
	s_waitcnt lgkmcnt(0)
	v_lshrrev_b32_sdwa v3, s44, v15 dst_sel:DWORD dst_unused:UNUSED_PAD src0_sel:DWORD src1_sel:BYTE_0
	v_and_b32_e32 v3, s50, v3
	v_lshlrev_b32_e32 v16, 2, v3
	ds_read_b32 v16, v16
	v_xor_b32_e32 v15, 0x80, v15
	s_waitcnt lgkmcnt(0)
	v_add_u32_e32 v13, v16, v13
	global_store_byte v13, v15, s[38:39]
.LBB640_57:
	s_or_b64 exec, exec, s[20:21]
	v_or_b32_e32 v13, 0x800, v10
	v_cmp_gt_u32_e64 s[18:19], s7, v13
	;; [unrolled: 17-line block ×7, first 2 shown]
	s_and_saveexec_b64 s[20:21], s[18:19]
	s_cbranch_execz .LBB640_69
; %bb.68:
	ds_read_u8 v15, v10 offset:8192
	s_waitcnt lgkmcnt(0)
	v_lshrrev_b32_sdwa v9, s44, v15 dst_sel:DWORD dst_unused:UNUSED_PAD src0_sel:DWORD src1_sel:BYTE_0
	v_and_b32_e32 v9, s50, v9
	v_lshlrev_b32_e32 v16, 2, v9
	ds_read_b32 v16, v16
	v_xor_b32_e32 v15, 0x80, v15
	s_waitcnt lgkmcnt(0)
	v_add_u32_e32 v13, v16, v13
	global_store_byte v13, v15, s[38:39]
.LBB640_69:
	s_or_b64 exec, exec, s[20:21]
	s_lshl_b64 s[18:19], s[46:47], 3
	s_add_u32 s18, s40, s18
	s_addc_u32 s19, s41, s19
	v_lshlrev_b32_e32 v13, 3, v14
	v_mov_b32_e32 v14, s19
	v_add_co_u32_e64 v13, s[18:19], s18, v13
	v_addc_co_u32_e64 v14, s[18:19], 0, v14, s[18:19]
	v_lshlrev_b32_e32 v12, 3, v12
	v_add_co_u32_e64 v28, s[18:19], v13, v12
	v_addc_co_u32_e64 v29, s[18:19], 0, v14, s[18:19]
                                        ; implicit-def: $vgpr12_vgpr13
	s_and_saveexec_b64 s[18:19], vcc
	s_xor_b64 s[18:19], exec, s[18:19]
	s_cbranch_execnz .LBB640_134
; %bb.70:
	s_or_b64 exec, exec, s[18:19]
                                        ; implicit-def: $vgpr14_vgpr15
	s_and_saveexec_b64 s[18:19], s[0:1]
	s_cbranch_execnz .LBB640_135
.LBB640_71:
	s_or_b64 exec, exec, s[18:19]
                                        ; implicit-def: $vgpr16_vgpr17
	s_and_saveexec_b64 s[0:1], s[2:3]
	s_cbranch_execnz .LBB640_136
.LBB640_72:
	s_or_b64 exec, exec, s[0:1]
                                        ; implicit-def: $vgpr18_vgpr19
	s_and_saveexec_b64 s[0:1], s[24:25]
	s_cbranch_execnz .LBB640_137
.LBB640_73:
	s_or_b64 exec, exec, s[0:1]
                                        ; implicit-def: $vgpr20_vgpr21
	s_and_saveexec_b64 s[0:1], s[8:9]
	s_cbranch_execnz .LBB640_138
.LBB640_74:
	s_or_b64 exec, exec, s[0:1]
                                        ; implicit-def: $vgpr22_vgpr23
	s_and_saveexec_b64 s[0:1], s[10:11]
	s_cbranch_execnz .LBB640_139
.LBB640_75:
	s_or_b64 exec, exec, s[0:1]
                                        ; implicit-def: $vgpr24_vgpr25
	s_and_saveexec_b64 s[0:1], s[12:13]
	s_cbranch_execnz .LBB640_140
.LBB640_76:
	s_or_b64 exec, exec, s[0:1]
                                        ; implicit-def: $vgpr26_vgpr27
	s_and_saveexec_b64 s[0:1], s[14:15]
	s_cbranch_execz .LBB640_78
.LBB640_77:
	global_load_dwordx2 v[26:27], v[28:29], off offset:3584
.LBB640_78:
	s_or_b64 exec, exec, s[0:1]
	s_movk_i32 s2, 0x400
	v_add_u32_e32 v54, 0x400, v11
	v_add3_u32 v42, v45, v53, v42
	v_add3_u32 v40, v41, v52, v40
	;; [unrolled: 1-line block ×7, first 2 shown]
	s_mov_b32 s3, 0
	v_mov_b32_e32 v29, 0
	s_mov_b32 s8, 0
	v_mov_b32_e32 v31, v10
	s_barrier
	s_waitcnt vmcnt(0)
	s_branch .LBB640_80
.LBB640_79:                             ;   in Loop: Header=BB640_80 Depth=1
	s_or_b64 exec, exec, s[0:1]
	s_addk_i32 s8, 0xf800
	s_add_i32 s3, s3, 2
	s_cmpk_eq_i32 s8, 0xe000
	v_add_u32_e32 v31, 0x800, v31
	s_barrier
	s_cbranch_scc1 .LBB640_85
.LBB640_80:                             ; =>This Inner Loop Header: Depth=1
	v_add_u32_e32 v28, s8, v46
	v_min_u32_e32 v28, 0x800, v28
	v_lshlrev_b32_e32 v28, 3, v28
	ds_write_b64 v28, v[12:13] offset:1024
	v_add_u32_e32 v28, s8, v30
	v_min_u32_e32 v28, 0x800, v28
	v_lshlrev_b32_e32 v28, 3, v28
	ds_write_b64 v28, v[14:15] offset:1024
	;; [unrolled: 4-line block ×7, first 2 shown]
	v_add_u32_e32 v28, s8, v42
	v_min_u32_e32 v28, 0x800, v28
	v_lshlrev_b32_e32 v28, 3, v28
	v_cmp_gt_u32_e32 vcc, s7, v31
	ds_write_b64 v28, v[26:27] offset:1024
	s_waitcnt lgkmcnt(0)
	s_barrier
	s_and_saveexec_b64 s[0:1], vcc
	s_cbranch_execz .LBB640_82
; %bb.81:                               ;   in Loop: Header=BB640_80 Depth=1
	s_cmp_eq_u32 s3, 1
	s_cselect_b64 vcc, -1, 0
	s_cmp_eq_u32 s3, 2
	v_cndmask_b32_e32 v28, v2, v3, vcc
	s_cselect_b64 vcc, -1, 0
	s_cmp_eq_u32 s3, 3
	v_cndmask_b32_e32 v28, v28, v4, vcc
	;; [unrolled: 3-line block ×6, first 2 shown]
	s_cselect_b64 vcc, -1, 0
	v_cndmask_b32_e32 v28, v28, v9, vcc
	v_lshlrev_b32_e32 v28, 2, v28
	ds_read_b32 v28, v28
	ds_read_b64 v[48:49], v11 offset:1024
	s_waitcnt lgkmcnt(1)
	v_add_u32_e32 v28, v31, v28
	v_lshlrev_b64 v[50:51], 3, v[28:29]
	v_mov_b32_e32 v28, s43
	v_add_co_u32_e32 v50, vcc, s42, v50
	v_addc_co_u32_e32 v51, vcc, v28, v51, vcc
	s_waitcnt lgkmcnt(0)
	global_store_dwordx2 v[50:51], v[48:49], off
.LBB640_82:                             ;   in Loop: Header=BB640_80 Depth=1
	s_or_b64 exec, exec, s[0:1]
	v_add_u32_e32 v28, 0x400, v31
	v_cmp_gt_u32_e32 vcc, s7, v28
	s_and_saveexec_b64 s[0:1], vcc
	s_cbranch_execz .LBB640_79
; %bb.83:                               ;   in Loop: Header=BB640_80 Depth=1
	s_add_i32 s9, s3, 1
	s_cmp_eq_u32 s9, 1
	s_cselect_b64 vcc, -1, 0
	s_cmp_eq_u32 s9, 2
	v_cndmask_b32_e32 v28, v2, v3, vcc
	s_cselect_b64 vcc, -1, 0
	s_cmp_eq_u32 s9, 3
	v_cndmask_b32_e32 v28, v28, v4, vcc
	;; [unrolled: 3-line block ×6, first 2 shown]
	s_cselect_b64 vcc, -1, 0
	v_cndmask_b32_e32 v28, v28, v9, vcc
	v_lshlrev_b32_e32 v28, 2, v28
	ds_read_b32 v28, v28
	ds_read_b64 v[48:49], v54 offset:8192
	s_waitcnt lgkmcnt(1)
	v_add3_u32 v28, v31, v28, s2
	v_lshlrev_b64 v[50:51], 3, v[28:29]
	v_mov_b32_e32 v28, s43
	v_add_co_u32_e32 v50, vcc, s42, v50
	v_addc_co_u32_e32 v51, vcc, v28, v51, vcc
	s_waitcnt lgkmcnt(0)
	global_store_dwordx2 v[50:51], v[48:49], off
	s_branch .LBB640_79
.LBB640_84:
	s_mov_b64 s[10:11], 0
                                        ; implicit-def: $vgpr2
                                        ; implicit-def: $vgpr10_vgpr11
	s_cbranch_execnz .LBB640_88
	s_branch .LBB640_131
.LBB640_85:
	s_add_i32 s33, s33, -1
	s_cmp_eq_u32 s33, s6
	s_cselect_b64 s[0:1], -1, 0
	s_and_b64 s[2:3], s[16:17], s[0:1]
	s_mov_b64 s[0:1], 0
	s_mov_b64 s[10:11], 0
                                        ; implicit-def: $vgpr2
	s_and_saveexec_b64 s[8:9], s[2:3]
	s_xor_b64 s[2:3], exec, s[8:9]
; %bb.86:
	s_mov_b64 s[10:11], exec
	v_mov_b32_e32 v11, 0
	v_add_u32_e32 v2, v43, v44
; %bb.87:
	s_or_b64 exec, exec, s[2:3]
	s_and_b64 vcc, exec, s[0:1]
	s_cbranch_vccz .LBB640_131
.LBB640_88:
	s_lshl_b32 s12, s6, 13
	v_mbcnt_hi_u32_b32 v5, -1, v1
	s_add_u32 s0, s36, s12
	v_and_b32_e32 v12, 63, v5
	v_add_co_u32_e32 v3, vcc, s0, v12
	s_load_dword s7, s[4:5], 0x58
	s_load_dword s0, s[4:5], 0x64
	v_and_b32_e32 v8, 0x3ff, v0
	s_addc_u32 s1, s37, 0
	v_lshlrev_b32_e32 v1, 3, v8
	v_and_b32_e32 v14, 0x1e00, v1
	v_mov_b32_e32 v1, s1
	v_addc_co_u32_e32 v1, vcc, 0, v1, vcc
	s_add_u32 s1, s4, 0x58
	v_add_co_u32_e32 v26, vcc, v3, v14
	s_addc_u32 s2, s5, 0
	s_waitcnt lgkmcnt(0)
	s_lshr_b32 s3, s0, 16
	v_addc_co_u32_e32 v27, vcc, 0, v1, vcc
	s_cmp_lt_u32 s6, s7
	global_load_ubyte v1, v[26:27], off
	s_cselect_b32 s0, 12, 18
	s_add_u32 s0, s1, s0
	v_mov_b32_e32 v2, 0
	s_addc_u32 s1, s2, 0
	global_load_ushort v7, v2, s[0:1]
	v_mul_u32_u24_e32 v4, 5, v8
	v_lshlrev_b32_e32 v6, 2, v4
	ds_write2_b32 v6, v2, v2 offset0:16 offset1:17
	ds_write2_b32 v6, v2, v2 offset0:18 offset1:19
	ds_write_b32 v6, v2 offset:80
	global_load_ubyte v10, v[26:27], off offset:64
	global_load_ubyte v16, v[26:27], off offset:128
	;; [unrolled: 1-line block ×7, first 2 shown]
	s_lshl_b32 s0, -1, s45
	v_bfe_u32 v3, v0, 10, 10
	v_bfe_u32 v0, v0, 20, 10
	s_not_b32 s16, s0
	v_mad_u32_u24 v0, v0, s3, v3
	s_mov_b32 s13, 0
	s_waitcnt lgkmcnt(0)
	s_barrier
	s_waitcnt lgkmcnt(0)
	; wave barrier
	s_waitcnt vmcnt(8)
	v_xor_b32_e32 v4, 0x80, v1
	v_lshrrev_b32_e32 v1, s44, v4
	v_and_b32_e32 v9, s16, v1
	v_and_b32_e32 v13, 1, v9
	v_lshlrev_b32_e32 v3, 30, v9
	s_waitcnt vmcnt(7)
	v_mad_u64_u32 v[0:1], s[0:1], v0, v7, v[8:9]
	v_add_co_u32_e32 v1, vcc, -1, v13
	v_addc_co_u32_e64 v7, s[0:1], 0, -1, vcc
	v_cmp_ne_u32_e32 vcc, 0, v13
	v_cmp_gt_i64_e64 s[0:1], 0, v[2:3]
	v_not_b32_e32 v13, v3
	v_lshlrev_b32_e32 v3, 29, v9
	v_mul_u32_u24_e32 v11, 17, v9
	v_lshrrev_b32_e32 v26, 6, v0
	v_xor_b32_e32 v0, vcc_hi, v7
	v_xor_b32_e32 v1, vcc_lo, v1
	v_ashrrev_i32_e32 v13, 31, v13
	v_cmp_gt_i64_e32 vcc, 0, v[2:3]
	v_not_b32_e32 v15, v3
	v_lshlrev_b32_e32 v3, 28, v9
	v_add_lshl_u32 v7, v26, v11, 2
	v_and_b32_e32 v0, exec_hi, v0
	v_and_b32_e32 v1, exec_lo, v1
	v_xor_b32_e32 v11, s1, v13
	v_xor_b32_e32 v13, s0, v13
	v_ashrrev_i32_e32 v15, 31, v15
	v_cmp_gt_i64_e64 s[0:1], 0, v[2:3]
	v_not_b32_e32 v17, v3
	v_lshlrev_b32_e32 v3, 27, v9
	v_and_b32_e32 v0, v0, v11
	v_and_b32_e32 v1, v1, v13
	v_xor_b32_e32 v11, vcc_hi, v15
	v_xor_b32_e32 v13, vcc_lo, v15
	v_ashrrev_i32_e32 v15, 31, v17
	v_cmp_gt_i64_e32 vcc, 0, v[2:3]
	v_not_b32_e32 v3, v3
	v_and_b32_e32 v0, v0, v11
	v_and_b32_e32 v1, v1, v13
	v_xor_b32_e32 v11, s1, v15
	v_xor_b32_e32 v13, s0, v15
	v_ashrrev_i32_e32 v3, 31, v3
	v_and_b32_e32 v0, v0, v11
	v_and_b32_e32 v1, v1, v13
	v_xor_b32_e32 v11, vcc_hi, v3
	v_xor_b32_e32 v3, vcc_lo, v3
	v_and_b32_e32 v1, v1, v3
	v_lshlrev_b32_e32 v3, 26, v9
	v_cmp_gt_i64_e32 vcc, 0, v[2:3]
	v_not_b32_e32 v3, v3
	v_ashrrev_i32_e32 v3, 31, v3
	v_and_b32_e32 v0, v0, v11
	v_xor_b32_e32 v11, vcc_hi, v3
	v_xor_b32_e32 v3, vcc_lo, v3
	v_and_b32_e32 v1, v1, v3
	v_lshlrev_b32_e32 v3, 25, v9
	v_cmp_gt_i64_e32 vcc, 0, v[2:3]
	v_not_b32_e32 v3, v3
	v_ashrrev_i32_e32 v3, 31, v3
	v_and_b32_e32 v0, v0, v11
	v_xor_b32_e32 v11, vcc_hi, v3
	v_xor_b32_e32 v3, vcc_lo, v3
	v_and_b32_e32 v0, v0, v11
	v_and_b32_e32 v11, v1, v3
	v_lshlrev_b32_e32 v3, 24, v9
	v_not_b32_e32 v1, v3
	v_cmp_gt_i64_e32 vcc, 0, v[2:3]
	v_ashrrev_i32_e32 v1, 31, v1
	v_xor_b32_e32 v3, vcc_hi, v1
	v_xor_b32_e32 v9, vcc_lo, v1
	v_and_b32_e32 v1, v0, v3
	v_and_b32_e32 v0, v11, v9
	v_mbcnt_lo_u32_b32 v3, v0, 0
	v_mbcnt_hi_u32_b32 v9, v1, v3
	v_cmp_eq_u32_e32 vcc, 0, v9
	v_cmp_ne_u64_e64 s[0:1], 0, v[0:1]
	s_and_b64 s[2:3], s[0:1], vcc
	s_and_saveexec_b64 s[0:1], s[2:3]
	s_cbranch_execz .LBB640_90
; %bb.89:
	v_bcnt_u32_b32 v0, v0, 0
	v_bcnt_u32_b32 v0, v1, v0
	ds_write_b32 v7, v0 offset:64
.LBB640_90:
	s_or_b64 exec, exec, s[0:1]
	s_waitcnt vmcnt(6)
	v_xor_b32_e32 v10, 0xffffff80, v10
	v_lshrrev_b32_sdwa v0, s44, v10 dst_sel:DWORD dst_unused:UNUSED_PAD src0_sel:DWORD src1_sel:BYTE_0
	v_and_b32_e32 v0, s16, v0
	v_mul_u32_u24_e32 v1, 17, v0
	v_add_lshl_u32 v11, v26, v1, 2
	v_and_b32_e32 v1, 1, v0
	v_add_co_u32_e32 v3, vcc, -1, v1
	v_addc_co_u32_e64 v15, s[0:1], 0, -1, vcc
	v_cmp_ne_u32_e32 vcc, 0, v1
	v_xor_b32_e32 v3, vcc_lo, v3
	v_xor_b32_e32 v1, vcc_hi, v15
	v_and_b32_e32 v15, exec_lo, v3
	v_lshlrev_b32_e32 v3, 30, v0
	v_cmp_gt_i64_e32 vcc, 0, v[2:3]
	v_not_b32_e32 v3, v3
	v_ashrrev_i32_e32 v3, 31, v3
	v_xor_b32_e32 v17, vcc_hi, v3
	v_xor_b32_e32 v3, vcc_lo, v3
	v_and_b32_e32 v15, v15, v3
	v_lshlrev_b32_e32 v3, 29, v0
	v_cmp_gt_i64_e32 vcc, 0, v[2:3]
	v_not_b32_e32 v3, v3
	v_and_b32_e32 v1, exec_hi, v1
	v_ashrrev_i32_e32 v3, 31, v3
	v_and_b32_e32 v1, v1, v17
	v_xor_b32_e32 v17, vcc_hi, v3
	v_xor_b32_e32 v3, vcc_lo, v3
	v_and_b32_e32 v15, v15, v3
	v_lshlrev_b32_e32 v3, 28, v0
	v_cmp_gt_i64_e32 vcc, 0, v[2:3]
	v_not_b32_e32 v3, v3
	v_ashrrev_i32_e32 v3, 31, v3
	v_and_b32_e32 v1, v1, v17
	v_xor_b32_e32 v17, vcc_hi, v3
	v_xor_b32_e32 v3, vcc_lo, v3
	v_and_b32_e32 v15, v15, v3
	v_lshlrev_b32_e32 v3, 27, v0
	v_cmp_gt_i64_e32 vcc, 0, v[2:3]
	v_not_b32_e32 v3, v3
	;; [unrolled: 8-line block ×4, first 2 shown]
	v_ashrrev_i32_e32 v3, 31, v3
	v_and_b32_e32 v1, v1, v17
	v_xor_b32_e32 v17, vcc_hi, v3
	v_xor_b32_e32 v3, vcc_lo, v3
	v_and_b32_e32 v15, v15, v3
	v_lshlrev_b32_e32 v3, 24, v0
	v_not_b32_e32 v0, v3
	v_cmp_gt_i64_e32 vcc, 0, v[2:3]
	v_ashrrev_i32_e32 v0, 31, v0
	v_xor_b32_e32 v2, vcc_hi, v0
	v_xor_b32_e32 v0, vcc_lo, v0
	; wave barrier
	ds_read_b32 v13, v11 offset:64
	v_and_b32_e32 v1, v1, v17
	v_and_b32_e32 v0, v15, v0
	;; [unrolled: 1-line block ×3, first 2 shown]
	v_mbcnt_lo_u32_b32 v2, v0, 0
	v_mbcnt_hi_u32_b32 v15, v1, v2
	v_cmp_eq_u32_e32 vcc, 0, v15
	v_cmp_ne_u64_e64 s[0:1], 0, v[0:1]
	s_and_b64 s[2:3], s[0:1], vcc
	; wave barrier
	s_and_saveexec_b64 s[0:1], s[2:3]
	s_cbranch_execz .LBB640_92
; %bb.91:
	v_bcnt_u32_b32 v0, v0, 0
	v_bcnt_u32_b32 v0, v1, v0
	s_waitcnt lgkmcnt(0)
	v_add_u32_e32 v0, v13, v0
	ds_write_b32 v11, v0 offset:64
.LBB640_92:
	s_or_b64 exec, exec, s[0:1]
	s_waitcnt vmcnt(5)
	v_xor_b32_e32 v22, 0xffffff80, v16
	v_lshrrev_b32_sdwa v0, s44, v22 dst_sel:DWORD dst_unused:UNUSED_PAD src0_sel:DWORD src1_sel:BYTE_0
	v_and_b32_e32 v2, s16, v0
	v_and_b32_e32 v1, 1, v2
	v_add_co_u32_e32 v3, vcc, -1, v1
	v_addc_co_u32_e64 v17, s[0:1], 0, -1, vcc
	v_cmp_ne_u32_e32 vcc, 0, v1
	v_mul_u32_u24_e32 v0, 17, v2
	v_xor_b32_e32 v1, vcc_hi, v17
	v_add_lshl_u32 v25, v26, v0, 2
	v_mov_b32_e32 v0, 0
	v_and_b32_e32 v17, exec_hi, v1
	v_lshlrev_b32_e32 v1, 30, v2
	v_xor_b32_e32 v3, vcc_lo, v3
	v_cmp_gt_i64_e32 vcc, 0, v[0:1]
	v_not_b32_e32 v1, v1
	v_ashrrev_i32_e32 v1, 31, v1
	v_and_b32_e32 v3, exec_lo, v3
	v_xor_b32_e32 v19, vcc_hi, v1
	v_xor_b32_e32 v1, vcc_lo, v1
	v_and_b32_e32 v3, v3, v1
	v_lshlrev_b32_e32 v1, 29, v2
	v_cmp_gt_i64_e32 vcc, 0, v[0:1]
	v_not_b32_e32 v1, v1
	v_ashrrev_i32_e32 v1, 31, v1
	v_and_b32_e32 v17, v17, v19
	v_xor_b32_e32 v19, vcc_hi, v1
	v_xor_b32_e32 v1, vcc_lo, v1
	v_and_b32_e32 v3, v3, v1
	v_lshlrev_b32_e32 v1, 28, v2
	v_cmp_gt_i64_e32 vcc, 0, v[0:1]
	v_not_b32_e32 v1, v1
	v_ashrrev_i32_e32 v1, 31, v1
	v_and_b32_e32 v17, v17, v19
	;; [unrolled: 8-line block ×5, first 2 shown]
	v_xor_b32_e32 v19, vcc_hi, v1
	v_xor_b32_e32 v1, vcc_lo, v1
	v_and_b32_e32 v17, v17, v19
	v_and_b32_e32 v19, v3, v1
	v_lshlrev_b32_e32 v1, 24, v2
	v_cmp_gt_i64_e32 vcc, 0, v[0:1]
	v_not_b32_e32 v1, v1
	v_ashrrev_i32_e32 v1, 31, v1
	v_xor_b32_e32 v2, vcc_hi, v1
	v_xor_b32_e32 v1, vcc_lo, v1
	; wave barrier
	ds_read_b32 v16, v25 offset:64
	v_and_b32_e32 v3, v17, v2
	v_and_b32_e32 v2, v19, v1
	v_mbcnt_lo_u32_b32 v1, v2, 0
	v_mbcnt_hi_u32_b32 v17, v3, v1
	v_cmp_eq_u32_e32 vcc, 0, v17
	v_cmp_ne_u64_e64 s[0:1], 0, v[2:3]
	s_and_b64 s[2:3], s[0:1], vcc
	; wave barrier
	s_and_saveexec_b64 s[0:1], s[2:3]
	s_cbranch_execz .LBB640_94
; %bb.93:
	v_bcnt_u32_b32 v1, v2, 0
	v_bcnt_u32_b32 v1, v3, v1
	s_waitcnt lgkmcnt(0)
	v_add_u32_e32 v1, v16, v1
	ds_write_b32 v25, v1 offset:64
.LBB640_94:
	s_or_b64 exec, exec, s[0:1]
	s_waitcnt vmcnt(4)
	v_xor_b32_e32 v28, 0xffffff80, v18
	v_lshrrev_b32_sdwa v1, s44, v28 dst_sel:DWORD dst_unused:UNUSED_PAD src0_sel:DWORD src1_sel:BYTE_0
	v_and_b32_e32 v2, s16, v1
	v_mul_u32_u24_e32 v1, 17, v2
	v_add_lshl_u32 v30, v26, v1, 2
	v_and_b32_e32 v1, 1, v2
	v_add_co_u32_e32 v3, vcc, -1, v1
	v_addc_co_u32_e64 v19, s[0:1], 0, -1, vcc
	v_cmp_ne_u32_e32 vcc, 0, v1
	v_xor_b32_e32 v1, vcc_hi, v19
	v_and_b32_e32 v19, exec_hi, v1
	v_lshlrev_b32_e32 v1, 30, v2
	v_xor_b32_e32 v3, vcc_lo, v3
	v_cmp_gt_i64_e32 vcc, 0, v[0:1]
	v_not_b32_e32 v1, v1
	v_ashrrev_i32_e32 v1, 31, v1
	v_and_b32_e32 v3, exec_lo, v3
	v_xor_b32_e32 v21, vcc_hi, v1
	v_xor_b32_e32 v1, vcc_lo, v1
	v_and_b32_e32 v3, v3, v1
	v_lshlrev_b32_e32 v1, 29, v2
	v_cmp_gt_i64_e32 vcc, 0, v[0:1]
	v_not_b32_e32 v1, v1
	v_ashrrev_i32_e32 v1, 31, v1
	v_and_b32_e32 v19, v19, v21
	v_xor_b32_e32 v21, vcc_hi, v1
	v_xor_b32_e32 v1, vcc_lo, v1
	v_and_b32_e32 v3, v3, v1
	v_lshlrev_b32_e32 v1, 28, v2
	v_cmp_gt_i64_e32 vcc, 0, v[0:1]
	v_not_b32_e32 v1, v1
	v_ashrrev_i32_e32 v1, 31, v1
	v_and_b32_e32 v19, v19, v21
	;; [unrolled: 8-line block ×5, first 2 shown]
	v_xor_b32_e32 v21, vcc_hi, v1
	v_xor_b32_e32 v1, vcc_lo, v1
	v_and_b32_e32 v3, v3, v1
	v_lshlrev_b32_e32 v1, 24, v2
	v_cmp_gt_i64_e32 vcc, 0, v[0:1]
	v_not_b32_e32 v0, v1
	v_ashrrev_i32_e32 v0, 31, v0
	v_xor_b32_e32 v1, vcc_hi, v0
	v_xor_b32_e32 v0, vcc_lo, v0
	; wave barrier
	ds_read_b32 v18, v30 offset:64
	v_and_b32_e32 v19, v19, v21
	v_and_b32_e32 v0, v3, v0
	;; [unrolled: 1-line block ×3, first 2 shown]
	v_mbcnt_lo_u32_b32 v2, v0, 0
	v_mbcnt_hi_u32_b32 v19, v1, v2
	v_cmp_eq_u32_e32 vcc, 0, v19
	v_cmp_ne_u64_e64 s[0:1], 0, v[0:1]
	s_and_b64 s[2:3], s[0:1], vcc
	; wave barrier
	s_and_saveexec_b64 s[0:1], s[2:3]
	s_cbranch_execz .LBB640_96
; %bb.95:
	v_bcnt_u32_b32 v0, v0, 0
	v_bcnt_u32_b32 v0, v1, v0
	s_waitcnt lgkmcnt(0)
	v_add_u32_e32 v0, v18, v0
	ds_write_b32 v30, v0 offset:64
.LBB640_96:
	s_or_b64 exec, exec, s[0:1]
	s_waitcnt vmcnt(3)
	v_xor_b32_e32 v32, 0xffffff80, v20
	v_lshrrev_b32_sdwa v0, s44, v32 dst_sel:DWORD dst_unused:UNUSED_PAD src0_sel:DWORD src1_sel:BYTE_0
	v_and_b32_e32 v2, s16, v0
	v_and_b32_e32 v1, 1, v2
	v_add_co_u32_e32 v3, vcc, -1, v1
	v_addc_co_u32_e64 v21, s[0:1], 0, -1, vcc
	v_cmp_ne_u32_e32 vcc, 0, v1
	v_mul_u32_u24_e32 v0, 17, v2
	v_xor_b32_e32 v1, vcc_hi, v21
	v_add_lshl_u32 v33, v26, v0, 2
	v_mov_b32_e32 v0, 0
	v_and_b32_e32 v21, exec_hi, v1
	v_lshlrev_b32_e32 v1, 30, v2
	v_xor_b32_e32 v3, vcc_lo, v3
	v_cmp_gt_i64_e32 vcc, 0, v[0:1]
	v_not_b32_e32 v1, v1
	v_ashrrev_i32_e32 v1, 31, v1
	v_and_b32_e32 v3, exec_lo, v3
	v_xor_b32_e32 v27, vcc_hi, v1
	v_xor_b32_e32 v1, vcc_lo, v1
	v_and_b32_e32 v3, v3, v1
	v_lshlrev_b32_e32 v1, 29, v2
	v_cmp_gt_i64_e32 vcc, 0, v[0:1]
	v_not_b32_e32 v1, v1
	v_ashrrev_i32_e32 v1, 31, v1
	v_and_b32_e32 v21, v21, v27
	v_xor_b32_e32 v27, vcc_hi, v1
	v_xor_b32_e32 v1, vcc_lo, v1
	v_and_b32_e32 v3, v3, v1
	v_lshlrev_b32_e32 v1, 28, v2
	v_cmp_gt_i64_e32 vcc, 0, v[0:1]
	v_not_b32_e32 v1, v1
	v_ashrrev_i32_e32 v1, 31, v1
	v_and_b32_e32 v21, v21, v27
	;; [unrolled: 8-line block ×5, first 2 shown]
	v_xor_b32_e32 v27, vcc_hi, v1
	v_xor_b32_e32 v1, vcc_lo, v1
	v_and_b32_e32 v21, v21, v27
	v_and_b32_e32 v27, v3, v1
	v_lshlrev_b32_e32 v1, 24, v2
	v_cmp_gt_i64_e32 vcc, 0, v[0:1]
	v_not_b32_e32 v1, v1
	v_ashrrev_i32_e32 v1, 31, v1
	v_xor_b32_e32 v2, vcc_hi, v1
	v_xor_b32_e32 v1, vcc_lo, v1
	; wave barrier
	ds_read_b32 v20, v33 offset:64
	v_and_b32_e32 v3, v21, v2
	v_and_b32_e32 v2, v27, v1
	v_mbcnt_lo_u32_b32 v1, v2, 0
	v_mbcnt_hi_u32_b32 v21, v3, v1
	v_cmp_eq_u32_e32 vcc, 0, v21
	v_cmp_ne_u64_e64 s[0:1], 0, v[2:3]
	s_and_b64 s[2:3], s[0:1], vcc
	; wave barrier
	s_and_saveexec_b64 s[0:1], s[2:3]
	s_cbranch_execz .LBB640_98
; %bb.97:
	v_bcnt_u32_b32 v1, v2, 0
	v_bcnt_u32_b32 v1, v3, v1
	s_waitcnt lgkmcnt(0)
	v_add_u32_e32 v1, v20, v1
	ds_write_b32 v33, v1 offset:64
.LBB640_98:
	s_or_b64 exec, exec, s[0:1]
	s_waitcnt vmcnt(2)
	v_xor_b32_e32 v34, 0xffffff80, v23
	v_lshrrev_b32_sdwa v1, s44, v34 dst_sel:DWORD dst_unused:UNUSED_PAD src0_sel:DWORD src1_sel:BYTE_0
	v_and_b32_e32 v2, s16, v1
	v_mul_u32_u24_e32 v1, 17, v2
	v_add_lshl_u32 v35, v26, v1, 2
	v_and_b32_e32 v1, 1, v2
	v_add_co_u32_e32 v3, vcc, -1, v1
	v_addc_co_u32_e64 v27, s[0:1], 0, -1, vcc
	v_cmp_ne_u32_e32 vcc, 0, v1
	v_xor_b32_e32 v1, vcc_hi, v27
	v_and_b32_e32 v27, exec_hi, v1
	v_lshlrev_b32_e32 v1, 30, v2
	v_xor_b32_e32 v3, vcc_lo, v3
	v_cmp_gt_i64_e32 vcc, 0, v[0:1]
	v_not_b32_e32 v1, v1
	v_ashrrev_i32_e32 v1, 31, v1
	v_and_b32_e32 v3, exec_lo, v3
	v_xor_b32_e32 v31, vcc_hi, v1
	v_xor_b32_e32 v1, vcc_lo, v1
	v_and_b32_e32 v3, v3, v1
	v_lshlrev_b32_e32 v1, 29, v2
	v_cmp_gt_i64_e32 vcc, 0, v[0:1]
	v_not_b32_e32 v1, v1
	v_ashrrev_i32_e32 v1, 31, v1
	v_and_b32_e32 v27, v27, v31
	v_xor_b32_e32 v31, vcc_hi, v1
	v_xor_b32_e32 v1, vcc_lo, v1
	v_and_b32_e32 v3, v3, v1
	v_lshlrev_b32_e32 v1, 28, v2
	v_cmp_gt_i64_e32 vcc, 0, v[0:1]
	v_not_b32_e32 v1, v1
	v_ashrrev_i32_e32 v1, 31, v1
	v_and_b32_e32 v27, v27, v31
	;; [unrolled: 8-line block ×5, first 2 shown]
	v_xor_b32_e32 v31, vcc_hi, v1
	v_xor_b32_e32 v1, vcc_lo, v1
	v_and_b32_e32 v3, v3, v1
	v_lshlrev_b32_e32 v1, 24, v2
	v_cmp_gt_i64_e32 vcc, 0, v[0:1]
	v_not_b32_e32 v0, v1
	v_ashrrev_i32_e32 v0, 31, v0
	v_xor_b32_e32 v1, vcc_hi, v0
	v_xor_b32_e32 v0, vcc_lo, v0
	; wave barrier
	ds_read_b32 v23, v35 offset:64
	v_and_b32_e32 v27, v27, v31
	v_and_b32_e32 v0, v3, v0
	;; [unrolled: 1-line block ×3, first 2 shown]
	v_mbcnt_lo_u32_b32 v2, v0, 0
	v_mbcnt_hi_u32_b32 v27, v1, v2
	v_cmp_eq_u32_e32 vcc, 0, v27
	v_cmp_ne_u64_e64 s[0:1], 0, v[0:1]
	s_and_b64 s[2:3], s[0:1], vcc
	; wave barrier
	s_and_saveexec_b64 s[0:1], s[2:3]
	s_cbranch_execz .LBB640_100
; %bb.99:
	v_bcnt_u32_b32 v0, v0, 0
	v_bcnt_u32_b32 v0, v1, v0
	s_waitcnt lgkmcnt(0)
	v_add_u32_e32 v0, v23, v0
	ds_write_b32 v35, v0 offset:64
.LBB640_100:
	s_or_b64 exec, exec, s[0:1]
	s_waitcnt vmcnt(1)
	v_xor_b32_e32 v36, 0xffffff80, v29
	v_lshrrev_b32_sdwa v0, s44, v36 dst_sel:DWORD dst_unused:UNUSED_PAD src0_sel:DWORD src1_sel:BYTE_0
	v_and_b32_e32 v2, s16, v0
	v_and_b32_e32 v1, 1, v2
	v_add_co_u32_e32 v3, vcc, -1, v1
	v_addc_co_u32_e64 v31, s[0:1], 0, -1, vcc
	v_cmp_ne_u32_e32 vcc, 0, v1
	v_mul_u32_u24_e32 v0, 17, v2
	v_xor_b32_e32 v1, vcc_hi, v31
	v_add_lshl_u32 v41, v26, v0, 2
	v_mov_b32_e32 v0, 0
	v_and_b32_e32 v31, exec_hi, v1
	v_lshlrev_b32_e32 v1, 30, v2
	v_xor_b32_e32 v3, vcc_lo, v3
	v_cmp_gt_i64_e32 vcc, 0, v[0:1]
	v_not_b32_e32 v1, v1
	v_ashrrev_i32_e32 v1, 31, v1
	v_and_b32_e32 v3, exec_lo, v3
	v_xor_b32_e32 v37, vcc_hi, v1
	v_xor_b32_e32 v1, vcc_lo, v1
	v_and_b32_e32 v3, v3, v1
	v_lshlrev_b32_e32 v1, 29, v2
	v_cmp_gt_i64_e32 vcc, 0, v[0:1]
	v_not_b32_e32 v1, v1
	v_ashrrev_i32_e32 v1, 31, v1
	v_and_b32_e32 v31, v31, v37
	v_xor_b32_e32 v37, vcc_hi, v1
	v_xor_b32_e32 v1, vcc_lo, v1
	v_and_b32_e32 v3, v3, v1
	v_lshlrev_b32_e32 v1, 28, v2
	v_cmp_gt_i64_e32 vcc, 0, v[0:1]
	v_not_b32_e32 v1, v1
	v_ashrrev_i32_e32 v1, 31, v1
	v_and_b32_e32 v31, v31, v37
	;; [unrolled: 8-line block ×5, first 2 shown]
	v_xor_b32_e32 v37, vcc_hi, v1
	v_xor_b32_e32 v1, vcc_lo, v1
	v_and_b32_e32 v31, v31, v37
	v_and_b32_e32 v37, v3, v1
	v_lshlrev_b32_e32 v1, 24, v2
	v_cmp_gt_i64_e32 vcc, 0, v[0:1]
	v_not_b32_e32 v1, v1
	v_ashrrev_i32_e32 v1, 31, v1
	v_xor_b32_e32 v2, vcc_hi, v1
	v_xor_b32_e32 v1, vcc_lo, v1
	; wave barrier
	ds_read_b32 v29, v41 offset:64
	v_and_b32_e32 v3, v31, v2
	v_and_b32_e32 v2, v37, v1
	v_mbcnt_lo_u32_b32 v1, v2, 0
	v_mbcnt_hi_u32_b32 v31, v3, v1
	v_cmp_eq_u32_e32 vcc, 0, v31
	v_cmp_ne_u64_e64 s[0:1], 0, v[2:3]
	s_and_b64 s[2:3], s[0:1], vcc
	; wave barrier
	s_and_saveexec_b64 s[0:1], s[2:3]
	s_cbranch_execz .LBB640_102
; %bb.101:
	v_bcnt_u32_b32 v1, v2, 0
	v_bcnt_u32_b32 v1, v3, v1
	s_waitcnt lgkmcnt(0)
	v_add_u32_e32 v1, v29, v1
	ds_write_b32 v41, v1 offset:64
.LBB640_102:
	s_or_b64 exec, exec, s[0:1]
	s_waitcnt vmcnt(0)
	v_xor_b32_e32 v43, 0xffffff80, v24
	v_lshrrev_b32_sdwa v1, s44, v43 dst_sel:DWORD dst_unused:UNUSED_PAD src0_sel:DWORD src1_sel:BYTE_0
	v_and_b32_e32 v2, s16, v1
	v_mul_u32_u24_e32 v1, 17, v2
	v_add_lshl_u32 v42, v26, v1, 2
	v_and_b32_e32 v1, 1, v2
	v_add_co_u32_e32 v3, vcc, -1, v1
	v_addc_co_u32_e64 v26, s[0:1], 0, -1, vcc
	v_cmp_ne_u32_e32 vcc, 0, v1
	v_xor_b32_e32 v1, vcc_hi, v26
	v_and_b32_e32 v26, exec_hi, v1
	v_lshlrev_b32_e32 v1, 30, v2
	v_xor_b32_e32 v3, vcc_lo, v3
	v_cmp_gt_i64_e32 vcc, 0, v[0:1]
	v_not_b32_e32 v1, v1
	v_ashrrev_i32_e32 v1, 31, v1
	v_and_b32_e32 v3, exec_lo, v3
	v_xor_b32_e32 v38, vcc_hi, v1
	v_xor_b32_e32 v1, vcc_lo, v1
	v_and_b32_e32 v3, v3, v1
	v_lshlrev_b32_e32 v1, 29, v2
	v_cmp_gt_i64_e32 vcc, 0, v[0:1]
	v_not_b32_e32 v1, v1
	v_ashrrev_i32_e32 v1, 31, v1
	v_and_b32_e32 v26, v26, v38
	v_xor_b32_e32 v38, vcc_hi, v1
	v_xor_b32_e32 v1, vcc_lo, v1
	v_and_b32_e32 v3, v3, v1
	v_lshlrev_b32_e32 v1, 28, v2
	v_cmp_gt_i64_e32 vcc, 0, v[0:1]
	v_not_b32_e32 v1, v1
	v_ashrrev_i32_e32 v1, 31, v1
	v_and_b32_e32 v26, v26, v38
	;; [unrolled: 8-line block ×5, first 2 shown]
	v_xor_b32_e32 v38, vcc_hi, v1
	v_xor_b32_e32 v1, vcc_lo, v1
	v_and_b32_e32 v3, v3, v1
	v_lshlrev_b32_e32 v1, 24, v2
	v_cmp_gt_i64_e32 vcc, 0, v[0:1]
	v_not_b32_e32 v0, v1
	v_ashrrev_i32_e32 v0, 31, v0
	v_xor_b32_e32 v1, vcc_hi, v0
	v_xor_b32_e32 v0, vcc_lo, v0
	; wave barrier
	ds_read_b32 v24, v42 offset:64
	v_and_b32_e32 v26, v26, v38
	v_and_b32_e32 v0, v3, v0
	;; [unrolled: 1-line block ×3, first 2 shown]
	v_mbcnt_lo_u32_b32 v2, v0, 0
	v_mbcnt_hi_u32_b32 v26, v1, v2
	v_cmp_eq_u32_e32 vcc, 0, v26
	v_cmp_ne_u64_e64 s[0:1], 0, v[0:1]
	v_add_u32_e32 v37, 64, v6
	s_and_b64 s[2:3], s[0:1], vcc
	; wave barrier
	s_and_saveexec_b64 s[0:1], s[2:3]
	s_cbranch_execz .LBB640_104
; %bb.103:
	v_bcnt_u32_b32 v0, v0, 0
	v_bcnt_u32_b32 v0, v1, v0
	s_waitcnt lgkmcnt(0)
	v_add_u32_e32 v0, v24, v0
	ds_write_b32 v42, v0 offset:64
.LBB640_104:
	s_or_b64 exec, exec, s[0:1]
	; wave barrier
	s_waitcnt lgkmcnt(0)
	s_barrier
	ds_read2_b32 v[2:3], v6 offset0:16 offset1:17
	ds_read2_b32 v[0:1], v37 offset0:2 offset1:3
	ds_read_b32 v38, v37 offset:16
	v_cmp_lt_u32_e64 s[8:9], 31, v5
	s_waitcnt lgkmcnt(1)
	v_add3_u32 v39, v3, v2, v0
	s_waitcnt lgkmcnt(0)
	v_add3_u32 v38, v39, v1, v38
	v_and_b32_e32 v39, 15, v5
	v_cmp_eq_u32_e32 vcc, 0, v39
	v_mov_b32_dpp v40, v38 row_shr:1 row_mask:0xf bank_mask:0xf
	v_cndmask_b32_e64 v40, v40, 0, vcc
	v_add_u32_e32 v38, v40, v38
	v_cmp_lt_u32_e64 s[0:1], 1, v39
	v_cmp_lt_u32_e64 s[2:3], 3, v39
	v_mov_b32_dpp v40, v38 row_shr:2 row_mask:0xf bank_mask:0xf
	v_cndmask_b32_e64 v40, 0, v40, s[0:1]
	v_add_u32_e32 v38, v38, v40
	v_cmp_lt_u32_e64 s[4:5], 7, v39
	s_nop 0
	v_mov_b32_dpp v40, v38 row_shr:4 row_mask:0xf bank_mask:0xf
	v_cndmask_b32_e64 v40, 0, v40, s[2:3]
	v_add_u32_e32 v38, v38, v40
	s_nop 1
	v_mov_b32_dpp v40, v38 row_shr:8 row_mask:0xf bank_mask:0xf
	v_cndmask_b32_e64 v39, 0, v40, s[4:5]
	v_add_u32_e32 v38, v38, v39
	v_bfe_i32 v40, v5, 4, 1
	s_nop 0
	v_mov_b32_dpp v39, v38 row_bcast:15 row_mask:0xf bank_mask:0xf
	v_and_b32_e32 v39, v40, v39
	v_add_u32_e32 v38, v38, v39
	v_and_b32_e32 v40, 63, v8
	s_nop 0
	v_mov_b32_dpp v39, v38 row_bcast:31 row_mask:0xf bank_mask:0xf
	v_cndmask_b32_e64 v39, 0, v39, s[8:9]
	v_add_u32_e32 v38, v38, v39
	v_lshrrev_b32_e32 v39, 6, v8
	v_cmp_eq_u32_e64 s[8:9], 63, v40
	s_and_saveexec_b64 s[14:15], s[8:9]
	s_cbranch_execz .LBB640_106
; %bb.105:
	v_lshlrev_b32_e32 v40, 2, v39
	ds_write_b32 v40, v38
.LBB640_106:
	s_or_b64 exec, exec, s[14:15]
	v_cmp_gt_u32_e64 s[8:9], 16, v8
	v_lshlrev_b32_e32 v44, 2, v8
	s_waitcnt lgkmcnt(0)
	s_barrier
	s_and_saveexec_b64 s[14:15], s[8:9]
	s_cbranch_execz .LBB640_108
; %bb.107:
	ds_read_b32 v40, v44
	s_waitcnt lgkmcnt(0)
	s_nop 0
	v_mov_b32_dpp v45, v40 row_shr:1 row_mask:0xf bank_mask:0xf
	v_cndmask_b32_e64 v45, v45, 0, vcc
	v_add_u32_e32 v40, v45, v40
	s_nop 1
	v_mov_b32_dpp v45, v40 row_shr:2 row_mask:0xf bank_mask:0xf
	v_cndmask_b32_e64 v45, 0, v45, s[0:1]
	v_add_u32_e32 v40, v40, v45
	s_nop 1
	v_mov_b32_dpp v45, v40 row_shr:4 row_mask:0xf bank_mask:0xf
	v_cndmask_b32_e64 v45, 0, v45, s[2:3]
	;; [unrolled: 4-line block ×3, first 2 shown]
	v_add_u32_e32 v40, v40, v45
	ds_write_b32 v44, v40
.LBB640_108:
	s_or_b64 exec, exec, s[14:15]
	v_cmp_lt_u32_e32 vcc, 63, v8
	v_mov_b32_e32 v40, 0
	s_waitcnt lgkmcnt(0)
	s_barrier
	s_and_saveexec_b64 s[0:1], vcc
	s_cbranch_execz .LBB640_110
; %bb.109:
	v_lshl_add_u32 v39, v39, 2, -4
	ds_read_b32 v40, v39
.LBB640_110:
	s_or_b64 exec, exec, s[0:1]
	v_add_u32_e32 v39, -1, v5
	v_and_b32_e32 v45, 64, v5
	v_cmp_lt_i32_e32 vcc, v39, v45
	v_cndmask_b32_e32 v39, v39, v5, vcc
	s_waitcnt lgkmcnt(0)
	v_add_u32_e32 v38, v40, v38
	v_lshlrev_b32_e32 v39, 2, v39
	ds_bpermute_b32 v38, v39, v38
	v_cmp_eq_u32_e32 vcc, 0, v5
	s_movk_i32 s2, 0xff
	s_movk_i32 s3, 0x100
	v_cmp_lt_u32_e64 s[0:1], s2, v8
	s_waitcnt lgkmcnt(0)
	v_cndmask_b32_e32 v5, v38, v40, vcc
	v_cmp_ne_u32_e32 vcc, 0, v8
	v_cndmask_b32_e32 v5, 0, v5, vcc
	v_add_u32_e32 v2, v5, v2
	v_add_u32_e32 v3, v2, v3
	;; [unrolled: 1-line block ×4, first 2 shown]
	ds_write2_b32 v6, v5, v2 offset0:16 offset1:17
	ds_write2_b32 v37, v3, v0 offset0:2 offset1:3
	ds_write_b32 v37, v1 offset:16
	s_waitcnt lgkmcnt(0)
	s_barrier
	ds_read_b32 v0, v7 offset:64
	ds_read_b32 v37, v11 offset:64
	ds_read_b32 v25, v25 offset:64
	ds_read_b32 v38, v30 offset:64
	ds_read_b32 v39, v33 offset:64
	ds_read_b32 v40, v35 offset:64
	ds_read_b32 v41, v41 offset:64
	ds_read_b32 v42, v42 offset:64
	v_cmp_gt_u32_e32 vcc, s3, v8
                                        ; implicit-def: $vgpr30
                                        ; implicit-def: $vgpr33
	s_and_saveexec_b64 s[4:5], vcc
	s_cbranch_execz .LBB640_114
; %bb.111:
	v_mul_u32_u24_e32 v1, 17, v8
	v_lshlrev_b32_e32 v2, 2, v1
	ds_read_b32 v30, v2 offset:64
	v_cmp_ne_u32_e64 s[2:3], s2, v8
	v_mov_b32_e32 v1, 0x2000
	s_and_saveexec_b64 s[8:9], s[2:3]
	s_cbranch_execz .LBB640_113
; %bb.112:
	ds_read_b32 v1, v2 offset:132
.LBB640_113:
	s_or_b64 exec, exec, s[8:9]
	s_waitcnt lgkmcnt(0)
	v_sub_u32_e32 v33, v1, v30
.LBB640_114:
	s_or_b64 exec, exec, s[4:5]
	s_waitcnt lgkmcnt(7)
	v_add_u32_e32 v35, v0, v9
	s_waitcnt lgkmcnt(6)
	v_add3_u32 v0, v15, v13, v37
	s_waitcnt lgkmcnt(5)
	v_add3_u32 v1, v17, v16, v25
	;; [unrolled: 2-line block ×7, first 2 shown]
	s_barrier
	ds_write_b8 v35, v4 offset:1024
	ds_write_b8 v0, v10 offset:1024
	;; [unrolled: 1-line block ×8, first 2 shown]
                                        ; implicit-def: $vgpr10_vgpr11
	s_and_saveexec_b64 s[2:3], s[0:1]
	s_xor_b64 s[0:1], exec, s[2:3]
; %bb.115:
	v_mov_b32_e32 v9, 0
	v_pk_mov_b32 v[10:11], v[8:9], v[8:9] op_sel:[0,1]
                                        ; implicit-def: $vgpr44
; %bb.116:
	s_andn2_saveexec_b64 s[2:3], s[0:1]
	s_cbranch_execz .LBB640_126
; %bb.117:
	v_lshl_or_b32 v0, s6, 8, v8
	v_mov_b32_e32 v1, 0
	v_lshlrev_b64 v[2:3], 2, v[0:1]
	v_mov_b32_e32 v6, s35
	v_add_co_u32_e64 v2, s[0:1], s34, v2
	v_addc_co_u32_e64 v3, s[0:1], v6, v3, s[0:1]
	v_or_b32_e32 v0, 2.0, v33
	s_mov_b64 s[4:5], 0
	s_brev_b32 s17, 1
	s_mov_b32 s18, s6
	v_mov_b32_e32 v7, 0
	global_store_dword v[2:3], v0, off
                                        ; implicit-def: $sgpr0_sgpr1
	s_branch .LBB640_120
.LBB640_118:                            ;   in Loop: Header=BB640_120 Depth=1
	s_or_b64 exec, exec, s[14:15]
.LBB640_119:                            ;   in Loop: Header=BB640_120 Depth=1
	s_or_b64 exec, exec, s[8:9]
	v_and_b32_e32 v4, 0x3fffffff, v9
	v_add_u32_e32 v7, v4, v7
	v_cmp_eq_u32_e64 s[0:1], s17, v0
	s_and_b64 s[8:9], exec, s[0:1]
	s_or_b64 s[4:5], s[8:9], s[4:5]
	s_andn2_b64 exec, exec, s[4:5]
	s_cbranch_execz .LBB640_125
.LBB640_120:                            ; =>This Loop Header: Depth=1
                                        ;     Child Loop BB640_123 Depth 2
	s_or_b64 s[0:1], s[0:1], exec
	s_cmp_eq_u32 s18, 0
	s_cbranch_scc1 .LBB640_124
; %bb.121:                              ;   in Loop: Header=BB640_120 Depth=1
	s_add_i32 s18, s18, -1
	v_lshl_or_b32 v0, s18, 8, v8
	v_lshlrev_b64 v[4:5], 2, v[0:1]
	v_add_co_u32_e64 v4, s[0:1], s34, v4
	v_addc_co_u32_e64 v5, s[0:1], v6, v5, s[0:1]
	global_load_dword v9, v[4:5], off glc
	s_waitcnt vmcnt(0)
	v_and_b32_e32 v0, -2.0, v9
	v_cmp_eq_u32_e64 s[0:1], 0, v0
	s_and_saveexec_b64 s[8:9], s[0:1]
	s_cbranch_execz .LBB640_119
; %bb.122:                              ;   in Loop: Header=BB640_120 Depth=1
	s_mov_b64 s[14:15], 0
.LBB640_123:                            ;   Parent Loop BB640_120 Depth=1
                                        ; =>  This Inner Loop Header: Depth=2
	global_load_dword v9, v[4:5], off glc
	s_waitcnt vmcnt(0)
	v_and_b32_e32 v0, -2.0, v9
	v_cmp_ne_u32_e64 s[0:1], 0, v0
	s_or_b64 s[14:15], s[0:1], s[14:15]
	s_andn2_b64 exec, exec, s[14:15]
	s_cbranch_execnz .LBB640_123
	s_branch .LBB640_118
.LBB640_124:                            ;   in Loop: Header=BB640_120 Depth=1
                                        ; implicit-def: $sgpr18
	s_and_b64 s[8:9], exec, s[0:1]
	s_or_b64 s[4:5], s[8:9], s[4:5]
	s_andn2_b64 exec, exec, s[4:5]
	s_cbranch_execnz .LBB640_120
.LBB640_125:
	s_or_b64 exec, exec, s[4:5]
	v_add_u32_e32 v0, v7, v33
	v_or_b32_e32 v0, 0x80000000, v0
	global_store_dword v[2:3], v0, off
	global_load_dword v0, v44, s[28:29]
	v_mov_b32_e32 v9, 0
	v_sub_u32_e32 v1, v7, v30
	v_pk_mov_b32 v[10:11], v[8:9], v[8:9] op_sel:[0,1]
	s_waitcnt vmcnt(0)
	v_add_u32_e32 v0, v1, v0
	ds_write_b32 v44, v0
.LBB640_126:
	s_or_b64 exec, exec, s[2:3]
	s_waitcnt lgkmcnt(0)
	s_barrier
	ds_read_u8 v1, v10 offset:1024
	ds_read_u8 v9, v8 offset:2048
	;; [unrolled: 1-line block ×8, first 2 shown]
	s_waitcnt lgkmcnt(7)
	v_lshrrev_b32_sdwa v0, s44, v1 dst_sel:DWORD dst_unused:UNUSED_PAD src0_sel:DWORD src1_sel:BYTE_0
	v_and_b32_e32 v0, s16, v0
	v_xor_b32_e32 v44, 0x80, v1
	s_waitcnt lgkmcnt(6)
	v_lshrrev_b32_sdwa v1, s44, v9 dst_sel:DWORD dst_unused:UNUSED_PAD src0_sel:DWORD src1_sel:BYTE_0
	v_lshlrev_b32_e32 v2, 2, v0
	v_and_b32_e32 v1, s16, v1
	s_waitcnt lgkmcnt(5)
	v_lshrrev_b32_sdwa v4, s44, v22 dst_sel:DWORD dst_unused:UNUSED_PAD src0_sel:DWORD src1_sel:BYTE_0
	v_lshlrev_b32_e32 v3, 2, v1
	ds_read_b32 v45, v2
	ds_read_b32 v46, v3
	v_and_b32_e32 v2, s16, v4
	v_lshlrev_b32_e32 v3, 2, v2
	ds_read_b32 v47, v3
	s_waitcnt lgkmcnt(7)
	v_lshrrev_b32_sdwa v3, s44, v28 dst_sel:DWORD dst_unused:UNUSED_PAD src0_sel:DWORD src1_sel:BYTE_0
	v_and_b32_e32 v3, s16, v3
	v_lshlrev_b32_e32 v4, 2, v3
	ds_read_b32 v48, v4
	s_waitcnt lgkmcnt(7)
	v_lshrrev_b32_sdwa v4, s44, v32 dst_sel:DWORD dst_unused:UNUSED_PAD src0_sel:DWORD src1_sel:BYTE_0
	v_and_b32_e32 v4, s16, v4
	v_lshlrev_b32_e32 v5, 2, v4
	ds_read_b32 v49, v5
	s_waitcnt lgkmcnt(7)
	v_lshrrev_b32_sdwa v5, s44, v34 dst_sel:DWORD dst_unused:UNUSED_PAD src0_sel:DWORD src1_sel:BYTE_0
	v_and_b32_e32 v5, s16, v5
	v_lshlrev_b32_e32 v6, 2, v5
	ds_read_b32 v50, v6
	s_waitcnt lgkmcnt(7)
	v_lshrrev_b32_sdwa v6, s44, v36 dst_sel:DWORD dst_unused:UNUSED_PAD src0_sel:DWORD src1_sel:BYTE_0
	v_and_b32_e32 v6, s16, v6
	v_lshlrev_b32_e32 v7, 2, v6
	ds_read_b32 v51, v7
	s_waitcnt lgkmcnt(7)
	v_lshrrev_b32_sdwa v7, s44, v43 dst_sel:DWORD dst_unused:UNUSED_PAD src0_sel:DWORD src1_sel:BYTE_0
	v_and_b32_e32 v7, s16, v7
	s_waitcnt lgkmcnt(6)
	v_add_u32_e32 v45, v45, v8
	s_movk_i32 s2, 0x400
	v_lshlrev_b32_e32 v52, 2, v7
	global_store_byte v45, v44, s[38:39]
	v_xor_b32_e32 v9, 0x80, v9
	s_waitcnt lgkmcnt(5)
	v_add3_u32 v44, v46, v8, s2
	s_movk_i32 s0, 0x800
	ds_read_b32 v52, v52
	global_store_byte v44, v9, s[38:39]
	v_xor_b32_e32 v9, 0x80, v22
	s_waitcnt lgkmcnt(5)
	v_add3_u32 v22, v47, v8, s0
	s_movk_i32 s0, 0xc00
	global_store_byte v22, v9, s[38:39]
	v_xor_b32_e32 v9, 0x80, v28
	s_waitcnt lgkmcnt(4)
	v_add3_u32 v22, v48, v8, s0
	s_movk_i32 s0, 0x1000
	global_store_byte v22, v9, s[38:39]
	v_xor_b32_e32 v9, 0x80, v32
	s_waitcnt lgkmcnt(3)
	v_add3_u32 v22, v49, v8, s0
	s_movk_i32 s0, 0x1400
	global_store_byte v22, v9, s[38:39]
	v_xor_b32_e32 v9, 0x80, v34
	s_waitcnt lgkmcnt(2)
	v_add3_u32 v22, v50, v8, s0
	s_movk_i32 s0, 0x1800
	global_store_byte v22, v9, s[38:39]
	v_xor_b32_e32 v9, 0x80, v36
	s_waitcnt lgkmcnt(1)
	v_add3_u32 v22, v51, v8, s0
	s_movk_i32 s0, 0x1c00
	global_store_byte v22, v9, s[38:39]
	s_waitcnt lgkmcnt(0)
	v_add3_u32 v22, v52, v8, s0
	s_lshl_b64 s[0:1], s[12:13], 3
	s_add_u32 s0, s40, s0
	v_lshlrev_b32_e32 v12, 3, v12
	s_addc_u32 s1, s41, s1
	v_add3_u32 v37, v15, v37, v13
	v_lshlrev_b32_e32 v13, 3, v14
	v_mov_b32_e32 v14, s1
	v_add_co_u32_e64 v12, s[0:1], s0, v12
	v_addc_co_u32_e64 v14, s[0:1], 0, v14, s[0:1]
	v_xor_b32_e32 v9, 0x80, v43
	v_add_co_u32_e64 v28, s[0:1], v12, v13
	global_store_byte v22, v9, s[38:39]
	v_add3_u32 v31, v31, v41, v29
	v_addc_co_u32_e64 v29, s[0:1], 0, v14, s[0:1]
	v_or_b32_e32 v12, 0x400, v8
	v_mul_u32_u24_e32 v13, 7, v8
	v_add3_u32 v9, v26, v42, v24
	v_add3_u32 v32, v27, v40, v23
	;; [unrolled: 1-line block ×5, first 2 shown]
	v_add_u32_e32 v39, v12, v13
	global_load_dwordx2 v[12:13], v[28:29], off
	global_load_dwordx2 v[14:15], v[28:29], off offset:512
	global_load_dwordx2 v[16:17], v[28:29], off offset:1024
	;; [unrolled: 1-line block ×7, first 2 shown]
	s_mov_b32 s3, 0
	s_mov_b32 s4, 1
	v_lshlrev_b32_e32 v40, 3, v10
	v_mov_b32_e32 v29, 0
	s_barrier
	s_waitcnt vmcnt(0)
.LBB640_127:                            ; =>This Inner Loop Header: Depth=1
	v_add_u32_e32 v28, s3, v35
	v_min_u32_e32 v28, 0x800, v28
	v_lshlrev_b32_e32 v28, 3, v28
	ds_write_b64 v28, v[12:13] offset:1024
	v_add_u32_e32 v28, s3, v37
	v_min_u32_e32 v28, 0x800, v28
	v_lshlrev_b32_e32 v28, 3, v28
	ds_write_b64 v28, v[14:15] offset:1024
	;; [unrolled: 4-line block ×7, first 2 shown]
	v_add_u32_e32 v28, s3, v9
	s_add_i32 s5, s4, -1
	v_min_u32_e32 v28, 0x800, v28
	s_cmp_eq_u32 s5, 1
	v_lshlrev_b32_e32 v28, 3, v28
	s_cselect_b64 s[0:1], -1, 0
	s_cmp_eq_u32 s5, 2
	ds_write_b64 v28, v[26:27] offset:1024
	v_cndmask_b32_e64 v28, v0, v1, s[0:1]
	s_cselect_b64 s[0:1], -1, 0
	s_cmp_eq_u32 s5, 3
	v_cndmask_b32_e64 v28, v28, v2, s[0:1]
	s_cselect_b64 s[0:1], -1, 0
	s_cmp_eq_u32 s5, 4
	;; [unrolled: 3-line block ×10, first 2 shown]
	v_lshlrev_b32_e32 v28, 2, v28
	v_cndmask_b32_e64 v41, v41, v4, s[0:1]
	s_cselect_b64 s[0:1], -1, 0
	s_cmp_eq_u32 s4, 6
	s_waitcnt lgkmcnt(0)
	s_barrier
	ds_read_b32 v28, v28
	v_cndmask_b32_e64 v41, v41, v5, s[0:1]
	s_cselect_b64 s[0:1], -1, 0
	s_cmp_eq_u32 s4, 7
	v_cndmask_b32_e64 v41, v41, v6, s[0:1]
	s_cselect_b64 s[0:1], -1, 0
	v_cndmask_b32_e64 v41, v41, v7, s[0:1]
	v_lshlrev_b32_e32 v41, 2, v41
	ds_read_b32 v41, v41
	ds_read_b64 v[42:43], v39 offset:8192
	ds_read_b64 v[46:47], v40 offset:1024
	s_waitcnt lgkmcnt(3)
	v_add_u32_e32 v28, v8, v28
	v_lshlrev_b64 v[44:45], 3, v[28:29]
	v_mov_b32_e32 v48, s43
	v_add_co_u32_e64 v44, s[0:1], s42, v44
	v_addc_co_u32_e64 v45, s[0:1], v48, v45, s[0:1]
	s_waitcnt lgkmcnt(2)
	v_add3_u32 v28, v8, v41, s2
	s_waitcnt lgkmcnt(0)
	global_store_dwordx2 v[44:45], v[46:47], off
	v_lshlrev_b64 v[44:45], 3, v[28:29]
	v_add_co_u32_e64 v44, s[0:1], s42, v44
	s_addk_i32 s3, 0xf800
	s_add_i32 s4, s4, 2
	v_addc_co_u32_e64 v45, s[0:1], v48, v45, s[0:1]
	s_cmpk_lg_i32 s3, 0xe000
	v_add_u32_e32 v8, 0x800, v8
	global_store_dwordx2 v[44:45], v[42:43], off
	s_barrier
	s_cbranch_scc1 .LBB640_127
; %bb.128:
	s_add_i32 s7, s7, -1
	s_cmp_eq_u32 s7, s6
	s_cselect_b64 s[0:1], -1, 0
	s_and_b64 s[2:3], vcc, s[0:1]
                                        ; implicit-def: $vgpr2
	s_and_saveexec_b64 s[0:1], s[2:3]
; %bb.129:
	v_add_u32_e32 v2, v30, v33
	s_or_b64 s[10:11], s[10:11], exec
; %bb.130:
	s_or_b64 exec, exec, s[0:1]
.LBB640_131:
	s_and_saveexec_b64 s[0:1], s[10:11]
	s_cbranch_execnz .LBB640_133
; %bb.132:
	s_endpgm
.LBB640_133:
	v_lshlrev_b32_e32 v3, 2, v10
	ds_read_b32 v3, v3
	v_lshlrev_b64 v[0:1], 2, v[10:11]
	v_mov_b32_e32 v4, s31
	v_add_co_u32_e32 v0, vcc, s30, v0
	v_addc_co_u32_e32 v1, vcc, v4, v1, vcc
	s_waitcnt lgkmcnt(0)
	v_add_u32_e32 v2, v3, v2
	global_store_dword v[0:1], v2, off
	s_endpgm
.LBB640_134:
	global_load_dwordx2 v[12:13], v[28:29], off
	s_or_b64 exec, exec, s[18:19]
                                        ; implicit-def: $vgpr14_vgpr15
	s_and_saveexec_b64 s[18:19], s[0:1]
	s_cbranch_execz .LBB640_71
.LBB640_135:
	global_load_dwordx2 v[14:15], v[28:29], off offset:512
	s_or_b64 exec, exec, s[18:19]
                                        ; implicit-def: $vgpr16_vgpr17
	s_and_saveexec_b64 s[0:1], s[2:3]
	s_cbranch_execz .LBB640_72
.LBB640_136:
	global_load_dwordx2 v[16:17], v[28:29], off offset:1024
	s_or_b64 exec, exec, s[0:1]
                                        ; implicit-def: $vgpr18_vgpr19
	s_and_saveexec_b64 s[0:1], s[24:25]
	s_cbranch_execz .LBB640_73
.LBB640_137:
	global_load_dwordx2 v[18:19], v[28:29], off offset:1536
	s_or_b64 exec, exec, s[0:1]
                                        ; implicit-def: $vgpr20_vgpr21
	s_and_saveexec_b64 s[0:1], s[8:9]
	s_cbranch_execz .LBB640_74
.LBB640_138:
	global_load_dwordx2 v[20:21], v[28:29], off offset:2048
	s_or_b64 exec, exec, s[0:1]
                                        ; implicit-def: $vgpr22_vgpr23
	s_and_saveexec_b64 s[0:1], s[10:11]
	s_cbranch_execz .LBB640_75
.LBB640_139:
	global_load_dwordx2 v[22:23], v[28:29], off offset:2560
	s_or_b64 exec, exec, s[0:1]
                                        ; implicit-def: $vgpr24_vgpr25
	s_and_saveexec_b64 s[0:1], s[12:13]
	s_cbranch_execz .LBB640_76
.LBB640_140:
	global_load_dwordx2 v[24:25], v[28:29], off offset:3072
	s_or_b64 exec, exec, s[0:1]
                                        ; implicit-def: $vgpr26_vgpr27
	s_and_saveexec_b64 s[0:1], s[14:15]
	s_cbranch_execnz .LBB640_77
	s_branch .LBB640_78
	.section	.rodata,"a",@progbits
	.p2align	6, 0x0
	.amdhsa_kernel _ZN7rocprim17ROCPRIM_400000_NS6detail17trampoline_kernelINS0_14default_configENS1_35radix_sort_onesweep_config_selectorIalEEZZNS1_29radix_sort_onesweep_iterationIS3_Lb0EPaS7_N6thrust23THRUST_200600_302600_NS10device_ptrIlEESB_jNS0_19identity_decomposerENS1_16block_id_wrapperIjLb0EEEEE10hipError_tT1_PNSt15iterator_traitsISG_E10value_typeET2_T3_PNSH_ISM_E10value_typeET4_T5_PSR_SS_PNS1_23onesweep_lookback_stateEbbT6_jjT7_P12ihipStream_tbENKUlT_T0_SG_SL_E_clIS7_S7_SB_PlEEDaSZ_S10_SG_SL_EUlSZ_E_NS1_11comp_targetILNS1_3genE4ELNS1_11target_archE910ELNS1_3gpuE8ELNS1_3repE0EEENS1_47radix_sort_onesweep_sort_config_static_selectorELNS0_4arch9wavefront6targetE1EEEvSG_
		.amdhsa_group_segment_fixed_size 20552
		.amdhsa_private_segment_fixed_size 0
		.amdhsa_kernarg_size 344
		.amdhsa_user_sgpr_count 6
		.amdhsa_user_sgpr_private_segment_buffer 1
		.amdhsa_user_sgpr_dispatch_ptr 0
		.amdhsa_user_sgpr_queue_ptr 0
		.amdhsa_user_sgpr_kernarg_segment_ptr 1
		.amdhsa_user_sgpr_dispatch_id 0
		.amdhsa_user_sgpr_flat_scratch_init 0
		.amdhsa_user_sgpr_kernarg_preload_length 0
		.amdhsa_user_sgpr_kernarg_preload_offset 0
		.amdhsa_user_sgpr_private_segment_size 0
		.amdhsa_uses_dynamic_stack 0
		.amdhsa_system_sgpr_private_segment_wavefront_offset 0
		.amdhsa_system_sgpr_workgroup_id_x 1
		.amdhsa_system_sgpr_workgroup_id_y 0
		.amdhsa_system_sgpr_workgroup_id_z 0
		.amdhsa_system_sgpr_workgroup_info 0
		.amdhsa_system_vgpr_workitem_id 2
		.amdhsa_next_free_vgpr 55
		.amdhsa_next_free_sgpr 53
		.amdhsa_accum_offset 56
		.amdhsa_reserve_vcc 1
		.amdhsa_reserve_flat_scratch 0
		.amdhsa_float_round_mode_32 0
		.amdhsa_float_round_mode_16_64 0
		.amdhsa_float_denorm_mode_32 3
		.amdhsa_float_denorm_mode_16_64 3
		.amdhsa_dx10_clamp 1
		.amdhsa_ieee_mode 1
		.amdhsa_fp16_overflow 0
		.amdhsa_tg_split 0
		.amdhsa_exception_fp_ieee_invalid_op 0
		.amdhsa_exception_fp_denorm_src 0
		.amdhsa_exception_fp_ieee_div_zero 0
		.amdhsa_exception_fp_ieee_overflow 0
		.amdhsa_exception_fp_ieee_underflow 0
		.amdhsa_exception_fp_ieee_inexact 0
		.amdhsa_exception_int_div_zero 0
	.end_amdhsa_kernel
	.section	.text._ZN7rocprim17ROCPRIM_400000_NS6detail17trampoline_kernelINS0_14default_configENS1_35radix_sort_onesweep_config_selectorIalEEZZNS1_29radix_sort_onesweep_iterationIS3_Lb0EPaS7_N6thrust23THRUST_200600_302600_NS10device_ptrIlEESB_jNS0_19identity_decomposerENS1_16block_id_wrapperIjLb0EEEEE10hipError_tT1_PNSt15iterator_traitsISG_E10value_typeET2_T3_PNSH_ISM_E10value_typeET4_T5_PSR_SS_PNS1_23onesweep_lookback_stateEbbT6_jjT7_P12ihipStream_tbENKUlT_T0_SG_SL_E_clIS7_S7_SB_PlEEDaSZ_S10_SG_SL_EUlSZ_E_NS1_11comp_targetILNS1_3genE4ELNS1_11target_archE910ELNS1_3gpuE8ELNS1_3repE0EEENS1_47radix_sort_onesweep_sort_config_static_selectorELNS0_4arch9wavefront6targetE1EEEvSG_,"axG",@progbits,_ZN7rocprim17ROCPRIM_400000_NS6detail17trampoline_kernelINS0_14default_configENS1_35radix_sort_onesweep_config_selectorIalEEZZNS1_29radix_sort_onesweep_iterationIS3_Lb0EPaS7_N6thrust23THRUST_200600_302600_NS10device_ptrIlEESB_jNS0_19identity_decomposerENS1_16block_id_wrapperIjLb0EEEEE10hipError_tT1_PNSt15iterator_traitsISG_E10value_typeET2_T3_PNSH_ISM_E10value_typeET4_T5_PSR_SS_PNS1_23onesweep_lookback_stateEbbT6_jjT7_P12ihipStream_tbENKUlT_T0_SG_SL_E_clIS7_S7_SB_PlEEDaSZ_S10_SG_SL_EUlSZ_E_NS1_11comp_targetILNS1_3genE4ELNS1_11target_archE910ELNS1_3gpuE8ELNS1_3repE0EEENS1_47radix_sort_onesweep_sort_config_static_selectorELNS0_4arch9wavefront6targetE1EEEvSG_,comdat
.Lfunc_end640:
	.size	_ZN7rocprim17ROCPRIM_400000_NS6detail17trampoline_kernelINS0_14default_configENS1_35radix_sort_onesweep_config_selectorIalEEZZNS1_29radix_sort_onesweep_iterationIS3_Lb0EPaS7_N6thrust23THRUST_200600_302600_NS10device_ptrIlEESB_jNS0_19identity_decomposerENS1_16block_id_wrapperIjLb0EEEEE10hipError_tT1_PNSt15iterator_traitsISG_E10value_typeET2_T3_PNSH_ISM_E10value_typeET4_T5_PSR_SS_PNS1_23onesweep_lookback_stateEbbT6_jjT7_P12ihipStream_tbENKUlT_T0_SG_SL_E_clIS7_S7_SB_PlEEDaSZ_S10_SG_SL_EUlSZ_E_NS1_11comp_targetILNS1_3genE4ELNS1_11target_archE910ELNS1_3gpuE8ELNS1_3repE0EEENS1_47radix_sort_onesweep_sort_config_static_selectorELNS0_4arch9wavefront6targetE1EEEvSG_, .Lfunc_end640-_ZN7rocprim17ROCPRIM_400000_NS6detail17trampoline_kernelINS0_14default_configENS1_35radix_sort_onesweep_config_selectorIalEEZZNS1_29radix_sort_onesweep_iterationIS3_Lb0EPaS7_N6thrust23THRUST_200600_302600_NS10device_ptrIlEESB_jNS0_19identity_decomposerENS1_16block_id_wrapperIjLb0EEEEE10hipError_tT1_PNSt15iterator_traitsISG_E10value_typeET2_T3_PNSH_ISM_E10value_typeET4_T5_PSR_SS_PNS1_23onesweep_lookback_stateEbbT6_jjT7_P12ihipStream_tbENKUlT_T0_SG_SL_E_clIS7_S7_SB_PlEEDaSZ_S10_SG_SL_EUlSZ_E_NS1_11comp_targetILNS1_3genE4ELNS1_11target_archE910ELNS1_3gpuE8ELNS1_3repE0EEENS1_47radix_sort_onesweep_sort_config_static_selectorELNS0_4arch9wavefront6targetE1EEEvSG_
                                        ; -- End function
	.section	.AMDGPU.csdata,"",@progbits
; Kernel info:
; codeLenInByte = 13024
; NumSgprs: 57
; NumVgprs: 55
; NumAgprs: 0
; TotalNumVgprs: 55
; ScratchSize: 0
; MemoryBound: 0
; FloatMode: 240
; IeeeMode: 1
; LDSByteSize: 20552 bytes/workgroup (compile time only)
; SGPRBlocks: 7
; VGPRBlocks: 6
; NumSGPRsForWavesPerEU: 57
; NumVGPRsForWavesPerEU: 55
; AccumOffset: 56
; Occupancy: 8
; WaveLimiterHint : 1
; COMPUTE_PGM_RSRC2:SCRATCH_EN: 0
; COMPUTE_PGM_RSRC2:USER_SGPR: 6
; COMPUTE_PGM_RSRC2:TRAP_HANDLER: 0
; COMPUTE_PGM_RSRC2:TGID_X_EN: 1
; COMPUTE_PGM_RSRC2:TGID_Y_EN: 0
; COMPUTE_PGM_RSRC2:TGID_Z_EN: 0
; COMPUTE_PGM_RSRC2:TIDIG_COMP_CNT: 2
; COMPUTE_PGM_RSRC3_GFX90A:ACCUM_OFFSET: 13
; COMPUTE_PGM_RSRC3_GFX90A:TG_SPLIT: 0
	.section	.text._ZN7rocprim17ROCPRIM_400000_NS6detail17trampoline_kernelINS0_14default_configENS1_35radix_sort_onesweep_config_selectorIalEEZZNS1_29radix_sort_onesweep_iterationIS3_Lb0EPaS7_N6thrust23THRUST_200600_302600_NS10device_ptrIlEESB_jNS0_19identity_decomposerENS1_16block_id_wrapperIjLb0EEEEE10hipError_tT1_PNSt15iterator_traitsISG_E10value_typeET2_T3_PNSH_ISM_E10value_typeET4_T5_PSR_SS_PNS1_23onesweep_lookback_stateEbbT6_jjT7_P12ihipStream_tbENKUlT_T0_SG_SL_E_clIS7_S7_SB_PlEEDaSZ_S10_SG_SL_EUlSZ_E_NS1_11comp_targetILNS1_3genE3ELNS1_11target_archE908ELNS1_3gpuE7ELNS1_3repE0EEENS1_47radix_sort_onesweep_sort_config_static_selectorELNS0_4arch9wavefront6targetE1EEEvSG_,"axG",@progbits,_ZN7rocprim17ROCPRIM_400000_NS6detail17trampoline_kernelINS0_14default_configENS1_35radix_sort_onesweep_config_selectorIalEEZZNS1_29radix_sort_onesweep_iterationIS3_Lb0EPaS7_N6thrust23THRUST_200600_302600_NS10device_ptrIlEESB_jNS0_19identity_decomposerENS1_16block_id_wrapperIjLb0EEEEE10hipError_tT1_PNSt15iterator_traitsISG_E10value_typeET2_T3_PNSH_ISM_E10value_typeET4_T5_PSR_SS_PNS1_23onesweep_lookback_stateEbbT6_jjT7_P12ihipStream_tbENKUlT_T0_SG_SL_E_clIS7_S7_SB_PlEEDaSZ_S10_SG_SL_EUlSZ_E_NS1_11comp_targetILNS1_3genE3ELNS1_11target_archE908ELNS1_3gpuE7ELNS1_3repE0EEENS1_47radix_sort_onesweep_sort_config_static_selectorELNS0_4arch9wavefront6targetE1EEEvSG_,comdat
	.protected	_ZN7rocprim17ROCPRIM_400000_NS6detail17trampoline_kernelINS0_14default_configENS1_35radix_sort_onesweep_config_selectorIalEEZZNS1_29radix_sort_onesweep_iterationIS3_Lb0EPaS7_N6thrust23THRUST_200600_302600_NS10device_ptrIlEESB_jNS0_19identity_decomposerENS1_16block_id_wrapperIjLb0EEEEE10hipError_tT1_PNSt15iterator_traitsISG_E10value_typeET2_T3_PNSH_ISM_E10value_typeET4_T5_PSR_SS_PNS1_23onesweep_lookback_stateEbbT6_jjT7_P12ihipStream_tbENKUlT_T0_SG_SL_E_clIS7_S7_SB_PlEEDaSZ_S10_SG_SL_EUlSZ_E_NS1_11comp_targetILNS1_3genE3ELNS1_11target_archE908ELNS1_3gpuE7ELNS1_3repE0EEENS1_47radix_sort_onesweep_sort_config_static_selectorELNS0_4arch9wavefront6targetE1EEEvSG_ ; -- Begin function _ZN7rocprim17ROCPRIM_400000_NS6detail17trampoline_kernelINS0_14default_configENS1_35radix_sort_onesweep_config_selectorIalEEZZNS1_29radix_sort_onesweep_iterationIS3_Lb0EPaS7_N6thrust23THRUST_200600_302600_NS10device_ptrIlEESB_jNS0_19identity_decomposerENS1_16block_id_wrapperIjLb0EEEEE10hipError_tT1_PNSt15iterator_traitsISG_E10value_typeET2_T3_PNSH_ISM_E10value_typeET4_T5_PSR_SS_PNS1_23onesweep_lookback_stateEbbT6_jjT7_P12ihipStream_tbENKUlT_T0_SG_SL_E_clIS7_S7_SB_PlEEDaSZ_S10_SG_SL_EUlSZ_E_NS1_11comp_targetILNS1_3genE3ELNS1_11target_archE908ELNS1_3gpuE7ELNS1_3repE0EEENS1_47radix_sort_onesweep_sort_config_static_selectorELNS0_4arch9wavefront6targetE1EEEvSG_
	.globl	_ZN7rocprim17ROCPRIM_400000_NS6detail17trampoline_kernelINS0_14default_configENS1_35radix_sort_onesweep_config_selectorIalEEZZNS1_29radix_sort_onesweep_iterationIS3_Lb0EPaS7_N6thrust23THRUST_200600_302600_NS10device_ptrIlEESB_jNS0_19identity_decomposerENS1_16block_id_wrapperIjLb0EEEEE10hipError_tT1_PNSt15iterator_traitsISG_E10value_typeET2_T3_PNSH_ISM_E10value_typeET4_T5_PSR_SS_PNS1_23onesweep_lookback_stateEbbT6_jjT7_P12ihipStream_tbENKUlT_T0_SG_SL_E_clIS7_S7_SB_PlEEDaSZ_S10_SG_SL_EUlSZ_E_NS1_11comp_targetILNS1_3genE3ELNS1_11target_archE908ELNS1_3gpuE7ELNS1_3repE0EEENS1_47radix_sort_onesweep_sort_config_static_selectorELNS0_4arch9wavefront6targetE1EEEvSG_
	.p2align	8
	.type	_ZN7rocprim17ROCPRIM_400000_NS6detail17trampoline_kernelINS0_14default_configENS1_35radix_sort_onesweep_config_selectorIalEEZZNS1_29radix_sort_onesweep_iterationIS3_Lb0EPaS7_N6thrust23THRUST_200600_302600_NS10device_ptrIlEESB_jNS0_19identity_decomposerENS1_16block_id_wrapperIjLb0EEEEE10hipError_tT1_PNSt15iterator_traitsISG_E10value_typeET2_T3_PNSH_ISM_E10value_typeET4_T5_PSR_SS_PNS1_23onesweep_lookback_stateEbbT6_jjT7_P12ihipStream_tbENKUlT_T0_SG_SL_E_clIS7_S7_SB_PlEEDaSZ_S10_SG_SL_EUlSZ_E_NS1_11comp_targetILNS1_3genE3ELNS1_11target_archE908ELNS1_3gpuE7ELNS1_3repE0EEENS1_47radix_sort_onesweep_sort_config_static_selectorELNS0_4arch9wavefront6targetE1EEEvSG_,@function
_ZN7rocprim17ROCPRIM_400000_NS6detail17trampoline_kernelINS0_14default_configENS1_35radix_sort_onesweep_config_selectorIalEEZZNS1_29radix_sort_onesweep_iterationIS3_Lb0EPaS7_N6thrust23THRUST_200600_302600_NS10device_ptrIlEESB_jNS0_19identity_decomposerENS1_16block_id_wrapperIjLb0EEEEE10hipError_tT1_PNSt15iterator_traitsISG_E10value_typeET2_T3_PNSH_ISM_E10value_typeET4_T5_PSR_SS_PNS1_23onesweep_lookback_stateEbbT6_jjT7_P12ihipStream_tbENKUlT_T0_SG_SL_E_clIS7_S7_SB_PlEEDaSZ_S10_SG_SL_EUlSZ_E_NS1_11comp_targetILNS1_3genE3ELNS1_11target_archE908ELNS1_3gpuE7ELNS1_3repE0EEENS1_47radix_sort_onesweep_sort_config_static_selectorELNS0_4arch9wavefront6targetE1EEEvSG_: ; @_ZN7rocprim17ROCPRIM_400000_NS6detail17trampoline_kernelINS0_14default_configENS1_35radix_sort_onesweep_config_selectorIalEEZZNS1_29radix_sort_onesweep_iterationIS3_Lb0EPaS7_N6thrust23THRUST_200600_302600_NS10device_ptrIlEESB_jNS0_19identity_decomposerENS1_16block_id_wrapperIjLb0EEEEE10hipError_tT1_PNSt15iterator_traitsISG_E10value_typeET2_T3_PNSH_ISM_E10value_typeET4_T5_PSR_SS_PNS1_23onesweep_lookback_stateEbbT6_jjT7_P12ihipStream_tbENKUlT_T0_SG_SL_E_clIS7_S7_SB_PlEEDaSZ_S10_SG_SL_EUlSZ_E_NS1_11comp_targetILNS1_3genE3ELNS1_11target_archE908ELNS1_3gpuE7ELNS1_3repE0EEENS1_47radix_sort_onesweep_sort_config_static_selectorELNS0_4arch9wavefront6targetE1EEEvSG_
; %bb.0:
	.section	.rodata,"a",@progbits
	.p2align	6, 0x0
	.amdhsa_kernel _ZN7rocprim17ROCPRIM_400000_NS6detail17trampoline_kernelINS0_14default_configENS1_35radix_sort_onesweep_config_selectorIalEEZZNS1_29radix_sort_onesweep_iterationIS3_Lb0EPaS7_N6thrust23THRUST_200600_302600_NS10device_ptrIlEESB_jNS0_19identity_decomposerENS1_16block_id_wrapperIjLb0EEEEE10hipError_tT1_PNSt15iterator_traitsISG_E10value_typeET2_T3_PNSH_ISM_E10value_typeET4_T5_PSR_SS_PNS1_23onesweep_lookback_stateEbbT6_jjT7_P12ihipStream_tbENKUlT_T0_SG_SL_E_clIS7_S7_SB_PlEEDaSZ_S10_SG_SL_EUlSZ_E_NS1_11comp_targetILNS1_3genE3ELNS1_11target_archE908ELNS1_3gpuE7ELNS1_3repE0EEENS1_47radix_sort_onesweep_sort_config_static_selectorELNS0_4arch9wavefront6targetE1EEEvSG_
		.amdhsa_group_segment_fixed_size 0
		.amdhsa_private_segment_fixed_size 0
		.amdhsa_kernarg_size 88
		.amdhsa_user_sgpr_count 6
		.amdhsa_user_sgpr_private_segment_buffer 1
		.amdhsa_user_sgpr_dispatch_ptr 0
		.amdhsa_user_sgpr_queue_ptr 0
		.amdhsa_user_sgpr_kernarg_segment_ptr 1
		.amdhsa_user_sgpr_dispatch_id 0
		.amdhsa_user_sgpr_flat_scratch_init 0
		.amdhsa_user_sgpr_kernarg_preload_length 0
		.amdhsa_user_sgpr_kernarg_preload_offset 0
		.amdhsa_user_sgpr_private_segment_size 0
		.amdhsa_uses_dynamic_stack 0
		.amdhsa_system_sgpr_private_segment_wavefront_offset 0
		.amdhsa_system_sgpr_workgroup_id_x 1
		.amdhsa_system_sgpr_workgroup_id_y 0
		.amdhsa_system_sgpr_workgroup_id_z 0
		.amdhsa_system_sgpr_workgroup_info 0
		.amdhsa_system_vgpr_workitem_id 0
		.amdhsa_next_free_vgpr 1
		.amdhsa_next_free_sgpr 0
		.amdhsa_accum_offset 4
		.amdhsa_reserve_vcc 0
		.amdhsa_reserve_flat_scratch 0
		.amdhsa_float_round_mode_32 0
		.amdhsa_float_round_mode_16_64 0
		.amdhsa_float_denorm_mode_32 3
		.amdhsa_float_denorm_mode_16_64 3
		.amdhsa_dx10_clamp 1
		.amdhsa_ieee_mode 1
		.amdhsa_fp16_overflow 0
		.amdhsa_tg_split 0
		.amdhsa_exception_fp_ieee_invalid_op 0
		.amdhsa_exception_fp_denorm_src 0
		.amdhsa_exception_fp_ieee_div_zero 0
		.amdhsa_exception_fp_ieee_overflow 0
		.amdhsa_exception_fp_ieee_underflow 0
		.amdhsa_exception_fp_ieee_inexact 0
		.amdhsa_exception_int_div_zero 0
	.end_amdhsa_kernel
	.section	.text._ZN7rocprim17ROCPRIM_400000_NS6detail17trampoline_kernelINS0_14default_configENS1_35radix_sort_onesweep_config_selectorIalEEZZNS1_29radix_sort_onesweep_iterationIS3_Lb0EPaS7_N6thrust23THRUST_200600_302600_NS10device_ptrIlEESB_jNS0_19identity_decomposerENS1_16block_id_wrapperIjLb0EEEEE10hipError_tT1_PNSt15iterator_traitsISG_E10value_typeET2_T3_PNSH_ISM_E10value_typeET4_T5_PSR_SS_PNS1_23onesweep_lookback_stateEbbT6_jjT7_P12ihipStream_tbENKUlT_T0_SG_SL_E_clIS7_S7_SB_PlEEDaSZ_S10_SG_SL_EUlSZ_E_NS1_11comp_targetILNS1_3genE3ELNS1_11target_archE908ELNS1_3gpuE7ELNS1_3repE0EEENS1_47radix_sort_onesweep_sort_config_static_selectorELNS0_4arch9wavefront6targetE1EEEvSG_,"axG",@progbits,_ZN7rocprim17ROCPRIM_400000_NS6detail17trampoline_kernelINS0_14default_configENS1_35radix_sort_onesweep_config_selectorIalEEZZNS1_29radix_sort_onesweep_iterationIS3_Lb0EPaS7_N6thrust23THRUST_200600_302600_NS10device_ptrIlEESB_jNS0_19identity_decomposerENS1_16block_id_wrapperIjLb0EEEEE10hipError_tT1_PNSt15iterator_traitsISG_E10value_typeET2_T3_PNSH_ISM_E10value_typeET4_T5_PSR_SS_PNS1_23onesweep_lookback_stateEbbT6_jjT7_P12ihipStream_tbENKUlT_T0_SG_SL_E_clIS7_S7_SB_PlEEDaSZ_S10_SG_SL_EUlSZ_E_NS1_11comp_targetILNS1_3genE3ELNS1_11target_archE908ELNS1_3gpuE7ELNS1_3repE0EEENS1_47radix_sort_onesweep_sort_config_static_selectorELNS0_4arch9wavefront6targetE1EEEvSG_,comdat
.Lfunc_end641:
	.size	_ZN7rocprim17ROCPRIM_400000_NS6detail17trampoline_kernelINS0_14default_configENS1_35radix_sort_onesweep_config_selectorIalEEZZNS1_29radix_sort_onesweep_iterationIS3_Lb0EPaS7_N6thrust23THRUST_200600_302600_NS10device_ptrIlEESB_jNS0_19identity_decomposerENS1_16block_id_wrapperIjLb0EEEEE10hipError_tT1_PNSt15iterator_traitsISG_E10value_typeET2_T3_PNSH_ISM_E10value_typeET4_T5_PSR_SS_PNS1_23onesweep_lookback_stateEbbT6_jjT7_P12ihipStream_tbENKUlT_T0_SG_SL_E_clIS7_S7_SB_PlEEDaSZ_S10_SG_SL_EUlSZ_E_NS1_11comp_targetILNS1_3genE3ELNS1_11target_archE908ELNS1_3gpuE7ELNS1_3repE0EEENS1_47radix_sort_onesweep_sort_config_static_selectorELNS0_4arch9wavefront6targetE1EEEvSG_, .Lfunc_end641-_ZN7rocprim17ROCPRIM_400000_NS6detail17trampoline_kernelINS0_14default_configENS1_35radix_sort_onesweep_config_selectorIalEEZZNS1_29radix_sort_onesweep_iterationIS3_Lb0EPaS7_N6thrust23THRUST_200600_302600_NS10device_ptrIlEESB_jNS0_19identity_decomposerENS1_16block_id_wrapperIjLb0EEEEE10hipError_tT1_PNSt15iterator_traitsISG_E10value_typeET2_T3_PNSH_ISM_E10value_typeET4_T5_PSR_SS_PNS1_23onesweep_lookback_stateEbbT6_jjT7_P12ihipStream_tbENKUlT_T0_SG_SL_E_clIS7_S7_SB_PlEEDaSZ_S10_SG_SL_EUlSZ_E_NS1_11comp_targetILNS1_3genE3ELNS1_11target_archE908ELNS1_3gpuE7ELNS1_3repE0EEENS1_47radix_sort_onesweep_sort_config_static_selectorELNS0_4arch9wavefront6targetE1EEEvSG_
                                        ; -- End function
	.section	.AMDGPU.csdata,"",@progbits
; Kernel info:
; codeLenInByte = 0
; NumSgprs: 4
; NumVgprs: 0
; NumAgprs: 0
; TotalNumVgprs: 0
; ScratchSize: 0
; MemoryBound: 0
; FloatMode: 240
; IeeeMode: 1
; LDSByteSize: 0 bytes/workgroup (compile time only)
; SGPRBlocks: 0
; VGPRBlocks: 0
; NumSGPRsForWavesPerEU: 4
; NumVGPRsForWavesPerEU: 1
; AccumOffset: 4
; Occupancy: 8
; WaveLimiterHint : 0
; COMPUTE_PGM_RSRC2:SCRATCH_EN: 0
; COMPUTE_PGM_RSRC2:USER_SGPR: 6
; COMPUTE_PGM_RSRC2:TRAP_HANDLER: 0
; COMPUTE_PGM_RSRC2:TGID_X_EN: 1
; COMPUTE_PGM_RSRC2:TGID_Y_EN: 0
; COMPUTE_PGM_RSRC2:TGID_Z_EN: 0
; COMPUTE_PGM_RSRC2:TIDIG_COMP_CNT: 0
; COMPUTE_PGM_RSRC3_GFX90A:ACCUM_OFFSET: 0
; COMPUTE_PGM_RSRC3_GFX90A:TG_SPLIT: 0
	.section	.text._ZN7rocprim17ROCPRIM_400000_NS6detail17trampoline_kernelINS0_14default_configENS1_35radix_sort_onesweep_config_selectorIalEEZZNS1_29radix_sort_onesweep_iterationIS3_Lb0EPaS7_N6thrust23THRUST_200600_302600_NS10device_ptrIlEESB_jNS0_19identity_decomposerENS1_16block_id_wrapperIjLb0EEEEE10hipError_tT1_PNSt15iterator_traitsISG_E10value_typeET2_T3_PNSH_ISM_E10value_typeET4_T5_PSR_SS_PNS1_23onesweep_lookback_stateEbbT6_jjT7_P12ihipStream_tbENKUlT_T0_SG_SL_E_clIS7_S7_SB_PlEEDaSZ_S10_SG_SL_EUlSZ_E_NS1_11comp_targetILNS1_3genE10ELNS1_11target_archE1201ELNS1_3gpuE5ELNS1_3repE0EEENS1_47radix_sort_onesweep_sort_config_static_selectorELNS0_4arch9wavefront6targetE1EEEvSG_,"axG",@progbits,_ZN7rocprim17ROCPRIM_400000_NS6detail17trampoline_kernelINS0_14default_configENS1_35radix_sort_onesweep_config_selectorIalEEZZNS1_29radix_sort_onesweep_iterationIS3_Lb0EPaS7_N6thrust23THRUST_200600_302600_NS10device_ptrIlEESB_jNS0_19identity_decomposerENS1_16block_id_wrapperIjLb0EEEEE10hipError_tT1_PNSt15iterator_traitsISG_E10value_typeET2_T3_PNSH_ISM_E10value_typeET4_T5_PSR_SS_PNS1_23onesweep_lookback_stateEbbT6_jjT7_P12ihipStream_tbENKUlT_T0_SG_SL_E_clIS7_S7_SB_PlEEDaSZ_S10_SG_SL_EUlSZ_E_NS1_11comp_targetILNS1_3genE10ELNS1_11target_archE1201ELNS1_3gpuE5ELNS1_3repE0EEENS1_47radix_sort_onesweep_sort_config_static_selectorELNS0_4arch9wavefront6targetE1EEEvSG_,comdat
	.protected	_ZN7rocprim17ROCPRIM_400000_NS6detail17trampoline_kernelINS0_14default_configENS1_35radix_sort_onesweep_config_selectorIalEEZZNS1_29radix_sort_onesweep_iterationIS3_Lb0EPaS7_N6thrust23THRUST_200600_302600_NS10device_ptrIlEESB_jNS0_19identity_decomposerENS1_16block_id_wrapperIjLb0EEEEE10hipError_tT1_PNSt15iterator_traitsISG_E10value_typeET2_T3_PNSH_ISM_E10value_typeET4_T5_PSR_SS_PNS1_23onesweep_lookback_stateEbbT6_jjT7_P12ihipStream_tbENKUlT_T0_SG_SL_E_clIS7_S7_SB_PlEEDaSZ_S10_SG_SL_EUlSZ_E_NS1_11comp_targetILNS1_3genE10ELNS1_11target_archE1201ELNS1_3gpuE5ELNS1_3repE0EEENS1_47radix_sort_onesweep_sort_config_static_selectorELNS0_4arch9wavefront6targetE1EEEvSG_ ; -- Begin function _ZN7rocprim17ROCPRIM_400000_NS6detail17trampoline_kernelINS0_14default_configENS1_35radix_sort_onesweep_config_selectorIalEEZZNS1_29radix_sort_onesweep_iterationIS3_Lb0EPaS7_N6thrust23THRUST_200600_302600_NS10device_ptrIlEESB_jNS0_19identity_decomposerENS1_16block_id_wrapperIjLb0EEEEE10hipError_tT1_PNSt15iterator_traitsISG_E10value_typeET2_T3_PNSH_ISM_E10value_typeET4_T5_PSR_SS_PNS1_23onesweep_lookback_stateEbbT6_jjT7_P12ihipStream_tbENKUlT_T0_SG_SL_E_clIS7_S7_SB_PlEEDaSZ_S10_SG_SL_EUlSZ_E_NS1_11comp_targetILNS1_3genE10ELNS1_11target_archE1201ELNS1_3gpuE5ELNS1_3repE0EEENS1_47radix_sort_onesweep_sort_config_static_selectorELNS0_4arch9wavefront6targetE1EEEvSG_
	.globl	_ZN7rocprim17ROCPRIM_400000_NS6detail17trampoline_kernelINS0_14default_configENS1_35radix_sort_onesweep_config_selectorIalEEZZNS1_29radix_sort_onesweep_iterationIS3_Lb0EPaS7_N6thrust23THRUST_200600_302600_NS10device_ptrIlEESB_jNS0_19identity_decomposerENS1_16block_id_wrapperIjLb0EEEEE10hipError_tT1_PNSt15iterator_traitsISG_E10value_typeET2_T3_PNSH_ISM_E10value_typeET4_T5_PSR_SS_PNS1_23onesweep_lookback_stateEbbT6_jjT7_P12ihipStream_tbENKUlT_T0_SG_SL_E_clIS7_S7_SB_PlEEDaSZ_S10_SG_SL_EUlSZ_E_NS1_11comp_targetILNS1_3genE10ELNS1_11target_archE1201ELNS1_3gpuE5ELNS1_3repE0EEENS1_47radix_sort_onesweep_sort_config_static_selectorELNS0_4arch9wavefront6targetE1EEEvSG_
	.p2align	8
	.type	_ZN7rocprim17ROCPRIM_400000_NS6detail17trampoline_kernelINS0_14default_configENS1_35radix_sort_onesweep_config_selectorIalEEZZNS1_29radix_sort_onesweep_iterationIS3_Lb0EPaS7_N6thrust23THRUST_200600_302600_NS10device_ptrIlEESB_jNS0_19identity_decomposerENS1_16block_id_wrapperIjLb0EEEEE10hipError_tT1_PNSt15iterator_traitsISG_E10value_typeET2_T3_PNSH_ISM_E10value_typeET4_T5_PSR_SS_PNS1_23onesweep_lookback_stateEbbT6_jjT7_P12ihipStream_tbENKUlT_T0_SG_SL_E_clIS7_S7_SB_PlEEDaSZ_S10_SG_SL_EUlSZ_E_NS1_11comp_targetILNS1_3genE10ELNS1_11target_archE1201ELNS1_3gpuE5ELNS1_3repE0EEENS1_47radix_sort_onesweep_sort_config_static_selectorELNS0_4arch9wavefront6targetE1EEEvSG_,@function
_ZN7rocprim17ROCPRIM_400000_NS6detail17trampoline_kernelINS0_14default_configENS1_35radix_sort_onesweep_config_selectorIalEEZZNS1_29radix_sort_onesweep_iterationIS3_Lb0EPaS7_N6thrust23THRUST_200600_302600_NS10device_ptrIlEESB_jNS0_19identity_decomposerENS1_16block_id_wrapperIjLb0EEEEE10hipError_tT1_PNSt15iterator_traitsISG_E10value_typeET2_T3_PNSH_ISM_E10value_typeET4_T5_PSR_SS_PNS1_23onesweep_lookback_stateEbbT6_jjT7_P12ihipStream_tbENKUlT_T0_SG_SL_E_clIS7_S7_SB_PlEEDaSZ_S10_SG_SL_EUlSZ_E_NS1_11comp_targetILNS1_3genE10ELNS1_11target_archE1201ELNS1_3gpuE5ELNS1_3repE0EEENS1_47radix_sort_onesweep_sort_config_static_selectorELNS0_4arch9wavefront6targetE1EEEvSG_: ; @_ZN7rocprim17ROCPRIM_400000_NS6detail17trampoline_kernelINS0_14default_configENS1_35radix_sort_onesweep_config_selectorIalEEZZNS1_29radix_sort_onesweep_iterationIS3_Lb0EPaS7_N6thrust23THRUST_200600_302600_NS10device_ptrIlEESB_jNS0_19identity_decomposerENS1_16block_id_wrapperIjLb0EEEEE10hipError_tT1_PNSt15iterator_traitsISG_E10value_typeET2_T3_PNSH_ISM_E10value_typeET4_T5_PSR_SS_PNS1_23onesweep_lookback_stateEbbT6_jjT7_P12ihipStream_tbENKUlT_T0_SG_SL_E_clIS7_S7_SB_PlEEDaSZ_S10_SG_SL_EUlSZ_E_NS1_11comp_targetILNS1_3genE10ELNS1_11target_archE1201ELNS1_3gpuE5ELNS1_3repE0EEENS1_47radix_sort_onesweep_sort_config_static_selectorELNS0_4arch9wavefront6targetE1EEEvSG_
; %bb.0:
	.section	.rodata,"a",@progbits
	.p2align	6, 0x0
	.amdhsa_kernel _ZN7rocprim17ROCPRIM_400000_NS6detail17trampoline_kernelINS0_14default_configENS1_35radix_sort_onesweep_config_selectorIalEEZZNS1_29radix_sort_onesweep_iterationIS3_Lb0EPaS7_N6thrust23THRUST_200600_302600_NS10device_ptrIlEESB_jNS0_19identity_decomposerENS1_16block_id_wrapperIjLb0EEEEE10hipError_tT1_PNSt15iterator_traitsISG_E10value_typeET2_T3_PNSH_ISM_E10value_typeET4_T5_PSR_SS_PNS1_23onesweep_lookback_stateEbbT6_jjT7_P12ihipStream_tbENKUlT_T0_SG_SL_E_clIS7_S7_SB_PlEEDaSZ_S10_SG_SL_EUlSZ_E_NS1_11comp_targetILNS1_3genE10ELNS1_11target_archE1201ELNS1_3gpuE5ELNS1_3repE0EEENS1_47radix_sort_onesweep_sort_config_static_selectorELNS0_4arch9wavefront6targetE1EEEvSG_
		.amdhsa_group_segment_fixed_size 0
		.amdhsa_private_segment_fixed_size 0
		.amdhsa_kernarg_size 88
		.amdhsa_user_sgpr_count 6
		.amdhsa_user_sgpr_private_segment_buffer 1
		.amdhsa_user_sgpr_dispatch_ptr 0
		.amdhsa_user_sgpr_queue_ptr 0
		.amdhsa_user_sgpr_kernarg_segment_ptr 1
		.amdhsa_user_sgpr_dispatch_id 0
		.amdhsa_user_sgpr_flat_scratch_init 0
		.amdhsa_user_sgpr_kernarg_preload_length 0
		.amdhsa_user_sgpr_kernarg_preload_offset 0
		.amdhsa_user_sgpr_private_segment_size 0
		.amdhsa_uses_dynamic_stack 0
		.amdhsa_system_sgpr_private_segment_wavefront_offset 0
		.amdhsa_system_sgpr_workgroup_id_x 1
		.amdhsa_system_sgpr_workgroup_id_y 0
		.amdhsa_system_sgpr_workgroup_id_z 0
		.amdhsa_system_sgpr_workgroup_info 0
		.amdhsa_system_vgpr_workitem_id 0
		.amdhsa_next_free_vgpr 1
		.amdhsa_next_free_sgpr 0
		.amdhsa_accum_offset 4
		.amdhsa_reserve_vcc 0
		.amdhsa_reserve_flat_scratch 0
		.amdhsa_float_round_mode_32 0
		.amdhsa_float_round_mode_16_64 0
		.amdhsa_float_denorm_mode_32 3
		.amdhsa_float_denorm_mode_16_64 3
		.amdhsa_dx10_clamp 1
		.amdhsa_ieee_mode 1
		.amdhsa_fp16_overflow 0
		.amdhsa_tg_split 0
		.amdhsa_exception_fp_ieee_invalid_op 0
		.amdhsa_exception_fp_denorm_src 0
		.amdhsa_exception_fp_ieee_div_zero 0
		.amdhsa_exception_fp_ieee_overflow 0
		.amdhsa_exception_fp_ieee_underflow 0
		.amdhsa_exception_fp_ieee_inexact 0
		.amdhsa_exception_int_div_zero 0
	.end_amdhsa_kernel
	.section	.text._ZN7rocprim17ROCPRIM_400000_NS6detail17trampoline_kernelINS0_14default_configENS1_35radix_sort_onesweep_config_selectorIalEEZZNS1_29radix_sort_onesweep_iterationIS3_Lb0EPaS7_N6thrust23THRUST_200600_302600_NS10device_ptrIlEESB_jNS0_19identity_decomposerENS1_16block_id_wrapperIjLb0EEEEE10hipError_tT1_PNSt15iterator_traitsISG_E10value_typeET2_T3_PNSH_ISM_E10value_typeET4_T5_PSR_SS_PNS1_23onesweep_lookback_stateEbbT6_jjT7_P12ihipStream_tbENKUlT_T0_SG_SL_E_clIS7_S7_SB_PlEEDaSZ_S10_SG_SL_EUlSZ_E_NS1_11comp_targetILNS1_3genE10ELNS1_11target_archE1201ELNS1_3gpuE5ELNS1_3repE0EEENS1_47radix_sort_onesweep_sort_config_static_selectorELNS0_4arch9wavefront6targetE1EEEvSG_,"axG",@progbits,_ZN7rocprim17ROCPRIM_400000_NS6detail17trampoline_kernelINS0_14default_configENS1_35radix_sort_onesweep_config_selectorIalEEZZNS1_29radix_sort_onesweep_iterationIS3_Lb0EPaS7_N6thrust23THRUST_200600_302600_NS10device_ptrIlEESB_jNS0_19identity_decomposerENS1_16block_id_wrapperIjLb0EEEEE10hipError_tT1_PNSt15iterator_traitsISG_E10value_typeET2_T3_PNSH_ISM_E10value_typeET4_T5_PSR_SS_PNS1_23onesweep_lookback_stateEbbT6_jjT7_P12ihipStream_tbENKUlT_T0_SG_SL_E_clIS7_S7_SB_PlEEDaSZ_S10_SG_SL_EUlSZ_E_NS1_11comp_targetILNS1_3genE10ELNS1_11target_archE1201ELNS1_3gpuE5ELNS1_3repE0EEENS1_47radix_sort_onesweep_sort_config_static_selectorELNS0_4arch9wavefront6targetE1EEEvSG_,comdat
.Lfunc_end642:
	.size	_ZN7rocprim17ROCPRIM_400000_NS6detail17trampoline_kernelINS0_14default_configENS1_35radix_sort_onesweep_config_selectorIalEEZZNS1_29radix_sort_onesweep_iterationIS3_Lb0EPaS7_N6thrust23THRUST_200600_302600_NS10device_ptrIlEESB_jNS0_19identity_decomposerENS1_16block_id_wrapperIjLb0EEEEE10hipError_tT1_PNSt15iterator_traitsISG_E10value_typeET2_T3_PNSH_ISM_E10value_typeET4_T5_PSR_SS_PNS1_23onesweep_lookback_stateEbbT6_jjT7_P12ihipStream_tbENKUlT_T0_SG_SL_E_clIS7_S7_SB_PlEEDaSZ_S10_SG_SL_EUlSZ_E_NS1_11comp_targetILNS1_3genE10ELNS1_11target_archE1201ELNS1_3gpuE5ELNS1_3repE0EEENS1_47radix_sort_onesweep_sort_config_static_selectorELNS0_4arch9wavefront6targetE1EEEvSG_, .Lfunc_end642-_ZN7rocprim17ROCPRIM_400000_NS6detail17trampoline_kernelINS0_14default_configENS1_35radix_sort_onesweep_config_selectorIalEEZZNS1_29radix_sort_onesweep_iterationIS3_Lb0EPaS7_N6thrust23THRUST_200600_302600_NS10device_ptrIlEESB_jNS0_19identity_decomposerENS1_16block_id_wrapperIjLb0EEEEE10hipError_tT1_PNSt15iterator_traitsISG_E10value_typeET2_T3_PNSH_ISM_E10value_typeET4_T5_PSR_SS_PNS1_23onesweep_lookback_stateEbbT6_jjT7_P12ihipStream_tbENKUlT_T0_SG_SL_E_clIS7_S7_SB_PlEEDaSZ_S10_SG_SL_EUlSZ_E_NS1_11comp_targetILNS1_3genE10ELNS1_11target_archE1201ELNS1_3gpuE5ELNS1_3repE0EEENS1_47radix_sort_onesweep_sort_config_static_selectorELNS0_4arch9wavefront6targetE1EEEvSG_
                                        ; -- End function
	.section	.AMDGPU.csdata,"",@progbits
; Kernel info:
; codeLenInByte = 0
; NumSgprs: 4
; NumVgprs: 0
; NumAgprs: 0
; TotalNumVgprs: 0
; ScratchSize: 0
; MemoryBound: 0
; FloatMode: 240
; IeeeMode: 1
; LDSByteSize: 0 bytes/workgroup (compile time only)
; SGPRBlocks: 0
; VGPRBlocks: 0
; NumSGPRsForWavesPerEU: 4
; NumVGPRsForWavesPerEU: 1
; AccumOffset: 4
; Occupancy: 8
; WaveLimiterHint : 0
; COMPUTE_PGM_RSRC2:SCRATCH_EN: 0
; COMPUTE_PGM_RSRC2:USER_SGPR: 6
; COMPUTE_PGM_RSRC2:TRAP_HANDLER: 0
; COMPUTE_PGM_RSRC2:TGID_X_EN: 1
; COMPUTE_PGM_RSRC2:TGID_Y_EN: 0
; COMPUTE_PGM_RSRC2:TGID_Z_EN: 0
; COMPUTE_PGM_RSRC2:TIDIG_COMP_CNT: 0
; COMPUTE_PGM_RSRC3_GFX90A:ACCUM_OFFSET: 0
; COMPUTE_PGM_RSRC3_GFX90A:TG_SPLIT: 0
	.section	.text._ZN7rocprim17ROCPRIM_400000_NS6detail17trampoline_kernelINS0_14default_configENS1_35radix_sort_onesweep_config_selectorIalEEZZNS1_29radix_sort_onesweep_iterationIS3_Lb0EPaS7_N6thrust23THRUST_200600_302600_NS10device_ptrIlEESB_jNS0_19identity_decomposerENS1_16block_id_wrapperIjLb0EEEEE10hipError_tT1_PNSt15iterator_traitsISG_E10value_typeET2_T3_PNSH_ISM_E10value_typeET4_T5_PSR_SS_PNS1_23onesweep_lookback_stateEbbT6_jjT7_P12ihipStream_tbENKUlT_T0_SG_SL_E_clIS7_S7_SB_PlEEDaSZ_S10_SG_SL_EUlSZ_E_NS1_11comp_targetILNS1_3genE9ELNS1_11target_archE1100ELNS1_3gpuE3ELNS1_3repE0EEENS1_47radix_sort_onesweep_sort_config_static_selectorELNS0_4arch9wavefront6targetE1EEEvSG_,"axG",@progbits,_ZN7rocprim17ROCPRIM_400000_NS6detail17trampoline_kernelINS0_14default_configENS1_35radix_sort_onesweep_config_selectorIalEEZZNS1_29radix_sort_onesweep_iterationIS3_Lb0EPaS7_N6thrust23THRUST_200600_302600_NS10device_ptrIlEESB_jNS0_19identity_decomposerENS1_16block_id_wrapperIjLb0EEEEE10hipError_tT1_PNSt15iterator_traitsISG_E10value_typeET2_T3_PNSH_ISM_E10value_typeET4_T5_PSR_SS_PNS1_23onesweep_lookback_stateEbbT6_jjT7_P12ihipStream_tbENKUlT_T0_SG_SL_E_clIS7_S7_SB_PlEEDaSZ_S10_SG_SL_EUlSZ_E_NS1_11comp_targetILNS1_3genE9ELNS1_11target_archE1100ELNS1_3gpuE3ELNS1_3repE0EEENS1_47radix_sort_onesweep_sort_config_static_selectorELNS0_4arch9wavefront6targetE1EEEvSG_,comdat
	.protected	_ZN7rocprim17ROCPRIM_400000_NS6detail17trampoline_kernelINS0_14default_configENS1_35radix_sort_onesweep_config_selectorIalEEZZNS1_29radix_sort_onesweep_iterationIS3_Lb0EPaS7_N6thrust23THRUST_200600_302600_NS10device_ptrIlEESB_jNS0_19identity_decomposerENS1_16block_id_wrapperIjLb0EEEEE10hipError_tT1_PNSt15iterator_traitsISG_E10value_typeET2_T3_PNSH_ISM_E10value_typeET4_T5_PSR_SS_PNS1_23onesweep_lookback_stateEbbT6_jjT7_P12ihipStream_tbENKUlT_T0_SG_SL_E_clIS7_S7_SB_PlEEDaSZ_S10_SG_SL_EUlSZ_E_NS1_11comp_targetILNS1_3genE9ELNS1_11target_archE1100ELNS1_3gpuE3ELNS1_3repE0EEENS1_47radix_sort_onesweep_sort_config_static_selectorELNS0_4arch9wavefront6targetE1EEEvSG_ ; -- Begin function _ZN7rocprim17ROCPRIM_400000_NS6detail17trampoline_kernelINS0_14default_configENS1_35radix_sort_onesweep_config_selectorIalEEZZNS1_29radix_sort_onesweep_iterationIS3_Lb0EPaS7_N6thrust23THRUST_200600_302600_NS10device_ptrIlEESB_jNS0_19identity_decomposerENS1_16block_id_wrapperIjLb0EEEEE10hipError_tT1_PNSt15iterator_traitsISG_E10value_typeET2_T3_PNSH_ISM_E10value_typeET4_T5_PSR_SS_PNS1_23onesweep_lookback_stateEbbT6_jjT7_P12ihipStream_tbENKUlT_T0_SG_SL_E_clIS7_S7_SB_PlEEDaSZ_S10_SG_SL_EUlSZ_E_NS1_11comp_targetILNS1_3genE9ELNS1_11target_archE1100ELNS1_3gpuE3ELNS1_3repE0EEENS1_47radix_sort_onesweep_sort_config_static_selectorELNS0_4arch9wavefront6targetE1EEEvSG_
	.globl	_ZN7rocprim17ROCPRIM_400000_NS6detail17trampoline_kernelINS0_14default_configENS1_35radix_sort_onesweep_config_selectorIalEEZZNS1_29radix_sort_onesweep_iterationIS3_Lb0EPaS7_N6thrust23THRUST_200600_302600_NS10device_ptrIlEESB_jNS0_19identity_decomposerENS1_16block_id_wrapperIjLb0EEEEE10hipError_tT1_PNSt15iterator_traitsISG_E10value_typeET2_T3_PNSH_ISM_E10value_typeET4_T5_PSR_SS_PNS1_23onesweep_lookback_stateEbbT6_jjT7_P12ihipStream_tbENKUlT_T0_SG_SL_E_clIS7_S7_SB_PlEEDaSZ_S10_SG_SL_EUlSZ_E_NS1_11comp_targetILNS1_3genE9ELNS1_11target_archE1100ELNS1_3gpuE3ELNS1_3repE0EEENS1_47radix_sort_onesweep_sort_config_static_selectorELNS0_4arch9wavefront6targetE1EEEvSG_
	.p2align	8
	.type	_ZN7rocprim17ROCPRIM_400000_NS6detail17trampoline_kernelINS0_14default_configENS1_35radix_sort_onesweep_config_selectorIalEEZZNS1_29radix_sort_onesweep_iterationIS3_Lb0EPaS7_N6thrust23THRUST_200600_302600_NS10device_ptrIlEESB_jNS0_19identity_decomposerENS1_16block_id_wrapperIjLb0EEEEE10hipError_tT1_PNSt15iterator_traitsISG_E10value_typeET2_T3_PNSH_ISM_E10value_typeET4_T5_PSR_SS_PNS1_23onesweep_lookback_stateEbbT6_jjT7_P12ihipStream_tbENKUlT_T0_SG_SL_E_clIS7_S7_SB_PlEEDaSZ_S10_SG_SL_EUlSZ_E_NS1_11comp_targetILNS1_3genE9ELNS1_11target_archE1100ELNS1_3gpuE3ELNS1_3repE0EEENS1_47radix_sort_onesweep_sort_config_static_selectorELNS0_4arch9wavefront6targetE1EEEvSG_,@function
_ZN7rocprim17ROCPRIM_400000_NS6detail17trampoline_kernelINS0_14default_configENS1_35radix_sort_onesweep_config_selectorIalEEZZNS1_29radix_sort_onesweep_iterationIS3_Lb0EPaS7_N6thrust23THRUST_200600_302600_NS10device_ptrIlEESB_jNS0_19identity_decomposerENS1_16block_id_wrapperIjLb0EEEEE10hipError_tT1_PNSt15iterator_traitsISG_E10value_typeET2_T3_PNSH_ISM_E10value_typeET4_T5_PSR_SS_PNS1_23onesweep_lookback_stateEbbT6_jjT7_P12ihipStream_tbENKUlT_T0_SG_SL_E_clIS7_S7_SB_PlEEDaSZ_S10_SG_SL_EUlSZ_E_NS1_11comp_targetILNS1_3genE9ELNS1_11target_archE1100ELNS1_3gpuE3ELNS1_3repE0EEENS1_47radix_sort_onesweep_sort_config_static_selectorELNS0_4arch9wavefront6targetE1EEEvSG_: ; @_ZN7rocprim17ROCPRIM_400000_NS6detail17trampoline_kernelINS0_14default_configENS1_35radix_sort_onesweep_config_selectorIalEEZZNS1_29radix_sort_onesweep_iterationIS3_Lb0EPaS7_N6thrust23THRUST_200600_302600_NS10device_ptrIlEESB_jNS0_19identity_decomposerENS1_16block_id_wrapperIjLb0EEEEE10hipError_tT1_PNSt15iterator_traitsISG_E10value_typeET2_T3_PNSH_ISM_E10value_typeET4_T5_PSR_SS_PNS1_23onesweep_lookback_stateEbbT6_jjT7_P12ihipStream_tbENKUlT_T0_SG_SL_E_clIS7_S7_SB_PlEEDaSZ_S10_SG_SL_EUlSZ_E_NS1_11comp_targetILNS1_3genE9ELNS1_11target_archE1100ELNS1_3gpuE3ELNS1_3repE0EEENS1_47radix_sort_onesweep_sort_config_static_selectorELNS0_4arch9wavefront6targetE1EEEvSG_
; %bb.0:
	.section	.rodata,"a",@progbits
	.p2align	6, 0x0
	.amdhsa_kernel _ZN7rocprim17ROCPRIM_400000_NS6detail17trampoline_kernelINS0_14default_configENS1_35radix_sort_onesweep_config_selectorIalEEZZNS1_29radix_sort_onesweep_iterationIS3_Lb0EPaS7_N6thrust23THRUST_200600_302600_NS10device_ptrIlEESB_jNS0_19identity_decomposerENS1_16block_id_wrapperIjLb0EEEEE10hipError_tT1_PNSt15iterator_traitsISG_E10value_typeET2_T3_PNSH_ISM_E10value_typeET4_T5_PSR_SS_PNS1_23onesweep_lookback_stateEbbT6_jjT7_P12ihipStream_tbENKUlT_T0_SG_SL_E_clIS7_S7_SB_PlEEDaSZ_S10_SG_SL_EUlSZ_E_NS1_11comp_targetILNS1_3genE9ELNS1_11target_archE1100ELNS1_3gpuE3ELNS1_3repE0EEENS1_47radix_sort_onesweep_sort_config_static_selectorELNS0_4arch9wavefront6targetE1EEEvSG_
		.amdhsa_group_segment_fixed_size 0
		.amdhsa_private_segment_fixed_size 0
		.amdhsa_kernarg_size 88
		.amdhsa_user_sgpr_count 6
		.amdhsa_user_sgpr_private_segment_buffer 1
		.amdhsa_user_sgpr_dispatch_ptr 0
		.amdhsa_user_sgpr_queue_ptr 0
		.amdhsa_user_sgpr_kernarg_segment_ptr 1
		.amdhsa_user_sgpr_dispatch_id 0
		.amdhsa_user_sgpr_flat_scratch_init 0
		.amdhsa_user_sgpr_kernarg_preload_length 0
		.amdhsa_user_sgpr_kernarg_preload_offset 0
		.amdhsa_user_sgpr_private_segment_size 0
		.amdhsa_uses_dynamic_stack 0
		.amdhsa_system_sgpr_private_segment_wavefront_offset 0
		.amdhsa_system_sgpr_workgroup_id_x 1
		.amdhsa_system_sgpr_workgroup_id_y 0
		.amdhsa_system_sgpr_workgroup_id_z 0
		.amdhsa_system_sgpr_workgroup_info 0
		.amdhsa_system_vgpr_workitem_id 0
		.amdhsa_next_free_vgpr 1
		.amdhsa_next_free_sgpr 0
		.amdhsa_accum_offset 4
		.amdhsa_reserve_vcc 0
		.amdhsa_reserve_flat_scratch 0
		.amdhsa_float_round_mode_32 0
		.amdhsa_float_round_mode_16_64 0
		.amdhsa_float_denorm_mode_32 3
		.amdhsa_float_denorm_mode_16_64 3
		.amdhsa_dx10_clamp 1
		.amdhsa_ieee_mode 1
		.amdhsa_fp16_overflow 0
		.amdhsa_tg_split 0
		.amdhsa_exception_fp_ieee_invalid_op 0
		.amdhsa_exception_fp_denorm_src 0
		.amdhsa_exception_fp_ieee_div_zero 0
		.amdhsa_exception_fp_ieee_overflow 0
		.amdhsa_exception_fp_ieee_underflow 0
		.amdhsa_exception_fp_ieee_inexact 0
		.amdhsa_exception_int_div_zero 0
	.end_amdhsa_kernel
	.section	.text._ZN7rocprim17ROCPRIM_400000_NS6detail17trampoline_kernelINS0_14default_configENS1_35radix_sort_onesweep_config_selectorIalEEZZNS1_29radix_sort_onesweep_iterationIS3_Lb0EPaS7_N6thrust23THRUST_200600_302600_NS10device_ptrIlEESB_jNS0_19identity_decomposerENS1_16block_id_wrapperIjLb0EEEEE10hipError_tT1_PNSt15iterator_traitsISG_E10value_typeET2_T3_PNSH_ISM_E10value_typeET4_T5_PSR_SS_PNS1_23onesweep_lookback_stateEbbT6_jjT7_P12ihipStream_tbENKUlT_T0_SG_SL_E_clIS7_S7_SB_PlEEDaSZ_S10_SG_SL_EUlSZ_E_NS1_11comp_targetILNS1_3genE9ELNS1_11target_archE1100ELNS1_3gpuE3ELNS1_3repE0EEENS1_47radix_sort_onesweep_sort_config_static_selectorELNS0_4arch9wavefront6targetE1EEEvSG_,"axG",@progbits,_ZN7rocprim17ROCPRIM_400000_NS6detail17trampoline_kernelINS0_14default_configENS1_35radix_sort_onesweep_config_selectorIalEEZZNS1_29radix_sort_onesweep_iterationIS3_Lb0EPaS7_N6thrust23THRUST_200600_302600_NS10device_ptrIlEESB_jNS0_19identity_decomposerENS1_16block_id_wrapperIjLb0EEEEE10hipError_tT1_PNSt15iterator_traitsISG_E10value_typeET2_T3_PNSH_ISM_E10value_typeET4_T5_PSR_SS_PNS1_23onesweep_lookback_stateEbbT6_jjT7_P12ihipStream_tbENKUlT_T0_SG_SL_E_clIS7_S7_SB_PlEEDaSZ_S10_SG_SL_EUlSZ_E_NS1_11comp_targetILNS1_3genE9ELNS1_11target_archE1100ELNS1_3gpuE3ELNS1_3repE0EEENS1_47radix_sort_onesweep_sort_config_static_selectorELNS0_4arch9wavefront6targetE1EEEvSG_,comdat
.Lfunc_end643:
	.size	_ZN7rocprim17ROCPRIM_400000_NS6detail17trampoline_kernelINS0_14default_configENS1_35radix_sort_onesweep_config_selectorIalEEZZNS1_29radix_sort_onesweep_iterationIS3_Lb0EPaS7_N6thrust23THRUST_200600_302600_NS10device_ptrIlEESB_jNS0_19identity_decomposerENS1_16block_id_wrapperIjLb0EEEEE10hipError_tT1_PNSt15iterator_traitsISG_E10value_typeET2_T3_PNSH_ISM_E10value_typeET4_T5_PSR_SS_PNS1_23onesweep_lookback_stateEbbT6_jjT7_P12ihipStream_tbENKUlT_T0_SG_SL_E_clIS7_S7_SB_PlEEDaSZ_S10_SG_SL_EUlSZ_E_NS1_11comp_targetILNS1_3genE9ELNS1_11target_archE1100ELNS1_3gpuE3ELNS1_3repE0EEENS1_47radix_sort_onesweep_sort_config_static_selectorELNS0_4arch9wavefront6targetE1EEEvSG_, .Lfunc_end643-_ZN7rocprim17ROCPRIM_400000_NS6detail17trampoline_kernelINS0_14default_configENS1_35radix_sort_onesweep_config_selectorIalEEZZNS1_29radix_sort_onesweep_iterationIS3_Lb0EPaS7_N6thrust23THRUST_200600_302600_NS10device_ptrIlEESB_jNS0_19identity_decomposerENS1_16block_id_wrapperIjLb0EEEEE10hipError_tT1_PNSt15iterator_traitsISG_E10value_typeET2_T3_PNSH_ISM_E10value_typeET4_T5_PSR_SS_PNS1_23onesweep_lookback_stateEbbT6_jjT7_P12ihipStream_tbENKUlT_T0_SG_SL_E_clIS7_S7_SB_PlEEDaSZ_S10_SG_SL_EUlSZ_E_NS1_11comp_targetILNS1_3genE9ELNS1_11target_archE1100ELNS1_3gpuE3ELNS1_3repE0EEENS1_47radix_sort_onesweep_sort_config_static_selectorELNS0_4arch9wavefront6targetE1EEEvSG_
                                        ; -- End function
	.section	.AMDGPU.csdata,"",@progbits
; Kernel info:
; codeLenInByte = 0
; NumSgprs: 4
; NumVgprs: 0
; NumAgprs: 0
; TotalNumVgprs: 0
; ScratchSize: 0
; MemoryBound: 0
; FloatMode: 240
; IeeeMode: 1
; LDSByteSize: 0 bytes/workgroup (compile time only)
; SGPRBlocks: 0
; VGPRBlocks: 0
; NumSGPRsForWavesPerEU: 4
; NumVGPRsForWavesPerEU: 1
; AccumOffset: 4
; Occupancy: 8
; WaveLimiterHint : 0
; COMPUTE_PGM_RSRC2:SCRATCH_EN: 0
; COMPUTE_PGM_RSRC2:USER_SGPR: 6
; COMPUTE_PGM_RSRC2:TRAP_HANDLER: 0
; COMPUTE_PGM_RSRC2:TGID_X_EN: 1
; COMPUTE_PGM_RSRC2:TGID_Y_EN: 0
; COMPUTE_PGM_RSRC2:TGID_Z_EN: 0
; COMPUTE_PGM_RSRC2:TIDIG_COMP_CNT: 0
; COMPUTE_PGM_RSRC3_GFX90A:ACCUM_OFFSET: 0
; COMPUTE_PGM_RSRC3_GFX90A:TG_SPLIT: 0
	.section	.text._ZN7rocprim17ROCPRIM_400000_NS6detail17trampoline_kernelINS0_14default_configENS1_35radix_sort_onesweep_config_selectorIalEEZZNS1_29radix_sort_onesweep_iterationIS3_Lb0EPaS7_N6thrust23THRUST_200600_302600_NS10device_ptrIlEESB_jNS0_19identity_decomposerENS1_16block_id_wrapperIjLb0EEEEE10hipError_tT1_PNSt15iterator_traitsISG_E10value_typeET2_T3_PNSH_ISM_E10value_typeET4_T5_PSR_SS_PNS1_23onesweep_lookback_stateEbbT6_jjT7_P12ihipStream_tbENKUlT_T0_SG_SL_E_clIS7_S7_SB_PlEEDaSZ_S10_SG_SL_EUlSZ_E_NS1_11comp_targetILNS1_3genE8ELNS1_11target_archE1030ELNS1_3gpuE2ELNS1_3repE0EEENS1_47radix_sort_onesweep_sort_config_static_selectorELNS0_4arch9wavefront6targetE1EEEvSG_,"axG",@progbits,_ZN7rocprim17ROCPRIM_400000_NS6detail17trampoline_kernelINS0_14default_configENS1_35radix_sort_onesweep_config_selectorIalEEZZNS1_29radix_sort_onesweep_iterationIS3_Lb0EPaS7_N6thrust23THRUST_200600_302600_NS10device_ptrIlEESB_jNS0_19identity_decomposerENS1_16block_id_wrapperIjLb0EEEEE10hipError_tT1_PNSt15iterator_traitsISG_E10value_typeET2_T3_PNSH_ISM_E10value_typeET4_T5_PSR_SS_PNS1_23onesweep_lookback_stateEbbT6_jjT7_P12ihipStream_tbENKUlT_T0_SG_SL_E_clIS7_S7_SB_PlEEDaSZ_S10_SG_SL_EUlSZ_E_NS1_11comp_targetILNS1_3genE8ELNS1_11target_archE1030ELNS1_3gpuE2ELNS1_3repE0EEENS1_47radix_sort_onesweep_sort_config_static_selectorELNS0_4arch9wavefront6targetE1EEEvSG_,comdat
	.protected	_ZN7rocprim17ROCPRIM_400000_NS6detail17trampoline_kernelINS0_14default_configENS1_35radix_sort_onesweep_config_selectorIalEEZZNS1_29radix_sort_onesweep_iterationIS3_Lb0EPaS7_N6thrust23THRUST_200600_302600_NS10device_ptrIlEESB_jNS0_19identity_decomposerENS1_16block_id_wrapperIjLb0EEEEE10hipError_tT1_PNSt15iterator_traitsISG_E10value_typeET2_T3_PNSH_ISM_E10value_typeET4_T5_PSR_SS_PNS1_23onesweep_lookback_stateEbbT6_jjT7_P12ihipStream_tbENKUlT_T0_SG_SL_E_clIS7_S7_SB_PlEEDaSZ_S10_SG_SL_EUlSZ_E_NS1_11comp_targetILNS1_3genE8ELNS1_11target_archE1030ELNS1_3gpuE2ELNS1_3repE0EEENS1_47radix_sort_onesweep_sort_config_static_selectorELNS0_4arch9wavefront6targetE1EEEvSG_ ; -- Begin function _ZN7rocprim17ROCPRIM_400000_NS6detail17trampoline_kernelINS0_14default_configENS1_35radix_sort_onesweep_config_selectorIalEEZZNS1_29radix_sort_onesweep_iterationIS3_Lb0EPaS7_N6thrust23THRUST_200600_302600_NS10device_ptrIlEESB_jNS0_19identity_decomposerENS1_16block_id_wrapperIjLb0EEEEE10hipError_tT1_PNSt15iterator_traitsISG_E10value_typeET2_T3_PNSH_ISM_E10value_typeET4_T5_PSR_SS_PNS1_23onesweep_lookback_stateEbbT6_jjT7_P12ihipStream_tbENKUlT_T0_SG_SL_E_clIS7_S7_SB_PlEEDaSZ_S10_SG_SL_EUlSZ_E_NS1_11comp_targetILNS1_3genE8ELNS1_11target_archE1030ELNS1_3gpuE2ELNS1_3repE0EEENS1_47radix_sort_onesweep_sort_config_static_selectorELNS0_4arch9wavefront6targetE1EEEvSG_
	.globl	_ZN7rocprim17ROCPRIM_400000_NS6detail17trampoline_kernelINS0_14default_configENS1_35radix_sort_onesweep_config_selectorIalEEZZNS1_29radix_sort_onesweep_iterationIS3_Lb0EPaS7_N6thrust23THRUST_200600_302600_NS10device_ptrIlEESB_jNS0_19identity_decomposerENS1_16block_id_wrapperIjLb0EEEEE10hipError_tT1_PNSt15iterator_traitsISG_E10value_typeET2_T3_PNSH_ISM_E10value_typeET4_T5_PSR_SS_PNS1_23onesweep_lookback_stateEbbT6_jjT7_P12ihipStream_tbENKUlT_T0_SG_SL_E_clIS7_S7_SB_PlEEDaSZ_S10_SG_SL_EUlSZ_E_NS1_11comp_targetILNS1_3genE8ELNS1_11target_archE1030ELNS1_3gpuE2ELNS1_3repE0EEENS1_47radix_sort_onesweep_sort_config_static_selectorELNS0_4arch9wavefront6targetE1EEEvSG_
	.p2align	8
	.type	_ZN7rocprim17ROCPRIM_400000_NS6detail17trampoline_kernelINS0_14default_configENS1_35radix_sort_onesweep_config_selectorIalEEZZNS1_29radix_sort_onesweep_iterationIS3_Lb0EPaS7_N6thrust23THRUST_200600_302600_NS10device_ptrIlEESB_jNS0_19identity_decomposerENS1_16block_id_wrapperIjLb0EEEEE10hipError_tT1_PNSt15iterator_traitsISG_E10value_typeET2_T3_PNSH_ISM_E10value_typeET4_T5_PSR_SS_PNS1_23onesweep_lookback_stateEbbT6_jjT7_P12ihipStream_tbENKUlT_T0_SG_SL_E_clIS7_S7_SB_PlEEDaSZ_S10_SG_SL_EUlSZ_E_NS1_11comp_targetILNS1_3genE8ELNS1_11target_archE1030ELNS1_3gpuE2ELNS1_3repE0EEENS1_47radix_sort_onesweep_sort_config_static_selectorELNS0_4arch9wavefront6targetE1EEEvSG_,@function
_ZN7rocprim17ROCPRIM_400000_NS6detail17trampoline_kernelINS0_14default_configENS1_35radix_sort_onesweep_config_selectorIalEEZZNS1_29radix_sort_onesweep_iterationIS3_Lb0EPaS7_N6thrust23THRUST_200600_302600_NS10device_ptrIlEESB_jNS0_19identity_decomposerENS1_16block_id_wrapperIjLb0EEEEE10hipError_tT1_PNSt15iterator_traitsISG_E10value_typeET2_T3_PNSH_ISM_E10value_typeET4_T5_PSR_SS_PNS1_23onesweep_lookback_stateEbbT6_jjT7_P12ihipStream_tbENKUlT_T0_SG_SL_E_clIS7_S7_SB_PlEEDaSZ_S10_SG_SL_EUlSZ_E_NS1_11comp_targetILNS1_3genE8ELNS1_11target_archE1030ELNS1_3gpuE2ELNS1_3repE0EEENS1_47radix_sort_onesweep_sort_config_static_selectorELNS0_4arch9wavefront6targetE1EEEvSG_: ; @_ZN7rocprim17ROCPRIM_400000_NS6detail17trampoline_kernelINS0_14default_configENS1_35radix_sort_onesweep_config_selectorIalEEZZNS1_29radix_sort_onesweep_iterationIS3_Lb0EPaS7_N6thrust23THRUST_200600_302600_NS10device_ptrIlEESB_jNS0_19identity_decomposerENS1_16block_id_wrapperIjLb0EEEEE10hipError_tT1_PNSt15iterator_traitsISG_E10value_typeET2_T3_PNSH_ISM_E10value_typeET4_T5_PSR_SS_PNS1_23onesweep_lookback_stateEbbT6_jjT7_P12ihipStream_tbENKUlT_T0_SG_SL_E_clIS7_S7_SB_PlEEDaSZ_S10_SG_SL_EUlSZ_E_NS1_11comp_targetILNS1_3genE8ELNS1_11target_archE1030ELNS1_3gpuE2ELNS1_3repE0EEENS1_47radix_sort_onesweep_sort_config_static_selectorELNS0_4arch9wavefront6targetE1EEEvSG_
; %bb.0:
	.section	.rodata,"a",@progbits
	.p2align	6, 0x0
	.amdhsa_kernel _ZN7rocprim17ROCPRIM_400000_NS6detail17trampoline_kernelINS0_14default_configENS1_35radix_sort_onesweep_config_selectorIalEEZZNS1_29radix_sort_onesweep_iterationIS3_Lb0EPaS7_N6thrust23THRUST_200600_302600_NS10device_ptrIlEESB_jNS0_19identity_decomposerENS1_16block_id_wrapperIjLb0EEEEE10hipError_tT1_PNSt15iterator_traitsISG_E10value_typeET2_T3_PNSH_ISM_E10value_typeET4_T5_PSR_SS_PNS1_23onesweep_lookback_stateEbbT6_jjT7_P12ihipStream_tbENKUlT_T0_SG_SL_E_clIS7_S7_SB_PlEEDaSZ_S10_SG_SL_EUlSZ_E_NS1_11comp_targetILNS1_3genE8ELNS1_11target_archE1030ELNS1_3gpuE2ELNS1_3repE0EEENS1_47radix_sort_onesweep_sort_config_static_selectorELNS0_4arch9wavefront6targetE1EEEvSG_
		.amdhsa_group_segment_fixed_size 0
		.amdhsa_private_segment_fixed_size 0
		.amdhsa_kernarg_size 88
		.amdhsa_user_sgpr_count 6
		.amdhsa_user_sgpr_private_segment_buffer 1
		.amdhsa_user_sgpr_dispatch_ptr 0
		.amdhsa_user_sgpr_queue_ptr 0
		.amdhsa_user_sgpr_kernarg_segment_ptr 1
		.amdhsa_user_sgpr_dispatch_id 0
		.amdhsa_user_sgpr_flat_scratch_init 0
		.amdhsa_user_sgpr_kernarg_preload_length 0
		.amdhsa_user_sgpr_kernarg_preload_offset 0
		.amdhsa_user_sgpr_private_segment_size 0
		.amdhsa_uses_dynamic_stack 0
		.amdhsa_system_sgpr_private_segment_wavefront_offset 0
		.amdhsa_system_sgpr_workgroup_id_x 1
		.amdhsa_system_sgpr_workgroup_id_y 0
		.amdhsa_system_sgpr_workgroup_id_z 0
		.amdhsa_system_sgpr_workgroup_info 0
		.amdhsa_system_vgpr_workitem_id 0
		.amdhsa_next_free_vgpr 1
		.amdhsa_next_free_sgpr 0
		.amdhsa_accum_offset 4
		.amdhsa_reserve_vcc 0
		.amdhsa_reserve_flat_scratch 0
		.amdhsa_float_round_mode_32 0
		.amdhsa_float_round_mode_16_64 0
		.amdhsa_float_denorm_mode_32 3
		.amdhsa_float_denorm_mode_16_64 3
		.amdhsa_dx10_clamp 1
		.amdhsa_ieee_mode 1
		.amdhsa_fp16_overflow 0
		.amdhsa_tg_split 0
		.amdhsa_exception_fp_ieee_invalid_op 0
		.amdhsa_exception_fp_denorm_src 0
		.amdhsa_exception_fp_ieee_div_zero 0
		.amdhsa_exception_fp_ieee_overflow 0
		.amdhsa_exception_fp_ieee_underflow 0
		.amdhsa_exception_fp_ieee_inexact 0
		.amdhsa_exception_int_div_zero 0
	.end_amdhsa_kernel
	.section	.text._ZN7rocprim17ROCPRIM_400000_NS6detail17trampoline_kernelINS0_14default_configENS1_35radix_sort_onesweep_config_selectorIalEEZZNS1_29radix_sort_onesweep_iterationIS3_Lb0EPaS7_N6thrust23THRUST_200600_302600_NS10device_ptrIlEESB_jNS0_19identity_decomposerENS1_16block_id_wrapperIjLb0EEEEE10hipError_tT1_PNSt15iterator_traitsISG_E10value_typeET2_T3_PNSH_ISM_E10value_typeET4_T5_PSR_SS_PNS1_23onesweep_lookback_stateEbbT6_jjT7_P12ihipStream_tbENKUlT_T0_SG_SL_E_clIS7_S7_SB_PlEEDaSZ_S10_SG_SL_EUlSZ_E_NS1_11comp_targetILNS1_3genE8ELNS1_11target_archE1030ELNS1_3gpuE2ELNS1_3repE0EEENS1_47radix_sort_onesweep_sort_config_static_selectorELNS0_4arch9wavefront6targetE1EEEvSG_,"axG",@progbits,_ZN7rocprim17ROCPRIM_400000_NS6detail17trampoline_kernelINS0_14default_configENS1_35radix_sort_onesweep_config_selectorIalEEZZNS1_29radix_sort_onesweep_iterationIS3_Lb0EPaS7_N6thrust23THRUST_200600_302600_NS10device_ptrIlEESB_jNS0_19identity_decomposerENS1_16block_id_wrapperIjLb0EEEEE10hipError_tT1_PNSt15iterator_traitsISG_E10value_typeET2_T3_PNSH_ISM_E10value_typeET4_T5_PSR_SS_PNS1_23onesweep_lookback_stateEbbT6_jjT7_P12ihipStream_tbENKUlT_T0_SG_SL_E_clIS7_S7_SB_PlEEDaSZ_S10_SG_SL_EUlSZ_E_NS1_11comp_targetILNS1_3genE8ELNS1_11target_archE1030ELNS1_3gpuE2ELNS1_3repE0EEENS1_47radix_sort_onesweep_sort_config_static_selectorELNS0_4arch9wavefront6targetE1EEEvSG_,comdat
.Lfunc_end644:
	.size	_ZN7rocprim17ROCPRIM_400000_NS6detail17trampoline_kernelINS0_14default_configENS1_35radix_sort_onesweep_config_selectorIalEEZZNS1_29radix_sort_onesweep_iterationIS3_Lb0EPaS7_N6thrust23THRUST_200600_302600_NS10device_ptrIlEESB_jNS0_19identity_decomposerENS1_16block_id_wrapperIjLb0EEEEE10hipError_tT1_PNSt15iterator_traitsISG_E10value_typeET2_T3_PNSH_ISM_E10value_typeET4_T5_PSR_SS_PNS1_23onesweep_lookback_stateEbbT6_jjT7_P12ihipStream_tbENKUlT_T0_SG_SL_E_clIS7_S7_SB_PlEEDaSZ_S10_SG_SL_EUlSZ_E_NS1_11comp_targetILNS1_3genE8ELNS1_11target_archE1030ELNS1_3gpuE2ELNS1_3repE0EEENS1_47radix_sort_onesweep_sort_config_static_selectorELNS0_4arch9wavefront6targetE1EEEvSG_, .Lfunc_end644-_ZN7rocprim17ROCPRIM_400000_NS6detail17trampoline_kernelINS0_14default_configENS1_35radix_sort_onesweep_config_selectorIalEEZZNS1_29radix_sort_onesweep_iterationIS3_Lb0EPaS7_N6thrust23THRUST_200600_302600_NS10device_ptrIlEESB_jNS0_19identity_decomposerENS1_16block_id_wrapperIjLb0EEEEE10hipError_tT1_PNSt15iterator_traitsISG_E10value_typeET2_T3_PNSH_ISM_E10value_typeET4_T5_PSR_SS_PNS1_23onesweep_lookback_stateEbbT6_jjT7_P12ihipStream_tbENKUlT_T0_SG_SL_E_clIS7_S7_SB_PlEEDaSZ_S10_SG_SL_EUlSZ_E_NS1_11comp_targetILNS1_3genE8ELNS1_11target_archE1030ELNS1_3gpuE2ELNS1_3repE0EEENS1_47radix_sort_onesweep_sort_config_static_selectorELNS0_4arch9wavefront6targetE1EEEvSG_
                                        ; -- End function
	.section	.AMDGPU.csdata,"",@progbits
; Kernel info:
; codeLenInByte = 0
; NumSgprs: 4
; NumVgprs: 0
; NumAgprs: 0
; TotalNumVgprs: 0
; ScratchSize: 0
; MemoryBound: 0
; FloatMode: 240
; IeeeMode: 1
; LDSByteSize: 0 bytes/workgroup (compile time only)
; SGPRBlocks: 0
; VGPRBlocks: 0
; NumSGPRsForWavesPerEU: 4
; NumVGPRsForWavesPerEU: 1
; AccumOffset: 4
; Occupancy: 8
; WaveLimiterHint : 0
; COMPUTE_PGM_RSRC2:SCRATCH_EN: 0
; COMPUTE_PGM_RSRC2:USER_SGPR: 6
; COMPUTE_PGM_RSRC2:TRAP_HANDLER: 0
; COMPUTE_PGM_RSRC2:TGID_X_EN: 1
; COMPUTE_PGM_RSRC2:TGID_Y_EN: 0
; COMPUTE_PGM_RSRC2:TGID_Z_EN: 0
; COMPUTE_PGM_RSRC2:TIDIG_COMP_CNT: 0
; COMPUTE_PGM_RSRC3_GFX90A:ACCUM_OFFSET: 0
; COMPUTE_PGM_RSRC3_GFX90A:TG_SPLIT: 0
	.section	.text._ZN7rocprim17ROCPRIM_400000_NS6detail17trampoline_kernelINS0_14default_configENS1_35radix_sort_onesweep_config_selectorIalEEZZNS1_29radix_sort_onesweep_iterationIS3_Lb0EPaS7_N6thrust23THRUST_200600_302600_NS10device_ptrIlEESB_jNS0_19identity_decomposerENS1_16block_id_wrapperIjLb0EEEEE10hipError_tT1_PNSt15iterator_traitsISG_E10value_typeET2_T3_PNSH_ISM_E10value_typeET4_T5_PSR_SS_PNS1_23onesweep_lookback_stateEbbT6_jjT7_P12ihipStream_tbENKUlT_T0_SG_SL_E_clIS7_S7_PlSB_EEDaSZ_S10_SG_SL_EUlSZ_E_NS1_11comp_targetILNS1_3genE0ELNS1_11target_archE4294967295ELNS1_3gpuE0ELNS1_3repE0EEENS1_47radix_sort_onesweep_sort_config_static_selectorELNS0_4arch9wavefront6targetE1EEEvSG_,"axG",@progbits,_ZN7rocprim17ROCPRIM_400000_NS6detail17trampoline_kernelINS0_14default_configENS1_35radix_sort_onesweep_config_selectorIalEEZZNS1_29radix_sort_onesweep_iterationIS3_Lb0EPaS7_N6thrust23THRUST_200600_302600_NS10device_ptrIlEESB_jNS0_19identity_decomposerENS1_16block_id_wrapperIjLb0EEEEE10hipError_tT1_PNSt15iterator_traitsISG_E10value_typeET2_T3_PNSH_ISM_E10value_typeET4_T5_PSR_SS_PNS1_23onesweep_lookback_stateEbbT6_jjT7_P12ihipStream_tbENKUlT_T0_SG_SL_E_clIS7_S7_PlSB_EEDaSZ_S10_SG_SL_EUlSZ_E_NS1_11comp_targetILNS1_3genE0ELNS1_11target_archE4294967295ELNS1_3gpuE0ELNS1_3repE0EEENS1_47radix_sort_onesweep_sort_config_static_selectorELNS0_4arch9wavefront6targetE1EEEvSG_,comdat
	.protected	_ZN7rocprim17ROCPRIM_400000_NS6detail17trampoline_kernelINS0_14default_configENS1_35radix_sort_onesweep_config_selectorIalEEZZNS1_29radix_sort_onesweep_iterationIS3_Lb0EPaS7_N6thrust23THRUST_200600_302600_NS10device_ptrIlEESB_jNS0_19identity_decomposerENS1_16block_id_wrapperIjLb0EEEEE10hipError_tT1_PNSt15iterator_traitsISG_E10value_typeET2_T3_PNSH_ISM_E10value_typeET4_T5_PSR_SS_PNS1_23onesweep_lookback_stateEbbT6_jjT7_P12ihipStream_tbENKUlT_T0_SG_SL_E_clIS7_S7_PlSB_EEDaSZ_S10_SG_SL_EUlSZ_E_NS1_11comp_targetILNS1_3genE0ELNS1_11target_archE4294967295ELNS1_3gpuE0ELNS1_3repE0EEENS1_47radix_sort_onesweep_sort_config_static_selectorELNS0_4arch9wavefront6targetE1EEEvSG_ ; -- Begin function _ZN7rocprim17ROCPRIM_400000_NS6detail17trampoline_kernelINS0_14default_configENS1_35radix_sort_onesweep_config_selectorIalEEZZNS1_29radix_sort_onesweep_iterationIS3_Lb0EPaS7_N6thrust23THRUST_200600_302600_NS10device_ptrIlEESB_jNS0_19identity_decomposerENS1_16block_id_wrapperIjLb0EEEEE10hipError_tT1_PNSt15iterator_traitsISG_E10value_typeET2_T3_PNSH_ISM_E10value_typeET4_T5_PSR_SS_PNS1_23onesweep_lookback_stateEbbT6_jjT7_P12ihipStream_tbENKUlT_T0_SG_SL_E_clIS7_S7_PlSB_EEDaSZ_S10_SG_SL_EUlSZ_E_NS1_11comp_targetILNS1_3genE0ELNS1_11target_archE4294967295ELNS1_3gpuE0ELNS1_3repE0EEENS1_47radix_sort_onesweep_sort_config_static_selectorELNS0_4arch9wavefront6targetE1EEEvSG_
	.globl	_ZN7rocprim17ROCPRIM_400000_NS6detail17trampoline_kernelINS0_14default_configENS1_35radix_sort_onesweep_config_selectorIalEEZZNS1_29radix_sort_onesweep_iterationIS3_Lb0EPaS7_N6thrust23THRUST_200600_302600_NS10device_ptrIlEESB_jNS0_19identity_decomposerENS1_16block_id_wrapperIjLb0EEEEE10hipError_tT1_PNSt15iterator_traitsISG_E10value_typeET2_T3_PNSH_ISM_E10value_typeET4_T5_PSR_SS_PNS1_23onesweep_lookback_stateEbbT6_jjT7_P12ihipStream_tbENKUlT_T0_SG_SL_E_clIS7_S7_PlSB_EEDaSZ_S10_SG_SL_EUlSZ_E_NS1_11comp_targetILNS1_3genE0ELNS1_11target_archE4294967295ELNS1_3gpuE0ELNS1_3repE0EEENS1_47radix_sort_onesweep_sort_config_static_selectorELNS0_4arch9wavefront6targetE1EEEvSG_
	.p2align	8
	.type	_ZN7rocprim17ROCPRIM_400000_NS6detail17trampoline_kernelINS0_14default_configENS1_35radix_sort_onesweep_config_selectorIalEEZZNS1_29radix_sort_onesweep_iterationIS3_Lb0EPaS7_N6thrust23THRUST_200600_302600_NS10device_ptrIlEESB_jNS0_19identity_decomposerENS1_16block_id_wrapperIjLb0EEEEE10hipError_tT1_PNSt15iterator_traitsISG_E10value_typeET2_T3_PNSH_ISM_E10value_typeET4_T5_PSR_SS_PNS1_23onesweep_lookback_stateEbbT6_jjT7_P12ihipStream_tbENKUlT_T0_SG_SL_E_clIS7_S7_PlSB_EEDaSZ_S10_SG_SL_EUlSZ_E_NS1_11comp_targetILNS1_3genE0ELNS1_11target_archE4294967295ELNS1_3gpuE0ELNS1_3repE0EEENS1_47radix_sort_onesweep_sort_config_static_selectorELNS0_4arch9wavefront6targetE1EEEvSG_,@function
_ZN7rocprim17ROCPRIM_400000_NS6detail17trampoline_kernelINS0_14default_configENS1_35radix_sort_onesweep_config_selectorIalEEZZNS1_29radix_sort_onesweep_iterationIS3_Lb0EPaS7_N6thrust23THRUST_200600_302600_NS10device_ptrIlEESB_jNS0_19identity_decomposerENS1_16block_id_wrapperIjLb0EEEEE10hipError_tT1_PNSt15iterator_traitsISG_E10value_typeET2_T3_PNSH_ISM_E10value_typeET4_T5_PSR_SS_PNS1_23onesweep_lookback_stateEbbT6_jjT7_P12ihipStream_tbENKUlT_T0_SG_SL_E_clIS7_S7_PlSB_EEDaSZ_S10_SG_SL_EUlSZ_E_NS1_11comp_targetILNS1_3genE0ELNS1_11target_archE4294967295ELNS1_3gpuE0ELNS1_3repE0EEENS1_47radix_sort_onesweep_sort_config_static_selectorELNS0_4arch9wavefront6targetE1EEEvSG_: ; @_ZN7rocprim17ROCPRIM_400000_NS6detail17trampoline_kernelINS0_14default_configENS1_35radix_sort_onesweep_config_selectorIalEEZZNS1_29radix_sort_onesweep_iterationIS3_Lb0EPaS7_N6thrust23THRUST_200600_302600_NS10device_ptrIlEESB_jNS0_19identity_decomposerENS1_16block_id_wrapperIjLb0EEEEE10hipError_tT1_PNSt15iterator_traitsISG_E10value_typeET2_T3_PNSH_ISM_E10value_typeET4_T5_PSR_SS_PNS1_23onesweep_lookback_stateEbbT6_jjT7_P12ihipStream_tbENKUlT_T0_SG_SL_E_clIS7_S7_PlSB_EEDaSZ_S10_SG_SL_EUlSZ_E_NS1_11comp_targetILNS1_3genE0ELNS1_11target_archE4294967295ELNS1_3gpuE0ELNS1_3repE0EEENS1_47radix_sort_onesweep_sort_config_static_selectorELNS0_4arch9wavefront6targetE1EEEvSG_
; %bb.0:
	.section	.rodata,"a",@progbits
	.p2align	6, 0x0
	.amdhsa_kernel _ZN7rocprim17ROCPRIM_400000_NS6detail17trampoline_kernelINS0_14default_configENS1_35radix_sort_onesweep_config_selectorIalEEZZNS1_29radix_sort_onesweep_iterationIS3_Lb0EPaS7_N6thrust23THRUST_200600_302600_NS10device_ptrIlEESB_jNS0_19identity_decomposerENS1_16block_id_wrapperIjLb0EEEEE10hipError_tT1_PNSt15iterator_traitsISG_E10value_typeET2_T3_PNSH_ISM_E10value_typeET4_T5_PSR_SS_PNS1_23onesweep_lookback_stateEbbT6_jjT7_P12ihipStream_tbENKUlT_T0_SG_SL_E_clIS7_S7_PlSB_EEDaSZ_S10_SG_SL_EUlSZ_E_NS1_11comp_targetILNS1_3genE0ELNS1_11target_archE4294967295ELNS1_3gpuE0ELNS1_3repE0EEENS1_47radix_sort_onesweep_sort_config_static_selectorELNS0_4arch9wavefront6targetE1EEEvSG_
		.amdhsa_group_segment_fixed_size 0
		.amdhsa_private_segment_fixed_size 0
		.amdhsa_kernarg_size 88
		.amdhsa_user_sgpr_count 6
		.amdhsa_user_sgpr_private_segment_buffer 1
		.amdhsa_user_sgpr_dispatch_ptr 0
		.amdhsa_user_sgpr_queue_ptr 0
		.amdhsa_user_sgpr_kernarg_segment_ptr 1
		.amdhsa_user_sgpr_dispatch_id 0
		.amdhsa_user_sgpr_flat_scratch_init 0
		.amdhsa_user_sgpr_kernarg_preload_length 0
		.amdhsa_user_sgpr_kernarg_preload_offset 0
		.amdhsa_user_sgpr_private_segment_size 0
		.amdhsa_uses_dynamic_stack 0
		.amdhsa_system_sgpr_private_segment_wavefront_offset 0
		.amdhsa_system_sgpr_workgroup_id_x 1
		.amdhsa_system_sgpr_workgroup_id_y 0
		.amdhsa_system_sgpr_workgroup_id_z 0
		.amdhsa_system_sgpr_workgroup_info 0
		.amdhsa_system_vgpr_workitem_id 0
		.amdhsa_next_free_vgpr 1
		.amdhsa_next_free_sgpr 0
		.amdhsa_accum_offset 4
		.amdhsa_reserve_vcc 0
		.amdhsa_reserve_flat_scratch 0
		.amdhsa_float_round_mode_32 0
		.amdhsa_float_round_mode_16_64 0
		.amdhsa_float_denorm_mode_32 3
		.amdhsa_float_denorm_mode_16_64 3
		.amdhsa_dx10_clamp 1
		.amdhsa_ieee_mode 1
		.amdhsa_fp16_overflow 0
		.amdhsa_tg_split 0
		.amdhsa_exception_fp_ieee_invalid_op 0
		.amdhsa_exception_fp_denorm_src 0
		.amdhsa_exception_fp_ieee_div_zero 0
		.amdhsa_exception_fp_ieee_overflow 0
		.amdhsa_exception_fp_ieee_underflow 0
		.amdhsa_exception_fp_ieee_inexact 0
		.amdhsa_exception_int_div_zero 0
	.end_amdhsa_kernel
	.section	.text._ZN7rocprim17ROCPRIM_400000_NS6detail17trampoline_kernelINS0_14default_configENS1_35radix_sort_onesweep_config_selectorIalEEZZNS1_29radix_sort_onesweep_iterationIS3_Lb0EPaS7_N6thrust23THRUST_200600_302600_NS10device_ptrIlEESB_jNS0_19identity_decomposerENS1_16block_id_wrapperIjLb0EEEEE10hipError_tT1_PNSt15iterator_traitsISG_E10value_typeET2_T3_PNSH_ISM_E10value_typeET4_T5_PSR_SS_PNS1_23onesweep_lookback_stateEbbT6_jjT7_P12ihipStream_tbENKUlT_T0_SG_SL_E_clIS7_S7_PlSB_EEDaSZ_S10_SG_SL_EUlSZ_E_NS1_11comp_targetILNS1_3genE0ELNS1_11target_archE4294967295ELNS1_3gpuE0ELNS1_3repE0EEENS1_47radix_sort_onesweep_sort_config_static_selectorELNS0_4arch9wavefront6targetE1EEEvSG_,"axG",@progbits,_ZN7rocprim17ROCPRIM_400000_NS6detail17trampoline_kernelINS0_14default_configENS1_35radix_sort_onesweep_config_selectorIalEEZZNS1_29radix_sort_onesweep_iterationIS3_Lb0EPaS7_N6thrust23THRUST_200600_302600_NS10device_ptrIlEESB_jNS0_19identity_decomposerENS1_16block_id_wrapperIjLb0EEEEE10hipError_tT1_PNSt15iterator_traitsISG_E10value_typeET2_T3_PNSH_ISM_E10value_typeET4_T5_PSR_SS_PNS1_23onesweep_lookback_stateEbbT6_jjT7_P12ihipStream_tbENKUlT_T0_SG_SL_E_clIS7_S7_PlSB_EEDaSZ_S10_SG_SL_EUlSZ_E_NS1_11comp_targetILNS1_3genE0ELNS1_11target_archE4294967295ELNS1_3gpuE0ELNS1_3repE0EEENS1_47radix_sort_onesweep_sort_config_static_selectorELNS0_4arch9wavefront6targetE1EEEvSG_,comdat
.Lfunc_end645:
	.size	_ZN7rocprim17ROCPRIM_400000_NS6detail17trampoline_kernelINS0_14default_configENS1_35radix_sort_onesweep_config_selectorIalEEZZNS1_29radix_sort_onesweep_iterationIS3_Lb0EPaS7_N6thrust23THRUST_200600_302600_NS10device_ptrIlEESB_jNS0_19identity_decomposerENS1_16block_id_wrapperIjLb0EEEEE10hipError_tT1_PNSt15iterator_traitsISG_E10value_typeET2_T3_PNSH_ISM_E10value_typeET4_T5_PSR_SS_PNS1_23onesweep_lookback_stateEbbT6_jjT7_P12ihipStream_tbENKUlT_T0_SG_SL_E_clIS7_S7_PlSB_EEDaSZ_S10_SG_SL_EUlSZ_E_NS1_11comp_targetILNS1_3genE0ELNS1_11target_archE4294967295ELNS1_3gpuE0ELNS1_3repE0EEENS1_47radix_sort_onesweep_sort_config_static_selectorELNS0_4arch9wavefront6targetE1EEEvSG_, .Lfunc_end645-_ZN7rocprim17ROCPRIM_400000_NS6detail17trampoline_kernelINS0_14default_configENS1_35radix_sort_onesweep_config_selectorIalEEZZNS1_29radix_sort_onesweep_iterationIS3_Lb0EPaS7_N6thrust23THRUST_200600_302600_NS10device_ptrIlEESB_jNS0_19identity_decomposerENS1_16block_id_wrapperIjLb0EEEEE10hipError_tT1_PNSt15iterator_traitsISG_E10value_typeET2_T3_PNSH_ISM_E10value_typeET4_T5_PSR_SS_PNS1_23onesweep_lookback_stateEbbT6_jjT7_P12ihipStream_tbENKUlT_T0_SG_SL_E_clIS7_S7_PlSB_EEDaSZ_S10_SG_SL_EUlSZ_E_NS1_11comp_targetILNS1_3genE0ELNS1_11target_archE4294967295ELNS1_3gpuE0ELNS1_3repE0EEENS1_47radix_sort_onesweep_sort_config_static_selectorELNS0_4arch9wavefront6targetE1EEEvSG_
                                        ; -- End function
	.section	.AMDGPU.csdata,"",@progbits
; Kernel info:
; codeLenInByte = 0
; NumSgprs: 4
; NumVgprs: 0
; NumAgprs: 0
; TotalNumVgprs: 0
; ScratchSize: 0
; MemoryBound: 0
; FloatMode: 240
; IeeeMode: 1
; LDSByteSize: 0 bytes/workgroup (compile time only)
; SGPRBlocks: 0
; VGPRBlocks: 0
; NumSGPRsForWavesPerEU: 4
; NumVGPRsForWavesPerEU: 1
; AccumOffset: 4
; Occupancy: 8
; WaveLimiterHint : 0
; COMPUTE_PGM_RSRC2:SCRATCH_EN: 0
; COMPUTE_PGM_RSRC2:USER_SGPR: 6
; COMPUTE_PGM_RSRC2:TRAP_HANDLER: 0
; COMPUTE_PGM_RSRC2:TGID_X_EN: 1
; COMPUTE_PGM_RSRC2:TGID_Y_EN: 0
; COMPUTE_PGM_RSRC2:TGID_Z_EN: 0
; COMPUTE_PGM_RSRC2:TIDIG_COMP_CNT: 0
; COMPUTE_PGM_RSRC3_GFX90A:ACCUM_OFFSET: 0
; COMPUTE_PGM_RSRC3_GFX90A:TG_SPLIT: 0
	.section	.text._ZN7rocprim17ROCPRIM_400000_NS6detail17trampoline_kernelINS0_14default_configENS1_35radix_sort_onesweep_config_selectorIalEEZZNS1_29radix_sort_onesweep_iterationIS3_Lb0EPaS7_N6thrust23THRUST_200600_302600_NS10device_ptrIlEESB_jNS0_19identity_decomposerENS1_16block_id_wrapperIjLb0EEEEE10hipError_tT1_PNSt15iterator_traitsISG_E10value_typeET2_T3_PNSH_ISM_E10value_typeET4_T5_PSR_SS_PNS1_23onesweep_lookback_stateEbbT6_jjT7_P12ihipStream_tbENKUlT_T0_SG_SL_E_clIS7_S7_PlSB_EEDaSZ_S10_SG_SL_EUlSZ_E_NS1_11comp_targetILNS1_3genE6ELNS1_11target_archE950ELNS1_3gpuE13ELNS1_3repE0EEENS1_47radix_sort_onesweep_sort_config_static_selectorELNS0_4arch9wavefront6targetE1EEEvSG_,"axG",@progbits,_ZN7rocprim17ROCPRIM_400000_NS6detail17trampoline_kernelINS0_14default_configENS1_35radix_sort_onesweep_config_selectorIalEEZZNS1_29radix_sort_onesweep_iterationIS3_Lb0EPaS7_N6thrust23THRUST_200600_302600_NS10device_ptrIlEESB_jNS0_19identity_decomposerENS1_16block_id_wrapperIjLb0EEEEE10hipError_tT1_PNSt15iterator_traitsISG_E10value_typeET2_T3_PNSH_ISM_E10value_typeET4_T5_PSR_SS_PNS1_23onesweep_lookback_stateEbbT6_jjT7_P12ihipStream_tbENKUlT_T0_SG_SL_E_clIS7_S7_PlSB_EEDaSZ_S10_SG_SL_EUlSZ_E_NS1_11comp_targetILNS1_3genE6ELNS1_11target_archE950ELNS1_3gpuE13ELNS1_3repE0EEENS1_47radix_sort_onesweep_sort_config_static_selectorELNS0_4arch9wavefront6targetE1EEEvSG_,comdat
	.protected	_ZN7rocprim17ROCPRIM_400000_NS6detail17trampoline_kernelINS0_14default_configENS1_35radix_sort_onesweep_config_selectorIalEEZZNS1_29radix_sort_onesweep_iterationIS3_Lb0EPaS7_N6thrust23THRUST_200600_302600_NS10device_ptrIlEESB_jNS0_19identity_decomposerENS1_16block_id_wrapperIjLb0EEEEE10hipError_tT1_PNSt15iterator_traitsISG_E10value_typeET2_T3_PNSH_ISM_E10value_typeET4_T5_PSR_SS_PNS1_23onesweep_lookback_stateEbbT6_jjT7_P12ihipStream_tbENKUlT_T0_SG_SL_E_clIS7_S7_PlSB_EEDaSZ_S10_SG_SL_EUlSZ_E_NS1_11comp_targetILNS1_3genE6ELNS1_11target_archE950ELNS1_3gpuE13ELNS1_3repE0EEENS1_47radix_sort_onesweep_sort_config_static_selectorELNS0_4arch9wavefront6targetE1EEEvSG_ ; -- Begin function _ZN7rocprim17ROCPRIM_400000_NS6detail17trampoline_kernelINS0_14default_configENS1_35radix_sort_onesweep_config_selectorIalEEZZNS1_29radix_sort_onesweep_iterationIS3_Lb0EPaS7_N6thrust23THRUST_200600_302600_NS10device_ptrIlEESB_jNS0_19identity_decomposerENS1_16block_id_wrapperIjLb0EEEEE10hipError_tT1_PNSt15iterator_traitsISG_E10value_typeET2_T3_PNSH_ISM_E10value_typeET4_T5_PSR_SS_PNS1_23onesweep_lookback_stateEbbT6_jjT7_P12ihipStream_tbENKUlT_T0_SG_SL_E_clIS7_S7_PlSB_EEDaSZ_S10_SG_SL_EUlSZ_E_NS1_11comp_targetILNS1_3genE6ELNS1_11target_archE950ELNS1_3gpuE13ELNS1_3repE0EEENS1_47radix_sort_onesweep_sort_config_static_selectorELNS0_4arch9wavefront6targetE1EEEvSG_
	.globl	_ZN7rocprim17ROCPRIM_400000_NS6detail17trampoline_kernelINS0_14default_configENS1_35radix_sort_onesweep_config_selectorIalEEZZNS1_29radix_sort_onesweep_iterationIS3_Lb0EPaS7_N6thrust23THRUST_200600_302600_NS10device_ptrIlEESB_jNS0_19identity_decomposerENS1_16block_id_wrapperIjLb0EEEEE10hipError_tT1_PNSt15iterator_traitsISG_E10value_typeET2_T3_PNSH_ISM_E10value_typeET4_T5_PSR_SS_PNS1_23onesweep_lookback_stateEbbT6_jjT7_P12ihipStream_tbENKUlT_T0_SG_SL_E_clIS7_S7_PlSB_EEDaSZ_S10_SG_SL_EUlSZ_E_NS1_11comp_targetILNS1_3genE6ELNS1_11target_archE950ELNS1_3gpuE13ELNS1_3repE0EEENS1_47radix_sort_onesweep_sort_config_static_selectorELNS0_4arch9wavefront6targetE1EEEvSG_
	.p2align	8
	.type	_ZN7rocprim17ROCPRIM_400000_NS6detail17trampoline_kernelINS0_14default_configENS1_35radix_sort_onesweep_config_selectorIalEEZZNS1_29radix_sort_onesweep_iterationIS3_Lb0EPaS7_N6thrust23THRUST_200600_302600_NS10device_ptrIlEESB_jNS0_19identity_decomposerENS1_16block_id_wrapperIjLb0EEEEE10hipError_tT1_PNSt15iterator_traitsISG_E10value_typeET2_T3_PNSH_ISM_E10value_typeET4_T5_PSR_SS_PNS1_23onesweep_lookback_stateEbbT6_jjT7_P12ihipStream_tbENKUlT_T0_SG_SL_E_clIS7_S7_PlSB_EEDaSZ_S10_SG_SL_EUlSZ_E_NS1_11comp_targetILNS1_3genE6ELNS1_11target_archE950ELNS1_3gpuE13ELNS1_3repE0EEENS1_47radix_sort_onesweep_sort_config_static_selectorELNS0_4arch9wavefront6targetE1EEEvSG_,@function
_ZN7rocprim17ROCPRIM_400000_NS6detail17trampoline_kernelINS0_14default_configENS1_35radix_sort_onesweep_config_selectorIalEEZZNS1_29radix_sort_onesweep_iterationIS3_Lb0EPaS7_N6thrust23THRUST_200600_302600_NS10device_ptrIlEESB_jNS0_19identity_decomposerENS1_16block_id_wrapperIjLb0EEEEE10hipError_tT1_PNSt15iterator_traitsISG_E10value_typeET2_T3_PNSH_ISM_E10value_typeET4_T5_PSR_SS_PNS1_23onesweep_lookback_stateEbbT6_jjT7_P12ihipStream_tbENKUlT_T0_SG_SL_E_clIS7_S7_PlSB_EEDaSZ_S10_SG_SL_EUlSZ_E_NS1_11comp_targetILNS1_3genE6ELNS1_11target_archE950ELNS1_3gpuE13ELNS1_3repE0EEENS1_47radix_sort_onesweep_sort_config_static_selectorELNS0_4arch9wavefront6targetE1EEEvSG_: ; @_ZN7rocprim17ROCPRIM_400000_NS6detail17trampoline_kernelINS0_14default_configENS1_35radix_sort_onesweep_config_selectorIalEEZZNS1_29radix_sort_onesweep_iterationIS3_Lb0EPaS7_N6thrust23THRUST_200600_302600_NS10device_ptrIlEESB_jNS0_19identity_decomposerENS1_16block_id_wrapperIjLb0EEEEE10hipError_tT1_PNSt15iterator_traitsISG_E10value_typeET2_T3_PNSH_ISM_E10value_typeET4_T5_PSR_SS_PNS1_23onesweep_lookback_stateEbbT6_jjT7_P12ihipStream_tbENKUlT_T0_SG_SL_E_clIS7_S7_PlSB_EEDaSZ_S10_SG_SL_EUlSZ_E_NS1_11comp_targetILNS1_3genE6ELNS1_11target_archE950ELNS1_3gpuE13ELNS1_3repE0EEENS1_47radix_sort_onesweep_sort_config_static_selectorELNS0_4arch9wavefront6targetE1EEEvSG_
; %bb.0:
	.section	.rodata,"a",@progbits
	.p2align	6, 0x0
	.amdhsa_kernel _ZN7rocprim17ROCPRIM_400000_NS6detail17trampoline_kernelINS0_14default_configENS1_35radix_sort_onesweep_config_selectorIalEEZZNS1_29radix_sort_onesweep_iterationIS3_Lb0EPaS7_N6thrust23THRUST_200600_302600_NS10device_ptrIlEESB_jNS0_19identity_decomposerENS1_16block_id_wrapperIjLb0EEEEE10hipError_tT1_PNSt15iterator_traitsISG_E10value_typeET2_T3_PNSH_ISM_E10value_typeET4_T5_PSR_SS_PNS1_23onesweep_lookback_stateEbbT6_jjT7_P12ihipStream_tbENKUlT_T0_SG_SL_E_clIS7_S7_PlSB_EEDaSZ_S10_SG_SL_EUlSZ_E_NS1_11comp_targetILNS1_3genE6ELNS1_11target_archE950ELNS1_3gpuE13ELNS1_3repE0EEENS1_47radix_sort_onesweep_sort_config_static_selectorELNS0_4arch9wavefront6targetE1EEEvSG_
		.amdhsa_group_segment_fixed_size 0
		.amdhsa_private_segment_fixed_size 0
		.amdhsa_kernarg_size 88
		.amdhsa_user_sgpr_count 6
		.amdhsa_user_sgpr_private_segment_buffer 1
		.amdhsa_user_sgpr_dispatch_ptr 0
		.amdhsa_user_sgpr_queue_ptr 0
		.amdhsa_user_sgpr_kernarg_segment_ptr 1
		.amdhsa_user_sgpr_dispatch_id 0
		.amdhsa_user_sgpr_flat_scratch_init 0
		.amdhsa_user_sgpr_kernarg_preload_length 0
		.amdhsa_user_sgpr_kernarg_preload_offset 0
		.amdhsa_user_sgpr_private_segment_size 0
		.amdhsa_uses_dynamic_stack 0
		.amdhsa_system_sgpr_private_segment_wavefront_offset 0
		.amdhsa_system_sgpr_workgroup_id_x 1
		.amdhsa_system_sgpr_workgroup_id_y 0
		.amdhsa_system_sgpr_workgroup_id_z 0
		.amdhsa_system_sgpr_workgroup_info 0
		.amdhsa_system_vgpr_workitem_id 0
		.amdhsa_next_free_vgpr 1
		.amdhsa_next_free_sgpr 0
		.amdhsa_accum_offset 4
		.amdhsa_reserve_vcc 0
		.amdhsa_reserve_flat_scratch 0
		.amdhsa_float_round_mode_32 0
		.amdhsa_float_round_mode_16_64 0
		.amdhsa_float_denorm_mode_32 3
		.amdhsa_float_denorm_mode_16_64 3
		.amdhsa_dx10_clamp 1
		.amdhsa_ieee_mode 1
		.amdhsa_fp16_overflow 0
		.amdhsa_tg_split 0
		.amdhsa_exception_fp_ieee_invalid_op 0
		.amdhsa_exception_fp_denorm_src 0
		.amdhsa_exception_fp_ieee_div_zero 0
		.amdhsa_exception_fp_ieee_overflow 0
		.amdhsa_exception_fp_ieee_underflow 0
		.amdhsa_exception_fp_ieee_inexact 0
		.amdhsa_exception_int_div_zero 0
	.end_amdhsa_kernel
	.section	.text._ZN7rocprim17ROCPRIM_400000_NS6detail17trampoline_kernelINS0_14default_configENS1_35radix_sort_onesweep_config_selectorIalEEZZNS1_29radix_sort_onesweep_iterationIS3_Lb0EPaS7_N6thrust23THRUST_200600_302600_NS10device_ptrIlEESB_jNS0_19identity_decomposerENS1_16block_id_wrapperIjLb0EEEEE10hipError_tT1_PNSt15iterator_traitsISG_E10value_typeET2_T3_PNSH_ISM_E10value_typeET4_T5_PSR_SS_PNS1_23onesweep_lookback_stateEbbT6_jjT7_P12ihipStream_tbENKUlT_T0_SG_SL_E_clIS7_S7_PlSB_EEDaSZ_S10_SG_SL_EUlSZ_E_NS1_11comp_targetILNS1_3genE6ELNS1_11target_archE950ELNS1_3gpuE13ELNS1_3repE0EEENS1_47radix_sort_onesweep_sort_config_static_selectorELNS0_4arch9wavefront6targetE1EEEvSG_,"axG",@progbits,_ZN7rocprim17ROCPRIM_400000_NS6detail17trampoline_kernelINS0_14default_configENS1_35radix_sort_onesweep_config_selectorIalEEZZNS1_29radix_sort_onesweep_iterationIS3_Lb0EPaS7_N6thrust23THRUST_200600_302600_NS10device_ptrIlEESB_jNS0_19identity_decomposerENS1_16block_id_wrapperIjLb0EEEEE10hipError_tT1_PNSt15iterator_traitsISG_E10value_typeET2_T3_PNSH_ISM_E10value_typeET4_T5_PSR_SS_PNS1_23onesweep_lookback_stateEbbT6_jjT7_P12ihipStream_tbENKUlT_T0_SG_SL_E_clIS7_S7_PlSB_EEDaSZ_S10_SG_SL_EUlSZ_E_NS1_11comp_targetILNS1_3genE6ELNS1_11target_archE950ELNS1_3gpuE13ELNS1_3repE0EEENS1_47radix_sort_onesweep_sort_config_static_selectorELNS0_4arch9wavefront6targetE1EEEvSG_,comdat
.Lfunc_end646:
	.size	_ZN7rocprim17ROCPRIM_400000_NS6detail17trampoline_kernelINS0_14default_configENS1_35radix_sort_onesweep_config_selectorIalEEZZNS1_29radix_sort_onesweep_iterationIS3_Lb0EPaS7_N6thrust23THRUST_200600_302600_NS10device_ptrIlEESB_jNS0_19identity_decomposerENS1_16block_id_wrapperIjLb0EEEEE10hipError_tT1_PNSt15iterator_traitsISG_E10value_typeET2_T3_PNSH_ISM_E10value_typeET4_T5_PSR_SS_PNS1_23onesweep_lookback_stateEbbT6_jjT7_P12ihipStream_tbENKUlT_T0_SG_SL_E_clIS7_S7_PlSB_EEDaSZ_S10_SG_SL_EUlSZ_E_NS1_11comp_targetILNS1_3genE6ELNS1_11target_archE950ELNS1_3gpuE13ELNS1_3repE0EEENS1_47radix_sort_onesweep_sort_config_static_selectorELNS0_4arch9wavefront6targetE1EEEvSG_, .Lfunc_end646-_ZN7rocprim17ROCPRIM_400000_NS6detail17trampoline_kernelINS0_14default_configENS1_35radix_sort_onesweep_config_selectorIalEEZZNS1_29radix_sort_onesweep_iterationIS3_Lb0EPaS7_N6thrust23THRUST_200600_302600_NS10device_ptrIlEESB_jNS0_19identity_decomposerENS1_16block_id_wrapperIjLb0EEEEE10hipError_tT1_PNSt15iterator_traitsISG_E10value_typeET2_T3_PNSH_ISM_E10value_typeET4_T5_PSR_SS_PNS1_23onesweep_lookback_stateEbbT6_jjT7_P12ihipStream_tbENKUlT_T0_SG_SL_E_clIS7_S7_PlSB_EEDaSZ_S10_SG_SL_EUlSZ_E_NS1_11comp_targetILNS1_3genE6ELNS1_11target_archE950ELNS1_3gpuE13ELNS1_3repE0EEENS1_47radix_sort_onesweep_sort_config_static_selectorELNS0_4arch9wavefront6targetE1EEEvSG_
                                        ; -- End function
	.section	.AMDGPU.csdata,"",@progbits
; Kernel info:
; codeLenInByte = 0
; NumSgprs: 4
; NumVgprs: 0
; NumAgprs: 0
; TotalNumVgprs: 0
; ScratchSize: 0
; MemoryBound: 0
; FloatMode: 240
; IeeeMode: 1
; LDSByteSize: 0 bytes/workgroup (compile time only)
; SGPRBlocks: 0
; VGPRBlocks: 0
; NumSGPRsForWavesPerEU: 4
; NumVGPRsForWavesPerEU: 1
; AccumOffset: 4
; Occupancy: 8
; WaveLimiterHint : 0
; COMPUTE_PGM_RSRC2:SCRATCH_EN: 0
; COMPUTE_PGM_RSRC2:USER_SGPR: 6
; COMPUTE_PGM_RSRC2:TRAP_HANDLER: 0
; COMPUTE_PGM_RSRC2:TGID_X_EN: 1
; COMPUTE_PGM_RSRC2:TGID_Y_EN: 0
; COMPUTE_PGM_RSRC2:TGID_Z_EN: 0
; COMPUTE_PGM_RSRC2:TIDIG_COMP_CNT: 0
; COMPUTE_PGM_RSRC3_GFX90A:ACCUM_OFFSET: 0
; COMPUTE_PGM_RSRC3_GFX90A:TG_SPLIT: 0
	.section	.text._ZN7rocprim17ROCPRIM_400000_NS6detail17trampoline_kernelINS0_14default_configENS1_35radix_sort_onesweep_config_selectorIalEEZZNS1_29radix_sort_onesweep_iterationIS3_Lb0EPaS7_N6thrust23THRUST_200600_302600_NS10device_ptrIlEESB_jNS0_19identity_decomposerENS1_16block_id_wrapperIjLb0EEEEE10hipError_tT1_PNSt15iterator_traitsISG_E10value_typeET2_T3_PNSH_ISM_E10value_typeET4_T5_PSR_SS_PNS1_23onesweep_lookback_stateEbbT6_jjT7_P12ihipStream_tbENKUlT_T0_SG_SL_E_clIS7_S7_PlSB_EEDaSZ_S10_SG_SL_EUlSZ_E_NS1_11comp_targetILNS1_3genE5ELNS1_11target_archE942ELNS1_3gpuE9ELNS1_3repE0EEENS1_47radix_sort_onesweep_sort_config_static_selectorELNS0_4arch9wavefront6targetE1EEEvSG_,"axG",@progbits,_ZN7rocprim17ROCPRIM_400000_NS6detail17trampoline_kernelINS0_14default_configENS1_35radix_sort_onesweep_config_selectorIalEEZZNS1_29radix_sort_onesweep_iterationIS3_Lb0EPaS7_N6thrust23THRUST_200600_302600_NS10device_ptrIlEESB_jNS0_19identity_decomposerENS1_16block_id_wrapperIjLb0EEEEE10hipError_tT1_PNSt15iterator_traitsISG_E10value_typeET2_T3_PNSH_ISM_E10value_typeET4_T5_PSR_SS_PNS1_23onesweep_lookback_stateEbbT6_jjT7_P12ihipStream_tbENKUlT_T0_SG_SL_E_clIS7_S7_PlSB_EEDaSZ_S10_SG_SL_EUlSZ_E_NS1_11comp_targetILNS1_3genE5ELNS1_11target_archE942ELNS1_3gpuE9ELNS1_3repE0EEENS1_47radix_sort_onesweep_sort_config_static_selectorELNS0_4arch9wavefront6targetE1EEEvSG_,comdat
	.protected	_ZN7rocprim17ROCPRIM_400000_NS6detail17trampoline_kernelINS0_14default_configENS1_35radix_sort_onesweep_config_selectorIalEEZZNS1_29radix_sort_onesweep_iterationIS3_Lb0EPaS7_N6thrust23THRUST_200600_302600_NS10device_ptrIlEESB_jNS0_19identity_decomposerENS1_16block_id_wrapperIjLb0EEEEE10hipError_tT1_PNSt15iterator_traitsISG_E10value_typeET2_T3_PNSH_ISM_E10value_typeET4_T5_PSR_SS_PNS1_23onesweep_lookback_stateEbbT6_jjT7_P12ihipStream_tbENKUlT_T0_SG_SL_E_clIS7_S7_PlSB_EEDaSZ_S10_SG_SL_EUlSZ_E_NS1_11comp_targetILNS1_3genE5ELNS1_11target_archE942ELNS1_3gpuE9ELNS1_3repE0EEENS1_47radix_sort_onesweep_sort_config_static_selectorELNS0_4arch9wavefront6targetE1EEEvSG_ ; -- Begin function _ZN7rocprim17ROCPRIM_400000_NS6detail17trampoline_kernelINS0_14default_configENS1_35radix_sort_onesweep_config_selectorIalEEZZNS1_29radix_sort_onesweep_iterationIS3_Lb0EPaS7_N6thrust23THRUST_200600_302600_NS10device_ptrIlEESB_jNS0_19identity_decomposerENS1_16block_id_wrapperIjLb0EEEEE10hipError_tT1_PNSt15iterator_traitsISG_E10value_typeET2_T3_PNSH_ISM_E10value_typeET4_T5_PSR_SS_PNS1_23onesweep_lookback_stateEbbT6_jjT7_P12ihipStream_tbENKUlT_T0_SG_SL_E_clIS7_S7_PlSB_EEDaSZ_S10_SG_SL_EUlSZ_E_NS1_11comp_targetILNS1_3genE5ELNS1_11target_archE942ELNS1_3gpuE9ELNS1_3repE0EEENS1_47radix_sort_onesweep_sort_config_static_selectorELNS0_4arch9wavefront6targetE1EEEvSG_
	.globl	_ZN7rocprim17ROCPRIM_400000_NS6detail17trampoline_kernelINS0_14default_configENS1_35radix_sort_onesweep_config_selectorIalEEZZNS1_29radix_sort_onesweep_iterationIS3_Lb0EPaS7_N6thrust23THRUST_200600_302600_NS10device_ptrIlEESB_jNS0_19identity_decomposerENS1_16block_id_wrapperIjLb0EEEEE10hipError_tT1_PNSt15iterator_traitsISG_E10value_typeET2_T3_PNSH_ISM_E10value_typeET4_T5_PSR_SS_PNS1_23onesweep_lookback_stateEbbT6_jjT7_P12ihipStream_tbENKUlT_T0_SG_SL_E_clIS7_S7_PlSB_EEDaSZ_S10_SG_SL_EUlSZ_E_NS1_11comp_targetILNS1_3genE5ELNS1_11target_archE942ELNS1_3gpuE9ELNS1_3repE0EEENS1_47radix_sort_onesweep_sort_config_static_selectorELNS0_4arch9wavefront6targetE1EEEvSG_
	.p2align	8
	.type	_ZN7rocprim17ROCPRIM_400000_NS6detail17trampoline_kernelINS0_14default_configENS1_35radix_sort_onesweep_config_selectorIalEEZZNS1_29radix_sort_onesweep_iterationIS3_Lb0EPaS7_N6thrust23THRUST_200600_302600_NS10device_ptrIlEESB_jNS0_19identity_decomposerENS1_16block_id_wrapperIjLb0EEEEE10hipError_tT1_PNSt15iterator_traitsISG_E10value_typeET2_T3_PNSH_ISM_E10value_typeET4_T5_PSR_SS_PNS1_23onesweep_lookback_stateEbbT6_jjT7_P12ihipStream_tbENKUlT_T0_SG_SL_E_clIS7_S7_PlSB_EEDaSZ_S10_SG_SL_EUlSZ_E_NS1_11comp_targetILNS1_3genE5ELNS1_11target_archE942ELNS1_3gpuE9ELNS1_3repE0EEENS1_47radix_sort_onesweep_sort_config_static_selectorELNS0_4arch9wavefront6targetE1EEEvSG_,@function
_ZN7rocprim17ROCPRIM_400000_NS6detail17trampoline_kernelINS0_14default_configENS1_35radix_sort_onesweep_config_selectorIalEEZZNS1_29radix_sort_onesweep_iterationIS3_Lb0EPaS7_N6thrust23THRUST_200600_302600_NS10device_ptrIlEESB_jNS0_19identity_decomposerENS1_16block_id_wrapperIjLb0EEEEE10hipError_tT1_PNSt15iterator_traitsISG_E10value_typeET2_T3_PNSH_ISM_E10value_typeET4_T5_PSR_SS_PNS1_23onesweep_lookback_stateEbbT6_jjT7_P12ihipStream_tbENKUlT_T0_SG_SL_E_clIS7_S7_PlSB_EEDaSZ_S10_SG_SL_EUlSZ_E_NS1_11comp_targetILNS1_3genE5ELNS1_11target_archE942ELNS1_3gpuE9ELNS1_3repE0EEENS1_47radix_sort_onesweep_sort_config_static_selectorELNS0_4arch9wavefront6targetE1EEEvSG_: ; @_ZN7rocprim17ROCPRIM_400000_NS6detail17trampoline_kernelINS0_14default_configENS1_35radix_sort_onesweep_config_selectorIalEEZZNS1_29radix_sort_onesweep_iterationIS3_Lb0EPaS7_N6thrust23THRUST_200600_302600_NS10device_ptrIlEESB_jNS0_19identity_decomposerENS1_16block_id_wrapperIjLb0EEEEE10hipError_tT1_PNSt15iterator_traitsISG_E10value_typeET2_T3_PNSH_ISM_E10value_typeET4_T5_PSR_SS_PNS1_23onesweep_lookback_stateEbbT6_jjT7_P12ihipStream_tbENKUlT_T0_SG_SL_E_clIS7_S7_PlSB_EEDaSZ_S10_SG_SL_EUlSZ_E_NS1_11comp_targetILNS1_3genE5ELNS1_11target_archE942ELNS1_3gpuE9ELNS1_3repE0EEENS1_47radix_sort_onesweep_sort_config_static_selectorELNS0_4arch9wavefront6targetE1EEEvSG_
; %bb.0:
	.section	.rodata,"a",@progbits
	.p2align	6, 0x0
	.amdhsa_kernel _ZN7rocprim17ROCPRIM_400000_NS6detail17trampoline_kernelINS0_14default_configENS1_35radix_sort_onesweep_config_selectorIalEEZZNS1_29radix_sort_onesweep_iterationIS3_Lb0EPaS7_N6thrust23THRUST_200600_302600_NS10device_ptrIlEESB_jNS0_19identity_decomposerENS1_16block_id_wrapperIjLb0EEEEE10hipError_tT1_PNSt15iterator_traitsISG_E10value_typeET2_T3_PNSH_ISM_E10value_typeET4_T5_PSR_SS_PNS1_23onesweep_lookback_stateEbbT6_jjT7_P12ihipStream_tbENKUlT_T0_SG_SL_E_clIS7_S7_PlSB_EEDaSZ_S10_SG_SL_EUlSZ_E_NS1_11comp_targetILNS1_3genE5ELNS1_11target_archE942ELNS1_3gpuE9ELNS1_3repE0EEENS1_47radix_sort_onesweep_sort_config_static_selectorELNS0_4arch9wavefront6targetE1EEEvSG_
		.amdhsa_group_segment_fixed_size 0
		.amdhsa_private_segment_fixed_size 0
		.amdhsa_kernarg_size 88
		.amdhsa_user_sgpr_count 6
		.amdhsa_user_sgpr_private_segment_buffer 1
		.amdhsa_user_sgpr_dispatch_ptr 0
		.amdhsa_user_sgpr_queue_ptr 0
		.amdhsa_user_sgpr_kernarg_segment_ptr 1
		.amdhsa_user_sgpr_dispatch_id 0
		.amdhsa_user_sgpr_flat_scratch_init 0
		.amdhsa_user_sgpr_kernarg_preload_length 0
		.amdhsa_user_sgpr_kernarg_preload_offset 0
		.amdhsa_user_sgpr_private_segment_size 0
		.amdhsa_uses_dynamic_stack 0
		.amdhsa_system_sgpr_private_segment_wavefront_offset 0
		.amdhsa_system_sgpr_workgroup_id_x 1
		.amdhsa_system_sgpr_workgroup_id_y 0
		.amdhsa_system_sgpr_workgroup_id_z 0
		.amdhsa_system_sgpr_workgroup_info 0
		.amdhsa_system_vgpr_workitem_id 0
		.amdhsa_next_free_vgpr 1
		.amdhsa_next_free_sgpr 0
		.amdhsa_accum_offset 4
		.amdhsa_reserve_vcc 0
		.amdhsa_reserve_flat_scratch 0
		.amdhsa_float_round_mode_32 0
		.amdhsa_float_round_mode_16_64 0
		.amdhsa_float_denorm_mode_32 3
		.amdhsa_float_denorm_mode_16_64 3
		.amdhsa_dx10_clamp 1
		.amdhsa_ieee_mode 1
		.amdhsa_fp16_overflow 0
		.amdhsa_tg_split 0
		.amdhsa_exception_fp_ieee_invalid_op 0
		.amdhsa_exception_fp_denorm_src 0
		.amdhsa_exception_fp_ieee_div_zero 0
		.amdhsa_exception_fp_ieee_overflow 0
		.amdhsa_exception_fp_ieee_underflow 0
		.amdhsa_exception_fp_ieee_inexact 0
		.amdhsa_exception_int_div_zero 0
	.end_amdhsa_kernel
	.section	.text._ZN7rocprim17ROCPRIM_400000_NS6detail17trampoline_kernelINS0_14default_configENS1_35radix_sort_onesweep_config_selectorIalEEZZNS1_29radix_sort_onesweep_iterationIS3_Lb0EPaS7_N6thrust23THRUST_200600_302600_NS10device_ptrIlEESB_jNS0_19identity_decomposerENS1_16block_id_wrapperIjLb0EEEEE10hipError_tT1_PNSt15iterator_traitsISG_E10value_typeET2_T3_PNSH_ISM_E10value_typeET4_T5_PSR_SS_PNS1_23onesweep_lookback_stateEbbT6_jjT7_P12ihipStream_tbENKUlT_T0_SG_SL_E_clIS7_S7_PlSB_EEDaSZ_S10_SG_SL_EUlSZ_E_NS1_11comp_targetILNS1_3genE5ELNS1_11target_archE942ELNS1_3gpuE9ELNS1_3repE0EEENS1_47radix_sort_onesweep_sort_config_static_selectorELNS0_4arch9wavefront6targetE1EEEvSG_,"axG",@progbits,_ZN7rocprim17ROCPRIM_400000_NS6detail17trampoline_kernelINS0_14default_configENS1_35radix_sort_onesweep_config_selectorIalEEZZNS1_29radix_sort_onesweep_iterationIS3_Lb0EPaS7_N6thrust23THRUST_200600_302600_NS10device_ptrIlEESB_jNS0_19identity_decomposerENS1_16block_id_wrapperIjLb0EEEEE10hipError_tT1_PNSt15iterator_traitsISG_E10value_typeET2_T3_PNSH_ISM_E10value_typeET4_T5_PSR_SS_PNS1_23onesweep_lookback_stateEbbT6_jjT7_P12ihipStream_tbENKUlT_T0_SG_SL_E_clIS7_S7_PlSB_EEDaSZ_S10_SG_SL_EUlSZ_E_NS1_11comp_targetILNS1_3genE5ELNS1_11target_archE942ELNS1_3gpuE9ELNS1_3repE0EEENS1_47radix_sort_onesweep_sort_config_static_selectorELNS0_4arch9wavefront6targetE1EEEvSG_,comdat
.Lfunc_end647:
	.size	_ZN7rocprim17ROCPRIM_400000_NS6detail17trampoline_kernelINS0_14default_configENS1_35radix_sort_onesweep_config_selectorIalEEZZNS1_29radix_sort_onesweep_iterationIS3_Lb0EPaS7_N6thrust23THRUST_200600_302600_NS10device_ptrIlEESB_jNS0_19identity_decomposerENS1_16block_id_wrapperIjLb0EEEEE10hipError_tT1_PNSt15iterator_traitsISG_E10value_typeET2_T3_PNSH_ISM_E10value_typeET4_T5_PSR_SS_PNS1_23onesweep_lookback_stateEbbT6_jjT7_P12ihipStream_tbENKUlT_T0_SG_SL_E_clIS7_S7_PlSB_EEDaSZ_S10_SG_SL_EUlSZ_E_NS1_11comp_targetILNS1_3genE5ELNS1_11target_archE942ELNS1_3gpuE9ELNS1_3repE0EEENS1_47radix_sort_onesweep_sort_config_static_selectorELNS0_4arch9wavefront6targetE1EEEvSG_, .Lfunc_end647-_ZN7rocprim17ROCPRIM_400000_NS6detail17trampoline_kernelINS0_14default_configENS1_35radix_sort_onesweep_config_selectorIalEEZZNS1_29radix_sort_onesweep_iterationIS3_Lb0EPaS7_N6thrust23THRUST_200600_302600_NS10device_ptrIlEESB_jNS0_19identity_decomposerENS1_16block_id_wrapperIjLb0EEEEE10hipError_tT1_PNSt15iterator_traitsISG_E10value_typeET2_T3_PNSH_ISM_E10value_typeET4_T5_PSR_SS_PNS1_23onesweep_lookback_stateEbbT6_jjT7_P12ihipStream_tbENKUlT_T0_SG_SL_E_clIS7_S7_PlSB_EEDaSZ_S10_SG_SL_EUlSZ_E_NS1_11comp_targetILNS1_3genE5ELNS1_11target_archE942ELNS1_3gpuE9ELNS1_3repE0EEENS1_47radix_sort_onesweep_sort_config_static_selectorELNS0_4arch9wavefront6targetE1EEEvSG_
                                        ; -- End function
	.section	.AMDGPU.csdata,"",@progbits
; Kernel info:
; codeLenInByte = 0
; NumSgprs: 4
; NumVgprs: 0
; NumAgprs: 0
; TotalNumVgprs: 0
; ScratchSize: 0
; MemoryBound: 0
; FloatMode: 240
; IeeeMode: 1
; LDSByteSize: 0 bytes/workgroup (compile time only)
; SGPRBlocks: 0
; VGPRBlocks: 0
; NumSGPRsForWavesPerEU: 4
; NumVGPRsForWavesPerEU: 1
; AccumOffset: 4
; Occupancy: 8
; WaveLimiterHint : 0
; COMPUTE_PGM_RSRC2:SCRATCH_EN: 0
; COMPUTE_PGM_RSRC2:USER_SGPR: 6
; COMPUTE_PGM_RSRC2:TRAP_HANDLER: 0
; COMPUTE_PGM_RSRC2:TGID_X_EN: 1
; COMPUTE_PGM_RSRC2:TGID_Y_EN: 0
; COMPUTE_PGM_RSRC2:TGID_Z_EN: 0
; COMPUTE_PGM_RSRC2:TIDIG_COMP_CNT: 0
; COMPUTE_PGM_RSRC3_GFX90A:ACCUM_OFFSET: 0
; COMPUTE_PGM_RSRC3_GFX90A:TG_SPLIT: 0
	.section	.text._ZN7rocprim17ROCPRIM_400000_NS6detail17trampoline_kernelINS0_14default_configENS1_35radix_sort_onesweep_config_selectorIalEEZZNS1_29radix_sort_onesweep_iterationIS3_Lb0EPaS7_N6thrust23THRUST_200600_302600_NS10device_ptrIlEESB_jNS0_19identity_decomposerENS1_16block_id_wrapperIjLb0EEEEE10hipError_tT1_PNSt15iterator_traitsISG_E10value_typeET2_T3_PNSH_ISM_E10value_typeET4_T5_PSR_SS_PNS1_23onesweep_lookback_stateEbbT6_jjT7_P12ihipStream_tbENKUlT_T0_SG_SL_E_clIS7_S7_PlSB_EEDaSZ_S10_SG_SL_EUlSZ_E_NS1_11comp_targetILNS1_3genE2ELNS1_11target_archE906ELNS1_3gpuE6ELNS1_3repE0EEENS1_47radix_sort_onesweep_sort_config_static_selectorELNS0_4arch9wavefront6targetE1EEEvSG_,"axG",@progbits,_ZN7rocprim17ROCPRIM_400000_NS6detail17trampoline_kernelINS0_14default_configENS1_35radix_sort_onesweep_config_selectorIalEEZZNS1_29radix_sort_onesweep_iterationIS3_Lb0EPaS7_N6thrust23THRUST_200600_302600_NS10device_ptrIlEESB_jNS0_19identity_decomposerENS1_16block_id_wrapperIjLb0EEEEE10hipError_tT1_PNSt15iterator_traitsISG_E10value_typeET2_T3_PNSH_ISM_E10value_typeET4_T5_PSR_SS_PNS1_23onesweep_lookback_stateEbbT6_jjT7_P12ihipStream_tbENKUlT_T0_SG_SL_E_clIS7_S7_PlSB_EEDaSZ_S10_SG_SL_EUlSZ_E_NS1_11comp_targetILNS1_3genE2ELNS1_11target_archE906ELNS1_3gpuE6ELNS1_3repE0EEENS1_47radix_sort_onesweep_sort_config_static_selectorELNS0_4arch9wavefront6targetE1EEEvSG_,comdat
	.protected	_ZN7rocprim17ROCPRIM_400000_NS6detail17trampoline_kernelINS0_14default_configENS1_35radix_sort_onesweep_config_selectorIalEEZZNS1_29radix_sort_onesweep_iterationIS3_Lb0EPaS7_N6thrust23THRUST_200600_302600_NS10device_ptrIlEESB_jNS0_19identity_decomposerENS1_16block_id_wrapperIjLb0EEEEE10hipError_tT1_PNSt15iterator_traitsISG_E10value_typeET2_T3_PNSH_ISM_E10value_typeET4_T5_PSR_SS_PNS1_23onesweep_lookback_stateEbbT6_jjT7_P12ihipStream_tbENKUlT_T0_SG_SL_E_clIS7_S7_PlSB_EEDaSZ_S10_SG_SL_EUlSZ_E_NS1_11comp_targetILNS1_3genE2ELNS1_11target_archE906ELNS1_3gpuE6ELNS1_3repE0EEENS1_47radix_sort_onesweep_sort_config_static_selectorELNS0_4arch9wavefront6targetE1EEEvSG_ ; -- Begin function _ZN7rocprim17ROCPRIM_400000_NS6detail17trampoline_kernelINS0_14default_configENS1_35radix_sort_onesweep_config_selectorIalEEZZNS1_29radix_sort_onesweep_iterationIS3_Lb0EPaS7_N6thrust23THRUST_200600_302600_NS10device_ptrIlEESB_jNS0_19identity_decomposerENS1_16block_id_wrapperIjLb0EEEEE10hipError_tT1_PNSt15iterator_traitsISG_E10value_typeET2_T3_PNSH_ISM_E10value_typeET4_T5_PSR_SS_PNS1_23onesweep_lookback_stateEbbT6_jjT7_P12ihipStream_tbENKUlT_T0_SG_SL_E_clIS7_S7_PlSB_EEDaSZ_S10_SG_SL_EUlSZ_E_NS1_11comp_targetILNS1_3genE2ELNS1_11target_archE906ELNS1_3gpuE6ELNS1_3repE0EEENS1_47radix_sort_onesweep_sort_config_static_selectorELNS0_4arch9wavefront6targetE1EEEvSG_
	.globl	_ZN7rocprim17ROCPRIM_400000_NS6detail17trampoline_kernelINS0_14default_configENS1_35radix_sort_onesweep_config_selectorIalEEZZNS1_29radix_sort_onesweep_iterationIS3_Lb0EPaS7_N6thrust23THRUST_200600_302600_NS10device_ptrIlEESB_jNS0_19identity_decomposerENS1_16block_id_wrapperIjLb0EEEEE10hipError_tT1_PNSt15iterator_traitsISG_E10value_typeET2_T3_PNSH_ISM_E10value_typeET4_T5_PSR_SS_PNS1_23onesweep_lookback_stateEbbT6_jjT7_P12ihipStream_tbENKUlT_T0_SG_SL_E_clIS7_S7_PlSB_EEDaSZ_S10_SG_SL_EUlSZ_E_NS1_11comp_targetILNS1_3genE2ELNS1_11target_archE906ELNS1_3gpuE6ELNS1_3repE0EEENS1_47radix_sort_onesweep_sort_config_static_selectorELNS0_4arch9wavefront6targetE1EEEvSG_
	.p2align	8
	.type	_ZN7rocprim17ROCPRIM_400000_NS6detail17trampoline_kernelINS0_14default_configENS1_35radix_sort_onesweep_config_selectorIalEEZZNS1_29radix_sort_onesweep_iterationIS3_Lb0EPaS7_N6thrust23THRUST_200600_302600_NS10device_ptrIlEESB_jNS0_19identity_decomposerENS1_16block_id_wrapperIjLb0EEEEE10hipError_tT1_PNSt15iterator_traitsISG_E10value_typeET2_T3_PNSH_ISM_E10value_typeET4_T5_PSR_SS_PNS1_23onesweep_lookback_stateEbbT6_jjT7_P12ihipStream_tbENKUlT_T0_SG_SL_E_clIS7_S7_PlSB_EEDaSZ_S10_SG_SL_EUlSZ_E_NS1_11comp_targetILNS1_3genE2ELNS1_11target_archE906ELNS1_3gpuE6ELNS1_3repE0EEENS1_47radix_sort_onesweep_sort_config_static_selectorELNS0_4arch9wavefront6targetE1EEEvSG_,@function
_ZN7rocprim17ROCPRIM_400000_NS6detail17trampoline_kernelINS0_14default_configENS1_35radix_sort_onesweep_config_selectorIalEEZZNS1_29radix_sort_onesweep_iterationIS3_Lb0EPaS7_N6thrust23THRUST_200600_302600_NS10device_ptrIlEESB_jNS0_19identity_decomposerENS1_16block_id_wrapperIjLb0EEEEE10hipError_tT1_PNSt15iterator_traitsISG_E10value_typeET2_T3_PNSH_ISM_E10value_typeET4_T5_PSR_SS_PNS1_23onesweep_lookback_stateEbbT6_jjT7_P12ihipStream_tbENKUlT_T0_SG_SL_E_clIS7_S7_PlSB_EEDaSZ_S10_SG_SL_EUlSZ_E_NS1_11comp_targetILNS1_3genE2ELNS1_11target_archE906ELNS1_3gpuE6ELNS1_3repE0EEENS1_47radix_sort_onesweep_sort_config_static_selectorELNS0_4arch9wavefront6targetE1EEEvSG_: ; @_ZN7rocprim17ROCPRIM_400000_NS6detail17trampoline_kernelINS0_14default_configENS1_35radix_sort_onesweep_config_selectorIalEEZZNS1_29radix_sort_onesweep_iterationIS3_Lb0EPaS7_N6thrust23THRUST_200600_302600_NS10device_ptrIlEESB_jNS0_19identity_decomposerENS1_16block_id_wrapperIjLb0EEEEE10hipError_tT1_PNSt15iterator_traitsISG_E10value_typeET2_T3_PNSH_ISM_E10value_typeET4_T5_PSR_SS_PNS1_23onesweep_lookback_stateEbbT6_jjT7_P12ihipStream_tbENKUlT_T0_SG_SL_E_clIS7_S7_PlSB_EEDaSZ_S10_SG_SL_EUlSZ_E_NS1_11comp_targetILNS1_3genE2ELNS1_11target_archE906ELNS1_3gpuE6ELNS1_3repE0EEENS1_47radix_sort_onesweep_sort_config_static_selectorELNS0_4arch9wavefront6targetE1EEEvSG_
; %bb.0:
	.section	.rodata,"a",@progbits
	.p2align	6, 0x0
	.amdhsa_kernel _ZN7rocprim17ROCPRIM_400000_NS6detail17trampoline_kernelINS0_14default_configENS1_35radix_sort_onesweep_config_selectorIalEEZZNS1_29radix_sort_onesweep_iterationIS3_Lb0EPaS7_N6thrust23THRUST_200600_302600_NS10device_ptrIlEESB_jNS0_19identity_decomposerENS1_16block_id_wrapperIjLb0EEEEE10hipError_tT1_PNSt15iterator_traitsISG_E10value_typeET2_T3_PNSH_ISM_E10value_typeET4_T5_PSR_SS_PNS1_23onesweep_lookback_stateEbbT6_jjT7_P12ihipStream_tbENKUlT_T0_SG_SL_E_clIS7_S7_PlSB_EEDaSZ_S10_SG_SL_EUlSZ_E_NS1_11comp_targetILNS1_3genE2ELNS1_11target_archE906ELNS1_3gpuE6ELNS1_3repE0EEENS1_47radix_sort_onesweep_sort_config_static_selectorELNS0_4arch9wavefront6targetE1EEEvSG_
		.amdhsa_group_segment_fixed_size 0
		.amdhsa_private_segment_fixed_size 0
		.amdhsa_kernarg_size 88
		.amdhsa_user_sgpr_count 6
		.amdhsa_user_sgpr_private_segment_buffer 1
		.amdhsa_user_sgpr_dispatch_ptr 0
		.amdhsa_user_sgpr_queue_ptr 0
		.amdhsa_user_sgpr_kernarg_segment_ptr 1
		.amdhsa_user_sgpr_dispatch_id 0
		.amdhsa_user_sgpr_flat_scratch_init 0
		.amdhsa_user_sgpr_kernarg_preload_length 0
		.amdhsa_user_sgpr_kernarg_preload_offset 0
		.amdhsa_user_sgpr_private_segment_size 0
		.amdhsa_uses_dynamic_stack 0
		.amdhsa_system_sgpr_private_segment_wavefront_offset 0
		.amdhsa_system_sgpr_workgroup_id_x 1
		.amdhsa_system_sgpr_workgroup_id_y 0
		.amdhsa_system_sgpr_workgroup_id_z 0
		.amdhsa_system_sgpr_workgroup_info 0
		.amdhsa_system_vgpr_workitem_id 0
		.amdhsa_next_free_vgpr 1
		.amdhsa_next_free_sgpr 0
		.amdhsa_accum_offset 4
		.amdhsa_reserve_vcc 0
		.amdhsa_reserve_flat_scratch 0
		.amdhsa_float_round_mode_32 0
		.amdhsa_float_round_mode_16_64 0
		.amdhsa_float_denorm_mode_32 3
		.amdhsa_float_denorm_mode_16_64 3
		.amdhsa_dx10_clamp 1
		.amdhsa_ieee_mode 1
		.amdhsa_fp16_overflow 0
		.amdhsa_tg_split 0
		.amdhsa_exception_fp_ieee_invalid_op 0
		.amdhsa_exception_fp_denorm_src 0
		.amdhsa_exception_fp_ieee_div_zero 0
		.amdhsa_exception_fp_ieee_overflow 0
		.amdhsa_exception_fp_ieee_underflow 0
		.amdhsa_exception_fp_ieee_inexact 0
		.amdhsa_exception_int_div_zero 0
	.end_amdhsa_kernel
	.section	.text._ZN7rocprim17ROCPRIM_400000_NS6detail17trampoline_kernelINS0_14default_configENS1_35radix_sort_onesweep_config_selectorIalEEZZNS1_29radix_sort_onesweep_iterationIS3_Lb0EPaS7_N6thrust23THRUST_200600_302600_NS10device_ptrIlEESB_jNS0_19identity_decomposerENS1_16block_id_wrapperIjLb0EEEEE10hipError_tT1_PNSt15iterator_traitsISG_E10value_typeET2_T3_PNSH_ISM_E10value_typeET4_T5_PSR_SS_PNS1_23onesweep_lookback_stateEbbT6_jjT7_P12ihipStream_tbENKUlT_T0_SG_SL_E_clIS7_S7_PlSB_EEDaSZ_S10_SG_SL_EUlSZ_E_NS1_11comp_targetILNS1_3genE2ELNS1_11target_archE906ELNS1_3gpuE6ELNS1_3repE0EEENS1_47radix_sort_onesweep_sort_config_static_selectorELNS0_4arch9wavefront6targetE1EEEvSG_,"axG",@progbits,_ZN7rocprim17ROCPRIM_400000_NS6detail17trampoline_kernelINS0_14default_configENS1_35radix_sort_onesweep_config_selectorIalEEZZNS1_29radix_sort_onesweep_iterationIS3_Lb0EPaS7_N6thrust23THRUST_200600_302600_NS10device_ptrIlEESB_jNS0_19identity_decomposerENS1_16block_id_wrapperIjLb0EEEEE10hipError_tT1_PNSt15iterator_traitsISG_E10value_typeET2_T3_PNSH_ISM_E10value_typeET4_T5_PSR_SS_PNS1_23onesweep_lookback_stateEbbT6_jjT7_P12ihipStream_tbENKUlT_T0_SG_SL_E_clIS7_S7_PlSB_EEDaSZ_S10_SG_SL_EUlSZ_E_NS1_11comp_targetILNS1_3genE2ELNS1_11target_archE906ELNS1_3gpuE6ELNS1_3repE0EEENS1_47radix_sort_onesweep_sort_config_static_selectorELNS0_4arch9wavefront6targetE1EEEvSG_,comdat
.Lfunc_end648:
	.size	_ZN7rocprim17ROCPRIM_400000_NS6detail17trampoline_kernelINS0_14default_configENS1_35radix_sort_onesweep_config_selectorIalEEZZNS1_29radix_sort_onesweep_iterationIS3_Lb0EPaS7_N6thrust23THRUST_200600_302600_NS10device_ptrIlEESB_jNS0_19identity_decomposerENS1_16block_id_wrapperIjLb0EEEEE10hipError_tT1_PNSt15iterator_traitsISG_E10value_typeET2_T3_PNSH_ISM_E10value_typeET4_T5_PSR_SS_PNS1_23onesweep_lookback_stateEbbT6_jjT7_P12ihipStream_tbENKUlT_T0_SG_SL_E_clIS7_S7_PlSB_EEDaSZ_S10_SG_SL_EUlSZ_E_NS1_11comp_targetILNS1_3genE2ELNS1_11target_archE906ELNS1_3gpuE6ELNS1_3repE0EEENS1_47radix_sort_onesweep_sort_config_static_selectorELNS0_4arch9wavefront6targetE1EEEvSG_, .Lfunc_end648-_ZN7rocprim17ROCPRIM_400000_NS6detail17trampoline_kernelINS0_14default_configENS1_35radix_sort_onesweep_config_selectorIalEEZZNS1_29radix_sort_onesweep_iterationIS3_Lb0EPaS7_N6thrust23THRUST_200600_302600_NS10device_ptrIlEESB_jNS0_19identity_decomposerENS1_16block_id_wrapperIjLb0EEEEE10hipError_tT1_PNSt15iterator_traitsISG_E10value_typeET2_T3_PNSH_ISM_E10value_typeET4_T5_PSR_SS_PNS1_23onesweep_lookback_stateEbbT6_jjT7_P12ihipStream_tbENKUlT_T0_SG_SL_E_clIS7_S7_PlSB_EEDaSZ_S10_SG_SL_EUlSZ_E_NS1_11comp_targetILNS1_3genE2ELNS1_11target_archE906ELNS1_3gpuE6ELNS1_3repE0EEENS1_47radix_sort_onesweep_sort_config_static_selectorELNS0_4arch9wavefront6targetE1EEEvSG_
                                        ; -- End function
	.section	.AMDGPU.csdata,"",@progbits
; Kernel info:
; codeLenInByte = 0
; NumSgprs: 4
; NumVgprs: 0
; NumAgprs: 0
; TotalNumVgprs: 0
; ScratchSize: 0
; MemoryBound: 0
; FloatMode: 240
; IeeeMode: 1
; LDSByteSize: 0 bytes/workgroup (compile time only)
; SGPRBlocks: 0
; VGPRBlocks: 0
; NumSGPRsForWavesPerEU: 4
; NumVGPRsForWavesPerEU: 1
; AccumOffset: 4
; Occupancy: 8
; WaveLimiterHint : 0
; COMPUTE_PGM_RSRC2:SCRATCH_EN: 0
; COMPUTE_PGM_RSRC2:USER_SGPR: 6
; COMPUTE_PGM_RSRC2:TRAP_HANDLER: 0
; COMPUTE_PGM_RSRC2:TGID_X_EN: 1
; COMPUTE_PGM_RSRC2:TGID_Y_EN: 0
; COMPUTE_PGM_RSRC2:TGID_Z_EN: 0
; COMPUTE_PGM_RSRC2:TIDIG_COMP_CNT: 0
; COMPUTE_PGM_RSRC3_GFX90A:ACCUM_OFFSET: 0
; COMPUTE_PGM_RSRC3_GFX90A:TG_SPLIT: 0
	.section	.text._ZN7rocprim17ROCPRIM_400000_NS6detail17trampoline_kernelINS0_14default_configENS1_35radix_sort_onesweep_config_selectorIalEEZZNS1_29radix_sort_onesweep_iterationIS3_Lb0EPaS7_N6thrust23THRUST_200600_302600_NS10device_ptrIlEESB_jNS0_19identity_decomposerENS1_16block_id_wrapperIjLb0EEEEE10hipError_tT1_PNSt15iterator_traitsISG_E10value_typeET2_T3_PNSH_ISM_E10value_typeET4_T5_PSR_SS_PNS1_23onesweep_lookback_stateEbbT6_jjT7_P12ihipStream_tbENKUlT_T0_SG_SL_E_clIS7_S7_PlSB_EEDaSZ_S10_SG_SL_EUlSZ_E_NS1_11comp_targetILNS1_3genE4ELNS1_11target_archE910ELNS1_3gpuE8ELNS1_3repE0EEENS1_47radix_sort_onesweep_sort_config_static_selectorELNS0_4arch9wavefront6targetE1EEEvSG_,"axG",@progbits,_ZN7rocprim17ROCPRIM_400000_NS6detail17trampoline_kernelINS0_14default_configENS1_35radix_sort_onesweep_config_selectorIalEEZZNS1_29radix_sort_onesweep_iterationIS3_Lb0EPaS7_N6thrust23THRUST_200600_302600_NS10device_ptrIlEESB_jNS0_19identity_decomposerENS1_16block_id_wrapperIjLb0EEEEE10hipError_tT1_PNSt15iterator_traitsISG_E10value_typeET2_T3_PNSH_ISM_E10value_typeET4_T5_PSR_SS_PNS1_23onesweep_lookback_stateEbbT6_jjT7_P12ihipStream_tbENKUlT_T0_SG_SL_E_clIS7_S7_PlSB_EEDaSZ_S10_SG_SL_EUlSZ_E_NS1_11comp_targetILNS1_3genE4ELNS1_11target_archE910ELNS1_3gpuE8ELNS1_3repE0EEENS1_47radix_sort_onesweep_sort_config_static_selectorELNS0_4arch9wavefront6targetE1EEEvSG_,comdat
	.protected	_ZN7rocprim17ROCPRIM_400000_NS6detail17trampoline_kernelINS0_14default_configENS1_35radix_sort_onesweep_config_selectorIalEEZZNS1_29radix_sort_onesweep_iterationIS3_Lb0EPaS7_N6thrust23THRUST_200600_302600_NS10device_ptrIlEESB_jNS0_19identity_decomposerENS1_16block_id_wrapperIjLb0EEEEE10hipError_tT1_PNSt15iterator_traitsISG_E10value_typeET2_T3_PNSH_ISM_E10value_typeET4_T5_PSR_SS_PNS1_23onesweep_lookback_stateEbbT6_jjT7_P12ihipStream_tbENKUlT_T0_SG_SL_E_clIS7_S7_PlSB_EEDaSZ_S10_SG_SL_EUlSZ_E_NS1_11comp_targetILNS1_3genE4ELNS1_11target_archE910ELNS1_3gpuE8ELNS1_3repE0EEENS1_47radix_sort_onesweep_sort_config_static_selectorELNS0_4arch9wavefront6targetE1EEEvSG_ ; -- Begin function _ZN7rocprim17ROCPRIM_400000_NS6detail17trampoline_kernelINS0_14default_configENS1_35radix_sort_onesweep_config_selectorIalEEZZNS1_29radix_sort_onesweep_iterationIS3_Lb0EPaS7_N6thrust23THRUST_200600_302600_NS10device_ptrIlEESB_jNS0_19identity_decomposerENS1_16block_id_wrapperIjLb0EEEEE10hipError_tT1_PNSt15iterator_traitsISG_E10value_typeET2_T3_PNSH_ISM_E10value_typeET4_T5_PSR_SS_PNS1_23onesweep_lookback_stateEbbT6_jjT7_P12ihipStream_tbENKUlT_T0_SG_SL_E_clIS7_S7_PlSB_EEDaSZ_S10_SG_SL_EUlSZ_E_NS1_11comp_targetILNS1_3genE4ELNS1_11target_archE910ELNS1_3gpuE8ELNS1_3repE0EEENS1_47radix_sort_onesweep_sort_config_static_selectorELNS0_4arch9wavefront6targetE1EEEvSG_
	.globl	_ZN7rocprim17ROCPRIM_400000_NS6detail17trampoline_kernelINS0_14default_configENS1_35radix_sort_onesweep_config_selectorIalEEZZNS1_29radix_sort_onesweep_iterationIS3_Lb0EPaS7_N6thrust23THRUST_200600_302600_NS10device_ptrIlEESB_jNS0_19identity_decomposerENS1_16block_id_wrapperIjLb0EEEEE10hipError_tT1_PNSt15iterator_traitsISG_E10value_typeET2_T3_PNSH_ISM_E10value_typeET4_T5_PSR_SS_PNS1_23onesweep_lookback_stateEbbT6_jjT7_P12ihipStream_tbENKUlT_T0_SG_SL_E_clIS7_S7_PlSB_EEDaSZ_S10_SG_SL_EUlSZ_E_NS1_11comp_targetILNS1_3genE4ELNS1_11target_archE910ELNS1_3gpuE8ELNS1_3repE0EEENS1_47radix_sort_onesweep_sort_config_static_selectorELNS0_4arch9wavefront6targetE1EEEvSG_
	.p2align	8
	.type	_ZN7rocprim17ROCPRIM_400000_NS6detail17trampoline_kernelINS0_14default_configENS1_35radix_sort_onesweep_config_selectorIalEEZZNS1_29radix_sort_onesweep_iterationIS3_Lb0EPaS7_N6thrust23THRUST_200600_302600_NS10device_ptrIlEESB_jNS0_19identity_decomposerENS1_16block_id_wrapperIjLb0EEEEE10hipError_tT1_PNSt15iterator_traitsISG_E10value_typeET2_T3_PNSH_ISM_E10value_typeET4_T5_PSR_SS_PNS1_23onesweep_lookback_stateEbbT6_jjT7_P12ihipStream_tbENKUlT_T0_SG_SL_E_clIS7_S7_PlSB_EEDaSZ_S10_SG_SL_EUlSZ_E_NS1_11comp_targetILNS1_3genE4ELNS1_11target_archE910ELNS1_3gpuE8ELNS1_3repE0EEENS1_47radix_sort_onesweep_sort_config_static_selectorELNS0_4arch9wavefront6targetE1EEEvSG_,@function
_ZN7rocprim17ROCPRIM_400000_NS6detail17trampoline_kernelINS0_14default_configENS1_35radix_sort_onesweep_config_selectorIalEEZZNS1_29radix_sort_onesweep_iterationIS3_Lb0EPaS7_N6thrust23THRUST_200600_302600_NS10device_ptrIlEESB_jNS0_19identity_decomposerENS1_16block_id_wrapperIjLb0EEEEE10hipError_tT1_PNSt15iterator_traitsISG_E10value_typeET2_T3_PNSH_ISM_E10value_typeET4_T5_PSR_SS_PNS1_23onesweep_lookback_stateEbbT6_jjT7_P12ihipStream_tbENKUlT_T0_SG_SL_E_clIS7_S7_PlSB_EEDaSZ_S10_SG_SL_EUlSZ_E_NS1_11comp_targetILNS1_3genE4ELNS1_11target_archE910ELNS1_3gpuE8ELNS1_3repE0EEENS1_47radix_sort_onesweep_sort_config_static_selectorELNS0_4arch9wavefront6targetE1EEEvSG_: ; @_ZN7rocprim17ROCPRIM_400000_NS6detail17trampoline_kernelINS0_14default_configENS1_35radix_sort_onesweep_config_selectorIalEEZZNS1_29radix_sort_onesweep_iterationIS3_Lb0EPaS7_N6thrust23THRUST_200600_302600_NS10device_ptrIlEESB_jNS0_19identity_decomposerENS1_16block_id_wrapperIjLb0EEEEE10hipError_tT1_PNSt15iterator_traitsISG_E10value_typeET2_T3_PNSH_ISM_E10value_typeET4_T5_PSR_SS_PNS1_23onesweep_lookback_stateEbbT6_jjT7_P12ihipStream_tbENKUlT_T0_SG_SL_E_clIS7_S7_PlSB_EEDaSZ_S10_SG_SL_EUlSZ_E_NS1_11comp_targetILNS1_3genE4ELNS1_11target_archE910ELNS1_3gpuE8ELNS1_3repE0EEENS1_47radix_sort_onesweep_sort_config_static_selectorELNS0_4arch9wavefront6targetE1EEEvSG_
; %bb.0:
	s_load_dwordx8 s[36:43], s[4:5], 0x0
	s_load_dwordx4 s[44:47], s[4:5], 0x44
	s_load_dwordx4 s[28:31], s[4:5], 0x28
	s_load_dwordx2 s[34:35], s[4:5], 0x38
	v_mbcnt_lo_u32_b32 v1, -1, 0
	s_waitcnt lgkmcnt(0)
	s_cmp_ge_u32 s6, s46
	s_cbranch_scc0 .LBB649_84
; %bb.1:
	s_load_dword s0, s[4:5], 0x20
	s_lshl_b32 s1, s46, 13
	s_lshl_b32 s46, s6, 13
	v_mbcnt_hi_u32_b32 v6, -1, v1
	v_and_b32_e32 v10, 0x3ff, v0
	s_waitcnt lgkmcnt(0)
	s_sub_i32 s7, s0, s1
	s_add_u32 s0, s36, s46
	s_addc_u32 s1, s37, 0
	v_and_b32_e32 v14, 63, v6
	v_lshlrev_b32_e32 v11, 3, v10
	v_mov_b32_e32 v2, s1
	v_add_co_u32_e32 v3, vcc, s0, v14
	v_and_b32_e32 v12, 0x1e00, v11
	v_addc_co_u32_e32 v4, vcc, 0, v2, vcc
	v_add_co_u32_e32 v2, vcc, v3, v12
	v_addc_co_u32_e32 v3, vcc, 0, v4, vcc
	v_or_b32_e32 v5, v14, v12
	s_mov_b32 s47, 0
	v_cmp_gt_u32_e32 vcc, s7, v5
	v_mov_b32_e32 v4, 0x7f
	v_mov_b32_e32 v7, 0x7f
	;; [unrolled: 1-line block ×8, first 2 shown]
	s_and_saveexec_b64 s[0:1], vcc
	s_cbranch_execz .LBB649_3
; %bb.2:
	global_load_ubyte v4, v[2:3], off
	v_mov_b32_e32 v17, 0x7f
	v_mov_b32_e32 v21, 0x7f
	;; [unrolled: 1-line block ×7, first 2 shown]
.LBB649_3:
	s_or_b64 exec, exec, s[0:1]
	v_or_b32_e32 v8, 64, v5
	v_cmp_gt_u32_e64 s[0:1], s7, v8
	s_and_saveexec_b64 s[2:3], s[0:1]
	s_cbranch_execz .LBB649_5
; %bb.4:
	global_load_ubyte v17, v[2:3], off offset:64
.LBB649_5:
	s_or_b64 exec, exec, s[2:3]
	v_or_b32_e32 v8, 0x80, v5
	v_cmp_gt_u32_e64 s[2:3], s7, v8
	s_and_saveexec_b64 s[8:9], s[2:3]
	s_cbranch_execz .LBB649_7
; %bb.6:
	global_load_ubyte v21, v[2:3], off offset:128
.LBB649_7:
	;; [unrolled: 8-line block ×7, first 2 shown]
	s_or_b64 exec, exec, s[16:17]
	s_load_dword s16, s[4:5], 0x64
	s_load_dword s33, s[4:5], 0x58
	s_add_u32 s17, s4, 0x58
	s_addc_u32 s18, s5, 0
	v_mov_b32_e32 v2, 0
	s_waitcnt lgkmcnt(0)
	s_lshr_b32 s19, s16, 16
	s_cmp_lt_u32 s6, s33
	s_cselect_b32 s16, 12, 18
	s_add_u32 s16, s17, s16
	s_addc_u32 s17, s18, 0
	global_load_ushort v5, v2, s[16:17]
	s_waitcnt vmcnt(1)
	v_xor_b32_e32 v8, 0xffffff80, v4
	s_lshl_b32 s16, -1, s45
	v_lshrrev_b32_sdwa v15, s44, v8 dst_sel:DWORD dst_unused:UNUSED_PAD src0_sel:DWORD src1_sel:BYTE_0
	s_not_b32 s50, s16
	v_and_b32_e32 v15, s50, v15
	v_and_b32_e32 v19, 1, v15
	v_bfe_u32 v3, v0, 10, 10
	v_bfe_u32 v4, v0, 20, 10
	v_add_co_u32_e64 v22, s[16:17], -1, v19
	v_mad_u32_u24 v4, v4, s19, v3
	v_lshlrev_b32_e32 v3, 30, v15
	v_addc_co_u32_e64 v24, s[16:17], 0, -1, s[16:17]
	v_cmp_ne_u32_e64 s[16:17], 0, v19
	v_cmp_gt_i64_e64 s[18:19], 0, v[2:3]
	v_not_b32_e32 v19, v3
	v_lshlrev_b32_e32 v3, 29, v15
	v_xor_b32_e32 v24, s17, v24
	v_xor_b32_e32 v22, s16, v22
	v_ashrrev_i32_e32 v19, 31, v19
	v_cmp_gt_i64_e64 s[16:17], 0, v[2:3]
	v_not_b32_e32 v25, v3
	v_lshlrev_b32_e32 v3, 28, v15
	v_and_b32_e32 v24, exec_hi, v24
	v_and_b32_e32 v22, exec_lo, v22
	v_xor_b32_e32 v26, s19, v19
	v_xor_b32_e32 v19, s18, v19
	v_ashrrev_i32_e32 v25, 31, v25
	v_cmp_gt_i64_e64 s[18:19], 0, v[2:3]
	v_not_b32_e32 v27, v3
	v_lshlrev_b32_e32 v3, 27, v15
	v_and_b32_e32 v24, v24, v26
	v_and_b32_e32 v19, v22, v19
	v_xor_b32_e32 v22, s17, v25
	v_xor_b32_e32 v25, s16, v25
	v_ashrrev_i32_e32 v26, 31, v27
	v_cmp_gt_i64_e64 s[16:17], 0, v[2:3]
	v_not_b32_e32 v27, v3
	v_lshlrev_b32_e32 v3, 26, v15
	v_and_b32_e32 v22, v24, v22
	v_and_b32_e32 v19, v19, v25
	;; [unrolled: 8-line block ×3, first 2 shown]
	v_xor_b32_e32 v24, s17, v26
	v_xor_b32_e32 v25, s16, v26
	v_ashrrev_i32_e32 v26, 31, v27
	v_cmp_gt_i64_e64 s[16:17], 0, v[2:3]
	v_not_b32_e32 v27, v3
	v_lshlrev_b32_e32 v3, 24, v15
	v_mul_u32_u24_e32 v18, 17, v15
	v_and_b32_e32 v15, v22, v24
	v_and_b32_e32 v19, v19, v25
	v_xor_b32_e32 v22, s19, v26
	v_xor_b32_e32 v24, s18, v26
	v_ashrrev_i32_e32 v25, 31, v27
	v_cmp_gt_i64_e64 s[18:19], 0, v[2:3]
	v_not_b32_e32 v3, v3
	v_and_b32_e32 v15, v15, v22
	v_and_b32_e32 v19, v19, v24
	v_xor_b32_e32 v22, s17, v25
	v_xor_b32_e32 v24, s16, v25
	v_ashrrev_i32_e32 v3, 31, v3
	v_and_b32_e32 v15, v15, v22
	v_and_b32_e32 v19, v19, v24
	v_mul_u32_u24_e32 v13, 5, v10
	v_lshlrev_b32_e32 v13, 2, v13
	ds_write2_b32 v13, v2, v2 offset0:16 offset1:17
	ds_write2_b32 v13, v2, v2 offset0:18 offset1:19
	ds_write_b32 v13, v2 offset:80
	s_waitcnt lgkmcnt(0)
	s_barrier
	s_waitcnt lgkmcnt(0)
	; wave barrier
	s_waitcnt vmcnt(0)
	v_mad_u64_u32 v[4:5], s[16:17], v4, v5, v[10:11]
	v_lshrrev_b32_e32 v24, 6, v4
	v_xor_b32_e32 v4, s19, v3
	v_xor_b32_e32 v3, s18, v3
	v_and_b32_e32 v5, v15, v4
	v_and_b32_e32 v4, v19, v3
	v_mbcnt_lo_u32_b32 v3, v4, 0
	v_mbcnt_hi_u32_b32 v15, v5, v3
	v_cmp_eq_u32_e64 s[16:17], 0, v15
	v_cmp_ne_u64_e64 s[18:19], 0, v[4:5]
	v_add_lshl_u32 v18, v24, v18, 2
	s_and_b64 s[18:19], s[18:19], s[16:17]
	s_and_saveexec_b64 s[16:17], s[18:19]
	s_cbranch_execz .LBB649_19
; %bb.18:
	v_bcnt_u32_b32 v3, v4, 0
	v_bcnt_u32_b32 v3, v5, v3
	ds_write_b32 v18, v3 offset:64
.LBB649_19:
	s_or_b64 exec, exec, s[16:17]
	v_xor_b32_e32 v17, 0xffffff80, v17
	v_lshrrev_b32_sdwa v3, s44, v17 dst_sel:DWORD dst_unused:UNUSED_PAD src0_sel:DWORD src1_sel:BYTE_0
	v_and_b32_e32 v4, s50, v3
	v_mul_u32_u24_e32 v3, 17, v4
	v_add_lshl_u32 v19, v24, v3, 2
	v_and_b32_e32 v3, 1, v4
	v_add_co_u32_e64 v5, s[16:17], -1, v3
	v_addc_co_u32_e64 v22, s[16:17], 0, -1, s[16:17]
	v_cmp_ne_u32_e64 s[16:17], 0, v3
	v_xor_b32_e32 v3, s17, v22
	v_and_b32_e32 v22, exec_hi, v3
	v_lshlrev_b32_e32 v3, 30, v4
	v_xor_b32_e32 v5, s16, v5
	v_cmp_gt_i64_e64 s[16:17], 0, v[2:3]
	v_not_b32_e32 v3, v3
	v_ashrrev_i32_e32 v3, 31, v3
	v_and_b32_e32 v5, exec_lo, v5
	v_xor_b32_e32 v25, s17, v3
	v_xor_b32_e32 v3, s16, v3
	v_and_b32_e32 v5, v5, v3
	v_lshlrev_b32_e32 v3, 29, v4
	v_cmp_gt_i64_e64 s[16:17], 0, v[2:3]
	v_not_b32_e32 v3, v3
	v_ashrrev_i32_e32 v3, 31, v3
	v_and_b32_e32 v22, v22, v25
	v_xor_b32_e32 v25, s17, v3
	v_xor_b32_e32 v3, s16, v3
	v_and_b32_e32 v5, v5, v3
	v_lshlrev_b32_e32 v3, 28, v4
	v_cmp_gt_i64_e64 s[16:17], 0, v[2:3]
	v_not_b32_e32 v3, v3
	v_ashrrev_i32_e32 v3, 31, v3
	v_and_b32_e32 v22, v22, v25
	;; [unrolled: 8-line block ×5, first 2 shown]
	v_xor_b32_e32 v25, s17, v3
	v_xor_b32_e32 v3, s16, v3
	v_and_b32_e32 v5, v5, v3
	v_lshlrev_b32_e32 v3, 24, v4
	v_cmp_gt_i64_e64 s[16:17], 0, v[2:3]
	v_not_b32_e32 v2, v3
	v_ashrrev_i32_e32 v2, 31, v2
	v_xor_b32_e32 v3, s17, v2
	v_xor_b32_e32 v2, s16, v2
	; wave barrier
	ds_read_b32 v30, v19 offset:64
	v_and_b32_e32 v22, v22, v25
	v_and_b32_e32 v2, v5, v2
	;; [unrolled: 1-line block ×3, first 2 shown]
	v_mbcnt_lo_u32_b32 v4, v2, 0
	v_mbcnt_hi_u32_b32 v31, v3, v4
	v_cmp_eq_u32_e64 s[16:17], 0, v31
	v_cmp_ne_u64_e64 s[18:19], 0, v[2:3]
	s_and_b64 s[18:19], s[18:19], s[16:17]
	; wave barrier
	s_and_saveexec_b64 s[16:17], s[18:19]
	s_cbranch_execz .LBB649_21
; %bb.20:
	v_bcnt_u32_b32 v2, v2, 0
	v_bcnt_u32_b32 v2, v3, v2
	s_waitcnt lgkmcnt(0)
	v_add_u32_e32 v2, v30, v2
	ds_write_b32 v19, v2 offset:64
.LBB649_21:
	s_or_b64 exec, exec, s[16:17]
	v_xor_b32_e32 v21, 0xffffff80, v21
	v_lshrrev_b32_sdwa v2, s44, v21 dst_sel:DWORD dst_unused:UNUSED_PAD src0_sel:DWORD src1_sel:BYTE_0
	v_and_b32_e32 v4, s50, v2
	v_and_b32_e32 v3, 1, v4
	v_add_co_u32_e64 v5, s[16:17], -1, v3
	v_addc_co_u32_e64 v25, s[16:17], 0, -1, s[16:17]
	v_cmp_ne_u32_e64 s[16:17], 0, v3
	v_mul_u32_u24_e32 v2, 17, v4
	v_xor_b32_e32 v3, s17, v25
	v_add_lshl_u32 v22, v24, v2, 2
	v_mov_b32_e32 v2, 0
	v_and_b32_e32 v25, exec_hi, v3
	v_lshlrev_b32_e32 v3, 30, v4
	v_xor_b32_e32 v5, s16, v5
	v_cmp_gt_i64_e64 s[16:17], 0, v[2:3]
	v_not_b32_e32 v3, v3
	v_ashrrev_i32_e32 v3, 31, v3
	v_and_b32_e32 v5, exec_lo, v5
	v_xor_b32_e32 v26, s17, v3
	v_xor_b32_e32 v3, s16, v3
	v_and_b32_e32 v5, v5, v3
	v_lshlrev_b32_e32 v3, 29, v4
	v_cmp_gt_i64_e64 s[16:17], 0, v[2:3]
	v_not_b32_e32 v3, v3
	v_ashrrev_i32_e32 v3, 31, v3
	v_and_b32_e32 v25, v25, v26
	v_xor_b32_e32 v26, s17, v3
	v_xor_b32_e32 v3, s16, v3
	v_and_b32_e32 v5, v5, v3
	v_lshlrev_b32_e32 v3, 28, v4
	v_cmp_gt_i64_e64 s[16:17], 0, v[2:3]
	v_not_b32_e32 v3, v3
	v_ashrrev_i32_e32 v3, 31, v3
	v_and_b32_e32 v25, v25, v26
	;; [unrolled: 8-line block ×5, first 2 shown]
	v_xor_b32_e32 v26, s17, v3
	v_xor_b32_e32 v3, s16, v3
	v_and_b32_e32 v25, v25, v26
	v_and_b32_e32 v26, v5, v3
	v_lshlrev_b32_e32 v3, 24, v4
	v_cmp_gt_i64_e64 s[16:17], 0, v[2:3]
	v_not_b32_e32 v3, v3
	v_ashrrev_i32_e32 v3, 31, v3
	v_xor_b32_e32 v4, s17, v3
	v_xor_b32_e32 v3, s16, v3
	; wave barrier
	ds_read_b32 v32, v22 offset:64
	v_and_b32_e32 v5, v25, v4
	v_and_b32_e32 v4, v26, v3
	v_mbcnt_lo_u32_b32 v3, v4, 0
	v_mbcnt_hi_u32_b32 v33, v5, v3
	v_cmp_eq_u32_e64 s[16:17], 0, v33
	v_cmp_ne_u64_e64 s[18:19], 0, v[4:5]
	s_and_b64 s[18:19], s[18:19], s[16:17]
	; wave barrier
	s_and_saveexec_b64 s[16:17], s[18:19]
	s_cbranch_execz .LBB649_23
; %bb.22:
	v_bcnt_u32_b32 v3, v4, 0
	v_bcnt_u32_b32 v3, v5, v3
	s_waitcnt lgkmcnt(0)
	v_add_u32_e32 v3, v32, v3
	ds_write_b32 v22, v3 offset:64
.LBB649_23:
	s_or_b64 exec, exec, s[16:17]
	v_xor_b32_e32 v23, 0xffffff80, v23
	v_lshrrev_b32_sdwa v3, s44, v23 dst_sel:DWORD dst_unused:UNUSED_PAD src0_sel:DWORD src1_sel:BYTE_0
	v_and_b32_e32 v4, s50, v3
	v_mul_u32_u24_e32 v3, 17, v4
	v_add_lshl_u32 v25, v24, v3, 2
	v_and_b32_e32 v3, 1, v4
	v_add_co_u32_e64 v5, s[16:17], -1, v3
	v_addc_co_u32_e64 v26, s[16:17], 0, -1, s[16:17]
	v_cmp_ne_u32_e64 s[16:17], 0, v3
	v_xor_b32_e32 v3, s17, v26
	v_and_b32_e32 v26, exec_hi, v3
	v_lshlrev_b32_e32 v3, 30, v4
	v_xor_b32_e32 v5, s16, v5
	v_cmp_gt_i64_e64 s[16:17], 0, v[2:3]
	v_not_b32_e32 v3, v3
	v_ashrrev_i32_e32 v3, 31, v3
	v_and_b32_e32 v5, exec_lo, v5
	v_xor_b32_e32 v27, s17, v3
	v_xor_b32_e32 v3, s16, v3
	v_and_b32_e32 v5, v5, v3
	v_lshlrev_b32_e32 v3, 29, v4
	v_cmp_gt_i64_e64 s[16:17], 0, v[2:3]
	v_not_b32_e32 v3, v3
	v_ashrrev_i32_e32 v3, 31, v3
	v_and_b32_e32 v26, v26, v27
	v_xor_b32_e32 v27, s17, v3
	v_xor_b32_e32 v3, s16, v3
	v_and_b32_e32 v5, v5, v3
	v_lshlrev_b32_e32 v3, 28, v4
	v_cmp_gt_i64_e64 s[16:17], 0, v[2:3]
	v_not_b32_e32 v3, v3
	v_ashrrev_i32_e32 v3, 31, v3
	v_and_b32_e32 v26, v26, v27
	;; [unrolled: 8-line block ×5, first 2 shown]
	v_xor_b32_e32 v27, s17, v3
	v_xor_b32_e32 v3, s16, v3
	v_and_b32_e32 v5, v5, v3
	v_lshlrev_b32_e32 v3, 24, v4
	v_cmp_gt_i64_e64 s[16:17], 0, v[2:3]
	v_not_b32_e32 v2, v3
	v_ashrrev_i32_e32 v2, 31, v2
	v_xor_b32_e32 v3, s17, v2
	v_xor_b32_e32 v2, s16, v2
	; wave barrier
	ds_read_b32 v34, v25 offset:64
	v_and_b32_e32 v26, v26, v27
	v_and_b32_e32 v2, v5, v2
	;; [unrolled: 1-line block ×3, first 2 shown]
	v_mbcnt_lo_u32_b32 v4, v2, 0
	v_mbcnt_hi_u32_b32 v35, v3, v4
	v_cmp_eq_u32_e64 s[16:17], 0, v35
	v_cmp_ne_u64_e64 s[18:19], 0, v[2:3]
	s_and_b64 s[18:19], s[18:19], s[16:17]
	; wave barrier
	s_and_saveexec_b64 s[16:17], s[18:19]
	s_cbranch_execz .LBB649_25
; %bb.24:
	v_bcnt_u32_b32 v2, v2, 0
	v_bcnt_u32_b32 v2, v3, v2
	s_waitcnt lgkmcnt(0)
	v_add_u32_e32 v2, v34, v2
	ds_write_b32 v25, v2 offset:64
.LBB649_25:
	s_or_b64 exec, exec, s[16:17]
	v_xor_b32_e32 v20, 0xffffff80, v20
	v_lshrrev_b32_sdwa v2, s44, v20 dst_sel:DWORD dst_unused:UNUSED_PAD src0_sel:DWORD src1_sel:BYTE_0
	v_and_b32_e32 v4, s50, v2
	v_and_b32_e32 v3, 1, v4
	v_add_co_u32_e64 v5, s[16:17], -1, v3
	v_addc_co_u32_e64 v27, s[16:17], 0, -1, s[16:17]
	v_cmp_ne_u32_e64 s[16:17], 0, v3
	v_mul_u32_u24_e32 v2, 17, v4
	v_xor_b32_e32 v3, s17, v27
	v_add_lshl_u32 v26, v24, v2, 2
	v_mov_b32_e32 v2, 0
	v_and_b32_e32 v27, exec_hi, v3
	v_lshlrev_b32_e32 v3, 30, v4
	v_xor_b32_e32 v5, s16, v5
	v_cmp_gt_i64_e64 s[16:17], 0, v[2:3]
	v_not_b32_e32 v3, v3
	v_ashrrev_i32_e32 v3, 31, v3
	v_and_b32_e32 v5, exec_lo, v5
	v_xor_b32_e32 v28, s17, v3
	v_xor_b32_e32 v3, s16, v3
	v_and_b32_e32 v5, v5, v3
	v_lshlrev_b32_e32 v3, 29, v4
	v_cmp_gt_i64_e64 s[16:17], 0, v[2:3]
	v_not_b32_e32 v3, v3
	v_ashrrev_i32_e32 v3, 31, v3
	v_and_b32_e32 v27, v27, v28
	v_xor_b32_e32 v28, s17, v3
	v_xor_b32_e32 v3, s16, v3
	v_and_b32_e32 v5, v5, v3
	v_lshlrev_b32_e32 v3, 28, v4
	v_cmp_gt_i64_e64 s[16:17], 0, v[2:3]
	v_not_b32_e32 v3, v3
	v_ashrrev_i32_e32 v3, 31, v3
	v_and_b32_e32 v27, v27, v28
	;; [unrolled: 8-line block ×5, first 2 shown]
	v_xor_b32_e32 v28, s17, v3
	v_xor_b32_e32 v3, s16, v3
	v_and_b32_e32 v27, v27, v28
	v_and_b32_e32 v28, v5, v3
	v_lshlrev_b32_e32 v3, 24, v4
	v_cmp_gt_i64_e64 s[16:17], 0, v[2:3]
	v_not_b32_e32 v3, v3
	v_ashrrev_i32_e32 v3, 31, v3
	v_xor_b32_e32 v4, s17, v3
	v_xor_b32_e32 v3, s16, v3
	; wave barrier
	ds_read_b32 v36, v26 offset:64
	v_and_b32_e32 v5, v27, v4
	v_and_b32_e32 v4, v28, v3
	v_mbcnt_lo_u32_b32 v3, v4, 0
	v_mbcnt_hi_u32_b32 v37, v5, v3
	v_cmp_eq_u32_e64 s[16:17], 0, v37
	v_cmp_ne_u64_e64 s[18:19], 0, v[4:5]
	s_and_b64 s[18:19], s[18:19], s[16:17]
	; wave barrier
	s_and_saveexec_b64 s[16:17], s[18:19]
	s_cbranch_execz .LBB649_27
; %bb.26:
	v_bcnt_u32_b32 v3, v4, 0
	v_bcnt_u32_b32 v3, v5, v3
	s_waitcnt lgkmcnt(0)
	v_add_u32_e32 v3, v36, v3
	ds_write_b32 v26, v3 offset:64
.LBB649_27:
	s_or_b64 exec, exec, s[16:17]
	v_xor_b32_e32 v16, 0xffffff80, v16
	v_lshrrev_b32_sdwa v3, s44, v16 dst_sel:DWORD dst_unused:UNUSED_PAD src0_sel:DWORD src1_sel:BYTE_0
	v_and_b32_e32 v4, s50, v3
	v_mul_u32_u24_e32 v3, 17, v4
	v_add_lshl_u32 v27, v24, v3, 2
	v_and_b32_e32 v3, 1, v4
	v_add_co_u32_e64 v5, s[16:17], -1, v3
	v_addc_co_u32_e64 v28, s[16:17], 0, -1, s[16:17]
	v_cmp_ne_u32_e64 s[16:17], 0, v3
	v_xor_b32_e32 v3, s17, v28
	v_and_b32_e32 v28, exec_hi, v3
	v_lshlrev_b32_e32 v3, 30, v4
	v_xor_b32_e32 v5, s16, v5
	v_cmp_gt_i64_e64 s[16:17], 0, v[2:3]
	v_not_b32_e32 v3, v3
	v_ashrrev_i32_e32 v3, 31, v3
	v_and_b32_e32 v5, exec_lo, v5
	v_xor_b32_e32 v29, s17, v3
	v_xor_b32_e32 v3, s16, v3
	v_and_b32_e32 v5, v5, v3
	v_lshlrev_b32_e32 v3, 29, v4
	v_cmp_gt_i64_e64 s[16:17], 0, v[2:3]
	v_not_b32_e32 v3, v3
	v_ashrrev_i32_e32 v3, 31, v3
	v_and_b32_e32 v28, v28, v29
	v_xor_b32_e32 v29, s17, v3
	v_xor_b32_e32 v3, s16, v3
	v_and_b32_e32 v5, v5, v3
	v_lshlrev_b32_e32 v3, 28, v4
	v_cmp_gt_i64_e64 s[16:17], 0, v[2:3]
	v_not_b32_e32 v3, v3
	v_ashrrev_i32_e32 v3, 31, v3
	v_and_b32_e32 v28, v28, v29
	;; [unrolled: 8-line block ×5, first 2 shown]
	v_xor_b32_e32 v29, s17, v3
	v_xor_b32_e32 v3, s16, v3
	v_and_b32_e32 v5, v5, v3
	v_lshlrev_b32_e32 v3, 24, v4
	v_cmp_gt_i64_e64 s[16:17], 0, v[2:3]
	v_not_b32_e32 v2, v3
	v_ashrrev_i32_e32 v2, 31, v2
	v_xor_b32_e32 v3, s17, v2
	v_xor_b32_e32 v2, s16, v2
	; wave barrier
	ds_read_b32 v38, v27 offset:64
	v_and_b32_e32 v28, v28, v29
	v_and_b32_e32 v2, v5, v2
	;; [unrolled: 1-line block ×3, first 2 shown]
	v_mbcnt_lo_u32_b32 v4, v2, 0
	v_mbcnt_hi_u32_b32 v39, v3, v4
	v_cmp_eq_u32_e64 s[16:17], 0, v39
	v_cmp_ne_u64_e64 s[18:19], 0, v[2:3]
	s_and_b64 s[18:19], s[18:19], s[16:17]
	; wave barrier
	s_and_saveexec_b64 s[16:17], s[18:19]
	s_cbranch_execz .LBB649_29
; %bb.28:
	v_bcnt_u32_b32 v2, v2, 0
	v_bcnt_u32_b32 v2, v3, v2
	s_waitcnt lgkmcnt(0)
	v_add_u32_e32 v2, v38, v2
	ds_write_b32 v27, v2 offset:64
.LBB649_29:
	s_or_b64 exec, exec, s[16:17]
	v_xor_b32_e32 v9, 0xffffff80, v9
	v_lshrrev_b32_sdwa v2, s44, v9 dst_sel:DWORD dst_unused:UNUSED_PAD src0_sel:DWORD src1_sel:BYTE_0
	v_and_b32_e32 v4, s50, v2
	v_and_b32_e32 v3, 1, v4
	v_add_co_u32_e64 v5, s[16:17], -1, v3
	v_addc_co_u32_e64 v29, s[16:17], 0, -1, s[16:17]
	v_cmp_ne_u32_e64 s[16:17], 0, v3
	v_mul_u32_u24_e32 v2, 17, v4
	v_xor_b32_e32 v3, s17, v29
	v_add_lshl_u32 v28, v24, v2, 2
	v_mov_b32_e32 v2, 0
	v_and_b32_e32 v29, exec_hi, v3
	v_lshlrev_b32_e32 v3, 30, v4
	v_xor_b32_e32 v5, s16, v5
	v_cmp_gt_i64_e64 s[16:17], 0, v[2:3]
	v_not_b32_e32 v3, v3
	v_ashrrev_i32_e32 v3, 31, v3
	v_and_b32_e32 v5, exec_lo, v5
	v_xor_b32_e32 v41, s17, v3
	v_xor_b32_e32 v3, s16, v3
	v_and_b32_e32 v5, v5, v3
	v_lshlrev_b32_e32 v3, 29, v4
	v_cmp_gt_i64_e64 s[16:17], 0, v[2:3]
	v_not_b32_e32 v3, v3
	v_ashrrev_i32_e32 v3, 31, v3
	v_and_b32_e32 v29, v29, v41
	v_xor_b32_e32 v41, s17, v3
	v_xor_b32_e32 v3, s16, v3
	v_and_b32_e32 v5, v5, v3
	v_lshlrev_b32_e32 v3, 28, v4
	v_cmp_gt_i64_e64 s[16:17], 0, v[2:3]
	v_not_b32_e32 v3, v3
	v_ashrrev_i32_e32 v3, 31, v3
	v_and_b32_e32 v29, v29, v41
	;; [unrolled: 8-line block ×5, first 2 shown]
	v_xor_b32_e32 v41, s17, v3
	v_xor_b32_e32 v3, s16, v3
	v_and_b32_e32 v29, v29, v41
	v_and_b32_e32 v41, v5, v3
	v_lshlrev_b32_e32 v3, 24, v4
	v_cmp_gt_i64_e64 s[16:17], 0, v[2:3]
	v_not_b32_e32 v3, v3
	v_ashrrev_i32_e32 v3, 31, v3
	v_xor_b32_e32 v4, s17, v3
	v_xor_b32_e32 v3, s16, v3
	; wave barrier
	ds_read_b32 v40, v28 offset:64
	v_and_b32_e32 v5, v29, v4
	v_and_b32_e32 v4, v41, v3
	v_mbcnt_lo_u32_b32 v3, v4, 0
	v_mbcnt_hi_u32_b32 v41, v5, v3
	v_cmp_eq_u32_e64 s[16:17], 0, v41
	v_cmp_ne_u64_e64 s[18:19], 0, v[4:5]
	s_and_b64 s[18:19], s[18:19], s[16:17]
	; wave barrier
	s_and_saveexec_b64 s[16:17], s[18:19]
	s_cbranch_execz .LBB649_31
; %bb.30:
	v_bcnt_u32_b32 v3, v4, 0
	v_bcnt_u32_b32 v3, v5, v3
	s_waitcnt lgkmcnt(0)
	v_add_u32_e32 v3, v40, v3
	ds_write_b32 v28, v3 offset:64
.LBB649_31:
	s_or_b64 exec, exec, s[16:17]
	v_xor_b32_e32 v7, 0xffffff80, v7
	v_lshrrev_b32_sdwa v3, s44, v7 dst_sel:DWORD dst_unused:UNUSED_PAD src0_sel:DWORD src1_sel:BYTE_0
	v_and_b32_e32 v4, s50, v3
	v_mul_u32_u24_e32 v3, 17, v4
	v_add_lshl_u32 v29, v24, v3, 2
	v_and_b32_e32 v3, 1, v4
	v_add_co_u32_e64 v5, s[16:17], -1, v3
	v_addc_co_u32_e64 v24, s[16:17], 0, -1, s[16:17]
	v_cmp_ne_u32_e64 s[16:17], 0, v3
	v_xor_b32_e32 v3, s17, v24
	v_and_b32_e32 v24, exec_hi, v3
	v_lshlrev_b32_e32 v3, 30, v4
	v_xor_b32_e32 v5, s16, v5
	v_cmp_gt_i64_e64 s[16:17], 0, v[2:3]
	v_not_b32_e32 v3, v3
	v_ashrrev_i32_e32 v3, 31, v3
	v_and_b32_e32 v5, exec_lo, v5
	v_xor_b32_e32 v44, s17, v3
	v_xor_b32_e32 v3, s16, v3
	v_and_b32_e32 v5, v5, v3
	v_lshlrev_b32_e32 v3, 29, v4
	v_cmp_gt_i64_e64 s[16:17], 0, v[2:3]
	v_not_b32_e32 v3, v3
	v_ashrrev_i32_e32 v3, 31, v3
	v_and_b32_e32 v24, v24, v44
	v_xor_b32_e32 v44, s17, v3
	v_xor_b32_e32 v3, s16, v3
	v_and_b32_e32 v5, v5, v3
	v_lshlrev_b32_e32 v3, 28, v4
	v_cmp_gt_i64_e64 s[16:17], 0, v[2:3]
	v_not_b32_e32 v3, v3
	v_ashrrev_i32_e32 v3, 31, v3
	v_and_b32_e32 v24, v24, v44
	v_xor_b32_e32 v44, s17, v3
	v_xor_b32_e32 v3, s16, v3
	v_and_b32_e32 v5, v5, v3
	v_lshlrev_b32_e32 v3, 27, v4
	v_cmp_gt_i64_e64 s[16:17], 0, v[2:3]
	v_not_b32_e32 v3, v3
	v_ashrrev_i32_e32 v3, 31, v3
	v_and_b32_e32 v24, v24, v44
	v_xor_b32_e32 v44, s17, v3
	v_xor_b32_e32 v3, s16, v3
	v_and_b32_e32 v5, v5, v3
	v_lshlrev_b32_e32 v3, 26, v4
	v_cmp_gt_i64_e64 s[16:17], 0, v[2:3]
	v_not_b32_e32 v3, v3
	v_ashrrev_i32_e32 v3, 31, v3
	v_and_b32_e32 v24, v24, v44
	v_xor_b32_e32 v44, s17, v3
	v_xor_b32_e32 v3, s16, v3
	v_and_b32_e32 v5, v5, v3
	v_lshlrev_b32_e32 v3, 25, v4
	v_cmp_gt_i64_e64 s[16:17], 0, v[2:3]
	v_not_b32_e32 v3, v3
	v_ashrrev_i32_e32 v3, 31, v3
	v_and_b32_e32 v24, v24, v44
	v_xor_b32_e32 v44, s17, v3
	v_xor_b32_e32 v3, s16, v3
	v_and_b32_e32 v5, v5, v3
	v_lshlrev_b32_e32 v3, 24, v4
	v_cmp_gt_i64_e64 s[16:17], 0, v[2:3]
	v_not_b32_e32 v2, v3
	v_ashrrev_i32_e32 v2, 31, v2
	v_xor_b32_e32 v3, s17, v2
	v_xor_b32_e32 v2, s16, v2
	; wave barrier
	ds_read_b32 v42, v29 offset:64
	v_and_b32_e32 v24, v24, v44
	v_and_b32_e32 v2, v5, v2
	;; [unrolled: 1-line block ×3, first 2 shown]
	v_mbcnt_lo_u32_b32 v4, v2, 0
	v_mbcnt_hi_u32_b32 v45, v3, v4
	v_cmp_eq_u32_e64 s[16:17], 0, v45
	v_cmp_ne_u64_e64 s[18:19], 0, v[2:3]
	v_add_u32_e32 v43, 64, v13
	s_and_b64 s[18:19], s[18:19], s[16:17]
	; wave barrier
	s_and_saveexec_b64 s[16:17], s[18:19]
	s_cbranch_execz .LBB649_33
; %bb.32:
	v_bcnt_u32_b32 v2, v2, 0
	v_bcnt_u32_b32 v2, v3, v2
	s_waitcnt lgkmcnt(0)
	v_add_u32_e32 v2, v42, v2
	ds_write_b32 v29, v2 offset:64
.LBB649_33:
	s_or_b64 exec, exec, s[16:17]
	; wave barrier
	s_waitcnt lgkmcnt(0)
	s_barrier
	ds_read2_b32 v[4:5], v13 offset0:16 offset1:17
	ds_read2_b32 v[2:3], v43 offset0:2 offset1:3
	ds_read_b32 v24, v43 offset:16
	v_cmp_lt_u32_e64 s[26:27], 31, v6
	s_waitcnt lgkmcnt(1)
	v_add3_u32 v44, v5, v4, v2
	s_waitcnt lgkmcnt(0)
	v_add3_u32 v24, v44, v3, v24
	v_and_b32_e32 v44, 15, v6
	v_cmp_eq_u32_e64 s[16:17], 0, v44
	v_mov_b32_dpp v46, v24 row_shr:1 row_mask:0xf bank_mask:0xf
	v_cndmask_b32_e64 v46, v46, 0, s[16:17]
	v_add_u32_e32 v24, v46, v24
	v_cmp_lt_u32_e64 s[18:19], 1, v44
	v_cmp_lt_u32_e64 s[20:21], 3, v44
	v_mov_b32_dpp v46, v24 row_shr:2 row_mask:0xf bank_mask:0xf
	v_cndmask_b32_e64 v46, 0, v46, s[18:19]
	v_add_u32_e32 v24, v24, v46
	v_cmp_lt_u32_e64 s[22:23], 7, v44
	s_nop 0
	v_mov_b32_dpp v46, v24 row_shr:4 row_mask:0xf bank_mask:0xf
	v_cndmask_b32_e64 v46, 0, v46, s[20:21]
	v_add_u32_e32 v24, v24, v46
	s_nop 1
	v_mov_b32_dpp v46, v24 row_shr:8 row_mask:0xf bank_mask:0xf
	v_cndmask_b32_e64 v44, 0, v46, s[22:23]
	v_add_u32_e32 v24, v24, v44
	v_bfe_i32 v46, v6, 4, 1
	s_nop 0
	v_mov_b32_dpp v44, v24 row_bcast:15 row_mask:0xf bank_mask:0xf
	v_and_b32_e32 v44, v46, v44
	v_add_u32_e32 v24, v24, v44
	v_lshrrev_b32_e32 v46, 6, v10
	s_nop 0
	v_mov_b32_dpp v44, v24 row_bcast:31 row_mask:0xf bank_mask:0xf
	v_cndmask_b32_e64 v44, 0, v44, s[26:27]
	v_add_u32_e32 v44, v24, v44
	v_and_b32_e32 v24, 63, v10
	v_cmp_eq_u32_e64 s[26:27], 63, v24
	s_and_saveexec_b64 s[48:49], s[26:27]
	s_cbranch_execz .LBB649_35
; %bb.34:
	v_lshlrev_b32_e32 v24, 2, v46
	ds_write_b32 v24, v44
.LBB649_35:
	s_or_b64 exec, exec, s[48:49]
	v_cmp_gt_u32_e64 s[26:27], 16, v10
	v_lshlrev_b32_e32 v24, 2, v10
	s_waitcnt lgkmcnt(0)
	s_barrier
	s_and_saveexec_b64 s[48:49], s[26:27]
	s_cbranch_execz .LBB649_37
; %bb.36:
	ds_read_b32 v47, v24
	s_waitcnt lgkmcnt(0)
	s_nop 0
	v_mov_b32_dpp v48, v47 row_shr:1 row_mask:0xf bank_mask:0xf
	v_cndmask_b32_e64 v48, v48, 0, s[16:17]
	v_add_u32_e32 v47, v48, v47
	s_nop 1
	v_mov_b32_dpp v48, v47 row_shr:2 row_mask:0xf bank_mask:0xf
	v_cndmask_b32_e64 v48, 0, v48, s[18:19]
	v_add_u32_e32 v47, v47, v48
	;; [unrolled: 4-line block ×4, first 2 shown]
	ds_write_b32 v24, v47
.LBB649_37:
	s_or_b64 exec, exec, s[48:49]
	v_cmp_lt_u32_e64 s[16:17], 63, v10
	v_mov_b32_e32 v47, 0
	s_waitcnt lgkmcnt(0)
	s_barrier
	s_and_saveexec_b64 s[18:19], s[16:17]
	s_cbranch_execz .LBB649_39
; %bb.38:
	v_lshl_add_u32 v46, v46, 2, -4
	ds_read_b32 v47, v46
.LBB649_39:
	s_or_b64 exec, exec, s[18:19]
	v_add_u32_e32 v46, -1, v6
	v_and_b32_e32 v48, 64, v6
	v_cmp_lt_i32_e64 s[16:17], v46, v48
	v_cndmask_b32_e64 v46, v46, v6, s[16:17]
	s_waitcnt lgkmcnt(0)
	v_add_u32_e32 v44, v47, v44
	v_lshlrev_b32_e32 v46, 2, v46
	ds_bpermute_b32 v44, v46, v44
	v_cmp_eq_u32_e64 s[16:17], 0, v6
	s_waitcnt lgkmcnt(0)
	v_cndmask_b32_e64 v6, v44, v47, s[16:17]
	v_cmp_ne_u32_e64 s[16:17], 0, v10
	v_cndmask_b32_e64 v6, 0, v6, s[16:17]
	v_add_u32_e32 v4, v6, v4
	v_add_u32_e32 v5, v4, v5
	;; [unrolled: 1-line block ×4, first 2 shown]
	ds_write2_b32 v13, v6, v4 offset0:16 offset1:17
	ds_write2_b32 v43, v5, v2 offset0:2 offset1:3
	ds_write_b32 v43, v3 offset:16
	s_waitcnt lgkmcnt(0)
	s_barrier
	ds_read_b32 v2, v18 offset:64
	ds_read_b32 v47, v19 offset:64
	;; [unrolled: 1-line block ×8, first 2 shown]
	s_movk_i32 s16, 0x100
	v_cmp_gt_u32_e64 s[16:17], s16, v10
                                        ; implicit-def: $vgpr43
                                        ; implicit-def: $vgpr44
	s_and_saveexec_b64 s[20:21], s[16:17]
	s_cbranch_execz .LBB649_43
; %bb.40:
	v_mul_u32_u24_e32 v3, 17, v10
	v_lshlrev_b32_e32 v4, 2, v3
	ds_read_b32 v43, v4 offset:64
	s_movk_i32 s18, 0xff
	v_cmp_ne_u32_e64 s[18:19], s18, v10
	v_mov_b32_e32 v3, 0x2000
	s_and_saveexec_b64 s[22:23], s[18:19]
	s_cbranch_execz .LBB649_42
; %bb.41:
	ds_read_b32 v3, v4 offset:132
.LBB649_42:
	s_or_b64 exec, exec, s[22:23]
	s_waitcnt lgkmcnt(0)
	v_sub_u32_e32 v44, v3, v43
.LBB649_43:
	s_or_b64 exec, exec, s[20:21]
	s_waitcnt lgkmcnt(7)
	v_add_u32_e32 v46, v2, v15
	s_waitcnt lgkmcnt(6)
	v_add3_u32 v2, v31, v30, v47
	s_waitcnt lgkmcnt(5)
	v_add3_u32 v3, v33, v32, v48
	;; [unrolled: 2-line block ×7, first 2 shown]
	s_barrier
	ds_write_b8 v46, v8 offset:1024
	ds_write_b8 v2, v17 offset:1024
	;; [unrolled: 1-line block ×8, first 2 shown]
	s_and_saveexec_b64 s[20:21], s[16:17]
	s_cbranch_execz .LBB649_53
; %bb.44:
	v_lshl_or_b32 v2, s6, 8, v10
	v_mov_b32_e32 v3, 0
	v_lshlrev_b64 v[4:5], 2, v[2:3]
	v_mov_b32_e32 v8, s35
	v_add_co_u32_e64 v4, s[18:19], s34, v4
	v_addc_co_u32_e64 v5, s[18:19], v8, v5, s[18:19]
	v_or_b32_e32 v2, 2.0, v44
	s_mov_b64 s[22:23], 0
	s_brev_b32 s51, 1
	s_mov_b32 s52, s6
	v_mov_b32_e32 v9, 0
	global_store_dword v[4:5], v2, off
                                        ; implicit-def: $sgpr18_sgpr19
	s_branch .LBB649_46
.LBB649_45:                             ;   in Loop: Header=BB649_46 Depth=1
	s_or_b64 exec, exec, s[26:27]
	v_and_b32_e32 v6, 0x3fffffff, v13
	v_add_u32_e32 v9, v6, v9
	v_cmp_eq_u32_e64 s[18:19], s51, v2
	s_and_b64 s[26:27], exec, s[18:19]
	s_or_b64 s[22:23], s[26:27], s[22:23]
	s_andn2_b64 exec, exec, s[22:23]
	s_cbranch_execz .LBB649_52
.LBB649_46:                             ; =>This Loop Header: Depth=1
                                        ;     Child Loop BB649_49 Depth 2
	s_or_b64 s[18:19], s[18:19], exec
	s_cmp_eq_u32 s52, 0
	s_cbranch_scc1 .LBB649_51
; %bb.47:                               ;   in Loop: Header=BB649_46 Depth=1
	s_add_i32 s52, s52, -1
	v_lshl_or_b32 v2, s52, 8, v10
	v_lshlrev_b64 v[6:7], 2, v[2:3]
	v_add_co_u32_e64 v6, s[18:19], s34, v6
	v_addc_co_u32_e64 v7, s[18:19], v8, v7, s[18:19]
	global_load_dword v13, v[6:7], off glc
	s_waitcnt vmcnt(0)
	v_and_b32_e32 v2, -2.0, v13
	v_cmp_eq_u32_e64 s[18:19], 0, v2
	s_and_saveexec_b64 s[26:27], s[18:19]
	s_cbranch_execz .LBB649_45
; %bb.48:                               ;   in Loop: Header=BB649_46 Depth=1
	s_mov_b64 s[48:49], 0
.LBB649_49:                             ;   Parent Loop BB649_46 Depth=1
                                        ; =>  This Inner Loop Header: Depth=2
	global_load_dword v13, v[6:7], off glc
	s_waitcnt vmcnt(0)
	v_and_b32_e32 v2, -2.0, v13
	v_cmp_ne_u32_e64 s[18:19], 0, v2
	s_or_b64 s[48:49], s[18:19], s[48:49]
	s_andn2_b64 exec, exec, s[48:49]
	s_cbranch_execnz .LBB649_49
; %bb.50:                               ;   in Loop: Header=BB649_46 Depth=1
	s_or_b64 exec, exec, s[48:49]
	s_branch .LBB649_45
.LBB649_51:                             ;   in Loop: Header=BB649_46 Depth=1
                                        ; implicit-def: $sgpr52
	s_and_b64 s[26:27], exec, s[18:19]
	s_or_b64 s[22:23], s[26:27], s[22:23]
	s_andn2_b64 exec, exec, s[22:23]
	s_cbranch_execnz .LBB649_46
.LBB649_52:
	s_or_b64 exec, exec, s[22:23]
	v_add_u32_e32 v2, v9, v44
	v_or_b32_e32 v2, 0x80000000, v2
	global_store_dword v[4:5], v2, off
	global_load_dword v2, v24, s[28:29]
	v_sub_u32_e32 v3, v9, v43
	s_waitcnt vmcnt(0)
	v_add_u32_e32 v2, v3, v2
	ds_write_b32 v24, v2
.LBB649_53:
	s_or_b64 exec, exec, s[20:21]
	v_cmp_gt_u32_e64 s[18:19], s7, v10
	s_waitcnt lgkmcnt(0)
	s_barrier
	s_waitcnt lgkmcnt(0)
                                        ; implicit-def: $vgpr2_vgpr3_vgpr4_vgpr5_vgpr6_vgpr7_vgpr8_vgpr9
	s_and_saveexec_b64 s[20:21], s[18:19]
	s_cbranch_execz .LBB649_55
; %bb.54:
	ds_read_u8 v3, v10 offset:1024
	s_waitcnt lgkmcnt(0)
	v_lshrrev_b32_sdwa v2, s44, v3 dst_sel:DWORD dst_unused:UNUSED_PAD src0_sel:DWORD src1_sel:BYTE_0
	v_and_b32_e32 v2, s50, v2
	v_lshlrev_b32_e32 v4, 2, v2
	ds_read_b32 v4, v4
	v_xor_b32_e32 v3, 0x80, v3
	s_waitcnt lgkmcnt(0)
	v_add_u32_e32 v4, v4, v10
	global_store_byte v4, v3, s[38:39]
.LBB649_55:
	s_or_b64 exec, exec, s[20:21]
	v_or_b32_e32 v13, 0x400, v10
	v_cmp_gt_u32_e64 s[18:19], s7, v13
	s_and_saveexec_b64 s[20:21], s[18:19]
	s_cbranch_execz .LBB649_57
; %bb.56:
	ds_read_u8 v15, v10 offset:2048
	s_waitcnt lgkmcnt(0)
	v_lshrrev_b32_sdwa v3, s44, v15 dst_sel:DWORD dst_unused:UNUSED_PAD src0_sel:DWORD src1_sel:BYTE_0
	v_and_b32_e32 v3, s50, v3
	v_lshlrev_b32_e32 v16, 2, v3
	ds_read_b32 v16, v16
	v_xor_b32_e32 v15, 0x80, v15
	s_waitcnt lgkmcnt(0)
	v_add_u32_e32 v13, v16, v13
	global_store_byte v13, v15, s[38:39]
.LBB649_57:
	s_or_b64 exec, exec, s[20:21]
	v_or_b32_e32 v13, 0x800, v10
	v_cmp_gt_u32_e64 s[18:19], s7, v13
	;; [unrolled: 17-line block ×7, first 2 shown]
	s_and_saveexec_b64 s[20:21], s[18:19]
	s_cbranch_execz .LBB649_69
; %bb.68:
	ds_read_u8 v15, v10 offset:8192
	s_waitcnt lgkmcnt(0)
	v_lshrrev_b32_sdwa v9, s44, v15 dst_sel:DWORD dst_unused:UNUSED_PAD src0_sel:DWORD src1_sel:BYTE_0
	v_and_b32_e32 v9, s50, v9
	v_lshlrev_b32_e32 v16, 2, v9
	ds_read_b32 v16, v16
	v_xor_b32_e32 v15, 0x80, v15
	s_waitcnt lgkmcnt(0)
	v_add_u32_e32 v13, v16, v13
	global_store_byte v13, v15, s[38:39]
.LBB649_69:
	s_or_b64 exec, exec, s[20:21]
	s_lshl_b64 s[18:19], s[46:47], 3
	s_add_u32 s18, s40, s18
	s_addc_u32 s19, s41, s19
	v_lshlrev_b32_e32 v13, 3, v14
	v_mov_b32_e32 v14, s19
	v_add_co_u32_e64 v13, s[18:19], s18, v13
	v_addc_co_u32_e64 v14, s[18:19], 0, v14, s[18:19]
	v_lshlrev_b32_e32 v12, 3, v12
	v_add_co_u32_e64 v28, s[18:19], v13, v12
	v_addc_co_u32_e64 v29, s[18:19], 0, v14, s[18:19]
                                        ; implicit-def: $vgpr12_vgpr13
	s_and_saveexec_b64 s[18:19], vcc
	s_xor_b64 s[18:19], exec, s[18:19]
	s_cbranch_execnz .LBB649_134
; %bb.70:
	s_or_b64 exec, exec, s[18:19]
                                        ; implicit-def: $vgpr14_vgpr15
	s_and_saveexec_b64 s[18:19], s[0:1]
	s_cbranch_execnz .LBB649_135
.LBB649_71:
	s_or_b64 exec, exec, s[18:19]
                                        ; implicit-def: $vgpr16_vgpr17
	s_and_saveexec_b64 s[0:1], s[2:3]
	s_cbranch_execnz .LBB649_136
.LBB649_72:
	s_or_b64 exec, exec, s[0:1]
                                        ; implicit-def: $vgpr18_vgpr19
	s_and_saveexec_b64 s[0:1], s[24:25]
	s_cbranch_execnz .LBB649_137
.LBB649_73:
	s_or_b64 exec, exec, s[0:1]
                                        ; implicit-def: $vgpr20_vgpr21
	s_and_saveexec_b64 s[0:1], s[8:9]
	s_cbranch_execnz .LBB649_138
.LBB649_74:
	s_or_b64 exec, exec, s[0:1]
                                        ; implicit-def: $vgpr22_vgpr23
	s_and_saveexec_b64 s[0:1], s[10:11]
	s_cbranch_execnz .LBB649_139
.LBB649_75:
	s_or_b64 exec, exec, s[0:1]
                                        ; implicit-def: $vgpr24_vgpr25
	s_and_saveexec_b64 s[0:1], s[12:13]
	s_cbranch_execnz .LBB649_140
.LBB649_76:
	s_or_b64 exec, exec, s[0:1]
                                        ; implicit-def: $vgpr26_vgpr27
	s_and_saveexec_b64 s[0:1], s[14:15]
	s_cbranch_execz .LBB649_78
.LBB649_77:
	global_load_dwordx2 v[26:27], v[28:29], off offset:3584
.LBB649_78:
	s_or_b64 exec, exec, s[0:1]
	s_movk_i32 s2, 0x400
	v_add_u32_e32 v54, 0x400, v11
	v_add3_u32 v42, v45, v53, v42
	v_add3_u32 v40, v41, v52, v40
	;; [unrolled: 1-line block ×7, first 2 shown]
	s_mov_b32 s3, 0
	v_mov_b32_e32 v29, 0
	s_mov_b32 s8, 0
	v_mov_b32_e32 v31, v10
	s_barrier
	s_waitcnt vmcnt(0)
	s_branch .LBB649_80
.LBB649_79:                             ;   in Loop: Header=BB649_80 Depth=1
	s_or_b64 exec, exec, s[0:1]
	s_addk_i32 s8, 0xf800
	s_add_i32 s3, s3, 2
	s_cmpk_eq_i32 s8, 0xe000
	v_add_u32_e32 v31, 0x800, v31
	s_barrier
	s_cbranch_scc1 .LBB649_85
.LBB649_80:                             ; =>This Inner Loop Header: Depth=1
	v_add_u32_e32 v28, s8, v46
	v_min_u32_e32 v28, 0x800, v28
	v_lshlrev_b32_e32 v28, 3, v28
	ds_write_b64 v28, v[12:13] offset:1024
	v_add_u32_e32 v28, s8, v30
	v_min_u32_e32 v28, 0x800, v28
	v_lshlrev_b32_e32 v28, 3, v28
	ds_write_b64 v28, v[14:15] offset:1024
	;; [unrolled: 4-line block ×7, first 2 shown]
	v_add_u32_e32 v28, s8, v42
	v_min_u32_e32 v28, 0x800, v28
	v_lshlrev_b32_e32 v28, 3, v28
	v_cmp_gt_u32_e32 vcc, s7, v31
	ds_write_b64 v28, v[26:27] offset:1024
	s_waitcnt lgkmcnt(0)
	s_barrier
	s_and_saveexec_b64 s[0:1], vcc
	s_cbranch_execz .LBB649_82
; %bb.81:                               ;   in Loop: Header=BB649_80 Depth=1
	s_cmp_eq_u32 s3, 1
	s_cselect_b64 vcc, -1, 0
	s_cmp_eq_u32 s3, 2
	v_cndmask_b32_e32 v28, v2, v3, vcc
	s_cselect_b64 vcc, -1, 0
	s_cmp_eq_u32 s3, 3
	v_cndmask_b32_e32 v28, v28, v4, vcc
	;; [unrolled: 3-line block ×6, first 2 shown]
	s_cselect_b64 vcc, -1, 0
	v_cndmask_b32_e32 v28, v28, v9, vcc
	v_lshlrev_b32_e32 v28, 2, v28
	ds_read_b32 v28, v28
	ds_read_b64 v[48:49], v11 offset:1024
	s_waitcnt lgkmcnt(1)
	v_add_u32_e32 v28, v31, v28
	v_lshlrev_b64 v[50:51], 3, v[28:29]
	v_mov_b32_e32 v28, s43
	v_add_co_u32_e32 v50, vcc, s42, v50
	v_addc_co_u32_e32 v51, vcc, v28, v51, vcc
	s_waitcnt lgkmcnt(0)
	global_store_dwordx2 v[50:51], v[48:49], off
.LBB649_82:                             ;   in Loop: Header=BB649_80 Depth=1
	s_or_b64 exec, exec, s[0:1]
	v_add_u32_e32 v28, 0x400, v31
	v_cmp_gt_u32_e32 vcc, s7, v28
	s_and_saveexec_b64 s[0:1], vcc
	s_cbranch_execz .LBB649_79
; %bb.83:                               ;   in Loop: Header=BB649_80 Depth=1
	s_add_i32 s9, s3, 1
	s_cmp_eq_u32 s9, 1
	s_cselect_b64 vcc, -1, 0
	s_cmp_eq_u32 s9, 2
	v_cndmask_b32_e32 v28, v2, v3, vcc
	s_cselect_b64 vcc, -1, 0
	s_cmp_eq_u32 s9, 3
	v_cndmask_b32_e32 v28, v28, v4, vcc
	;; [unrolled: 3-line block ×6, first 2 shown]
	s_cselect_b64 vcc, -1, 0
	v_cndmask_b32_e32 v28, v28, v9, vcc
	v_lshlrev_b32_e32 v28, 2, v28
	ds_read_b32 v28, v28
	ds_read_b64 v[48:49], v54 offset:8192
	s_waitcnt lgkmcnt(1)
	v_add3_u32 v28, v31, v28, s2
	v_lshlrev_b64 v[50:51], 3, v[28:29]
	v_mov_b32_e32 v28, s43
	v_add_co_u32_e32 v50, vcc, s42, v50
	v_addc_co_u32_e32 v51, vcc, v28, v51, vcc
	s_waitcnt lgkmcnt(0)
	global_store_dwordx2 v[50:51], v[48:49], off
	s_branch .LBB649_79
.LBB649_84:
	s_mov_b64 s[10:11], 0
                                        ; implicit-def: $vgpr2
                                        ; implicit-def: $vgpr10_vgpr11
	s_cbranch_execnz .LBB649_88
	s_branch .LBB649_131
.LBB649_85:
	s_add_i32 s33, s33, -1
	s_cmp_eq_u32 s33, s6
	s_cselect_b64 s[0:1], -1, 0
	s_and_b64 s[2:3], s[16:17], s[0:1]
	s_mov_b64 s[0:1], 0
	s_mov_b64 s[10:11], 0
                                        ; implicit-def: $vgpr2
	s_and_saveexec_b64 s[8:9], s[2:3]
	s_xor_b64 s[2:3], exec, s[8:9]
; %bb.86:
	s_mov_b64 s[10:11], exec
	v_mov_b32_e32 v11, 0
	v_add_u32_e32 v2, v43, v44
; %bb.87:
	s_or_b64 exec, exec, s[2:3]
	s_and_b64 vcc, exec, s[0:1]
	s_cbranch_vccz .LBB649_131
.LBB649_88:
	s_lshl_b32 s12, s6, 13
	v_mbcnt_hi_u32_b32 v5, -1, v1
	s_add_u32 s0, s36, s12
	v_and_b32_e32 v12, 63, v5
	v_add_co_u32_e32 v3, vcc, s0, v12
	s_load_dword s7, s[4:5], 0x58
	s_load_dword s0, s[4:5], 0x64
	v_and_b32_e32 v8, 0x3ff, v0
	s_addc_u32 s1, s37, 0
	v_lshlrev_b32_e32 v1, 3, v8
	v_and_b32_e32 v14, 0x1e00, v1
	v_mov_b32_e32 v1, s1
	v_addc_co_u32_e32 v1, vcc, 0, v1, vcc
	s_add_u32 s1, s4, 0x58
	v_add_co_u32_e32 v26, vcc, v3, v14
	s_addc_u32 s2, s5, 0
	s_waitcnt lgkmcnt(0)
	s_lshr_b32 s3, s0, 16
	v_addc_co_u32_e32 v27, vcc, 0, v1, vcc
	s_cmp_lt_u32 s6, s7
	global_load_ubyte v1, v[26:27], off
	s_cselect_b32 s0, 12, 18
	s_add_u32 s0, s1, s0
	v_mov_b32_e32 v2, 0
	s_addc_u32 s1, s2, 0
	global_load_ushort v7, v2, s[0:1]
	v_mul_u32_u24_e32 v4, 5, v8
	v_lshlrev_b32_e32 v6, 2, v4
	ds_write2_b32 v6, v2, v2 offset0:16 offset1:17
	ds_write2_b32 v6, v2, v2 offset0:18 offset1:19
	ds_write_b32 v6, v2 offset:80
	global_load_ubyte v10, v[26:27], off offset:64
	global_load_ubyte v16, v[26:27], off offset:128
	;; [unrolled: 1-line block ×7, first 2 shown]
	s_lshl_b32 s0, -1, s45
	v_bfe_u32 v3, v0, 10, 10
	v_bfe_u32 v0, v0, 20, 10
	s_not_b32 s16, s0
	v_mad_u32_u24 v0, v0, s3, v3
	s_mov_b32 s13, 0
	s_waitcnt lgkmcnt(0)
	s_barrier
	s_waitcnt lgkmcnt(0)
	; wave barrier
	s_waitcnt vmcnt(8)
	v_xor_b32_e32 v4, 0x80, v1
	v_lshrrev_b32_e32 v1, s44, v4
	v_and_b32_e32 v9, s16, v1
	v_and_b32_e32 v13, 1, v9
	v_lshlrev_b32_e32 v3, 30, v9
	s_waitcnt vmcnt(7)
	v_mad_u64_u32 v[0:1], s[0:1], v0, v7, v[8:9]
	v_add_co_u32_e32 v1, vcc, -1, v13
	v_addc_co_u32_e64 v7, s[0:1], 0, -1, vcc
	v_cmp_ne_u32_e32 vcc, 0, v13
	v_cmp_gt_i64_e64 s[0:1], 0, v[2:3]
	v_not_b32_e32 v13, v3
	v_lshlrev_b32_e32 v3, 29, v9
	v_mul_u32_u24_e32 v11, 17, v9
	v_lshrrev_b32_e32 v26, 6, v0
	v_xor_b32_e32 v0, vcc_hi, v7
	v_xor_b32_e32 v1, vcc_lo, v1
	v_ashrrev_i32_e32 v13, 31, v13
	v_cmp_gt_i64_e32 vcc, 0, v[2:3]
	v_not_b32_e32 v15, v3
	v_lshlrev_b32_e32 v3, 28, v9
	v_add_lshl_u32 v7, v26, v11, 2
	v_and_b32_e32 v0, exec_hi, v0
	v_and_b32_e32 v1, exec_lo, v1
	v_xor_b32_e32 v11, s1, v13
	v_xor_b32_e32 v13, s0, v13
	v_ashrrev_i32_e32 v15, 31, v15
	v_cmp_gt_i64_e64 s[0:1], 0, v[2:3]
	v_not_b32_e32 v17, v3
	v_lshlrev_b32_e32 v3, 27, v9
	v_and_b32_e32 v0, v0, v11
	v_and_b32_e32 v1, v1, v13
	v_xor_b32_e32 v11, vcc_hi, v15
	v_xor_b32_e32 v13, vcc_lo, v15
	v_ashrrev_i32_e32 v15, 31, v17
	v_cmp_gt_i64_e32 vcc, 0, v[2:3]
	v_not_b32_e32 v3, v3
	v_and_b32_e32 v0, v0, v11
	v_and_b32_e32 v1, v1, v13
	v_xor_b32_e32 v11, s1, v15
	v_xor_b32_e32 v13, s0, v15
	v_ashrrev_i32_e32 v3, 31, v3
	v_and_b32_e32 v0, v0, v11
	v_and_b32_e32 v1, v1, v13
	v_xor_b32_e32 v11, vcc_hi, v3
	v_xor_b32_e32 v3, vcc_lo, v3
	v_and_b32_e32 v1, v1, v3
	v_lshlrev_b32_e32 v3, 26, v9
	v_cmp_gt_i64_e32 vcc, 0, v[2:3]
	v_not_b32_e32 v3, v3
	v_ashrrev_i32_e32 v3, 31, v3
	v_and_b32_e32 v0, v0, v11
	v_xor_b32_e32 v11, vcc_hi, v3
	v_xor_b32_e32 v3, vcc_lo, v3
	v_and_b32_e32 v1, v1, v3
	v_lshlrev_b32_e32 v3, 25, v9
	v_cmp_gt_i64_e32 vcc, 0, v[2:3]
	v_not_b32_e32 v3, v3
	v_ashrrev_i32_e32 v3, 31, v3
	v_and_b32_e32 v0, v0, v11
	v_xor_b32_e32 v11, vcc_hi, v3
	v_xor_b32_e32 v3, vcc_lo, v3
	v_and_b32_e32 v0, v0, v11
	v_and_b32_e32 v11, v1, v3
	v_lshlrev_b32_e32 v3, 24, v9
	v_not_b32_e32 v1, v3
	v_cmp_gt_i64_e32 vcc, 0, v[2:3]
	v_ashrrev_i32_e32 v1, 31, v1
	v_xor_b32_e32 v3, vcc_hi, v1
	v_xor_b32_e32 v9, vcc_lo, v1
	v_and_b32_e32 v1, v0, v3
	v_and_b32_e32 v0, v11, v9
	v_mbcnt_lo_u32_b32 v3, v0, 0
	v_mbcnt_hi_u32_b32 v9, v1, v3
	v_cmp_eq_u32_e32 vcc, 0, v9
	v_cmp_ne_u64_e64 s[0:1], 0, v[0:1]
	s_and_b64 s[2:3], s[0:1], vcc
	s_and_saveexec_b64 s[0:1], s[2:3]
	s_cbranch_execz .LBB649_90
; %bb.89:
	v_bcnt_u32_b32 v0, v0, 0
	v_bcnt_u32_b32 v0, v1, v0
	ds_write_b32 v7, v0 offset:64
.LBB649_90:
	s_or_b64 exec, exec, s[0:1]
	s_waitcnt vmcnt(6)
	v_xor_b32_e32 v10, 0xffffff80, v10
	v_lshrrev_b32_sdwa v0, s44, v10 dst_sel:DWORD dst_unused:UNUSED_PAD src0_sel:DWORD src1_sel:BYTE_0
	v_and_b32_e32 v0, s16, v0
	v_mul_u32_u24_e32 v1, 17, v0
	v_add_lshl_u32 v11, v26, v1, 2
	v_and_b32_e32 v1, 1, v0
	v_add_co_u32_e32 v3, vcc, -1, v1
	v_addc_co_u32_e64 v15, s[0:1], 0, -1, vcc
	v_cmp_ne_u32_e32 vcc, 0, v1
	v_xor_b32_e32 v3, vcc_lo, v3
	v_xor_b32_e32 v1, vcc_hi, v15
	v_and_b32_e32 v15, exec_lo, v3
	v_lshlrev_b32_e32 v3, 30, v0
	v_cmp_gt_i64_e32 vcc, 0, v[2:3]
	v_not_b32_e32 v3, v3
	v_ashrrev_i32_e32 v3, 31, v3
	v_xor_b32_e32 v17, vcc_hi, v3
	v_xor_b32_e32 v3, vcc_lo, v3
	v_and_b32_e32 v15, v15, v3
	v_lshlrev_b32_e32 v3, 29, v0
	v_cmp_gt_i64_e32 vcc, 0, v[2:3]
	v_not_b32_e32 v3, v3
	v_and_b32_e32 v1, exec_hi, v1
	v_ashrrev_i32_e32 v3, 31, v3
	v_and_b32_e32 v1, v1, v17
	v_xor_b32_e32 v17, vcc_hi, v3
	v_xor_b32_e32 v3, vcc_lo, v3
	v_and_b32_e32 v15, v15, v3
	v_lshlrev_b32_e32 v3, 28, v0
	v_cmp_gt_i64_e32 vcc, 0, v[2:3]
	v_not_b32_e32 v3, v3
	v_ashrrev_i32_e32 v3, 31, v3
	v_and_b32_e32 v1, v1, v17
	v_xor_b32_e32 v17, vcc_hi, v3
	v_xor_b32_e32 v3, vcc_lo, v3
	v_and_b32_e32 v15, v15, v3
	v_lshlrev_b32_e32 v3, 27, v0
	v_cmp_gt_i64_e32 vcc, 0, v[2:3]
	v_not_b32_e32 v3, v3
	;; [unrolled: 8-line block ×4, first 2 shown]
	v_ashrrev_i32_e32 v3, 31, v3
	v_and_b32_e32 v1, v1, v17
	v_xor_b32_e32 v17, vcc_hi, v3
	v_xor_b32_e32 v3, vcc_lo, v3
	v_and_b32_e32 v15, v15, v3
	v_lshlrev_b32_e32 v3, 24, v0
	v_not_b32_e32 v0, v3
	v_cmp_gt_i64_e32 vcc, 0, v[2:3]
	v_ashrrev_i32_e32 v0, 31, v0
	v_xor_b32_e32 v2, vcc_hi, v0
	v_xor_b32_e32 v0, vcc_lo, v0
	; wave barrier
	ds_read_b32 v13, v11 offset:64
	v_and_b32_e32 v1, v1, v17
	v_and_b32_e32 v0, v15, v0
	;; [unrolled: 1-line block ×3, first 2 shown]
	v_mbcnt_lo_u32_b32 v2, v0, 0
	v_mbcnt_hi_u32_b32 v15, v1, v2
	v_cmp_eq_u32_e32 vcc, 0, v15
	v_cmp_ne_u64_e64 s[0:1], 0, v[0:1]
	s_and_b64 s[2:3], s[0:1], vcc
	; wave barrier
	s_and_saveexec_b64 s[0:1], s[2:3]
	s_cbranch_execz .LBB649_92
; %bb.91:
	v_bcnt_u32_b32 v0, v0, 0
	v_bcnt_u32_b32 v0, v1, v0
	s_waitcnt lgkmcnt(0)
	v_add_u32_e32 v0, v13, v0
	ds_write_b32 v11, v0 offset:64
.LBB649_92:
	s_or_b64 exec, exec, s[0:1]
	s_waitcnt vmcnt(5)
	v_xor_b32_e32 v22, 0xffffff80, v16
	v_lshrrev_b32_sdwa v0, s44, v22 dst_sel:DWORD dst_unused:UNUSED_PAD src0_sel:DWORD src1_sel:BYTE_0
	v_and_b32_e32 v2, s16, v0
	v_and_b32_e32 v1, 1, v2
	v_add_co_u32_e32 v3, vcc, -1, v1
	v_addc_co_u32_e64 v17, s[0:1], 0, -1, vcc
	v_cmp_ne_u32_e32 vcc, 0, v1
	v_mul_u32_u24_e32 v0, 17, v2
	v_xor_b32_e32 v1, vcc_hi, v17
	v_add_lshl_u32 v25, v26, v0, 2
	v_mov_b32_e32 v0, 0
	v_and_b32_e32 v17, exec_hi, v1
	v_lshlrev_b32_e32 v1, 30, v2
	v_xor_b32_e32 v3, vcc_lo, v3
	v_cmp_gt_i64_e32 vcc, 0, v[0:1]
	v_not_b32_e32 v1, v1
	v_ashrrev_i32_e32 v1, 31, v1
	v_and_b32_e32 v3, exec_lo, v3
	v_xor_b32_e32 v19, vcc_hi, v1
	v_xor_b32_e32 v1, vcc_lo, v1
	v_and_b32_e32 v3, v3, v1
	v_lshlrev_b32_e32 v1, 29, v2
	v_cmp_gt_i64_e32 vcc, 0, v[0:1]
	v_not_b32_e32 v1, v1
	v_ashrrev_i32_e32 v1, 31, v1
	v_and_b32_e32 v17, v17, v19
	v_xor_b32_e32 v19, vcc_hi, v1
	v_xor_b32_e32 v1, vcc_lo, v1
	v_and_b32_e32 v3, v3, v1
	v_lshlrev_b32_e32 v1, 28, v2
	v_cmp_gt_i64_e32 vcc, 0, v[0:1]
	v_not_b32_e32 v1, v1
	v_ashrrev_i32_e32 v1, 31, v1
	v_and_b32_e32 v17, v17, v19
	;; [unrolled: 8-line block ×5, first 2 shown]
	v_xor_b32_e32 v19, vcc_hi, v1
	v_xor_b32_e32 v1, vcc_lo, v1
	v_and_b32_e32 v17, v17, v19
	v_and_b32_e32 v19, v3, v1
	v_lshlrev_b32_e32 v1, 24, v2
	v_cmp_gt_i64_e32 vcc, 0, v[0:1]
	v_not_b32_e32 v1, v1
	v_ashrrev_i32_e32 v1, 31, v1
	v_xor_b32_e32 v2, vcc_hi, v1
	v_xor_b32_e32 v1, vcc_lo, v1
	; wave barrier
	ds_read_b32 v16, v25 offset:64
	v_and_b32_e32 v3, v17, v2
	v_and_b32_e32 v2, v19, v1
	v_mbcnt_lo_u32_b32 v1, v2, 0
	v_mbcnt_hi_u32_b32 v17, v3, v1
	v_cmp_eq_u32_e32 vcc, 0, v17
	v_cmp_ne_u64_e64 s[0:1], 0, v[2:3]
	s_and_b64 s[2:3], s[0:1], vcc
	; wave barrier
	s_and_saveexec_b64 s[0:1], s[2:3]
	s_cbranch_execz .LBB649_94
; %bb.93:
	v_bcnt_u32_b32 v1, v2, 0
	v_bcnt_u32_b32 v1, v3, v1
	s_waitcnt lgkmcnt(0)
	v_add_u32_e32 v1, v16, v1
	ds_write_b32 v25, v1 offset:64
.LBB649_94:
	s_or_b64 exec, exec, s[0:1]
	s_waitcnt vmcnt(4)
	v_xor_b32_e32 v28, 0xffffff80, v18
	v_lshrrev_b32_sdwa v1, s44, v28 dst_sel:DWORD dst_unused:UNUSED_PAD src0_sel:DWORD src1_sel:BYTE_0
	v_and_b32_e32 v2, s16, v1
	v_mul_u32_u24_e32 v1, 17, v2
	v_add_lshl_u32 v30, v26, v1, 2
	v_and_b32_e32 v1, 1, v2
	v_add_co_u32_e32 v3, vcc, -1, v1
	v_addc_co_u32_e64 v19, s[0:1], 0, -1, vcc
	v_cmp_ne_u32_e32 vcc, 0, v1
	v_xor_b32_e32 v1, vcc_hi, v19
	v_and_b32_e32 v19, exec_hi, v1
	v_lshlrev_b32_e32 v1, 30, v2
	v_xor_b32_e32 v3, vcc_lo, v3
	v_cmp_gt_i64_e32 vcc, 0, v[0:1]
	v_not_b32_e32 v1, v1
	v_ashrrev_i32_e32 v1, 31, v1
	v_and_b32_e32 v3, exec_lo, v3
	v_xor_b32_e32 v21, vcc_hi, v1
	v_xor_b32_e32 v1, vcc_lo, v1
	v_and_b32_e32 v3, v3, v1
	v_lshlrev_b32_e32 v1, 29, v2
	v_cmp_gt_i64_e32 vcc, 0, v[0:1]
	v_not_b32_e32 v1, v1
	v_ashrrev_i32_e32 v1, 31, v1
	v_and_b32_e32 v19, v19, v21
	v_xor_b32_e32 v21, vcc_hi, v1
	v_xor_b32_e32 v1, vcc_lo, v1
	v_and_b32_e32 v3, v3, v1
	v_lshlrev_b32_e32 v1, 28, v2
	v_cmp_gt_i64_e32 vcc, 0, v[0:1]
	v_not_b32_e32 v1, v1
	v_ashrrev_i32_e32 v1, 31, v1
	v_and_b32_e32 v19, v19, v21
	;; [unrolled: 8-line block ×5, first 2 shown]
	v_xor_b32_e32 v21, vcc_hi, v1
	v_xor_b32_e32 v1, vcc_lo, v1
	v_and_b32_e32 v3, v3, v1
	v_lshlrev_b32_e32 v1, 24, v2
	v_cmp_gt_i64_e32 vcc, 0, v[0:1]
	v_not_b32_e32 v0, v1
	v_ashrrev_i32_e32 v0, 31, v0
	v_xor_b32_e32 v1, vcc_hi, v0
	v_xor_b32_e32 v0, vcc_lo, v0
	; wave barrier
	ds_read_b32 v18, v30 offset:64
	v_and_b32_e32 v19, v19, v21
	v_and_b32_e32 v0, v3, v0
	;; [unrolled: 1-line block ×3, first 2 shown]
	v_mbcnt_lo_u32_b32 v2, v0, 0
	v_mbcnt_hi_u32_b32 v19, v1, v2
	v_cmp_eq_u32_e32 vcc, 0, v19
	v_cmp_ne_u64_e64 s[0:1], 0, v[0:1]
	s_and_b64 s[2:3], s[0:1], vcc
	; wave barrier
	s_and_saveexec_b64 s[0:1], s[2:3]
	s_cbranch_execz .LBB649_96
; %bb.95:
	v_bcnt_u32_b32 v0, v0, 0
	v_bcnt_u32_b32 v0, v1, v0
	s_waitcnt lgkmcnt(0)
	v_add_u32_e32 v0, v18, v0
	ds_write_b32 v30, v0 offset:64
.LBB649_96:
	s_or_b64 exec, exec, s[0:1]
	s_waitcnt vmcnt(3)
	v_xor_b32_e32 v32, 0xffffff80, v20
	v_lshrrev_b32_sdwa v0, s44, v32 dst_sel:DWORD dst_unused:UNUSED_PAD src0_sel:DWORD src1_sel:BYTE_0
	v_and_b32_e32 v2, s16, v0
	v_and_b32_e32 v1, 1, v2
	v_add_co_u32_e32 v3, vcc, -1, v1
	v_addc_co_u32_e64 v21, s[0:1], 0, -1, vcc
	v_cmp_ne_u32_e32 vcc, 0, v1
	v_mul_u32_u24_e32 v0, 17, v2
	v_xor_b32_e32 v1, vcc_hi, v21
	v_add_lshl_u32 v33, v26, v0, 2
	v_mov_b32_e32 v0, 0
	v_and_b32_e32 v21, exec_hi, v1
	v_lshlrev_b32_e32 v1, 30, v2
	v_xor_b32_e32 v3, vcc_lo, v3
	v_cmp_gt_i64_e32 vcc, 0, v[0:1]
	v_not_b32_e32 v1, v1
	v_ashrrev_i32_e32 v1, 31, v1
	v_and_b32_e32 v3, exec_lo, v3
	v_xor_b32_e32 v27, vcc_hi, v1
	v_xor_b32_e32 v1, vcc_lo, v1
	v_and_b32_e32 v3, v3, v1
	v_lshlrev_b32_e32 v1, 29, v2
	v_cmp_gt_i64_e32 vcc, 0, v[0:1]
	v_not_b32_e32 v1, v1
	v_ashrrev_i32_e32 v1, 31, v1
	v_and_b32_e32 v21, v21, v27
	v_xor_b32_e32 v27, vcc_hi, v1
	v_xor_b32_e32 v1, vcc_lo, v1
	v_and_b32_e32 v3, v3, v1
	v_lshlrev_b32_e32 v1, 28, v2
	v_cmp_gt_i64_e32 vcc, 0, v[0:1]
	v_not_b32_e32 v1, v1
	v_ashrrev_i32_e32 v1, 31, v1
	v_and_b32_e32 v21, v21, v27
	;; [unrolled: 8-line block ×5, first 2 shown]
	v_xor_b32_e32 v27, vcc_hi, v1
	v_xor_b32_e32 v1, vcc_lo, v1
	v_and_b32_e32 v21, v21, v27
	v_and_b32_e32 v27, v3, v1
	v_lshlrev_b32_e32 v1, 24, v2
	v_cmp_gt_i64_e32 vcc, 0, v[0:1]
	v_not_b32_e32 v1, v1
	v_ashrrev_i32_e32 v1, 31, v1
	v_xor_b32_e32 v2, vcc_hi, v1
	v_xor_b32_e32 v1, vcc_lo, v1
	; wave barrier
	ds_read_b32 v20, v33 offset:64
	v_and_b32_e32 v3, v21, v2
	v_and_b32_e32 v2, v27, v1
	v_mbcnt_lo_u32_b32 v1, v2, 0
	v_mbcnt_hi_u32_b32 v21, v3, v1
	v_cmp_eq_u32_e32 vcc, 0, v21
	v_cmp_ne_u64_e64 s[0:1], 0, v[2:3]
	s_and_b64 s[2:3], s[0:1], vcc
	; wave barrier
	s_and_saveexec_b64 s[0:1], s[2:3]
	s_cbranch_execz .LBB649_98
; %bb.97:
	v_bcnt_u32_b32 v1, v2, 0
	v_bcnt_u32_b32 v1, v3, v1
	s_waitcnt lgkmcnt(0)
	v_add_u32_e32 v1, v20, v1
	ds_write_b32 v33, v1 offset:64
.LBB649_98:
	s_or_b64 exec, exec, s[0:1]
	s_waitcnt vmcnt(2)
	v_xor_b32_e32 v34, 0xffffff80, v23
	v_lshrrev_b32_sdwa v1, s44, v34 dst_sel:DWORD dst_unused:UNUSED_PAD src0_sel:DWORD src1_sel:BYTE_0
	v_and_b32_e32 v2, s16, v1
	v_mul_u32_u24_e32 v1, 17, v2
	v_add_lshl_u32 v35, v26, v1, 2
	v_and_b32_e32 v1, 1, v2
	v_add_co_u32_e32 v3, vcc, -1, v1
	v_addc_co_u32_e64 v27, s[0:1], 0, -1, vcc
	v_cmp_ne_u32_e32 vcc, 0, v1
	v_xor_b32_e32 v1, vcc_hi, v27
	v_and_b32_e32 v27, exec_hi, v1
	v_lshlrev_b32_e32 v1, 30, v2
	v_xor_b32_e32 v3, vcc_lo, v3
	v_cmp_gt_i64_e32 vcc, 0, v[0:1]
	v_not_b32_e32 v1, v1
	v_ashrrev_i32_e32 v1, 31, v1
	v_and_b32_e32 v3, exec_lo, v3
	v_xor_b32_e32 v31, vcc_hi, v1
	v_xor_b32_e32 v1, vcc_lo, v1
	v_and_b32_e32 v3, v3, v1
	v_lshlrev_b32_e32 v1, 29, v2
	v_cmp_gt_i64_e32 vcc, 0, v[0:1]
	v_not_b32_e32 v1, v1
	v_ashrrev_i32_e32 v1, 31, v1
	v_and_b32_e32 v27, v27, v31
	v_xor_b32_e32 v31, vcc_hi, v1
	v_xor_b32_e32 v1, vcc_lo, v1
	v_and_b32_e32 v3, v3, v1
	v_lshlrev_b32_e32 v1, 28, v2
	v_cmp_gt_i64_e32 vcc, 0, v[0:1]
	v_not_b32_e32 v1, v1
	v_ashrrev_i32_e32 v1, 31, v1
	v_and_b32_e32 v27, v27, v31
	;; [unrolled: 8-line block ×5, first 2 shown]
	v_xor_b32_e32 v31, vcc_hi, v1
	v_xor_b32_e32 v1, vcc_lo, v1
	v_and_b32_e32 v3, v3, v1
	v_lshlrev_b32_e32 v1, 24, v2
	v_cmp_gt_i64_e32 vcc, 0, v[0:1]
	v_not_b32_e32 v0, v1
	v_ashrrev_i32_e32 v0, 31, v0
	v_xor_b32_e32 v1, vcc_hi, v0
	v_xor_b32_e32 v0, vcc_lo, v0
	; wave barrier
	ds_read_b32 v23, v35 offset:64
	v_and_b32_e32 v27, v27, v31
	v_and_b32_e32 v0, v3, v0
	;; [unrolled: 1-line block ×3, first 2 shown]
	v_mbcnt_lo_u32_b32 v2, v0, 0
	v_mbcnt_hi_u32_b32 v27, v1, v2
	v_cmp_eq_u32_e32 vcc, 0, v27
	v_cmp_ne_u64_e64 s[0:1], 0, v[0:1]
	s_and_b64 s[2:3], s[0:1], vcc
	; wave barrier
	s_and_saveexec_b64 s[0:1], s[2:3]
	s_cbranch_execz .LBB649_100
; %bb.99:
	v_bcnt_u32_b32 v0, v0, 0
	v_bcnt_u32_b32 v0, v1, v0
	s_waitcnt lgkmcnt(0)
	v_add_u32_e32 v0, v23, v0
	ds_write_b32 v35, v0 offset:64
.LBB649_100:
	s_or_b64 exec, exec, s[0:1]
	s_waitcnt vmcnt(1)
	v_xor_b32_e32 v36, 0xffffff80, v29
	v_lshrrev_b32_sdwa v0, s44, v36 dst_sel:DWORD dst_unused:UNUSED_PAD src0_sel:DWORD src1_sel:BYTE_0
	v_and_b32_e32 v2, s16, v0
	v_and_b32_e32 v1, 1, v2
	v_add_co_u32_e32 v3, vcc, -1, v1
	v_addc_co_u32_e64 v31, s[0:1], 0, -1, vcc
	v_cmp_ne_u32_e32 vcc, 0, v1
	v_mul_u32_u24_e32 v0, 17, v2
	v_xor_b32_e32 v1, vcc_hi, v31
	v_add_lshl_u32 v41, v26, v0, 2
	v_mov_b32_e32 v0, 0
	v_and_b32_e32 v31, exec_hi, v1
	v_lshlrev_b32_e32 v1, 30, v2
	v_xor_b32_e32 v3, vcc_lo, v3
	v_cmp_gt_i64_e32 vcc, 0, v[0:1]
	v_not_b32_e32 v1, v1
	v_ashrrev_i32_e32 v1, 31, v1
	v_and_b32_e32 v3, exec_lo, v3
	v_xor_b32_e32 v37, vcc_hi, v1
	v_xor_b32_e32 v1, vcc_lo, v1
	v_and_b32_e32 v3, v3, v1
	v_lshlrev_b32_e32 v1, 29, v2
	v_cmp_gt_i64_e32 vcc, 0, v[0:1]
	v_not_b32_e32 v1, v1
	v_ashrrev_i32_e32 v1, 31, v1
	v_and_b32_e32 v31, v31, v37
	v_xor_b32_e32 v37, vcc_hi, v1
	v_xor_b32_e32 v1, vcc_lo, v1
	v_and_b32_e32 v3, v3, v1
	v_lshlrev_b32_e32 v1, 28, v2
	v_cmp_gt_i64_e32 vcc, 0, v[0:1]
	v_not_b32_e32 v1, v1
	v_ashrrev_i32_e32 v1, 31, v1
	v_and_b32_e32 v31, v31, v37
	;; [unrolled: 8-line block ×5, first 2 shown]
	v_xor_b32_e32 v37, vcc_hi, v1
	v_xor_b32_e32 v1, vcc_lo, v1
	v_and_b32_e32 v31, v31, v37
	v_and_b32_e32 v37, v3, v1
	v_lshlrev_b32_e32 v1, 24, v2
	v_cmp_gt_i64_e32 vcc, 0, v[0:1]
	v_not_b32_e32 v1, v1
	v_ashrrev_i32_e32 v1, 31, v1
	v_xor_b32_e32 v2, vcc_hi, v1
	v_xor_b32_e32 v1, vcc_lo, v1
	; wave barrier
	ds_read_b32 v29, v41 offset:64
	v_and_b32_e32 v3, v31, v2
	v_and_b32_e32 v2, v37, v1
	v_mbcnt_lo_u32_b32 v1, v2, 0
	v_mbcnt_hi_u32_b32 v31, v3, v1
	v_cmp_eq_u32_e32 vcc, 0, v31
	v_cmp_ne_u64_e64 s[0:1], 0, v[2:3]
	s_and_b64 s[2:3], s[0:1], vcc
	; wave barrier
	s_and_saveexec_b64 s[0:1], s[2:3]
	s_cbranch_execz .LBB649_102
; %bb.101:
	v_bcnt_u32_b32 v1, v2, 0
	v_bcnt_u32_b32 v1, v3, v1
	s_waitcnt lgkmcnt(0)
	v_add_u32_e32 v1, v29, v1
	ds_write_b32 v41, v1 offset:64
.LBB649_102:
	s_or_b64 exec, exec, s[0:1]
	s_waitcnt vmcnt(0)
	v_xor_b32_e32 v43, 0xffffff80, v24
	v_lshrrev_b32_sdwa v1, s44, v43 dst_sel:DWORD dst_unused:UNUSED_PAD src0_sel:DWORD src1_sel:BYTE_0
	v_and_b32_e32 v2, s16, v1
	v_mul_u32_u24_e32 v1, 17, v2
	v_add_lshl_u32 v42, v26, v1, 2
	v_and_b32_e32 v1, 1, v2
	v_add_co_u32_e32 v3, vcc, -1, v1
	v_addc_co_u32_e64 v26, s[0:1], 0, -1, vcc
	v_cmp_ne_u32_e32 vcc, 0, v1
	v_xor_b32_e32 v1, vcc_hi, v26
	v_and_b32_e32 v26, exec_hi, v1
	v_lshlrev_b32_e32 v1, 30, v2
	v_xor_b32_e32 v3, vcc_lo, v3
	v_cmp_gt_i64_e32 vcc, 0, v[0:1]
	v_not_b32_e32 v1, v1
	v_ashrrev_i32_e32 v1, 31, v1
	v_and_b32_e32 v3, exec_lo, v3
	v_xor_b32_e32 v38, vcc_hi, v1
	v_xor_b32_e32 v1, vcc_lo, v1
	v_and_b32_e32 v3, v3, v1
	v_lshlrev_b32_e32 v1, 29, v2
	v_cmp_gt_i64_e32 vcc, 0, v[0:1]
	v_not_b32_e32 v1, v1
	v_ashrrev_i32_e32 v1, 31, v1
	v_and_b32_e32 v26, v26, v38
	v_xor_b32_e32 v38, vcc_hi, v1
	v_xor_b32_e32 v1, vcc_lo, v1
	v_and_b32_e32 v3, v3, v1
	v_lshlrev_b32_e32 v1, 28, v2
	v_cmp_gt_i64_e32 vcc, 0, v[0:1]
	v_not_b32_e32 v1, v1
	v_ashrrev_i32_e32 v1, 31, v1
	v_and_b32_e32 v26, v26, v38
	;; [unrolled: 8-line block ×5, first 2 shown]
	v_xor_b32_e32 v38, vcc_hi, v1
	v_xor_b32_e32 v1, vcc_lo, v1
	v_and_b32_e32 v3, v3, v1
	v_lshlrev_b32_e32 v1, 24, v2
	v_cmp_gt_i64_e32 vcc, 0, v[0:1]
	v_not_b32_e32 v0, v1
	v_ashrrev_i32_e32 v0, 31, v0
	v_xor_b32_e32 v1, vcc_hi, v0
	v_xor_b32_e32 v0, vcc_lo, v0
	; wave barrier
	ds_read_b32 v24, v42 offset:64
	v_and_b32_e32 v26, v26, v38
	v_and_b32_e32 v0, v3, v0
	;; [unrolled: 1-line block ×3, first 2 shown]
	v_mbcnt_lo_u32_b32 v2, v0, 0
	v_mbcnt_hi_u32_b32 v26, v1, v2
	v_cmp_eq_u32_e32 vcc, 0, v26
	v_cmp_ne_u64_e64 s[0:1], 0, v[0:1]
	v_add_u32_e32 v37, 64, v6
	s_and_b64 s[2:3], s[0:1], vcc
	; wave barrier
	s_and_saveexec_b64 s[0:1], s[2:3]
	s_cbranch_execz .LBB649_104
; %bb.103:
	v_bcnt_u32_b32 v0, v0, 0
	v_bcnt_u32_b32 v0, v1, v0
	s_waitcnt lgkmcnt(0)
	v_add_u32_e32 v0, v24, v0
	ds_write_b32 v42, v0 offset:64
.LBB649_104:
	s_or_b64 exec, exec, s[0:1]
	; wave barrier
	s_waitcnt lgkmcnt(0)
	s_barrier
	ds_read2_b32 v[2:3], v6 offset0:16 offset1:17
	ds_read2_b32 v[0:1], v37 offset0:2 offset1:3
	ds_read_b32 v38, v37 offset:16
	v_cmp_lt_u32_e64 s[8:9], 31, v5
	s_waitcnt lgkmcnt(1)
	v_add3_u32 v39, v3, v2, v0
	s_waitcnt lgkmcnt(0)
	v_add3_u32 v38, v39, v1, v38
	v_and_b32_e32 v39, 15, v5
	v_cmp_eq_u32_e32 vcc, 0, v39
	v_mov_b32_dpp v40, v38 row_shr:1 row_mask:0xf bank_mask:0xf
	v_cndmask_b32_e64 v40, v40, 0, vcc
	v_add_u32_e32 v38, v40, v38
	v_cmp_lt_u32_e64 s[0:1], 1, v39
	v_cmp_lt_u32_e64 s[2:3], 3, v39
	v_mov_b32_dpp v40, v38 row_shr:2 row_mask:0xf bank_mask:0xf
	v_cndmask_b32_e64 v40, 0, v40, s[0:1]
	v_add_u32_e32 v38, v38, v40
	v_cmp_lt_u32_e64 s[4:5], 7, v39
	s_nop 0
	v_mov_b32_dpp v40, v38 row_shr:4 row_mask:0xf bank_mask:0xf
	v_cndmask_b32_e64 v40, 0, v40, s[2:3]
	v_add_u32_e32 v38, v38, v40
	s_nop 1
	v_mov_b32_dpp v40, v38 row_shr:8 row_mask:0xf bank_mask:0xf
	v_cndmask_b32_e64 v39, 0, v40, s[4:5]
	v_add_u32_e32 v38, v38, v39
	v_bfe_i32 v40, v5, 4, 1
	s_nop 0
	v_mov_b32_dpp v39, v38 row_bcast:15 row_mask:0xf bank_mask:0xf
	v_and_b32_e32 v39, v40, v39
	v_add_u32_e32 v38, v38, v39
	v_and_b32_e32 v40, 63, v8
	s_nop 0
	v_mov_b32_dpp v39, v38 row_bcast:31 row_mask:0xf bank_mask:0xf
	v_cndmask_b32_e64 v39, 0, v39, s[8:9]
	v_add_u32_e32 v38, v38, v39
	v_lshrrev_b32_e32 v39, 6, v8
	v_cmp_eq_u32_e64 s[8:9], 63, v40
	s_and_saveexec_b64 s[14:15], s[8:9]
	s_cbranch_execz .LBB649_106
; %bb.105:
	v_lshlrev_b32_e32 v40, 2, v39
	ds_write_b32 v40, v38
.LBB649_106:
	s_or_b64 exec, exec, s[14:15]
	v_cmp_gt_u32_e64 s[8:9], 16, v8
	v_lshlrev_b32_e32 v44, 2, v8
	s_waitcnt lgkmcnt(0)
	s_barrier
	s_and_saveexec_b64 s[14:15], s[8:9]
	s_cbranch_execz .LBB649_108
; %bb.107:
	ds_read_b32 v40, v44
	s_waitcnt lgkmcnt(0)
	s_nop 0
	v_mov_b32_dpp v45, v40 row_shr:1 row_mask:0xf bank_mask:0xf
	v_cndmask_b32_e64 v45, v45, 0, vcc
	v_add_u32_e32 v40, v45, v40
	s_nop 1
	v_mov_b32_dpp v45, v40 row_shr:2 row_mask:0xf bank_mask:0xf
	v_cndmask_b32_e64 v45, 0, v45, s[0:1]
	v_add_u32_e32 v40, v40, v45
	s_nop 1
	v_mov_b32_dpp v45, v40 row_shr:4 row_mask:0xf bank_mask:0xf
	v_cndmask_b32_e64 v45, 0, v45, s[2:3]
	;; [unrolled: 4-line block ×3, first 2 shown]
	v_add_u32_e32 v40, v40, v45
	ds_write_b32 v44, v40
.LBB649_108:
	s_or_b64 exec, exec, s[14:15]
	v_cmp_lt_u32_e32 vcc, 63, v8
	v_mov_b32_e32 v40, 0
	s_waitcnt lgkmcnt(0)
	s_barrier
	s_and_saveexec_b64 s[0:1], vcc
	s_cbranch_execz .LBB649_110
; %bb.109:
	v_lshl_add_u32 v39, v39, 2, -4
	ds_read_b32 v40, v39
.LBB649_110:
	s_or_b64 exec, exec, s[0:1]
	v_add_u32_e32 v39, -1, v5
	v_and_b32_e32 v45, 64, v5
	v_cmp_lt_i32_e32 vcc, v39, v45
	v_cndmask_b32_e32 v39, v39, v5, vcc
	s_waitcnt lgkmcnt(0)
	v_add_u32_e32 v38, v40, v38
	v_lshlrev_b32_e32 v39, 2, v39
	ds_bpermute_b32 v38, v39, v38
	v_cmp_eq_u32_e32 vcc, 0, v5
	s_movk_i32 s2, 0xff
	s_movk_i32 s3, 0x100
	v_cmp_lt_u32_e64 s[0:1], s2, v8
	s_waitcnt lgkmcnt(0)
	v_cndmask_b32_e32 v5, v38, v40, vcc
	v_cmp_ne_u32_e32 vcc, 0, v8
	v_cndmask_b32_e32 v5, 0, v5, vcc
	v_add_u32_e32 v2, v5, v2
	v_add_u32_e32 v3, v2, v3
	;; [unrolled: 1-line block ×4, first 2 shown]
	ds_write2_b32 v6, v5, v2 offset0:16 offset1:17
	ds_write2_b32 v37, v3, v0 offset0:2 offset1:3
	ds_write_b32 v37, v1 offset:16
	s_waitcnt lgkmcnt(0)
	s_barrier
	ds_read_b32 v0, v7 offset:64
	ds_read_b32 v37, v11 offset:64
	;; [unrolled: 1-line block ×8, first 2 shown]
	v_cmp_gt_u32_e32 vcc, s3, v8
                                        ; implicit-def: $vgpr30
                                        ; implicit-def: $vgpr33
	s_and_saveexec_b64 s[4:5], vcc
	s_cbranch_execz .LBB649_114
; %bb.111:
	v_mul_u32_u24_e32 v1, 17, v8
	v_lshlrev_b32_e32 v2, 2, v1
	ds_read_b32 v30, v2 offset:64
	v_cmp_ne_u32_e64 s[2:3], s2, v8
	v_mov_b32_e32 v1, 0x2000
	s_and_saveexec_b64 s[8:9], s[2:3]
	s_cbranch_execz .LBB649_113
; %bb.112:
	ds_read_b32 v1, v2 offset:132
.LBB649_113:
	s_or_b64 exec, exec, s[8:9]
	s_waitcnt lgkmcnt(0)
	v_sub_u32_e32 v33, v1, v30
.LBB649_114:
	s_or_b64 exec, exec, s[4:5]
	s_waitcnt lgkmcnt(7)
	v_add_u32_e32 v35, v0, v9
	s_waitcnt lgkmcnt(6)
	v_add3_u32 v0, v15, v13, v37
	s_waitcnt lgkmcnt(5)
	v_add3_u32 v1, v17, v16, v25
	;; [unrolled: 2-line block ×7, first 2 shown]
	s_barrier
	ds_write_b8 v35, v4 offset:1024
	ds_write_b8 v0, v10 offset:1024
	;; [unrolled: 1-line block ×8, first 2 shown]
                                        ; implicit-def: $vgpr10_vgpr11
	s_and_saveexec_b64 s[2:3], s[0:1]
	s_xor_b64 s[0:1], exec, s[2:3]
; %bb.115:
	v_mov_b32_e32 v9, 0
	v_pk_mov_b32 v[10:11], v[8:9], v[8:9] op_sel:[0,1]
                                        ; implicit-def: $vgpr44
; %bb.116:
	s_andn2_saveexec_b64 s[2:3], s[0:1]
	s_cbranch_execz .LBB649_126
; %bb.117:
	v_lshl_or_b32 v0, s6, 8, v8
	v_mov_b32_e32 v1, 0
	v_lshlrev_b64 v[2:3], 2, v[0:1]
	v_mov_b32_e32 v6, s35
	v_add_co_u32_e64 v2, s[0:1], s34, v2
	v_addc_co_u32_e64 v3, s[0:1], v6, v3, s[0:1]
	v_or_b32_e32 v0, 2.0, v33
	s_mov_b64 s[4:5], 0
	s_brev_b32 s17, 1
	s_mov_b32 s18, s6
	v_mov_b32_e32 v7, 0
	global_store_dword v[2:3], v0, off
                                        ; implicit-def: $sgpr0_sgpr1
	s_branch .LBB649_120
.LBB649_118:                            ;   in Loop: Header=BB649_120 Depth=1
	s_or_b64 exec, exec, s[14:15]
.LBB649_119:                            ;   in Loop: Header=BB649_120 Depth=1
	s_or_b64 exec, exec, s[8:9]
	v_and_b32_e32 v4, 0x3fffffff, v9
	v_add_u32_e32 v7, v4, v7
	v_cmp_eq_u32_e64 s[0:1], s17, v0
	s_and_b64 s[8:9], exec, s[0:1]
	s_or_b64 s[4:5], s[8:9], s[4:5]
	s_andn2_b64 exec, exec, s[4:5]
	s_cbranch_execz .LBB649_125
.LBB649_120:                            ; =>This Loop Header: Depth=1
                                        ;     Child Loop BB649_123 Depth 2
	s_or_b64 s[0:1], s[0:1], exec
	s_cmp_eq_u32 s18, 0
	s_cbranch_scc1 .LBB649_124
; %bb.121:                              ;   in Loop: Header=BB649_120 Depth=1
	s_add_i32 s18, s18, -1
	v_lshl_or_b32 v0, s18, 8, v8
	v_lshlrev_b64 v[4:5], 2, v[0:1]
	v_add_co_u32_e64 v4, s[0:1], s34, v4
	v_addc_co_u32_e64 v5, s[0:1], v6, v5, s[0:1]
	global_load_dword v9, v[4:5], off glc
	s_waitcnt vmcnt(0)
	v_and_b32_e32 v0, -2.0, v9
	v_cmp_eq_u32_e64 s[0:1], 0, v0
	s_and_saveexec_b64 s[8:9], s[0:1]
	s_cbranch_execz .LBB649_119
; %bb.122:                              ;   in Loop: Header=BB649_120 Depth=1
	s_mov_b64 s[14:15], 0
.LBB649_123:                            ;   Parent Loop BB649_120 Depth=1
                                        ; =>  This Inner Loop Header: Depth=2
	global_load_dword v9, v[4:5], off glc
	s_waitcnt vmcnt(0)
	v_and_b32_e32 v0, -2.0, v9
	v_cmp_ne_u32_e64 s[0:1], 0, v0
	s_or_b64 s[14:15], s[0:1], s[14:15]
	s_andn2_b64 exec, exec, s[14:15]
	s_cbranch_execnz .LBB649_123
	s_branch .LBB649_118
.LBB649_124:                            ;   in Loop: Header=BB649_120 Depth=1
                                        ; implicit-def: $sgpr18
	s_and_b64 s[8:9], exec, s[0:1]
	s_or_b64 s[4:5], s[8:9], s[4:5]
	s_andn2_b64 exec, exec, s[4:5]
	s_cbranch_execnz .LBB649_120
.LBB649_125:
	s_or_b64 exec, exec, s[4:5]
	v_add_u32_e32 v0, v7, v33
	v_or_b32_e32 v0, 0x80000000, v0
	global_store_dword v[2:3], v0, off
	global_load_dword v0, v44, s[28:29]
	v_mov_b32_e32 v9, 0
	v_sub_u32_e32 v1, v7, v30
	v_pk_mov_b32 v[10:11], v[8:9], v[8:9] op_sel:[0,1]
	s_waitcnt vmcnt(0)
	v_add_u32_e32 v0, v1, v0
	ds_write_b32 v44, v0
.LBB649_126:
	s_or_b64 exec, exec, s[2:3]
	s_waitcnt lgkmcnt(0)
	s_barrier
	ds_read_u8 v1, v10 offset:1024
	ds_read_u8 v9, v8 offset:2048
	;; [unrolled: 1-line block ×8, first 2 shown]
	s_waitcnt lgkmcnt(7)
	v_lshrrev_b32_sdwa v0, s44, v1 dst_sel:DWORD dst_unused:UNUSED_PAD src0_sel:DWORD src1_sel:BYTE_0
	v_and_b32_e32 v0, s16, v0
	v_xor_b32_e32 v44, 0x80, v1
	s_waitcnt lgkmcnt(6)
	v_lshrrev_b32_sdwa v1, s44, v9 dst_sel:DWORD dst_unused:UNUSED_PAD src0_sel:DWORD src1_sel:BYTE_0
	v_lshlrev_b32_e32 v2, 2, v0
	v_and_b32_e32 v1, s16, v1
	s_waitcnt lgkmcnt(5)
	v_lshrrev_b32_sdwa v4, s44, v22 dst_sel:DWORD dst_unused:UNUSED_PAD src0_sel:DWORD src1_sel:BYTE_0
	v_lshlrev_b32_e32 v3, 2, v1
	ds_read_b32 v45, v2
	ds_read_b32 v46, v3
	v_and_b32_e32 v2, s16, v4
	v_lshlrev_b32_e32 v3, 2, v2
	ds_read_b32 v47, v3
	s_waitcnt lgkmcnt(7)
	v_lshrrev_b32_sdwa v3, s44, v28 dst_sel:DWORD dst_unused:UNUSED_PAD src0_sel:DWORD src1_sel:BYTE_0
	v_and_b32_e32 v3, s16, v3
	v_lshlrev_b32_e32 v4, 2, v3
	ds_read_b32 v48, v4
	s_waitcnt lgkmcnt(7)
	v_lshrrev_b32_sdwa v4, s44, v32 dst_sel:DWORD dst_unused:UNUSED_PAD src0_sel:DWORD src1_sel:BYTE_0
	;; [unrolled: 5-line block ×5, first 2 shown]
	v_and_b32_e32 v7, s16, v7
	s_waitcnt lgkmcnt(6)
	v_add_u32_e32 v45, v45, v8
	s_movk_i32 s2, 0x400
	v_lshlrev_b32_e32 v52, 2, v7
	global_store_byte v45, v44, s[38:39]
	v_xor_b32_e32 v9, 0x80, v9
	s_waitcnt lgkmcnt(5)
	v_add3_u32 v44, v46, v8, s2
	s_movk_i32 s0, 0x800
	ds_read_b32 v52, v52
	global_store_byte v44, v9, s[38:39]
	v_xor_b32_e32 v9, 0x80, v22
	s_waitcnt lgkmcnt(5)
	v_add3_u32 v22, v47, v8, s0
	s_movk_i32 s0, 0xc00
	global_store_byte v22, v9, s[38:39]
	v_xor_b32_e32 v9, 0x80, v28
	s_waitcnt lgkmcnt(4)
	v_add3_u32 v22, v48, v8, s0
	s_movk_i32 s0, 0x1000
	;; [unrolled: 5-line block ×5, first 2 shown]
	global_store_byte v22, v9, s[38:39]
	s_waitcnt lgkmcnt(0)
	v_add3_u32 v22, v52, v8, s0
	s_lshl_b64 s[0:1], s[12:13], 3
	s_add_u32 s0, s40, s0
	v_lshlrev_b32_e32 v12, 3, v12
	s_addc_u32 s1, s41, s1
	v_add3_u32 v37, v15, v37, v13
	v_lshlrev_b32_e32 v13, 3, v14
	v_mov_b32_e32 v14, s1
	v_add_co_u32_e64 v12, s[0:1], s0, v12
	v_addc_co_u32_e64 v14, s[0:1], 0, v14, s[0:1]
	v_xor_b32_e32 v9, 0x80, v43
	v_add_co_u32_e64 v28, s[0:1], v12, v13
	global_store_byte v22, v9, s[38:39]
	v_add3_u32 v31, v31, v41, v29
	v_addc_co_u32_e64 v29, s[0:1], 0, v14, s[0:1]
	v_or_b32_e32 v12, 0x400, v8
	v_mul_u32_u24_e32 v13, 7, v8
	v_add3_u32 v9, v26, v42, v24
	v_add3_u32 v32, v27, v40, v23
	;; [unrolled: 1-line block ×5, first 2 shown]
	v_add_u32_e32 v39, v12, v13
	global_load_dwordx2 v[12:13], v[28:29], off
	global_load_dwordx2 v[14:15], v[28:29], off offset:512
	global_load_dwordx2 v[16:17], v[28:29], off offset:1024
	;; [unrolled: 1-line block ×7, first 2 shown]
	s_mov_b32 s3, 0
	s_mov_b32 s4, 1
	v_lshlrev_b32_e32 v40, 3, v10
	v_mov_b32_e32 v29, 0
	s_barrier
	s_waitcnt vmcnt(0)
.LBB649_127:                            ; =>This Inner Loop Header: Depth=1
	v_add_u32_e32 v28, s3, v35
	v_min_u32_e32 v28, 0x800, v28
	v_lshlrev_b32_e32 v28, 3, v28
	ds_write_b64 v28, v[12:13] offset:1024
	v_add_u32_e32 v28, s3, v37
	v_min_u32_e32 v28, 0x800, v28
	v_lshlrev_b32_e32 v28, 3, v28
	ds_write_b64 v28, v[14:15] offset:1024
	;; [unrolled: 4-line block ×7, first 2 shown]
	v_add_u32_e32 v28, s3, v9
	s_add_i32 s5, s4, -1
	v_min_u32_e32 v28, 0x800, v28
	s_cmp_eq_u32 s5, 1
	v_lshlrev_b32_e32 v28, 3, v28
	s_cselect_b64 s[0:1], -1, 0
	s_cmp_eq_u32 s5, 2
	ds_write_b64 v28, v[26:27] offset:1024
	v_cndmask_b32_e64 v28, v0, v1, s[0:1]
	s_cselect_b64 s[0:1], -1, 0
	s_cmp_eq_u32 s5, 3
	v_cndmask_b32_e64 v28, v28, v2, s[0:1]
	s_cselect_b64 s[0:1], -1, 0
	s_cmp_eq_u32 s5, 4
	;; [unrolled: 3-line block ×10, first 2 shown]
	v_lshlrev_b32_e32 v28, 2, v28
	v_cndmask_b32_e64 v41, v41, v4, s[0:1]
	s_cselect_b64 s[0:1], -1, 0
	s_cmp_eq_u32 s4, 6
	s_waitcnt lgkmcnt(0)
	s_barrier
	ds_read_b32 v28, v28
	v_cndmask_b32_e64 v41, v41, v5, s[0:1]
	s_cselect_b64 s[0:1], -1, 0
	s_cmp_eq_u32 s4, 7
	v_cndmask_b32_e64 v41, v41, v6, s[0:1]
	s_cselect_b64 s[0:1], -1, 0
	v_cndmask_b32_e64 v41, v41, v7, s[0:1]
	v_lshlrev_b32_e32 v41, 2, v41
	ds_read_b32 v41, v41
	ds_read_b64 v[42:43], v39 offset:8192
	ds_read_b64 v[46:47], v40 offset:1024
	s_waitcnt lgkmcnt(3)
	v_add_u32_e32 v28, v8, v28
	v_lshlrev_b64 v[44:45], 3, v[28:29]
	v_mov_b32_e32 v48, s43
	v_add_co_u32_e64 v44, s[0:1], s42, v44
	v_addc_co_u32_e64 v45, s[0:1], v48, v45, s[0:1]
	s_waitcnt lgkmcnt(2)
	v_add3_u32 v28, v8, v41, s2
	s_waitcnt lgkmcnt(0)
	global_store_dwordx2 v[44:45], v[46:47], off
	v_lshlrev_b64 v[44:45], 3, v[28:29]
	v_add_co_u32_e64 v44, s[0:1], s42, v44
	s_addk_i32 s3, 0xf800
	s_add_i32 s4, s4, 2
	v_addc_co_u32_e64 v45, s[0:1], v48, v45, s[0:1]
	s_cmpk_lg_i32 s3, 0xe000
	v_add_u32_e32 v8, 0x800, v8
	global_store_dwordx2 v[44:45], v[42:43], off
	s_barrier
	s_cbranch_scc1 .LBB649_127
; %bb.128:
	s_add_i32 s7, s7, -1
	s_cmp_eq_u32 s7, s6
	s_cselect_b64 s[0:1], -1, 0
	s_and_b64 s[2:3], vcc, s[0:1]
                                        ; implicit-def: $vgpr2
	s_and_saveexec_b64 s[0:1], s[2:3]
; %bb.129:
	v_add_u32_e32 v2, v30, v33
	s_or_b64 s[10:11], s[10:11], exec
; %bb.130:
	s_or_b64 exec, exec, s[0:1]
.LBB649_131:
	s_and_saveexec_b64 s[0:1], s[10:11]
	s_cbranch_execnz .LBB649_133
; %bb.132:
	s_endpgm
.LBB649_133:
	v_lshlrev_b32_e32 v3, 2, v10
	ds_read_b32 v3, v3
	v_lshlrev_b64 v[0:1], 2, v[10:11]
	v_mov_b32_e32 v4, s31
	v_add_co_u32_e32 v0, vcc, s30, v0
	v_addc_co_u32_e32 v1, vcc, v4, v1, vcc
	s_waitcnt lgkmcnt(0)
	v_add_u32_e32 v2, v3, v2
	global_store_dword v[0:1], v2, off
	s_endpgm
.LBB649_134:
	global_load_dwordx2 v[12:13], v[28:29], off
	s_or_b64 exec, exec, s[18:19]
                                        ; implicit-def: $vgpr14_vgpr15
	s_and_saveexec_b64 s[18:19], s[0:1]
	s_cbranch_execz .LBB649_71
.LBB649_135:
	global_load_dwordx2 v[14:15], v[28:29], off offset:512
	s_or_b64 exec, exec, s[18:19]
                                        ; implicit-def: $vgpr16_vgpr17
	s_and_saveexec_b64 s[0:1], s[2:3]
	s_cbranch_execz .LBB649_72
.LBB649_136:
	global_load_dwordx2 v[16:17], v[28:29], off offset:1024
	s_or_b64 exec, exec, s[0:1]
                                        ; implicit-def: $vgpr18_vgpr19
	s_and_saveexec_b64 s[0:1], s[24:25]
	s_cbranch_execz .LBB649_73
.LBB649_137:
	global_load_dwordx2 v[18:19], v[28:29], off offset:1536
	s_or_b64 exec, exec, s[0:1]
                                        ; implicit-def: $vgpr20_vgpr21
	s_and_saveexec_b64 s[0:1], s[8:9]
	s_cbranch_execz .LBB649_74
.LBB649_138:
	global_load_dwordx2 v[20:21], v[28:29], off offset:2048
	s_or_b64 exec, exec, s[0:1]
                                        ; implicit-def: $vgpr22_vgpr23
	s_and_saveexec_b64 s[0:1], s[10:11]
	s_cbranch_execz .LBB649_75
.LBB649_139:
	global_load_dwordx2 v[22:23], v[28:29], off offset:2560
	s_or_b64 exec, exec, s[0:1]
                                        ; implicit-def: $vgpr24_vgpr25
	s_and_saveexec_b64 s[0:1], s[12:13]
	s_cbranch_execz .LBB649_76
.LBB649_140:
	global_load_dwordx2 v[24:25], v[28:29], off offset:3072
	s_or_b64 exec, exec, s[0:1]
                                        ; implicit-def: $vgpr26_vgpr27
	s_and_saveexec_b64 s[0:1], s[14:15]
	s_cbranch_execnz .LBB649_77
	s_branch .LBB649_78
	.section	.rodata,"a",@progbits
	.p2align	6, 0x0
	.amdhsa_kernel _ZN7rocprim17ROCPRIM_400000_NS6detail17trampoline_kernelINS0_14default_configENS1_35radix_sort_onesweep_config_selectorIalEEZZNS1_29radix_sort_onesweep_iterationIS3_Lb0EPaS7_N6thrust23THRUST_200600_302600_NS10device_ptrIlEESB_jNS0_19identity_decomposerENS1_16block_id_wrapperIjLb0EEEEE10hipError_tT1_PNSt15iterator_traitsISG_E10value_typeET2_T3_PNSH_ISM_E10value_typeET4_T5_PSR_SS_PNS1_23onesweep_lookback_stateEbbT6_jjT7_P12ihipStream_tbENKUlT_T0_SG_SL_E_clIS7_S7_PlSB_EEDaSZ_S10_SG_SL_EUlSZ_E_NS1_11comp_targetILNS1_3genE4ELNS1_11target_archE910ELNS1_3gpuE8ELNS1_3repE0EEENS1_47radix_sort_onesweep_sort_config_static_selectorELNS0_4arch9wavefront6targetE1EEEvSG_
		.amdhsa_group_segment_fixed_size 20552
		.amdhsa_private_segment_fixed_size 0
		.amdhsa_kernarg_size 344
		.amdhsa_user_sgpr_count 6
		.amdhsa_user_sgpr_private_segment_buffer 1
		.amdhsa_user_sgpr_dispatch_ptr 0
		.amdhsa_user_sgpr_queue_ptr 0
		.amdhsa_user_sgpr_kernarg_segment_ptr 1
		.amdhsa_user_sgpr_dispatch_id 0
		.amdhsa_user_sgpr_flat_scratch_init 0
		.amdhsa_user_sgpr_kernarg_preload_length 0
		.amdhsa_user_sgpr_kernarg_preload_offset 0
		.amdhsa_user_sgpr_private_segment_size 0
		.amdhsa_uses_dynamic_stack 0
		.amdhsa_system_sgpr_private_segment_wavefront_offset 0
		.amdhsa_system_sgpr_workgroup_id_x 1
		.amdhsa_system_sgpr_workgroup_id_y 0
		.amdhsa_system_sgpr_workgroup_id_z 0
		.amdhsa_system_sgpr_workgroup_info 0
		.amdhsa_system_vgpr_workitem_id 2
		.amdhsa_next_free_vgpr 55
		.amdhsa_next_free_sgpr 53
		.amdhsa_accum_offset 56
		.amdhsa_reserve_vcc 1
		.amdhsa_reserve_flat_scratch 0
		.amdhsa_float_round_mode_32 0
		.amdhsa_float_round_mode_16_64 0
		.amdhsa_float_denorm_mode_32 3
		.amdhsa_float_denorm_mode_16_64 3
		.amdhsa_dx10_clamp 1
		.amdhsa_ieee_mode 1
		.amdhsa_fp16_overflow 0
		.amdhsa_tg_split 0
		.amdhsa_exception_fp_ieee_invalid_op 0
		.amdhsa_exception_fp_denorm_src 0
		.amdhsa_exception_fp_ieee_div_zero 0
		.amdhsa_exception_fp_ieee_overflow 0
		.amdhsa_exception_fp_ieee_underflow 0
		.amdhsa_exception_fp_ieee_inexact 0
		.amdhsa_exception_int_div_zero 0
	.end_amdhsa_kernel
	.section	.text._ZN7rocprim17ROCPRIM_400000_NS6detail17trampoline_kernelINS0_14default_configENS1_35radix_sort_onesweep_config_selectorIalEEZZNS1_29radix_sort_onesweep_iterationIS3_Lb0EPaS7_N6thrust23THRUST_200600_302600_NS10device_ptrIlEESB_jNS0_19identity_decomposerENS1_16block_id_wrapperIjLb0EEEEE10hipError_tT1_PNSt15iterator_traitsISG_E10value_typeET2_T3_PNSH_ISM_E10value_typeET4_T5_PSR_SS_PNS1_23onesweep_lookback_stateEbbT6_jjT7_P12ihipStream_tbENKUlT_T0_SG_SL_E_clIS7_S7_PlSB_EEDaSZ_S10_SG_SL_EUlSZ_E_NS1_11comp_targetILNS1_3genE4ELNS1_11target_archE910ELNS1_3gpuE8ELNS1_3repE0EEENS1_47radix_sort_onesweep_sort_config_static_selectorELNS0_4arch9wavefront6targetE1EEEvSG_,"axG",@progbits,_ZN7rocprim17ROCPRIM_400000_NS6detail17trampoline_kernelINS0_14default_configENS1_35radix_sort_onesweep_config_selectorIalEEZZNS1_29radix_sort_onesweep_iterationIS3_Lb0EPaS7_N6thrust23THRUST_200600_302600_NS10device_ptrIlEESB_jNS0_19identity_decomposerENS1_16block_id_wrapperIjLb0EEEEE10hipError_tT1_PNSt15iterator_traitsISG_E10value_typeET2_T3_PNSH_ISM_E10value_typeET4_T5_PSR_SS_PNS1_23onesweep_lookback_stateEbbT6_jjT7_P12ihipStream_tbENKUlT_T0_SG_SL_E_clIS7_S7_PlSB_EEDaSZ_S10_SG_SL_EUlSZ_E_NS1_11comp_targetILNS1_3genE4ELNS1_11target_archE910ELNS1_3gpuE8ELNS1_3repE0EEENS1_47radix_sort_onesweep_sort_config_static_selectorELNS0_4arch9wavefront6targetE1EEEvSG_,comdat
.Lfunc_end649:
	.size	_ZN7rocprim17ROCPRIM_400000_NS6detail17trampoline_kernelINS0_14default_configENS1_35radix_sort_onesweep_config_selectorIalEEZZNS1_29radix_sort_onesweep_iterationIS3_Lb0EPaS7_N6thrust23THRUST_200600_302600_NS10device_ptrIlEESB_jNS0_19identity_decomposerENS1_16block_id_wrapperIjLb0EEEEE10hipError_tT1_PNSt15iterator_traitsISG_E10value_typeET2_T3_PNSH_ISM_E10value_typeET4_T5_PSR_SS_PNS1_23onesweep_lookback_stateEbbT6_jjT7_P12ihipStream_tbENKUlT_T0_SG_SL_E_clIS7_S7_PlSB_EEDaSZ_S10_SG_SL_EUlSZ_E_NS1_11comp_targetILNS1_3genE4ELNS1_11target_archE910ELNS1_3gpuE8ELNS1_3repE0EEENS1_47radix_sort_onesweep_sort_config_static_selectorELNS0_4arch9wavefront6targetE1EEEvSG_, .Lfunc_end649-_ZN7rocprim17ROCPRIM_400000_NS6detail17trampoline_kernelINS0_14default_configENS1_35radix_sort_onesweep_config_selectorIalEEZZNS1_29radix_sort_onesweep_iterationIS3_Lb0EPaS7_N6thrust23THRUST_200600_302600_NS10device_ptrIlEESB_jNS0_19identity_decomposerENS1_16block_id_wrapperIjLb0EEEEE10hipError_tT1_PNSt15iterator_traitsISG_E10value_typeET2_T3_PNSH_ISM_E10value_typeET4_T5_PSR_SS_PNS1_23onesweep_lookback_stateEbbT6_jjT7_P12ihipStream_tbENKUlT_T0_SG_SL_E_clIS7_S7_PlSB_EEDaSZ_S10_SG_SL_EUlSZ_E_NS1_11comp_targetILNS1_3genE4ELNS1_11target_archE910ELNS1_3gpuE8ELNS1_3repE0EEENS1_47radix_sort_onesweep_sort_config_static_selectorELNS0_4arch9wavefront6targetE1EEEvSG_
                                        ; -- End function
	.section	.AMDGPU.csdata,"",@progbits
; Kernel info:
; codeLenInByte = 13024
; NumSgprs: 57
; NumVgprs: 55
; NumAgprs: 0
; TotalNumVgprs: 55
; ScratchSize: 0
; MemoryBound: 0
; FloatMode: 240
; IeeeMode: 1
; LDSByteSize: 20552 bytes/workgroup (compile time only)
; SGPRBlocks: 7
; VGPRBlocks: 6
; NumSGPRsForWavesPerEU: 57
; NumVGPRsForWavesPerEU: 55
; AccumOffset: 56
; Occupancy: 8
; WaveLimiterHint : 1
; COMPUTE_PGM_RSRC2:SCRATCH_EN: 0
; COMPUTE_PGM_RSRC2:USER_SGPR: 6
; COMPUTE_PGM_RSRC2:TRAP_HANDLER: 0
; COMPUTE_PGM_RSRC2:TGID_X_EN: 1
; COMPUTE_PGM_RSRC2:TGID_Y_EN: 0
; COMPUTE_PGM_RSRC2:TGID_Z_EN: 0
; COMPUTE_PGM_RSRC2:TIDIG_COMP_CNT: 2
; COMPUTE_PGM_RSRC3_GFX90A:ACCUM_OFFSET: 13
; COMPUTE_PGM_RSRC3_GFX90A:TG_SPLIT: 0
	.section	.text._ZN7rocprim17ROCPRIM_400000_NS6detail17trampoline_kernelINS0_14default_configENS1_35radix_sort_onesweep_config_selectorIalEEZZNS1_29radix_sort_onesweep_iterationIS3_Lb0EPaS7_N6thrust23THRUST_200600_302600_NS10device_ptrIlEESB_jNS0_19identity_decomposerENS1_16block_id_wrapperIjLb0EEEEE10hipError_tT1_PNSt15iterator_traitsISG_E10value_typeET2_T3_PNSH_ISM_E10value_typeET4_T5_PSR_SS_PNS1_23onesweep_lookback_stateEbbT6_jjT7_P12ihipStream_tbENKUlT_T0_SG_SL_E_clIS7_S7_PlSB_EEDaSZ_S10_SG_SL_EUlSZ_E_NS1_11comp_targetILNS1_3genE3ELNS1_11target_archE908ELNS1_3gpuE7ELNS1_3repE0EEENS1_47radix_sort_onesweep_sort_config_static_selectorELNS0_4arch9wavefront6targetE1EEEvSG_,"axG",@progbits,_ZN7rocprim17ROCPRIM_400000_NS6detail17trampoline_kernelINS0_14default_configENS1_35radix_sort_onesweep_config_selectorIalEEZZNS1_29radix_sort_onesweep_iterationIS3_Lb0EPaS7_N6thrust23THRUST_200600_302600_NS10device_ptrIlEESB_jNS0_19identity_decomposerENS1_16block_id_wrapperIjLb0EEEEE10hipError_tT1_PNSt15iterator_traitsISG_E10value_typeET2_T3_PNSH_ISM_E10value_typeET4_T5_PSR_SS_PNS1_23onesweep_lookback_stateEbbT6_jjT7_P12ihipStream_tbENKUlT_T0_SG_SL_E_clIS7_S7_PlSB_EEDaSZ_S10_SG_SL_EUlSZ_E_NS1_11comp_targetILNS1_3genE3ELNS1_11target_archE908ELNS1_3gpuE7ELNS1_3repE0EEENS1_47radix_sort_onesweep_sort_config_static_selectorELNS0_4arch9wavefront6targetE1EEEvSG_,comdat
	.protected	_ZN7rocprim17ROCPRIM_400000_NS6detail17trampoline_kernelINS0_14default_configENS1_35radix_sort_onesweep_config_selectorIalEEZZNS1_29radix_sort_onesweep_iterationIS3_Lb0EPaS7_N6thrust23THRUST_200600_302600_NS10device_ptrIlEESB_jNS0_19identity_decomposerENS1_16block_id_wrapperIjLb0EEEEE10hipError_tT1_PNSt15iterator_traitsISG_E10value_typeET2_T3_PNSH_ISM_E10value_typeET4_T5_PSR_SS_PNS1_23onesweep_lookback_stateEbbT6_jjT7_P12ihipStream_tbENKUlT_T0_SG_SL_E_clIS7_S7_PlSB_EEDaSZ_S10_SG_SL_EUlSZ_E_NS1_11comp_targetILNS1_3genE3ELNS1_11target_archE908ELNS1_3gpuE7ELNS1_3repE0EEENS1_47radix_sort_onesweep_sort_config_static_selectorELNS0_4arch9wavefront6targetE1EEEvSG_ ; -- Begin function _ZN7rocprim17ROCPRIM_400000_NS6detail17trampoline_kernelINS0_14default_configENS1_35radix_sort_onesweep_config_selectorIalEEZZNS1_29radix_sort_onesweep_iterationIS3_Lb0EPaS7_N6thrust23THRUST_200600_302600_NS10device_ptrIlEESB_jNS0_19identity_decomposerENS1_16block_id_wrapperIjLb0EEEEE10hipError_tT1_PNSt15iterator_traitsISG_E10value_typeET2_T3_PNSH_ISM_E10value_typeET4_T5_PSR_SS_PNS1_23onesweep_lookback_stateEbbT6_jjT7_P12ihipStream_tbENKUlT_T0_SG_SL_E_clIS7_S7_PlSB_EEDaSZ_S10_SG_SL_EUlSZ_E_NS1_11comp_targetILNS1_3genE3ELNS1_11target_archE908ELNS1_3gpuE7ELNS1_3repE0EEENS1_47radix_sort_onesweep_sort_config_static_selectorELNS0_4arch9wavefront6targetE1EEEvSG_
	.globl	_ZN7rocprim17ROCPRIM_400000_NS6detail17trampoline_kernelINS0_14default_configENS1_35radix_sort_onesweep_config_selectorIalEEZZNS1_29radix_sort_onesweep_iterationIS3_Lb0EPaS7_N6thrust23THRUST_200600_302600_NS10device_ptrIlEESB_jNS0_19identity_decomposerENS1_16block_id_wrapperIjLb0EEEEE10hipError_tT1_PNSt15iterator_traitsISG_E10value_typeET2_T3_PNSH_ISM_E10value_typeET4_T5_PSR_SS_PNS1_23onesweep_lookback_stateEbbT6_jjT7_P12ihipStream_tbENKUlT_T0_SG_SL_E_clIS7_S7_PlSB_EEDaSZ_S10_SG_SL_EUlSZ_E_NS1_11comp_targetILNS1_3genE3ELNS1_11target_archE908ELNS1_3gpuE7ELNS1_3repE0EEENS1_47radix_sort_onesweep_sort_config_static_selectorELNS0_4arch9wavefront6targetE1EEEvSG_
	.p2align	8
	.type	_ZN7rocprim17ROCPRIM_400000_NS6detail17trampoline_kernelINS0_14default_configENS1_35radix_sort_onesweep_config_selectorIalEEZZNS1_29radix_sort_onesweep_iterationIS3_Lb0EPaS7_N6thrust23THRUST_200600_302600_NS10device_ptrIlEESB_jNS0_19identity_decomposerENS1_16block_id_wrapperIjLb0EEEEE10hipError_tT1_PNSt15iterator_traitsISG_E10value_typeET2_T3_PNSH_ISM_E10value_typeET4_T5_PSR_SS_PNS1_23onesweep_lookback_stateEbbT6_jjT7_P12ihipStream_tbENKUlT_T0_SG_SL_E_clIS7_S7_PlSB_EEDaSZ_S10_SG_SL_EUlSZ_E_NS1_11comp_targetILNS1_3genE3ELNS1_11target_archE908ELNS1_3gpuE7ELNS1_3repE0EEENS1_47radix_sort_onesweep_sort_config_static_selectorELNS0_4arch9wavefront6targetE1EEEvSG_,@function
_ZN7rocprim17ROCPRIM_400000_NS6detail17trampoline_kernelINS0_14default_configENS1_35radix_sort_onesweep_config_selectorIalEEZZNS1_29radix_sort_onesweep_iterationIS3_Lb0EPaS7_N6thrust23THRUST_200600_302600_NS10device_ptrIlEESB_jNS0_19identity_decomposerENS1_16block_id_wrapperIjLb0EEEEE10hipError_tT1_PNSt15iterator_traitsISG_E10value_typeET2_T3_PNSH_ISM_E10value_typeET4_T5_PSR_SS_PNS1_23onesweep_lookback_stateEbbT6_jjT7_P12ihipStream_tbENKUlT_T0_SG_SL_E_clIS7_S7_PlSB_EEDaSZ_S10_SG_SL_EUlSZ_E_NS1_11comp_targetILNS1_3genE3ELNS1_11target_archE908ELNS1_3gpuE7ELNS1_3repE0EEENS1_47radix_sort_onesweep_sort_config_static_selectorELNS0_4arch9wavefront6targetE1EEEvSG_: ; @_ZN7rocprim17ROCPRIM_400000_NS6detail17trampoline_kernelINS0_14default_configENS1_35radix_sort_onesweep_config_selectorIalEEZZNS1_29radix_sort_onesweep_iterationIS3_Lb0EPaS7_N6thrust23THRUST_200600_302600_NS10device_ptrIlEESB_jNS0_19identity_decomposerENS1_16block_id_wrapperIjLb0EEEEE10hipError_tT1_PNSt15iterator_traitsISG_E10value_typeET2_T3_PNSH_ISM_E10value_typeET4_T5_PSR_SS_PNS1_23onesweep_lookback_stateEbbT6_jjT7_P12ihipStream_tbENKUlT_T0_SG_SL_E_clIS7_S7_PlSB_EEDaSZ_S10_SG_SL_EUlSZ_E_NS1_11comp_targetILNS1_3genE3ELNS1_11target_archE908ELNS1_3gpuE7ELNS1_3repE0EEENS1_47radix_sort_onesweep_sort_config_static_selectorELNS0_4arch9wavefront6targetE1EEEvSG_
; %bb.0:
	.section	.rodata,"a",@progbits
	.p2align	6, 0x0
	.amdhsa_kernel _ZN7rocprim17ROCPRIM_400000_NS6detail17trampoline_kernelINS0_14default_configENS1_35radix_sort_onesweep_config_selectorIalEEZZNS1_29radix_sort_onesweep_iterationIS3_Lb0EPaS7_N6thrust23THRUST_200600_302600_NS10device_ptrIlEESB_jNS0_19identity_decomposerENS1_16block_id_wrapperIjLb0EEEEE10hipError_tT1_PNSt15iterator_traitsISG_E10value_typeET2_T3_PNSH_ISM_E10value_typeET4_T5_PSR_SS_PNS1_23onesweep_lookback_stateEbbT6_jjT7_P12ihipStream_tbENKUlT_T0_SG_SL_E_clIS7_S7_PlSB_EEDaSZ_S10_SG_SL_EUlSZ_E_NS1_11comp_targetILNS1_3genE3ELNS1_11target_archE908ELNS1_3gpuE7ELNS1_3repE0EEENS1_47radix_sort_onesweep_sort_config_static_selectorELNS0_4arch9wavefront6targetE1EEEvSG_
		.amdhsa_group_segment_fixed_size 0
		.amdhsa_private_segment_fixed_size 0
		.amdhsa_kernarg_size 88
		.amdhsa_user_sgpr_count 6
		.amdhsa_user_sgpr_private_segment_buffer 1
		.amdhsa_user_sgpr_dispatch_ptr 0
		.amdhsa_user_sgpr_queue_ptr 0
		.amdhsa_user_sgpr_kernarg_segment_ptr 1
		.amdhsa_user_sgpr_dispatch_id 0
		.amdhsa_user_sgpr_flat_scratch_init 0
		.amdhsa_user_sgpr_kernarg_preload_length 0
		.amdhsa_user_sgpr_kernarg_preload_offset 0
		.amdhsa_user_sgpr_private_segment_size 0
		.amdhsa_uses_dynamic_stack 0
		.amdhsa_system_sgpr_private_segment_wavefront_offset 0
		.amdhsa_system_sgpr_workgroup_id_x 1
		.amdhsa_system_sgpr_workgroup_id_y 0
		.amdhsa_system_sgpr_workgroup_id_z 0
		.amdhsa_system_sgpr_workgroup_info 0
		.amdhsa_system_vgpr_workitem_id 0
		.amdhsa_next_free_vgpr 1
		.amdhsa_next_free_sgpr 0
		.amdhsa_accum_offset 4
		.amdhsa_reserve_vcc 0
		.amdhsa_reserve_flat_scratch 0
		.amdhsa_float_round_mode_32 0
		.amdhsa_float_round_mode_16_64 0
		.amdhsa_float_denorm_mode_32 3
		.amdhsa_float_denorm_mode_16_64 3
		.amdhsa_dx10_clamp 1
		.amdhsa_ieee_mode 1
		.amdhsa_fp16_overflow 0
		.amdhsa_tg_split 0
		.amdhsa_exception_fp_ieee_invalid_op 0
		.amdhsa_exception_fp_denorm_src 0
		.amdhsa_exception_fp_ieee_div_zero 0
		.amdhsa_exception_fp_ieee_overflow 0
		.amdhsa_exception_fp_ieee_underflow 0
		.amdhsa_exception_fp_ieee_inexact 0
		.amdhsa_exception_int_div_zero 0
	.end_amdhsa_kernel
	.section	.text._ZN7rocprim17ROCPRIM_400000_NS6detail17trampoline_kernelINS0_14default_configENS1_35radix_sort_onesweep_config_selectorIalEEZZNS1_29radix_sort_onesweep_iterationIS3_Lb0EPaS7_N6thrust23THRUST_200600_302600_NS10device_ptrIlEESB_jNS0_19identity_decomposerENS1_16block_id_wrapperIjLb0EEEEE10hipError_tT1_PNSt15iterator_traitsISG_E10value_typeET2_T3_PNSH_ISM_E10value_typeET4_T5_PSR_SS_PNS1_23onesweep_lookback_stateEbbT6_jjT7_P12ihipStream_tbENKUlT_T0_SG_SL_E_clIS7_S7_PlSB_EEDaSZ_S10_SG_SL_EUlSZ_E_NS1_11comp_targetILNS1_3genE3ELNS1_11target_archE908ELNS1_3gpuE7ELNS1_3repE0EEENS1_47radix_sort_onesweep_sort_config_static_selectorELNS0_4arch9wavefront6targetE1EEEvSG_,"axG",@progbits,_ZN7rocprim17ROCPRIM_400000_NS6detail17trampoline_kernelINS0_14default_configENS1_35radix_sort_onesweep_config_selectorIalEEZZNS1_29radix_sort_onesweep_iterationIS3_Lb0EPaS7_N6thrust23THRUST_200600_302600_NS10device_ptrIlEESB_jNS0_19identity_decomposerENS1_16block_id_wrapperIjLb0EEEEE10hipError_tT1_PNSt15iterator_traitsISG_E10value_typeET2_T3_PNSH_ISM_E10value_typeET4_T5_PSR_SS_PNS1_23onesweep_lookback_stateEbbT6_jjT7_P12ihipStream_tbENKUlT_T0_SG_SL_E_clIS7_S7_PlSB_EEDaSZ_S10_SG_SL_EUlSZ_E_NS1_11comp_targetILNS1_3genE3ELNS1_11target_archE908ELNS1_3gpuE7ELNS1_3repE0EEENS1_47radix_sort_onesweep_sort_config_static_selectorELNS0_4arch9wavefront6targetE1EEEvSG_,comdat
.Lfunc_end650:
	.size	_ZN7rocprim17ROCPRIM_400000_NS6detail17trampoline_kernelINS0_14default_configENS1_35radix_sort_onesweep_config_selectorIalEEZZNS1_29radix_sort_onesweep_iterationIS3_Lb0EPaS7_N6thrust23THRUST_200600_302600_NS10device_ptrIlEESB_jNS0_19identity_decomposerENS1_16block_id_wrapperIjLb0EEEEE10hipError_tT1_PNSt15iterator_traitsISG_E10value_typeET2_T3_PNSH_ISM_E10value_typeET4_T5_PSR_SS_PNS1_23onesweep_lookback_stateEbbT6_jjT7_P12ihipStream_tbENKUlT_T0_SG_SL_E_clIS7_S7_PlSB_EEDaSZ_S10_SG_SL_EUlSZ_E_NS1_11comp_targetILNS1_3genE3ELNS1_11target_archE908ELNS1_3gpuE7ELNS1_3repE0EEENS1_47radix_sort_onesweep_sort_config_static_selectorELNS0_4arch9wavefront6targetE1EEEvSG_, .Lfunc_end650-_ZN7rocprim17ROCPRIM_400000_NS6detail17trampoline_kernelINS0_14default_configENS1_35radix_sort_onesweep_config_selectorIalEEZZNS1_29radix_sort_onesweep_iterationIS3_Lb0EPaS7_N6thrust23THRUST_200600_302600_NS10device_ptrIlEESB_jNS0_19identity_decomposerENS1_16block_id_wrapperIjLb0EEEEE10hipError_tT1_PNSt15iterator_traitsISG_E10value_typeET2_T3_PNSH_ISM_E10value_typeET4_T5_PSR_SS_PNS1_23onesweep_lookback_stateEbbT6_jjT7_P12ihipStream_tbENKUlT_T0_SG_SL_E_clIS7_S7_PlSB_EEDaSZ_S10_SG_SL_EUlSZ_E_NS1_11comp_targetILNS1_3genE3ELNS1_11target_archE908ELNS1_3gpuE7ELNS1_3repE0EEENS1_47radix_sort_onesweep_sort_config_static_selectorELNS0_4arch9wavefront6targetE1EEEvSG_
                                        ; -- End function
	.section	.AMDGPU.csdata,"",@progbits
; Kernel info:
; codeLenInByte = 0
; NumSgprs: 4
; NumVgprs: 0
; NumAgprs: 0
; TotalNumVgprs: 0
; ScratchSize: 0
; MemoryBound: 0
; FloatMode: 240
; IeeeMode: 1
; LDSByteSize: 0 bytes/workgroup (compile time only)
; SGPRBlocks: 0
; VGPRBlocks: 0
; NumSGPRsForWavesPerEU: 4
; NumVGPRsForWavesPerEU: 1
; AccumOffset: 4
; Occupancy: 8
; WaveLimiterHint : 0
; COMPUTE_PGM_RSRC2:SCRATCH_EN: 0
; COMPUTE_PGM_RSRC2:USER_SGPR: 6
; COMPUTE_PGM_RSRC2:TRAP_HANDLER: 0
; COMPUTE_PGM_RSRC2:TGID_X_EN: 1
; COMPUTE_PGM_RSRC2:TGID_Y_EN: 0
; COMPUTE_PGM_RSRC2:TGID_Z_EN: 0
; COMPUTE_PGM_RSRC2:TIDIG_COMP_CNT: 0
; COMPUTE_PGM_RSRC3_GFX90A:ACCUM_OFFSET: 0
; COMPUTE_PGM_RSRC3_GFX90A:TG_SPLIT: 0
	.section	.text._ZN7rocprim17ROCPRIM_400000_NS6detail17trampoline_kernelINS0_14default_configENS1_35radix_sort_onesweep_config_selectorIalEEZZNS1_29radix_sort_onesweep_iterationIS3_Lb0EPaS7_N6thrust23THRUST_200600_302600_NS10device_ptrIlEESB_jNS0_19identity_decomposerENS1_16block_id_wrapperIjLb0EEEEE10hipError_tT1_PNSt15iterator_traitsISG_E10value_typeET2_T3_PNSH_ISM_E10value_typeET4_T5_PSR_SS_PNS1_23onesweep_lookback_stateEbbT6_jjT7_P12ihipStream_tbENKUlT_T0_SG_SL_E_clIS7_S7_PlSB_EEDaSZ_S10_SG_SL_EUlSZ_E_NS1_11comp_targetILNS1_3genE10ELNS1_11target_archE1201ELNS1_3gpuE5ELNS1_3repE0EEENS1_47radix_sort_onesweep_sort_config_static_selectorELNS0_4arch9wavefront6targetE1EEEvSG_,"axG",@progbits,_ZN7rocprim17ROCPRIM_400000_NS6detail17trampoline_kernelINS0_14default_configENS1_35radix_sort_onesweep_config_selectorIalEEZZNS1_29radix_sort_onesweep_iterationIS3_Lb0EPaS7_N6thrust23THRUST_200600_302600_NS10device_ptrIlEESB_jNS0_19identity_decomposerENS1_16block_id_wrapperIjLb0EEEEE10hipError_tT1_PNSt15iterator_traitsISG_E10value_typeET2_T3_PNSH_ISM_E10value_typeET4_T5_PSR_SS_PNS1_23onesweep_lookback_stateEbbT6_jjT7_P12ihipStream_tbENKUlT_T0_SG_SL_E_clIS7_S7_PlSB_EEDaSZ_S10_SG_SL_EUlSZ_E_NS1_11comp_targetILNS1_3genE10ELNS1_11target_archE1201ELNS1_3gpuE5ELNS1_3repE0EEENS1_47radix_sort_onesweep_sort_config_static_selectorELNS0_4arch9wavefront6targetE1EEEvSG_,comdat
	.protected	_ZN7rocprim17ROCPRIM_400000_NS6detail17trampoline_kernelINS0_14default_configENS1_35radix_sort_onesweep_config_selectorIalEEZZNS1_29radix_sort_onesweep_iterationIS3_Lb0EPaS7_N6thrust23THRUST_200600_302600_NS10device_ptrIlEESB_jNS0_19identity_decomposerENS1_16block_id_wrapperIjLb0EEEEE10hipError_tT1_PNSt15iterator_traitsISG_E10value_typeET2_T3_PNSH_ISM_E10value_typeET4_T5_PSR_SS_PNS1_23onesweep_lookback_stateEbbT6_jjT7_P12ihipStream_tbENKUlT_T0_SG_SL_E_clIS7_S7_PlSB_EEDaSZ_S10_SG_SL_EUlSZ_E_NS1_11comp_targetILNS1_3genE10ELNS1_11target_archE1201ELNS1_3gpuE5ELNS1_3repE0EEENS1_47radix_sort_onesweep_sort_config_static_selectorELNS0_4arch9wavefront6targetE1EEEvSG_ ; -- Begin function _ZN7rocprim17ROCPRIM_400000_NS6detail17trampoline_kernelINS0_14default_configENS1_35radix_sort_onesweep_config_selectorIalEEZZNS1_29radix_sort_onesweep_iterationIS3_Lb0EPaS7_N6thrust23THRUST_200600_302600_NS10device_ptrIlEESB_jNS0_19identity_decomposerENS1_16block_id_wrapperIjLb0EEEEE10hipError_tT1_PNSt15iterator_traitsISG_E10value_typeET2_T3_PNSH_ISM_E10value_typeET4_T5_PSR_SS_PNS1_23onesweep_lookback_stateEbbT6_jjT7_P12ihipStream_tbENKUlT_T0_SG_SL_E_clIS7_S7_PlSB_EEDaSZ_S10_SG_SL_EUlSZ_E_NS1_11comp_targetILNS1_3genE10ELNS1_11target_archE1201ELNS1_3gpuE5ELNS1_3repE0EEENS1_47radix_sort_onesweep_sort_config_static_selectorELNS0_4arch9wavefront6targetE1EEEvSG_
	.globl	_ZN7rocprim17ROCPRIM_400000_NS6detail17trampoline_kernelINS0_14default_configENS1_35radix_sort_onesweep_config_selectorIalEEZZNS1_29radix_sort_onesweep_iterationIS3_Lb0EPaS7_N6thrust23THRUST_200600_302600_NS10device_ptrIlEESB_jNS0_19identity_decomposerENS1_16block_id_wrapperIjLb0EEEEE10hipError_tT1_PNSt15iterator_traitsISG_E10value_typeET2_T3_PNSH_ISM_E10value_typeET4_T5_PSR_SS_PNS1_23onesweep_lookback_stateEbbT6_jjT7_P12ihipStream_tbENKUlT_T0_SG_SL_E_clIS7_S7_PlSB_EEDaSZ_S10_SG_SL_EUlSZ_E_NS1_11comp_targetILNS1_3genE10ELNS1_11target_archE1201ELNS1_3gpuE5ELNS1_3repE0EEENS1_47radix_sort_onesweep_sort_config_static_selectorELNS0_4arch9wavefront6targetE1EEEvSG_
	.p2align	8
	.type	_ZN7rocprim17ROCPRIM_400000_NS6detail17trampoline_kernelINS0_14default_configENS1_35radix_sort_onesweep_config_selectorIalEEZZNS1_29radix_sort_onesweep_iterationIS3_Lb0EPaS7_N6thrust23THRUST_200600_302600_NS10device_ptrIlEESB_jNS0_19identity_decomposerENS1_16block_id_wrapperIjLb0EEEEE10hipError_tT1_PNSt15iterator_traitsISG_E10value_typeET2_T3_PNSH_ISM_E10value_typeET4_T5_PSR_SS_PNS1_23onesweep_lookback_stateEbbT6_jjT7_P12ihipStream_tbENKUlT_T0_SG_SL_E_clIS7_S7_PlSB_EEDaSZ_S10_SG_SL_EUlSZ_E_NS1_11comp_targetILNS1_3genE10ELNS1_11target_archE1201ELNS1_3gpuE5ELNS1_3repE0EEENS1_47radix_sort_onesweep_sort_config_static_selectorELNS0_4arch9wavefront6targetE1EEEvSG_,@function
_ZN7rocprim17ROCPRIM_400000_NS6detail17trampoline_kernelINS0_14default_configENS1_35radix_sort_onesweep_config_selectorIalEEZZNS1_29radix_sort_onesweep_iterationIS3_Lb0EPaS7_N6thrust23THRUST_200600_302600_NS10device_ptrIlEESB_jNS0_19identity_decomposerENS1_16block_id_wrapperIjLb0EEEEE10hipError_tT1_PNSt15iterator_traitsISG_E10value_typeET2_T3_PNSH_ISM_E10value_typeET4_T5_PSR_SS_PNS1_23onesweep_lookback_stateEbbT6_jjT7_P12ihipStream_tbENKUlT_T0_SG_SL_E_clIS7_S7_PlSB_EEDaSZ_S10_SG_SL_EUlSZ_E_NS1_11comp_targetILNS1_3genE10ELNS1_11target_archE1201ELNS1_3gpuE5ELNS1_3repE0EEENS1_47radix_sort_onesweep_sort_config_static_selectorELNS0_4arch9wavefront6targetE1EEEvSG_: ; @_ZN7rocprim17ROCPRIM_400000_NS6detail17trampoline_kernelINS0_14default_configENS1_35radix_sort_onesweep_config_selectorIalEEZZNS1_29radix_sort_onesweep_iterationIS3_Lb0EPaS7_N6thrust23THRUST_200600_302600_NS10device_ptrIlEESB_jNS0_19identity_decomposerENS1_16block_id_wrapperIjLb0EEEEE10hipError_tT1_PNSt15iterator_traitsISG_E10value_typeET2_T3_PNSH_ISM_E10value_typeET4_T5_PSR_SS_PNS1_23onesweep_lookback_stateEbbT6_jjT7_P12ihipStream_tbENKUlT_T0_SG_SL_E_clIS7_S7_PlSB_EEDaSZ_S10_SG_SL_EUlSZ_E_NS1_11comp_targetILNS1_3genE10ELNS1_11target_archE1201ELNS1_3gpuE5ELNS1_3repE0EEENS1_47radix_sort_onesweep_sort_config_static_selectorELNS0_4arch9wavefront6targetE1EEEvSG_
; %bb.0:
	.section	.rodata,"a",@progbits
	.p2align	6, 0x0
	.amdhsa_kernel _ZN7rocprim17ROCPRIM_400000_NS6detail17trampoline_kernelINS0_14default_configENS1_35radix_sort_onesweep_config_selectorIalEEZZNS1_29radix_sort_onesweep_iterationIS3_Lb0EPaS7_N6thrust23THRUST_200600_302600_NS10device_ptrIlEESB_jNS0_19identity_decomposerENS1_16block_id_wrapperIjLb0EEEEE10hipError_tT1_PNSt15iterator_traitsISG_E10value_typeET2_T3_PNSH_ISM_E10value_typeET4_T5_PSR_SS_PNS1_23onesweep_lookback_stateEbbT6_jjT7_P12ihipStream_tbENKUlT_T0_SG_SL_E_clIS7_S7_PlSB_EEDaSZ_S10_SG_SL_EUlSZ_E_NS1_11comp_targetILNS1_3genE10ELNS1_11target_archE1201ELNS1_3gpuE5ELNS1_3repE0EEENS1_47radix_sort_onesweep_sort_config_static_selectorELNS0_4arch9wavefront6targetE1EEEvSG_
		.amdhsa_group_segment_fixed_size 0
		.amdhsa_private_segment_fixed_size 0
		.amdhsa_kernarg_size 88
		.amdhsa_user_sgpr_count 6
		.amdhsa_user_sgpr_private_segment_buffer 1
		.amdhsa_user_sgpr_dispatch_ptr 0
		.amdhsa_user_sgpr_queue_ptr 0
		.amdhsa_user_sgpr_kernarg_segment_ptr 1
		.amdhsa_user_sgpr_dispatch_id 0
		.amdhsa_user_sgpr_flat_scratch_init 0
		.amdhsa_user_sgpr_kernarg_preload_length 0
		.amdhsa_user_sgpr_kernarg_preload_offset 0
		.amdhsa_user_sgpr_private_segment_size 0
		.amdhsa_uses_dynamic_stack 0
		.amdhsa_system_sgpr_private_segment_wavefront_offset 0
		.amdhsa_system_sgpr_workgroup_id_x 1
		.amdhsa_system_sgpr_workgroup_id_y 0
		.amdhsa_system_sgpr_workgroup_id_z 0
		.amdhsa_system_sgpr_workgroup_info 0
		.amdhsa_system_vgpr_workitem_id 0
		.amdhsa_next_free_vgpr 1
		.amdhsa_next_free_sgpr 0
		.amdhsa_accum_offset 4
		.amdhsa_reserve_vcc 0
		.amdhsa_reserve_flat_scratch 0
		.amdhsa_float_round_mode_32 0
		.amdhsa_float_round_mode_16_64 0
		.amdhsa_float_denorm_mode_32 3
		.amdhsa_float_denorm_mode_16_64 3
		.amdhsa_dx10_clamp 1
		.amdhsa_ieee_mode 1
		.amdhsa_fp16_overflow 0
		.amdhsa_tg_split 0
		.amdhsa_exception_fp_ieee_invalid_op 0
		.amdhsa_exception_fp_denorm_src 0
		.amdhsa_exception_fp_ieee_div_zero 0
		.amdhsa_exception_fp_ieee_overflow 0
		.amdhsa_exception_fp_ieee_underflow 0
		.amdhsa_exception_fp_ieee_inexact 0
		.amdhsa_exception_int_div_zero 0
	.end_amdhsa_kernel
	.section	.text._ZN7rocprim17ROCPRIM_400000_NS6detail17trampoline_kernelINS0_14default_configENS1_35radix_sort_onesweep_config_selectorIalEEZZNS1_29radix_sort_onesweep_iterationIS3_Lb0EPaS7_N6thrust23THRUST_200600_302600_NS10device_ptrIlEESB_jNS0_19identity_decomposerENS1_16block_id_wrapperIjLb0EEEEE10hipError_tT1_PNSt15iterator_traitsISG_E10value_typeET2_T3_PNSH_ISM_E10value_typeET4_T5_PSR_SS_PNS1_23onesweep_lookback_stateEbbT6_jjT7_P12ihipStream_tbENKUlT_T0_SG_SL_E_clIS7_S7_PlSB_EEDaSZ_S10_SG_SL_EUlSZ_E_NS1_11comp_targetILNS1_3genE10ELNS1_11target_archE1201ELNS1_3gpuE5ELNS1_3repE0EEENS1_47radix_sort_onesweep_sort_config_static_selectorELNS0_4arch9wavefront6targetE1EEEvSG_,"axG",@progbits,_ZN7rocprim17ROCPRIM_400000_NS6detail17trampoline_kernelINS0_14default_configENS1_35radix_sort_onesweep_config_selectorIalEEZZNS1_29radix_sort_onesweep_iterationIS3_Lb0EPaS7_N6thrust23THRUST_200600_302600_NS10device_ptrIlEESB_jNS0_19identity_decomposerENS1_16block_id_wrapperIjLb0EEEEE10hipError_tT1_PNSt15iterator_traitsISG_E10value_typeET2_T3_PNSH_ISM_E10value_typeET4_T5_PSR_SS_PNS1_23onesweep_lookback_stateEbbT6_jjT7_P12ihipStream_tbENKUlT_T0_SG_SL_E_clIS7_S7_PlSB_EEDaSZ_S10_SG_SL_EUlSZ_E_NS1_11comp_targetILNS1_3genE10ELNS1_11target_archE1201ELNS1_3gpuE5ELNS1_3repE0EEENS1_47radix_sort_onesweep_sort_config_static_selectorELNS0_4arch9wavefront6targetE1EEEvSG_,comdat
.Lfunc_end651:
	.size	_ZN7rocprim17ROCPRIM_400000_NS6detail17trampoline_kernelINS0_14default_configENS1_35radix_sort_onesweep_config_selectorIalEEZZNS1_29radix_sort_onesweep_iterationIS3_Lb0EPaS7_N6thrust23THRUST_200600_302600_NS10device_ptrIlEESB_jNS0_19identity_decomposerENS1_16block_id_wrapperIjLb0EEEEE10hipError_tT1_PNSt15iterator_traitsISG_E10value_typeET2_T3_PNSH_ISM_E10value_typeET4_T5_PSR_SS_PNS1_23onesweep_lookback_stateEbbT6_jjT7_P12ihipStream_tbENKUlT_T0_SG_SL_E_clIS7_S7_PlSB_EEDaSZ_S10_SG_SL_EUlSZ_E_NS1_11comp_targetILNS1_3genE10ELNS1_11target_archE1201ELNS1_3gpuE5ELNS1_3repE0EEENS1_47radix_sort_onesweep_sort_config_static_selectorELNS0_4arch9wavefront6targetE1EEEvSG_, .Lfunc_end651-_ZN7rocprim17ROCPRIM_400000_NS6detail17trampoline_kernelINS0_14default_configENS1_35radix_sort_onesweep_config_selectorIalEEZZNS1_29radix_sort_onesweep_iterationIS3_Lb0EPaS7_N6thrust23THRUST_200600_302600_NS10device_ptrIlEESB_jNS0_19identity_decomposerENS1_16block_id_wrapperIjLb0EEEEE10hipError_tT1_PNSt15iterator_traitsISG_E10value_typeET2_T3_PNSH_ISM_E10value_typeET4_T5_PSR_SS_PNS1_23onesweep_lookback_stateEbbT6_jjT7_P12ihipStream_tbENKUlT_T0_SG_SL_E_clIS7_S7_PlSB_EEDaSZ_S10_SG_SL_EUlSZ_E_NS1_11comp_targetILNS1_3genE10ELNS1_11target_archE1201ELNS1_3gpuE5ELNS1_3repE0EEENS1_47radix_sort_onesweep_sort_config_static_selectorELNS0_4arch9wavefront6targetE1EEEvSG_
                                        ; -- End function
	.section	.AMDGPU.csdata,"",@progbits
; Kernel info:
; codeLenInByte = 0
; NumSgprs: 4
; NumVgprs: 0
; NumAgprs: 0
; TotalNumVgprs: 0
; ScratchSize: 0
; MemoryBound: 0
; FloatMode: 240
; IeeeMode: 1
; LDSByteSize: 0 bytes/workgroup (compile time only)
; SGPRBlocks: 0
; VGPRBlocks: 0
; NumSGPRsForWavesPerEU: 4
; NumVGPRsForWavesPerEU: 1
; AccumOffset: 4
; Occupancy: 8
; WaveLimiterHint : 0
; COMPUTE_PGM_RSRC2:SCRATCH_EN: 0
; COMPUTE_PGM_RSRC2:USER_SGPR: 6
; COMPUTE_PGM_RSRC2:TRAP_HANDLER: 0
; COMPUTE_PGM_RSRC2:TGID_X_EN: 1
; COMPUTE_PGM_RSRC2:TGID_Y_EN: 0
; COMPUTE_PGM_RSRC2:TGID_Z_EN: 0
; COMPUTE_PGM_RSRC2:TIDIG_COMP_CNT: 0
; COMPUTE_PGM_RSRC3_GFX90A:ACCUM_OFFSET: 0
; COMPUTE_PGM_RSRC3_GFX90A:TG_SPLIT: 0
	.section	.text._ZN7rocprim17ROCPRIM_400000_NS6detail17trampoline_kernelINS0_14default_configENS1_35radix_sort_onesweep_config_selectorIalEEZZNS1_29radix_sort_onesweep_iterationIS3_Lb0EPaS7_N6thrust23THRUST_200600_302600_NS10device_ptrIlEESB_jNS0_19identity_decomposerENS1_16block_id_wrapperIjLb0EEEEE10hipError_tT1_PNSt15iterator_traitsISG_E10value_typeET2_T3_PNSH_ISM_E10value_typeET4_T5_PSR_SS_PNS1_23onesweep_lookback_stateEbbT6_jjT7_P12ihipStream_tbENKUlT_T0_SG_SL_E_clIS7_S7_PlSB_EEDaSZ_S10_SG_SL_EUlSZ_E_NS1_11comp_targetILNS1_3genE9ELNS1_11target_archE1100ELNS1_3gpuE3ELNS1_3repE0EEENS1_47radix_sort_onesweep_sort_config_static_selectorELNS0_4arch9wavefront6targetE1EEEvSG_,"axG",@progbits,_ZN7rocprim17ROCPRIM_400000_NS6detail17trampoline_kernelINS0_14default_configENS1_35radix_sort_onesweep_config_selectorIalEEZZNS1_29radix_sort_onesweep_iterationIS3_Lb0EPaS7_N6thrust23THRUST_200600_302600_NS10device_ptrIlEESB_jNS0_19identity_decomposerENS1_16block_id_wrapperIjLb0EEEEE10hipError_tT1_PNSt15iterator_traitsISG_E10value_typeET2_T3_PNSH_ISM_E10value_typeET4_T5_PSR_SS_PNS1_23onesweep_lookback_stateEbbT6_jjT7_P12ihipStream_tbENKUlT_T0_SG_SL_E_clIS7_S7_PlSB_EEDaSZ_S10_SG_SL_EUlSZ_E_NS1_11comp_targetILNS1_3genE9ELNS1_11target_archE1100ELNS1_3gpuE3ELNS1_3repE0EEENS1_47radix_sort_onesweep_sort_config_static_selectorELNS0_4arch9wavefront6targetE1EEEvSG_,comdat
	.protected	_ZN7rocprim17ROCPRIM_400000_NS6detail17trampoline_kernelINS0_14default_configENS1_35radix_sort_onesweep_config_selectorIalEEZZNS1_29radix_sort_onesweep_iterationIS3_Lb0EPaS7_N6thrust23THRUST_200600_302600_NS10device_ptrIlEESB_jNS0_19identity_decomposerENS1_16block_id_wrapperIjLb0EEEEE10hipError_tT1_PNSt15iterator_traitsISG_E10value_typeET2_T3_PNSH_ISM_E10value_typeET4_T5_PSR_SS_PNS1_23onesweep_lookback_stateEbbT6_jjT7_P12ihipStream_tbENKUlT_T0_SG_SL_E_clIS7_S7_PlSB_EEDaSZ_S10_SG_SL_EUlSZ_E_NS1_11comp_targetILNS1_3genE9ELNS1_11target_archE1100ELNS1_3gpuE3ELNS1_3repE0EEENS1_47radix_sort_onesweep_sort_config_static_selectorELNS0_4arch9wavefront6targetE1EEEvSG_ ; -- Begin function _ZN7rocprim17ROCPRIM_400000_NS6detail17trampoline_kernelINS0_14default_configENS1_35radix_sort_onesweep_config_selectorIalEEZZNS1_29radix_sort_onesweep_iterationIS3_Lb0EPaS7_N6thrust23THRUST_200600_302600_NS10device_ptrIlEESB_jNS0_19identity_decomposerENS1_16block_id_wrapperIjLb0EEEEE10hipError_tT1_PNSt15iterator_traitsISG_E10value_typeET2_T3_PNSH_ISM_E10value_typeET4_T5_PSR_SS_PNS1_23onesweep_lookback_stateEbbT6_jjT7_P12ihipStream_tbENKUlT_T0_SG_SL_E_clIS7_S7_PlSB_EEDaSZ_S10_SG_SL_EUlSZ_E_NS1_11comp_targetILNS1_3genE9ELNS1_11target_archE1100ELNS1_3gpuE3ELNS1_3repE0EEENS1_47radix_sort_onesweep_sort_config_static_selectorELNS0_4arch9wavefront6targetE1EEEvSG_
	.globl	_ZN7rocprim17ROCPRIM_400000_NS6detail17trampoline_kernelINS0_14default_configENS1_35radix_sort_onesweep_config_selectorIalEEZZNS1_29radix_sort_onesweep_iterationIS3_Lb0EPaS7_N6thrust23THRUST_200600_302600_NS10device_ptrIlEESB_jNS0_19identity_decomposerENS1_16block_id_wrapperIjLb0EEEEE10hipError_tT1_PNSt15iterator_traitsISG_E10value_typeET2_T3_PNSH_ISM_E10value_typeET4_T5_PSR_SS_PNS1_23onesweep_lookback_stateEbbT6_jjT7_P12ihipStream_tbENKUlT_T0_SG_SL_E_clIS7_S7_PlSB_EEDaSZ_S10_SG_SL_EUlSZ_E_NS1_11comp_targetILNS1_3genE9ELNS1_11target_archE1100ELNS1_3gpuE3ELNS1_3repE0EEENS1_47radix_sort_onesweep_sort_config_static_selectorELNS0_4arch9wavefront6targetE1EEEvSG_
	.p2align	8
	.type	_ZN7rocprim17ROCPRIM_400000_NS6detail17trampoline_kernelINS0_14default_configENS1_35radix_sort_onesweep_config_selectorIalEEZZNS1_29radix_sort_onesweep_iterationIS3_Lb0EPaS7_N6thrust23THRUST_200600_302600_NS10device_ptrIlEESB_jNS0_19identity_decomposerENS1_16block_id_wrapperIjLb0EEEEE10hipError_tT1_PNSt15iterator_traitsISG_E10value_typeET2_T3_PNSH_ISM_E10value_typeET4_T5_PSR_SS_PNS1_23onesweep_lookback_stateEbbT6_jjT7_P12ihipStream_tbENKUlT_T0_SG_SL_E_clIS7_S7_PlSB_EEDaSZ_S10_SG_SL_EUlSZ_E_NS1_11comp_targetILNS1_3genE9ELNS1_11target_archE1100ELNS1_3gpuE3ELNS1_3repE0EEENS1_47radix_sort_onesweep_sort_config_static_selectorELNS0_4arch9wavefront6targetE1EEEvSG_,@function
_ZN7rocprim17ROCPRIM_400000_NS6detail17trampoline_kernelINS0_14default_configENS1_35radix_sort_onesweep_config_selectorIalEEZZNS1_29radix_sort_onesweep_iterationIS3_Lb0EPaS7_N6thrust23THRUST_200600_302600_NS10device_ptrIlEESB_jNS0_19identity_decomposerENS1_16block_id_wrapperIjLb0EEEEE10hipError_tT1_PNSt15iterator_traitsISG_E10value_typeET2_T3_PNSH_ISM_E10value_typeET4_T5_PSR_SS_PNS1_23onesweep_lookback_stateEbbT6_jjT7_P12ihipStream_tbENKUlT_T0_SG_SL_E_clIS7_S7_PlSB_EEDaSZ_S10_SG_SL_EUlSZ_E_NS1_11comp_targetILNS1_3genE9ELNS1_11target_archE1100ELNS1_3gpuE3ELNS1_3repE0EEENS1_47radix_sort_onesweep_sort_config_static_selectorELNS0_4arch9wavefront6targetE1EEEvSG_: ; @_ZN7rocprim17ROCPRIM_400000_NS6detail17trampoline_kernelINS0_14default_configENS1_35radix_sort_onesweep_config_selectorIalEEZZNS1_29radix_sort_onesweep_iterationIS3_Lb0EPaS7_N6thrust23THRUST_200600_302600_NS10device_ptrIlEESB_jNS0_19identity_decomposerENS1_16block_id_wrapperIjLb0EEEEE10hipError_tT1_PNSt15iterator_traitsISG_E10value_typeET2_T3_PNSH_ISM_E10value_typeET4_T5_PSR_SS_PNS1_23onesweep_lookback_stateEbbT6_jjT7_P12ihipStream_tbENKUlT_T0_SG_SL_E_clIS7_S7_PlSB_EEDaSZ_S10_SG_SL_EUlSZ_E_NS1_11comp_targetILNS1_3genE9ELNS1_11target_archE1100ELNS1_3gpuE3ELNS1_3repE0EEENS1_47radix_sort_onesweep_sort_config_static_selectorELNS0_4arch9wavefront6targetE1EEEvSG_
; %bb.0:
	.section	.rodata,"a",@progbits
	.p2align	6, 0x0
	.amdhsa_kernel _ZN7rocprim17ROCPRIM_400000_NS6detail17trampoline_kernelINS0_14default_configENS1_35radix_sort_onesweep_config_selectorIalEEZZNS1_29radix_sort_onesweep_iterationIS3_Lb0EPaS7_N6thrust23THRUST_200600_302600_NS10device_ptrIlEESB_jNS0_19identity_decomposerENS1_16block_id_wrapperIjLb0EEEEE10hipError_tT1_PNSt15iterator_traitsISG_E10value_typeET2_T3_PNSH_ISM_E10value_typeET4_T5_PSR_SS_PNS1_23onesweep_lookback_stateEbbT6_jjT7_P12ihipStream_tbENKUlT_T0_SG_SL_E_clIS7_S7_PlSB_EEDaSZ_S10_SG_SL_EUlSZ_E_NS1_11comp_targetILNS1_3genE9ELNS1_11target_archE1100ELNS1_3gpuE3ELNS1_3repE0EEENS1_47radix_sort_onesweep_sort_config_static_selectorELNS0_4arch9wavefront6targetE1EEEvSG_
		.amdhsa_group_segment_fixed_size 0
		.amdhsa_private_segment_fixed_size 0
		.amdhsa_kernarg_size 88
		.amdhsa_user_sgpr_count 6
		.amdhsa_user_sgpr_private_segment_buffer 1
		.amdhsa_user_sgpr_dispatch_ptr 0
		.amdhsa_user_sgpr_queue_ptr 0
		.amdhsa_user_sgpr_kernarg_segment_ptr 1
		.amdhsa_user_sgpr_dispatch_id 0
		.amdhsa_user_sgpr_flat_scratch_init 0
		.amdhsa_user_sgpr_kernarg_preload_length 0
		.amdhsa_user_sgpr_kernarg_preload_offset 0
		.amdhsa_user_sgpr_private_segment_size 0
		.amdhsa_uses_dynamic_stack 0
		.amdhsa_system_sgpr_private_segment_wavefront_offset 0
		.amdhsa_system_sgpr_workgroup_id_x 1
		.amdhsa_system_sgpr_workgroup_id_y 0
		.amdhsa_system_sgpr_workgroup_id_z 0
		.amdhsa_system_sgpr_workgroup_info 0
		.amdhsa_system_vgpr_workitem_id 0
		.amdhsa_next_free_vgpr 1
		.amdhsa_next_free_sgpr 0
		.amdhsa_accum_offset 4
		.amdhsa_reserve_vcc 0
		.amdhsa_reserve_flat_scratch 0
		.amdhsa_float_round_mode_32 0
		.amdhsa_float_round_mode_16_64 0
		.amdhsa_float_denorm_mode_32 3
		.amdhsa_float_denorm_mode_16_64 3
		.amdhsa_dx10_clamp 1
		.amdhsa_ieee_mode 1
		.amdhsa_fp16_overflow 0
		.amdhsa_tg_split 0
		.amdhsa_exception_fp_ieee_invalid_op 0
		.amdhsa_exception_fp_denorm_src 0
		.amdhsa_exception_fp_ieee_div_zero 0
		.amdhsa_exception_fp_ieee_overflow 0
		.amdhsa_exception_fp_ieee_underflow 0
		.amdhsa_exception_fp_ieee_inexact 0
		.amdhsa_exception_int_div_zero 0
	.end_amdhsa_kernel
	.section	.text._ZN7rocprim17ROCPRIM_400000_NS6detail17trampoline_kernelINS0_14default_configENS1_35radix_sort_onesweep_config_selectorIalEEZZNS1_29radix_sort_onesweep_iterationIS3_Lb0EPaS7_N6thrust23THRUST_200600_302600_NS10device_ptrIlEESB_jNS0_19identity_decomposerENS1_16block_id_wrapperIjLb0EEEEE10hipError_tT1_PNSt15iterator_traitsISG_E10value_typeET2_T3_PNSH_ISM_E10value_typeET4_T5_PSR_SS_PNS1_23onesweep_lookback_stateEbbT6_jjT7_P12ihipStream_tbENKUlT_T0_SG_SL_E_clIS7_S7_PlSB_EEDaSZ_S10_SG_SL_EUlSZ_E_NS1_11comp_targetILNS1_3genE9ELNS1_11target_archE1100ELNS1_3gpuE3ELNS1_3repE0EEENS1_47radix_sort_onesweep_sort_config_static_selectorELNS0_4arch9wavefront6targetE1EEEvSG_,"axG",@progbits,_ZN7rocprim17ROCPRIM_400000_NS6detail17trampoline_kernelINS0_14default_configENS1_35radix_sort_onesweep_config_selectorIalEEZZNS1_29radix_sort_onesweep_iterationIS3_Lb0EPaS7_N6thrust23THRUST_200600_302600_NS10device_ptrIlEESB_jNS0_19identity_decomposerENS1_16block_id_wrapperIjLb0EEEEE10hipError_tT1_PNSt15iterator_traitsISG_E10value_typeET2_T3_PNSH_ISM_E10value_typeET4_T5_PSR_SS_PNS1_23onesweep_lookback_stateEbbT6_jjT7_P12ihipStream_tbENKUlT_T0_SG_SL_E_clIS7_S7_PlSB_EEDaSZ_S10_SG_SL_EUlSZ_E_NS1_11comp_targetILNS1_3genE9ELNS1_11target_archE1100ELNS1_3gpuE3ELNS1_3repE0EEENS1_47radix_sort_onesweep_sort_config_static_selectorELNS0_4arch9wavefront6targetE1EEEvSG_,comdat
.Lfunc_end652:
	.size	_ZN7rocprim17ROCPRIM_400000_NS6detail17trampoline_kernelINS0_14default_configENS1_35radix_sort_onesweep_config_selectorIalEEZZNS1_29radix_sort_onesweep_iterationIS3_Lb0EPaS7_N6thrust23THRUST_200600_302600_NS10device_ptrIlEESB_jNS0_19identity_decomposerENS1_16block_id_wrapperIjLb0EEEEE10hipError_tT1_PNSt15iterator_traitsISG_E10value_typeET2_T3_PNSH_ISM_E10value_typeET4_T5_PSR_SS_PNS1_23onesweep_lookback_stateEbbT6_jjT7_P12ihipStream_tbENKUlT_T0_SG_SL_E_clIS7_S7_PlSB_EEDaSZ_S10_SG_SL_EUlSZ_E_NS1_11comp_targetILNS1_3genE9ELNS1_11target_archE1100ELNS1_3gpuE3ELNS1_3repE0EEENS1_47radix_sort_onesweep_sort_config_static_selectorELNS0_4arch9wavefront6targetE1EEEvSG_, .Lfunc_end652-_ZN7rocprim17ROCPRIM_400000_NS6detail17trampoline_kernelINS0_14default_configENS1_35radix_sort_onesweep_config_selectorIalEEZZNS1_29radix_sort_onesweep_iterationIS3_Lb0EPaS7_N6thrust23THRUST_200600_302600_NS10device_ptrIlEESB_jNS0_19identity_decomposerENS1_16block_id_wrapperIjLb0EEEEE10hipError_tT1_PNSt15iterator_traitsISG_E10value_typeET2_T3_PNSH_ISM_E10value_typeET4_T5_PSR_SS_PNS1_23onesweep_lookback_stateEbbT6_jjT7_P12ihipStream_tbENKUlT_T0_SG_SL_E_clIS7_S7_PlSB_EEDaSZ_S10_SG_SL_EUlSZ_E_NS1_11comp_targetILNS1_3genE9ELNS1_11target_archE1100ELNS1_3gpuE3ELNS1_3repE0EEENS1_47radix_sort_onesweep_sort_config_static_selectorELNS0_4arch9wavefront6targetE1EEEvSG_
                                        ; -- End function
	.section	.AMDGPU.csdata,"",@progbits
; Kernel info:
; codeLenInByte = 0
; NumSgprs: 4
; NumVgprs: 0
; NumAgprs: 0
; TotalNumVgprs: 0
; ScratchSize: 0
; MemoryBound: 0
; FloatMode: 240
; IeeeMode: 1
; LDSByteSize: 0 bytes/workgroup (compile time only)
; SGPRBlocks: 0
; VGPRBlocks: 0
; NumSGPRsForWavesPerEU: 4
; NumVGPRsForWavesPerEU: 1
; AccumOffset: 4
; Occupancy: 8
; WaveLimiterHint : 0
; COMPUTE_PGM_RSRC2:SCRATCH_EN: 0
; COMPUTE_PGM_RSRC2:USER_SGPR: 6
; COMPUTE_PGM_RSRC2:TRAP_HANDLER: 0
; COMPUTE_PGM_RSRC2:TGID_X_EN: 1
; COMPUTE_PGM_RSRC2:TGID_Y_EN: 0
; COMPUTE_PGM_RSRC2:TGID_Z_EN: 0
; COMPUTE_PGM_RSRC2:TIDIG_COMP_CNT: 0
; COMPUTE_PGM_RSRC3_GFX90A:ACCUM_OFFSET: 0
; COMPUTE_PGM_RSRC3_GFX90A:TG_SPLIT: 0
	.section	.text._ZN7rocprim17ROCPRIM_400000_NS6detail17trampoline_kernelINS0_14default_configENS1_35radix_sort_onesweep_config_selectorIalEEZZNS1_29radix_sort_onesweep_iterationIS3_Lb0EPaS7_N6thrust23THRUST_200600_302600_NS10device_ptrIlEESB_jNS0_19identity_decomposerENS1_16block_id_wrapperIjLb0EEEEE10hipError_tT1_PNSt15iterator_traitsISG_E10value_typeET2_T3_PNSH_ISM_E10value_typeET4_T5_PSR_SS_PNS1_23onesweep_lookback_stateEbbT6_jjT7_P12ihipStream_tbENKUlT_T0_SG_SL_E_clIS7_S7_PlSB_EEDaSZ_S10_SG_SL_EUlSZ_E_NS1_11comp_targetILNS1_3genE8ELNS1_11target_archE1030ELNS1_3gpuE2ELNS1_3repE0EEENS1_47radix_sort_onesweep_sort_config_static_selectorELNS0_4arch9wavefront6targetE1EEEvSG_,"axG",@progbits,_ZN7rocprim17ROCPRIM_400000_NS6detail17trampoline_kernelINS0_14default_configENS1_35radix_sort_onesweep_config_selectorIalEEZZNS1_29radix_sort_onesweep_iterationIS3_Lb0EPaS7_N6thrust23THRUST_200600_302600_NS10device_ptrIlEESB_jNS0_19identity_decomposerENS1_16block_id_wrapperIjLb0EEEEE10hipError_tT1_PNSt15iterator_traitsISG_E10value_typeET2_T3_PNSH_ISM_E10value_typeET4_T5_PSR_SS_PNS1_23onesweep_lookback_stateEbbT6_jjT7_P12ihipStream_tbENKUlT_T0_SG_SL_E_clIS7_S7_PlSB_EEDaSZ_S10_SG_SL_EUlSZ_E_NS1_11comp_targetILNS1_3genE8ELNS1_11target_archE1030ELNS1_3gpuE2ELNS1_3repE0EEENS1_47radix_sort_onesweep_sort_config_static_selectorELNS0_4arch9wavefront6targetE1EEEvSG_,comdat
	.protected	_ZN7rocprim17ROCPRIM_400000_NS6detail17trampoline_kernelINS0_14default_configENS1_35radix_sort_onesweep_config_selectorIalEEZZNS1_29radix_sort_onesweep_iterationIS3_Lb0EPaS7_N6thrust23THRUST_200600_302600_NS10device_ptrIlEESB_jNS0_19identity_decomposerENS1_16block_id_wrapperIjLb0EEEEE10hipError_tT1_PNSt15iterator_traitsISG_E10value_typeET2_T3_PNSH_ISM_E10value_typeET4_T5_PSR_SS_PNS1_23onesweep_lookback_stateEbbT6_jjT7_P12ihipStream_tbENKUlT_T0_SG_SL_E_clIS7_S7_PlSB_EEDaSZ_S10_SG_SL_EUlSZ_E_NS1_11comp_targetILNS1_3genE8ELNS1_11target_archE1030ELNS1_3gpuE2ELNS1_3repE0EEENS1_47radix_sort_onesweep_sort_config_static_selectorELNS0_4arch9wavefront6targetE1EEEvSG_ ; -- Begin function _ZN7rocprim17ROCPRIM_400000_NS6detail17trampoline_kernelINS0_14default_configENS1_35radix_sort_onesweep_config_selectorIalEEZZNS1_29radix_sort_onesweep_iterationIS3_Lb0EPaS7_N6thrust23THRUST_200600_302600_NS10device_ptrIlEESB_jNS0_19identity_decomposerENS1_16block_id_wrapperIjLb0EEEEE10hipError_tT1_PNSt15iterator_traitsISG_E10value_typeET2_T3_PNSH_ISM_E10value_typeET4_T5_PSR_SS_PNS1_23onesweep_lookback_stateEbbT6_jjT7_P12ihipStream_tbENKUlT_T0_SG_SL_E_clIS7_S7_PlSB_EEDaSZ_S10_SG_SL_EUlSZ_E_NS1_11comp_targetILNS1_3genE8ELNS1_11target_archE1030ELNS1_3gpuE2ELNS1_3repE0EEENS1_47radix_sort_onesweep_sort_config_static_selectorELNS0_4arch9wavefront6targetE1EEEvSG_
	.globl	_ZN7rocprim17ROCPRIM_400000_NS6detail17trampoline_kernelINS0_14default_configENS1_35radix_sort_onesweep_config_selectorIalEEZZNS1_29radix_sort_onesweep_iterationIS3_Lb0EPaS7_N6thrust23THRUST_200600_302600_NS10device_ptrIlEESB_jNS0_19identity_decomposerENS1_16block_id_wrapperIjLb0EEEEE10hipError_tT1_PNSt15iterator_traitsISG_E10value_typeET2_T3_PNSH_ISM_E10value_typeET4_T5_PSR_SS_PNS1_23onesweep_lookback_stateEbbT6_jjT7_P12ihipStream_tbENKUlT_T0_SG_SL_E_clIS7_S7_PlSB_EEDaSZ_S10_SG_SL_EUlSZ_E_NS1_11comp_targetILNS1_3genE8ELNS1_11target_archE1030ELNS1_3gpuE2ELNS1_3repE0EEENS1_47radix_sort_onesweep_sort_config_static_selectorELNS0_4arch9wavefront6targetE1EEEvSG_
	.p2align	8
	.type	_ZN7rocprim17ROCPRIM_400000_NS6detail17trampoline_kernelINS0_14default_configENS1_35radix_sort_onesweep_config_selectorIalEEZZNS1_29radix_sort_onesweep_iterationIS3_Lb0EPaS7_N6thrust23THRUST_200600_302600_NS10device_ptrIlEESB_jNS0_19identity_decomposerENS1_16block_id_wrapperIjLb0EEEEE10hipError_tT1_PNSt15iterator_traitsISG_E10value_typeET2_T3_PNSH_ISM_E10value_typeET4_T5_PSR_SS_PNS1_23onesweep_lookback_stateEbbT6_jjT7_P12ihipStream_tbENKUlT_T0_SG_SL_E_clIS7_S7_PlSB_EEDaSZ_S10_SG_SL_EUlSZ_E_NS1_11comp_targetILNS1_3genE8ELNS1_11target_archE1030ELNS1_3gpuE2ELNS1_3repE0EEENS1_47radix_sort_onesweep_sort_config_static_selectorELNS0_4arch9wavefront6targetE1EEEvSG_,@function
_ZN7rocprim17ROCPRIM_400000_NS6detail17trampoline_kernelINS0_14default_configENS1_35radix_sort_onesweep_config_selectorIalEEZZNS1_29radix_sort_onesweep_iterationIS3_Lb0EPaS7_N6thrust23THRUST_200600_302600_NS10device_ptrIlEESB_jNS0_19identity_decomposerENS1_16block_id_wrapperIjLb0EEEEE10hipError_tT1_PNSt15iterator_traitsISG_E10value_typeET2_T3_PNSH_ISM_E10value_typeET4_T5_PSR_SS_PNS1_23onesweep_lookback_stateEbbT6_jjT7_P12ihipStream_tbENKUlT_T0_SG_SL_E_clIS7_S7_PlSB_EEDaSZ_S10_SG_SL_EUlSZ_E_NS1_11comp_targetILNS1_3genE8ELNS1_11target_archE1030ELNS1_3gpuE2ELNS1_3repE0EEENS1_47radix_sort_onesweep_sort_config_static_selectorELNS0_4arch9wavefront6targetE1EEEvSG_: ; @_ZN7rocprim17ROCPRIM_400000_NS6detail17trampoline_kernelINS0_14default_configENS1_35radix_sort_onesweep_config_selectorIalEEZZNS1_29radix_sort_onesweep_iterationIS3_Lb0EPaS7_N6thrust23THRUST_200600_302600_NS10device_ptrIlEESB_jNS0_19identity_decomposerENS1_16block_id_wrapperIjLb0EEEEE10hipError_tT1_PNSt15iterator_traitsISG_E10value_typeET2_T3_PNSH_ISM_E10value_typeET4_T5_PSR_SS_PNS1_23onesweep_lookback_stateEbbT6_jjT7_P12ihipStream_tbENKUlT_T0_SG_SL_E_clIS7_S7_PlSB_EEDaSZ_S10_SG_SL_EUlSZ_E_NS1_11comp_targetILNS1_3genE8ELNS1_11target_archE1030ELNS1_3gpuE2ELNS1_3repE0EEENS1_47radix_sort_onesweep_sort_config_static_selectorELNS0_4arch9wavefront6targetE1EEEvSG_
; %bb.0:
	.section	.rodata,"a",@progbits
	.p2align	6, 0x0
	.amdhsa_kernel _ZN7rocprim17ROCPRIM_400000_NS6detail17trampoline_kernelINS0_14default_configENS1_35radix_sort_onesweep_config_selectorIalEEZZNS1_29radix_sort_onesweep_iterationIS3_Lb0EPaS7_N6thrust23THRUST_200600_302600_NS10device_ptrIlEESB_jNS0_19identity_decomposerENS1_16block_id_wrapperIjLb0EEEEE10hipError_tT1_PNSt15iterator_traitsISG_E10value_typeET2_T3_PNSH_ISM_E10value_typeET4_T5_PSR_SS_PNS1_23onesweep_lookback_stateEbbT6_jjT7_P12ihipStream_tbENKUlT_T0_SG_SL_E_clIS7_S7_PlSB_EEDaSZ_S10_SG_SL_EUlSZ_E_NS1_11comp_targetILNS1_3genE8ELNS1_11target_archE1030ELNS1_3gpuE2ELNS1_3repE0EEENS1_47radix_sort_onesweep_sort_config_static_selectorELNS0_4arch9wavefront6targetE1EEEvSG_
		.amdhsa_group_segment_fixed_size 0
		.amdhsa_private_segment_fixed_size 0
		.amdhsa_kernarg_size 88
		.amdhsa_user_sgpr_count 6
		.amdhsa_user_sgpr_private_segment_buffer 1
		.amdhsa_user_sgpr_dispatch_ptr 0
		.amdhsa_user_sgpr_queue_ptr 0
		.amdhsa_user_sgpr_kernarg_segment_ptr 1
		.amdhsa_user_sgpr_dispatch_id 0
		.amdhsa_user_sgpr_flat_scratch_init 0
		.amdhsa_user_sgpr_kernarg_preload_length 0
		.amdhsa_user_sgpr_kernarg_preload_offset 0
		.amdhsa_user_sgpr_private_segment_size 0
		.amdhsa_uses_dynamic_stack 0
		.amdhsa_system_sgpr_private_segment_wavefront_offset 0
		.amdhsa_system_sgpr_workgroup_id_x 1
		.amdhsa_system_sgpr_workgroup_id_y 0
		.amdhsa_system_sgpr_workgroup_id_z 0
		.amdhsa_system_sgpr_workgroup_info 0
		.amdhsa_system_vgpr_workitem_id 0
		.amdhsa_next_free_vgpr 1
		.amdhsa_next_free_sgpr 0
		.amdhsa_accum_offset 4
		.amdhsa_reserve_vcc 0
		.amdhsa_reserve_flat_scratch 0
		.amdhsa_float_round_mode_32 0
		.amdhsa_float_round_mode_16_64 0
		.amdhsa_float_denorm_mode_32 3
		.amdhsa_float_denorm_mode_16_64 3
		.amdhsa_dx10_clamp 1
		.amdhsa_ieee_mode 1
		.amdhsa_fp16_overflow 0
		.amdhsa_tg_split 0
		.amdhsa_exception_fp_ieee_invalid_op 0
		.amdhsa_exception_fp_denorm_src 0
		.amdhsa_exception_fp_ieee_div_zero 0
		.amdhsa_exception_fp_ieee_overflow 0
		.amdhsa_exception_fp_ieee_underflow 0
		.amdhsa_exception_fp_ieee_inexact 0
		.amdhsa_exception_int_div_zero 0
	.end_amdhsa_kernel
	.section	.text._ZN7rocprim17ROCPRIM_400000_NS6detail17trampoline_kernelINS0_14default_configENS1_35radix_sort_onesweep_config_selectorIalEEZZNS1_29radix_sort_onesweep_iterationIS3_Lb0EPaS7_N6thrust23THRUST_200600_302600_NS10device_ptrIlEESB_jNS0_19identity_decomposerENS1_16block_id_wrapperIjLb0EEEEE10hipError_tT1_PNSt15iterator_traitsISG_E10value_typeET2_T3_PNSH_ISM_E10value_typeET4_T5_PSR_SS_PNS1_23onesweep_lookback_stateEbbT6_jjT7_P12ihipStream_tbENKUlT_T0_SG_SL_E_clIS7_S7_PlSB_EEDaSZ_S10_SG_SL_EUlSZ_E_NS1_11comp_targetILNS1_3genE8ELNS1_11target_archE1030ELNS1_3gpuE2ELNS1_3repE0EEENS1_47radix_sort_onesweep_sort_config_static_selectorELNS0_4arch9wavefront6targetE1EEEvSG_,"axG",@progbits,_ZN7rocprim17ROCPRIM_400000_NS6detail17trampoline_kernelINS0_14default_configENS1_35radix_sort_onesweep_config_selectorIalEEZZNS1_29radix_sort_onesweep_iterationIS3_Lb0EPaS7_N6thrust23THRUST_200600_302600_NS10device_ptrIlEESB_jNS0_19identity_decomposerENS1_16block_id_wrapperIjLb0EEEEE10hipError_tT1_PNSt15iterator_traitsISG_E10value_typeET2_T3_PNSH_ISM_E10value_typeET4_T5_PSR_SS_PNS1_23onesweep_lookback_stateEbbT6_jjT7_P12ihipStream_tbENKUlT_T0_SG_SL_E_clIS7_S7_PlSB_EEDaSZ_S10_SG_SL_EUlSZ_E_NS1_11comp_targetILNS1_3genE8ELNS1_11target_archE1030ELNS1_3gpuE2ELNS1_3repE0EEENS1_47radix_sort_onesweep_sort_config_static_selectorELNS0_4arch9wavefront6targetE1EEEvSG_,comdat
.Lfunc_end653:
	.size	_ZN7rocprim17ROCPRIM_400000_NS6detail17trampoline_kernelINS0_14default_configENS1_35radix_sort_onesweep_config_selectorIalEEZZNS1_29radix_sort_onesweep_iterationIS3_Lb0EPaS7_N6thrust23THRUST_200600_302600_NS10device_ptrIlEESB_jNS0_19identity_decomposerENS1_16block_id_wrapperIjLb0EEEEE10hipError_tT1_PNSt15iterator_traitsISG_E10value_typeET2_T3_PNSH_ISM_E10value_typeET4_T5_PSR_SS_PNS1_23onesweep_lookback_stateEbbT6_jjT7_P12ihipStream_tbENKUlT_T0_SG_SL_E_clIS7_S7_PlSB_EEDaSZ_S10_SG_SL_EUlSZ_E_NS1_11comp_targetILNS1_3genE8ELNS1_11target_archE1030ELNS1_3gpuE2ELNS1_3repE0EEENS1_47radix_sort_onesweep_sort_config_static_selectorELNS0_4arch9wavefront6targetE1EEEvSG_, .Lfunc_end653-_ZN7rocprim17ROCPRIM_400000_NS6detail17trampoline_kernelINS0_14default_configENS1_35radix_sort_onesweep_config_selectorIalEEZZNS1_29radix_sort_onesweep_iterationIS3_Lb0EPaS7_N6thrust23THRUST_200600_302600_NS10device_ptrIlEESB_jNS0_19identity_decomposerENS1_16block_id_wrapperIjLb0EEEEE10hipError_tT1_PNSt15iterator_traitsISG_E10value_typeET2_T3_PNSH_ISM_E10value_typeET4_T5_PSR_SS_PNS1_23onesweep_lookback_stateEbbT6_jjT7_P12ihipStream_tbENKUlT_T0_SG_SL_E_clIS7_S7_PlSB_EEDaSZ_S10_SG_SL_EUlSZ_E_NS1_11comp_targetILNS1_3genE8ELNS1_11target_archE1030ELNS1_3gpuE2ELNS1_3repE0EEENS1_47radix_sort_onesweep_sort_config_static_selectorELNS0_4arch9wavefront6targetE1EEEvSG_
                                        ; -- End function
	.section	.AMDGPU.csdata,"",@progbits
; Kernel info:
; codeLenInByte = 0
; NumSgprs: 4
; NumVgprs: 0
; NumAgprs: 0
; TotalNumVgprs: 0
; ScratchSize: 0
; MemoryBound: 0
; FloatMode: 240
; IeeeMode: 1
; LDSByteSize: 0 bytes/workgroup (compile time only)
; SGPRBlocks: 0
; VGPRBlocks: 0
; NumSGPRsForWavesPerEU: 4
; NumVGPRsForWavesPerEU: 1
; AccumOffset: 4
; Occupancy: 8
; WaveLimiterHint : 0
; COMPUTE_PGM_RSRC2:SCRATCH_EN: 0
; COMPUTE_PGM_RSRC2:USER_SGPR: 6
; COMPUTE_PGM_RSRC2:TRAP_HANDLER: 0
; COMPUTE_PGM_RSRC2:TGID_X_EN: 1
; COMPUTE_PGM_RSRC2:TGID_Y_EN: 0
; COMPUTE_PGM_RSRC2:TGID_Z_EN: 0
; COMPUTE_PGM_RSRC2:TIDIG_COMP_CNT: 0
; COMPUTE_PGM_RSRC3_GFX90A:ACCUM_OFFSET: 0
; COMPUTE_PGM_RSRC3_GFX90A:TG_SPLIT: 0
	.section	.text._ZN7rocprim17ROCPRIM_400000_NS6detail17trampoline_kernelINS0_14default_configENS1_22reduce_config_selectorIiEEZNS1_11reduce_implILb1ES3_N6thrust23THRUST_200600_302600_NS11hip_rocprim35transform_pair_of_input_iterators_tIiPaSB_NS8_12not_equal_toIaEEEEPiiNS8_4plusIiEEEE10hipError_tPvRmT1_T2_T3_mT4_P12ihipStream_tbEUlT_E0_NS1_11comp_targetILNS1_3genE0ELNS1_11target_archE4294967295ELNS1_3gpuE0ELNS1_3repE0EEENS1_30default_config_static_selectorELNS0_4arch9wavefront6targetE1EEEvSL_,"axG",@progbits,_ZN7rocprim17ROCPRIM_400000_NS6detail17trampoline_kernelINS0_14default_configENS1_22reduce_config_selectorIiEEZNS1_11reduce_implILb1ES3_N6thrust23THRUST_200600_302600_NS11hip_rocprim35transform_pair_of_input_iterators_tIiPaSB_NS8_12not_equal_toIaEEEEPiiNS8_4plusIiEEEE10hipError_tPvRmT1_T2_T3_mT4_P12ihipStream_tbEUlT_E0_NS1_11comp_targetILNS1_3genE0ELNS1_11target_archE4294967295ELNS1_3gpuE0ELNS1_3repE0EEENS1_30default_config_static_selectorELNS0_4arch9wavefront6targetE1EEEvSL_,comdat
	.protected	_ZN7rocprim17ROCPRIM_400000_NS6detail17trampoline_kernelINS0_14default_configENS1_22reduce_config_selectorIiEEZNS1_11reduce_implILb1ES3_N6thrust23THRUST_200600_302600_NS11hip_rocprim35transform_pair_of_input_iterators_tIiPaSB_NS8_12not_equal_toIaEEEEPiiNS8_4plusIiEEEE10hipError_tPvRmT1_T2_T3_mT4_P12ihipStream_tbEUlT_E0_NS1_11comp_targetILNS1_3genE0ELNS1_11target_archE4294967295ELNS1_3gpuE0ELNS1_3repE0EEENS1_30default_config_static_selectorELNS0_4arch9wavefront6targetE1EEEvSL_ ; -- Begin function _ZN7rocprim17ROCPRIM_400000_NS6detail17trampoline_kernelINS0_14default_configENS1_22reduce_config_selectorIiEEZNS1_11reduce_implILb1ES3_N6thrust23THRUST_200600_302600_NS11hip_rocprim35transform_pair_of_input_iterators_tIiPaSB_NS8_12not_equal_toIaEEEEPiiNS8_4plusIiEEEE10hipError_tPvRmT1_T2_T3_mT4_P12ihipStream_tbEUlT_E0_NS1_11comp_targetILNS1_3genE0ELNS1_11target_archE4294967295ELNS1_3gpuE0ELNS1_3repE0EEENS1_30default_config_static_selectorELNS0_4arch9wavefront6targetE1EEEvSL_
	.globl	_ZN7rocprim17ROCPRIM_400000_NS6detail17trampoline_kernelINS0_14default_configENS1_22reduce_config_selectorIiEEZNS1_11reduce_implILb1ES3_N6thrust23THRUST_200600_302600_NS11hip_rocprim35transform_pair_of_input_iterators_tIiPaSB_NS8_12not_equal_toIaEEEEPiiNS8_4plusIiEEEE10hipError_tPvRmT1_T2_T3_mT4_P12ihipStream_tbEUlT_E0_NS1_11comp_targetILNS1_3genE0ELNS1_11target_archE4294967295ELNS1_3gpuE0ELNS1_3repE0EEENS1_30default_config_static_selectorELNS0_4arch9wavefront6targetE1EEEvSL_
	.p2align	8
	.type	_ZN7rocprim17ROCPRIM_400000_NS6detail17trampoline_kernelINS0_14default_configENS1_22reduce_config_selectorIiEEZNS1_11reduce_implILb1ES3_N6thrust23THRUST_200600_302600_NS11hip_rocprim35transform_pair_of_input_iterators_tIiPaSB_NS8_12not_equal_toIaEEEEPiiNS8_4plusIiEEEE10hipError_tPvRmT1_T2_T3_mT4_P12ihipStream_tbEUlT_E0_NS1_11comp_targetILNS1_3genE0ELNS1_11target_archE4294967295ELNS1_3gpuE0ELNS1_3repE0EEENS1_30default_config_static_selectorELNS0_4arch9wavefront6targetE1EEEvSL_,@function
_ZN7rocprim17ROCPRIM_400000_NS6detail17trampoline_kernelINS0_14default_configENS1_22reduce_config_selectorIiEEZNS1_11reduce_implILb1ES3_N6thrust23THRUST_200600_302600_NS11hip_rocprim35transform_pair_of_input_iterators_tIiPaSB_NS8_12not_equal_toIaEEEEPiiNS8_4plusIiEEEE10hipError_tPvRmT1_T2_T3_mT4_P12ihipStream_tbEUlT_E0_NS1_11comp_targetILNS1_3genE0ELNS1_11target_archE4294967295ELNS1_3gpuE0ELNS1_3repE0EEENS1_30default_config_static_selectorELNS0_4arch9wavefront6targetE1EEEvSL_: ; @_ZN7rocprim17ROCPRIM_400000_NS6detail17trampoline_kernelINS0_14default_configENS1_22reduce_config_selectorIiEEZNS1_11reduce_implILb1ES3_N6thrust23THRUST_200600_302600_NS11hip_rocprim35transform_pair_of_input_iterators_tIiPaSB_NS8_12not_equal_toIaEEEEPiiNS8_4plusIiEEEE10hipError_tPvRmT1_T2_T3_mT4_P12ihipStream_tbEUlT_E0_NS1_11comp_targetILNS1_3genE0ELNS1_11target_archE4294967295ELNS1_3gpuE0ELNS1_3repE0EEENS1_30default_config_static_selectorELNS0_4arch9wavefront6targetE1EEEvSL_
; %bb.0:
	.section	.rodata,"a",@progbits
	.p2align	6, 0x0
	.amdhsa_kernel _ZN7rocprim17ROCPRIM_400000_NS6detail17trampoline_kernelINS0_14default_configENS1_22reduce_config_selectorIiEEZNS1_11reduce_implILb1ES3_N6thrust23THRUST_200600_302600_NS11hip_rocprim35transform_pair_of_input_iterators_tIiPaSB_NS8_12not_equal_toIaEEEEPiiNS8_4plusIiEEEE10hipError_tPvRmT1_T2_T3_mT4_P12ihipStream_tbEUlT_E0_NS1_11comp_targetILNS1_3genE0ELNS1_11target_archE4294967295ELNS1_3gpuE0ELNS1_3repE0EEENS1_30default_config_static_selectorELNS0_4arch9wavefront6targetE1EEEvSL_
		.amdhsa_group_segment_fixed_size 0
		.amdhsa_private_segment_fixed_size 0
		.amdhsa_kernarg_size 72
		.amdhsa_user_sgpr_count 6
		.amdhsa_user_sgpr_private_segment_buffer 1
		.amdhsa_user_sgpr_dispatch_ptr 0
		.amdhsa_user_sgpr_queue_ptr 0
		.amdhsa_user_sgpr_kernarg_segment_ptr 1
		.amdhsa_user_sgpr_dispatch_id 0
		.amdhsa_user_sgpr_flat_scratch_init 0
		.amdhsa_user_sgpr_kernarg_preload_length 0
		.amdhsa_user_sgpr_kernarg_preload_offset 0
		.amdhsa_user_sgpr_private_segment_size 0
		.amdhsa_uses_dynamic_stack 0
		.amdhsa_system_sgpr_private_segment_wavefront_offset 0
		.amdhsa_system_sgpr_workgroup_id_x 1
		.amdhsa_system_sgpr_workgroup_id_y 0
		.amdhsa_system_sgpr_workgroup_id_z 0
		.amdhsa_system_sgpr_workgroup_info 0
		.amdhsa_system_vgpr_workitem_id 0
		.amdhsa_next_free_vgpr 1
		.amdhsa_next_free_sgpr 0
		.amdhsa_accum_offset 4
		.amdhsa_reserve_vcc 0
		.amdhsa_reserve_flat_scratch 0
		.amdhsa_float_round_mode_32 0
		.amdhsa_float_round_mode_16_64 0
		.amdhsa_float_denorm_mode_32 3
		.amdhsa_float_denorm_mode_16_64 3
		.amdhsa_dx10_clamp 1
		.amdhsa_ieee_mode 1
		.amdhsa_fp16_overflow 0
		.amdhsa_tg_split 0
		.amdhsa_exception_fp_ieee_invalid_op 0
		.amdhsa_exception_fp_denorm_src 0
		.amdhsa_exception_fp_ieee_div_zero 0
		.amdhsa_exception_fp_ieee_overflow 0
		.amdhsa_exception_fp_ieee_underflow 0
		.amdhsa_exception_fp_ieee_inexact 0
		.amdhsa_exception_int_div_zero 0
	.end_amdhsa_kernel
	.section	.text._ZN7rocprim17ROCPRIM_400000_NS6detail17trampoline_kernelINS0_14default_configENS1_22reduce_config_selectorIiEEZNS1_11reduce_implILb1ES3_N6thrust23THRUST_200600_302600_NS11hip_rocprim35transform_pair_of_input_iterators_tIiPaSB_NS8_12not_equal_toIaEEEEPiiNS8_4plusIiEEEE10hipError_tPvRmT1_T2_T3_mT4_P12ihipStream_tbEUlT_E0_NS1_11comp_targetILNS1_3genE0ELNS1_11target_archE4294967295ELNS1_3gpuE0ELNS1_3repE0EEENS1_30default_config_static_selectorELNS0_4arch9wavefront6targetE1EEEvSL_,"axG",@progbits,_ZN7rocprim17ROCPRIM_400000_NS6detail17trampoline_kernelINS0_14default_configENS1_22reduce_config_selectorIiEEZNS1_11reduce_implILb1ES3_N6thrust23THRUST_200600_302600_NS11hip_rocprim35transform_pair_of_input_iterators_tIiPaSB_NS8_12not_equal_toIaEEEEPiiNS8_4plusIiEEEE10hipError_tPvRmT1_T2_T3_mT4_P12ihipStream_tbEUlT_E0_NS1_11comp_targetILNS1_3genE0ELNS1_11target_archE4294967295ELNS1_3gpuE0ELNS1_3repE0EEENS1_30default_config_static_selectorELNS0_4arch9wavefront6targetE1EEEvSL_,comdat
.Lfunc_end654:
	.size	_ZN7rocprim17ROCPRIM_400000_NS6detail17trampoline_kernelINS0_14default_configENS1_22reduce_config_selectorIiEEZNS1_11reduce_implILb1ES3_N6thrust23THRUST_200600_302600_NS11hip_rocprim35transform_pair_of_input_iterators_tIiPaSB_NS8_12not_equal_toIaEEEEPiiNS8_4plusIiEEEE10hipError_tPvRmT1_T2_T3_mT4_P12ihipStream_tbEUlT_E0_NS1_11comp_targetILNS1_3genE0ELNS1_11target_archE4294967295ELNS1_3gpuE0ELNS1_3repE0EEENS1_30default_config_static_selectorELNS0_4arch9wavefront6targetE1EEEvSL_, .Lfunc_end654-_ZN7rocprim17ROCPRIM_400000_NS6detail17trampoline_kernelINS0_14default_configENS1_22reduce_config_selectorIiEEZNS1_11reduce_implILb1ES3_N6thrust23THRUST_200600_302600_NS11hip_rocprim35transform_pair_of_input_iterators_tIiPaSB_NS8_12not_equal_toIaEEEEPiiNS8_4plusIiEEEE10hipError_tPvRmT1_T2_T3_mT4_P12ihipStream_tbEUlT_E0_NS1_11comp_targetILNS1_3genE0ELNS1_11target_archE4294967295ELNS1_3gpuE0ELNS1_3repE0EEENS1_30default_config_static_selectorELNS0_4arch9wavefront6targetE1EEEvSL_
                                        ; -- End function
	.section	.AMDGPU.csdata,"",@progbits
; Kernel info:
; codeLenInByte = 0
; NumSgprs: 4
; NumVgprs: 0
; NumAgprs: 0
; TotalNumVgprs: 0
; ScratchSize: 0
; MemoryBound: 0
; FloatMode: 240
; IeeeMode: 1
; LDSByteSize: 0 bytes/workgroup (compile time only)
; SGPRBlocks: 0
; VGPRBlocks: 0
; NumSGPRsForWavesPerEU: 4
; NumVGPRsForWavesPerEU: 1
; AccumOffset: 4
; Occupancy: 8
; WaveLimiterHint : 0
; COMPUTE_PGM_RSRC2:SCRATCH_EN: 0
; COMPUTE_PGM_RSRC2:USER_SGPR: 6
; COMPUTE_PGM_RSRC2:TRAP_HANDLER: 0
; COMPUTE_PGM_RSRC2:TGID_X_EN: 1
; COMPUTE_PGM_RSRC2:TGID_Y_EN: 0
; COMPUTE_PGM_RSRC2:TGID_Z_EN: 0
; COMPUTE_PGM_RSRC2:TIDIG_COMP_CNT: 0
; COMPUTE_PGM_RSRC3_GFX90A:ACCUM_OFFSET: 0
; COMPUTE_PGM_RSRC3_GFX90A:TG_SPLIT: 0
	.section	.text._ZN7rocprim17ROCPRIM_400000_NS6detail17trampoline_kernelINS0_14default_configENS1_22reduce_config_selectorIiEEZNS1_11reduce_implILb1ES3_N6thrust23THRUST_200600_302600_NS11hip_rocprim35transform_pair_of_input_iterators_tIiPaSB_NS8_12not_equal_toIaEEEEPiiNS8_4plusIiEEEE10hipError_tPvRmT1_T2_T3_mT4_P12ihipStream_tbEUlT_E0_NS1_11comp_targetILNS1_3genE5ELNS1_11target_archE942ELNS1_3gpuE9ELNS1_3repE0EEENS1_30default_config_static_selectorELNS0_4arch9wavefront6targetE1EEEvSL_,"axG",@progbits,_ZN7rocprim17ROCPRIM_400000_NS6detail17trampoline_kernelINS0_14default_configENS1_22reduce_config_selectorIiEEZNS1_11reduce_implILb1ES3_N6thrust23THRUST_200600_302600_NS11hip_rocprim35transform_pair_of_input_iterators_tIiPaSB_NS8_12not_equal_toIaEEEEPiiNS8_4plusIiEEEE10hipError_tPvRmT1_T2_T3_mT4_P12ihipStream_tbEUlT_E0_NS1_11comp_targetILNS1_3genE5ELNS1_11target_archE942ELNS1_3gpuE9ELNS1_3repE0EEENS1_30default_config_static_selectorELNS0_4arch9wavefront6targetE1EEEvSL_,comdat
	.protected	_ZN7rocprim17ROCPRIM_400000_NS6detail17trampoline_kernelINS0_14default_configENS1_22reduce_config_selectorIiEEZNS1_11reduce_implILb1ES3_N6thrust23THRUST_200600_302600_NS11hip_rocprim35transform_pair_of_input_iterators_tIiPaSB_NS8_12not_equal_toIaEEEEPiiNS8_4plusIiEEEE10hipError_tPvRmT1_T2_T3_mT4_P12ihipStream_tbEUlT_E0_NS1_11comp_targetILNS1_3genE5ELNS1_11target_archE942ELNS1_3gpuE9ELNS1_3repE0EEENS1_30default_config_static_selectorELNS0_4arch9wavefront6targetE1EEEvSL_ ; -- Begin function _ZN7rocprim17ROCPRIM_400000_NS6detail17trampoline_kernelINS0_14default_configENS1_22reduce_config_selectorIiEEZNS1_11reduce_implILb1ES3_N6thrust23THRUST_200600_302600_NS11hip_rocprim35transform_pair_of_input_iterators_tIiPaSB_NS8_12not_equal_toIaEEEEPiiNS8_4plusIiEEEE10hipError_tPvRmT1_T2_T3_mT4_P12ihipStream_tbEUlT_E0_NS1_11comp_targetILNS1_3genE5ELNS1_11target_archE942ELNS1_3gpuE9ELNS1_3repE0EEENS1_30default_config_static_selectorELNS0_4arch9wavefront6targetE1EEEvSL_
	.globl	_ZN7rocprim17ROCPRIM_400000_NS6detail17trampoline_kernelINS0_14default_configENS1_22reduce_config_selectorIiEEZNS1_11reduce_implILb1ES3_N6thrust23THRUST_200600_302600_NS11hip_rocprim35transform_pair_of_input_iterators_tIiPaSB_NS8_12not_equal_toIaEEEEPiiNS8_4plusIiEEEE10hipError_tPvRmT1_T2_T3_mT4_P12ihipStream_tbEUlT_E0_NS1_11comp_targetILNS1_3genE5ELNS1_11target_archE942ELNS1_3gpuE9ELNS1_3repE0EEENS1_30default_config_static_selectorELNS0_4arch9wavefront6targetE1EEEvSL_
	.p2align	8
	.type	_ZN7rocprim17ROCPRIM_400000_NS6detail17trampoline_kernelINS0_14default_configENS1_22reduce_config_selectorIiEEZNS1_11reduce_implILb1ES3_N6thrust23THRUST_200600_302600_NS11hip_rocprim35transform_pair_of_input_iterators_tIiPaSB_NS8_12not_equal_toIaEEEEPiiNS8_4plusIiEEEE10hipError_tPvRmT1_T2_T3_mT4_P12ihipStream_tbEUlT_E0_NS1_11comp_targetILNS1_3genE5ELNS1_11target_archE942ELNS1_3gpuE9ELNS1_3repE0EEENS1_30default_config_static_selectorELNS0_4arch9wavefront6targetE1EEEvSL_,@function
_ZN7rocprim17ROCPRIM_400000_NS6detail17trampoline_kernelINS0_14default_configENS1_22reduce_config_selectorIiEEZNS1_11reduce_implILb1ES3_N6thrust23THRUST_200600_302600_NS11hip_rocprim35transform_pair_of_input_iterators_tIiPaSB_NS8_12not_equal_toIaEEEEPiiNS8_4plusIiEEEE10hipError_tPvRmT1_T2_T3_mT4_P12ihipStream_tbEUlT_E0_NS1_11comp_targetILNS1_3genE5ELNS1_11target_archE942ELNS1_3gpuE9ELNS1_3repE0EEENS1_30default_config_static_selectorELNS0_4arch9wavefront6targetE1EEEvSL_: ; @_ZN7rocprim17ROCPRIM_400000_NS6detail17trampoline_kernelINS0_14default_configENS1_22reduce_config_selectorIiEEZNS1_11reduce_implILb1ES3_N6thrust23THRUST_200600_302600_NS11hip_rocprim35transform_pair_of_input_iterators_tIiPaSB_NS8_12not_equal_toIaEEEEPiiNS8_4plusIiEEEE10hipError_tPvRmT1_T2_T3_mT4_P12ihipStream_tbEUlT_E0_NS1_11comp_targetILNS1_3genE5ELNS1_11target_archE942ELNS1_3gpuE9ELNS1_3repE0EEENS1_30default_config_static_selectorELNS0_4arch9wavefront6targetE1EEEvSL_
; %bb.0:
	.section	.rodata,"a",@progbits
	.p2align	6, 0x0
	.amdhsa_kernel _ZN7rocprim17ROCPRIM_400000_NS6detail17trampoline_kernelINS0_14default_configENS1_22reduce_config_selectorIiEEZNS1_11reduce_implILb1ES3_N6thrust23THRUST_200600_302600_NS11hip_rocprim35transform_pair_of_input_iterators_tIiPaSB_NS8_12not_equal_toIaEEEEPiiNS8_4plusIiEEEE10hipError_tPvRmT1_T2_T3_mT4_P12ihipStream_tbEUlT_E0_NS1_11comp_targetILNS1_3genE5ELNS1_11target_archE942ELNS1_3gpuE9ELNS1_3repE0EEENS1_30default_config_static_selectorELNS0_4arch9wavefront6targetE1EEEvSL_
		.amdhsa_group_segment_fixed_size 0
		.amdhsa_private_segment_fixed_size 0
		.amdhsa_kernarg_size 72
		.amdhsa_user_sgpr_count 6
		.amdhsa_user_sgpr_private_segment_buffer 1
		.amdhsa_user_sgpr_dispatch_ptr 0
		.amdhsa_user_sgpr_queue_ptr 0
		.amdhsa_user_sgpr_kernarg_segment_ptr 1
		.amdhsa_user_sgpr_dispatch_id 0
		.amdhsa_user_sgpr_flat_scratch_init 0
		.amdhsa_user_sgpr_kernarg_preload_length 0
		.amdhsa_user_sgpr_kernarg_preload_offset 0
		.amdhsa_user_sgpr_private_segment_size 0
		.amdhsa_uses_dynamic_stack 0
		.amdhsa_system_sgpr_private_segment_wavefront_offset 0
		.amdhsa_system_sgpr_workgroup_id_x 1
		.amdhsa_system_sgpr_workgroup_id_y 0
		.amdhsa_system_sgpr_workgroup_id_z 0
		.amdhsa_system_sgpr_workgroup_info 0
		.amdhsa_system_vgpr_workitem_id 0
		.amdhsa_next_free_vgpr 1
		.amdhsa_next_free_sgpr 0
		.amdhsa_accum_offset 4
		.amdhsa_reserve_vcc 0
		.amdhsa_reserve_flat_scratch 0
		.amdhsa_float_round_mode_32 0
		.amdhsa_float_round_mode_16_64 0
		.amdhsa_float_denorm_mode_32 3
		.amdhsa_float_denorm_mode_16_64 3
		.amdhsa_dx10_clamp 1
		.amdhsa_ieee_mode 1
		.amdhsa_fp16_overflow 0
		.amdhsa_tg_split 0
		.amdhsa_exception_fp_ieee_invalid_op 0
		.amdhsa_exception_fp_denorm_src 0
		.amdhsa_exception_fp_ieee_div_zero 0
		.amdhsa_exception_fp_ieee_overflow 0
		.amdhsa_exception_fp_ieee_underflow 0
		.amdhsa_exception_fp_ieee_inexact 0
		.amdhsa_exception_int_div_zero 0
	.end_amdhsa_kernel
	.section	.text._ZN7rocprim17ROCPRIM_400000_NS6detail17trampoline_kernelINS0_14default_configENS1_22reduce_config_selectorIiEEZNS1_11reduce_implILb1ES3_N6thrust23THRUST_200600_302600_NS11hip_rocprim35transform_pair_of_input_iterators_tIiPaSB_NS8_12not_equal_toIaEEEEPiiNS8_4plusIiEEEE10hipError_tPvRmT1_T2_T3_mT4_P12ihipStream_tbEUlT_E0_NS1_11comp_targetILNS1_3genE5ELNS1_11target_archE942ELNS1_3gpuE9ELNS1_3repE0EEENS1_30default_config_static_selectorELNS0_4arch9wavefront6targetE1EEEvSL_,"axG",@progbits,_ZN7rocprim17ROCPRIM_400000_NS6detail17trampoline_kernelINS0_14default_configENS1_22reduce_config_selectorIiEEZNS1_11reduce_implILb1ES3_N6thrust23THRUST_200600_302600_NS11hip_rocprim35transform_pair_of_input_iterators_tIiPaSB_NS8_12not_equal_toIaEEEEPiiNS8_4plusIiEEEE10hipError_tPvRmT1_T2_T3_mT4_P12ihipStream_tbEUlT_E0_NS1_11comp_targetILNS1_3genE5ELNS1_11target_archE942ELNS1_3gpuE9ELNS1_3repE0EEENS1_30default_config_static_selectorELNS0_4arch9wavefront6targetE1EEEvSL_,comdat
.Lfunc_end655:
	.size	_ZN7rocprim17ROCPRIM_400000_NS6detail17trampoline_kernelINS0_14default_configENS1_22reduce_config_selectorIiEEZNS1_11reduce_implILb1ES3_N6thrust23THRUST_200600_302600_NS11hip_rocprim35transform_pair_of_input_iterators_tIiPaSB_NS8_12not_equal_toIaEEEEPiiNS8_4plusIiEEEE10hipError_tPvRmT1_T2_T3_mT4_P12ihipStream_tbEUlT_E0_NS1_11comp_targetILNS1_3genE5ELNS1_11target_archE942ELNS1_3gpuE9ELNS1_3repE0EEENS1_30default_config_static_selectorELNS0_4arch9wavefront6targetE1EEEvSL_, .Lfunc_end655-_ZN7rocprim17ROCPRIM_400000_NS6detail17trampoline_kernelINS0_14default_configENS1_22reduce_config_selectorIiEEZNS1_11reduce_implILb1ES3_N6thrust23THRUST_200600_302600_NS11hip_rocprim35transform_pair_of_input_iterators_tIiPaSB_NS8_12not_equal_toIaEEEEPiiNS8_4plusIiEEEE10hipError_tPvRmT1_T2_T3_mT4_P12ihipStream_tbEUlT_E0_NS1_11comp_targetILNS1_3genE5ELNS1_11target_archE942ELNS1_3gpuE9ELNS1_3repE0EEENS1_30default_config_static_selectorELNS0_4arch9wavefront6targetE1EEEvSL_
                                        ; -- End function
	.section	.AMDGPU.csdata,"",@progbits
; Kernel info:
; codeLenInByte = 0
; NumSgprs: 4
; NumVgprs: 0
; NumAgprs: 0
; TotalNumVgprs: 0
; ScratchSize: 0
; MemoryBound: 0
; FloatMode: 240
; IeeeMode: 1
; LDSByteSize: 0 bytes/workgroup (compile time only)
; SGPRBlocks: 0
; VGPRBlocks: 0
; NumSGPRsForWavesPerEU: 4
; NumVGPRsForWavesPerEU: 1
; AccumOffset: 4
; Occupancy: 8
; WaveLimiterHint : 0
; COMPUTE_PGM_RSRC2:SCRATCH_EN: 0
; COMPUTE_PGM_RSRC2:USER_SGPR: 6
; COMPUTE_PGM_RSRC2:TRAP_HANDLER: 0
; COMPUTE_PGM_RSRC2:TGID_X_EN: 1
; COMPUTE_PGM_RSRC2:TGID_Y_EN: 0
; COMPUTE_PGM_RSRC2:TGID_Z_EN: 0
; COMPUTE_PGM_RSRC2:TIDIG_COMP_CNT: 0
; COMPUTE_PGM_RSRC3_GFX90A:ACCUM_OFFSET: 0
; COMPUTE_PGM_RSRC3_GFX90A:TG_SPLIT: 0
	.section	.text._ZN7rocprim17ROCPRIM_400000_NS6detail17trampoline_kernelINS0_14default_configENS1_22reduce_config_selectorIiEEZNS1_11reduce_implILb1ES3_N6thrust23THRUST_200600_302600_NS11hip_rocprim35transform_pair_of_input_iterators_tIiPaSB_NS8_12not_equal_toIaEEEEPiiNS8_4plusIiEEEE10hipError_tPvRmT1_T2_T3_mT4_P12ihipStream_tbEUlT_E0_NS1_11comp_targetILNS1_3genE4ELNS1_11target_archE910ELNS1_3gpuE8ELNS1_3repE0EEENS1_30default_config_static_selectorELNS0_4arch9wavefront6targetE1EEEvSL_,"axG",@progbits,_ZN7rocprim17ROCPRIM_400000_NS6detail17trampoline_kernelINS0_14default_configENS1_22reduce_config_selectorIiEEZNS1_11reduce_implILb1ES3_N6thrust23THRUST_200600_302600_NS11hip_rocprim35transform_pair_of_input_iterators_tIiPaSB_NS8_12not_equal_toIaEEEEPiiNS8_4plusIiEEEE10hipError_tPvRmT1_T2_T3_mT4_P12ihipStream_tbEUlT_E0_NS1_11comp_targetILNS1_3genE4ELNS1_11target_archE910ELNS1_3gpuE8ELNS1_3repE0EEENS1_30default_config_static_selectorELNS0_4arch9wavefront6targetE1EEEvSL_,comdat
	.protected	_ZN7rocprim17ROCPRIM_400000_NS6detail17trampoline_kernelINS0_14default_configENS1_22reduce_config_selectorIiEEZNS1_11reduce_implILb1ES3_N6thrust23THRUST_200600_302600_NS11hip_rocprim35transform_pair_of_input_iterators_tIiPaSB_NS8_12not_equal_toIaEEEEPiiNS8_4plusIiEEEE10hipError_tPvRmT1_T2_T3_mT4_P12ihipStream_tbEUlT_E0_NS1_11comp_targetILNS1_3genE4ELNS1_11target_archE910ELNS1_3gpuE8ELNS1_3repE0EEENS1_30default_config_static_selectorELNS0_4arch9wavefront6targetE1EEEvSL_ ; -- Begin function _ZN7rocprim17ROCPRIM_400000_NS6detail17trampoline_kernelINS0_14default_configENS1_22reduce_config_selectorIiEEZNS1_11reduce_implILb1ES3_N6thrust23THRUST_200600_302600_NS11hip_rocprim35transform_pair_of_input_iterators_tIiPaSB_NS8_12not_equal_toIaEEEEPiiNS8_4plusIiEEEE10hipError_tPvRmT1_T2_T3_mT4_P12ihipStream_tbEUlT_E0_NS1_11comp_targetILNS1_3genE4ELNS1_11target_archE910ELNS1_3gpuE8ELNS1_3repE0EEENS1_30default_config_static_selectorELNS0_4arch9wavefront6targetE1EEEvSL_
	.globl	_ZN7rocprim17ROCPRIM_400000_NS6detail17trampoline_kernelINS0_14default_configENS1_22reduce_config_selectorIiEEZNS1_11reduce_implILb1ES3_N6thrust23THRUST_200600_302600_NS11hip_rocprim35transform_pair_of_input_iterators_tIiPaSB_NS8_12not_equal_toIaEEEEPiiNS8_4plusIiEEEE10hipError_tPvRmT1_T2_T3_mT4_P12ihipStream_tbEUlT_E0_NS1_11comp_targetILNS1_3genE4ELNS1_11target_archE910ELNS1_3gpuE8ELNS1_3repE0EEENS1_30default_config_static_selectorELNS0_4arch9wavefront6targetE1EEEvSL_
	.p2align	8
	.type	_ZN7rocprim17ROCPRIM_400000_NS6detail17trampoline_kernelINS0_14default_configENS1_22reduce_config_selectorIiEEZNS1_11reduce_implILb1ES3_N6thrust23THRUST_200600_302600_NS11hip_rocprim35transform_pair_of_input_iterators_tIiPaSB_NS8_12not_equal_toIaEEEEPiiNS8_4plusIiEEEE10hipError_tPvRmT1_T2_T3_mT4_P12ihipStream_tbEUlT_E0_NS1_11comp_targetILNS1_3genE4ELNS1_11target_archE910ELNS1_3gpuE8ELNS1_3repE0EEENS1_30default_config_static_selectorELNS0_4arch9wavefront6targetE1EEEvSL_,@function
_ZN7rocprim17ROCPRIM_400000_NS6detail17trampoline_kernelINS0_14default_configENS1_22reduce_config_selectorIiEEZNS1_11reduce_implILb1ES3_N6thrust23THRUST_200600_302600_NS11hip_rocprim35transform_pair_of_input_iterators_tIiPaSB_NS8_12not_equal_toIaEEEEPiiNS8_4plusIiEEEE10hipError_tPvRmT1_T2_T3_mT4_P12ihipStream_tbEUlT_E0_NS1_11comp_targetILNS1_3genE4ELNS1_11target_archE910ELNS1_3gpuE8ELNS1_3repE0EEENS1_30default_config_static_selectorELNS0_4arch9wavefront6targetE1EEEvSL_: ; @_ZN7rocprim17ROCPRIM_400000_NS6detail17trampoline_kernelINS0_14default_configENS1_22reduce_config_selectorIiEEZNS1_11reduce_implILb1ES3_N6thrust23THRUST_200600_302600_NS11hip_rocprim35transform_pair_of_input_iterators_tIiPaSB_NS8_12not_equal_toIaEEEEPiiNS8_4plusIiEEEE10hipError_tPvRmT1_T2_T3_mT4_P12ihipStream_tbEUlT_E0_NS1_11comp_targetILNS1_3genE4ELNS1_11target_archE910ELNS1_3gpuE8ELNS1_3repE0EEENS1_30default_config_static_selectorELNS0_4arch9wavefront6targetE1EEEvSL_
; %bb.0:
	s_load_dwordx4 s[0:3], s[4:5], 0x0
	s_load_dwordx8 s[16:23], s[4:5], 0x18
	s_load_dwordx2 s[24:25], s[4:5], 0x38
	s_mov_b32 s7, 0
	v_mbcnt_lo_u32_b32 v1, -1, 0
	s_waitcnt lgkmcnt(0)
	s_add_u32 s8, s0, s16
	s_addc_u32 s9, s1, s17
	s_add_u32 s10, s2, s16
	s_addc_u32 s3, s3, s17
	s_lshl_b32 s2, s6, 10
	s_lshr_b64 s[0:1], s[18:19], 10
	s_add_u32 s14, s8, s2
	s_addc_u32 s15, s9, 0
	s_add_u32 s16, s10, s2
	s_addc_u32 s17, s3, 0
	s_cmp_lg_u64 s[0:1], s[6:7]
	s_cbranch_scc0 .LBB656_6
; %bb.1:
	global_load_ubyte v2, v0, s[14:15]
	global_load_ubyte v5, v0, s[16:17]
	global_load_ubyte v6, v0, s[14:15] offset:256
	global_load_ubyte v7, v0, s[16:17] offset:256
	;; [unrolled: 1-line block ×14, first 2 shown]
	v_mbcnt_hi_u32_b32 v3, -1, v1
	v_lshlrev_b32_e32 v4, 2, v3
	s_waitcnt vmcnt(14)
	v_cmp_ne_u16_e32 vcc, v2, v5
	v_cndmask_b32_e64 v2, 0, 1, vcc
	s_waitcnt vmcnt(12)
	v_cmp_ne_u16_e32 vcc, v6, v7
	v_cndmask_b32_e64 v5, 0, 1, vcc
	;; [unrolled: 3-line block ×4, first 2 shown]
	s_waitcnt vmcnt(6)
	v_cmp_ne_u16_e32 vcc, v12, v13
	v_addc_co_u32_e32 v2, vcc, 0, v2, vcc
	s_waitcnt vmcnt(4)
	v_cmp_ne_u16_e32 vcc, v14, v15
	v_addc_co_u32_e32 v2, vcc, v2, v5, vcc
	;; [unrolled: 3-line block ×4, first 2 shown]
	v_or_b32_e32 v5, 0xfc, v4
	s_nop 0
	v_add_u32_dpp v2, v2, v2 quad_perm:[1,0,3,2] row_mask:0xf bank_mask:0xf bound_ctrl:1
	v_cmp_eq_u32_e32 vcc, 0, v3
	s_nop 0
	v_add_u32_dpp v2, v2, v2 quad_perm:[2,3,0,1] row_mask:0xf bank_mask:0xf bound_ctrl:1
	s_nop 1
	v_add_u32_dpp v2, v2, v2 row_ror:4 row_mask:0xf bank_mask:0xf bound_ctrl:1
	s_nop 1
	v_add_u32_dpp v2, v2, v2 row_ror:8 row_mask:0xf bank_mask:0xf bound_ctrl:1
	s_nop 1
	v_add_u32_dpp v2, v2, v2 row_bcast:15 row_mask:0xf bank_mask:0xf bound_ctrl:1
	s_nop 1
	v_add_u32_dpp v2, v2, v2 row_bcast:31 row_mask:0xf bank_mask:0xf bound_ctrl:1
	ds_bpermute_b32 v2, v5, v2
	s_and_saveexec_b64 s[0:1], vcc
	s_cbranch_execz .LBB656_3
; %bb.2:
	v_lshrrev_b32_e32 v5, 4, v0
	v_and_b32_e32 v5, 4, v5
	s_waitcnt lgkmcnt(0)
	ds_write_b32 v5, v2
.LBB656_3:
	s_or_b64 exec, exec, s[0:1]
	v_cmp_gt_u32_e32 vcc, 64, v0
	s_waitcnt lgkmcnt(0)
	s_barrier
	s_and_saveexec_b64 s[0:1], vcc
	s_cbranch_execz .LBB656_5
; %bb.4:
	v_and_b32_e32 v2, 1, v3
	v_lshlrev_b32_e32 v2, 2, v2
	ds_read_b32 v2, v2
	v_or_b32_e32 v3, 4, v4
	s_waitcnt lgkmcnt(0)
	ds_bpermute_b32 v3, v3, v2
	s_waitcnt lgkmcnt(0)
	v_add_u32_e32 v2, v3, v2
.LBB656_5:
	s_or_b64 exec, exec, s[0:1]
	s_load_dword s28, s[4:5], 0x40
	s_branch .LBB656_28
.LBB656_6:
                                        ; implicit-def: $vgpr2
	s_load_dword s28, s[4:5], 0x40
	s_cbranch_execz .LBB656_28
; %bb.7:
	s_sub_i32 s29, s18, s2
	v_cmp_gt_u32_e32 vcc, s29, v0
                                        ; implicit-def: $vgpr2_vgpr3_vgpr4_vgpr5_vgpr6_vgpr7_vgpr8_vgpr9
	s_and_saveexec_b64 s[0:1], vcc
	s_cbranch_execz .LBB656_9
; %bb.8:
	global_load_ubyte v2, v0, s[14:15]
	global_load_ubyte v3, v0, s[16:17]
	s_waitcnt vmcnt(0)
	v_cmp_ne_u16_e32 vcc, v2, v3
	v_cndmask_b32_e64 v2, 0, 1, vcc
.LBB656_9:
	s_or_b64 exec, exec, s[0:1]
	v_or_b32_e32 v10, 0x80, v0
	v_cmp_gt_u32_e32 vcc, s29, v10
	s_and_saveexec_b64 s[2:3], vcc
	s_cbranch_execz .LBB656_11
; %bb.10:
	global_load_ubyte v3, v0, s[14:15] offset:128
	global_load_ubyte v10, v0, s[16:17] offset:128
	s_waitcnt vmcnt(0)
	v_cmp_ne_u16_e64 s[0:1], v3, v10
	v_cndmask_b32_e64 v3, 0, 1, s[0:1]
.LBB656_11:
	s_or_b64 exec, exec, s[2:3]
	v_or_b32_e32 v10, 0x100, v0
	v_cmp_gt_u32_e64 s[0:1], s29, v10
	s_and_saveexec_b64 s[4:5], s[0:1]
	s_cbranch_execz .LBB656_13
; %bb.12:
	global_load_ubyte v4, v0, s[14:15] offset:256
	global_load_ubyte v10, v0, s[16:17] offset:256
	s_waitcnt vmcnt(0)
	v_cmp_ne_u16_e64 s[2:3], v4, v10
	v_cndmask_b32_e64 v4, 0, 1, s[2:3]
.LBB656_13:
	s_or_b64 exec, exec, s[4:5]
	v_or_b32_e32 v10, 0x180, v0
	v_cmp_gt_u32_e64 s[2:3], s29, v10
	s_and_saveexec_b64 s[8:9], s[2:3]
	;; [unrolled: 12-line block ×6, first 2 shown]
	s_cbranch_execz .LBB656_23
; %bb.22:
	global_load_ubyte v9, v0, s[14:15] offset:896
	global_load_ubyte v10, v0, s[16:17] offset:896
	s_waitcnt vmcnt(0)
	v_cmp_ne_u16_e64 s[14:15], v9, v10
	v_cndmask_b32_e64 v9, 0, 1, s[14:15]
.LBB656_23:
	s_or_b64 exec, exec, s[26:27]
	v_cndmask_b32_e32 v3, 0, v3, vcc
	v_add_u32_e32 v2, v3, v2
	v_cndmask_b32_e64 v3, 0, v4, s[0:1]
	v_cndmask_b32_e64 v4, 0, v5, s[2:3]
	v_add3_u32 v2, v2, v3, v4
	v_cndmask_b32_e64 v3, 0, v6, s[4:5]
	v_cndmask_b32_e64 v4, 0, v7, s[8:9]
	v_add3_u32 v2, v2, v3, v4
	v_cndmask_b32_e64 v3, 0, v8, s[10:11]
	v_cndmask_b32_e64 v4, 0, v9, s[12:13]
	v_mbcnt_hi_u32_b32 v1, -1, v1
	v_add3_u32 v2, v2, v3, v4
	v_and_b32_e32 v3, 63, v1
	v_cmp_ne_u32_e32 vcc, 63, v3
	v_addc_co_u32_e32 v4, vcc, 0, v1, vcc
	v_lshlrev_b32_e32 v4, 2, v4
	ds_bpermute_b32 v4, v4, v2
	s_min_u32 s2, s29, 0x80
	v_and_b32_e32 v5, 64, v0
	v_sub_u32_e64 v5, s2, v5 clamp
	v_add_u32_e32 v6, 1, v3
	v_cmp_lt_u32_e32 vcc, v6, v5
	s_waitcnt lgkmcnt(0)
	v_cndmask_b32_e32 v4, 0, v4, vcc
	v_cmp_gt_u32_e32 vcc, 62, v3
	v_add_u32_e32 v2, v2, v4
	v_cndmask_b32_e64 v4, 0, 1, vcc
	v_lshlrev_b32_e32 v4, 1, v4
	v_add_lshl_u32 v4, v4, v1, 2
	ds_bpermute_b32 v4, v4, v2
	v_add_u32_e32 v6, 2, v3
	v_cmp_lt_u32_e32 vcc, v6, v5
	v_add_u32_e32 v6, 4, v3
	s_waitcnt lgkmcnt(0)
	v_cndmask_b32_e32 v4, 0, v4, vcc
	v_cmp_gt_u32_e32 vcc, 60, v3
	v_add_u32_e32 v2, v2, v4
	v_cndmask_b32_e64 v4, 0, 1, vcc
	v_lshlrev_b32_e32 v4, 2, v4
	v_add_lshl_u32 v4, v4, v1, 2
	ds_bpermute_b32 v4, v4, v2
	v_cmp_lt_u32_e32 vcc, v6, v5
	v_add_u32_e32 v6, 8, v3
	s_waitcnt lgkmcnt(0)
	v_cndmask_b32_e32 v4, 0, v4, vcc
	v_cmp_gt_u32_e32 vcc, 56, v3
	v_add_u32_e32 v2, v2, v4
	v_cndmask_b32_e64 v4, 0, 1, vcc
	v_lshlrev_b32_e32 v4, 3, v4
	v_add_lshl_u32 v4, v4, v1, 2
	ds_bpermute_b32 v4, v4, v2
	v_cmp_lt_u32_e32 vcc, v6, v5
	v_add_u32_e32 v6, 16, v3
	s_waitcnt lgkmcnt(0)
	v_cndmask_b32_e32 v4, 0, v4, vcc
	v_cmp_gt_u32_e32 vcc, 48, v3
	v_add_u32_e32 v2, v2, v4
	v_cndmask_b32_e64 v4, 0, 1, vcc
	v_lshlrev_b32_e32 v4, 4, v4
	v_add_lshl_u32 v4, v4, v1, 2
	ds_bpermute_b32 v4, v4, v2
	v_cmp_lt_u32_e32 vcc, v6, v5
	s_waitcnt lgkmcnt(0)
	v_cndmask_b32_e32 v4, 0, v4, vcc
	v_cmp_gt_u32_e32 vcc, 32, v3
	v_add_u32_e32 v2, v2, v4
	v_cndmask_b32_e64 v4, 0, 1, vcc
	v_lshlrev_b32_e32 v4, 5, v4
	v_add_lshl_u32 v4, v4, v1, 2
	ds_bpermute_b32 v4, v4, v2
	v_add_u32_e32 v3, 32, v3
	v_cmp_lt_u32_e32 vcc, v3, v5
	s_waitcnt lgkmcnt(0)
	v_cndmask_b32_e32 v3, 0, v4, vcc
	v_add_u32_e32 v2, v2, v3
	v_cmp_eq_u32_e32 vcc, 0, v1
	s_and_saveexec_b64 s[0:1], vcc
	s_cbranch_execz .LBB656_25
; %bb.24:
	v_lshrrev_b32_e32 v3, 4, v0
	v_and_b32_e32 v3, 4, v3
	ds_write_b32 v3, v2 offset:8
.LBB656_25:
	s_or_b64 exec, exec, s[0:1]
	v_cmp_gt_u32_e32 vcc, 2, v0
	s_waitcnt lgkmcnt(0)
	s_barrier
	s_and_saveexec_b64 s[0:1], vcc
	s_cbranch_execz .LBB656_27
; %bb.26:
	v_lshlrev_b32_e32 v2, 2, v1
	ds_read_b32 v3, v2 offset:8
	v_or_b32_e32 v2, 4, v2
	s_add_i32 s2, s2, 63
	v_and_b32_e32 v1, 1, v1
	s_lshr_b32 s2, s2, 6
	s_waitcnt lgkmcnt(0)
	ds_bpermute_b32 v2, v2, v3
	v_add_u32_e32 v1, 1, v1
	v_cmp_gt_u32_e32 vcc, s2, v1
	s_waitcnt lgkmcnt(0)
	v_cndmask_b32_e32 v1, 0, v2, vcc
	v_add_u32_e32 v2, v1, v3
.LBB656_27:
	s_or_b64 exec, exec, s[0:1]
.LBB656_28:
	v_cmp_eq_u32_e32 vcc, 0, v0
	s_and_saveexec_b64 s[0:1], vcc
	s_cbranch_execnz .LBB656_30
; %bb.29:
	s_endpgm
.LBB656_30:
	s_mul_i32 s0, s24, s23
	s_mul_hi_u32 s1, s24, s22
	s_add_i32 s0, s1, s0
	s_mul_i32 s1, s25, s22
	s_add_i32 s1, s0, s1
	s_mul_i32 s0, s24, s22
	s_lshl_b64 s[0:1], s[0:1], 2
	s_add_u32 s2, s20, s0
	s_addc_u32 s3, s21, s1
	s_cmp_eq_u64 s[18:19], 0
	s_cselect_b64 vcc, -1, 0
	s_lshl_b64 s[0:1], s[6:7], 2
	s_waitcnt lgkmcnt(0)
	v_mov_b32_e32 v0, s28
	s_add_u32 s0, s2, s0
	v_cndmask_b32_e32 v0, v2, v0, vcc
	s_addc_u32 s1, s3, s1
	v_mov_b32_e32 v1, 0
	global_store_dword v1, v0, s[0:1]
	s_endpgm
	.section	.rodata,"a",@progbits
	.p2align	6, 0x0
	.amdhsa_kernel _ZN7rocprim17ROCPRIM_400000_NS6detail17trampoline_kernelINS0_14default_configENS1_22reduce_config_selectorIiEEZNS1_11reduce_implILb1ES3_N6thrust23THRUST_200600_302600_NS11hip_rocprim35transform_pair_of_input_iterators_tIiPaSB_NS8_12not_equal_toIaEEEEPiiNS8_4plusIiEEEE10hipError_tPvRmT1_T2_T3_mT4_P12ihipStream_tbEUlT_E0_NS1_11comp_targetILNS1_3genE4ELNS1_11target_archE910ELNS1_3gpuE8ELNS1_3repE0EEENS1_30default_config_static_selectorELNS0_4arch9wavefront6targetE1EEEvSL_
		.amdhsa_group_segment_fixed_size 16
		.amdhsa_private_segment_fixed_size 0
		.amdhsa_kernarg_size 72
		.amdhsa_user_sgpr_count 6
		.amdhsa_user_sgpr_private_segment_buffer 1
		.amdhsa_user_sgpr_dispatch_ptr 0
		.amdhsa_user_sgpr_queue_ptr 0
		.amdhsa_user_sgpr_kernarg_segment_ptr 1
		.amdhsa_user_sgpr_dispatch_id 0
		.amdhsa_user_sgpr_flat_scratch_init 0
		.amdhsa_user_sgpr_kernarg_preload_length 0
		.amdhsa_user_sgpr_kernarg_preload_offset 0
		.amdhsa_user_sgpr_private_segment_size 0
		.amdhsa_uses_dynamic_stack 0
		.amdhsa_system_sgpr_private_segment_wavefront_offset 0
		.amdhsa_system_sgpr_workgroup_id_x 1
		.amdhsa_system_sgpr_workgroup_id_y 0
		.amdhsa_system_sgpr_workgroup_id_z 0
		.amdhsa_system_sgpr_workgroup_info 0
		.amdhsa_system_vgpr_workitem_id 0
		.amdhsa_next_free_vgpr 20
		.amdhsa_next_free_sgpr 30
		.amdhsa_accum_offset 20
		.amdhsa_reserve_vcc 1
		.amdhsa_reserve_flat_scratch 0
		.amdhsa_float_round_mode_32 0
		.amdhsa_float_round_mode_16_64 0
		.amdhsa_float_denorm_mode_32 3
		.amdhsa_float_denorm_mode_16_64 3
		.amdhsa_dx10_clamp 1
		.amdhsa_ieee_mode 1
		.amdhsa_fp16_overflow 0
		.amdhsa_tg_split 0
		.amdhsa_exception_fp_ieee_invalid_op 0
		.amdhsa_exception_fp_denorm_src 0
		.amdhsa_exception_fp_ieee_div_zero 0
		.amdhsa_exception_fp_ieee_overflow 0
		.amdhsa_exception_fp_ieee_underflow 0
		.amdhsa_exception_fp_ieee_inexact 0
		.amdhsa_exception_int_div_zero 0
	.end_amdhsa_kernel
	.section	.text._ZN7rocprim17ROCPRIM_400000_NS6detail17trampoline_kernelINS0_14default_configENS1_22reduce_config_selectorIiEEZNS1_11reduce_implILb1ES3_N6thrust23THRUST_200600_302600_NS11hip_rocprim35transform_pair_of_input_iterators_tIiPaSB_NS8_12not_equal_toIaEEEEPiiNS8_4plusIiEEEE10hipError_tPvRmT1_T2_T3_mT4_P12ihipStream_tbEUlT_E0_NS1_11comp_targetILNS1_3genE4ELNS1_11target_archE910ELNS1_3gpuE8ELNS1_3repE0EEENS1_30default_config_static_selectorELNS0_4arch9wavefront6targetE1EEEvSL_,"axG",@progbits,_ZN7rocprim17ROCPRIM_400000_NS6detail17trampoline_kernelINS0_14default_configENS1_22reduce_config_selectorIiEEZNS1_11reduce_implILb1ES3_N6thrust23THRUST_200600_302600_NS11hip_rocprim35transform_pair_of_input_iterators_tIiPaSB_NS8_12not_equal_toIaEEEEPiiNS8_4plusIiEEEE10hipError_tPvRmT1_T2_T3_mT4_P12ihipStream_tbEUlT_E0_NS1_11comp_targetILNS1_3genE4ELNS1_11target_archE910ELNS1_3gpuE8ELNS1_3repE0EEENS1_30default_config_static_selectorELNS0_4arch9wavefront6targetE1EEEvSL_,comdat
.Lfunc_end656:
	.size	_ZN7rocprim17ROCPRIM_400000_NS6detail17trampoline_kernelINS0_14default_configENS1_22reduce_config_selectorIiEEZNS1_11reduce_implILb1ES3_N6thrust23THRUST_200600_302600_NS11hip_rocprim35transform_pair_of_input_iterators_tIiPaSB_NS8_12not_equal_toIaEEEEPiiNS8_4plusIiEEEE10hipError_tPvRmT1_T2_T3_mT4_P12ihipStream_tbEUlT_E0_NS1_11comp_targetILNS1_3genE4ELNS1_11target_archE910ELNS1_3gpuE8ELNS1_3repE0EEENS1_30default_config_static_selectorELNS0_4arch9wavefront6targetE1EEEvSL_, .Lfunc_end656-_ZN7rocprim17ROCPRIM_400000_NS6detail17trampoline_kernelINS0_14default_configENS1_22reduce_config_selectorIiEEZNS1_11reduce_implILb1ES3_N6thrust23THRUST_200600_302600_NS11hip_rocprim35transform_pair_of_input_iterators_tIiPaSB_NS8_12not_equal_toIaEEEEPiiNS8_4plusIiEEEE10hipError_tPvRmT1_T2_T3_mT4_P12ihipStream_tbEUlT_E0_NS1_11comp_targetILNS1_3genE4ELNS1_11target_archE910ELNS1_3gpuE8ELNS1_3repE0EEENS1_30default_config_static_selectorELNS0_4arch9wavefront6targetE1EEEvSL_
                                        ; -- End function
	.section	.AMDGPU.csdata,"",@progbits
; Kernel info:
; codeLenInByte = 1676
; NumSgprs: 34
; NumVgprs: 20
; NumAgprs: 0
; TotalNumVgprs: 20
; ScratchSize: 0
; MemoryBound: 0
; FloatMode: 240
; IeeeMode: 1
; LDSByteSize: 16 bytes/workgroup (compile time only)
; SGPRBlocks: 4
; VGPRBlocks: 2
; NumSGPRsForWavesPerEU: 34
; NumVGPRsForWavesPerEU: 20
; AccumOffset: 20
; Occupancy: 8
; WaveLimiterHint : 0
; COMPUTE_PGM_RSRC2:SCRATCH_EN: 0
; COMPUTE_PGM_RSRC2:USER_SGPR: 6
; COMPUTE_PGM_RSRC2:TRAP_HANDLER: 0
; COMPUTE_PGM_RSRC2:TGID_X_EN: 1
; COMPUTE_PGM_RSRC2:TGID_Y_EN: 0
; COMPUTE_PGM_RSRC2:TGID_Z_EN: 0
; COMPUTE_PGM_RSRC2:TIDIG_COMP_CNT: 0
; COMPUTE_PGM_RSRC3_GFX90A:ACCUM_OFFSET: 4
; COMPUTE_PGM_RSRC3_GFX90A:TG_SPLIT: 0
	.section	.text._ZN7rocprim17ROCPRIM_400000_NS6detail17trampoline_kernelINS0_14default_configENS1_22reduce_config_selectorIiEEZNS1_11reduce_implILb1ES3_N6thrust23THRUST_200600_302600_NS11hip_rocprim35transform_pair_of_input_iterators_tIiPaSB_NS8_12not_equal_toIaEEEEPiiNS8_4plusIiEEEE10hipError_tPvRmT1_T2_T3_mT4_P12ihipStream_tbEUlT_E0_NS1_11comp_targetILNS1_3genE3ELNS1_11target_archE908ELNS1_3gpuE7ELNS1_3repE0EEENS1_30default_config_static_selectorELNS0_4arch9wavefront6targetE1EEEvSL_,"axG",@progbits,_ZN7rocprim17ROCPRIM_400000_NS6detail17trampoline_kernelINS0_14default_configENS1_22reduce_config_selectorIiEEZNS1_11reduce_implILb1ES3_N6thrust23THRUST_200600_302600_NS11hip_rocprim35transform_pair_of_input_iterators_tIiPaSB_NS8_12not_equal_toIaEEEEPiiNS8_4plusIiEEEE10hipError_tPvRmT1_T2_T3_mT4_P12ihipStream_tbEUlT_E0_NS1_11comp_targetILNS1_3genE3ELNS1_11target_archE908ELNS1_3gpuE7ELNS1_3repE0EEENS1_30default_config_static_selectorELNS0_4arch9wavefront6targetE1EEEvSL_,comdat
	.protected	_ZN7rocprim17ROCPRIM_400000_NS6detail17trampoline_kernelINS0_14default_configENS1_22reduce_config_selectorIiEEZNS1_11reduce_implILb1ES3_N6thrust23THRUST_200600_302600_NS11hip_rocprim35transform_pair_of_input_iterators_tIiPaSB_NS8_12not_equal_toIaEEEEPiiNS8_4plusIiEEEE10hipError_tPvRmT1_T2_T3_mT4_P12ihipStream_tbEUlT_E0_NS1_11comp_targetILNS1_3genE3ELNS1_11target_archE908ELNS1_3gpuE7ELNS1_3repE0EEENS1_30default_config_static_selectorELNS0_4arch9wavefront6targetE1EEEvSL_ ; -- Begin function _ZN7rocprim17ROCPRIM_400000_NS6detail17trampoline_kernelINS0_14default_configENS1_22reduce_config_selectorIiEEZNS1_11reduce_implILb1ES3_N6thrust23THRUST_200600_302600_NS11hip_rocprim35transform_pair_of_input_iterators_tIiPaSB_NS8_12not_equal_toIaEEEEPiiNS8_4plusIiEEEE10hipError_tPvRmT1_T2_T3_mT4_P12ihipStream_tbEUlT_E0_NS1_11comp_targetILNS1_3genE3ELNS1_11target_archE908ELNS1_3gpuE7ELNS1_3repE0EEENS1_30default_config_static_selectorELNS0_4arch9wavefront6targetE1EEEvSL_
	.globl	_ZN7rocprim17ROCPRIM_400000_NS6detail17trampoline_kernelINS0_14default_configENS1_22reduce_config_selectorIiEEZNS1_11reduce_implILb1ES3_N6thrust23THRUST_200600_302600_NS11hip_rocprim35transform_pair_of_input_iterators_tIiPaSB_NS8_12not_equal_toIaEEEEPiiNS8_4plusIiEEEE10hipError_tPvRmT1_T2_T3_mT4_P12ihipStream_tbEUlT_E0_NS1_11comp_targetILNS1_3genE3ELNS1_11target_archE908ELNS1_3gpuE7ELNS1_3repE0EEENS1_30default_config_static_selectorELNS0_4arch9wavefront6targetE1EEEvSL_
	.p2align	8
	.type	_ZN7rocprim17ROCPRIM_400000_NS6detail17trampoline_kernelINS0_14default_configENS1_22reduce_config_selectorIiEEZNS1_11reduce_implILb1ES3_N6thrust23THRUST_200600_302600_NS11hip_rocprim35transform_pair_of_input_iterators_tIiPaSB_NS8_12not_equal_toIaEEEEPiiNS8_4plusIiEEEE10hipError_tPvRmT1_T2_T3_mT4_P12ihipStream_tbEUlT_E0_NS1_11comp_targetILNS1_3genE3ELNS1_11target_archE908ELNS1_3gpuE7ELNS1_3repE0EEENS1_30default_config_static_selectorELNS0_4arch9wavefront6targetE1EEEvSL_,@function
_ZN7rocprim17ROCPRIM_400000_NS6detail17trampoline_kernelINS0_14default_configENS1_22reduce_config_selectorIiEEZNS1_11reduce_implILb1ES3_N6thrust23THRUST_200600_302600_NS11hip_rocprim35transform_pair_of_input_iterators_tIiPaSB_NS8_12not_equal_toIaEEEEPiiNS8_4plusIiEEEE10hipError_tPvRmT1_T2_T3_mT4_P12ihipStream_tbEUlT_E0_NS1_11comp_targetILNS1_3genE3ELNS1_11target_archE908ELNS1_3gpuE7ELNS1_3repE0EEENS1_30default_config_static_selectorELNS0_4arch9wavefront6targetE1EEEvSL_: ; @_ZN7rocprim17ROCPRIM_400000_NS6detail17trampoline_kernelINS0_14default_configENS1_22reduce_config_selectorIiEEZNS1_11reduce_implILb1ES3_N6thrust23THRUST_200600_302600_NS11hip_rocprim35transform_pair_of_input_iterators_tIiPaSB_NS8_12not_equal_toIaEEEEPiiNS8_4plusIiEEEE10hipError_tPvRmT1_T2_T3_mT4_P12ihipStream_tbEUlT_E0_NS1_11comp_targetILNS1_3genE3ELNS1_11target_archE908ELNS1_3gpuE7ELNS1_3repE0EEENS1_30default_config_static_selectorELNS0_4arch9wavefront6targetE1EEEvSL_
; %bb.0:
	.section	.rodata,"a",@progbits
	.p2align	6, 0x0
	.amdhsa_kernel _ZN7rocprim17ROCPRIM_400000_NS6detail17trampoline_kernelINS0_14default_configENS1_22reduce_config_selectorIiEEZNS1_11reduce_implILb1ES3_N6thrust23THRUST_200600_302600_NS11hip_rocprim35transform_pair_of_input_iterators_tIiPaSB_NS8_12not_equal_toIaEEEEPiiNS8_4plusIiEEEE10hipError_tPvRmT1_T2_T3_mT4_P12ihipStream_tbEUlT_E0_NS1_11comp_targetILNS1_3genE3ELNS1_11target_archE908ELNS1_3gpuE7ELNS1_3repE0EEENS1_30default_config_static_selectorELNS0_4arch9wavefront6targetE1EEEvSL_
		.amdhsa_group_segment_fixed_size 0
		.amdhsa_private_segment_fixed_size 0
		.amdhsa_kernarg_size 72
		.amdhsa_user_sgpr_count 6
		.amdhsa_user_sgpr_private_segment_buffer 1
		.amdhsa_user_sgpr_dispatch_ptr 0
		.amdhsa_user_sgpr_queue_ptr 0
		.amdhsa_user_sgpr_kernarg_segment_ptr 1
		.amdhsa_user_sgpr_dispatch_id 0
		.amdhsa_user_sgpr_flat_scratch_init 0
		.amdhsa_user_sgpr_kernarg_preload_length 0
		.amdhsa_user_sgpr_kernarg_preload_offset 0
		.amdhsa_user_sgpr_private_segment_size 0
		.amdhsa_uses_dynamic_stack 0
		.amdhsa_system_sgpr_private_segment_wavefront_offset 0
		.amdhsa_system_sgpr_workgroup_id_x 1
		.amdhsa_system_sgpr_workgroup_id_y 0
		.amdhsa_system_sgpr_workgroup_id_z 0
		.amdhsa_system_sgpr_workgroup_info 0
		.amdhsa_system_vgpr_workitem_id 0
		.amdhsa_next_free_vgpr 1
		.amdhsa_next_free_sgpr 0
		.amdhsa_accum_offset 4
		.amdhsa_reserve_vcc 0
		.amdhsa_reserve_flat_scratch 0
		.amdhsa_float_round_mode_32 0
		.amdhsa_float_round_mode_16_64 0
		.amdhsa_float_denorm_mode_32 3
		.amdhsa_float_denorm_mode_16_64 3
		.amdhsa_dx10_clamp 1
		.amdhsa_ieee_mode 1
		.amdhsa_fp16_overflow 0
		.amdhsa_tg_split 0
		.amdhsa_exception_fp_ieee_invalid_op 0
		.amdhsa_exception_fp_denorm_src 0
		.amdhsa_exception_fp_ieee_div_zero 0
		.amdhsa_exception_fp_ieee_overflow 0
		.amdhsa_exception_fp_ieee_underflow 0
		.amdhsa_exception_fp_ieee_inexact 0
		.amdhsa_exception_int_div_zero 0
	.end_amdhsa_kernel
	.section	.text._ZN7rocprim17ROCPRIM_400000_NS6detail17trampoline_kernelINS0_14default_configENS1_22reduce_config_selectorIiEEZNS1_11reduce_implILb1ES3_N6thrust23THRUST_200600_302600_NS11hip_rocprim35transform_pair_of_input_iterators_tIiPaSB_NS8_12not_equal_toIaEEEEPiiNS8_4plusIiEEEE10hipError_tPvRmT1_T2_T3_mT4_P12ihipStream_tbEUlT_E0_NS1_11comp_targetILNS1_3genE3ELNS1_11target_archE908ELNS1_3gpuE7ELNS1_3repE0EEENS1_30default_config_static_selectorELNS0_4arch9wavefront6targetE1EEEvSL_,"axG",@progbits,_ZN7rocprim17ROCPRIM_400000_NS6detail17trampoline_kernelINS0_14default_configENS1_22reduce_config_selectorIiEEZNS1_11reduce_implILb1ES3_N6thrust23THRUST_200600_302600_NS11hip_rocprim35transform_pair_of_input_iterators_tIiPaSB_NS8_12not_equal_toIaEEEEPiiNS8_4plusIiEEEE10hipError_tPvRmT1_T2_T3_mT4_P12ihipStream_tbEUlT_E0_NS1_11comp_targetILNS1_3genE3ELNS1_11target_archE908ELNS1_3gpuE7ELNS1_3repE0EEENS1_30default_config_static_selectorELNS0_4arch9wavefront6targetE1EEEvSL_,comdat
.Lfunc_end657:
	.size	_ZN7rocprim17ROCPRIM_400000_NS6detail17trampoline_kernelINS0_14default_configENS1_22reduce_config_selectorIiEEZNS1_11reduce_implILb1ES3_N6thrust23THRUST_200600_302600_NS11hip_rocprim35transform_pair_of_input_iterators_tIiPaSB_NS8_12not_equal_toIaEEEEPiiNS8_4plusIiEEEE10hipError_tPvRmT1_T2_T3_mT4_P12ihipStream_tbEUlT_E0_NS1_11comp_targetILNS1_3genE3ELNS1_11target_archE908ELNS1_3gpuE7ELNS1_3repE0EEENS1_30default_config_static_selectorELNS0_4arch9wavefront6targetE1EEEvSL_, .Lfunc_end657-_ZN7rocprim17ROCPRIM_400000_NS6detail17trampoline_kernelINS0_14default_configENS1_22reduce_config_selectorIiEEZNS1_11reduce_implILb1ES3_N6thrust23THRUST_200600_302600_NS11hip_rocprim35transform_pair_of_input_iterators_tIiPaSB_NS8_12not_equal_toIaEEEEPiiNS8_4plusIiEEEE10hipError_tPvRmT1_T2_T3_mT4_P12ihipStream_tbEUlT_E0_NS1_11comp_targetILNS1_3genE3ELNS1_11target_archE908ELNS1_3gpuE7ELNS1_3repE0EEENS1_30default_config_static_selectorELNS0_4arch9wavefront6targetE1EEEvSL_
                                        ; -- End function
	.section	.AMDGPU.csdata,"",@progbits
; Kernel info:
; codeLenInByte = 0
; NumSgprs: 4
; NumVgprs: 0
; NumAgprs: 0
; TotalNumVgprs: 0
; ScratchSize: 0
; MemoryBound: 0
; FloatMode: 240
; IeeeMode: 1
; LDSByteSize: 0 bytes/workgroup (compile time only)
; SGPRBlocks: 0
; VGPRBlocks: 0
; NumSGPRsForWavesPerEU: 4
; NumVGPRsForWavesPerEU: 1
; AccumOffset: 4
; Occupancy: 8
; WaveLimiterHint : 0
; COMPUTE_PGM_RSRC2:SCRATCH_EN: 0
; COMPUTE_PGM_RSRC2:USER_SGPR: 6
; COMPUTE_PGM_RSRC2:TRAP_HANDLER: 0
; COMPUTE_PGM_RSRC2:TGID_X_EN: 1
; COMPUTE_PGM_RSRC2:TGID_Y_EN: 0
; COMPUTE_PGM_RSRC2:TGID_Z_EN: 0
; COMPUTE_PGM_RSRC2:TIDIG_COMP_CNT: 0
; COMPUTE_PGM_RSRC3_GFX90A:ACCUM_OFFSET: 0
; COMPUTE_PGM_RSRC3_GFX90A:TG_SPLIT: 0
	.section	.text._ZN7rocprim17ROCPRIM_400000_NS6detail17trampoline_kernelINS0_14default_configENS1_22reduce_config_selectorIiEEZNS1_11reduce_implILb1ES3_N6thrust23THRUST_200600_302600_NS11hip_rocprim35transform_pair_of_input_iterators_tIiPaSB_NS8_12not_equal_toIaEEEEPiiNS8_4plusIiEEEE10hipError_tPvRmT1_T2_T3_mT4_P12ihipStream_tbEUlT_E0_NS1_11comp_targetILNS1_3genE2ELNS1_11target_archE906ELNS1_3gpuE6ELNS1_3repE0EEENS1_30default_config_static_selectorELNS0_4arch9wavefront6targetE1EEEvSL_,"axG",@progbits,_ZN7rocprim17ROCPRIM_400000_NS6detail17trampoline_kernelINS0_14default_configENS1_22reduce_config_selectorIiEEZNS1_11reduce_implILb1ES3_N6thrust23THRUST_200600_302600_NS11hip_rocprim35transform_pair_of_input_iterators_tIiPaSB_NS8_12not_equal_toIaEEEEPiiNS8_4plusIiEEEE10hipError_tPvRmT1_T2_T3_mT4_P12ihipStream_tbEUlT_E0_NS1_11comp_targetILNS1_3genE2ELNS1_11target_archE906ELNS1_3gpuE6ELNS1_3repE0EEENS1_30default_config_static_selectorELNS0_4arch9wavefront6targetE1EEEvSL_,comdat
	.protected	_ZN7rocprim17ROCPRIM_400000_NS6detail17trampoline_kernelINS0_14default_configENS1_22reduce_config_selectorIiEEZNS1_11reduce_implILb1ES3_N6thrust23THRUST_200600_302600_NS11hip_rocprim35transform_pair_of_input_iterators_tIiPaSB_NS8_12not_equal_toIaEEEEPiiNS8_4plusIiEEEE10hipError_tPvRmT1_T2_T3_mT4_P12ihipStream_tbEUlT_E0_NS1_11comp_targetILNS1_3genE2ELNS1_11target_archE906ELNS1_3gpuE6ELNS1_3repE0EEENS1_30default_config_static_selectorELNS0_4arch9wavefront6targetE1EEEvSL_ ; -- Begin function _ZN7rocprim17ROCPRIM_400000_NS6detail17trampoline_kernelINS0_14default_configENS1_22reduce_config_selectorIiEEZNS1_11reduce_implILb1ES3_N6thrust23THRUST_200600_302600_NS11hip_rocprim35transform_pair_of_input_iterators_tIiPaSB_NS8_12not_equal_toIaEEEEPiiNS8_4plusIiEEEE10hipError_tPvRmT1_T2_T3_mT4_P12ihipStream_tbEUlT_E0_NS1_11comp_targetILNS1_3genE2ELNS1_11target_archE906ELNS1_3gpuE6ELNS1_3repE0EEENS1_30default_config_static_selectorELNS0_4arch9wavefront6targetE1EEEvSL_
	.globl	_ZN7rocprim17ROCPRIM_400000_NS6detail17trampoline_kernelINS0_14default_configENS1_22reduce_config_selectorIiEEZNS1_11reduce_implILb1ES3_N6thrust23THRUST_200600_302600_NS11hip_rocprim35transform_pair_of_input_iterators_tIiPaSB_NS8_12not_equal_toIaEEEEPiiNS8_4plusIiEEEE10hipError_tPvRmT1_T2_T3_mT4_P12ihipStream_tbEUlT_E0_NS1_11comp_targetILNS1_3genE2ELNS1_11target_archE906ELNS1_3gpuE6ELNS1_3repE0EEENS1_30default_config_static_selectorELNS0_4arch9wavefront6targetE1EEEvSL_
	.p2align	8
	.type	_ZN7rocprim17ROCPRIM_400000_NS6detail17trampoline_kernelINS0_14default_configENS1_22reduce_config_selectorIiEEZNS1_11reduce_implILb1ES3_N6thrust23THRUST_200600_302600_NS11hip_rocprim35transform_pair_of_input_iterators_tIiPaSB_NS8_12not_equal_toIaEEEEPiiNS8_4plusIiEEEE10hipError_tPvRmT1_T2_T3_mT4_P12ihipStream_tbEUlT_E0_NS1_11comp_targetILNS1_3genE2ELNS1_11target_archE906ELNS1_3gpuE6ELNS1_3repE0EEENS1_30default_config_static_selectorELNS0_4arch9wavefront6targetE1EEEvSL_,@function
_ZN7rocprim17ROCPRIM_400000_NS6detail17trampoline_kernelINS0_14default_configENS1_22reduce_config_selectorIiEEZNS1_11reduce_implILb1ES3_N6thrust23THRUST_200600_302600_NS11hip_rocprim35transform_pair_of_input_iterators_tIiPaSB_NS8_12not_equal_toIaEEEEPiiNS8_4plusIiEEEE10hipError_tPvRmT1_T2_T3_mT4_P12ihipStream_tbEUlT_E0_NS1_11comp_targetILNS1_3genE2ELNS1_11target_archE906ELNS1_3gpuE6ELNS1_3repE0EEENS1_30default_config_static_selectorELNS0_4arch9wavefront6targetE1EEEvSL_: ; @_ZN7rocprim17ROCPRIM_400000_NS6detail17trampoline_kernelINS0_14default_configENS1_22reduce_config_selectorIiEEZNS1_11reduce_implILb1ES3_N6thrust23THRUST_200600_302600_NS11hip_rocprim35transform_pair_of_input_iterators_tIiPaSB_NS8_12not_equal_toIaEEEEPiiNS8_4plusIiEEEE10hipError_tPvRmT1_T2_T3_mT4_P12ihipStream_tbEUlT_E0_NS1_11comp_targetILNS1_3genE2ELNS1_11target_archE906ELNS1_3gpuE6ELNS1_3repE0EEENS1_30default_config_static_selectorELNS0_4arch9wavefront6targetE1EEEvSL_
; %bb.0:
	.section	.rodata,"a",@progbits
	.p2align	6, 0x0
	.amdhsa_kernel _ZN7rocprim17ROCPRIM_400000_NS6detail17trampoline_kernelINS0_14default_configENS1_22reduce_config_selectorIiEEZNS1_11reduce_implILb1ES3_N6thrust23THRUST_200600_302600_NS11hip_rocprim35transform_pair_of_input_iterators_tIiPaSB_NS8_12not_equal_toIaEEEEPiiNS8_4plusIiEEEE10hipError_tPvRmT1_T2_T3_mT4_P12ihipStream_tbEUlT_E0_NS1_11comp_targetILNS1_3genE2ELNS1_11target_archE906ELNS1_3gpuE6ELNS1_3repE0EEENS1_30default_config_static_selectorELNS0_4arch9wavefront6targetE1EEEvSL_
		.amdhsa_group_segment_fixed_size 0
		.amdhsa_private_segment_fixed_size 0
		.amdhsa_kernarg_size 72
		.amdhsa_user_sgpr_count 6
		.amdhsa_user_sgpr_private_segment_buffer 1
		.amdhsa_user_sgpr_dispatch_ptr 0
		.amdhsa_user_sgpr_queue_ptr 0
		.amdhsa_user_sgpr_kernarg_segment_ptr 1
		.amdhsa_user_sgpr_dispatch_id 0
		.amdhsa_user_sgpr_flat_scratch_init 0
		.amdhsa_user_sgpr_kernarg_preload_length 0
		.amdhsa_user_sgpr_kernarg_preload_offset 0
		.amdhsa_user_sgpr_private_segment_size 0
		.amdhsa_uses_dynamic_stack 0
		.amdhsa_system_sgpr_private_segment_wavefront_offset 0
		.amdhsa_system_sgpr_workgroup_id_x 1
		.amdhsa_system_sgpr_workgroup_id_y 0
		.amdhsa_system_sgpr_workgroup_id_z 0
		.amdhsa_system_sgpr_workgroup_info 0
		.amdhsa_system_vgpr_workitem_id 0
		.amdhsa_next_free_vgpr 1
		.amdhsa_next_free_sgpr 0
		.amdhsa_accum_offset 4
		.amdhsa_reserve_vcc 0
		.amdhsa_reserve_flat_scratch 0
		.amdhsa_float_round_mode_32 0
		.amdhsa_float_round_mode_16_64 0
		.amdhsa_float_denorm_mode_32 3
		.amdhsa_float_denorm_mode_16_64 3
		.amdhsa_dx10_clamp 1
		.amdhsa_ieee_mode 1
		.amdhsa_fp16_overflow 0
		.amdhsa_tg_split 0
		.amdhsa_exception_fp_ieee_invalid_op 0
		.amdhsa_exception_fp_denorm_src 0
		.amdhsa_exception_fp_ieee_div_zero 0
		.amdhsa_exception_fp_ieee_overflow 0
		.amdhsa_exception_fp_ieee_underflow 0
		.amdhsa_exception_fp_ieee_inexact 0
		.amdhsa_exception_int_div_zero 0
	.end_amdhsa_kernel
	.section	.text._ZN7rocprim17ROCPRIM_400000_NS6detail17trampoline_kernelINS0_14default_configENS1_22reduce_config_selectorIiEEZNS1_11reduce_implILb1ES3_N6thrust23THRUST_200600_302600_NS11hip_rocprim35transform_pair_of_input_iterators_tIiPaSB_NS8_12not_equal_toIaEEEEPiiNS8_4plusIiEEEE10hipError_tPvRmT1_T2_T3_mT4_P12ihipStream_tbEUlT_E0_NS1_11comp_targetILNS1_3genE2ELNS1_11target_archE906ELNS1_3gpuE6ELNS1_3repE0EEENS1_30default_config_static_selectorELNS0_4arch9wavefront6targetE1EEEvSL_,"axG",@progbits,_ZN7rocprim17ROCPRIM_400000_NS6detail17trampoline_kernelINS0_14default_configENS1_22reduce_config_selectorIiEEZNS1_11reduce_implILb1ES3_N6thrust23THRUST_200600_302600_NS11hip_rocprim35transform_pair_of_input_iterators_tIiPaSB_NS8_12not_equal_toIaEEEEPiiNS8_4plusIiEEEE10hipError_tPvRmT1_T2_T3_mT4_P12ihipStream_tbEUlT_E0_NS1_11comp_targetILNS1_3genE2ELNS1_11target_archE906ELNS1_3gpuE6ELNS1_3repE0EEENS1_30default_config_static_selectorELNS0_4arch9wavefront6targetE1EEEvSL_,comdat
.Lfunc_end658:
	.size	_ZN7rocprim17ROCPRIM_400000_NS6detail17trampoline_kernelINS0_14default_configENS1_22reduce_config_selectorIiEEZNS1_11reduce_implILb1ES3_N6thrust23THRUST_200600_302600_NS11hip_rocprim35transform_pair_of_input_iterators_tIiPaSB_NS8_12not_equal_toIaEEEEPiiNS8_4plusIiEEEE10hipError_tPvRmT1_T2_T3_mT4_P12ihipStream_tbEUlT_E0_NS1_11comp_targetILNS1_3genE2ELNS1_11target_archE906ELNS1_3gpuE6ELNS1_3repE0EEENS1_30default_config_static_selectorELNS0_4arch9wavefront6targetE1EEEvSL_, .Lfunc_end658-_ZN7rocprim17ROCPRIM_400000_NS6detail17trampoline_kernelINS0_14default_configENS1_22reduce_config_selectorIiEEZNS1_11reduce_implILb1ES3_N6thrust23THRUST_200600_302600_NS11hip_rocprim35transform_pair_of_input_iterators_tIiPaSB_NS8_12not_equal_toIaEEEEPiiNS8_4plusIiEEEE10hipError_tPvRmT1_T2_T3_mT4_P12ihipStream_tbEUlT_E0_NS1_11comp_targetILNS1_3genE2ELNS1_11target_archE906ELNS1_3gpuE6ELNS1_3repE0EEENS1_30default_config_static_selectorELNS0_4arch9wavefront6targetE1EEEvSL_
                                        ; -- End function
	.section	.AMDGPU.csdata,"",@progbits
; Kernel info:
; codeLenInByte = 0
; NumSgprs: 4
; NumVgprs: 0
; NumAgprs: 0
; TotalNumVgprs: 0
; ScratchSize: 0
; MemoryBound: 0
; FloatMode: 240
; IeeeMode: 1
; LDSByteSize: 0 bytes/workgroup (compile time only)
; SGPRBlocks: 0
; VGPRBlocks: 0
; NumSGPRsForWavesPerEU: 4
; NumVGPRsForWavesPerEU: 1
; AccumOffset: 4
; Occupancy: 8
; WaveLimiterHint : 0
; COMPUTE_PGM_RSRC2:SCRATCH_EN: 0
; COMPUTE_PGM_RSRC2:USER_SGPR: 6
; COMPUTE_PGM_RSRC2:TRAP_HANDLER: 0
; COMPUTE_PGM_RSRC2:TGID_X_EN: 1
; COMPUTE_PGM_RSRC2:TGID_Y_EN: 0
; COMPUTE_PGM_RSRC2:TGID_Z_EN: 0
; COMPUTE_PGM_RSRC2:TIDIG_COMP_CNT: 0
; COMPUTE_PGM_RSRC3_GFX90A:ACCUM_OFFSET: 0
; COMPUTE_PGM_RSRC3_GFX90A:TG_SPLIT: 0
	.section	.text._ZN7rocprim17ROCPRIM_400000_NS6detail17trampoline_kernelINS0_14default_configENS1_22reduce_config_selectorIiEEZNS1_11reduce_implILb1ES3_N6thrust23THRUST_200600_302600_NS11hip_rocprim35transform_pair_of_input_iterators_tIiPaSB_NS8_12not_equal_toIaEEEEPiiNS8_4plusIiEEEE10hipError_tPvRmT1_T2_T3_mT4_P12ihipStream_tbEUlT_E0_NS1_11comp_targetILNS1_3genE10ELNS1_11target_archE1201ELNS1_3gpuE5ELNS1_3repE0EEENS1_30default_config_static_selectorELNS0_4arch9wavefront6targetE1EEEvSL_,"axG",@progbits,_ZN7rocprim17ROCPRIM_400000_NS6detail17trampoline_kernelINS0_14default_configENS1_22reduce_config_selectorIiEEZNS1_11reduce_implILb1ES3_N6thrust23THRUST_200600_302600_NS11hip_rocprim35transform_pair_of_input_iterators_tIiPaSB_NS8_12not_equal_toIaEEEEPiiNS8_4plusIiEEEE10hipError_tPvRmT1_T2_T3_mT4_P12ihipStream_tbEUlT_E0_NS1_11comp_targetILNS1_3genE10ELNS1_11target_archE1201ELNS1_3gpuE5ELNS1_3repE0EEENS1_30default_config_static_selectorELNS0_4arch9wavefront6targetE1EEEvSL_,comdat
	.protected	_ZN7rocprim17ROCPRIM_400000_NS6detail17trampoline_kernelINS0_14default_configENS1_22reduce_config_selectorIiEEZNS1_11reduce_implILb1ES3_N6thrust23THRUST_200600_302600_NS11hip_rocprim35transform_pair_of_input_iterators_tIiPaSB_NS8_12not_equal_toIaEEEEPiiNS8_4plusIiEEEE10hipError_tPvRmT1_T2_T3_mT4_P12ihipStream_tbEUlT_E0_NS1_11comp_targetILNS1_3genE10ELNS1_11target_archE1201ELNS1_3gpuE5ELNS1_3repE0EEENS1_30default_config_static_selectorELNS0_4arch9wavefront6targetE1EEEvSL_ ; -- Begin function _ZN7rocprim17ROCPRIM_400000_NS6detail17trampoline_kernelINS0_14default_configENS1_22reduce_config_selectorIiEEZNS1_11reduce_implILb1ES3_N6thrust23THRUST_200600_302600_NS11hip_rocprim35transform_pair_of_input_iterators_tIiPaSB_NS8_12not_equal_toIaEEEEPiiNS8_4plusIiEEEE10hipError_tPvRmT1_T2_T3_mT4_P12ihipStream_tbEUlT_E0_NS1_11comp_targetILNS1_3genE10ELNS1_11target_archE1201ELNS1_3gpuE5ELNS1_3repE0EEENS1_30default_config_static_selectorELNS0_4arch9wavefront6targetE1EEEvSL_
	.globl	_ZN7rocprim17ROCPRIM_400000_NS6detail17trampoline_kernelINS0_14default_configENS1_22reduce_config_selectorIiEEZNS1_11reduce_implILb1ES3_N6thrust23THRUST_200600_302600_NS11hip_rocprim35transform_pair_of_input_iterators_tIiPaSB_NS8_12not_equal_toIaEEEEPiiNS8_4plusIiEEEE10hipError_tPvRmT1_T2_T3_mT4_P12ihipStream_tbEUlT_E0_NS1_11comp_targetILNS1_3genE10ELNS1_11target_archE1201ELNS1_3gpuE5ELNS1_3repE0EEENS1_30default_config_static_selectorELNS0_4arch9wavefront6targetE1EEEvSL_
	.p2align	8
	.type	_ZN7rocprim17ROCPRIM_400000_NS6detail17trampoline_kernelINS0_14default_configENS1_22reduce_config_selectorIiEEZNS1_11reduce_implILb1ES3_N6thrust23THRUST_200600_302600_NS11hip_rocprim35transform_pair_of_input_iterators_tIiPaSB_NS8_12not_equal_toIaEEEEPiiNS8_4plusIiEEEE10hipError_tPvRmT1_T2_T3_mT4_P12ihipStream_tbEUlT_E0_NS1_11comp_targetILNS1_3genE10ELNS1_11target_archE1201ELNS1_3gpuE5ELNS1_3repE0EEENS1_30default_config_static_selectorELNS0_4arch9wavefront6targetE1EEEvSL_,@function
_ZN7rocprim17ROCPRIM_400000_NS6detail17trampoline_kernelINS0_14default_configENS1_22reduce_config_selectorIiEEZNS1_11reduce_implILb1ES3_N6thrust23THRUST_200600_302600_NS11hip_rocprim35transform_pair_of_input_iterators_tIiPaSB_NS8_12not_equal_toIaEEEEPiiNS8_4plusIiEEEE10hipError_tPvRmT1_T2_T3_mT4_P12ihipStream_tbEUlT_E0_NS1_11comp_targetILNS1_3genE10ELNS1_11target_archE1201ELNS1_3gpuE5ELNS1_3repE0EEENS1_30default_config_static_selectorELNS0_4arch9wavefront6targetE1EEEvSL_: ; @_ZN7rocprim17ROCPRIM_400000_NS6detail17trampoline_kernelINS0_14default_configENS1_22reduce_config_selectorIiEEZNS1_11reduce_implILb1ES3_N6thrust23THRUST_200600_302600_NS11hip_rocprim35transform_pair_of_input_iterators_tIiPaSB_NS8_12not_equal_toIaEEEEPiiNS8_4plusIiEEEE10hipError_tPvRmT1_T2_T3_mT4_P12ihipStream_tbEUlT_E0_NS1_11comp_targetILNS1_3genE10ELNS1_11target_archE1201ELNS1_3gpuE5ELNS1_3repE0EEENS1_30default_config_static_selectorELNS0_4arch9wavefront6targetE1EEEvSL_
; %bb.0:
	.section	.rodata,"a",@progbits
	.p2align	6, 0x0
	.amdhsa_kernel _ZN7rocprim17ROCPRIM_400000_NS6detail17trampoline_kernelINS0_14default_configENS1_22reduce_config_selectorIiEEZNS1_11reduce_implILb1ES3_N6thrust23THRUST_200600_302600_NS11hip_rocprim35transform_pair_of_input_iterators_tIiPaSB_NS8_12not_equal_toIaEEEEPiiNS8_4plusIiEEEE10hipError_tPvRmT1_T2_T3_mT4_P12ihipStream_tbEUlT_E0_NS1_11comp_targetILNS1_3genE10ELNS1_11target_archE1201ELNS1_3gpuE5ELNS1_3repE0EEENS1_30default_config_static_selectorELNS0_4arch9wavefront6targetE1EEEvSL_
		.amdhsa_group_segment_fixed_size 0
		.amdhsa_private_segment_fixed_size 0
		.amdhsa_kernarg_size 72
		.amdhsa_user_sgpr_count 6
		.amdhsa_user_sgpr_private_segment_buffer 1
		.amdhsa_user_sgpr_dispatch_ptr 0
		.amdhsa_user_sgpr_queue_ptr 0
		.amdhsa_user_sgpr_kernarg_segment_ptr 1
		.amdhsa_user_sgpr_dispatch_id 0
		.amdhsa_user_sgpr_flat_scratch_init 0
		.amdhsa_user_sgpr_kernarg_preload_length 0
		.amdhsa_user_sgpr_kernarg_preload_offset 0
		.amdhsa_user_sgpr_private_segment_size 0
		.amdhsa_uses_dynamic_stack 0
		.amdhsa_system_sgpr_private_segment_wavefront_offset 0
		.amdhsa_system_sgpr_workgroup_id_x 1
		.amdhsa_system_sgpr_workgroup_id_y 0
		.amdhsa_system_sgpr_workgroup_id_z 0
		.amdhsa_system_sgpr_workgroup_info 0
		.amdhsa_system_vgpr_workitem_id 0
		.amdhsa_next_free_vgpr 1
		.amdhsa_next_free_sgpr 0
		.amdhsa_accum_offset 4
		.amdhsa_reserve_vcc 0
		.amdhsa_reserve_flat_scratch 0
		.amdhsa_float_round_mode_32 0
		.amdhsa_float_round_mode_16_64 0
		.amdhsa_float_denorm_mode_32 3
		.amdhsa_float_denorm_mode_16_64 3
		.amdhsa_dx10_clamp 1
		.amdhsa_ieee_mode 1
		.amdhsa_fp16_overflow 0
		.amdhsa_tg_split 0
		.amdhsa_exception_fp_ieee_invalid_op 0
		.amdhsa_exception_fp_denorm_src 0
		.amdhsa_exception_fp_ieee_div_zero 0
		.amdhsa_exception_fp_ieee_overflow 0
		.amdhsa_exception_fp_ieee_underflow 0
		.amdhsa_exception_fp_ieee_inexact 0
		.amdhsa_exception_int_div_zero 0
	.end_amdhsa_kernel
	.section	.text._ZN7rocprim17ROCPRIM_400000_NS6detail17trampoline_kernelINS0_14default_configENS1_22reduce_config_selectorIiEEZNS1_11reduce_implILb1ES3_N6thrust23THRUST_200600_302600_NS11hip_rocprim35transform_pair_of_input_iterators_tIiPaSB_NS8_12not_equal_toIaEEEEPiiNS8_4plusIiEEEE10hipError_tPvRmT1_T2_T3_mT4_P12ihipStream_tbEUlT_E0_NS1_11comp_targetILNS1_3genE10ELNS1_11target_archE1201ELNS1_3gpuE5ELNS1_3repE0EEENS1_30default_config_static_selectorELNS0_4arch9wavefront6targetE1EEEvSL_,"axG",@progbits,_ZN7rocprim17ROCPRIM_400000_NS6detail17trampoline_kernelINS0_14default_configENS1_22reduce_config_selectorIiEEZNS1_11reduce_implILb1ES3_N6thrust23THRUST_200600_302600_NS11hip_rocprim35transform_pair_of_input_iterators_tIiPaSB_NS8_12not_equal_toIaEEEEPiiNS8_4plusIiEEEE10hipError_tPvRmT1_T2_T3_mT4_P12ihipStream_tbEUlT_E0_NS1_11comp_targetILNS1_3genE10ELNS1_11target_archE1201ELNS1_3gpuE5ELNS1_3repE0EEENS1_30default_config_static_selectorELNS0_4arch9wavefront6targetE1EEEvSL_,comdat
.Lfunc_end659:
	.size	_ZN7rocprim17ROCPRIM_400000_NS6detail17trampoline_kernelINS0_14default_configENS1_22reduce_config_selectorIiEEZNS1_11reduce_implILb1ES3_N6thrust23THRUST_200600_302600_NS11hip_rocprim35transform_pair_of_input_iterators_tIiPaSB_NS8_12not_equal_toIaEEEEPiiNS8_4plusIiEEEE10hipError_tPvRmT1_T2_T3_mT4_P12ihipStream_tbEUlT_E0_NS1_11comp_targetILNS1_3genE10ELNS1_11target_archE1201ELNS1_3gpuE5ELNS1_3repE0EEENS1_30default_config_static_selectorELNS0_4arch9wavefront6targetE1EEEvSL_, .Lfunc_end659-_ZN7rocprim17ROCPRIM_400000_NS6detail17trampoline_kernelINS0_14default_configENS1_22reduce_config_selectorIiEEZNS1_11reduce_implILb1ES3_N6thrust23THRUST_200600_302600_NS11hip_rocprim35transform_pair_of_input_iterators_tIiPaSB_NS8_12not_equal_toIaEEEEPiiNS8_4plusIiEEEE10hipError_tPvRmT1_T2_T3_mT4_P12ihipStream_tbEUlT_E0_NS1_11comp_targetILNS1_3genE10ELNS1_11target_archE1201ELNS1_3gpuE5ELNS1_3repE0EEENS1_30default_config_static_selectorELNS0_4arch9wavefront6targetE1EEEvSL_
                                        ; -- End function
	.section	.AMDGPU.csdata,"",@progbits
; Kernel info:
; codeLenInByte = 0
; NumSgprs: 4
; NumVgprs: 0
; NumAgprs: 0
; TotalNumVgprs: 0
; ScratchSize: 0
; MemoryBound: 0
; FloatMode: 240
; IeeeMode: 1
; LDSByteSize: 0 bytes/workgroup (compile time only)
; SGPRBlocks: 0
; VGPRBlocks: 0
; NumSGPRsForWavesPerEU: 4
; NumVGPRsForWavesPerEU: 1
; AccumOffset: 4
; Occupancy: 8
; WaveLimiterHint : 0
; COMPUTE_PGM_RSRC2:SCRATCH_EN: 0
; COMPUTE_PGM_RSRC2:USER_SGPR: 6
; COMPUTE_PGM_RSRC2:TRAP_HANDLER: 0
; COMPUTE_PGM_RSRC2:TGID_X_EN: 1
; COMPUTE_PGM_RSRC2:TGID_Y_EN: 0
; COMPUTE_PGM_RSRC2:TGID_Z_EN: 0
; COMPUTE_PGM_RSRC2:TIDIG_COMP_CNT: 0
; COMPUTE_PGM_RSRC3_GFX90A:ACCUM_OFFSET: 0
; COMPUTE_PGM_RSRC3_GFX90A:TG_SPLIT: 0
	.section	.text._ZN7rocprim17ROCPRIM_400000_NS6detail17trampoline_kernelINS0_14default_configENS1_22reduce_config_selectorIiEEZNS1_11reduce_implILb1ES3_N6thrust23THRUST_200600_302600_NS11hip_rocprim35transform_pair_of_input_iterators_tIiPaSB_NS8_12not_equal_toIaEEEEPiiNS8_4plusIiEEEE10hipError_tPvRmT1_T2_T3_mT4_P12ihipStream_tbEUlT_E0_NS1_11comp_targetILNS1_3genE10ELNS1_11target_archE1200ELNS1_3gpuE4ELNS1_3repE0EEENS1_30default_config_static_selectorELNS0_4arch9wavefront6targetE1EEEvSL_,"axG",@progbits,_ZN7rocprim17ROCPRIM_400000_NS6detail17trampoline_kernelINS0_14default_configENS1_22reduce_config_selectorIiEEZNS1_11reduce_implILb1ES3_N6thrust23THRUST_200600_302600_NS11hip_rocprim35transform_pair_of_input_iterators_tIiPaSB_NS8_12not_equal_toIaEEEEPiiNS8_4plusIiEEEE10hipError_tPvRmT1_T2_T3_mT4_P12ihipStream_tbEUlT_E0_NS1_11comp_targetILNS1_3genE10ELNS1_11target_archE1200ELNS1_3gpuE4ELNS1_3repE0EEENS1_30default_config_static_selectorELNS0_4arch9wavefront6targetE1EEEvSL_,comdat
	.protected	_ZN7rocprim17ROCPRIM_400000_NS6detail17trampoline_kernelINS0_14default_configENS1_22reduce_config_selectorIiEEZNS1_11reduce_implILb1ES3_N6thrust23THRUST_200600_302600_NS11hip_rocprim35transform_pair_of_input_iterators_tIiPaSB_NS8_12not_equal_toIaEEEEPiiNS8_4plusIiEEEE10hipError_tPvRmT1_T2_T3_mT4_P12ihipStream_tbEUlT_E0_NS1_11comp_targetILNS1_3genE10ELNS1_11target_archE1200ELNS1_3gpuE4ELNS1_3repE0EEENS1_30default_config_static_selectorELNS0_4arch9wavefront6targetE1EEEvSL_ ; -- Begin function _ZN7rocprim17ROCPRIM_400000_NS6detail17trampoline_kernelINS0_14default_configENS1_22reduce_config_selectorIiEEZNS1_11reduce_implILb1ES3_N6thrust23THRUST_200600_302600_NS11hip_rocprim35transform_pair_of_input_iterators_tIiPaSB_NS8_12not_equal_toIaEEEEPiiNS8_4plusIiEEEE10hipError_tPvRmT1_T2_T3_mT4_P12ihipStream_tbEUlT_E0_NS1_11comp_targetILNS1_3genE10ELNS1_11target_archE1200ELNS1_3gpuE4ELNS1_3repE0EEENS1_30default_config_static_selectorELNS0_4arch9wavefront6targetE1EEEvSL_
	.globl	_ZN7rocprim17ROCPRIM_400000_NS6detail17trampoline_kernelINS0_14default_configENS1_22reduce_config_selectorIiEEZNS1_11reduce_implILb1ES3_N6thrust23THRUST_200600_302600_NS11hip_rocprim35transform_pair_of_input_iterators_tIiPaSB_NS8_12not_equal_toIaEEEEPiiNS8_4plusIiEEEE10hipError_tPvRmT1_T2_T3_mT4_P12ihipStream_tbEUlT_E0_NS1_11comp_targetILNS1_3genE10ELNS1_11target_archE1200ELNS1_3gpuE4ELNS1_3repE0EEENS1_30default_config_static_selectorELNS0_4arch9wavefront6targetE1EEEvSL_
	.p2align	8
	.type	_ZN7rocprim17ROCPRIM_400000_NS6detail17trampoline_kernelINS0_14default_configENS1_22reduce_config_selectorIiEEZNS1_11reduce_implILb1ES3_N6thrust23THRUST_200600_302600_NS11hip_rocprim35transform_pair_of_input_iterators_tIiPaSB_NS8_12not_equal_toIaEEEEPiiNS8_4plusIiEEEE10hipError_tPvRmT1_T2_T3_mT4_P12ihipStream_tbEUlT_E0_NS1_11comp_targetILNS1_3genE10ELNS1_11target_archE1200ELNS1_3gpuE4ELNS1_3repE0EEENS1_30default_config_static_selectorELNS0_4arch9wavefront6targetE1EEEvSL_,@function
_ZN7rocprim17ROCPRIM_400000_NS6detail17trampoline_kernelINS0_14default_configENS1_22reduce_config_selectorIiEEZNS1_11reduce_implILb1ES3_N6thrust23THRUST_200600_302600_NS11hip_rocprim35transform_pair_of_input_iterators_tIiPaSB_NS8_12not_equal_toIaEEEEPiiNS8_4plusIiEEEE10hipError_tPvRmT1_T2_T3_mT4_P12ihipStream_tbEUlT_E0_NS1_11comp_targetILNS1_3genE10ELNS1_11target_archE1200ELNS1_3gpuE4ELNS1_3repE0EEENS1_30default_config_static_selectorELNS0_4arch9wavefront6targetE1EEEvSL_: ; @_ZN7rocprim17ROCPRIM_400000_NS6detail17trampoline_kernelINS0_14default_configENS1_22reduce_config_selectorIiEEZNS1_11reduce_implILb1ES3_N6thrust23THRUST_200600_302600_NS11hip_rocprim35transform_pair_of_input_iterators_tIiPaSB_NS8_12not_equal_toIaEEEEPiiNS8_4plusIiEEEE10hipError_tPvRmT1_T2_T3_mT4_P12ihipStream_tbEUlT_E0_NS1_11comp_targetILNS1_3genE10ELNS1_11target_archE1200ELNS1_3gpuE4ELNS1_3repE0EEENS1_30default_config_static_selectorELNS0_4arch9wavefront6targetE1EEEvSL_
; %bb.0:
	.section	.rodata,"a",@progbits
	.p2align	6, 0x0
	.amdhsa_kernel _ZN7rocprim17ROCPRIM_400000_NS6detail17trampoline_kernelINS0_14default_configENS1_22reduce_config_selectorIiEEZNS1_11reduce_implILb1ES3_N6thrust23THRUST_200600_302600_NS11hip_rocprim35transform_pair_of_input_iterators_tIiPaSB_NS8_12not_equal_toIaEEEEPiiNS8_4plusIiEEEE10hipError_tPvRmT1_T2_T3_mT4_P12ihipStream_tbEUlT_E0_NS1_11comp_targetILNS1_3genE10ELNS1_11target_archE1200ELNS1_3gpuE4ELNS1_3repE0EEENS1_30default_config_static_selectorELNS0_4arch9wavefront6targetE1EEEvSL_
		.amdhsa_group_segment_fixed_size 0
		.amdhsa_private_segment_fixed_size 0
		.amdhsa_kernarg_size 72
		.amdhsa_user_sgpr_count 6
		.amdhsa_user_sgpr_private_segment_buffer 1
		.amdhsa_user_sgpr_dispatch_ptr 0
		.amdhsa_user_sgpr_queue_ptr 0
		.amdhsa_user_sgpr_kernarg_segment_ptr 1
		.amdhsa_user_sgpr_dispatch_id 0
		.amdhsa_user_sgpr_flat_scratch_init 0
		.amdhsa_user_sgpr_kernarg_preload_length 0
		.amdhsa_user_sgpr_kernarg_preload_offset 0
		.amdhsa_user_sgpr_private_segment_size 0
		.amdhsa_uses_dynamic_stack 0
		.amdhsa_system_sgpr_private_segment_wavefront_offset 0
		.amdhsa_system_sgpr_workgroup_id_x 1
		.amdhsa_system_sgpr_workgroup_id_y 0
		.amdhsa_system_sgpr_workgroup_id_z 0
		.amdhsa_system_sgpr_workgroup_info 0
		.amdhsa_system_vgpr_workitem_id 0
		.amdhsa_next_free_vgpr 1
		.amdhsa_next_free_sgpr 0
		.amdhsa_accum_offset 4
		.amdhsa_reserve_vcc 0
		.amdhsa_reserve_flat_scratch 0
		.amdhsa_float_round_mode_32 0
		.amdhsa_float_round_mode_16_64 0
		.amdhsa_float_denorm_mode_32 3
		.amdhsa_float_denorm_mode_16_64 3
		.amdhsa_dx10_clamp 1
		.amdhsa_ieee_mode 1
		.amdhsa_fp16_overflow 0
		.amdhsa_tg_split 0
		.amdhsa_exception_fp_ieee_invalid_op 0
		.amdhsa_exception_fp_denorm_src 0
		.amdhsa_exception_fp_ieee_div_zero 0
		.amdhsa_exception_fp_ieee_overflow 0
		.amdhsa_exception_fp_ieee_underflow 0
		.amdhsa_exception_fp_ieee_inexact 0
		.amdhsa_exception_int_div_zero 0
	.end_amdhsa_kernel
	.section	.text._ZN7rocprim17ROCPRIM_400000_NS6detail17trampoline_kernelINS0_14default_configENS1_22reduce_config_selectorIiEEZNS1_11reduce_implILb1ES3_N6thrust23THRUST_200600_302600_NS11hip_rocprim35transform_pair_of_input_iterators_tIiPaSB_NS8_12not_equal_toIaEEEEPiiNS8_4plusIiEEEE10hipError_tPvRmT1_T2_T3_mT4_P12ihipStream_tbEUlT_E0_NS1_11comp_targetILNS1_3genE10ELNS1_11target_archE1200ELNS1_3gpuE4ELNS1_3repE0EEENS1_30default_config_static_selectorELNS0_4arch9wavefront6targetE1EEEvSL_,"axG",@progbits,_ZN7rocprim17ROCPRIM_400000_NS6detail17trampoline_kernelINS0_14default_configENS1_22reduce_config_selectorIiEEZNS1_11reduce_implILb1ES3_N6thrust23THRUST_200600_302600_NS11hip_rocprim35transform_pair_of_input_iterators_tIiPaSB_NS8_12not_equal_toIaEEEEPiiNS8_4plusIiEEEE10hipError_tPvRmT1_T2_T3_mT4_P12ihipStream_tbEUlT_E0_NS1_11comp_targetILNS1_3genE10ELNS1_11target_archE1200ELNS1_3gpuE4ELNS1_3repE0EEENS1_30default_config_static_selectorELNS0_4arch9wavefront6targetE1EEEvSL_,comdat
.Lfunc_end660:
	.size	_ZN7rocprim17ROCPRIM_400000_NS6detail17trampoline_kernelINS0_14default_configENS1_22reduce_config_selectorIiEEZNS1_11reduce_implILb1ES3_N6thrust23THRUST_200600_302600_NS11hip_rocprim35transform_pair_of_input_iterators_tIiPaSB_NS8_12not_equal_toIaEEEEPiiNS8_4plusIiEEEE10hipError_tPvRmT1_T2_T3_mT4_P12ihipStream_tbEUlT_E0_NS1_11comp_targetILNS1_3genE10ELNS1_11target_archE1200ELNS1_3gpuE4ELNS1_3repE0EEENS1_30default_config_static_selectorELNS0_4arch9wavefront6targetE1EEEvSL_, .Lfunc_end660-_ZN7rocprim17ROCPRIM_400000_NS6detail17trampoline_kernelINS0_14default_configENS1_22reduce_config_selectorIiEEZNS1_11reduce_implILb1ES3_N6thrust23THRUST_200600_302600_NS11hip_rocprim35transform_pair_of_input_iterators_tIiPaSB_NS8_12not_equal_toIaEEEEPiiNS8_4plusIiEEEE10hipError_tPvRmT1_T2_T3_mT4_P12ihipStream_tbEUlT_E0_NS1_11comp_targetILNS1_3genE10ELNS1_11target_archE1200ELNS1_3gpuE4ELNS1_3repE0EEENS1_30default_config_static_selectorELNS0_4arch9wavefront6targetE1EEEvSL_
                                        ; -- End function
	.section	.AMDGPU.csdata,"",@progbits
; Kernel info:
; codeLenInByte = 0
; NumSgprs: 4
; NumVgprs: 0
; NumAgprs: 0
; TotalNumVgprs: 0
; ScratchSize: 0
; MemoryBound: 0
; FloatMode: 240
; IeeeMode: 1
; LDSByteSize: 0 bytes/workgroup (compile time only)
; SGPRBlocks: 0
; VGPRBlocks: 0
; NumSGPRsForWavesPerEU: 4
; NumVGPRsForWavesPerEU: 1
; AccumOffset: 4
; Occupancy: 8
; WaveLimiterHint : 0
; COMPUTE_PGM_RSRC2:SCRATCH_EN: 0
; COMPUTE_PGM_RSRC2:USER_SGPR: 6
; COMPUTE_PGM_RSRC2:TRAP_HANDLER: 0
; COMPUTE_PGM_RSRC2:TGID_X_EN: 1
; COMPUTE_PGM_RSRC2:TGID_Y_EN: 0
; COMPUTE_PGM_RSRC2:TGID_Z_EN: 0
; COMPUTE_PGM_RSRC2:TIDIG_COMP_CNT: 0
; COMPUTE_PGM_RSRC3_GFX90A:ACCUM_OFFSET: 0
; COMPUTE_PGM_RSRC3_GFX90A:TG_SPLIT: 0
	.section	.text._ZN7rocprim17ROCPRIM_400000_NS6detail17trampoline_kernelINS0_14default_configENS1_22reduce_config_selectorIiEEZNS1_11reduce_implILb1ES3_N6thrust23THRUST_200600_302600_NS11hip_rocprim35transform_pair_of_input_iterators_tIiPaSB_NS8_12not_equal_toIaEEEEPiiNS8_4plusIiEEEE10hipError_tPvRmT1_T2_T3_mT4_P12ihipStream_tbEUlT_E0_NS1_11comp_targetILNS1_3genE9ELNS1_11target_archE1100ELNS1_3gpuE3ELNS1_3repE0EEENS1_30default_config_static_selectorELNS0_4arch9wavefront6targetE1EEEvSL_,"axG",@progbits,_ZN7rocprim17ROCPRIM_400000_NS6detail17trampoline_kernelINS0_14default_configENS1_22reduce_config_selectorIiEEZNS1_11reduce_implILb1ES3_N6thrust23THRUST_200600_302600_NS11hip_rocprim35transform_pair_of_input_iterators_tIiPaSB_NS8_12not_equal_toIaEEEEPiiNS8_4plusIiEEEE10hipError_tPvRmT1_T2_T3_mT4_P12ihipStream_tbEUlT_E0_NS1_11comp_targetILNS1_3genE9ELNS1_11target_archE1100ELNS1_3gpuE3ELNS1_3repE0EEENS1_30default_config_static_selectorELNS0_4arch9wavefront6targetE1EEEvSL_,comdat
	.protected	_ZN7rocprim17ROCPRIM_400000_NS6detail17trampoline_kernelINS0_14default_configENS1_22reduce_config_selectorIiEEZNS1_11reduce_implILb1ES3_N6thrust23THRUST_200600_302600_NS11hip_rocprim35transform_pair_of_input_iterators_tIiPaSB_NS8_12not_equal_toIaEEEEPiiNS8_4plusIiEEEE10hipError_tPvRmT1_T2_T3_mT4_P12ihipStream_tbEUlT_E0_NS1_11comp_targetILNS1_3genE9ELNS1_11target_archE1100ELNS1_3gpuE3ELNS1_3repE0EEENS1_30default_config_static_selectorELNS0_4arch9wavefront6targetE1EEEvSL_ ; -- Begin function _ZN7rocprim17ROCPRIM_400000_NS6detail17trampoline_kernelINS0_14default_configENS1_22reduce_config_selectorIiEEZNS1_11reduce_implILb1ES3_N6thrust23THRUST_200600_302600_NS11hip_rocprim35transform_pair_of_input_iterators_tIiPaSB_NS8_12not_equal_toIaEEEEPiiNS8_4plusIiEEEE10hipError_tPvRmT1_T2_T3_mT4_P12ihipStream_tbEUlT_E0_NS1_11comp_targetILNS1_3genE9ELNS1_11target_archE1100ELNS1_3gpuE3ELNS1_3repE0EEENS1_30default_config_static_selectorELNS0_4arch9wavefront6targetE1EEEvSL_
	.globl	_ZN7rocprim17ROCPRIM_400000_NS6detail17trampoline_kernelINS0_14default_configENS1_22reduce_config_selectorIiEEZNS1_11reduce_implILb1ES3_N6thrust23THRUST_200600_302600_NS11hip_rocprim35transform_pair_of_input_iterators_tIiPaSB_NS8_12not_equal_toIaEEEEPiiNS8_4plusIiEEEE10hipError_tPvRmT1_T2_T3_mT4_P12ihipStream_tbEUlT_E0_NS1_11comp_targetILNS1_3genE9ELNS1_11target_archE1100ELNS1_3gpuE3ELNS1_3repE0EEENS1_30default_config_static_selectorELNS0_4arch9wavefront6targetE1EEEvSL_
	.p2align	8
	.type	_ZN7rocprim17ROCPRIM_400000_NS6detail17trampoline_kernelINS0_14default_configENS1_22reduce_config_selectorIiEEZNS1_11reduce_implILb1ES3_N6thrust23THRUST_200600_302600_NS11hip_rocprim35transform_pair_of_input_iterators_tIiPaSB_NS8_12not_equal_toIaEEEEPiiNS8_4plusIiEEEE10hipError_tPvRmT1_T2_T3_mT4_P12ihipStream_tbEUlT_E0_NS1_11comp_targetILNS1_3genE9ELNS1_11target_archE1100ELNS1_3gpuE3ELNS1_3repE0EEENS1_30default_config_static_selectorELNS0_4arch9wavefront6targetE1EEEvSL_,@function
_ZN7rocprim17ROCPRIM_400000_NS6detail17trampoline_kernelINS0_14default_configENS1_22reduce_config_selectorIiEEZNS1_11reduce_implILb1ES3_N6thrust23THRUST_200600_302600_NS11hip_rocprim35transform_pair_of_input_iterators_tIiPaSB_NS8_12not_equal_toIaEEEEPiiNS8_4plusIiEEEE10hipError_tPvRmT1_T2_T3_mT4_P12ihipStream_tbEUlT_E0_NS1_11comp_targetILNS1_3genE9ELNS1_11target_archE1100ELNS1_3gpuE3ELNS1_3repE0EEENS1_30default_config_static_selectorELNS0_4arch9wavefront6targetE1EEEvSL_: ; @_ZN7rocprim17ROCPRIM_400000_NS6detail17trampoline_kernelINS0_14default_configENS1_22reduce_config_selectorIiEEZNS1_11reduce_implILb1ES3_N6thrust23THRUST_200600_302600_NS11hip_rocprim35transform_pair_of_input_iterators_tIiPaSB_NS8_12not_equal_toIaEEEEPiiNS8_4plusIiEEEE10hipError_tPvRmT1_T2_T3_mT4_P12ihipStream_tbEUlT_E0_NS1_11comp_targetILNS1_3genE9ELNS1_11target_archE1100ELNS1_3gpuE3ELNS1_3repE0EEENS1_30default_config_static_selectorELNS0_4arch9wavefront6targetE1EEEvSL_
; %bb.0:
	.section	.rodata,"a",@progbits
	.p2align	6, 0x0
	.amdhsa_kernel _ZN7rocprim17ROCPRIM_400000_NS6detail17trampoline_kernelINS0_14default_configENS1_22reduce_config_selectorIiEEZNS1_11reduce_implILb1ES3_N6thrust23THRUST_200600_302600_NS11hip_rocprim35transform_pair_of_input_iterators_tIiPaSB_NS8_12not_equal_toIaEEEEPiiNS8_4plusIiEEEE10hipError_tPvRmT1_T2_T3_mT4_P12ihipStream_tbEUlT_E0_NS1_11comp_targetILNS1_3genE9ELNS1_11target_archE1100ELNS1_3gpuE3ELNS1_3repE0EEENS1_30default_config_static_selectorELNS0_4arch9wavefront6targetE1EEEvSL_
		.amdhsa_group_segment_fixed_size 0
		.amdhsa_private_segment_fixed_size 0
		.amdhsa_kernarg_size 72
		.amdhsa_user_sgpr_count 6
		.amdhsa_user_sgpr_private_segment_buffer 1
		.amdhsa_user_sgpr_dispatch_ptr 0
		.amdhsa_user_sgpr_queue_ptr 0
		.amdhsa_user_sgpr_kernarg_segment_ptr 1
		.amdhsa_user_sgpr_dispatch_id 0
		.amdhsa_user_sgpr_flat_scratch_init 0
		.amdhsa_user_sgpr_kernarg_preload_length 0
		.amdhsa_user_sgpr_kernarg_preload_offset 0
		.amdhsa_user_sgpr_private_segment_size 0
		.amdhsa_uses_dynamic_stack 0
		.amdhsa_system_sgpr_private_segment_wavefront_offset 0
		.amdhsa_system_sgpr_workgroup_id_x 1
		.amdhsa_system_sgpr_workgroup_id_y 0
		.amdhsa_system_sgpr_workgroup_id_z 0
		.amdhsa_system_sgpr_workgroup_info 0
		.amdhsa_system_vgpr_workitem_id 0
		.amdhsa_next_free_vgpr 1
		.amdhsa_next_free_sgpr 0
		.amdhsa_accum_offset 4
		.amdhsa_reserve_vcc 0
		.amdhsa_reserve_flat_scratch 0
		.amdhsa_float_round_mode_32 0
		.amdhsa_float_round_mode_16_64 0
		.amdhsa_float_denorm_mode_32 3
		.amdhsa_float_denorm_mode_16_64 3
		.amdhsa_dx10_clamp 1
		.amdhsa_ieee_mode 1
		.amdhsa_fp16_overflow 0
		.amdhsa_tg_split 0
		.amdhsa_exception_fp_ieee_invalid_op 0
		.amdhsa_exception_fp_denorm_src 0
		.amdhsa_exception_fp_ieee_div_zero 0
		.amdhsa_exception_fp_ieee_overflow 0
		.amdhsa_exception_fp_ieee_underflow 0
		.amdhsa_exception_fp_ieee_inexact 0
		.amdhsa_exception_int_div_zero 0
	.end_amdhsa_kernel
	.section	.text._ZN7rocprim17ROCPRIM_400000_NS6detail17trampoline_kernelINS0_14default_configENS1_22reduce_config_selectorIiEEZNS1_11reduce_implILb1ES3_N6thrust23THRUST_200600_302600_NS11hip_rocprim35transform_pair_of_input_iterators_tIiPaSB_NS8_12not_equal_toIaEEEEPiiNS8_4plusIiEEEE10hipError_tPvRmT1_T2_T3_mT4_P12ihipStream_tbEUlT_E0_NS1_11comp_targetILNS1_3genE9ELNS1_11target_archE1100ELNS1_3gpuE3ELNS1_3repE0EEENS1_30default_config_static_selectorELNS0_4arch9wavefront6targetE1EEEvSL_,"axG",@progbits,_ZN7rocprim17ROCPRIM_400000_NS6detail17trampoline_kernelINS0_14default_configENS1_22reduce_config_selectorIiEEZNS1_11reduce_implILb1ES3_N6thrust23THRUST_200600_302600_NS11hip_rocprim35transform_pair_of_input_iterators_tIiPaSB_NS8_12not_equal_toIaEEEEPiiNS8_4plusIiEEEE10hipError_tPvRmT1_T2_T3_mT4_P12ihipStream_tbEUlT_E0_NS1_11comp_targetILNS1_3genE9ELNS1_11target_archE1100ELNS1_3gpuE3ELNS1_3repE0EEENS1_30default_config_static_selectorELNS0_4arch9wavefront6targetE1EEEvSL_,comdat
.Lfunc_end661:
	.size	_ZN7rocprim17ROCPRIM_400000_NS6detail17trampoline_kernelINS0_14default_configENS1_22reduce_config_selectorIiEEZNS1_11reduce_implILb1ES3_N6thrust23THRUST_200600_302600_NS11hip_rocprim35transform_pair_of_input_iterators_tIiPaSB_NS8_12not_equal_toIaEEEEPiiNS8_4plusIiEEEE10hipError_tPvRmT1_T2_T3_mT4_P12ihipStream_tbEUlT_E0_NS1_11comp_targetILNS1_3genE9ELNS1_11target_archE1100ELNS1_3gpuE3ELNS1_3repE0EEENS1_30default_config_static_selectorELNS0_4arch9wavefront6targetE1EEEvSL_, .Lfunc_end661-_ZN7rocprim17ROCPRIM_400000_NS6detail17trampoline_kernelINS0_14default_configENS1_22reduce_config_selectorIiEEZNS1_11reduce_implILb1ES3_N6thrust23THRUST_200600_302600_NS11hip_rocprim35transform_pair_of_input_iterators_tIiPaSB_NS8_12not_equal_toIaEEEEPiiNS8_4plusIiEEEE10hipError_tPvRmT1_T2_T3_mT4_P12ihipStream_tbEUlT_E0_NS1_11comp_targetILNS1_3genE9ELNS1_11target_archE1100ELNS1_3gpuE3ELNS1_3repE0EEENS1_30default_config_static_selectorELNS0_4arch9wavefront6targetE1EEEvSL_
                                        ; -- End function
	.section	.AMDGPU.csdata,"",@progbits
; Kernel info:
; codeLenInByte = 0
; NumSgprs: 4
; NumVgprs: 0
; NumAgprs: 0
; TotalNumVgprs: 0
; ScratchSize: 0
; MemoryBound: 0
; FloatMode: 240
; IeeeMode: 1
; LDSByteSize: 0 bytes/workgroup (compile time only)
; SGPRBlocks: 0
; VGPRBlocks: 0
; NumSGPRsForWavesPerEU: 4
; NumVGPRsForWavesPerEU: 1
; AccumOffset: 4
; Occupancy: 8
; WaveLimiterHint : 0
; COMPUTE_PGM_RSRC2:SCRATCH_EN: 0
; COMPUTE_PGM_RSRC2:USER_SGPR: 6
; COMPUTE_PGM_RSRC2:TRAP_HANDLER: 0
; COMPUTE_PGM_RSRC2:TGID_X_EN: 1
; COMPUTE_PGM_RSRC2:TGID_Y_EN: 0
; COMPUTE_PGM_RSRC2:TGID_Z_EN: 0
; COMPUTE_PGM_RSRC2:TIDIG_COMP_CNT: 0
; COMPUTE_PGM_RSRC3_GFX90A:ACCUM_OFFSET: 0
; COMPUTE_PGM_RSRC3_GFX90A:TG_SPLIT: 0
	.section	.text._ZN7rocprim17ROCPRIM_400000_NS6detail17trampoline_kernelINS0_14default_configENS1_22reduce_config_selectorIiEEZNS1_11reduce_implILb1ES3_N6thrust23THRUST_200600_302600_NS11hip_rocprim35transform_pair_of_input_iterators_tIiPaSB_NS8_12not_equal_toIaEEEEPiiNS8_4plusIiEEEE10hipError_tPvRmT1_T2_T3_mT4_P12ihipStream_tbEUlT_E0_NS1_11comp_targetILNS1_3genE8ELNS1_11target_archE1030ELNS1_3gpuE2ELNS1_3repE0EEENS1_30default_config_static_selectorELNS0_4arch9wavefront6targetE1EEEvSL_,"axG",@progbits,_ZN7rocprim17ROCPRIM_400000_NS6detail17trampoline_kernelINS0_14default_configENS1_22reduce_config_selectorIiEEZNS1_11reduce_implILb1ES3_N6thrust23THRUST_200600_302600_NS11hip_rocprim35transform_pair_of_input_iterators_tIiPaSB_NS8_12not_equal_toIaEEEEPiiNS8_4plusIiEEEE10hipError_tPvRmT1_T2_T3_mT4_P12ihipStream_tbEUlT_E0_NS1_11comp_targetILNS1_3genE8ELNS1_11target_archE1030ELNS1_3gpuE2ELNS1_3repE0EEENS1_30default_config_static_selectorELNS0_4arch9wavefront6targetE1EEEvSL_,comdat
	.protected	_ZN7rocprim17ROCPRIM_400000_NS6detail17trampoline_kernelINS0_14default_configENS1_22reduce_config_selectorIiEEZNS1_11reduce_implILb1ES3_N6thrust23THRUST_200600_302600_NS11hip_rocprim35transform_pair_of_input_iterators_tIiPaSB_NS8_12not_equal_toIaEEEEPiiNS8_4plusIiEEEE10hipError_tPvRmT1_T2_T3_mT4_P12ihipStream_tbEUlT_E0_NS1_11comp_targetILNS1_3genE8ELNS1_11target_archE1030ELNS1_3gpuE2ELNS1_3repE0EEENS1_30default_config_static_selectorELNS0_4arch9wavefront6targetE1EEEvSL_ ; -- Begin function _ZN7rocprim17ROCPRIM_400000_NS6detail17trampoline_kernelINS0_14default_configENS1_22reduce_config_selectorIiEEZNS1_11reduce_implILb1ES3_N6thrust23THRUST_200600_302600_NS11hip_rocprim35transform_pair_of_input_iterators_tIiPaSB_NS8_12not_equal_toIaEEEEPiiNS8_4plusIiEEEE10hipError_tPvRmT1_T2_T3_mT4_P12ihipStream_tbEUlT_E0_NS1_11comp_targetILNS1_3genE8ELNS1_11target_archE1030ELNS1_3gpuE2ELNS1_3repE0EEENS1_30default_config_static_selectorELNS0_4arch9wavefront6targetE1EEEvSL_
	.globl	_ZN7rocprim17ROCPRIM_400000_NS6detail17trampoline_kernelINS0_14default_configENS1_22reduce_config_selectorIiEEZNS1_11reduce_implILb1ES3_N6thrust23THRUST_200600_302600_NS11hip_rocprim35transform_pair_of_input_iterators_tIiPaSB_NS8_12not_equal_toIaEEEEPiiNS8_4plusIiEEEE10hipError_tPvRmT1_T2_T3_mT4_P12ihipStream_tbEUlT_E0_NS1_11comp_targetILNS1_3genE8ELNS1_11target_archE1030ELNS1_3gpuE2ELNS1_3repE0EEENS1_30default_config_static_selectorELNS0_4arch9wavefront6targetE1EEEvSL_
	.p2align	8
	.type	_ZN7rocprim17ROCPRIM_400000_NS6detail17trampoline_kernelINS0_14default_configENS1_22reduce_config_selectorIiEEZNS1_11reduce_implILb1ES3_N6thrust23THRUST_200600_302600_NS11hip_rocprim35transform_pair_of_input_iterators_tIiPaSB_NS8_12not_equal_toIaEEEEPiiNS8_4plusIiEEEE10hipError_tPvRmT1_T2_T3_mT4_P12ihipStream_tbEUlT_E0_NS1_11comp_targetILNS1_3genE8ELNS1_11target_archE1030ELNS1_3gpuE2ELNS1_3repE0EEENS1_30default_config_static_selectorELNS0_4arch9wavefront6targetE1EEEvSL_,@function
_ZN7rocprim17ROCPRIM_400000_NS6detail17trampoline_kernelINS0_14default_configENS1_22reduce_config_selectorIiEEZNS1_11reduce_implILb1ES3_N6thrust23THRUST_200600_302600_NS11hip_rocprim35transform_pair_of_input_iterators_tIiPaSB_NS8_12not_equal_toIaEEEEPiiNS8_4plusIiEEEE10hipError_tPvRmT1_T2_T3_mT4_P12ihipStream_tbEUlT_E0_NS1_11comp_targetILNS1_3genE8ELNS1_11target_archE1030ELNS1_3gpuE2ELNS1_3repE0EEENS1_30default_config_static_selectorELNS0_4arch9wavefront6targetE1EEEvSL_: ; @_ZN7rocprim17ROCPRIM_400000_NS6detail17trampoline_kernelINS0_14default_configENS1_22reduce_config_selectorIiEEZNS1_11reduce_implILb1ES3_N6thrust23THRUST_200600_302600_NS11hip_rocprim35transform_pair_of_input_iterators_tIiPaSB_NS8_12not_equal_toIaEEEEPiiNS8_4plusIiEEEE10hipError_tPvRmT1_T2_T3_mT4_P12ihipStream_tbEUlT_E0_NS1_11comp_targetILNS1_3genE8ELNS1_11target_archE1030ELNS1_3gpuE2ELNS1_3repE0EEENS1_30default_config_static_selectorELNS0_4arch9wavefront6targetE1EEEvSL_
; %bb.0:
	.section	.rodata,"a",@progbits
	.p2align	6, 0x0
	.amdhsa_kernel _ZN7rocprim17ROCPRIM_400000_NS6detail17trampoline_kernelINS0_14default_configENS1_22reduce_config_selectorIiEEZNS1_11reduce_implILb1ES3_N6thrust23THRUST_200600_302600_NS11hip_rocprim35transform_pair_of_input_iterators_tIiPaSB_NS8_12not_equal_toIaEEEEPiiNS8_4plusIiEEEE10hipError_tPvRmT1_T2_T3_mT4_P12ihipStream_tbEUlT_E0_NS1_11comp_targetILNS1_3genE8ELNS1_11target_archE1030ELNS1_3gpuE2ELNS1_3repE0EEENS1_30default_config_static_selectorELNS0_4arch9wavefront6targetE1EEEvSL_
		.amdhsa_group_segment_fixed_size 0
		.amdhsa_private_segment_fixed_size 0
		.amdhsa_kernarg_size 72
		.amdhsa_user_sgpr_count 6
		.amdhsa_user_sgpr_private_segment_buffer 1
		.amdhsa_user_sgpr_dispatch_ptr 0
		.amdhsa_user_sgpr_queue_ptr 0
		.amdhsa_user_sgpr_kernarg_segment_ptr 1
		.amdhsa_user_sgpr_dispatch_id 0
		.amdhsa_user_sgpr_flat_scratch_init 0
		.amdhsa_user_sgpr_kernarg_preload_length 0
		.amdhsa_user_sgpr_kernarg_preload_offset 0
		.amdhsa_user_sgpr_private_segment_size 0
		.amdhsa_uses_dynamic_stack 0
		.amdhsa_system_sgpr_private_segment_wavefront_offset 0
		.amdhsa_system_sgpr_workgroup_id_x 1
		.amdhsa_system_sgpr_workgroup_id_y 0
		.amdhsa_system_sgpr_workgroup_id_z 0
		.amdhsa_system_sgpr_workgroup_info 0
		.amdhsa_system_vgpr_workitem_id 0
		.amdhsa_next_free_vgpr 1
		.amdhsa_next_free_sgpr 0
		.amdhsa_accum_offset 4
		.amdhsa_reserve_vcc 0
		.amdhsa_reserve_flat_scratch 0
		.amdhsa_float_round_mode_32 0
		.amdhsa_float_round_mode_16_64 0
		.amdhsa_float_denorm_mode_32 3
		.amdhsa_float_denorm_mode_16_64 3
		.amdhsa_dx10_clamp 1
		.amdhsa_ieee_mode 1
		.amdhsa_fp16_overflow 0
		.amdhsa_tg_split 0
		.amdhsa_exception_fp_ieee_invalid_op 0
		.amdhsa_exception_fp_denorm_src 0
		.amdhsa_exception_fp_ieee_div_zero 0
		.amdhsa_exception_fp_ieee_overflow 0
		.amdhsa_exception_fp_ieee_underflow 0
		.amdhsa_exception_fp_ieee_inexact 0
		.amdhsa_exception_int_div_zero 0
	.end_amdhsa_kernel
	.section	.text._ZN7rocprim17ROCPRIM_400000_NS6detail17trampoline_kernelINS0_14default_configENS1_22reduce_config_selectorIiEEZNS1_11reduce_implILb1ES3_N6thrust23THRUST_200600_302600_NS11hip_rocprim35transform_pair_of_input_iterators_tIiPaSB_NS8_12not_equal_toIaEEEEPiiNS8_4plusIiEEEE10hipError_tPvRmT1_T2_T3_mT4_P12ihipStream_tbEUlT_E0_NS1_11comp_targetILNS1_3genE8ELNS1_11target_archE1030ELNS1_3gpuE2ELNS1_3repE0EEENS1_30default_config_static_selectorELNS0_4arch9wavefront6targetE1EEEvSL_,"axG",@progbits,_ZN7rocprim17ROCPRIM_400000_NS6detail17trampoline_kernelINS0_14default_configENS1_22reduce_config_selectorIiEEZNS1_11reduce_implILb1ES3_N6thrust23THRUST_200600_302600_NS11hip_rocprim35transform_pair_of_input_iterators_tIiPaSB_NS8_12not_equal_toIaEEEEPiiNS8_4plusIiEEEE10hipError_tPvRmT1_T2_T3_mT4_P12ihipStream_tbEUlT_E0_NS1_11comp_targetILNS1_3genE8ELNS1_11target_archE1030ELNS1_3gpuE2ELNS1_3repE0EEENS1_30default_config_static_selectorELNS0_4arch9wavefront6targetE1EEEvSL_,comdat
.Lfunc_end662:
	.size	_ZN7rocprim17ROCPRIM_400000_NS6detail17trampoline_kernelINS0_14default_configENS1_22reduce_config_selectorIiEEZNS1_11reduce_implILb1ES3_N6thrust23THRUST_200600_302600_NS11hip_rocprim35transform_pair_of_input_iterators_tIiPaSB_NS8_12not_equal_toIaEEEEPiiNS8_4plusIiEEEE10hipError_tPvRmT1_T2_T3_mT4_P12ihipStream_tbEUlT_E0_NS1_11comp_targetILNS1_3genE8ELNS1_11target_archE1030ELNS1_3gpuE2ELNS1_3repE0EEENS1_30default_config_static_selectorELNS0_4arch9wavefront6targetE1EEEvSL_, .Lfunc_end662-_ZN7rocprim17ROCPRIM_400000_NS6detail17trampoline_kernelINS0_14default_configENS1_22reduce_config_selectorIiEEZNS1_11reduce_implILb1ES3_N6thrust23THRUST_200600_302600_NS11hip_rocprim35transform_pair_of_input_iterators_tIiPaSB_NS8_12not_equal_toIaEEEEPiiNS8_4plusIiEEEE10hipError_tPvRmT1_T2_T3_mT4_P12ihipStream_tbEUlT_E0_NS1_11comp_targetILNS1_3genE8ELNS1_11target_archE1030ELNS1_3gpuE2ELNS1_3repE0EEENS1_30default_config_static_selectorELNS0_4arch9wavefront6targetE1EEEvSL_
                                        ; -- End function
	.section	.AMDGPU.csdata,"",@progbits
; Kernel info:
; codeLenInByte = 0
; NumSgprs: 4
; NumVgprs: 0
; NumAgprs: 0
; TotalNumVgprs: 0
; ScratchSize: 0
; MemoryBound: 0
; FloatMode: 240
; IeeeMode: 1
; LDSByteSize: 0 bytes/workgroup (compile time only)
; SGPRBlocks: 0
; VGPRBlocks: 0
; NumSGPRsForWavesPerEU: 4
; NumVGPRsForWavesPerEU: 1
; AccumOffset: 4
; Occupancy: 8
; WaveLimiterHint : 0
; COMPUTE_PGM_RSRC2:SCRATCH_EN: 0
; COMPUTE_PGM_RSRC2:USER_SGPR: 6
; COMPUTE_PGM_RSRC2:TRAP_HANDLER: 0
; COMPUTE_PGM_RSRC2:TGID_X_EN: 1
; COMPUTE_PGM_RSRC2:TGID_Y_EN: 0
; COMPUTE_PGM_RSRC2:TGID_Z_EN: 0
; COMPUTE_PGM_RSRC2:TIDIG_COMP_CNT: 0
; COMPUTE_PGM_RSRC3_GFX90A:ACCUM_OFFSET: 0
; COMPUTE_PGM_RSRC3_GFX90A:TG_SPLIT: 0
	.section	.text._ZN7rocprim17ROCPRIM_400000_NS6detail17trampoline_kernelINS0_14default_configENS1_22reduce_config_selectorIiEEZNS1_11reduce_implILb1ES3_N6thrust23THRUST_200600_302600_NS11hip_rocprim35transform_pair_of_input_iterators_tIiPaSB_NS8_12not_equal_toIaEEEEPiiNS8_4plusIiEEEE10hipError_tPvRmT1_T2_T3_mT4_P12ihipStream_tbEUlT_E1_NS1_11comp_targetILNS1_3genE0ELNS1_11target_archE4294967295ELNS1_3gpuE0ELNS1_3repE0EEENS1_30default_config_static_selectorELNS0_4arch9wavefront6targetE1EEEvSL_,"axG",@progbits,_ZN7rocprim17ROCPRIM_400000_NS6detail17trampoline_kernelINS0_14default_configENS1_22reduce_config_selectorIiEEZNS1_11reduce_implILb1ES3_N6thrust23THRUST_200600_302600_NS11hip_rocprim35transform_pair_of_input_iterators_tIiPaSB_NS8_12not_equal_toIaEEEEPiiNS8_4plusIiEEEE10hipError_tPvRmT1_T2_T3_mT4_P12ihipStream_tbEUlT_E1_NS1_11comp_targetILNS1_3genE0ELNS1_11target_archE4294967295ELNS1_3gpuE0ELNS1_3repE0EEENS1_30default_config_static_selectorELNS0_4arch9wavefront6targetE1EEEvSL_,comdat
	.protected	_ZN7rocprim17ROCPRIM_400000_NS6detail17trampoline_kernelINS0_14default_configENS1_22reduce_config_selectorIiEEZNS1_11reduce_implILb1ES3_N6thrust23THRUST_200600_302600_NS11hip_rocprim35transform_pair_of_input_iterators_tIiPaSB_NS8_12not_equal_toIaEEEEPiiNS8_4plusIiEEEE10hipError_tPvRmT1_T2_T3_mT4_P12ihipStream_tbEUlT_E1_NS1_11comp_targetILNS1_3genE0ELNS1_11target_archE4294967295ELNS1_3gpuE0ELNS1_3repE0EEENS1_30default_config_static_selectorELNS0_4arch9wavefront6targetE1EEEvSL_ ; -- Begin function _ZN7rocprim17ROCPRIM_400000_NS6detail17trampoline_kernelINS0_14default_configENS1_22reduce_config_selectorIiEEZNS1_11reduce_implILb1ES3_N6thrust23THRUST_200600_302600_NS11hip_rocprim35transform_pair_of_input_iterators_tIiPaSB_NS8_12not_equal_toIaEEEEPiiNS8_4plusIiEEEE10hipError_tPvRmT1_T2_T3_mT4_P12ihipStream_tbEUlT_E1_NS1_11comp_targetILNS1_3genE0ELNS1_11target_archE4294967295ELNS1_3gpuE0ELNS1_3repE0EEENS1_30default_config_static_selectorELNS0_4arch9wavefront6targetE1EEEvSL_
	.globl	_ZN7rocprim17ROCPRIM_400000_NS6detail17trampoline_kernelINS0_14default_configENS1_22reduce_config_selectorIiEEZNS1_11reduce_implILb1ES3_N6thrust23THRUST_200600_302600_NS11hip_rocprim35transform_pair_of_input_iterators_tIiPaSB_NS8_12not_equal_toIaEEEEPiiNS8_4plusIiEEEE10hipError_tPvRmT1_T2_T3_mT4_P12ihipStream_tbEUlT_E1_NS1_11comp_targetILNS1_3genE0ELNS1_11target_archE4294967295ELNS1_3gpuE0ELNS1_3repE0EEENS1_30default_config_static_selectorELNS0_4arch9wavefront6targetE1EEEvSL_
	.p2align	8
	.type	_ZN7rocprim17ROCPRIM_400000_NS6detail17trampoline_kernelINS0_14default_configENS1_22reduce_config_selectorIiEEZNS1_11reduce_implILb1ES3_N6thrust23THRUST_200600_302600_NS11hip_rocprim35transform_pair_of_input_iterators_tIiPaSB_NS8_12not_equal_toIaEEEEPiiNS8_4plusIiEEEE10hipError_tPvRmT1_T2_T3_mT4_P12ihipStream_tbEUlT_E1_NS1_11comp_targetILNS1_3genE0ELNS1_11target_archE4294967295ELNS1_3gpuE0ELNS1_3repE0EEENS1_30default_config_static_selectorELNS0_4arch9wavefront6targetE1EEEvSL_,@function
_ZN7rocprim17ROCPRIM_400000_NS6detail17trampoline_kernelINS0_14default_configENS1_22reduce_config_selectorIiEEZNS1_11reduce_implILb1ES3_N6thrust23THRUST_200600_302600_NS11hip_rocprim35transform_pair_of_input_iterators_tIiPaSB_NS8_12not_equal_toIaEEEEPiiNS8_4plusIiEEEE10hipError_tPvRmT1_T2_T3_mT4_P12ihipStream_tbEUlT_E1_NS1_11comp_targetILNS1_3genE0ELNS1_11target_archE4294967295ELNS1_3gpuE0ELNS1_3repE0EEENS1_30default_config_static_selectorELNS0_4arch9wavefront6targetE1EEEvSL_: ; @_ZN7rocprim17ROCPRIM_400000_NS6detail17trampoline_kernelINS0_14default_configENS1_22reduce_config_selectorIiEEZNS1_11reduce_implILb1ES3_N6thrust23THRUST_200600_302600_NS11hip_rocprim35transform_pair_of_input_iterators_tIiPaSB_NS8_12not_equal_toIaEEEEPiiNS8_4plusIiEEEE10hipError_tPvRmT1_T2_T3_mT4_P12ihipStream_tbEUlT_E1_NS1_11comp_targetILNS1_3genE0ELNS1_11target_archE4294967295ELNS1_3gpuE0ELNS1_3repE0EEENS1_30default_config_static_selectorELNS0_4arch9wavefront6targetE1EEEvSL_
; %bb.0:
	.section	.rodata,"a",@progbits
	.p2align	6, 0x0
	.amdhsa_kernel _ZN7rocprim17ROCPRIM_400000_NS6detail17trampoline_kernelINS0_14default_configENS1_22reduce_config_selectorIiEEZNS1_11reduce_implILb1ES3_N6thrust23THRUST_200600_302600_NS11hip_rocprim35transform_pair_of_input_iterators_tIiPaSB_NS8_12not_equal_toIaEEEEPiiNS8_4plusIiEEEE10hipError_tPvRmT1_T2_T3_mT4_P12ihipStream_tbEUlT_E1_NS1_11comp_targetILNS1_3genE0ELNS1_11target_archE4294967295ELNS1_3gpuE0ELNS1_3repE0EEENS1_30default_config_static_selectorELNS0_4arch9wavefront6targetE1EEEvSL_
		.amdhsa_group_segment_fixed_size 0
		.amdhsa_private_segment_fixed_size 0
		.amdhsa_kernarg_size 56
		.amdhsa_user_sgpr_count 6
		.amdhsa_user_sgpr_private_segment_buffer 1
		.amdhsa_user_sgpr_dispatch_ptr 0
		.amdhsa_user_sgpr_queue_ptr 0
		.amdhsa_user_sgpr_kernarg_segment_ptr 1
		.amdhsa_user_sgpr_dispatch_id 0
		.amdhsa_user_sgpr_flat_scratch_init 0
		.amdhsa_user_sgpr_kernarg_preload_length 0
		.amdhsa_user_sgpr_kernarg_preload_offset 0
		.amdhsa_user_sgpr_private_segment_size 0
		.amdhsa_uses_dynamic_stack 0
		.amdhsa_system_sgpr_private_segment_wavefront_offset 0
		.amdhsa_system_sgpr_workgroup_id_x 1
		.amdhsa_system_sgpr_workgroup_id_y 0
		.amdhsa_system_sgpr_workgroup_id_z 0
		.amdhsa_system_sgpr_workgroup_info 0
		.amdhsa_system_vgpr_workitem_id 0
		.amdhsa_next_free_vgpr 1
		.amdhsa_next_free_sgpr 0
		.amdhsa_accum_offset 4
		.amdhsa_reserve_vcc 0
		.amdhsa_reserve_flat_scratch 0
		.amdhsa_float_round_mode_32 0
		.amdhsa_float_round_mode_16_64 0
		.amdhsa_float_denorm_mode_32 3
		.amdhsa_float_denorm_mode_16_64 3
		.amdhsa_dx10_clamp 1
		.amdhsa_ieee_mode 1
		.amdhsa_fp16_overflow 0
		.amdhsa_tg_split 0
		.amdhsa_exception_fp_ieee_invalid_op 0
		.amdhsa_exception_fp_denorm_src 0
		.amdhsa_exception_fp_ieee_div_zero 0
		.amdhsa_exception_fp_ieee_overflow 0
		.amdhsa_exception_fp_ieee_underflow 0
		.amdhsa_exception_fp_ieee_inexact 0
		.amdhsa_exception_int_div_zero 0
	.end_amdhsa_kernel
	.section	.text._ZN7rocprim17ROCPRIM_400000_NS6detail17trampoline_kernelINS0_14default_configENS1_22reduce_config_selectorIiEEZNS1_11reduce_implILb1ES3_N6thrust23THRUST_200600_302600_NS11hip_rocprim35transform_pair_of_input_iterators_tIiPaSB_NS8_12not_equal_toIaEEEEPiiNS8_4plusIiEEEE10hipError_tPvRmT1_T2_T3_mT4_P12ihipStream_tbEUlT_E1_NS1_11comp_targetILNS1_3genE0ELNS1_11target_archE4294967295ELNS1_3gpuE0ELNS1_3repE0EEENS1_30default_config_static_selectorELNS0_4arch9wavefront6targetE1EEEvSL_,"axG",@progbits,_ZN7rocprim17ROCPRIM_400000_NS6detail17trampoline_kernelINS0_14default_configENS1_22reduce_config_selectorIiEEZNS1_11reduce_implILb1ES3_N6thrust23THRUST_200600_302600_NS11hip_rocprim35transform_pair_of_input_iterators_tIiPaSB_NS8_12not_equal_toIaEEEEPiiNS8_4plusIiEEEE10hipError_tPvRmT1_T2_T3_mT4_P12ihipStream_tbEUlT_E1_NS1_11comp_targetILNS1_3genE0ELNS1_11target_archE4294967295ELNS1_3gpuE0ELNS1_3repE0EEENS1_30default_config_static_selectorELNS0_4arch9wavefront6targetE1EEEvSL_,comdat
.Lfunc_end663:
	.size	_ZN7rocprim17ROCPRIM_400000_NS6detail17trampoline_kernelINS0_14default_configENS1_22reduce_config_selectorIiEEZNS1_11reduce_implILb1ES3_N6thrust23THRUST_200600_302600_NS11hip_rocprim35transform_pair_of_input_iterators_tIiPaSB_NS8_12not_equal_toIaEEEEPiiNS8_4plusIiEEEE10hipError_tPvRmT1_T2_T3_mT4_P12ihipStream_tbEUlT_E1_NS1_11comp_targetILNS1_3genE0ELNS1_11target_archE4294967295ELNS1_3gpuE0ELNS1_3repE0EEENS1_30default_config_static_selectorELNS0_4arch9wavefront6targetE1EEEvSL_, .Lfunc_end663-_ZN7rocprim17ROCPRIM_400000_NS6detail17trampoline_kernelINS0_14default_configENS1_22reduce_config_selectorIiEEZNS1_11reduce_implILb1ES3_N6thrust23THRUST_200600_302600_NS11hip_rocprim35transform_pair_of_input_iterators_tIiPaSB_NS8_12not_equal_toIaEEEEPiiNS8_4plusIiEEEE10hipError_tPvRmT1_T2_T3_mT4_P12ihipStream_tbEUlT_E1_NS1_11comp_targetILNS1_3genE0ELNS1_11target_archE4294967295ELNS1_3gpuE0ELNS1_3repE0EEENS1_30default_config_static_selectorELNS0_4arch9wavefront6targetE1EEEvSL_
                                        ; -- End function
	.section	.AMDGPU.csdata,"",@progbits
; Kernel info:
; codeLenInByte = 0
; NumSgprs: 4
; NumVgprs: 0
; NumAgprs: 0
; TotalNumVgprs: 0
; ScratchSize: 0
; MemoryBound: 0
; FloatMode: 240
; IeeeMode: 1
; LDSByteSize: 0 bytes/workgroup (compile time only)
; SGPRBlocks: 0
; VGPRBlocks: 0
; NumSGPRsForWavesPerEU: 4
; NumVGPRsForWavesPerEU: 1
; AccumOffset: 4
; Occupancy: 8
; WaveLimiterHint : 0
; COMPUTE_PGM_RSRC2:SCRATCH_EN: 0
; COMPUTE_PGM_RSRC2:USER_SGPR: 6
; COMPUTE_PGM_RSRC2:TRAP_HANDLER: 0
; COMPUTE_PGM_RSRC2:TGID_X_EN: 1
; COMPUTE_PGM_RSRC2:TGID_Y_EN: 0
; COMPUTE_PGM_RSRC2:TGID_Z_EN: 0
; COMPUTE_PGM_RSRC2:TIDIG_COMP_CNT: 0
; COMPUTE_PGM_RSRC3_GFX90A:ACCUM_OFFSET: 0
; COMPUTE_PGM_RSRC3_GFX90A:TG_SPLIT: 0
	.section	.text._ZN7rocprim17ROCPRIM_400000_NS6detail17trampoline_kernelINS0_14default_configENS1_22reduce_config_selectorIiEEZNS1_11reduce_implILb1ES3_N6thrust23THRUST_200600_302600_NS11hip_rocprim35transform_pair_of_input_iterators_tIiPaSB_NS8_12not_equal_toIaEEEEPiiNS8_4plusIiEEEE10hipError_tPvRmT1_T2_T3_mT4_P12ihipStream_tbEUlT_E1_NS1_11comp_targetILNS1_3genE5ELNS1_11target_archE942ELNS1_3gpuE9ELNS1_3repE0EEENS1_30default_config_static_selectorELNS0_4arch9wavefront6targetE1EEEvSL_,"axG",@progbits,_ZN7rocprim17ROCPRIM_400000_NS6detail17trampoline_kernelINS0_14default_configENS1_22reduce_config_selectorIiEEZNS1_11reduce_implILb1ES3_N6thrust23THRUST_200600_302600_NS11hip_rocprim35transform_pair_of_input_iterators_tIiPaSB_NS8_12not_equal_toIaEEEEPiiNS8_4plusIiEEEE10hipError_tPvRmT1_T2_T3_mT4_P12ihipStream_tbEUlT_E1_NS1_11comp_targetILNS1_3genE5ELNS1_11target_archE942ELNS1_3gpuE9ELNS1_3repE0EEENS1_30default_config_static_selectorELNS0_4arch9wavefront6targetE1EEEvSL_,comdat
	.protected	_ZN7rocprim17ROCPRIM_400000_NS6detail17trampoline_kernelINS0_14default_configENS1_22reduce_config_selectorIiEEZNS1_11reduce_implILb1ES3_N6thrust23THRUST_200600_302600_NS11hip_rocprim35transform_pair_of_input_iterators_tIiPaSB_NS8_12not_equal_toIaEEEEPiiNS8_4plusIiEEEE10hipError_tPvRmT1_T2_T3_mT4_P12ihipStream_tbEUlT_E1_NS1_11comp_targetILNS1_3genE5ELNS1_11target_archE942ELNS1_3gpuE9ELNS1_3repE0EEENS1_30default_config_static_selectorELNS0_4arch9wavefront6targetE1EEEvSL_ ; -- Begin function _ZN7rocprim17ROCPRIM_400000_NS6detail17trampoline_kernelINS0_14default_configENS1_22reduce_config_selectorIiEEZNS1_11reduce_implILb1ES3_N6thrust23THRUST_200600_302600_NS11hip_rocprim35transform_pair_of_input_iterators_tIiPaSB_NS8_12not_equal_toIaEEEEPiiNS8_4plusIiEEEE10hipError_tPvRmT1_T2_T3_mT4_P12ihipStream_tbEUlT_E1_NS1_11comp_targetILNS1_3genE5ELNS1_11target_archE942ELNS1_3gpuE9ELNS1_3repE0EEENS1_30default_config_static_selectorELNS0_4arch9wavefront6targetE1EEEvSL_
	.globl	_ZN7rocprim17ROCPRIM_400000_NS6detail17trampoline_kernelINS0_14default_configENS1_22reduce_config_selectorIiEEZNS1_11reduce_implILb1ES3_N6thrust23THRUST_200600_302600_NS11hip_rocprim35transform_pair_of_input_iterators_tIiPaSB_NS8_12not_equal_toIaEEEEPiiNS8_4plusIiEEEE10hipError_tPvRmT1_T2_T3_mT4_P12ihipStream_tbEUlT_E1_NS1_11comp_targetILNS1_3genE5ELNS1_11target_archE942ELNS1_3gpuE9ELNS1_3repE0EEENS1_30default_config_static_selectorELNS0_4arch9wavefront6targetE1EEEvSL_
	.p2align	8
	.type	_ZN7rocprim17ROCPRIM_400000_NS6detail17trampoline_kernelINS0_14default_configENS1_22reduce_config_selectorIiEEZNS1_11reduce_implILb1ES3_N6thrust23THRUST_200600_302600_NS11hip_rocprim35transform_pair_of_input_iterators_tIiPaSB_NS8_12not_equal_toIaEEEEPiiNS8_4plusIiEEEE10hipError_tPvRmT1_T2_T3_mT4_P12ihipStream_tbEUlT_E1_NS1_11comp_targetILNS1_3genE5ELNS1_11target_archE942ELNS1_3gpuE9ELNS1_3repE0EEENS1_30default_config_static_selectorELNS0_4arch9wavefront6targetE1EEEvSL_,@function
_ZN7rocprim17ROCPRIM_400000_NS6detail17trampoline_kernelINS0_14default_configENS1_22reduce_config_selectorIiEEZNS1_11reduce_implILb1ES3_N6thrust23THRUST_200600_302600_NS11hip_rocprim35transform_pair_of_input_iterators_tIiPaSB_NS8_12not_equal_toIaEEEEPiiNS8_4plusIiEEEE10hipError_tPvRmT1_T2_T3_mT4_P12ihipStream_tbEUlT_E1_NS1_11comp_targetILNS1_3genE5ELNS1_11target_archE942ELNS1_3gpuE9ELNS1_3repE0EEENS1_30default_config_static_selectorELNS0_4arch9wavefront6targetE1EEEvSL_: ; @_ZN7rocprim17ROCPRIM_400000_NS6detail17trampoline_kernelINS0_14default_configENS1_22reduce_config_selectorIiEEZNS1_11reduce_implILb1ES3_N6thrust23THRUST_200600_302600_NS11hip_rocprim35transform_pair_of_input_iterators_tIiPaSB_NS8_12not_equal_toIaEEEEPiiNS8_4plusIiEEEE10hipError_tPvRmT1_T2_T3_mT4_P12ihipStream_tbEUlT_E1_NS1_11comp_targetILNS1_3genE5ELNS1_11target_archE942ELNS1_3gpuE9ELNS1_3repE0EEENS1_30default_config_static_selectorELNS0_4arch9wavefront6targetE1EEEvSL_
; %bb.0:
	.section	.rodata,"a",@progbits
	.p2align	6, 0x0
	.amdhsa_kernel _ZN7rocprim17ROCPRIM_400000_NS6detail17trampoline_kernelINS0_14default_configENS1_22reduce_config_selectorIiEEZNS1_11reduce_implILb1ES3_N6thrust23THRUST_200600_302600_NS11hip_rocprim35transform_pair_of_input_iterators_tIiPaSB_NS8_12not_equal_toIaEEEEPiiNS8_4plusIiEEEE10hipError_tPvRmT1_T2_T3_mT4_P12ihipStream_tbEUlT_E1_NS1_11comp_targetILNS1_3genE5ELNS1_11target_archE942ELNS1_3gpuE9ELNS1_3repE0EEENS1_30default_config_static_selectorELNS0_4arch9wavefront6targetE1EEEvSL_
		.amdhsa_group_segment_fixed_size 0
		.amdhsa_private_segment_fixed_size 0
		.amdhsa_kernarg_size 56
		.amdhsa_user_sgpr_count 6
		.amdhsa_user_sgpr_private_segment_buffer 1
		.amdhsa_user_sgpr_dispatch_ptr 0
		.amdhsa_user_sgpr_queue_ptr 0
		.amdhsa_user_sgpr_kernarg_segment_ptr 1
		.amdhsa_user_sgpr_dispatch_id 0
		.amdhsa_user_sgpr_flat_scratch_init 0
		.amdhsa_user_sgpr_kernarg_preload_length 0
		.amdhsa_user_sgpr_kernarg_preload_offset 0
		.amdhsa_user_sgpr_private_segment_size 0
		.amdhsa_uses_dynamic_stack 0
		.amdhsa_system_sgpr_private_segment_wavefront_offset 0
		.amdhsa_system_sgpr_workgroup_id_x 1
		.amdhsa_system_sgpr_workgroup_id_y 0
		.amdhsa_system_sgpr_workgroup_id_z 0
		.amdhsa_system_sgpr_workgroup_info 0
		.amdhsa_system_vgpr_workitem_id 0
		.amdhsa_next_free_vgpr 1
		.amdhsa_next_free_sgpr 0
		.amdhsa_accum_offset 4
		.amdhsa_reserve_vcc 0
		.amdhsa_reserve_flat_scratch 0
		.amdhsa_float_round_mode_32 0
		.amdhsa_float_round_mode_16_64 0
		.amdhsa_float_denorm_mode_32 3
		.amdhsa_float_denorm_mode_16_64 3
		.amdhsa_dx10_clamp 1
		.amdhsa_ieee_mode 1
		.amdhsa_fp16_overflow 0
		.amdhsa_tg_split 0
		.amdhsa_exception_fp_ieee_invalid_op 0
		.amdhsa_exception_fp_denorm_src 0
		.amdhsa_exception_fp_ieee_div_zero 0
		.amdhsa_exception_fp_ieee_overflow 0
		.amdhsa_exception_fp_ieee_underflow 0
		.amdhsa_exception_fp_ieee_inexact 0
		.amdhsa_exception_int_div_zero 0
	.end_amdhsa_kernel
	.section	.text._ZN7rocprim17ROCPRIM_400000_NS6detail17trampoline_kernelINS0_14default_configENS1_22reduce_config_selectorIiEEZNS1_11reduce_implILb1ES3_N6thrust23THRUST_200600_302600_NS11hip_rocprim35transform_pair_of_input_iterators_tIiPaSB_NS8_12not_equal_toIaEEEEPiiNS8_4plusIiEEEE10hipError_tPvRmT1_T2_T3_mT4_P12ihipStream_tbEUlT_E1_NS1_11comp_targetILNS1_3genE5ELNS1_11target_archE942ELNS1_3gpuE9ELNS1_3repE0EEENS1_30default_config_static_selectorELNS0_4arch9wavefront6targetE1EEEvSL_,"axG",@progbits,_ZN7rocprim17ROCPRIM_400000_NS6detail17trampoline_kernelINS0_14default_configENS1_22reduce_config_selectorIiEEZNS1_11reduce_implILb1ES3_N6thrust23THRUST_200600_302600_NS11hip_rocprim35transform_pair_of_input_iterators_tIiPaSB_NS8_12not_equal_toIaEEEEPiiNS8_4plusIiEEEE10hipError_tPvRmT1_T2_T3_mT4_P12ihipStream_tbEUlT_E1_NS1_11comp_targetILNS1_3genE5ELNS1_11target_archE942ELNS1_3gpuE9ELNS1_3repE0EEENS1_30default_config_static_selectorELNS0_4arch9wavefront6targetE1EEEvSL_,comdat
.Lfunc_end664:
	.size	_ZN7rocprim17ROCPRIM_400000_NS6detail17trampoline_kernelINS0_14default_configENS1_22reduce_config_selectorIiEEZNS1_11reduce_implILb1ES3_N6thrust23THRUST_200600_302600_NS11hip_rocprim35transform_pair_of_input_iterators_tIiPaSB_NS8_12not_equal_toIaEEEEPiiNS8_4plusIiEEEE10hipError_tPvRmT1_T2_T3_mT4_P12ihipStream_tbEUlT_E1_NS1_11comp_targetILNS1_3genE5ELNS1_11target_archE942ELNS1_3gpuE9ELNS1_3repE0EEENS1_30default_config_static_selectorELNS0_4arch9wavefront6targetE1EEEvSL_, .Lfunc_end664-_ZN7rocprim17ROCPRIM_400000_NS6detail17trampoline_kernelINS0_14default_configENS1_22reduce_config_selectorIiEEZNS1_11reduce_implILb1ES3_N6thrust23THRUST_200600_302600_NS11hip_rocprim35transform_pair_of_input_iterators_tIiPaSB_NS8_12not_equal_toIaEEEEPiiNS8_4plusIiEEEE10hipError_tPvRmT1_T2_T3_mT4_P12ihipStream_tbEUlT_E1_NS1_11comp_targetILNS1_3genE5ELNS1_11target_archE942ELNS1_3gpuE9ELNS1_3repE0EEENS1_30default_config_static_selectorELNS0_4arch9wavefront6targetE1EEEvSL_
                                        ; -- End function
	.section	.AMDGPU.csdata,"",@progbits
; Kernel info:
; codeLenInByte = 0
; NumSgprs: 4
; NumVgprs: 0
; NumAgprs: 0
; TotalNumVgprs: 0
; ScratchSize: 0
; MemoryBound: 0
; FloatMode: 240
; IeeeMode: 1
; LDSByteSize: 0 bytes/workgroup (compile time only)
; SGPRBlocks: 0
; VGPRBlocks: 0
; NumSGPRsForWavesPerEU: 4
; NumVGPRsForWavesPerEU: 1
; AccumOffset: 4
; Occupancy: 8
; WaveLimiterHint : 0
; COMPUTE_PGM_RSRC2:SCRATCH_EN: 0
; COMPUTE_PGM_RSRC2:USER_SGPR: 6
; COMPUTE_PGM_RSRC2:TRAP_HANDLER: 0
; COMPUTE_PGM_RSRC2:TGID_X_EN: 1
; COMPUTE_PGM_RSRC2:TGID_Y_EN: 0
; COMPUTE_PGM_RSRC2:TGID_Z_EN: 0
; COMPUTE_PGM_RSRC2:TIDIG_COMP_CNT: 0
; COMPUTE_PGM_RSRC3_GFX90A:ACCUM_OFFSET: 0
; COMPUTE_PGM_RSRC3_GFX90A:TG_SPLIT: 0
	.section	.text._ZN7rocprim17ROCPRIM_400000_NS6detail17trampoline_kernelINS0_14default_configENS1_22reduce_config_selectorIiEEZNS1_11reduce_implILb1ES3_N6thrust23THRUST_200600_302600_NS11hip_rocprim35transform_pair_of_input_iterators_tIiPaSB_NS8_12not_equal_toIaEEEEPiiNS8_4plusIiEEEE10hipError_tPvRmT1_T2_T3_mT4_P12ihipStream_tbEUlT_E1_NS1_11comp_targetILNS1_3genE4ELNS1_11target_archE910ELNS1_3gpuE8ELNS1_3repE0EEENS1_30default_config_static_selectorELNS0_4arch9wavefront6targetE1EEEvSL_,"axG",@progbits,_ZN7rocprim17ROCPRIM_400000_NS6detail17trampoline_kernelINS0_14default_configENS1_22reduce_config_selectorIiEEZNS1_11reduce_implILb1ES3_N6thrust23THRUST_200600_302600_NS11hip_rocprim35transform_pair_of_input_iterators_tIiPaSB_NS8_12not_equal_toIaEEEEPiiNS8_4plusIiEEEE10hipError_tPvRmT1_T2_T3_mT4_P12ihipStream_tbEUlT_E1_NS1_11comp_targetILNS1_3genE4ELNS1_11target_archE910ELNS1_3gpuE8ELNS1_3repE0EEENS1_30default_config_static_selectorELNS0_4arch9wavefront6targetE1EEEvSL_,comdat
	.protected	_ZN7rocprim17ROCPRIM_400000_NS6detail17trampoline_kernelINS0_14default_configENS1_22reduce_config_selectorIiEEZNS1_11reduce_implILb1ES3_N6thrust23THRUST_200600_302600_NS11hip_rocprim35transform_pair_of_input_iterators_tIiPaSB_NS8_12not_equal_toIaEEEEPiiNS8_4plusIiEEEE10hipError_tPvRmT1_T2_T3_mT4_P12ihipStream_tbEUlT_E1_NS1_11comp_targetILNS1_3genE4ELNS1_11target_archE910ELNS1_3gpuE8ELNS1_3repE0EEENS1_30default_config_static_selectorELNS0_4arch9wavefront6targetE1EEEvSL_ ; -- Begin function _ZN7rocprim17ROCPRIM_400000_NS6detail17trampoline_kernelINS0_14default_configENS1_22reduce_config_selectorIiEEZNS1_11reduce_implILb1ES3_N6thrust23THRUST_200600_302600_NS11hip_rocprim35transform_pair_of_input_iterators_tIiPaSB_NS8_12not_equal_toIaEEEEPiiNS8_4plusIiEEEE10hipError_tPvRmT1_T2_T3_mT4_P12ihipStream_tbEUlT_E1_NS1_11comp_targetILNS1_3genE4ELNS1_11target_archE910ELNS1_3gpuE8ELNS1_3repE0EEENS1_30default_config_static_selectorELNS0_4arch9wavefront6targetE1EEEvSL_
	.globl	_ZN7rocprim17ROCPRIM_400000_NS6detail17trampoline_kernelINS0_14default_configENS1_22reduce_config_selectorIiEEZNS1_11reduce_implILb1ES3_N6thrust23THRUST_200600_302600_NS11hip_rocprim35transform_pair_of_input_iterators_tIiPaSB_NS8_12not_equal_toIaEEEEPiiNS8_4plusIiEEEE10hipError_tPvRmT1_T2_T3_mT4_P12ihipStream_tbEUlT_E1_NS1_11comp_targetILNS1_3genE4ELNS1_11target_archE910ELNS1_3gpuE8ELNS1_3repE0EEENS1_30default_config_static_selectorELNS0_4arch9wavefront6targetE1EEEvSL_
	.p2align	8
	.type	_ZN7rocprim17ROCPRIM_400000_NS6detail17trampoline_kernelINS0_14default_configENS1_22reduce_config_selectorIiEEZNS1_11reduce_implILb1ES3_N6thrust23THRUST_200600_302600_NS11hip_rocprim35transform_pair_of_input_iterators_tIiPaSB_NS8_12not_equal_toIaEEEEPiiNS8_4plusIiEEEE10hipError_tPvRmT1_T2_T3_mT4_P12ihipStream_tbEUlT_E1_NS1_11comp_targetILNS1_3genE4ELNS1_11target_archE910ELNS1_3gpuE8ELNS1_3repE0EEENS1_30default_config_static_selectorELNS0_4arch9wavefront6targetE1EEEvSL_,@function
_ZN7rocprim17ROCPRIM_400000_NS6detail17trampoline_kernelINS0_14default_configENS1_22reduce_config_selectorIiEEZNS1_11reduce_implILb1ES3_N6thrust23THRUST_200600_302600_NS11hip_rocprim35transform_pair_of_input_iterators_tIiPaSB_NS8_12not_equal_toIaEEEEPiiNS8_4plusIiEEEE10hipError_tPvRmT1_T2_T3_mT4_P12ihipStream_tbEUlT_E1_NS1_11comp_targetILNS1_3genE4ELNS1_11target_archE910ELNS1_3gpuE8ELNS1_3repE0EEENS1_30default_config_static_selectorELNS0_4arch9wavefront6targetE1EEEvSL_: ; @_ZN7rocprim17ROCPRIM_400000_NS6detail17trampoline_kernelINS0_14default_configENS1_22reduce_config_selectorIiEEZNS1_11reduce_implILb1ES3_N6thrust23THRUST_200600_302600_NS11hip_rocprim35transform_pair_of_input_iterators_tIiPaSB_NS8_12not_equal_toIaEEEEPiiNS8_4plusIiEEEE10hipError_tPvRmT1_T2_T3_mT4_P12ihipStream_tbEUlT_E1_NS1_11comp_targetILNS1_3genE4ELNS1_11target_archE910ELNS1_3gpuE8ELNS1_3repE0EEENS1_30default_config_static_selectorELNS0_4arch9wavefront6targetE1EEEvSL_
; %bb.0:
	s_load_dword s33, s[4:5], 0x4
	s_load_dwordx4 s[40:43], s[4:5], 0x8
	s_load_dwordx4 s[36:39], s[4:5], 0x20
	s_waitcnt lgkmcnt(0)
	s_cmp_lt_i32 s33, 8
	s_cbranch_scc1 .LBB665_11
; %bb.1:
	s_cmp_gt_i32 s33, 15
	s_cbranch_scc0 .LBB665_12
; %bb.2:
	s_cmp_gt_i32 s33, 31
	s_cbranch_scc0 .LBB665_13
; %bb.3:
	s_cmp_eq_u32 s33, 32
	s_mov_b64 s[8:9], 0
	s_cbranch_scc0 .LBB665_14
; %bb.4:
	s_lshl_b32 s14, s6, 12
	s_lshr_b64 s[0:1], s[36:37], 12
	s_add_u32 s10, s40, s14
	s_addc_u32 s11, s41, 0
	s_add_u32 s12, s42, s14
	s_mov_b32 s7, 0
	s_addc_u32 s13, s43, 0
	s_cmp_lg_u64 s[0:1], s[6:7]
	s_cbranch_scc0 .LBB665_23
; %bb.5:
	global_load_ubyte v1, v0, s[10:11]
	global_load_ubyte v2, v0, s[12:13]
	global_load_ubyte v3, v0, s[10:11] offset:512
	global_load_ubyte v4, v0, s[12:13] offset:512
	;; [unrolled: 1-line block ×57, first 2 shown]
	s_waitcnt vmcnt(57)
	v_cmp_ne_u16_e32 vcc, v1, v2
	global_load_ubyte v1, v0, s[12:13] offset:3456
	global_load_ubyte v2, v0, s[10:11] offset:3712
	s_waitcnt vmcnt(57)
	v_cmp_ne_u16_e64 s[0:1], v3, v4
	global_load_ubyte v3, v0, s[12:13] offset:3712
	global_load_ubyte v4, v0, s[10:11] offset:3968
	s_waitcnt vmcnt(57)
	v_cmp_ne_u16_e64 s[2:3], v5, v6
	global_load_ubyte v5, v0, s[12:13] offset:3968
	v_cndmask_b32_e64 v6, 0, 1, vcc
	s_waitcnt vmcnt(56)
	v_cmp_ne_u16_e32 vcc, v7, v8
	v_cndmask_b32_e64 v7, 0, 1, vcc
	s_waitcnt vmcnt(54)
	v_cmp_ne_u16_e32 vcc, v9, v10
	v_cndmask_b32_e64 v9, 0, 1, vcc
	s_waitcnt vmcnt(52)
	v_cmp_ne_u16_e32 vcc, v11, v12
	v_cndmask_b32_e64 v11, 0, 1, vcc
	s_waitcnt vmcnt(50)
	v_cmp_ne_u16_e32 vcc, v13, v14
	v_cndmask_b32_e64 v12, 0, 1, vcc
	s_waitcnt vmcnt(48)
	v_cmp_ne_u16_e32 vcc, v15, v16
	v_cndmask_b32_e64 v13, 0, 1, vcc
	s_waitcnt vmcnt(46)
	v_cmp_ne_u16_e32 vcc, v17, v18
	v_cndmask_b32_e64 v14, 0, 1, vcc
	s_waitcnt vmcnt(44)
	v_cmp_ne_u16_e32 vcc, v19, v20
	v_cndmask_b32_e64 v15, 0, 1, vcc
	s_waitcnt vmcnt(42)
	v_cmp_ne_u16_e32 vcc, v21, v22
	v_cndmask_b32_e64 v16, 0, 1, vcc
	s_waitcnt vmcnt(40)
	v_cmp_ne_u16_e32 vcc, v23, v24
	v_cndmask_b32_e64 v17, 0, 1, vcc
	s_waitcnt vmcnt(38)
	v_cmp_ne_u16_e32 vcc, v25, v26
	v_cndmask_b32_e64 v18, 0, 1, vcc
	s_waitcnt vmcnt(36)
	v_cmp_ne_u16_e32 vcc, v27, v28
	v_cndmask_b32_e64 v19, 0, 1, vcc
	s_waitcnt vmcnt(34)
	v_cmp_ne_u16_e32 vcc, v29, v30
	v_cndmask_b32_e64 v20, 0, 1, vcc
	s_waitcnt vmcnt(32)
	v_cmp_ne_u16_e32 vcc, v31, v32
	v_cndmask_b32_e64 v21, 0, 1, vcc
	s_waitcnt vmcnt(30)
	v_cmp_ne_u16_e32 vcc, v33, v34
	v_addc_co_u32_e32 v6, vcc, 0, v6, vcc
	s_waitcnt vmcnt(28)
	v_cmp_ne_u16_e32 vcc, v35, v36
	v_addc_co_u32_e32 v6, vcc, v6, v7, vcc
	v_cndmask_b32_e64 v8, 0, 1, s[0:1]
	s_waitcnt vmcnt(26)
	v_cmp_ne_u16_e32 vcc, v37, v38
	v_addc_co_u32_e32 v6, vcc, v6, v8, vcc
	s_waitcnt vmcnt(24)
	v_cmp_ne_u16_e32 vcc, v39, v40
	v_addc_co_u32_e32 v6, vcc, v6, v9, vcc
	v_cndmask_b32_e64 v10, 0, 1, s[2:3]
	s_waitcnt vmcnt(22)
	v_cmp_ne_u16_e32 vcc, v41, v42
	v_addc_co_u32_e32 v6, vcc, v6, v10, vcc
	s_waitcnt vmcnt(20)
	v_cmp_ne_u16_e32 vcc, v43, v44
	v_addc_co_u32_e32 v6, vcc, v6, v11, vcc
	;; [unrolled: 3-line block ×12, first 2 shown]
	v_mbcnt_lo_u32_b32 v2, -1, 0
	s_nop 0
	v_add_u32_dpp v1, v1, v1 quad_perm:[1,0,3,2] row_mask:0xf bank_mask:0xf bound_ctrl:1
	v_mbcnt_hi_u32_b32 v2, -1, v2
	v_lshlrev_b32_e32 v3, 2, v2
	v_add_u32_dpp v1, v1, v1 quad_perm:[2,3,0,1] row_mask:0xf bank_mask:0xf bound_ctrl:1
	v_or_b32_e32 v4, 0xfc, v3
	v_cmp_eq_u32_e32 vcc, 0, v2
	v_add_u32_dpp v1, v1, v1 row_ror:4 row_mask:0xf bank_mask:0xf bound_ctrl:1
	s_nop 1
	v_add_u32_dpp v1, v1, v1 row_ror:8 row_mask:0xf bank_mask:0xf bound_ctrl:1
	s_nop 1
	v_add_u32_dpp v1, v1, v1 row_bcast:15 row_mask:0xf bank_mask:0xf bound_ctrl:1
	s_nop 1
	v_add_u32_dpp v1, v1, v1 row_bcast:31 row_mask:0xf bank_mask:0xf bound_ctrl:1
	ds_bpermute_b32 v1, v4, v1
	s_and_saveexec_b64 s[0:1], vcc
	s_cbranch_execz .LBB665_7
; %bb.6:
	v_lshrrev_b32_e32 v4, 4, v0
	v_and_b32_e32 v4, 4, v4
	s_waitcnt lgkmcnt(0)
	ds_write_b32 v4, v1 offset:24
.LBB665_7:
	s_or_b64 exec, exec, s[0:1]
	v_cmp_gt_u32_e32 vcc, 64, v0
	s_waitcnt lgkmcnt(0)
	s_barrier
	s_and_saveexec_b64 s[0:1], vcc
	s_cbranch_execz .LBB665_9
; %bb.8:
	v_and_b32_e32 v1, 1, v2
	v_lshlrev_b32_e32 v1, 2, v1
	ds_read_b32 v1, v1 offset:24
	v_or_b32_e32 v2, 4, v3
	s_waitcnt lgkmcnt(0)
	ds_bpermute_b32 v2, v2, v1
	s_waitcnt lgkmcnt(0)
	v_add_u32_e32 v1, v2, v1
.LBB665_9:
	s_or_b64 exec, exec, s[0:1]
.LBB665_10:
	v_cmp_eq_u32_e64 s[0:1], 0, v0
	s_and_b64 vcc, exec, s[8:9]
	s_cbranch_vccnz .LBB665_15
	s_branch .LBB665_93
.LBB665_11:
	s_mov_b64 s[0:1], 0
                                        ; implicit-def: $vgpr1
	s_cbranch_execnz .LBB665_166
	s_branch .LBB665_224
.LBB665_12:
	s_mov_b64 s[0:1], 0
                                        ; implicit-def: $vgpr1
	s_cbranch_execnz .LBB665_134
	s_branch .LBB665_142
.LBB665_13:
	s_mov_b64 s[8:9], -1
.LBB665_14:
	s_mov_b64 s[0:1], 0
                                        ; implicit-def: $vgpr1
	s_and_b64 vcc, exec, s[8:9]
	s_cbranch_vccz .LBB665_93
.LBB665_15:
	s_cmp_eq_u32 s33, 16
	s_cbranch_scc0 .LBB665_22
; %bb.16:
	s_lshl_b32 s2, s6, 11
	s_lshr_b64 s[0:1], s[36:37], 11
	s_add_u32 s34, s40, s2
	s_addc_u32 s35, s41, 0
	s_add_u32 s44, s42, s2
	s_mov_b32 s7, 0
	s_addc_u32 s45, s43, 0
	s_cmp_lg_u64 s[0:1], s[6:7]
	s_cbranch_scc0 .LBB665_94
; %bb.17:
	global_load_ubyte v1, v0, s[34:35]
	global_load_ubyte v4, v0, s[44:45]
	global_load_ubyte v5, v0, s[34:35] offset:256
	global_load_ubyte v6, v0, s[44:45] offset:256
	;; [unrolled: 1-line block ×30, first 2 shown]
	v_mbcnt_lo_u32_b32 v2, -1, 0
	v_mbcnt_hi_u32_b32 v2, -1, v2
	v_lshlrev_b32_e32 v3, 2, v2
	s_waitcnt vmcnt(30)
	v_cmp_ne_u16_e32 vcc, v1, v4
	v_cndmask_b32_e64 v1, 0, 1, vcc
	s_waitcnt vmcnt(28)
	v_cmp_ne_u16_e32 vcc, v5, v6
	v_cndmask_b32_e64 v4, 0, 1, vcc
	;; [unrolled: 3-line block ×8, first 2 shown]
	s_waitcnt vmcnt(14)
	v_cmp_ne_u16_e32 vcc, v19, v20
	v_addc_co_u32_e32 v1, vcc, 0, v1, vcc
	s_waitcnt vmcnt(12)
	v_cmp_ne_u16_e32 vcc, v21, v22
	v_addc_co_u32_e32 v1, vcc, v1, v4, vcc
	;; [unrolled: 3-line block ×8, first 2 shown]
	v_or_b32_e32 v4, 0xfc, v3
	s_nop 0
	v_add_u32_dpp v1, v1, v1 quad_perm:[1,0,3,2] row_mask:0xf bank_mask:0xf bound_ctrl:1
	v_cmp_eq_u32_e32 vcc, 0, v2
	s_nop 0
	v_add_u32_dpp v1, v1, v1 quad_perm:[2,3,0,1] row_mask:0xf bank_mask:0xf bound_ctrl:1
	s_nop 1
	v_add_u32_dpp v1, v1, v1 row_ror:4 row_mask:0xf bank_mask:0xf bound_ctrl:1
	s_nop 1
	v_add_u32_dpp v1, v1, v1 row_ror:8 row_mask:0xf bank_mask:0xf bound_ctrl:1
	s_nop 1
	v_add_u32_dpp v1, v1, v1 row_bcast:15 row_mask:0xf bank_mask:0xf bound_ctrl:1
	s_nop 1
	v_add_u32_dpp v1, v1, v1 row_bcast:31 row_mask:0xf bank_mask:0xf bound_ctrl:1
	ds_bpermute_b32 v1, v4, v1
	s_and_saveexec_b64 s[0:1], vcc
	s_cbranch_execz .LBB665_19
; %bb.18:
	v_lshrrev_b32_e32 v4, 4, v0
	v_and_b32_e32 v4, 4, v4
	s_waitcnt lgkmcnt(0)
	ds_write_b32 v4, v1
.LBB665_19:
	s_or_b64 exec, exec, s[0:1]
	v_cmp_gt_u32_e32 vcc, 64, v0
	s_waitcnt lgkmcnt(0)
	s_barrier
	s_and_saveexec_b64 s[0:1], vcc
	s_cbranch_execz .LBB665_21
; %bb.20:
	v_and_b32_e32 v1, 1, v2
	v_lshlrev_b32_e32 v1, 2, v1
	ds_read_b32 v1, v1
	v_or_b32_e32 v2, 4, v3
	s_waitcnt lgkmcnt(0)
	ds_bpermute_b32 v2, v2, v1
	s_waitcnt lgkmcnt(0)
	v_add_u32_e32 v1, v2, v1
.LBB665_21:
	s_or_b64 exec, exec, s[0:1]
	s_mov_b64 s[0:1], 0
	s_branch .LBB665_95
.LBB665_22:
                                        ; implicit-def: $vgpr1
	s_branch .LBB665_142
.LBB665_23:
                                        ; implicit-def: $vgpr1
	s_cbranch_execz .LBB665_10
; %bb.24:
	s_sub_i32 s2, s36, s14
	v_cmp_gt_u32_e32 vcc, s2, v0
                                        ; implicit-def: $vgpr1
	s_and_saveexec_b64 s[0:1], vcc
	s_cbranch_execz .LBB665_26
; %bb.25:
	global_load_ubyte v1, v0, s[10:11]
	global_load_ubyte v2, v0, s[12:13]
	s_waitcnt vmcnt(0)
	v_cmp_ne_u16_e32 vcc, v1, v2
	v_cndmask_b32_e64 v1, 0, 1, vcc
.LBB665_26:
	s_or_b64 exec, exec, s[0:1]
	v_or_b32_e32 v2, 0x80, v0
	v_cmp_gt_u32_e32 vcc, s2, v2
	v_mov_b32_e32 v2, 0
	v_mov_b32_e32 v3, 0
	s_and_saveexec_b64 s[0:1], vcc
	s_cbranch_execz .LBB665_28
; %bb.27:
	global_load_ubyte v3, v0, s[10:11] offset:128
	global_load_ubyte v4, v0, s[12:13] offset:128
	s_waitcnt vmcnt(0)
	v_cmp_ne_u16_e32 vcc, v3, v4
	v_cndmask_b32_e64 v3, 0, 1, vcc
.LBB665_28:
	s_or_b64 exec, exec, s[0:1]
	v_or_b32_e32 v4, 0x100, v0
	v_cmp_gt_u32_e32 vcc, s2, v4
	s_and_saveexec_b64 s[0:1], vcc
	s_cbranch_execz .LBB665_30
; %bb.29:
	global_load_ubyte v2, v0, s[10:11] offset:256
	global_load_ubyte v4, v0, s[12:13] offset:256
	s_waitcnt vmcnt(0)
	v_cmp_ne_u16_e32 vcc, v2, v4
	v_cndmask_b32_e64 v2, 0, 1, vcc
.LBB665_30:
	s_or_b64 exec, exec, s[0:1]
	v_or_b32_e32 v4, 0x180, v0
	v_cmp_gt_u32_e32 vcc, s2, v4
	v_mov_b32_e32 v4, 0
	v_mov_b32_e32 v5, 0
	s_and_saveexec_b64 s[0:1], vcc
	s_cbranch_execz .LBB665_32
; %bb.31:
	global_load_ubyte v5, v0, s[10:11] offset:384
	global_load_ubyte v6, v0, s[12:13] offset:384
	s_waitcnt vmcnt(0)
	v_cmp_ne_u16_e32 vcc, v5, v6
	v_cndmask_b32_e64 v5, 0, 1, vcc
.LBB665_32:
	s_or_b64 exec, exec, s[0:1]
	v_or_b32_e32 v6, 0x200, v0
	v_cmp_gt_u32_e32 vcc, s2, v6
	s_and_saveexec_b64 s[0:1], vcc
	s_cbranch_execz .LBB665_34
; %bb.33:
	global_load_ubyte v4, v0, s[10:11] offset:512
	global_load_ubyte v6, v0, s[12:13] offset:512
	s_waitcnt vmcnt(0)
	v_cmp_ne_u16_e32 vcc, v4, v6
	v_cndmask_b32_e64 v4, 0, 1, vcc
.LBB665_34:
	s_or_b64 exec, exec, s[0:1]
	v_or_b32_e32 v6, 0x280, v0
	v_cmp_gt_u32_e32 vcc, s2, v6
	v_mov_b32_e32 v6, 0
	v_mov_b32_e32 v7, 0
	s_and_saveexec_b64 s[0:1], vcc
	s_cbranch_execz .LBB665_36
; %bb.35:
	global_load_ubyte v7, v0, s[10:11] offset:640
	global_load_ubyte v8, v0, s[12:13] offset:640
	s_waitcnt vmcnt(0)
	v_cmp_ne_u16_e32 vcc, v7, v8
	v_cndmask_b32_e64 v7, 0, 1, vcc
.LBB665_36:
	s_or_b64 exec, exec, s[0:1]
	v_or_b32_e32 v8, 0x300, v0
	v_cmp_gt_u32_e32 vcc, s2, v8
	s_and_saveexec_b64 s[0:1], vcc
	s_cbranch_execz .LBB665_38
; %bb.37:
	global_load_ubyte v6, v0, s[10:11] offset:768
	global_load_ubyte v8, v0, s[12:13] offset:768
	s_waitcnt vmcnt(0)
	v_cmp_ne_u16_e32 vcc, v6, v8
	v_cndmask_b32_e64 v6, 0, 1, vcc
.LBB665_38:
	s_or_b64 exec, exec, s[0:1]
	v_or_b32_e32 v8, 0x380, v0
	v_cmp_gt_u32_e32 vcc, s2, v8
	v_mov_b32_e32 v8, 0
	v_mov_b32_e32 v9, 0
	s_and_saveexec_b64 s[0:1], vcc
	s_cbranch_execz .LBB665_40
; %bb.39:
	global_load_ubyte v9, v0, s[10:11] offset:896
	global_load_ubyte v10, v0, s[12:13] offset:896
	s_waitcnt vmcnt(0)
	v_cmp_ne_u16_e32 vcc, v9, v10
	v_cndmask_b32_e64 v9, 0, 1, vcc
.LBB665_40:
	s_or_b64 exec, exec, s[0:1]
	v_or_b32_e32 v10, 0x400, v0
	v_cmp_gt_u32_e32 vcc, s2, v10
	s_and_saveexec_b64 s[0:1], vcc
	s_cbranch_execz .LBB665_42
; %bb.41:
	global_load_ubyte v8, v0, s[10:11] offset:1024
	global_load_ubyte v10, v0, s[12:13] offset:1024
	s_waitcnt vmcnt(0)
	v_cmp_ne_u16_e32 vcc, v8, v10
	v_cndmask_b32_e64 v8, 0, 1, vcc
.LBB665_42:
	s_or_b64 exec, exec, s[0:1]
	v_or_b32_e32 v10, 0x480, v0
	v_cmp_gt_u32_e32 vcc, s2, v10
	v_mov_b32_e32 v10, 0
	v_mov_b32_e32 v11, 0
	s_and_saveexec_b64 s[0:1], vcc
	s_cbranch_execz .LBB665_44
; %bb.43:
	global_load_ubyte v11, v0, s[10:11] offset:1152
	global_load_ubyte v12, v0, s[12:13] offset:1152
	s_waitcnt vmcnt(0)
	v_cmp_ne_u16_e32 vcc, v11, v12
	v_cndmask_b32_e64 v11, 0, 1, vcc
.LBB665_44:
	s_or_b64 exec, exec, s[0:1]
	v_or_b32_e32 v12, 0x500, v0
	v_cmp_gt_u32_e32 vcc, s2, v12
	s_and_saveexec_b64 s[0:1], vcc
	s_cbranch_execz .LBB665_46
; %bb.45:
	global_load_ubyte v10, v0, s[10:11] offset:1280
	global_load_ubyte v12, v0, s[12:13] offset:1280
	s_waitcnt vmcnt(0)
	v_cmp_ne_u16_e32 vcc, v10, v12
	v_cndmask_b32_e64 v10, 0, 1, vcc
.LBB665_46:
	s_or_b64 exec, exec, s[0:1]
	v_or_b32_e32 v12, 0x580, v0
	v_cmp_gt_u32_e32 vcc, s2, v12
	v_mov_b32_e32 v12, 0
	v_mov_b32_e32 v13, 0
	s_and_saveexec_b64 s[0:1], vcc
	s_cbranch_execz .LBB665_48
; %bb.47:
	global_load_ubyte v13, v0, s[10:11] offset:1408
	global_load_ubyte v14, v0, s[12:13] offset:1408
	s_waitcnt vmcnt(0)
	v_cmp_ne_u16_e32 vcc, v13, v14
	v_cndmask_b32_e64 v13, 0, 1, vcc
.LBB665_48:
	s_or_b64 exec, exec, s[0:1]
	v_or_b32_e32 v14, 0x600, v0
	v_cmp_gt_u32_e32 vcc, s2, v14
	s_and_saveexec_b64 s[0:1], vcc
	s_cbranch_execz .LBB665_50
; %bb.49:
	global_load_ubyte v12, v0, s[10:11] offset:1536
	global_load_ubyte v14, v0, s[12:13] offset:1536
	s_waitcnt vmcnt(0)
	v_cmp_ne_u16_e32 vcc, v12, v14
	v_cndmask_b32_e64 v12, 0, 1, vcc
.LBB665_50:
	s_or_b64 exec, exec, s[0:1]
	v_or_b32_e32 v14, 0x680, v0
	v_cmp_gt_u32_e32 vcc, s2, v14
	v_mov_b32_e32 v14, 0
	v_mov_b32_e32 v15, 0
	s_and_saveexec_b64 s[0:1], vcc
	s_cbranch_execz .LBB665_52
; %bb.51:
	global_load_ubyte v15, v0, s[10:11] offset:1664
	global_load_ubyte v16, v0, s[12:13] offset:1664
	s_waitcnt vmcnt(0)
	v_cmp_ne_u16_e32 vcc, v15, v16
	v_cndmask_b32_e64 v15, 0, 1, vcc
.LBB665_52:
	s_or_b64 exec, exec, s[0:1]
	v_or_b32_e32 v16, 0x700, v0
	v_cmp_gt_u32_e32 vcc, s2, v16
	s_and_saveexec_b64 s[0:1], vcc
	s_cbranch_execz .LBB665_54
; %bb.53:
	global_load_ubyte v14, v0, s[10:11] offset:1792
	global_load_ubyte v16, v0, s[12:13] offset:1792
	s_waitcnt vmcnt(0)
	v_cmp_ne_u16_e32 vcc, v14, v16
	v_cndmask_b32_e64 v14, 0, 1, vcc
.LBB665_54:
	s_or_b64 exec, exec, s[0:1]
	v_or_b32_e32 v16, 0x780, v0
	v_cmp_gt_u32_e32 vcc, s2, v16
	v_mov_b32_e32 v16, 0
	v_mov_b32_e32 v17, 0
	s_and_saveexec_b64 s[0:1], vcc
	s_cbranch_execz .LBB665_56
; %bb.55:
	global_load_ubyte v17, v0, s[10:11] offset:1920
	global_load_ubyte v18, v0, s[12:13] offset:1920
	s_waitcnt vmcnt(0)
	v_cmp_ne_u16_e32 vcc, v17, v18
	v_cndmask_b32_e64 v17, 0, 1, vcc
.LBB665_56:
	s_or_b64 exec, exec, s[0:1]
	v_or_b32_e32 v18, 0x800, v0
	v_cmp_gt_u32_e32 vcc, s2, v18
	s_and_saveexec_b64 s[0:1], vcc
	s_cbranch_execz .LBB665_58
; %bb.57:
	global_load_ubyte v16, v0, s[10:11] offset:2048
	global_load_ubyte v18, v0, s[12:13] offset:2048
	s_waitcnt vmcnt(0)
	v_cmp_ne_u16_e32 vcc, v16, v18
	v_cndmask_b32_e64 v16, 0, 1, vcc
.LBB665_58:
	s_or_b64 exec, exec, s[0:1]
	v_or_b32_e32 v18, 0x880, v0
	v_cmp_gt_u32_e32 vcc, s2, v18
	v_mov_b32_e32 v18, 0
	v_mov_b32_e32 v19, 0
	s_and_saveexec_b64 s[0:1], vcc
	s_cbranch_execz .LBB665_60
; %bb.59:
	global_load_ubyte v19, v0, s[10:11] offset:2176
	global_load_ubyte v20, v0, s[12:13] offset:2176
	s_waitcnt vmcnt(0)
	v_cmp_ne_u16_e32 vcc, v19, v20
	v_cndmask_b32_e64 v19, 0, 1, vcc
.LBB665_60:
	s_or_b64 exec, exec, s[0:1]
	v_or_b32_e32 v20, 0x900, v0
	v_cmp_gt_u32_e32 vcc, s2, v20
	s_and_saveexec_b64 s[0:1], vcc
	s_cbranch_execz .LBB665_62
; %bb.61:
	global_load_ubyte v18, v0, s[10:11] offset:2304
	global_load_ubyte v20, v0, s[12:13] offset:2304
	s_waitcnt vmcnt(0)
	v_cmp_ne_u16_e32 vcc, v18, v20
	v_cndmask_b32_e64 v18, 0, 1, vcc
.LBB665_62:
	s_or_b64 exec, exec, s[0:1]
	v_or_b32_e32 v20, 0x980, v0
	v_cmp_gt_u32_e32 vcc, s2, v20
	v_mov_b32_e32 v20, 0
	v_mov_b32_e32 v21, 0
	s_and_saveexec_b64 s[0:1], vcc
	s_cbranch_execz .LBB665_64
; %bb.63:
	global_load_ubyte v21, v0, s[10:11] offset:2432
	global_load_ubyte v22, v0, s[12:13] offset:2432
	s_waitcnt vmcnt(0)
	v_cmp_ne_u16_e32 vcc, v21, v22
	v_cndmask_b32_e64 v21, 0, 1, vcc
.LBB665_64:
	s_or_b64 exec, exec, s[0:1]
	v_or_b32_e32 v22, 0xa00, v0
	v_cmp_gt_u32_e32 vcc, s2, v22
	s_and_saveexec_b64 s[0:1], vcc
	s_cbranch_execz .LBB665_66
; %bb.65:
	global_load_ubyte v20, v0, s[10:11] offset:2560
	global_load_ubyte v22, v0, s[12:13] offset:2560
	s_waitcnt vmcnt(0)
	v_cmp_ne_u16_e32 vcc, v20, v22
	v_cndmask_b32_e64 v20, 0, 1, vcc
.LBB665_66:
	s_or_b64 exec, exec, s[0:1]
	v_or_b32_e32 v22, 0xa80, v0
	v_cmp_gt_u32_e32 vcc, s2, v22
	v_mov_b32_e32 v22, 0
	v_mov_b32_e32 v23, 0
	s_and_saveexec_b64 s[0:1], vcc
	s_cbranch_execz .LBB665_68
; %bb.67:
	global_load_ubyte v23, v0, s[10:11] offset:2688
	global_load_ubyte v24, v0, s[12:13] offset:2688
	s_waitcnt vmcnt(0)
	v_cmp_ne_u16_e32 vcc, v23, v24
	v_cndmask_b32_e64 v23, 0, 1, vcc
.LBB665_68:
	s_or_b64 exec, exec, s[0:1]
	v_or_b32_e32 v24, 0xb00, v0
	v_cmp_gt_u32_e32 vcc, s2, v24
	s_and_saveexec_b64 s[0:1], vcc
	s_cbranch_execz .LBB665_70
; %bb.69:
	global_load_ubyte v22, v0, s[10:11] offset:2816
	global_load_ubyte v24, v0, s[12:13] offset:2816
	s_waitcnt vmcnt(0)
	v_cmp_ne_u16_e32 vcc, v22, v24
	v_cndmask_b32_e64 v22, 0, 1, vcc
.LBB665_70:
	s_or_b64 exec, exec, s[0:1]
	v_or_b32_e32 v24, 0xb80, v0
	v_cmp_gt_u32_e32 vcc, s2, v24
	v_mov_b32_e32 v24, 0
	v_mov_b32_e32 v25, 0
	s_and_saveexec_b64 s[0:1], vcc
	s_cbranch_execz .LBB665_72
; %bb.71:
	global_load_ubyte v25, v0, s[10:11] offset:2944
	global_load_ubyte v26, v0, s[12:13] offset:2944
	s_waitcnt vmcnt(0)
	v_cmp_ne_u16_e32 vcc, v25, v26
	v_cndmask_b32_e64 v25, 0, 1, vcc
.LBB665_72:
	s_or_b64 exec, exec, s[0:1]
	v_or_b32_e32 v26, 0xc00, v0
	v_cmp_gt_u32_e32 vcc, s2, v26
	s_and_saveexec_b64 s[0:1], vcc
	s_cbranch_execz .LBB665_74
; %bb.73:
	global_load_ubyte v24, v0, s[10:11] offset:3072
	global_load_ubyte v26, v0, s[12:13] offset:3072
	s_waitcnt vmcnt(0)
	v_cmp_ne_u16_e32 vcc, v24, v26
	v_cndmask_b32_e64 v24, 0, 1, vcc
.LBB665_74:
	s_or_b64 exec, exec, s[0:1]
	v_or_b32_e32 v26, 0xc80, v0
	v_cmp_gt_u32_e32 vcc, s2, v26
	v_mov_b32_e32 v26, 0
	v_mov_b32_e32 v27, 0
	s_and_saveexec_b64 s[0:1], vcc
	s_cbranch_execz .LBB665_76
; %bb.75:
	global_load_ubyte v27, v0, s[10:11] offset:3200
	global_load_ubyte v28, v0, s[12:13] offset:3200
	s_waitcnt vmcnt(0)
	v_cmp_ne_u16_e32 vcc, v27, v28
	v_cndmask_b32_e64 v27, 0, 1, vcc
.LBB665_76:
	s_or_b64 exec, exec, s[0:1]
	v_or_b32_e32 v28, 0xd00, v0
	v_cmp_gt_u32_e32 vcc, s2, v28
	s_and_saveexec_b64 s[0:1], vcc
	s_cbranch_execz .LBB665_78
; %bb.77:
	global_load_ubyte v26, v0, s[10:11] offset:3328
	global_load_ubyte v28, v0, s[12:13] offset:3328
	s_waitcnt vmcnt(0)
	v_cmp_ne_u16_e32 vcc, v26, v28
	v_cndmask_b32_e64 v26, 0, 1, vcc
.LBB665_78:
	s_or_b64 exec, exec, s[0:1]
	v_or_b32_e32 v28, 0xd80, v0
	v_cmp_gt_u32_e32 vcc, s2, v28
	v_mov_b32_e32 v28, 0
	v_mov_b32_e32 v29, 0
	s_and_saveexec_b64 s[0:1], vcc
	s_cbranch_execz .LBB665_80
; %bb.79:
	global_load_ubyte v29, v0, s[10:11] offset:3456
	global_load_ubyte v30, v0, s[12:13] offset:3456
	s_waitcnt vmcnt(0)
	v_cmp_ne_u16_e32 vcc, v29, v30
	v_cndmask_b32_e64 v29, 0, 1, vcc
.LBB665_80:
	s_or_b64 exec, exec, s[0:1]
	v_or_b32_e32 v30, 0xe00, v0
	v_cmp_gt_u32_e32 vcc, s2, v30
	s_and_saveexec_b64 s[0:1], vcc
	s_cbranch_execz .LBB665_82
; %bb.81:
	global_load_ubyte v28, v0, s[10:11] offset:3584
	global_load_ubyte v30, v0, s[12:13] offset:3584
	s_waitcnt vmcnt(0)
	v_cmp_ne_u16_e32 vcc, v28, v30
	v_cndmask_b32_e64 v28, 0, 1, vcc
.LBB665_82:
	s_or_b64 exec, exec, s[0:1]
	v_or_b32_e32 v30, 0xe80, v0
	v_cmp_gt_u32_e32 vcc, s2, v30
	v_mov_b32_e32 v30, 0
	v_mov_b32_e32 v31, 0
	s_and_saveexec_b64 s[0:1], vcc
	s_cbranch_execz .LBB665_84
; %bb.83:
	global_load_ubyte v31, v0, s[10:11] offset:3712
	global_load_ubyte v32, v0, s[12:13] offset:3712
	s_waitcnt vmcnt(0)
	v_cmp_ne_u16_e32 vcc, v31, v32
	v_cndmask_b32_e64 v31, 0, 1, vcc
.LBB665_84:
	s_or_b64 exec, exec, s[0:1]
	v_or_b32_e32 v32, 0xf00, v0
	v_cmp_gt_u32_e32 vcc, s2, v32
	s_and_saveexec_b64 s[0:1], vcc
	s_cbranch_execz .LBB665_86
; %bb.85:
	global_load_ubyte v30, v0, s[10:11] offset:3840
	global_load_ubyte v32, v0, s[12:13] offset:3840
	s_waitcnt vmcnt(0)
	v_cmp_ne_u16_e32 vcc, v30, v32
	v_cndmask_b32_e64 v30, 0, 1, vcc
.LBB665_86:
	s_or_b64 exec, exec, s[0:1]
	v_or_b32_e32 v32, 0xf80, v0
	v_cmp_gt_u32_e32 vcc, s2, v32
	v_mov_b32_e32 v32, 0
	s_and_saveexec_b64 s[0:1], vcc
	s_cbranch_execz .LBB665_88
; %bb.87:
	global_load_ubyte v32, v0, s[10:11] offset:3968
	global_load_ubyte v33, v0, s[12:13] offset:3968
	s_waitcnt vmcnt(0)
	v_cmp_ne_u16_e32 vcc, v32, v33
	v_cndmask_b32_e64 v32, 0, 1, vcc
.LBB665_88:
	s_or_b64 exec, exec, s[0:1]
	v_add_u32_e32 v1, v3, v1
	v_add3_u32 v1, v1, v2, v5
	v_add3_u32 v1, v1, v4, v7
	;; [unrolled: 1-line block ×10, first 2 shown]
	v_mbcnt_lo_u32_b32 v2, -1, 0
	v_add3_u32 v1, v1, v22, v25
	v_mbcnt_hi_u32_b32 v2, -1, v2
	v_add3_u32 v1, v1, v24, v27
	v_and_b32_e32 v3, 63, v2
	v_add3_u32 v1, v1, v26, v29
	v_cmp_ne_u32_e32 vcc, 63, v3
	v_add3_u32 v1, v1, v28, v31
	v_addc_co_u32_e32 v4, vcc, 0, v2, vcc
	v_add3_u32 v1, v1, v30, v32
	v_lshlrev_b32_e32 v4, 2, v4
	ds_bpermute_b32 v4, v4, v1
	s_min_u32 s2, s2, 0x80
	v_and_b32_e32 v5, 64, v0
	v_sub_u32_e64 v5, s2, v5 clamp
	v_add_u32_e32 v6, 1, v3
	v_cmp_lt_u32_e32 vcc, v6, v5
	s_waitcnt lgkmcnt(0)
	v_cndmask_b32_e32 v4, 0, v4, vcc
	v_cmp_gt_u32_e32 vcc, 62, v3
	v_add_u32_e32 v1, v4, v1
	v_cndmask_b32_e64 v4, 0, 1, vcc
	v_lshlrev_b32_e32 v4, 1, v4
	v_add_lshl_u32 v4, v4, v2, 2
	ds_bpermute_b32 v4, v4, v1
	v_add_u32_e32 v6, 2, v3
	v_cmp_lt_u32_e32 vcc, v6, v5
	v_add_u32_e32 v6, 4, v3
	s_waitcnt lgkmcnt(0)
	v_cndmask_b32_e32 v4, 0, v4, vcc
	v_cmp_gt_u32_e32 vcc, 60, v3
	v_add_u32_e32 v1, v1, v4
	v_cndmask_b32_e64 v4, 0, 1, vcc
	v_lshlrev_b32_e32 v4, 2, v4
	v_add_lshl_u32 v4, v4, v2, 2
	ds_bpermute_b32 v4, v4, v1
	v_cmp_lt_u32_e32 vcc, v6, v5
	v_add_u32_e32 v6, 8, v3
	s_waitcnt lgkmcnt(0)
	v_cndmask_b32_e32 v4, 0, v4, vcc
	v_cmp_gt_u32_e32 vcc, 56, v3
	v_add_u32_e32 v1, v1, v4
	v_cndmask_b32_e64 v4, 0, 1, vcc
	v_lshlrev_b32_e32 v4, 3, v4
	v_add_lshl_u32 v4, v4, v2, 2
	ds_bpermute_b32 v4, v4, v1
	;; [unrolled: 10-line block ×3, first 2 shown]
	v_cmp_lt_u32_e32 vcc, v6, v5
	s_waitcnt lgkmcnt(0)
	v_cndmask_b32_e32 v4, 0, v4, vcc
	v_cmp_gt_u32_e32 vcc, 32, v3
	v_add_u32_e32 v1, v1, v4
	v_cndmask_b32_e64 v4, 0, 1, vcc
	v_lshlrev_b32_e32 v4, 5, v4
	v_add_lshl_u32 v4, v4, v2, 2
	ds_bpermute_b32 v4, v4, v1
	v_add_u32_e32 v3, 32, v3
	v_cmp_lt_u32_e32 vcc, v3, v5
	s_waitcnt lgkmcnt(0)
	v_cndmask_b32_e32 v3, 0, v4, vcc
	v_add_u32_e32 v1, v1, v3
	v_cmp_eq_u32_e32 vcc, 0, v2
	s_and_saveexec_b64 s[0:1], vcc
	s_cbranch_execz .LBB665_90
; %bb.89:
	v_lshrrev_b32_e32 v3, 4, v0
	v_and_b32_e32 v3, 4, v3
	ds_write_b32 v3, v1 offset:48
.LBB665_90:
	s_or_b64 exec, exec, s[0:1]
	v_cmp_gt_u32_e32 vcc, 2, v0
	s_waitcnt lgkmcnt(0)
	s_barrier
	s_and_saveexec_b64 s[0:1], vcc
	s_cbranch_execz .LBB665_92
; %bb.91:
	v_lshlrev_b32_e32 v1, 2, v2
	ds_read_b32 v3, v1 offset:48
	v_or_b32_e32 v1, 4, v1
	s_add_i32 s2, s2, 63
	v_and_b32_e32 v2, 1, v2
	s_lshr_b32 s2, s2, 6
	s_waitcnt lgkmcnt(0)
	ds_bpermute_b32 v1, v1, v3
	v_add_u32_e32 v2, 1, v2
	v_cmp_gt_u32_e32 vcc, s2, v2
	s_waitcnt lgkmcnt(0)
	v_cndmask_b32_e32 v1, 0, v1, vcc
	v_add_u32_e32 v1, v1, v3
.LBB665_92:
	s_or_b64 exec, exec, s[0:1]
	v_cmp_eq_u32_e64 s[0:1], 0, v0
	s_and_b64 vcc, exec, s[8:9]
	s_cbranch_vccnz .LBB665_15
.LBB665_93:
	s_branch .LBB665_142
.LBB665_94:
	s_mov_b64 s[0:1], -1
                                        ; implicit-def: $vgpr1
.LBB665_95:
	s_and_b64 vcc, exec, s[0:1]
	s_cbranch_vccz .LBB665_133
; %bb.96:
	s_sub_i32 s48, s36, s2
	v_cmp_gt_u32_e32 vcc, s48, v0
                                        ; implicit-def: $vgpr2_vgpr3_vgpr4_vgpr5_vgpr6_vgpr7_vgpr8_vgpr9_vgpr10_vgpr11_vgpr12_vgpr13_vgpr14_vgpr15_vgpr16_vgpr17
	s_and_saveexec_b64 s[0:1], vcc
	s_cbranch_execz .LBB665_98
; %bb.97:
	global_load_ubyte v1, v0, s[34:35]
	global_load_ubyte v2, v0, s[44:45]
	s_waitcnt vmcnt(0)
	v_cmp_ne_u16_e32 vcc, v1, v2
	v_cndmask_b32_e64 v2, 0, 1, vcc
.LBB665_98:
	s_or_b64 exec, exec, s[0:1]
	v_or_b32_e32 v1, 0x80, v0
	v_cmp_gt_u32_e32 vcc, s48, v1
	s_and_saveexec_b64 s[2:3], vcc
	s_cbranch_execz .LBB665_100
; %bb.99:
	global_load_ubyte v1, v0, s[34:35] offset:128
	global_load_ubyte v3, v0, s[44:45] offset:128
	s_waitcnt vmcnt(0)
	v_cmp_ne_u16_e64 s[0:1], v1, v3
	v_cndmask_b32_e64 v3, 0, 1, s[0:1]
.LBB665_100:
	s_or_b64 exec, exec, s[2:3]
	v_or_b32_e32 v1, 0x100, v0
	v_cmp_gt_u32_e64 s[0:1], s48, v1
	s_and_saveexec_b64 s[8:9], s[0:1]
	s_cbranch_execz .LBB665_102
; %bb.101:
	global_load_ubyte v1, v0, s[34:35] offset:256
	global_load_ubyte v4, v0, s[44:45] offset:256
	s_waitcnt vmcnt(0)
	v_cmp_ne_u16_e64 s[2:3], v1, v4
	v_cndmask_b32_e64 v4, 0, 1, s[2:3]
.LBB665_102:
	s_or_b64 exec, exec, s[8:9]
	v_or_b32_e32 v1, 0x180, v0
	v_cmp_gt_u32_e64 s[2:3], s48, v1
	s_and_saveexec_b64 s[10:11], s[2:3]
	;; [unrolled: 12-line block ×14, first 2 shown]
	s_cbranch_execz .LBB665_128
; %bb.127:
	global_load_ubyte v1, v0, s[34:35] offset:1920
	global_load_ubyte v17, v0, s[44:45] offset:1920
	s_waitcnt vmcnt(0)
	v_cmp_ne_u16_e64 s[34:35], v1, v17
	v_cndmask_b32_e64 v17, 0, 1, s[34:35]
.LBB665_128:
	s_or_b64 exec, exec, s[46:47]
	v_cndmask_b32_e32 v1, 0, v3, vcc
	v_add_u32_e32 v1, v1, v2
	v_cndmask_b32_e64 v2, 0, v4, s[0:1]
	v_cndmask_b32_e64 v3, 0, v5, s[2:3]
	v_add3_u32 v1, v1, v2, v3
	v_cndmask_b32_e64 v2, 0, v6, s[8:9]
	v_cndmask_b32_e64 v3, 0, v7, s[10:11]
	v_add3_u32 v1, v1, v2, v3
	;; [unrolled: 3-line block ×7, first 2 shown]
	v_mbcnt_lo_u32_b32 v2, -1, 0
	v_mbcnt_hi_u32_b32 v2, -1, v2
	v_and_b32_e32 v3, 63, v2
	v_cmp_ne_u32_e32 vcc, 63, v3
	v_addc_co_u32_e32 v4, vcc, 0, v2, vcc
	v_lshlrev_b32_e32 v4, 2, v4
	ds_bpermute_b32 v4, v4, v1
	s_min_u32 s2, s48, 0x80
	v_and_b32_e32 v5, 64, v0
	v_sub_u32_e64 v5, s2, v5 clamp
	v_add_u32_e32 v6, 1, v3
	v_cmp_lt_u32_e32 vcc, v6, v5
	s_waitcnt lgkmcnt(0)
	v_cndmask_b32_e32 v4, 0, v4, vcc
	v_cmp_gt_u32_e32 vcc, 62, v3
	v_add_u32_e32 v1, v1, v4
	v_cndmask_b32_e64 v4, 0, 1, vcc
	v_lshlrev_b32_e32 v4, 1, v4
	v_add_lshl_u32 v4, v4, v2, 2
	ds_bpermute_b32 v4, v4, v1
	v_add_u32_e32 v6, 2, v3
	v_cmp_lt_u32_e32 vcc, v6, v5
	v_add_u32_e32 v6, 4, v3
	s_waitcnt lgkmcnt(0)
	v_cndmask_b32_e32 v4, 0, v4, vcc
	v_cmp_gt_u32_e32 vcc, 60, v3
	v_add_u32_e32 v1, v1, v4
	v_cndmask_b32_e64 v4, 0, 1, vcc
	v_lshlrev_b32_e32 v4, 2, v4
	v_add_lshl_u32 v4, v4, v2, 2
	ds_bpermute_b32 v4, v4, v1
	v_cmp_lt_u32_e32 vcc, v6, v5
	v_add_u32_e32 v6, 8, v3
	s_waitcnt lgkmcnt(0)
	v_cndmask_b32_e32 v4, 0, v4, vcc
	v_cmp_gt_u32_e32 vcc, 56, v3
	v_add_u32_e32 v1, v1, v4
	v_cndmask_b32_e64 v4, 0, 1, vcc
	v_lshlrev_b32_e32 v4, 3, v4
	v_add_lshl_u32 v4, v4, v2, 2
	ds_bpermute_b32 v4, v4, v1
	v_cmp_lt_u32_e32 vcc, v6, v5
	v_add_u32_e32 v6, 16, v3
	s_waitcnt lgkmcnt(0)
	v_cndmask_b32_e32 v4, 0, v4, vcc
	v_cmp_gt_u32_e32 vcc, 48, v3
	v_add_u32_e32 v1, v1, v4
	v_cndmask_b32_e64 v4, 0, 1, vcc
	v_lshlrev_b32_e32 v4, 4, v4
	v_add_lshl_u32 v4, v4, v2, 2
	ds_bpermute_b32 v4, v4, v1
	v_cmp_lt_u32_e32 vcc, v6, v5
	s_waitcnt lgkmcnt(0)
	v_cndmask_b32_e32 v4, 0, v4, vcc
	v_cmp_gt_u32_e32 vcc, 32, v3
	v_add_u32_e32 v1, v1, v4
	v_cndmask_b32_e64 v4, 0, 1, vcc
	v_lshlrev_b32_e32 v4, 5, v4
	v_add_lshl_u32 v4, v4, v2, 2
	ds_bpermute_b32 v4, v4, v1
	v_add_u32_e32 v3, 32, v3
	v_cmp_lt_u32_e32 vcc, v3, v5
	s_waitcnt lgkmcnt(0)
	v_cndmask_b32_e32 v3, 0, v4, vcc
	v_add_u32_e32 v1, v1, v3
	v_cmp_eq_u32_e32 vcc, 0, v2
	s_and_saveexec_b64 s[0:1], vcc
	s_cbranch_execz .LBB665_130
; %bb.129:
	v_lshrrev_b32_e32 v3, 4, v0
	v_and_b32_e32 v3, 4, v3
	ds_write_b32 v3, v1 offset:48
.LBB665_130:
	s_or_b64 exec, exec, s[0:1]
	v_cmp_gt_u32_e32 vcc, 2, v0
	s_waitcnt lgkmcnt(0)
	s_barrier
	s_and_saveexec_b64 s[0:1], vcc
	s_cbranch_execz .LBB665_132
; %bb.131:
	v_lshlrev_b32_e32 v1, 2, v2
	ds_read_b32 v3, v1 offset:48
	v_or_b32_e32 v1, 4, v1
	s_add_i32 s2, s2, 63
	v_and_b32_e32 v2, 1, v2
	s_lshr_b32 s2, s2, 6
	s_waitcnt lgkmcnt(0)
	ds_bpermute_b32 v1, v1, v3
	v_add_u32_e32 v2, 1, v2
	v_cmp_gt_u32_e32 vcc, s2, v2
	s_waitcnt lgkmcnt(0)
	v_cndmask_b32_e32 v1, 0, v1, vcc
	v_add_u32_e32 v1, v1, v3
.LBB665_132:
	s_or_b64 exec, exec, s[0:1]
.LBB665_133:
	v_cmp_eq_u32_e64 s[0:1], 0, v0
	s_branch .LBB665_142
.LBB665_134:
	s_cmp_eq_u32 s33, 8
	s_cbranch_scc0 .LBB665_141
; %bb.135:
	s_lshl_b32 s2, s6, 10
	s_lshr_b64 s[0:1], s[36:37], 10
	s_add_u32 s16, s40, s2
	s_addc_u32 s17, s41, 0
	s_add_u32 s18, s42, s2
	s_mov_b32 s7, 0
	s_addc_u32 s19, s43, 0
	s_cmp_lg_u64 s[0:1], s[6:7]
	s_cbranch_scc0 .LBB665_143
; %bb.136:
	global_load_ubyte v1, v0, s[16:17]
	global_load_ubyte v4, v0, s[18:19]
	global_load_ubyte v5, v0, s[16:17] offset:256
	global_load_ubyte v6, v0, s[18:19] offset:256
	;; [unrolled: 1-line block ×14, first 2 shown]
	v_mbcnt_lo_u32_b32 v2, -1, 0
	v_mbcnt_hi_u32_b32 v2, -1, v2
	v_lshlrev_b32_e32 v3, 2, v2
	s_waitcnt vmcnt(14)
	v_cmp_ne_u16_e32 vcc, v1, v4
	v_cndmask_b32_e64 v1, 0, 1, vcc
	s_waitcnt vmcnt(12)
	v_cmp_ne_u16_e32 vcc, v5, v6
	v_cndmask_b32_e64 v4, 0, 1, vcc
	;; [unrolled: 3-line block ×4, first 2 shown]
	s_waitcnt vmcnt(6)
	v_cmp_ne_u16_e32 vcc, v11, v12
	v_addc_co_u32_e32 v1, vcc, 0, v1, vcc
	s_waitcnt vmcnt(4)
	v_cmp_ne_u16_e32 vcc, v13, v14
	v_addc_co_u32_e32 v1, vcc, v1, v4, vcc
	;; [unrolled: 3-line block ×4, first 2 shown]
	v_or_b32_e32 v4, 0xfc, v3
	s_nop 0
	v_add_u32_dpp v1, v1, v1 quad_perm:[1,0,3,2] row_mask:0xf bank_mask:0xf bound_ctrl:1
	v_cmp_eq_u32_e32 vcc, 0, v2
	s_nop 0
	v_add_u32_dpp v1, v1, v1 quad_perm:[2,3,0,1] row_mask:0xf bank_mask:0xf bound_ctrl:1
	s_nop 1
	v_add_u32_dpp v1, v1, v1 row_ror:4 row_mask:0xf bank_mask:0xf bound_ctrl:1
	s_nop 1
	v_add_u32_dpp v1, v1, v1 row_ror:8 row_mask:0xf bank_mask:0xf bound_ctrl:1
	s_nop 1
	v_add_u32_dpp v1, v1, v1 row_bcast:15 row_mask:0xf bank_mask:0xf bound_ctrl:1
	s_nop 1
	v_add_u32_dpp v1, v1, v1 row_bcast:31 row_mask:0xf bank_mask:0xf bound_ctrl:1
	ds_bpermute_b32 v1, v4, v1
	s_and_saveexec_b64 s[0:1], vcc
	s_cbranch_execz .LBB665_138
; %bb.137:
	v_lshrrev_b32_e32 v4, 4, v0
	v_and_b32_e32 v4, 4, v4
	s_waitcnt lgkmcnt(0)
	ds_write_b32 v4, v1 offset:40
.LBB665_138:
	s_or_b64 exec, exec, s[0:1]
	v_cmp_gt_u32_e32 vcc, 64, v0
	s_waitcnt lgkmcnt(0)
	s_barrier
	s_and_saveexec_b64 s[0:1], vcc
	s_cbranch_execz .LBB665_140
; %bb.139:
	v_and_b32_e32 v1, 1, v2
	v_lshlrev_b32_e32 v1, 2, v1
	ds_read_b32 v1, v1 offset:40
	v_or_b32_e32 v2, 4, v3
	s_waitcnt lgkmcnt(0)
	ds_bpermute_b32 v2, v2, v1
	s_waitcnt lgkmcnt(0)
	v_add_u32_e32 v1, v2, v1
.LBB665_140:
	s_or_b64 exec, exec, s[0:1]
	s_branch .LBB665_165
.LBB665_141:
                                        ; implicit-def: $vgpr1
.LBB665_142:
	s_branch .LBB665_224
.LBB665_143:
                                        ; implicit-def: $vgpr1
	s_cbranch_execz .LBB665_165
; %bb.144:
	s_sub_i32 s22, s36, s2
	v_cmp_gt_u32_e32 vcc, s22, v0
                                        ; implicit-def: $vgpr2_vgpr3_vgpr4_vgpr5_vgpr6_vgpr7_vgpr8_vgpr9
	s_and_saveexec_b64 s[0:1], vcc
	s_cbranch_execz .LBB665_146
; %bb.145:
	global_load_ubyte v1, v0, s[16:17]
	global_load_ubyte v2, v0, s[18:19]
	s_waitcnt vmcnt(0)
	v_cmp_ne_u16_e32 vcc, v1, v2
	v_cndmask_b32_e64 v2, 0, 1, vcc
.LBB665_146:
	s_or_b64 exec, exec, s[0:1]
	v_or_b32_e32 v1, 0x80, v0
	v_cmp_gt_u32_e32 vcc, s22, v1
	s_and_saveexec_b64 s[2:3], vcc
	s_cbranch_execz .LBB665_148
; %bb.147:
	global_load_ubyte v1, v0, s[16:17] offset:128
	global_load_ubyte v3, v0, s[18:19] offset:128
	s_waitcnt vmcnt(0)
	v_cmp_ne_u16_e64 s[0:1], v1, v3
	v_cndmask_b32_e64 v3, 0, 1, s[0:1]
.LBB665_148:
	s_or_b64 exec, exec, s[2:3]
	v_or_b32_e32 v1, 0x100, v0
	v_cmp_gt_u32_e64 s[0:1], s22, v1
	s_and_saveexec_b64 s[8:9], s[0:1]
	s_cbranch_execz .LBB665_150
; %bb.149:
	global_load_ubyte v1, v0, s[16:17] offset:256
	global_load_ubyte v4, v0, s[18:19] offset:256
	s_waitcnt vmcnt(0)
	v_cmp_ne_u16_e64 s[2:3], v1, v4
	v_cndmask_b32_e64 v4, 0, 1, s[2:3]
.LBB665_150:
	s_or_b64 exec, exec, s[8:9]
	v_or_b32_e32 v1, 0x180, v0
	v_cmp_gt_u32_e64 s[2:3], s22, v1
	s_and_saveexec_b64 s[10:11], s[2:3]
	;; [unrolled: 12-line block ×6, first 2 shown]
	s_cbranch_execz .LBB665_160
; %bb.159:
	global_load_ubyte v1, v0, s[16:17] offset:896
	global_load_ubyte v9, v0, s[18:19] offset:896
	s_waitcnt vmcnt(0)
	v_cmp_ne_u16_e64 s[16:17], v1, v9
	v_cndmask_b32_e64 v9, 0, 1, s[16:17]
.LBB665_160:
	s_or_b64 exec, exec, s[20:21]
	v_cndmask_b32_e32 v1, 0, v3, vcc
	v_add_u32_e32 v1, v1, v2
	v_cndmask_b32_e64 v2, 0, v4, s[0:1]
	v_cndmask_b32_e64 v3, 0, v5, s[2:3]
	v_add3_u32 v1, v1, v2, v3
	v_cndmask_b32_e64 v2, 0, v6, s[8:9]
	v_cndmask_b32_e64 v3, 0, v7, s[10:11]
	v_add3_u32 v1, v1, v2, v3
	;; [unrolled: 3-line block ×3, first 2 shown]
	v_mbcnt_lo_u32_b32 v2, -1, 0
	v_mbcnt_hi_u32_b32 v2, -1, v2
	v_and_b32_e32 v3, 63, v2
	v_cmp_ne_u32_e32 vcc, 63, v3
	v_addc_co_u32_e32 v4, vcc, 0, v2, vcc
	v_lshlrev_b32_e32 v4, 2, v4
	ds_bpermute_b32 v4, v4, v1
	s_min_u32 s2, s22, 0x80
	v_and_b32_e32 v5, 64, v0
	v_sub_u32_e64 v5, s2, v5 clamp
	v_add_u32_e32 v6, 1, v3
	v_cmp_lt_u32_e32 vcc, v6, v5
	s_waitcnt lgkmcnt(0)
	v_cndmask_b32_e32 v4, 0, v4, vcc
	v_cmp_gt_u32_e32 vcc, 62, v3
	v_add_u32_e32 v1, v1, v4
	v_cndmask_b32_e64 v4, 0, 1, vcc
	v_lshlrev_b32_e32 v4, 1, v4
	v_add_lshl_u32 v4, v4, v2, 2
	ds_bpermute_b32 v4, v4, v1
	v_add_u32_e32 v6, 2, v3
	v_cmp_lt_u32_e32 vcc, v6, v5
	v_add_u32_e32 v6, 4, v3
	s_waitcnt lgkmcnt(0)
	v_cndmask_b32_e32 v4, 0, v4, vcc
	v_cmp_gt_u32_e32 vcc, 60, v3
	v_add_u32_e32 v1, v1, v4
	v_cndmask_b32_e64 v4, 0, 1, vcc
	v_lshlrev_b32_e32 v4, 2, v4
	v_add_lshl_u32 v4, v4, v2, 2
	ds_bpermute_b32 v4, v4, v1
	v_cmp_lt_u32_e32 vcc, v6, v5
	v_add_u32_e32 v6, 8, v3
	s_waitcnt lgkmcnt(0)
	v_cndmask_b32_e32 v4, 0, v4, vcc
	v_cmp_gt_u32_e32 vcc, 56, v3
	v_add_u32_e32 v1, v1, v4
	v_cndmask_b32_e64 v4, 0, 1, vcc
	v_lshlrev_b32_e32 v4, 3, v4
	v_add_lshl_u32 v4, v4, v2, 2
	ds_bpermute_b32 v4, v4, v1
	;; [unrolled: 10-line block ×3, first 2 shown]
	v_cmp_lt_u32_e32 vcc, v6, v5
	s_waitcnt lgkmcnt(0)
	v_cndmask_b32_e32 v4, 0, v4, vcc
	v_cmp_gt_u32_e32 vcc, 32, v3
	v_add_u32_e32 v1, v1, v4
	v_cndmask_b32_e64 v4, 0, 1, vcc
	v_lshlrev_b32_e32 v4, 5, v4
	v_add_lshl_u32 v4, v4, v2, 2
	ds_bpermute_b32 v4, v4, v1
	v_add_u32_e32 v3, 32, v3
	v_cmp_lt_u32_e32 vcc, v3, v5
	s_waitcnt lgkmcnt(0)
	v_cndmask_b32_e32 v3, 0, v4, vcc
	v_add_u32_e32 v1, v1, v3
	v_cmp_eq_u32_e32 vcc, 0, v2
	s_and_saveexec_b64 s[0:1], vcc
	s_cbranch_execz .LBB665_162
; %bb.161:
	v_lshrrev_b32_e32 v3, 4, v0
	v_and_b32_e32 v3, 4, v3
	ds_write_b32 v3, v1 offset:48
.LBB665_162:
	s_or_b64 exec, exec, s[0:1]
	v_cmp_gt_u32_e32 vcc, 2, v0
	s_waitcnt lgkmcnt(0)
	s_barrier
	s_and_saveexec_b64 s[0:1], vcc
	s_cbranch_execz .LBB665_164
; %bb.163:
	v_lshlrev_b32_e32 v1, 2, v2
	ds_read_b32 v3, v1 offset:48
	v_or_b32_e32 v1, 4, v1
	s_add_i32 s2, s2, 63
	v_and_b32_e32 v2, 1, v2
	s_lshr_b32 s2, s2, 6
	s_waitcnt lgkmcnt(0)
	ds_bpermute_b32 v1, v1, v3
	v_add_u32_e32 v2, 1, v2
	v_cmp_gt_u32_e32 vcc, s2, v2
	s_waitcnt lgkmcnt(0)
	v_cndmask_b32_e32 v1, 0, v1, vcc
	v_add_u32_e32 v1, v1, v3
.LBB665_164:
	s_or_b64 exec, exec, s[0:1]
.LBB665_165:
	v_cmp_eq_u32_e64 s[0:1], 0, v0
	s_branch .LBB665_224
.LBB665_166:
	s_cmp_gt_i32 s33, 1
	s_cbranch_scc0 .LBB665_175
; %bb.167:
	s_cmp_gt_i32 s33, 3
	s_cbranch_scc0 .LBB665_176
; %bb.168:
	s_cmp_eq_u32 s33, 4
	s_cbranch_scc0 .LBB665_177
; %bb.169:
	s_lshl_b32 s2, s6, 9
	s_lshr_b64 s[0:1], s[36:37], 9
	s_add_u32 s8, s40, s2
	s_addc_u32 s9, s41, 0
	s_add_u32 s10, s42, s2
	s_mov_b32 s7, 0
	s_addc_u32 s11, s43, 0
	s_cmp_lg_u64 s[0:1], s[6:7]
	s_cbranch_scc0 .LBB665_179
; %bb.170:
	global_load_ubyte v1, v0, s[8:9]
	global_load_ubyte v4, v0, s[10:11]
	global_load_ubyte v5, v0, s[8:9] offset:256
	global_load_ubyte v6, v0, s[10:11] offset:256
	;; [unrolled: 1-line block ×6, first 2 shown]
	v_mbcnt_lo_u32_b32 v2, -1, 0
	v_mbcnt_hi_u32_b32 v2, -1, v2
	v_lshlrev_b32_e32 v3, 2, v2
	s_waitcnt vmcnt(6)
	v_cmp_ne_u16_e32 vcc, v1, v4
	v_cndmask_b32_e64 v1, 0, 1, vcc
	s_waitcnt vmcnt(4)
	v_cmp_ne_u16_e32 vcc, v5, v6
	v_cndmask_b32_e64 v4, 0, 1, vcc
	s_waitcnt vmcnt(2)
	v_cmp_ne_u16_e32 vcc, v7, v8
	v_addc_co_u32_e32 v1, vcc, 0, v1, vcc
	s_waitcnt vmcnt(0)
	v_cmp_ne_u16_e32 vcc, v10, v9
	v_addc_co_u32_e32 v1, vcc, v1, v4, vcc
	v_or_b32_e32 v4, 0xfc, v3
	s_nop 0
	v_add_u32_dpp v1, v1, v1 quad_perm:[1,0,3,2] row_mask:0xf bank_mask:0xf bound_ctrl:1
	v_cmp_eq_u32_e32 vcc, 0, v2
	s_nop 0
	v_add_u32_dpp v1, v1, v1 quad_perm:[2,3,0,1] row_mask:0xf bank_mask:0xf bound_ctrl:1
	s_nop 1
	v_add_u32_dpp v1, v1, v1 row_ror:4 row_mask:0xf bank_mask:0xf bound_ctrl:1
	s_nop 1
	v_add_u32_dpp v1, v1, v1 row_ror:8 row_mask:0xf bank_mask:0xf bound_ctrl:1
	s_nop 1
	v_add_u32_dpp v1, v1, v1 row_bcast:15 row_mask:0xf bank_mask:0xf bound_ctrl:1
	s_nop 1
	v_add_u32_dpp v1, v1, v1 row_bcast:31 row_mask:0xf bank_mask:0xf bound_ctrl:1
	ds_bpermute_b32 v1, v4, v1
	s_and_saveexec_b64 s[0:1], vcc
	s_cbranch_execz .LBB665_172
; %bb.171:
	v_lshrrev_b32_e32 v4, 4, v0
	v_and_b32_e32 v4, 4, v4
	s_waitcnt lgkmcnt(0)
	ds_write_b32 v4, v1 offset:32
.LBB665_172:
	s_or_b64 exec, exec, s[0:1]
	v_cmp_gt_u32_e32 vcc, 64, v0
	s_waitcnt lgkmcnt(0)
	s_barrier
	s_and_saveexec_b64 s[0:1], vcc
	s_cbranch_execz .LBB665_174
; %bb.173:
	v_and_b32_e32 v1, 1, v2
	v_lshlrev_b32_e32 v1, 2, v1
	ds_read_b32 v1, v1 offset:32
	v_or_b32_e32 v2, 4, v3
	s_waitcnt lgkmcnt(0)
	ds_bpermute_b32 v2, v2, v1
	s_waitcnt lgkmcnt(0)
	v_add_u32_e32 v1, v2, v1
.LBB665_174:
	s_or_b64 exec, exec, s[0:1]
	s_mov_b64 s[0:1], 0
	s_branch .LBB665_180
.LBB665_175:
                                        ; implicit-def: $vgpr1
	s_cbranch_execnz .LBB665_215
	s_branch .LBB665_224
.LBB665_176:
                                        ; implicit-def: $vgpr1
	s_cbranch_execz .LBB665_178
	s_branch .LBB665_195
.LBB665_177:
                                        ; implicit-def: $vgpr1
.LBB665_178:
	s_branch .LBB665_224
.LBB665_179:
	s_mov_b64 s[0:1], -1
                                        ; implicit-def: $vgpr1
.LBB665_180:
	s_and_b64 vcc, exec, s[0:1]
	s_cbranch_vccz .LBB665_194
; %bb.181:
	s_sub_i32 s14, s36, s2
	v_cmp_gt_u32_e32 vcc, s14, v0
                                        ; implicit-def: $vgpr2_vgpr3_vgpr4_vgpr5
	s_and_saveexec_b64 s[0:1], vcc
	s_cbranch_execz .LBB665_183
; %bb.182:
	global_load_ubyte v1, v0, s[8:9]
	global_load_ubyte v2, v0, s[10:11]
	s_waitcnt vmcnt(0)
	v_cmp_ne_u16_e32 vcc, v1, v2
	v_cndmask_b32_e64 v2, 0, 1, vcc
.LBB665_183:
	s_or_b64 exec, exec, s[0:1]
	v_or_b32_e32 v1, 0x80, v0
	v_cmp_gt_u32_e32 vcc, s14, v1
	s_and_saveexec_b64 s[2:3], vcc
	s_cbranch_execz .LBB665_185
; %bb.184:
	global_load_ubyte v1, v0, s[8:9] offset:128
	global_load_ubyte v3, v0, s[10:11] offset:128
	s_waitcnt vmcnt(0)
	v_cmp_ne_u16_e64 s[0:1], v1, v3
	v_cndmask_b32_e64 v3, 0, 1, s[0:1]
.LBB665_185:
	s_or_b64 exec, exec, s[2:3]
	v_or_b32_e32 v1, 0x100, v0
	v_cmp_gt_u32_e64 s[0:1], s14, v1
	s_and_saveexec_b64 s[12:13], s[0:1]
	s_cbranch_execz .LBB665_187
; %bb.186:
	global_load_ubyte v1, v0, s[8:9] offset:256
	global_load_ubyte v4, v0, s[10:11] offset:256
	s_waitcnt vmcnt(0)
	v_cmp_ne_u16_e64 s[2:3], v1, v4
	v_cndmask_b32_e64 v4, 0, 1, s[2:3]
.LBB665_187:
	s_or_b64 exec, exec, s[12:13]
	v_or_b32_e32 v1, 0x180, v0
	v_cmp_gt_u32_e64 s[2:3], s14, v1
	s_and_saveexec_b64 s[12:13], s[2:3]
	s_cbranch_execz .LBB665_189
; %bb.188:
	global_load_ubyte v1, v0, s[8:9] offset:384
	global_load_ubyte v5, v0, s[10:11] offset:384
	s_waitcnt vmcnt(0)
	v_cmp_ne_u16_e64 s[8:9], v1, v5
	v_cndmask_b32_e64 v5, 0, 1, s[8:9]
.LBB665_189:
	s_or_b64 exec, exec, s[12:13]
	v_cndmask_b32_e32 v1, 0, v3, vcc
	v_add_u32_e32 v1, v1, v2
	v_cndmask_b32_e64 v2, 0, v4, s[0:1]
	v_cndmask_b32_e64 v3, 0, v5, s[2:3]
	v_add3_u32 v1, v1, v2, v3
	v_mbcnt_lo_u32_b32 v2, -1, 0
	v_mbcnt_hi_u32_b32 v2, -1, v2
	v_and_b32_e32 v3, 63, v2
	v_cmp_ne_u32_e32 vcc, 63, v3
	v_addc_co_u32_e32 v4, vcc, 0, v2, vcc
	v_lshlrev_b32_e32 v4, 2, v4
	ds_bpermute_b32 v4, v4, v1
	s_min_u32 s2, s14, 0x80
	v_and_b32_e32 v5, 64, v0
	v_sub_u32_e64 v5, s2, v5 clamp
	v_add_u32_e32 v6, 1, v3
	v_cmp_lt_u32_e32 vcc, v6, v5
	s_waitcnt lgkmcnt(0)
	v_cndmask_b32_e32 v4, 0, v4, vcc
	v_cmp_gt_u32_e32 vcc, 62, v3
	v_add_u32_e32 v1, v4, v1
	v_cndmask_b32_e64 v4, 0, 1, vcc
	v_lshlrev_b32_e32 v4, 1, v4
	v_add_lshl_u32 v4, v4, v2, 2
	ds_bpermute_b32 v4, v4, v1
	v_add_u32_e32 v6, 2, v3
	v_cmp_lt_u32_e32 vcc, v6, v5
	v_add_u32_e32 v6, 4, v3
	s_waitcnt lgkmcnt(0)
	v_cndmask_b32_e32 v4, 0, v4, vcc
	v_cmp_gt_u32_e32 vcc, 60, v3
	v_add_u32_e32 v1, v1, v4
	v_cndmask_b32_e64 v4, 0, 1, vcc
	v_lshlrev_b32_e32 v4, 2, v4
	v_add_lshl_u32 v4, v4, v2, 2
	ds_bpermute_b32 v4, v4, v1
	v_cmp_lt_u32_e32 vcc, v6, v5
	v_add_u32_e32 v6, 8, v3
	s_waitcnt lgkmcnt(0)
	v_cndmask_b32_e32 v4, 0, v4, vcc
	v_cmp_gt_u32_e32 vcc, 56, v3
	v_add_u32_e32 v1, v1, v4
	v_cndmask_b32_e64 v4, 0, 1, vcc
	v_lshlrev_b32_e32 v4, 3, v4
	v_add_lshl_u32 v4, v4, v2, 2
	ds_bpermute_b32 v4, v4, v1
	v_cmp_lt_u32_e32 vcc, v6, v5
	v_add_u32_e32 v6, 16, v3
	s_waitcnt lgkmcnt(0)
	v_cndmask_b32_e32 v4, 0, v4, vcc
	v_cmp_gt_u32_e32 vcc, 48, v3
	v_add_u32_e32 v1, v1, v4
	v_cndmask_b32_e64 v4, 0, 1, vcc
	v_lshlrev_b32_e32 v4, 4, v4
	v_add_lshl_u32 v4, v4, v2, 2
	ds_bpermute_b32 v4, v4, v1
	v_cmp_lt_u32_e32 vcc, v6, v5
	s_waitcnt lgkmcnt(0)
	v_cndmask_b32_e32 v4, 0, v4, vcc
	v_cmp_gt_u32_e32 vcc, 32, v3
	v_add_u32_e32 v1, v1, v4
	v_cndmask_b32_e64 v4, 0, 1, vcc
	v_lshlrev_b32_e32 v4, 5, v4
	v_add_lshl_u32 v4, v4, v2, 2
	ds_bpermute_b32 v4, v4, v1
	v_add_u32_e32 v3, 32, v3
	v_cmp_lt_u32_e32 vcc, v3, v5
	s_waitcnt lgkmcnt(0)
	v_cndmask_b32_e32 v3, 0, v4, vcc
	v_add_u32_e32 v1, v1, v3
	v_cmp_eq_u32_e32 vcc, 0, v2
	s_and_saveexec_b64 s[0:1], vcc
	s_cbranch_execz .LBB665_191
; %bb.190:
	v_lshrrev_b32_e32 v3, 4, v0
	v_and_b32_e32 v3, 4, v3
	ds_write_b32 v3, v1 offset:48
.LBB665_191:
	s_or_b64 exec, exec, s[0:1]
	v_cmp_gt_u32_e32 vcc, 2, v0
	s_waitcnt lgkmcnt(0)
	s_barrier
	s_and_saveexec_b64 s[0:1], vcc
	s_cbranch_execz .LBB665_193
; %bb.192:
	v_lshlrev_b32_e32 v1, 2, v2
	ds_read_b32 v3, v1 offset:48
	v_or_b32_e32 v1, 4, v1
	s_add_i32 s2, s2, 63
	v_and_b32_e32 v2, 1, v2
	s_lshr_b32 s2, s2, 6
	s_waitcnt lgkmcnt(0)
	ds_bpermute_b32 v1, v1, v3
	v_add_u32_e32 v2, 1, v2
	v_cmp_gt_u32_e32 vcc, s2, v2
	s_waitcnt lgkmcnt(0)
	v_cndmask_b32_e32 v1, 0, v1, vcc
	v_add_u32_e32 v1, v1, v3
.LBB665_193:
	s_or_b64 exec, exec, s[0:1]
.LBB665_194:
	v_cmp_eq_u32_e64 s[0:1], 0, v0
	s_branch .LBB665_178
.LBB665_195:
	s_cmp_eq_u32 s33, 2
	s_cbranch_scc0 .LBB665_202
; %bb.196:
	s_lshl_b32 s10, s6, 8
	s_lshr_b64 s[0:1], s[36:37], 8
	s_add_u32 s2, s40, s10
	s_addc_u32 s3, s41, 0
	s_add_u32 s8, s42, s10
	s_mov_b32 s7, 0
	s_addc_u32 s9, s43, 0
	s_cmp_lg_u64 s[0:1], s[6:7]
	s_cbranch_scc0 .LBB665_203
; %bb.197:
	global_load_ubyte v1, v0, s[2:3]
	global_load_ubyte v4, v0, s[8:9]
	global_load_ubyte v5, v0, s[8:9] offset:128
	global_load_ubyte v6, v0, s[2:3] offset:128
	v_mbcnt_lo_u32_b32 v2, -1, 0
	v_mbcnt_hi_u32_b32 v2, -1, v2
	v_lshlrev_b32_e32 v3, 2, v2
	s_waitcnt vmcnt(2)
	v_cmp_ne_u16_e32 vcc, v1, v4
	v_cndmask_b32_e64 v1, 0, 1, vcc
	s_waitcnt vmcnt(0)
	v_cmp_ne_u16_e32 vcc, v6, v5
	v_addc_co_u32_e64 v4, s[0:1], 0, v1, vcc
	s_nop 1
	v_mov_b32_dpp v4, v4 quad_perm:[1,0,3,2] row_mask:0xf bank_mask:0xf bound_ctrl:1
	v_addc_co_u32_e32 v1, vcc, v4, v1, vcc
	v_or_b32_e32 v4, 0xfc, v3
	s_nop 0
	v_add_u32_dpp v1, v1, v1 quad_perm:[2,3,0,1] row_mask:0xf bank_mask:0xf bound_ctrl:1
	v_cmp_eq_u32_e32 vcc, 0, v2
	s_nop 0
	v_add_u32_dpp v1, v1, v1 row_ror:4 row_mask:0xf bank_mask:0xf bound_ctrl:1
	s_nop 1
	v_add_u32_dpp v1, v1, v1 row_ror:8 row_mask:0xf bank_mask:0xf bound_ctrl:1
	s_nop 1
	v_add_u32_dpp v1, v1, v1 row_bcast:15 row_mask:0xf bank_mask:0xf bound_ctrl:1
	s_nop 1
	v_add_u32_dpp v1, v1, v1 row_bcast:31 row_mask:0xf bank_mask:0xf bound_ctrl:1
	ds_bpermute_b32 v1, v4, v1
	s_and_saveexec_b64 s[0:1], vcc
	s_cbranch_execz .LBB665_199
; %bb.198:
	v_lshrrev_b32_e32 v4, 4, v0
	v_and_b32_e32 v4, 4, v4
	s_waitcnt lgkmcnt(0)
	ds_write_b32 v4, v1 offset:16
.LBB665_199:
	s_or_b64 exec, exec, s[0:1]
	v_cmp_gt_u32_e32 vcc, 64, v0
	s_waitcnt lgkmcnt(0)
	s_barrier
	s_and_saveexec_b64 s[0:1], vcc
	s_cbranch_execz .LBB665_201
; %bb.200:
	v_and_b32_e32 v1, 1, v2
	v_lshlrev_b32_e32 v1, 2, v1
	ds_read_b32 v1, v1 offset:16
	v_or_b32_e32 v2, 4, v3
	s_waitcnt lgkmcnt(0)
	ds_bpermute_b32 v2, v2, v1
	s_waitcnt lgkmcnt(0)
	v_add_u32_e32 v1, v2, v1
.LBB665_201:
	s_or_b64 exec, exec, s[0:1]
	s_mov_b64 s[0:1], 0
	s_branch .LBB665_204
.LBB665_202:
                                        ; implicit-def: $vgpr1
	s_branch .LBB665_224
.LBB665_203:
	s_mov_b64 s[0:1], -1
                                        ; implicit-def: $vgpr1
.LBB665_204:
	s_and_b64 vcc, exec, s[0:1]
	s_cbranch_vccz .LBB665_214
; %bb.205:
	s_sub_i32 s12, s36, s10
	v_cmp_gt_u32_e32 vcc, s12, v0
                                        ; implicit-def: $vgpr2_vgpr3
	s_and_saveexec_b64 s[0:1], vcc
	s_cbranch_execz .LBB665_207
; %bb.206:
	global_load_ubyte v1, v0, s[2:3]
	global_load_ubyte v2, v0, s[8:9]
	s_waitcnt vmcnt(0)
	v_cmp_ne_u16_e32 vcc, v1, v2
	v_cndmask_b32_e64 v2, 0, 1, vcc
.LBB665_207:
	s_or_b64 exec, exec, s[0:1]
	v_or_b32_e32 v1, 0x80, v0
	v_cmp_gt_u32_e32 vcc, s12, v1
	s_and_saveexec_b64 s[10:11], vcc
	s_cbranch_execz .LBB665_209
; %bb.208:
	global_load_ubyte v1, v0, s[2:3] offset:128
	global_load_ubyte v3, v0, s[8:9] offset:128
	s_waitcnt vmcnt(0)
	v_cmp_ne_u16_e64 s[0:1], v1, v3
	v_cndmask_b32_e64 v3, 0, 1, s[0:1]
.LBB665_209:
	s_or_b64 exec, exec, s[10:11]
	v_cndmask_b32_e32 v1, 0, v3, vcc
	v_add_u32_e32 v1, v1, v2
	v_mbcnt_lo_u32_b32 v2, -1, 0
	v_mbcnt_hi_u32_b32 v2, -1, v2
	v_and_b32_e32 v3, 63, v2
	v_cmp_ne_u32_e32 vcc, 63, v3
	v_addc_co_u32_e32 v4, vcc, 0, v2, vcc
	v_lshlrev_b32_e32 v4, 2, v4
	ds_bpermute_b32 v4, v4, v1
	s_min_u32 s2, s12, 0x80
	v_and_b32_e32 v5, 64, v0
	v_sub_u32_e64 v5, s2, v5 clamp
	v_add_u32_e32 v6, 1, v3
	v_cmp_lt_u32_e32 vcc, v6, v5
	s_waitcnt lgkmcnt(0)
	v_cndmask_b32_e32 v4, 0, v4, vcc
	v_cmp_gt_u32_e32 vcc, 62, v3
	v_add_u32_e32 v1, v4, v1
	v_cndmask_b32_e64 v4, 0, 1, vcc
	v_lshlrev_b32_e32 v4, 1, v4
	v_add_lshl_u32 v4, v4, v2, 2
	ds_bpermute_b32 v4, v4, v1
	v_add_u32_e32 v6, 2, v3
	v_cmp_lt_u32_e32 vcc, v6, v5
	v_add_u32_e32 v6, 4, v3
	s_waitcnt lgkmcnt(0)
	v_cndmask_b32_e32 v4, 0, v4, vcc
	v_cmp_gt_u32_e32 vcc, 60, v3
	v_add_u32_e32 v1, v1, v4
	v_cndmask_b32_e64 v4, 0, 1, vcc
	v_lshlrev_b32_e32 v4, 2, v4
	v_add_lshl_u32 v4, v4, v2, 2
	ds_bpermute_b32 v4, v4, v1
	v_cmp_lt_u32_e32 vcc, v6, v5
	v_add_u32_e32 v6, 8, v3
	s_waitcnt lgkmcnt(0)
	v_cndmask_b32_e32 v4, 0, v4, vcc
	v_cmp_gt_u32_e32 vcc, 56, v3
	v_add_u32_e32 v1, v1, v4
	v_cndmask_b32_e64 v4, 0, 1, vcc
	v_lshlrev_b32_e32 v4, 3, v4
	v_add_lshl_u32 v4, v4, v2, 2
	ds_bpermute_b32 v4, v4, v1
	;; [unrolled: 10-line block ×3, first 2 shown]
	v_cmp_lt_u32_e32 vcc, v6, v5
	s_waitcnt lgkmcnt(0)
	v_cndmask_b32_e32 v4, 0, v4, vcc
	v_cmp_gt_u32_e32 vcc, 32, v3
	v_add_u32_e32 v1, v1, v4
	v_cndmask_b32_e64 v4, 0, 1, vcc
	v_lshlrev_b32_e32 v4, 5, v4
	v_add_lshl_u32 v4, v4, v2, 2
	ds_bpermute_b32 v4, v4, v1
	v_add_u32_e32 v3, 32, v3
	v_cmp_lt_u32_e32 vcc, v3, v5
	s_waitcnt lgkmcnt(0)
	v_cndmask_b32_e32 v3, 0, v4, vcc
	v_add_u32_e32 v1, v1, v3
	v_cmp_eq_u32_e32 vcc, 0, v2
	s_and_saveexec_b64 s[0:1], vcc
	s_cbranch_execz .LBB665_211
; %bb.210:
	v_lshrrev_b32_e32 v3, 4, v0
	v_and_b32_e32 v3, 4, v3
	ds_write_b32 v3, v1 offset:48
.LBB665_211:
	s_or_b64 exec, exec, s[0:1]
	v_cmp_gt_u32_e32 vcc, 2, v0
	s_waitcnt lgkmcnt(0)
	s_barrier
	s_and_saveexec_b64 s[0:1], vcc
	s_cbranch_execz .LBB665_213
; %bb.212:
	v_lshlrev_b32_e32 v1, 2, v2
	ds_read_b32 v3, v1 offset:48
	v_or_b32_e32 v1, 4, v1
	s_add_i32 s2, s2, 63
	v_and_b32_e32 v2, 1, v2
	s_lshr_b32 s2, s2, 6
	s_waitcnt lgkmcnt(0)
	ds_bpermute_b32 v1, v1, v3
	v_add_u32_e32 v2, 1, v2
	v_cmp_gt_u32_e32 vcc, s2, v2
	s_waitcnt lgkmcnt(0)
	v_cndmask_b32_e32 v1, 0, v1, vcc
	v_add_u32_e32 v1, v1, v3
.LBB665_213:
	s_or_b64 exec, exec, s[0:1]
.LBB665_214:
	v_cmp_eq_u32_e64 s[0:1], 0, v0
	s_branch .LBB665_224
.LBB665_215:
	s_cmp_eq_u32 s33, 1
	s_cbranch_scc0 .LBB665_223
; %bb.216:
	s_lshl_b32 s2, s6, 7
	s_mov_b32 s7, 0
	s_lshr_b64 s[0:1], s[36:37], 7
	s_cmp_lg_u64 s[0:1], s[6:7]
	v_mbcnt_lo_u32_b32 v2, -1, 0
	s_cbranch_scc0 .LBB665_227
; %bb.217:
	s_add_u32 s0, s40, s2
	s_addc_u32 s1, s41, 0
	s_add_u32 s8, s42, s2
	s_addc_u32 s9, s43, 0
	global_load_ubyte v1, v0, s[0:1]
	global_load_ubyte v5, v0, s[8:9]
	v_mbcnt_hi_u32_b32 v3, -1, v2
	v_lshlrev_b32_e32 v4, 2, v3
	s_waitcnt vmcnt(0)
	v_cmp_ne_u16_e32 vcc, v1, v5
	v_cndmask_b32_e64 v1, 0, 1, vcc
	s_nop 1
	v_mov_b32_dpp v1, v1 quad_perm:[1,0,3,2] row_mask:0xf bank_mask:0xf bound_ctrl:1
	v_addc_co_u32_e64 v5, s[0:1], 0, v1, vcc
	s_nop 1
	v_mov_b32_dpp v5, v5 quad_perm:[2,3,0,1] row_mask:0xf bank_mask:0xf bound_ctrl:1
	v_addc_co_u32_e32 v1, vcc, v5, v1, vcc
	v_or_b32_e32 v5, 0xfc, v4
	s_nop 0
	v_add_u32_dpp v1, v1, v1 row_ror:4 row_mask:0xf bank_mask:0xf bound_ctrl:1
	v_cmp_eq_u32_e32 vcc, 0, v3
	s_nop 0
	v_add_u32_dpp v1, v1, v1 row_ror:8 row_mask:0xf bank_mask:0xf bound_ctrl:1
	s_nop 1
	v_add_u32_dpp v1, v1, v1 row_bcast:15 row_mask:0xf bank_mask:0xf bound_ctrl:1
	s_nop 1
	v_add_u32_dpp v1, v1, v1 row_bcast:31 row_mask:0xf bank_mask:0xf bound_ctrl:1
	ds_bpermute_b32 v1, v5, v1
	s_and_saveexec_b64 s[0:1], vcc
	s_cbranch_execz .LBB665_219
; %bb.218:
	v_lshrrev_b32_e32 v5, 4, v0
	v_and_b32_e32 v5, 4, v5
	s_waitcnt lgkmcnt(0)
	ds_write_b32 v5, v1 offset:8
.LBB665_219:
	s_or_b64 exec, exec, s[0:1]
	v_cmp_gt_u32_e32 vcc, 64, v0
	s_waitcnt lgkmcnt(0)
	s_barrier
	s_and_saveexec_b64 s[0:1], vcc
	s_cbranch_execz .LBB665_221
; %bb.220:
	v_and_b32_e32 v1, 1, v3
	v_lshlrev_b32_e32 v1, 2, v1
	ds_read_b32 v1, v1 offset:8
	v_or_b32_e32 v3, 4, v4
	s_waitcnt lgkmcnt(0)
	ds_bpermute_b32 v3, v3, v1
	s_waitcnt lgkmcnt(0)
	v_add_u32_e32 v1, v3, v1
.LBB665_221:
	s_or_b64 exec, exec, s[0:1]
.LBB665_222:
	v_cmp_eq_u32_e64 s[0:1], 0, v0
	s_and_saveexec_b64 s[2:3], s[0:1]
	s_cbranch_execnz .LBB665_225
	s_branch .LBB665_226
.LBB665_223:
                                        ; implicit-def: $vgpr1
                                        ; implicit-def: $sgpr6_sgpr7
.LBB665_224:
	s_and_saveexec_b64 s[2:3], s[0:1]
	s_cbranch_execz .LBB665_226
.LBB665_225:
	s_lshl_b64 s[0:1], s[6:7], 2
	s_load_dword s2, s[4:5], 0x30
	s_add_u32 s0, s38, s0
	s_addc_u32 s1, s39, s1
	s_cmp_lg_u64 s[36:37], 0
	s_cselect_b64 vcc, -1, 0
	v_cndmask_b32_e32 v1, 0, v1, vcc
	v_mov_b32_e32 v0, 0
	s_waitcnt lgkmcnt(0)
	v_add_u32_e32 v1, s2, v1
	global_store_dword v0, v1, s[0:1]
.LBB665_226:
	s_endpgm
.LBB665_227:
                                        ; implicit-def: $vgpr1
	s_cbranch_execz .LBB665_222
; %bb.228:
	s_sub_i32 s3, s36, s2
	v_cmp_gt_u32_e32 vcc, s3, v0
                                        ; implicit-def: $vgpr1
	s_and_saveexec_b64 s[0:1], vcc
	s_cbranch_execz .LBB665_230
; %bb.229:
	s_add_u32 s8, s40, s2
	s_addc_u32 s9, s41, 0
	s_add_u32 s10, s42, s2
	s_addc_u32 s11, s43, 0
	global_load_ubyte v1, v0, s[8:9]
	global_load_ubyte v3, v0, s[10:11]
	s_waitcnt vmcnt(0)
	v_cmp_ne_u16_e32 vcc, v1, v3
	v_cndmask_b32_e64 v1, 0, 1, vcc
.LBB665_230:
	s_or_b64 exec, exec, s[0:1]
	v_mbcnt_hi_u32_b32 v2, -1, v2
	v_and_b32_e32 v3, 63, v2
	v_cmp_ne_u32_e32 vcc, 63, v3
	v_addc_co_u32_e32 v4, vcc, 0, v2, vcc
	v_lshlrev_b32_e32 v4, 2, v4
	ds_bpermute_b32 v4, v4, v1
	s_min_u32 s2, s3, 0x80
	v_and_b32_e32 v5, 64, v0
	v_sub_u32_e64 v5, s2, v5 clamp
	v_add_u32_e32 v6, 1, v3
	v_cmp_lt_u32_e32 vcc, v6, v5
	s_waitcnt lgkmcnt(0)
	v_cndmask_b32_e32 v4, 0, v4, vcc
	v_cmp_gt_u32_e32 vcc, 62, v3
	v_add_u32_e32 v1, v4, v1
	v_cndmask_b32_e64 v4, 0, 1, vcc
	v_lshlrev_b32_e32 v4, 1, v4
	v_add_lshl_u32 v4, v4, v2, 2
	ds_bpermute_b32 v4, v4, v1
	v_add_u32_e32 v6, 2, v3
	v_cmp_lt_u32_e32 vcc, v6, v5
	v_add_u32_e32 v6, 4, v3
	s_waitcnt lgkmcnt(0)
	v_cndmask_b32_e32 v4, 0, v4, vcc
	v_cmp_gt_u32_e32 vcc, 60, v3
	v_add_u32_e32 v1, v1, v4
	v_cndmask_b32_e64 v4, 0, 1, vcc
	v_lshlrev_b32_e32 v4, 2, v4
	v_add_lshl_u32 v4, v4, v2, 2
	ds_bpermute_b32 v4, v4, v1
	v_cmp_lt_u32_e32 vcc, v6, v5
	v_add_u32_e32 v6, 8, v3
	s_waitcnt lgkmcnt(0)
	v_cndmask_b32_e32 v4, 0, v4, vcc
	v_cmp_gt_u32_e32 vcc, 56, v3
	v_add_u32_e32 v1, v1, v4
	v_cndmask_b32_e64 v4, 0, 1, vcc
	v_lshlrev_b32_e32 v4, 3, v4
	v_add_lshl_u32 v4, v4, v2, 2
	ds_bpermute_b32 v4, v4, v1
	;; [unrolled: 10-line block ×3, first 2 shown]
	v_cmp_lt_u32_e32 vcc, v6, v5
	s_waitcnt lgkmcnt(0)
	v_cndmask_b32_e32 v4, 0, v4, vcc
	v_cmp_gt_u32_e32 vcc, 32, v3
	v_add_u32_e32 v1, v1, v4
	v_cndmask_b32_e64 v4, 0, 1, vcc
	v_lshlrev_b32_e32 v4, 5, v4
	v_add_lshl_u32 v4, v4, v2, 2
	ds_bpermute_b32 v4, v4, v1
	v_add_u32_e32 v3, 32, v3
	v_cmp_lt_u32_e32 vcc, v3, v5
	s_waitcnt lgkmcnt(0)
	v_cndmask_b32_e32 v3, 0, v4, vcc
	v_add_u32_e32 v1, v1, v3
	v_cmp_eq_u32_e32 vcc, 0, v2
	s_and_saveexec_b64 s[0:1], vcc
	s_cbranch_execz .LBB665_232
; %bb.231:
	v_lshrrev_b32_e32 v3, 4, v0
	v_and_b32_e32 v3, 4, v3
	ds_write_b32 v3, v1 offset:48
.LBB665_232:
	s_or_b64 exec, exec, s[0:1]
	v_cmp_gt_u32_e32 vcc, 2, v0
	s_waitcnt lgkmcnt(0)
	s_barrier
	s_and_saveexec_b64 s[0:1], vcc
	s_cbranch_execz .LBB665_234
; %bb.233:
	v_lshlrev_b32_e32 v1, 2, v2
	ds_read_b32 v3, v1 offset:48
	v_or_b32_e32 v1, 4, v1
	s_add_i32 s2, s2, 63
	v_and_b32_e32 v2, 1, v2
	s_lshr_b32 s2, s2, 6
	s_waitcnt lgkmcnt(0)
	ds_bpermute_b32 v1, v1, v3
	v_add_u32_e32 v2, 1, v2
	v_cmp_gt_u32_e32 vcc, s2, v2
	s_waitcnt lgkmcnt(0)
	v_cndmask_b32_e32 v1, 0, v1, vcc
	v_add_u32_e32 v1, v1, v3
.LBB665_234:
	s_or_b64 exec, exec, s[0:1]
	v_cmp_eq_u32_e64 s[0:1], 0, v0
	s_and_saveexec_b64 s[2:3], s[0:1]
	s_cbranch_execnz .LBB665_225
	s_branch .LBB665_226
	.section	.rodata,"a",@progbits
	.p2align	6, 0x0
	.amdhsa_kernel _ZN7rocprim17ROCPRIM_400000_NS6detail17trampoline_kernelINS0_14default_configENS1_22reduce_config_selectorIiEEZNS1_11reduce_implILb1ES3_N6thrust23THRUST_200600_302600_NS11hip_rocprim35transform_pair_of_input_iterators_tIiPaSB_NS8_12not_equal_toIaEEEEPiiNS8_4plusIiEEEE10hipError_tPvRmT1_T2_T3_mT4_P12ihipStream_tbEUlT_E1_NS1_11comp_targetILNS1_3genE4ELNS1_11target_archE910ELNS1_3gpuE8ELNS1_3repE0EEENS1_30default_config_static_selectorELNS0_4arch9wavefront6targetE1EEEvSL_
		.amdhsa_group_segment_fixed_size 56
		.amdhsa_private_segment_fixed_size 0
		.amdhsa_kernarg_size 56
		.amdhsa_user_sgpr_count 6
		.amdhsa_user_sgpr_private_segment_buffer 1
		.amdhsa_user_sgpr_dispatch_ptr 0
		.amdhsa_user_sgpr_queue_ptr 0
		.amdhsa_user_sgpr_kernarg_segment_ptr 1
		.amdhsa_user_sgpr_dispatch_id 0
		.amdhsa_user_sgpr_flat_scratch_init 0
		.amdhsa_user_sgpr_kernarg_preload_length 0
		.amdhsa_user_sgpr_kernarg_preload_offset 0
		.amdhsa_user_sgpr_private_segment_size 0
		.amdhsa_uses_dynamic_stack 0
		.amdhsa_system_sgpr_private_segment_wavefront_offset 0
		.amdhsa_system_sgpr_workgroup_id_x 1
		.amdhsa_system_sgpr_workgroup_id_y 0
		.amdhsa_system_sgpr_workgroup_id_z 0
		.amdhsa_system_sgpr_workgroup_info 0
		.amdhsa_system_vgpr_workitem_id 0
		.amdhsa_next_free_vgpr 60
		.amdhsa_next_free_sgpr 49
		.amdhsa_accum_offset 60
		.amdhsa_reserve_vcc 1
		.amdhsa_reserve_flat_scratch 0
		.amdhsa_float_round_mode_32 0
		.amdhsa_float_round_mode_16_64 0
		.amdhsa_float_denorm_mode_32 3
		.amdhsa_float_denorm_mode_16_64 3
		.amdhsa_dx10_clamp 1
		.amdhsa_ieee_mode 1
		.amdhsa_fp16_overflow 0
		.amdhsa_tg_split 0
		.amdhsa_exception_fp_ieee_invalid_op 0
		.amdhsa_exception_fp_denorm_src 0
		.amdhsa_exception_fp_ieee_div_zero 0
		.amdhsa_exception_fp_ieee_overflow 0
		.amdhsa_exception_fp_ieee_underflow 0
		.amdhsa_exception_fp_ieee_inexact 0
		.amdhsa_exception_int_div_zero 0
	.end_amdhsa_kernel
	.section	.text._ZN7rocprim17ROCPRIM_400000_NS6detail17trampoline_kernelINS0_14default_configENS1_22reduce_config_selectorIiEEZNS1_11reduce_implILb1ES3_N6thrust23THRUST_200600_302600_NS11hip_rocprim35transform_pair_of_input_iterators_tIiPaSB_NS8_12not_equal_toIaEEEEPiiNS8_4plusIiEEEE10hipError_tPvRmT1_T2_T3_mT4_P12ihipStream_tbEUlT_E1_NS1_11comp_targetILNS1_3genE4ELNS1_11target_archE910ELNS1_3gpuE8ELNS1_3repE0EEENS1_30default_config_static_selectorELNS0_4arch9wavefront6targetE1EEEvSL_,"axG",@progbits,_ZN7rocprim17ROCPRIM_400000_NS6detail17trampoline_kernelINS0_14default_configENS1_22reduce_config_selectorIiEEZNS1_11reduce_implILb1ES3_N6thrust23THRUST_200600_302600_NS11hip_rocprim35transform_pair_of_input_iterators_tIiPaSB_NS8_12not_equal_toIaEEEEPiiNS8_4plusIiEEEE10hipError_tPvRmT1_T2_T3_mT4_P12ihipStream_tbEUlT_E1_NS1_11comp_targetILNS1_3genE4ELNS1_11target_archE910ELNS1_3gpuE8ELNS1_3repE0EEENS1_30default_config_static_selectorELNS0_4arch9wavefront6targetE1EEEvSL_,comdat
.Lfunc_end665:
	.size	_ZN7rocprim17ROCPRIM_400000_NS6detail17trampoline_kernelINS0_14default_configENS1_22reduce_config_selectorIiEEZNS1_11reduce_implILb1ES3_N6thrust23THRUST_200600_302600_NS11hip_rocprim35transform_pair_of_input_iterators_tIiPaSB_NS8_12not_equal_toIaEEEEPiiNS8_4plusIiEEEE10hipError_tPvRmT1_T2_T3_mT4_P12ihipStream_tbEUlT_E1_NS1_11comp_targetILNS1_3genE4ELNS1_11target_archE910ELNS1_3gpuE8ELNS1_3repE0EEENS1_30default_config_static_selectorELNS0_4arch9wavefront6targetE1EEEvSL_, .Lfunc_end665-_ZN7rocprim17ROCPRIM_400000_NS6detail17trampoline_kernelINS0_14default_configENS1_22reduce_config_selectorIiEEZNS1_11reduce_implILb1ES3_N6thrust23THRUST_200600_302600_NS11hip_rocprim35transform_pair_of_input_iterators_tIiPaSB_NS8_12not_equal_toIaEEEEPiiNS8_4plusIiEEEE10hipError_tPvRmT1_T2_T3_mT4_P12ihipStream_tbEUlT_E1_NS1_11comp_targetILNS1_3genE4ELNS1_11target_archE910ELNS1_3gpuE8ELNS1_3repE0EEENS1_30default_config_static_selectorELNS0_4arch9wavefront6targetE1EEEvSL_
                                        ; -- End function
	.section	.AMDGPU.csdata,"",@progbits
; Kernel info:
; codeLenInByte = 10820
; NumSgprs: 53
; NumVgprs: 60
; NumAgprs: 0
; TotalNumVgprs: 60
; ScratchSize: 0
; MemoryBound: 0
; FloatMode: 240
; IeeeMode: 1
; LDSByteSize: 56 bytes/workgroup (compile time only)
; SGPRBlocks: 6
; VGPRBlocks: 7
; NumSGPRsForWavesPerEU: 53
; NumVGPRsForWavesPerEU: 60
; AccumOffset: 60
; Occupancy: 8
; WaveLimiterHint : 0
; COMPUTE_PGM_RSRC2:SCRATCH_EN: 0
; COMPUTE_PGM_RSRC2:USER_SGPR: 6
; COMPUTE_PGM_RSRC2:TRAP_HANDLER: 0
; COMPUTE_PGM_RSRC2:TGID_X_EN: 1
; COMPUTE_PGM_RSRC2:TGID_Y_EN: 0
; COMPUTE_PGM_RSRC2:TGID_Z_EN: 0
; COMPUTE_PGM_RSRC2:TIDIG_COMP_CNT: 0
; COMPUTE_PGM_RSRC3_GFX90A:ACCUM_OFFSET: 14
; COMPUTE_PGM_RSRC3_GFX90A:TG_SPLIT: 0
	.section	.text._ZN7rocprim17ROCPRIM_400000_NS6detail17trampoline_kernelINS0_14default_configENS1_22reduce_config_selectorIiEEZNS1_11reduce_implILb1ES3_N6thrust23THRUST_200600_302600_NS11hip_rocprim35transform_pair_of_input_iterators_tIiPaSB_NS8_12not_equal_toIaEEEEPiiNS8_4plusIiEEEE10hipError_tPvRmT1_T2_T3_mT4_P12ihipStream_tbEUlT_E1_NS1_11comp_targetILNS1_3genE3ELNS1_11target_archE908ELNS1_3gpuE7ELNS1_3repE0EEENS1_30default_config_static_selectorELNS0_4arch9wavefront6targetE1EEEvSL_,"axG",@progbits,_ZN7rocprim17ROCPRIM_400000_NS6detail17trampoline_kernelINS0_14default_configENS1_22reduce_config_selectorIiEEZNS1_11reduce_implILb1ES3_N6thrust23THRUST_200600_302600_NS11hip_rocprim35transform_pair_of_input_iterators_tIiPaSB_NS8_12not_equal_toIaEEEEPiiNS8_4plusIiEEEE10hipError_tPvRmT1_T2_T3_mT4_P12ihipStream_tbEUlT_E1_NS1_11comp_targetILNS1_3genE3ELNS1_11target_archE908ELNS1_3gpuE7ELNS1_3repE0EEENS1_30default_config_static_selectorELNS0_4arch9wavefront6targetE1EEEvSL_,comdat
	.protected	_ZN7rocprim17ROCPRIM_400000_NS6detail17trampoline_kernelINS0_14default_configENS1_22reduce_config_selectorIiEEZNS1_11reduce_implILb1ES3_N6thrust23THRUST_200600_302600_NS11hip_rocprim35transform_pair_of_input_iterators_tIiPaSB_NS8_12not_equal_toIaEEEEPiiNS8_4plusIiEEEE10hipError_tPvRmT1_T2_T3_mT4_P12ihipStream_tbEUlT_E1_NS1_11comp_targetILNS1_3genE3ELNS1_11target_archE908ELNS1_3gpuE7ELNS1_3repE0EEENS1_30default_config_static_selectorELNS0_4arch9wavefront6targetE1EEEvSL_ ; -- Begin function _ZN7rocprim17ROCPRIM_400000_NS6detail17trampoline_kernelINS0_14default_configENS1_22reduce_config_selectorIiEEZNS1_11reduce_implILb1ES3_N6thrust23THRUST_200600_302600_NS11hip_rocprim35transform_pair_of_input_iterators_tIiPaSB_NS8_12not_equal_toIaEEEEPiiNS8_4plusIiEEEE10hipError_tPvRmT1_T2_T3_mT4_P12ihipStream_tbEUlT_E1_NS1_11comp_targetILNS1_3genE3ELNS1_11target_archE908ELNS1_3gpuE7ELNS1_3repE0EEENS1_30default_config_static_selectorELNS0_4arch9wavefront6targetE1EEEvSL_
	.globl	_ZN7rocprim17ROCPRIM_400000_NS6detail17trampoline_kernelINS0_14default_configENS1_22reduce_config_selectorIiEEZNS1_11reduce_implILb1ES3_N6thrust23THRUST_200600_302600_NS11hip_rocprim35transform_pair_of_input_iterators_tIiPaSB_NS8_12not_equal_toIaEEEEPiiNS8_4plusIiEEEE10hipError_tPvRmT1_T2_T3_mT4_P12ihipStream_tbEUlT_E1_NS1_11comp_targetILNS1_3genE3ELNS1_11target_archE908ELNS1_3gpuE7ELNS1_3repE0EEENS1_30default_config_static_selectorELNS0_4arch9wavefront6targetE1EEEvSL_
	.p2align	8
	.type	_ZN7rocprim17ROCPRIM_400000_NS6detail17trampoline_kernelINS0_14default_configENS1_22reduce_config_selectorIiEEZNS1_11reduce_implILb1ES3_N6thrust23THRUST_200600_302600_NS11hip_rocprim35transform_pair_of_input_iterators_tIiPaSB_NS8_12not_equal_toIaEEEEPiiNS8_4plusIiEEEE10hipError_tPvRmT1_T2_T3_mT4_P12ihipStream_tbEUlT_E1_NS1_11comp_targetILNS1_3genE3ELNS1_11target_archE908ELNS1_3gpuE7ELNS1_3repE0EEENS1_30default_config_static_selectorELNS0_4arch9wavefront6targetE1EEEvSL_,@function
_ZN7rocprim17ROCPRIM_400000_NS6detail17trampoline_kernelINS0_14default_configENS1_22reduce_config_selectorIiEEZNS1_11reduce_implILb1ES3_N6thrust23THRUST_200600_302600_NS11hip_rocprim35transform_pair_of_input_iterators_tIiPaSB_NS8_12not_equal_toIaEEEEPiiNS8_4plusIiEEEE10hipError_tPvRmT1_T2_T3_mT4_P12ihipStream_tbEUlT_E1_NS1_11comp_targetILNS1_3genE3ELNS1_11target_archE908ELNS1_3gpuE7ELNS1_3repE0EEENS1_30default_config_static_selectorELNS0_4arch9wavefront6targetE1EEEvSL_: ; @_ZN7rocprim17ROCPRIM_400000_NS6detail17trampoline_kernelINS0_14default_configENS1_22reduce_config_selectorIiEEZNS1_11reduce_implILb1ES3_N6thrust23THRUST_200600_302600_NS11hip_rocprim35transform_pair_of_input_iterators_tIiPaSB_NS8_12not_equal_toIaEEEEPiiNS8_4plusIiEEEE10hipError_tPvRmT1_T2_T3_mT4_P12ihipStream_tbEUlT_E1_NS1_11comp_targetILNS1_3genE3ELNS1_11target_archE908ELNS1_3gpuE7ELNS1_3repE0EEENS1_30default_config_static_selectorELNS0_4arch9wavefront6targetE1EEEvSL_
; %bb.0:
	.section	.rodata,"a",@progbits
	.p2align	6, 0x0
	.amdhsa_kernel _ZN7rocprim17ROCPRIM_400000_NS6detail17trampoline_kernelINS0_14default_configENS1_22reduce_config_selectorIiEEZNS1_11reduce_implILb1ES3_N6thrust23THRUST_200600_302600_NS11hip_rocprim35transform_pair_of_input_iterators_tIiPaSB_NS8_12not_equal_toIaEEEEPiiNS8_4plusIiEEEE10hipError_tPvRmT1_T2_T3_mT4_P12ihipStream_tbEUlT_E1_NS1_11comp_targetILNS1_3genE3ELNS1_11target_archE908ELNS1_3gpuE7ELNS1_3repE0EEENS1_30default_config_static_selectorELNS0_4arch9wavefront6targetE1EEEvSL_
		.amdhsa_group_segment_fixed_size 0
		.amdhsa_private_segment_fixed_size 0
		.amdhsa_kernarg_size 56
		.amdhsa_user_sgpr_count 6
		.amdhsa_user_sgpr_private_segment_buffer 1
		.amdhsa_user_sgpr_dispatch_ptr 0
		.amdhsa_user_sgpr_queue_ptr 0
		.amdhsa_user_sgpr_kernarg_segment_ptr 1
		.amdhsa_user_sgpr_dispatch_id 0
		.amdhsa_user_sgpr_flat_scratch_init 0
		.amdhsa_user_sgpr_kernarg_preload_length 0
		.amdhsa_user_sgpr_kernarg_preload_offset 0
		.amdhsa_user_sgpr_private_segment_size 0
		.amdhsa_uses_dynamic_stack 0
		.amdhsa_system_sgpr_private_segment_wavefront_offset 0
		.amdhsa_system_sgpr_workgroup_id_x 1
		.amdhsa_system_sgpr_workgroup_id_y 0
		.amdhsa_system_sgpr_workgroup_id_z 0
		.amdhsa_system_sgpr_workgroup_info 0
		.amdhsa_system_vgpr_workitem_id 0
		.amdhsa_next_free_vgpr 1
		.amdhsa_next_free_sgpr 0
		.amdhsa_accum_offset 4
		.amdhsa_reserve_vcc 0
		.amdhsa_reserve_flat_scratch 0
		.amdhsa_float_round_mode_32 0
		.amdhsa_float_round_mode_16_64 0
		.amdhsa_float_denorm_mode_32 3
		.amdhsa_float_denorm_mode_16_64 3
		.amdhsa_dx10_clamp 1
		.amdhsa_ieee_mode 1
		.amdhsa_fp16_overflow 0
		.amdhsa_tg_split 0
		.amdhsa_exception_fp_ieee_invalid_op 0
		.amdhsa_exception_fp_denorm_src 0
		.amdhsa_exception_fp_ieee_div_zero 0
		.amdhsa_exception_fp_ieee_overflow 0
		.amdhsa_exception_fp_ieee_underflow 0
		.amdhsa_exception_fp_ieee_inexact 0
		.amdhsa_exception_int_div_zero 0
	.end_amdhsa_kernel
	.section	.text._ZN7rocprim17ROCPRIM_400000_NS6detail17trampoline_kernelINS0_14default_configENS1_22reduce_config_selectorIiEEZNS1_11reduce_implILb1ES3_N6thrust23THRUST_200600_302600_NS11hip_rocprim35transform_pair_of_input_iterators_tIiPaSB_NS8_12not_equal_toIaEEEEPiiNS8_4plusIiEEEE10hipError_tPvRmT1_T2_T3_mT4_P12ihipStream_tbEUlT_E1_NS1_11comp_targetILNS1_3genE3ELNS1_11target_archE908ELNS1_3gpuE7ELNS1_3repE0EEENS1_30default_config_static_selectorELNS0_4arch9wavefront6targetE1EEEvSL_,"axG",@progbits,_ZN7rocprim17ROCPRIM_400000_NS6detail17trampoline_kernelINS0_14default_configENS1_22reduce_config_selectorIiEEZNS1_11reduce_implILb1ES3_N6thrust23THRUST_200600_302600_NS11hip_rocprim35transform_pair_of_input_iterators_tIiPaSB_NS8_12not_equal_toIaEEEEPiiNS8_4plusIiEEEE10hipError_tPvRmT1_T2_T3_mT4_P12ihipStream_tbEUlT_E1_NS1_11comp_targetILNS1_3genE3ELNS1_11target_archE908ELNS1_3gpuE7ELNS1_3repE0EEENS1_30default_config_static_selectorELNS0_4arch9wavefront6targetE1EEEvSL_,comdat
.Lfunc_end666:
	.size	_ZN7rocprim17ROCPRIM_400000_NS6detail17trampoline_kernelINS0_14default_configENS1_22reduce_config_selectorIiEEZNS1_11reduce_implILb1ES3_N6thrust23THRUST_200600_302600_NS11hip_rocprim35transform_pair_of_input_iterators_tIiPaSB_NS8_12not_equal_toIaEEEEPiiNS8_4plusIiEEEE10hipError_tPvRmT1_T2_T3_mT4_P12ihipStream_tbEUlT_E1_NS1_11comp_targetILNS1_3genE3ELNS1_11target_archE908ELNS1_3gpuE7ELNS1_3repE0EEENS1_30default_config_static_selectorELNS0_4arch9wavefront6targetE1EEEvSL_, .Lfunc_end666-_ZN7rocprim17ROCPRIM_400000_NS6detail17trampoline_kernelINS0_14default_configENS1_22reduce_config_selectorIiEEZNS1_11reduce_implILb1ES3_N6thrust23THRUST_200600_302600_NS11hip_rocprim35transform_pair_of_input_iterators_tIiPaSB_NS8_12not_equal_toIaEEEEPiiNS8_4plusIiEEEE10hipError_tPvRmT1_T2_T3_mT4_P12ihipStream_tbEUlT_E1_NS1_11comp_targetILNS1_3genE3ELNS1_11target_archE908ELNS1_3gpuE7ELNS1_3repE0EEENS1_30default_config_static_selectorELNS0_4arch9wavefront6targetE1EEEvSL_
                                        ; -- End function
	.section	.AMDGPU.csdata,"",@progbits
; Kernel info:
; codeLenInByte = 0
; NumSgprs: 4
; NumVgprs: 0
; NumAgprs: 0
; TotalNumVgprs: 0
; ScratchSize: 0
; MemoryBound: 0
; FloatMode: 240
; IeeeMode: 1
; LDSByteSize: 0 bytes/workgroup (compile time only)
; SGPRBlocks: 0
; VGPRBlocks: 0
; NumSGPRsForWavesPerEU: 4
; NumVGPRsForWavesPerEU: 1
; AccumOffset: 4
; Occupancy: 8
; WaveLimiterHint : 0
; COMPUTE_PGM_RSRC2:SCRATCH_EN: 0
; COMPUTE_PGM_RSRC2:USER_SGPR: 6
; COMPUTE_PGM_RSRC2:TRAP_HANDLER: 0
; COMPUTE_PGM_RSRC2:TGID_X_EN: 1
; COMPUTE_PGM_RSRC2:TGID_Y_EN: 0
; COMPUTE_PGM_RSRC2:TGID_Z_EN: 0
; COMPUTE_PGM_RSRC2:TIDIG_COMP_CNT: 0
; COMPUTE_PGM_RSRC3_GFX90A:ACCUM_OFFSET: 0
; COMPUTE_PGM_RSRC3_GFX90A:TG_SPLIT: 0
	.section	.text._ZN7rocprim17ROCPRIM_400000_NS6detail17trampoline_kernelINS0_14default_configENS1_22reduce_config_selectorIiEEZNS1_11reduce_implILb1ES3_N6thrust23THRUST_200600_302600_NS11hip_rocprim35transform_pair_of_input_iterators_tIiPaSB_NS8_12not_equal_toIaEEEEPiiNS8_4plusIiEEEE10hipError_tPvRmT1_T2_T3_mT4_P12ihipStream_tbEUlT_E1_NS1_11comp_targetILNS1_3genE2ELNS1_11target_archE906ELNS1_3gpuE6ELNS1_3repE0EEENS1_30default_config_static_selectorELNS0_4arch9wavefront6targetE1EEEvSL_,"axG",@progbits,_ZN7rocprim17ROCPRIM_400000_NS6detail17trampoline_kernelINS0_14default_configENS1_22reduce_config_selectorIiEEZNS1_11reduce_implILb1ES3_N6thrust23THRUST_200600_302600_NS11hip_rocprim35transform_pair_of_input_iterators_tIiPaSB_NS8_12not_equal_toIaEEEEPiiNS8_4plusIiEEEE10hipError_tPvRmT1_T2_T3_mT4_P12ihipStream_tbEUlT_E1_NS1_11comp_targetILNS1_3genE2ELNS1_11target_archE906ELNS1_3gpuE6ELNS1_3repE0EEENS1_30default_config_static_selectorELNS0_4arch9wavefront6targetE1EEEvSL_,comdat
	.protected	_ZN7rocprim17ROCPRIM_400000_NS6detail17trampoline_kernelINS0_14default_configENS1_22reduce_config_selectorIiEEZNS1_11reduce_implILb1ES3_N6thrust23THRUST_200600_302600_NS11hip_rocprim35transform_pair_of_input_iterators_tIiPaSB_NS8_12not_equal_toIaEEEEPiiNS8_4plusIiEEEE10hipError_tPvRmT1_T2_T3_mT4_P12ihipStream_tbEUlT_E1_NS1_11comp_targetILNS1_3genE2ELNS1_11target_archE906ELNS1_3gpuE6ELNS1_3repE0EEENS1_30default_config_static_selectorELNS0_4arch9wavefront6targetE1EEEvSL_ ; -- Begin function _ZN7rocprim17ROCPRIM_400000_NS6detail17trampoline_kernelINS0_14default_configENS1_22reduce_config_selectorIiEEZNS1_11reduce_implILb1ES3_N6thrust23THRUST_200600_302600_NS11hip_rocprim35transform_pair_of_input_iterators_tIiPaSB_NS8_12not_equal_toIaEEEEPiiNS8_4plusIiEEEE10hipError_tPvRmT1_T2_T3_mT4_P12ihipStream_tbEUlT_E1_NS1_11comp_targetILNS1_3genE2ELNS1_11target_archE906ELNS1_3gpuE6ELNS1_3repE0EEENS1_30default_config_static_selectorELNS0_4arch9wavefront6targetE1EEEvSL_
	.globl	_ZN7rocprim17ROCPRIM_400000_NS6detail17trampoline_kernelINS0_14default_configENS1_22reduce_config_selectorIiEEZNS1_11reduce_implILb1ES3_N6thrust23THRUST_200600_302600_NS11hip_rocprim35transform_pair_of_input_iterators_tIiPaSB_NS8_12not_equal_toIaEEEEPiiNS8_4plusIiEEEE10hipError_tPvRmT1_T2_T3_mT4_P12ihipStream_tbEUlT_E1_NS1_11comp_targetILNS1_3genE2ELNS1_11target_archE906ELNS1_3gpuE6ELNS1_3repE0EEENS1_30default_config_static_selectorELNS0_4arch9wavefront6targetE1EEEvSL_
	.p2align	8
	.type	_ZN7rocprim17ROCPRIM_400000_NS6detail17trampoline_kernelINS0_14default_configENS1_22reduce_config_selectorIiEEZNS1_11reduce_implILb1ES3_N6thrust23THRUST_200600_302600_NS11hip_rocprim35transform_pair_of_input_iterators_tIiPaSB_NS8_12not_equal_toIaEEEEPiiNS8_4plusIiEEEE10hipError_tPvRmT1_T2_T3_mT4_P12ihipStream_tbEUlT_E1_NS1_11comp_targetILNS1_3genE2ELNS1_11target_archE906ELNS1_3gpuE6ELNS1_3repE0EEENS1_30default_config_static_selectorELNS0_4arch9wavefront6targetE1EEEvSL_,@function
_ZN7rocprim17ROCPRIM_400000_NS6detail17trampoline_kernelINS0_14default_configENS1_22reduce_config_selectorIiEEZNS1_11reduce_implILb1ES3_N6thrust23THRUST_200600_302600_NS11hip_rocprim35transform_pair_of_input_iterators_tIiPaSB_NS8_12not_equal_toIaEEEEPiiNS8_4plusIiEEEE10hipError_tPvRmT1_T2_T3_mT4_P12ihipStream_tbEUlT_E1_NS1_11comp_targetILNS1_3genE2ELNS1_11target_archE906ELNS1_3gpuE6ELNS1_3repE0EEENS1_30default_config_static_selectorELNS0_4arch9wavefront6targetE1EEEvSL_: ; @_ZN7rocprim17ROCPRIM_400000_NS6detail17trampoline_kernelINS0_14default_configENS1_22reduce_config_selectorIiEEZNS1_11reduce_implILb1ES3_N6thrust23THRUST_200600_302600_NS11hip_rocprim35transform_pair_of_input_iterators_tIiPaSB_NS8_12not_equal_toIaEEEEPiiNS8_4plusIiEEEE10hipError_tPvRmT1_T2_T3_mT4_P12ihipStream_tbEUlT_E1_NS1_11comp_targetILNS1_3genE2ELNS1_11target_archE906ELNS1_3gpuE6ELNS1_3repE0EEENS1_30default_config_static_selectorELNS0_4arch9wavefront6targetE1EEEvSL_
; %bb.0:
	.section	.rodata,"a",@progbits
	.p2align	6, 0x0
	.amdhsa_kernel _ZN7rocprim17ROCPRIM_400000_NS6detail17trampoline_kernelINS0_14default_configENS1_22reduce_config_selectorIiEEZNS1_11reduce_implILb1ES3_N6thrust23THRUST_200600_302600_NS11hip_rocprim35transform_pair_of_input_iterators_tIiPaSB_NS8_12not_equal_toIaEEEEPiiNS8_4plusIiEEEE10hipError_tPvRmT1_T2_T3_mT4_P12ihipStream_tbEUlT_E1_NS1_11comp_targetILNS1_3genE2ELNS1_11target_archE906ELNS1_3gpuE6ELNS1_3repE0EEENS1_30default_config_static_selectorELNS0_4arch9wavefront6targetE1EEEvSL_
		.amdhsa_group_segment_fixed_size 0
		.amdhsa_private_segment_fixed_size 0
		.amdhsa_kernarg_size 56
		.amdhsa_user_sgpr_count 6
		.amdhsa_user_sgpr_private_segment_buffer 1
		.amdhsa_user_sgpr_dispatch_ptr 0
		.amdhsa_user_sgpr_queue_ptr 0
		.amdhsa_user_sgpr_kernarg_segment_ptr 1
		.amdhsa_user_sgpr_dispatch_id 0
		.amdhsa_user_sgpr_flat_scratch_init 0
		.amdhsa_user_sgpr_kernarg_preload_length 0
		.amdhsa_user_sgpr_kernarg_preload_offset 0
		.amdhsa_user_sgpr_private_segment_size 0
		.amdhsa_uses_dynamic_stack 0
		.amdhsa_system_sgpr_private_segment_wavefront_offset 0
		.amdhsa_system_sgpr_workgroup_id_x 1
		.amdhsa_system_sgpr_workgroup_id_y 0
		.amdhsa_system_sgpr_workgroup_id_z 0
		.amdhsa_system_sgpr_workgroup_info 0
		.amdhsa_system_vgpr_workitem_id 0
		.amdhsa_next_free_vgpr 1
		.amdhsa_next_free_sgpr 0
		.amdhsa_accum_offset 4
		.amdhsa_reserve_vcc 0
		.amdhsa_reserve_flat_scratch 0
		.amdhsa_float_round_mode_32 0
		.amdhsa_float_round_mode_16_64 0
		.amdhsa_float_denorm_mode_32 3
		.amdhsa_float_denorm_mode_16_64 3
		.amdhsa_dx10_clamp 1
		.amdhsa_ieee_mode 1
		.amdhsa_fp16_overflow 0
		.amdhsa_tg_split 0
		.amdhsa_exception_fp_ieee_invalid_op 0
		.amdhsa_exception_fp_denorm_src 0
		.amdhsa_exception_fp_ieee_div_zero 0
		.amdhsa_exception_fp_ieee_overflow 0
		.amdhsa_exception_fp_ieee_underflow 0
		.amdhsa_exception_fp_ieee_inexact 0
		.amdhsa_exception_int_div_zero 0
	.end_amdhsa_kernel
	.section	.text._ZN7rocprim17ROCPRIM_400000_NS6detail17trampoline_kernelINS0_14default_configENS1_22reduce_config_selectorIiEEZNS1_11reduce_implILb1ES3_N6thrust23THRUST_200600_302600_NS11hip_rocprim35transform_pair_of_input_iterators_tIiPaSB_NS8_12not_equal_toIaEEEEPiiNS8_4plusIiEEEE10hipError_tPvRmT1_T2_T3_mT4_P12ihipStream_tbEUlT_E1_NS1_11comp_targetILNS1_3genE2ELNS1_11target_archE906ELNS1_3gpuE6ELNS1_3repE0EEENS1_30default_config_static_selectorELNS0_4arch9wavefront6targetE1EEEvSL_,"axG",@progbits,_ZN7rocprim17ROCPRIM_400000_NS6detail17trampoline_kernelINS0_14default_configENS1_22reduce_config_selectorIiEEZNS1_11reduce_implILb1ES3_N6thrust23THRUST_200600_302600_NS11hip_rocprim35transform_pair_of_input_iterators_tIiPaSB_NS8_12not_equal_toIaEEEEPiiNS8_4plusIiEEEE10hipError_tPvRmT1_T2_T3_mT4_P12ihipStream_tbEUlT_E1_NS1_11comp_targetILNS1_3genE2ELNS1_11target_archE906ELNS1_3gpuE6ELNS1_3repE0EEENS1_30default_config_static_selectorELNS0_4arch9wavefront6targetE1EEEvSL_,comdat
.Lfunc_end667:
	.size	_ZN7rocprim17ROCPRIM_400000_NS6detail17trampoline_kernelINS0_14default_configENS1_22reduce_config_selectorIiEEZNS1_11reduce_implILb1ES3_N6thrust23THRUST_200600_302600_NS11hip_rocprim35transform_pair_of_input_iterators_tIiPaSB_NS8_12not_equal_toIaEEEEPiiNS8_4plusIiEEEE10hipError_tPvRmT1_T2_T3_mT4_P12ihipStream_tbEUlT_E1_NS1_11comp_targetILNS1_3genE2ELNS1_11target_archE906ELNS1_3gpuE6ELNS1_3repE0EEENS1_30default_config_static_selectorELNS0_4arch9wavefront6targetE1EEEvSL_, .Lfunc_end667-_ZN7rocprim17ROCPRIM_400000_NS6detail17trampoline_kernelINS0_14default_configENS1_22reduce_config_selectorIiEEZNS1_11reduce_implILb1ES3_N6thrust23THRUST_200600_302600_NS11hip_rocprim35transform_pair_of_input_iterators_tIiPaSB_NS8_12not_equal_toIaEEEEPiiNS8_4plusIiEEEE10hipError_tPvRmT1_T2_T3_mT4_P12ihipStream_tbEUlT_E1_NS1_11comp_targetILNS1_3genE2ELNS1_11target_archE906ELNS1_3gpuE6ELNS1_3repE0EEENS1_30default_config_static_selectorELNS0_4arch9wavefront6targetE1EEEvSL_
                                        ; -- End function
	.section	.AMDGPU.csdata,"",@progbits
; Kernel info:
; codeLenInByte = 0
; NumSgprs: 4
; NumVgprs: 0
; NumAgprs: 0
; TotalNumVgprs: 0
; ScratchSize: 0
; MemoryBound: 0
; FloatMode: 240
; IeeeMode: 1
; LDSByteSize: 0 bytes/workgroup (compile time only)
; SGPRBlocks: 0
; VGPRBlocks: 0
; NumSGPRsForWavesPerEU: 4
; NumVGPRsForWavesPerEU: 1
; AccumOffset: 4
; Occupancy: 8
; WaveLimiterHint : 0
; COMPUTE_PGM_RSRC2:SCRATCH_EN: 0
; COMPUTE_PGM_RSRC2:USER_SGPR: 6
; COMPUTE_PGM_RSRC2:TRAP_HANDLER: 0
; COMPUTE_PGM_RSRC2:TGID_X_EN: 1
; COMPUTE_PGM_RSRC2:TGID_Y_EN: 0
; COMPUTE_PGM_RSRC2:TGID_Z_EN: 0
; COMPUTE_PGM_RSRC2:TIDIG_COMP_CNT: 0
; COMPUTE_PGM_RSRC3_GFX90A:ACCUM_OFFSET: 0
; COMPUTE_PGM_RSRC3_GFX90A:TG_SPLIT: 0
	.section	.text._ZN7rocprim17ROCPRIM_400000_NS6detail17trampoline_kernelINS0_14default_configENS1_22reduce_config_selectorIiEEZNS1_11reduce_implILb1ES3_N6thrust23THRUST_200600_302600_NS11hip_rocprim35transform_pair_of_input_iterators_tIiPaSB_NS8_12not_equal_toIaEEEEPiiNS8_4plusIiEEEE10hipError_tPvRmT1_T2_T3_mT4_P12ihipStream_tbEUlT_E1_NS1_11comp_targetILNS1_3genE10ELNS1_11target_archE1201ELNS1_3gpuE5ELNS1_3repE0EEENS1_30default_config_static_selectorELNS0_4arch9wavefront6targetE1EEEvSL_,"axG",@progbits,_ZN7rocprim17ROCPRIM_400000_NS6detail17trampoline_kernelINS0_14default_configENS1_22reduce_config_selectorIiEEZNS1_11reduce_implILb1ES3_N6thrust23THRUST_200600_302600_NS11hip_rocprim35transform_pair_of_input_iterators_tIiPaSB_NS8_12not_equal_toIaEEEEPiiNS8_4plusIiEEEE10hipError_tPvRmT1_T2_T3_mT4_P12ihipStream_tbEUlT_E1_NS1_11comp_targetILNS1_3genE10ELNS1_11target_archE1201ELNS1_3gpuE5ELNS1_3repE0EEENS1_30default_config_static_selectorELNS0_4arch9wavefront6targetE1EEEvSL_,comdat
	.protected	_ZN7rocprim17ROCPRIM_400000_NS6detail17trampoline_kernelINS0_14default_configENS1_22reduce_config_selectorIiEEZNS1_11reduce_implILb1ES3_N6thrust23THRUST_200600_302600_NS11hip_rocprim35transform_pair_of_input_iterators_tIiPaSB_NS8_12not_equal_toIaEEEEPiiNS8_4plusIiEEEE10hipError_tPvRmT1_T2_T3_mT4_P12ihipStream_tbEUlT_E1_NS1_11comp_targetILNS1_3genE10ELNS1_11target_archE1201ELNS1_3gpuE5ELNS1_3repE0EEENS1_30default_config_static_selectorELNS0_4arch9wavefront6targetE1EEEvSL_ ; -- Begin function _ZN7rocprim17ROCPRIM_400000_NS6detail17trampoline_kernelINS0_14default_configENS1_22reduce_config_selectorIiEEZNS1_11reduce_implILb1ES3_N6thrust23THRUST_200600_302600_NS11hip_rocprim35transform_pair_of_input_iterators_tIiPaSB_NS8_12not_equal_toIaEEEEPiiNS8_4plusIiEEEE10hipError_tPvRmT1_T2_T3_mT4_P12ihipStream_tbEUlT_E1_NS1_11comp_targetILNS1_3genE10ELNS1_11target_archE1201ELNS1_3gpuE5ELNS1_3repE0EEENS1_30default_config_static_selectorELNS0_4arch9wavefront6targetE1EEEvSL_
	.globl	_ZN7rocprim17ROCPRIM_400000_NS6detail17trampoline_kernelINS0_14default_configENS1_22reduce_config_selectorIiEEZNS1_11reduce_implILb1ES3_N6thrust23THRUST_200600_302600_NS11hip_rocprim35transform_pair_of_input_iterators_tIiPaSB_NS8_12not_equal_toIaEEEEPiiNS8_4plusIiEEEE10hipError_tPvRmT1_T2_T3_mT4_P12ihipStream_tbEUlT_E1_NS1_11comp_targetILNS1_3genE10ELNS1_11target_archE1201ELNS1_3gpuE5ELNS1_3repE0EEENS1_30default_config_static_selectorELNS0_4arch9wavefront6targetE1EEEvSL_
	.p2align	8
	.type	_ZN7rocprim17ROCPRIM_400000_NS6detail17trampoline_kernelINS0_14default_configENS1_22reduce_config_selectorIiEEZNS1_11reduce_implILb1ES3_N6thrust23THRUST_200600_302600_NS11hip_rocprim35transform_pair_of_input_iterators_tIiPaSB_NS8_12not_equal_toIaEEEEPiiNS8_4plusIiEEEE10hipError_tPvRmT1_T2_T3_mT4_P12ihipStream_tbEUlT_E1_NS1_11comp_targetILNS1_3genE10ELNS1_11target_archE1201ELNS1_3gpuE5ELNS1_3repE0EEENS1_30default_config_static_selectorELNS0_4arch9wavefront6targetE1EEEvSL_,@function
_ZN7rocprim17ROCPRIM_400000_NS6detail17trampoline_kernelINS0_14default_configENS1_22reduce_config_selectorIiEEZNS1_11reduce_implILb1ES3_N6thrust23THRUST_200600_302600_NS11hip_rocprim35transform_pair_of_input_iterators_tIiPaSB_NS8_12not_equal_toIaEEEEPiiNS8_4plusIiEEEE10hipError_tPvRmT1_T2_T3_mT4_P12ihipStream_tbEUlT_E1_NS1_11comp_targetILNS1_3genE10ELNS1_11target_archE1201ELNS1_3gpuE5ELNS1_3repE0EEENS1_30default_config_static_selectorELNS0_4arch9wavefront6targetE1EEEvSL_: ; @_ZN7rocprim17ROCPRIM_400000_NS6detail17trampoline_kernelINS0_14default_configENS1_22reduce_config_selectorIiEEZNS1_11reduce_implILb1ES3_N6thrust23THRUST_200600_302600_NS11hip_rocprim35transform_pair_of_input_iterators_tIiPaSB_NS8_12not_equal_toIaEEEEPiiNS8_4plusIiEEEE10hipError_tPvRmT1_T2_T3_mT4_P12ihipStream_tbEUlT_E1_NS1_11comp_targetILNS1_3genE10ELNS1_11target_archE1201ELNS1_3gpuE5ELNS1_3repE0EEENS1_30default_config_static_selectorELNS0_4arch9wavefront6targetE1EEEvSL_
; %bb.0:
	.section	.rodata,"a",@progbits
	.p2align	6, 0x0
	.amdhsa_kernel _ZN7rocprim17ROCPRIM_400000_NS6detail17trampoline_kernelINS0_14default_configENS1_22reduce_config_selectorIiEEZNS1_11reduce_implILb1ES3_N6thrust23THRUST_200600_302600_NS11hip_rocprim35transform_pair_of_input_iterators_tIiPaSB_NS8_12not_equal_toIaEEEEPiiNS8_4plusIiEEEE10hipError_tPvRmT1_T2_T3_mT4_P12ihipStream_tbEUlT_E1_NS1_11comp_targetILNS1_3genE10ELNS1_11target_archE1201ELNS1_3gpuE5ELNS1_3repE0EEENS1_30default_config_static_selectorELNS0_4arch9wavefront6targetE1EEEvSL_
		.amdhsa_group_segment_fixed_size 0
		.amdhsa_private_segment_fixed_size 0
		.amdhsa_kernarg_size 56
		.amdhsa_user_sgpr_count 6
		.amdhsa_user_sgpr_private_segment_buffer 1
		.amdhsa_user_sgpr_dispatch_ptr 0
		.amdhsa_user_sgpr_queue_ptr 0
		.amdhsa_user_sgpr_kernarg_segment_ptr 1
		.amdhsa_user_sgpr_dispatch_id 0
		.amdhsa_user_sgpr_flat_scratch_init 0
		.amdhsa_user_sgpr_kernarg_preload_length 0
		.amdhsa_user_sgpr_kernarg_preload_offset 0
		.amdhsa_user_sgpr_private_segment_size 0
		.amdhsa_uses_dynamic_stack 0
		.amdhsa_system_sgpr_private_segment_wavefront_offset 0
		.amdhsa_system_sgpr_workgroup_id_x 1
		.amdhsa_system_sgpr_workgroup_id_y 0
		.amdhsa_system_sgpr_workgroup_id_z 0
		.amdhsa_system_sgpr_workgroup_info 0
		.amdhsa_system_vgpr_workitem_id 0
		.amdhsa_next_free_vgpr 1
		.amdhsa_next_free_sgpr 0
		.amdhsa_accum_offset 4
		.amdhsa_reserve_vcc 0
		.amdhsa_reserve_flat_scratch 0
		.amdhsa_float_round_mode_32 0
		.amdhsa_float_round_mode_16_64 0
		.amdhsa_float_denorm_mode_32 3
		.amdhsa_float_denorm_mode_16_64 3
		.amdhsa_dx10_clamp 1
		.amdhsa_ieee_mode 1
		.amdhsa_fp16_overflow 0
		.amdhsa_tg_split 0
		.amdhsa_exception_fp_ieee_invalid_op 0
		.amdhsa_exception_fp_denorm_src 0
		.amdhsa_exception_fp_ieee_div_zero 0
		.amdhsa_exception_fp_ieee_overflow 0
		.amdhsa_exception_fp_ieee_underflow 0
		.amdhsa_exception_fp_ieee_inexact 0
		.amdhsa_exception_int_div_zero 0
	.end_amdhsa_kernel
	.section	.text._ZN7rocprim17ROCPRIM_400000_NS6detail17trampoline_kernelINS0_14default_configENS1_22reduce_config_selectorIiEEZNS1_11reduce_implILb1ES3_N6thrust23THRUST_200600_302600_NS11hip_rocprim35transform_pair_of_input_iterators_tIiPaSB_NS8_12not_equal_toIaEEEEPiiNS8_4plusIiEEEE10hipError_tPvRmT1_T2_T3_mT4_P12ihipStream_tbEUlT_E1_NS1_11comp_targetILNS1_3genE10ELNS1_11target_archE1201ELNS1_3gpuE5ELNS1_3repE0EEENS1_30default_config_static_selectorELNS0_4arch9wavefront6targetE1EEEvSL_,"axG",@progbits,_ZN7rocprim17ROCPRIM_400000_NS6detail17trampoline_kernelINS0_14default_configENS1_22reduce_config_selectorIiEEZNS1_11reduce_implILb1ES3_N6thrust23THRUST_200600_302600_NS11hip_rocprim35transform_pair_of_input_iterators_tIiPaSB_NS8_12not_equal_toIaEEEEPiiNS8_4plusIiEEEE10hipError_tPvRmT1_T2_T3_mT4_P12ihipStream_tbEUlT_E1_NS1_11comp_targetILNS1_3genE10ELNS1_11target_archE1201ELNS1_3gpuE5ELNS1_3repE0EEENS1_30default_config_static_selectorELNS0_4arch9wavefront6targetE1EEEvSL_,comdat
.Lfunc_end668:
	.size	_ZN7rocprim17ROCPRIM_400000_NS6detail17trampoline_kernelINS0_14default_configENS1_22reduce_config_selectorIiEEZNS1_11reduce_implILb1ES3_N6thrust23THRUST_200600_302600_NS11hip_rocprim35transform_pair_of_input_iterators_tIiPaSB_NS8_12not_equal_toIaEEEEPiiNS8_4plusIiEEEE10hipError_tPvRmT1_T2_T3_mT4_P12ihipStream_tbEUlT_E1_NS1_11comp_targetILNS1_3genE10ELNS1_11target_archE1201ELNS1_3gpuE5ELNS1_3repE0EEENS1_30default_config_static_selectorELNS0_4arch9wavefront6targetE1EEEvSL_, .Lfunc_end668-_ZN7rocprim17ROCPRIM_400000_NS6detail17trampoline_kernelINS0_14default_configENS1_22reduce_config_selectorIiEEZNS1_11reduce_implILb1ES3_N6thrust23THRUST_200600_302600_NS11hip_rocprim35transform_pair_of_input_iterators_tIiPaSB_NS8_12not_equal_toIaEEEEPiiNS8_4plusIiEEEE10hipError_tPvRmT1_T2_T3_mT4_P12ihipStream_tbEUlT_E1_NS1_11comp_targetILNS1_3genE10ELNS1_11target_archE1201ELNS1_3gpuE5ELNS1_3repE0EEENS1_30default_config_static_selectorELNS0_4arch9wavefront6targetE1EEEvSL_
                                        ; -- End function
	.section	.AMDGPU.csdata,"",@progbits
; Kernel info:
; codeLenInByte = 0
; NumSgprs: 4
; NumVgprs: 0
; NumAgprs: 0
; TotalNumVgprs: 0
; ScratchSize: 0
; MemoryBound: 0
; FloatMode: 240
; IeeeMode: 1
; LDSByteSize: 0 bytes/workgroup (compile time only)
; SGPRBlocks: 0
; VGPRBlocks: 0
; NumSGPRsForWavesPerEU: 4
; NumVGPRsForWavesPerEU: 1
; AccumOffset: 4
; Occupancy: 8
; WaveLimiterHint : 0
; COMPUTE_PGM_RSRC2:SCRATCH_EN: 0
; COMPUTE_PGM_RSRC2:USER_SGPR: 6
; COMPUTE_PGM_RSRC2:TRAP_HANDLER: 0
; COMPUTE_PGM_RSRC2:TGID_X_EN: 1
; COMPUTE_PGM_RSRC2:TGID_Y_EN: 0
; COMPUTE_PGM_RSRC2:TGID_Z_EN: 0
; COMPUTE_PGM_RSRC2:TIDIG_COMP_CNT: 0
; COMPUTE_PGM_RSRC3_GFX90A:ACCUM_OFFSET: 0
; COMPUTE_PGM_RSRC3_GFX90A:TG_SPLIT: 0
	.section	.text._ZN7rocprim17ROCPRIM_400000_NS6detail17trampoline_kernelINS0_14default_configENS1_22reduce_config_selectorIiEEZNS1_11reduce_implILb1ES3_N6thrust23THRUST_200600_302600_NS11hip_rocprim35transform_pair_of_input_iterators_tIiPaSB_NS8_12not_equal_toIaEEEEPiiNS8_4plusIiEEEE10hipError_tPvRmT1_T2_T3_mT4_P12ihipStream_tbEUlT_E1_NS1_11comp_targetILNS1_3genE10ELNS1_11target_archE1200ELNS1_3gpuE4ELNS1_3repE0EEENS1_30default_config_static_selectorELNS0_4arch9wavefront6targetE1EEEvSL_,"axG",@progbits,_ZN7rocprim17ROCPRIM_400000_NS6detail17trampoline_kernelINS0_14default_configENS1_22reduce_config_selectorIiEEZNS1_11reduce_implILb1ES3_N6thrust23THRUST_200600_302600_NS11hip_rocprim35transform_pair_of_input_iterators_tIiPaSB_NS8_12not_equal_toIaEEEEPiiNS8_4plusIiEEEE10hipError_tPvRmT1_T2_T3_mT4_P12ihipStream_tbEUlT_E1_NS1_11comp_targetILNS1_3genE10ELNS1_11target_archE1200ELNS1_3gpuE4ELNS1_3repE0EEENS1_30default_config_static_selectorELNS0_4arch9wavefront6targetE1EEEvSL_,comdat
	.protected	_ZN7rocprim17ROCPRIM_400000_NS6detail17trampoline_kernelINS0_14default_configENS1_22reduce_config_selectorIiEEZNS1_11reduce_implILb1ES3_N6thrust23THRUST_200600_302600_NS11hip_rocprim35transform_pair_of_input_iterators_tIiPaSB_NS8_12not_equal_toIaEEEEPiiNS8_4plusIiEEEE10hipError_tPvRmT1_T2_T3_mT4_P12ihipStream_tbEUlT_E1_NS1_11comp_targetILNS1_3genE10ELNS1_11target_archE1200ELNS1_3gpuE4ELNS1_3repE0EEENS1_30default_config_static_selectorELNS0_4arch9wavefront6targetE1EEEvSL_ ; -- Begin function _ZN7rocprim17ROCPRIM_400000_NS6detail17trampoline_kernelINS0_14default_configENS1_22reduce_config_selectorIiEEZNS1_11reduce_implILb1ES3_N6thrust23THRUST_200600_302600_NS11hip_rocprim35transform_pair_of_input_iterators_tIiPaSB_NS8_12not_equal_toIaEEEEPiiNS8_4plusIiEEEE10hipError_tPvRmT1_T2_T3_mT4_P12ihipStream_tbEUlT_E1_NS1_11comp_targetILNS1_3genE10ELNS1_11target_archE1200ELNS1_3gpuE4ELNS1_3repE0EEENS1_30default_config_static_selectorELNS0_4arch9wavefront6targetE1EEEvSL_
	.globl	_ZN7rocprim17ROCPRIM_400000_NS6detail17trampoline_kernelINS0_14default_configENS1_22reduce_config_selectorIiEEZNS1_11reduce_implILb1ES3_N6thrust23THRUST_200600_302600_NS11hip_rocprim35transform_pair_of_input_iterators_tIiPaSB_NS8_12not_equal_toIaEEEEPiiNS8_4plusIiEEEE10hipError_tPvRmT1_T2_T3_mT4_P12ihipStream_tbEUlT_E1_NS1_11comp_targetILNS1_3genE10ELNS1_11target_archE1200ELNS1_3gpuE4ELNS1_3repE0EEENS1_30default_config_static_selectorELNS0_4arch9wavefront6targetE1EEEvSL_
	.p2align	8
	.type	_ZN7rocprim17ROCPRIM_400000_NS6detail17trampoline_kernelINS0_14default_configENS1_22reduce_config_selectorIiEEZNS1_11reduce_implILb1ES3_N6thrust23THRUST_200600_302600_NS11hip_rocprim35transform_pair_of_input_iterators_tIiPaSB_NS8_12not_equal_toIaEEEEPiiNS8_4plusIiEEEE10hipError_tPvRmT1_T2_T3_mT4_P12ihipStream_tbEUlT_E1_NS1_11comp_targetILNS1_3genE10ELNS1_11target_archE1200ELNS1_3gpuE4ELNS1_3repE0EEENS1_30default_config_static_selectorELNS0_4arch9wavefront6targetE1EEEvSL_,@function
_ZN7rocprim17ROCPRIM_400000_NS6detail17trampoline_kernelINS0_14default_configENS1_22reduce_config_selectorIiEEZNS1_11reduce_implILb1ES3_N6thrust23THRUST_200600_302600_NS11hip_rocprim35transform_pair_of_input_iterators_tIiPaSB_NS8_12not_equal_toIaEEEEPiiNS8_4plusIiEEEE10hipError_tPvRmT1_T2_T3_mT4_P12ihipStream_tbEUlT_E1_NS1_11comp_targetILNS1_3genE10ELNS1_11target_archE1200ELNS1_3gpuE4ELNS1_3repE0EEENS1_30default_config_static_selectorELNS0_4arch9wavefront6targetE1EEEvSL_: ; @_ZN7rocprim17ROCPRIM_400000_NS6detail17trampoline_kernelINS0_14default_configENS1_22reduce_config_selectorIiEEZNS1_11reduce_implILb1ES3_N6thrust23THRUST_200600_302600_NS11hip_rocprim35transform_pair_of_input_iterators_tIiPaSB_NS8_12not_equal_toIaEEEEPiiNS8_4plusIiEEEE10hipError_tPvRmT1_T2_T3_mT4_P12ihipStream_tbEUlT_E1_NS1_11comp_targetILNS1_3genE10ELNS1_11target_archE1200ELNS1_3gpuE4ELNS1_3repE0EEENS1_30default_config_static_selectorELNS0_4arch9wavefront6targetE1EEEvSL_
; %bb.0:
	.section	.rodata,"a",@progbits
	.p2align	6, 0x0
	.amdhsa_kernel _ZN7rocprim17ROCPRIM_400000_NS6detail17trampoline_kernelINS0_14default_configENS1_22reduce_config_selectorIiEEZNS1_11reduce_implILb1ES3_N6thrust23THRUST_200600_302600_NS11hip_rocprim35transform_pair_of_input_iterators_tIiPaSB_NS8_12not_equal_toIaEEEEPiiNS8_4plusIiEEEE10hipError_tPvRmT1_T2_T3_mT4_P12ihipStream_tbEUlT_E1_NS1_11comp_targetILNS1_3genE10ELNS1_11target_archE1200ELNS1_3gpuE4ELNS1_3repE0EEENS1_30default_config_static_selectorELNS0_4arch9wavefront6targetE1EEEvSL_
		.amdhsa_group_segment_fixed_size 0
		.amdhsa_private_segment_fixed_size 0
		.amdhsa_kernarg_size 56
		.amdhsa_user_sgpr_count 6
		.amdhsa_user_sgpr_private_segment_buffer 1
		.amdhsa_user_sgpr_dispatch_ptr 0
		.amdhsa_user_sgpr_queue_ptr 0
		.amdhsa_user_sgpr_kernarg_segment_ptr 1
		.amdhsa_user_sgpr_dispatch_id 0
		.amdhsa_user_sgpr_flat_scratch_init 0
		.amdhsa_user_sgpr_kernarg_preload_length 0
		.amdhsa_user_sgpr_kernarg_preload_offset 0
		.amdhsa_user_sgpr_private_segment_size 0
		.amdhsa_uses_dynamic_stack 0
		.amdhsa_system_sgpr_private_segment_wavefront_offset 0
		.amdhsa_system_sgpr_workgroup_id_x 1
		.amdhsa_system_sgpr_workgroup_id_y 0
		.amdhsa_system_sgpr_workgroup_id_z 0
		.amdhsa_system_sgpr_workgroup_info 0
		.amdhsa_system_vgpr_workitem_id 0
		.amdhsa_next_free_vgpr 1
		.amdhsa_next_free_sgpr 0
		.amdhsa_accum_offset 4
		.amdhsa_reserve_vcc 0
		.amdhsa_reserve_flat_scratch 0
		.amdhsa_float_round_mode_32 0
		.amdhsa_float_round_mode_16_64 0
		.amdhsa_float_denorm_mode_32 3
		.amdhsa_float_denorm_mode_16_64 3
		.amdhsa_dx10_clamp 1
		.amdhsa_ieee_mode 1
		.amdhsa_fp16_overflow 0
		.amdhsa_tg_split 0
		.amdhsa_exception_fp_ieee_invalid_op 0
		.amdhsa_exception_fp_denorm_src 0
		.amdhsa_exception_fp_ieee_div_zero 0
		.amdhsa_exception_fp_ieee_overflow 0
		.amdhsa_exception_fp_ieee_underflow 0
		.amdhsa_exception_fp_ieee_inexact 0
		.amdhsa_exception_int_div_zero 0
	.end_amdhsa_kernel
	.section	.text._ZN7rocprim17ROCPRIM_400000_NS6detail17trampoline_kernelINS0_14default_configENS1_22reduce_config_selectorIiEEZNS1_11reduce_implILb1ES3_N6thrust23THRUST_200600_302600_NS11hip_rocprim35transform_pair_of_input_iterators_tIiPaSB_NS8_12not_equal_toIaEEEEPiiNS8_4plusIiEEEE10hipError_tPvRmT1_T2_T3_mT4_P12ihipStream_tbEUlT_E1_NS1_11comp_targetILNS1_3genE10ELNS1_11target_archE1200ELNS1_3gpuE4ELNS1_3repE0EEENS1_30default_config_static_selectorELNS0_4arch9wavefront6targetE1EEEvSL_,"axG",@progbits,_ZN7rocprim17ROCPRIM_400000_NS6detail17trampoline_kernelINS0_14default_configENS1_22reduce_config_selectorIiEEZNS1_11reduce_implILb1ES3_N6thrust23THRUST_200600_302600_NS11hip_rocprim35transform_pair_of_input_iterators_tIiPaSB_NS8_12not_equal_toIaEEEEPiiNS8_4plusIiEEEE10hipError_tPvRmT1_T2_T3_mT4_P12ihipStream_tbEUlT_E1_NS1_11comp_targetILNS1_3genE10ELNS1_11target_archE1200ELNS1_3gpuE4ELNS1_3repE0EEENS1_30default_config_static_selectorELNS0_4arch9wavefront6targetE1EEEvSL_,comdat
.Lfunc_end669:
	.size	_ZN7rocprim17ROCPRIM_400000_NS6detail17trampoline_kernelINS0_14default_configENS1_22reduce_config_selectorIiEEZNS1_11reduce_implILb1ES3_N6thrust23THRUST_200600_302600_NS11hip_rocprim35transform_pair_of_input_iterators_tIiPaSB_NS8_12not_equal_toIaEEEEPiiNS8_4plusIiEEEE10hipError_tPvRmT1_T2_T3_mT4_P12ihipStream_tbEUlT_E1_NS1_11comp_targetILNS1_3genE10ELNS1_11target_archE1200ELNS1_3gpuE4ELNS1_3repE0EEENS1_30default_config_static_selectorELNS0_4arch9wavefront6targetE1EEEvSL_, .Lfunc_end669-_ZN7rocprim17ROCPRIM_400000_NS6detail17trampoline_kernelINS0_14default_configENS1_22reduce_config_selectorIiEEZNS1_11reduce_implILb1ES3_N6thrust23THRUST_200600_302600_NS11hip_rocprim35transform_pair_of_input_iterators_tIiPaSB_NS8_12not_equal_toIaEEEEPiiNS8_4plusIiEEEE10hipError_tPvRmT1_T2_T3_mT4_P12ihipStream_tbEUlT_E1_NS1_11comp_targetILNS1_3genE10ELNS1_11target_archE1200ELNS1_3gpuE4ELNS1_3repE0EEENS1_30default_config_static_selectorELNS0_4arch9wavefront6targetE1EEEvSL_
                                        ; -- End function
	.section	.AMDGPU.csdata,"",@progbits
; Kernel info:
; codeLenInByte = 0
; NumSgprs: 4
; NumVgprs: 0
; NumAgprs: 0
; TotalNumVgprs: 0
; ScratchSize: 0
; MemoryBound: 0
; FloatMode: 240
; IeeeMode: 1
; LDSByteSize: 0 bytes/workgroup (compile time only)
; SGPRBlocks: 0
; VGPRBlocks: 0
; NumSGPRsForWavesPerEU: 4
; NumVGPRsForWavesPerEU: 1
; AccumOffset: 4
; Occupancy: 8
; WaveLimiterHint : 0
; COMPUTE_PGM_RSRC2:SCRATCH_EN: 0
; COMPUTE_PGM_RSRC2:USER_SGPR: 6
; COMPUTE_PGM_RSRC2:TRAP_HANDLER: 0
; COMPUTE_PGM_RSRC2:TGID_X_EN: 1
; COMPUTE_PGM_RSRC2:TGID_Y_EN: 0
; COMPUTE_PGM_RSRC2:TGID_Z_EN: 0
; COMPUTE_PGM_RSRC2:TIDIG_COMP_CNT: 0
; COMPUTE_PGM_RSRC3_GFX90A:ACCUM_OFFSET: 0
; COMPUTE_PGM_RSRC3_GFX90A:TG_SPLIT: 0
	.section	.text._ZN7rocprim17ROCPRIM_400000_NS6detail17trampoline_kernelINS0_14default_configENS1_22reduce_config_selectorIiEEZNS1_11reduce_implILb1ES3_N6thrust23THRUST_200600_302600_NS11hip_rocprim35transform_pair_of_input_iterators_tIiPaSB_NS8_12not_equal_toIaEEEEPiiNS8_4plusIiEEEE10hipError_tPvRmT1_T2_T3_mT4_P12ihipStream_tbEUlT_E1_NS1_11comp_targetILNS1_3genE9ELNS1_11target_archE1100ELNS1_3gpuE3ELNS1_3repE0EEENS1_30default_config_static_selectorELNS0_4arch9wavefront6targetE1EEEvSL_,"axG",@progbits,_ZN7rocprim17ROCPRIM_400000_NS6detail17trampoline_kernelINS0_14default_configENS1_22reduce_config_selectorIiEEZNS1_11reduce_implILb1ES3_N6thrust23THRUST_200600_302600_NS11hip_rocprim35transform_pair_of_input_iterators_tIiPaSB_NS8_12not_equal_toIaEEEEPiiNS8_4plusIiEEEE10hipError_tPvRmT1_T2_T3_mT4_P12ihipStream_tbEUlT_E1_NS1_11comp_targetILNS1_3genE9ELNS1_11target_archE1100ELNS1_3gpuE3ELNS1_3repE0EEENS1_30default_config_static_selectorELNS0_4arch9wavefront6targetE1EEEvSL_,comdat
	.protected	_ZN7rocprim17ROCPRIM_400000_NS6detail17trampoline_kernelINS0_14default_configENS1_22reduce_config_selectorIiEEZNS1_11reduce_implILb1ES3_N6thrust23THRUST_200600_302600_NS11hip_rocprim35transform_pair_of_input_iterators_tIiPaSB_NS8_12not_equal_toIaEEEEPiiNS8_4plusIiEEEE10hipError_tPvRmT1_T2_T3_mT4_P12ihipStream_tbEUlT_E1_NS1_11comp_targetILNS1_3genE9ELNS1_11target_archE1100ELNS1_3gpuE3ELNS1_3repE0EEENS1_30default_config_static_selectorELNS0_4arch9wavefront6targetE1EEEvSL_ ; -- Begin function _ZN7rocprim17ROCPRIM_400000_NS6detail17trampoline_kernelINS0_14default_configENS1_22reduce_config_selectorIiEEZNS1_11reduce_implILb1ES3_N6thrust23THRUST_200600_302600_NS11hip_rocprim35transform_pair_of_input_iterators_tIiPaSB_NS8_12not_equal_toIaEEEEPiiNS8_4plusIiEEEE10hipError_tPvRmT1_T2_T3_mT4_P12ihipStream_tbEUlT_E1_NS1_11comp_targetILNS1_3genE9ELNS1_11target_archE1100ELNS1_3gpuE3ELNS1_3repE0EEENS1_30default_config_static_selectorELNS0_4arch9wavefront6targetE1EEEvSL_
	.globl	_ZN7rocprim17ROCPRIM_400000_NS6detail17trampoline_kernelINS0_14default_configENS1_22reduce_config_selectorIiEEZNS1_11reduce_implILb1ES3_N6thrust23THRUST_200600_302600_NS11hip_rocprim35transform_pair_of_input_iterators_tIiPaSB_NS8_12not_equal_toIaEEEEPiiNS8_4plusIiEEEE10hipError_tPvRmT1_T2_T3_mT4_P12ihipStream_tbEUlT_E1_NS1_11comp_targetILNS1_3genE9ELNS1_11target_archE1100ELNS1_3gpuE3ELNS1_3repE0EEENS1_30default_config_static_selectorELNS0_4arch9wavefront6targetE1EEEvSL_
	.p2align	8
	.type	_ZN7rocprim17ROCPRIM_400000_NS6detail17trampoline_kernelINS0_14default_configENS1_22reduce_config_selectorIiEEZNS1_11reduce_implILb1ES3_N6thrust23THRUST_200600_302600_NS11hip_rocprim35transform_pair_of_input_iterators_tIiPaSB_NS8_12not_equal_toIaEEEEPiiNS8_4plusIiEEEE10hipError_tPvRmT1_T2_T3_mT4_P12ihipStream_tbEUlT_E1_NS1_11comp_targetILNS1_3genE9ELNS1_11target_archE1100ELNS1_3gpuE3ELNS1_3repE0EEENS1_30default_config_static_selectorELNS0_4arch9wavefront6targetE1EEEvSL_,@function
_ZN7rocprim17ROCPRIM_400000_NS6detail17trampoline_kernelINS0_14default_configENS1_22reduce_config_selectorIiEEZNS1_11reduce_implILb1ES3_N6thrust23THRUST_200600_302600_NS11hip_rocprim35transform_pair_of_input_iterators_tIiPaSB_NS8_12not_equal_toIaEEEEPiiNS8_4plusIiEEEE10hipError_tPvRmT1_T2_T3_mT4_P12ihipStream_tbEUlT_E1_NS1_11comp_targetILNS1_3genE9ELNS1_11target_archE1100ELNS1_3gpuE3ELNS1_3repE0EEENS1_30default_config_static_selectorELNS0_4arch9wavefront6targetE1EEEvSL_: ; @_ZN7rocprim17ROCPRIM_400000_NS6detail17trampoline_kernelINS0_14default_configENS1_22reduce_config_selectorIiEEZNS1_11reduce_implILb1ES3_N6thrust23THRUST_200600_302600_NS11hip_rocprim35transform_pair_of_input_iterators_tIiPaSB_NS8_12not_equal_toIaEEEEPiiNS8_4plusIiEEEE10hipError_tPvRmT1_T2_T3_mT4_P12ihipStream_tbEUlT_E1_NS1_11comp_targetILNS1_3genE9ELNS1_11target_archE1100ELNS1_3gpuE3ELNS1_3repE0EEENS1_30default_config_static_selectorELNS0_4arch9wavefront6targetE1EEEvSL_
; %bb.0:
	.section	.rodata,"a",@progbits
	.p2align	6, 0x0
	.amdhsa_kernel _ZN7rocprim17ROCPRIM_400000_NS6detail17trampoline_kernelINS0_14default_configENS1_22reduce_config_selectorIiEEZNS1_11reduce_implILb1ES3_N6thrust23THRUST_200600_302600_NS11hip_rocprim35transform_pair_of_input_iterators_tIiPaSB_NS8_12not_equal_toIaEEEEPiiNS8_4plusIiEEEE10hipError_tPvRmT1_T2_T3_mT4_P12ihipStream_tbEUlT_E1_NS1_11comp_targetILNS1_3genE9ELNS1_11target_archE1100ELNS1_3gpuE3ELNS1_3repE0EEENS1_30default_config_static_selectorELNS0_4arch9wavefront6targetE1EEEvSL_
		.amdhsa_group_segment_fixed_size 0
		.amdhsa_private_segment_fixed_size 0
		.amdhsa_kernarg_size 56
		.amdhsa_user_sgpr_count 6
		.amdhsa_user_sgpr_private_segment_buffer 1
		.amdhsa_user_sgpr_dispatch_ptr 0
		.amdhsa_user_sgpr_queue_ptr 0
		.amdhsa_user_sgpr_kernarg_segment_ptr 1
		.amdhsa_user_sgpr_dispatch_id 0
		.amdhsa_user_sgpr_flat_scratch_init 0
		.amdhsa_user_sgpr_kernarg_preload_length 0
		.amdhsa_user_sgpr_kernarg_preload_offset 0
		.amdhsa_user_sgpr_private_segment_size 0
		.amdhsa_uses_dynamic_stack 0
		.amdhsa_system_sgpr_private_segment_wavefront_offset 0
		.amdhsa_system_sgpr_workgroup_id_x 1
		.amdhsa_system_sgpr_workgroup_id_y 0
		.amdhsa_system_sgpr_workgroup_id_z 0
		.amdhsa_system_sgpr_workgroup_info 0
		.amdhsa_system_vgpr_workitem_id 0
		.amdhsa_next_free_vgpr 1
		.amdhsa_next_free_sgpr 0
		.amdhsa_accum_offset 4
		.amdhsa_reserve_vcc 0
		.amdhsa_reserve_flat_scratch 0
		.amdhsa_float_round_mode_32 0
		.amdhsa_float_round_mode_16_64 0
		.amdhsa_float_denorm_mode_32 3
		.amdhsa_float_denorm_mode_16_64 3
		.amdhsa_dx10_clamp 1
		.amdhsa_ieee_mode 1
		.amdhsa_fp16_overflow 0
		.amdhsa_tg_split 0
		.amdhsa_exception_fp_ieee_invalid_op 0
		.amdhsa_exception_fp_denorm_src 0
		.amdhsa_exception_fp_ieee_div_zero 0
		.amdhsa_exception_fp_ieee_overflow 0
		.amdhsa_exception_fp_ieee_underflow 0
		.amdhsa_exception_fp_ieee_inexact 0
		.amdhsa_exception_int_div_zero 0
	.end_amdhsa_kernel
	.section	.text._ZN7rocprim17ROCPRIM_400000_NS6detail17trampoline_kernelINS0_14default_configENS1_22reduce_config_selectorIiEEZNS1_11reduce_implILb1ES3_N6thrust23THRUST_200600_302600_NS11hip_rocprim35transform_pair_of_input_iterators_tIiPaSB_NS8_12not_equal_toIaEEEEPiiNS8_4plusIiEEEE10hipError_tPvRmT1_T2_T3_mT4_P12ihipStream_tbEUlT_E1_NS1_11comp_targetILNS1_3genE9ELNS1_11target_archE1100ELNS1_3gpuE3ELNS1_3repE0EEENS1_30default_config_static_selectorELNS0_4arch9wavefront6targetE1EEEvSL_,"axG",@progbits,_ZN7rocprim17ROCPRIM_400000_NS6detail17trampoline_kernelINS0_14default_configENS1_22reduce_config_selectorIiEEZNS1_11reduce_implILb1ES3_N6thrust23THRUST_200600_302600_NS11hip_rocprim35transform_pair_of_input_iterators_tIiPaSB_NS8_12not_equal_toIaEEEEPiiNS8_4plusIiEEEE10hipError_tPvRmT1_T2_T3_mT4_P12ihipStream_tbEUlT_E1_NS1_11comp_targetILNS1_3genE9ELNS1_11target_archE1100ELNS1_3gpuE3ELNS1_3repE0EEENS1_30default_config_static_selectorELNS0_4arch9wavefront6targetE1EEEvSL_,comdat
.Lfunc_end670:
	.size	_ZN7rocprim17ROCPRIM_400000_NS6detail17trampoline_kernelINS0_14default_configENS1_22reduce_config_selectorIiEEZNS1_11reduce_implILb1ES3_N6thrust23THRUST_200600_302600_NS11hip_rocprim35transform_pair_of_input_iterators_tIiPaSB_NS8_12not_equal_toIaEEEEPiiNS8_4plusIiEEEE10hipError_tPvRmT1_T2_T3_mT4_P12ihipStream_tbEUlT_E1_NS1_11comp_targetILNS1_3genE9ELNS1_11target_archE1100ELNS1_3gpuE3ELNS1_3repE0EEENS1_30default_config_static_selectorELNS0_4arch9wavefront6targetE1EEEvSL_, .Lfunc_end670-_ZN7rocprim17ROCPRIM_400000_NS6detail17trampoline_kernelINS0_14default_configENS1_22reduce_config_selectorIiEEZNS1_11reduce_implILb1ES3_N6thrust23THRUST_200600_302600_NS11hip_rocprim35transform_pair_of_input_iterators_tIiPaSB_NS8_12not_equal_toIaEEEEPiiNS8_4plusIiEEEE10hipError_tPvRmT1_T2_T3_mT4_P12ihipStream_tbEUlT_E1_NS1_11comp_targetILNS1_3genE9ELNS1_11target_archE1100ELNS1_3gpuE3ELNS1_3repE0EEENS1_30default_config_static_selectorELNS0_4arch9wavefront6targetE1EEEvSL_
                                        ; -- End function
	.section	.AMDGPU.csdata,"",@progbits
; Kernel info:
; codeLenInByte = 0
; NumSgprs: 4
; NumVgprs: 0
; NumAgprs: 0
; TotalNumVgprs: 0
; ScratchSize: 0
; MemoryBound: 0
; FloatMode: 240
; IeeeMode: 1
; LDSByteSize: 0 bytes/workgroup (compile time only)
; SGPRBlocks: 0
; VGPRBlocks: 0
; NumSGPRsForWavesPerEU: 4
; NumVGPRsForWavesPerEU: 1
; AccumOffset: 4
; Occupancy: 8
; WaveLimiterHint : 0
; COMPUTE_PGM_RSRC2:SCRATCH_EN: 0
; COMPUTE_PGM_RSRC2:USER_SGPR: 6
; COMPUTE_PGM_RSRC2:TRAP_HANDLER: 0
; COMPUTE_PGM_RSRC2:TGID_X_EN: 1
; COMPUTE_PGM_RSRC2:TGID_Y_EN: 0
; COMPUTE_PGM_RSRC2:TGID_Z_EN: 0
; COMPUTE_PGM_RSRC2:TIDIG_COMP_CNT: 0
; COMPUTE_PGM_RSRC3_GFX90A:ACCUM_OFFSET: 0
; COMPUTE_PGM_RSRC3_GFX90A:TG_SPLIT: 0
	.section	.text._ZN7rocprim17ROCPRIM_400000_NS6detail17trampoline_kernelINS0_14default_configENS1_22reduce_config_selectorIiEEZNS1_11reduce_implILb1ES3_N6thrust23THRUST_200600_302600_NS11hip_rocprim35transform_pair_of_input_iterators_tIiPaSB_NS8_12not_equal_toIaEEEEPiiNS8_4plusIiEEEE10hipError_tPvRmT1_T2_T3_mT4_P12ihipStream_tbEUlT_E1_NS1_11comp_targetILNS1_3genE8ELNS1_11target_archE1030ELNS1_3gpuE2ELNS1_3repE0EEENS1_30default_config_static_selectorELNS0_4arch9wavefront6targetE1EEEvSL_,"axG",@progbits,_ZN7rocprim17ROCPRIM_400000_NS6detail17trampoline_kernelINS0_14default_configENS1_22reduce_config_selectorIiEEZNS1_11reduce_implILb1ES3_N6thrust23THRUST_200600_302600_NS11hip_rocprim35transform_pair_of_input_iterators_tIiPaSB_NS8_12not_equal_toIaEEEEPiiNS8_4plusIiEEEE10hipError_tPvRmT1_T2_T3_mT4_P12ihipStream_tbEUlT_E1_NS1_11comp_targetILNS1_3genE8ELNS1_11target_archE1030ELNS1_3gpuE2ELNS1_3repE0EEENS1_30default_config_static_selectorELNS0_4arch9wavefront6targetE1EEEvSL_,comdat
	.protected	_ZN7rocprim17ROCPRIM_400000_NS6detail17trampoline_kernelINS0_14default_configENS1_22reduce_config_selectorIiEEZNS1_11reduce_implILb1ES3_N6thrust23THRUST_200600_302600_NS11hip_rocprim35transform_pair_of_input_iterators_tIiPaSB_NS8_12not_equal_toIaEEEEPiiNS8_4plusIiEEEE10hipError_tPvRmT1_T2_T3_mT4_P12ihipStream_tbEUlT_E1_NS1_11comp_targetILNS1_3genE8ELNS1_11target_archE1030ELNS1_3gpuE2ELNS1_3repE0EEENS1_30default_config_static_selectorELNS0_4arch9wavefront6targetE1EEEvSL_ ; -- Begin function _ZN7rocprim17ROCPRIM_400000_NS6detail17trampoline_kernelINS0_14default_configENS1_22reduce_config_selectorIiEEZNS1_11reduce_implILb1ES3_N6thrust23THRUST_200600_302600_NS11hip_rocprim35transform_pair_of_input_iterators_tIiPaSB_NS8_12not_equal_toIaEEEEPiiNS8_4plusIiEEEE10hipError_tPvRmT1_T2_T3_mT4_P12ihipStream_tbEUlT_E1_NS1_11comp_targetILNS1_3genE8ELNS1_11target_archE1030ELNS1_3gpuE2ELNS1_3repE0EEENS1_30default_config_static_selectorELNS0_4arch9wavefront6targetE1EEEvSL_
	.globl	_ZN7rocprim17ROCPRIM_400000_NS6detail17trampoline_kernelINS0_14default_configENS1_22reduce_config_selectorIiEEZNS1_11reduce_implILb1ES3_N6thrust23THRUST_200600_302600_NS11hip_rocprim35transform_pair_of_input_iterators_tIiPaSB_NS8_12not_equal_toIaEEEEPiiNS8_4plusIiEEEE10hipError_tPvRmT1_T2_T3_mT4_P12ihipStream_tbEUlT_E1_NS1_11comp_targetILNS1_3genE8ELNS1_11target_archE1030ELNS1_3gpuE2ELNS1_3repE0EEENS1_30default_config_static_selectorELNS0_4arch9wavefront6targetE1EEEvSL_
	.p2align	8
	.type	_ZN7rocprim17ROCPRIM_400000_NS6detail17trampoline_kernelINS0_14default_configENS1_22reduce_config_selectorIiEEZNS1_11reduce_implILb1ES3_N6thrust23THRUST_200600_302600_NS11hip_rocprim35transform_pair_of_input_iterators_tIiPaSB_NS8_12not_equal_toIaEEEEPiiNS8_4plusIiEEEE10hipError_tPvRmT1_T2_T3_mT4_P12ihipStream_tbEUlT_E1_NS1_11comp_targetILNS1_3genE8ELNS1_11target_archE1030ELNS1_3gpuE2ELNS1_3repE0EEENS1_30default_config_static_selectorELNS0_4arch9wavefront6targetE1EEEvSL_,@function
_ZN7rocprim17ROCPRIM_400000_NS6detail17trampoline_kernelINS0_14default_configENS1_22reduce_config_selectorIiEEZNS1_11reduce_implILb1ES3_N6thrust23THRUST_200600_302600_NS11hip_rocprim35transform_pair_of_input_iterators_tIiPaSB_NS8_12not_equal_toIaEEEEPiiNS8_4plusIiEEEE10hipError_tPvRmT1_T2_T3_mT4_P12ihipStream_tbEUlT_E1_NS1_11comp_targetILNS1_3genE8ELNS1_11target_archE1030ELNS1_3gpuE2ELNS1_3repE0EEENS1_30default_config_static_selectorELNS0_4arch9wavefront6targetE1EEEvSL_: ; @_ZN7rocprim17ROCPRIM_400000_NS6detail17trampoline_kernelINS0_14default_configENS1_22reduce_config_selectorIiEEZNS1_11reduce_implILb1ES3_N6thrust23THRUST_200600_302600_NS11hip_rocprim35transform_pair_of_input_iterators_tIiPaSB_NS8_12not_equal_toIaEEEEPiiNS8_4plusIiEEEE10hipError_tPvRmT1_T2_T3_mT4_P12ihipStream_tbEUlT_E1_NS1_11comp_targetILNS1_3genE8ELNS1_11target_archE1030ELNS1_3gpuE2ELNS1_3repE0EEENS1_30default_config_static_selectorELNS0_4arch9wavefront6targetE1EEEvSL_
; %bb.0:
	.section	.rodata,"a",@progbits
	.p2align	6, 0x0
	.amdhsa_kernel _ZN7rocprim17ROCPRIM_400000_NS6detail17trampoline_kernelINS0_14default_configENS1_22reduce_config_selectorIiEEZNS1_11reduce_implILb1ES3_N6thrust23THRUST_200600_302600_NS11hip_rocprim35transform_pair_of_input_iterators_tIiPaSB_NS8_12not_equal_toIaEEEEPiiNS8_4plusIiEEEE10hipError_tPvRmT1_T2_T3_mT4_P12ihipStream_tbEUlT_E1_NS1_11comp_targetILNS1_3genE8ELNS1_11target_archE1030ELNS1_3gpuE2ELNS1_3repE0EEENS1_30default_config_static_selectorELNS0_4arch9wavefront6targetE1EEEvSL_
		.amdhsa_group_segment_fixed_size 0
		.amdhsa_private_segment_fixed_size 0
		.amdhsa_kernarg_size 56
		.amdhsa_user_sgpr_count 6
		.amdhsa_user_sgpr_private_segment_buffer 1
		.amdhsa_user_sgpr_dispatch_ptr 0
		.amdhsa_user_sgpr_queue_ptr 0
		.amdhsa_user_sgpr_kernarg_segment_ptr 1
		.amdhsa_user_sgpr_dispatch_id 0
		.amdhsa_user_sgpr_flat_scratch_init 0
		.amdhsa_user_sgpr_kernarg_preload_length 0
		.amdhsa_user_sgpr_kernarg_preload_offset 0
		.amdhsa_user_sgpr_private_segment_size 0
		.amdhsa_uses_dynamic_stack 0
		.amdhsa_system_sgpr_private_segment_wavefront_offset 0
		.amdhsa_system_sgpr_workgroup_id_x 1
		.amdhsa_system_sgpr_workgroup_id_y 0
		.amdhsa_system_sgpr_workgroup_id_z 0
		.amdhsa_system_sgpr_workgroup_info 0
		.amdhsa_system_vgpr_workitem_id 0
		.amdhsa_next_free_vgpr 1
		.amdhsa_next_free_sgpr 0
		.amdhsa_accum_offset 4
		.amdhsa_reserve_vcc 0
		.amdhsa_reserve_flat_scratch 0
		.amdhsa_float_round_mode_32 0
		.amdhsa_float_round_mode_16_64 0
		.amdhsa_float_denorm_mode_32 3
		.amdhsa_float_denorm_mode_16_64 3
		.amdhsa_dx10_clamp 1
		.amdhsa_ieee_mode 1
		.amdhsa_fp16_overflow 0
		.amdhsa_tg_split 0
		.amdhsa_exception_fp_ieee_invalid_op 0
		.amdhsa_exception_fp_denorm_src 0
		.amdhsa_exception_fp_ieee_div_zero 0
		.amdhsa_exception_fp_ieee_overflow 0
		.amdhsa_exception_fp_ieee_underflow 0
		.amdhsa_exception_fp_ieee_inexact 0
		.amdhsa_exception_int_div_zero 0
	.end_amdhsa_kernel
	.section	.text._ZN7rocprim17ROCPRIM_400000_NS6detail17trampoline_kernelINS0_14default_configENS1_22reduce_config_selectorIiEEZNS1_11reduce_implILb1ES3_N6thrust23THRUST_200600_302600_NS11hip_rocprim35transform_pair_of_input_iterators_tIiPaSB_NS8_12not_equal_toIaEEEEPiiNS8_4plusIiEEEE10hipError_tPvRmT1_T2_T3_mT4_P12ihipStream_tbEUlT_E1_NS1_11comp_targetILNS1_3genE8ELNS1_11target_archE1030ELNS1_3gpuE2ELNS1_3repE0EEENS1_30default_config_static_selectorELNS0_4arch9wavefront6targetE1EEEvSL_,"axG",@progbits,_ZN7rocprim17ROCPRIM_400000_NS6detail17trampoline_kernelINS0_14default_configENS1_22reduce_config_selectorIiEEZNS1_11reduce_implILb1ES3_N6thrust23THRUST_200600_302600_NS11hip_rocprim35transform_pair_of_input_iterators_tIiPaSB_NS8_12not_equal_toIaEEEEPiiNS8_4plusIiEEEE10hipError_tPvRmT1_T2_T3_mT4_P12ihipStream_tbEUlT_E1_NS1_11comp_targetILNS1_3genE8ELNS1_11target_archE1030ELNS1_3gpuE2ELNS1_3repE0EEENS1_30default_config_static_selectorELNS0_4arch9wavefront6targetE1EEEvSL_,comdat
.Lfunc_end671:
	.size	_ZN7rocprim17ROCPRIM_400000_NS6detail17trampoline_kernelINS0_14default_configENS1_22reduce_config_selectorIiEEZNS1_11reduce_implILb1ES3_N6thrust23THRUST_200600_302600_NS11hip_rocprim35transform_pair_of_input_iterators_tIiPaSB_NS8_12not_equal_toIaEEEEPiiNS8_4plusIiEEEE10hipError_tPvRmT1_T2_T3_mT4_P12ihipStream_tbEUlT_E1_NS1_11comp_targetILNS1_3genE8ELNS1_11target_archE1030ELNS1_3gpuE2ELNS1_3repE0EEENS1_30default_config_static_selectorELNS0_4arch9wavefront6targetE1EEEvSL_, .Lfunc_end671-_ZN7rocprim17ROCPRIM_400000_NS6detail17trampoline_kernelINS0_14default_configENS1_22reduce_config_selectorIiEEZNS1_11reduce_implILb1ES3_N6thrust23THRUST_200600_302600_NS11hip_rocprim35transform_pair_of_input_iterators_tIiPaSB_NS8_12not_equal_toIaEEEEPiiNS8_4plusIiEEEE10hipError_tPvRmT1_T2_T3_mT4_P12ihipStream_tbEUlT_E1_NS1_11comp_targetILNS1_3genE8ELNS1_11target_archE1030ELNS1_3gpuE2ELNS1_3repE0EEENS1_30default_config_static_selectorELNS0_4arch9wavefront6targetE1EEEvSL_
                                        ; -- End function
	.section	.AMDGPU.csdata,"",@progbits
; Kernel info:
; codeLenInByte = 0
; NumSgprs: 4
; NumVgprs: 0
; NumAgprs: 0
; TotalNumVgprs: 0
; ScratchSize: 0
; MemoryBound: 0
; FloatMode: 240
; IeeeMode: 1
; LDSByteSize: 0 bytes/workgroup (compile time only)
; SGPRBlocks: 0
; VGPRBlocks: 0
; NumSGPRsForWavesPerEU: 4
; NumVGPRsForWavesPerEU: 1
; AccumOffset: 4
; Occupancy: 8
; WaveLimiterHint : 0
; COMPUTE_PGM_RSRC2:SCRATCH_EN: 0
; COMPUTE_PGM_RSRC2:USER_SGPR: 6
; COMPUTE_PGM_RSRC2:TRAP_HANDLER: 0
; COMPUTE_PGM_RSRC2:TGID_X_EN: 1
; COMPUTE_PGM_RSRC2:TGID_Y_EN: 0
; COMPUTE_PGM_RSRC2:TGID_Z_EN: 0
; COMPUTE_PGM_RSRC2:TIDIG_COMP_CNT: 0
; COMPUTE_PGM_RSRC3_GFX90A:ACCUM_OFFSET: 0
; COMPUTE_PGM_RSRC3_GFX90A:TG_SPLIT: 0
	.section	.text._ZN7rocprim17ROCPRIM_400000_NS6detail17trampoline_kernelINS0_14default_configENS1_29reduce_by_key_config_selectorIalN6thrust23THRUST_200600_302600_NS4plusIlEEEEZZNS1_33reduce_by_key_impl_wrapped_configILNS1_25lookback_scan_determinismE0ES3_S9_PaNS6_17constant_iteratorIiNS6_11use_defaultESE_EENS6_10device_ptrIaEENSG_IlEEPmS8_NS6_8equal_toIaEEEE10hipError_tPvRmT2_T3_mT4_T5_T6_T7_T8_P12ihipStream_tbENKUlT_T0_E_clISt17integral_constantIbLb0EES13_EEDaSY_SZ_EUlSY_E_NS1_11comp_targetILNS1_3genE0ELNS1_11target_archE4294967295ELNS1_3gpuE0ELNS1_3repE0EEENS1_30default_config_static_selectorELNS0_4arch9wavefront6targetE1EEEvT1_,"axG",@progbits,_ZN7rocprim17ROCPRIM_400000_NS6detail17trampoline_kernelINS0_14default_configENS1_29reduce_by_key_config_selectorIalN6thrust23THRUST_200600_302600_NS4plusIlEEEEZZNS1_33reduce_by_key_impl_wrapped_configILNS1_25lookback_scan_determinismE0ES3_S9_PaNS6_17constant_iteratorIiNS6_11use_defaultESE_EENS6_10device_ptrIaEENSG_IlEEPmS8_NS6_8equal_toIaEEEE10hipError_tPvRmT2_T3_mT4_T5_T6_T7_T8_P12ihipStream_tbENKUlT_T0_E_clISt17integral_constantIbLb0EES13_EEDaSY_SZ_EUlSY_E_NS1_11comp_targetILNS1_3genE0ELNS1_11target_archE4294967295ELNS1_3gpuE0ELNS1_3repE0EEENS1_30default_config_static_selectorELNS0_4arch9wavefront6targetE1EEEvT1_,comdat
	.protected	_ZN7rocprim17ROCPRIM_400000_NS6detail17trampoline_kernelINS0_14default_configENS1_29reduce_by_key_config_selectorIalN6thrust23THRUST_200600_302600_NS4plusIlEEEEZZNS1_33reduce_by_key_impl_wrapped_configILNS1_25lookback_scan_determinismE0ES3_S9_PaNS6_17constant_iteratorIiNS6_11use_defaultESE_EENS6_10device_ptrIaEENSG_IlEEPmS8_NS6_8equal_toIaEEEE10hipError_tPvRmT2_T3_mT4_T5_T6_T7_T8_P12ihipStream_tbENKUlT_T0_E_clISt17integral_constantIbLb0EES13_EEDaSY_SZ_EUlSY_E_NS1_11comp_targetILNS1_3genE0ELNS1_11target_archE4294967295ELNS1_3gpuE0ELNS1_3repE0EEENS1_30default_config_static_selectorELNS0_4arch9wavefront6targetE1EEEvT1_ ; -- Begin function _ZN7rocprim17ROCPRIM_400000_NS6detail17trampoline_kernelINS0_14default_configENS1_29reduce_by_key_config_selectorIalN6thrust23THRUST_200600_302600_NS4plusIlEEEEZZNS1_33reduce_by_key_impl_wrapped_configILNS1_25lookback_scan_determinismE0ES3_S9_PaNS6_17constant_iteratorIiNS6_11use_defaultESE_EENS6_10device_ptrIaEENSG_IlEEPmS8_NS6_8equal_toIaEEEE10hipError_tPvRmT2_T3_mT4_T5_T6_T7_T8_P12ihipStream_tbENKUlT_T0_E_clISt17integral_constantIbLb0EES13_EEDaSY_SZ_EUlSY_E_NS1_11comp_targetILNS1_3genE0ELNS1_11target_archE4294967295ELNS1_3gpuE0ELNS1_3repE0EEENS1_30default_config_static_selectorELNS0_4arch9wavefront6targetE1EEEvT1_
	.globl	_ZN7rocprim17ROCPRIM_400000_NS6detail17trampoline_kernelINS0_14default_configENS1_29reduce_by_key_config_selectorIalN6thrust23THRUST_200600_302600_NS4plusIlEEEEZZNS1_33reduce_by_key_impl_wrapped_configILNS1_25lookback_scan_determinismE0ES3_S9_PaNS6_17constant_iteratorIiNS6_11use_defaultESE_EENS6_10device_ptrIaEENSG_IlEEPmS8_NS6_8equal_toIaEEEE10hipError_tPvRmT2_T3_mT4_T5_T6_T7_T8_P12ihipStream_tbENKUlT_T0_E_clISt17integral_constantIbLb0EES13_EEDaSY_SZ_EUlSY_E_NS1_11comp_targetILNS1_3genE0ELNS1_11target_archE4294967295ELNS1_3gpuE0ELNS1_3repE0EEENS1_30default_config_static_selectorELNS0_4arch9wavefront6targetE1EEEvT1_
	.p2align	8
	.type	_ZN7rocprim17ROCPRIM_400000_NS6detail17trampoline_kernelINS0_14default_configENS1_29reduce_by_key_config_selectorIalN6thrust23THRUST_200600_302600_NS4plusIlEEEEZZNS1_33reduce_by_key_impl_wrapped_configILNS1_25lookback_scan_determinismE0ES3_S9_PaNS6_17constant_iteratorIiNS6_11use_defaultESE_EENS6_10device_ptrIaEENSG_IlEEPmS8_NS6_8equal_toIaEEEE10hipError_tPvRmT2_T3_mT4_T5_T6_T7_T8_P12ihipStream_tbENKUlT_T0_E_clISt17integral_constantIbLb0EES13_EEDaSY_SZ_EUlSY_E_NS1_11comp_targetILNS1_3genE0ELNS1_11target_archE4294967295ELNS1_3gpuE0ELNS1_3repE0EEENS1_30default_config_static_selectorELNS0_4arch9wavefront6targetE1EEEvT1_,@function
_ZN7rocprim17ROCPRIM_400000_NS6detail17trampoline_kernelINS0_14default_configENS1_29reduce_by_key_config_selectorIalN6thrust23THRUST_200600_302600_NS4plusIlEEEEZZNS1_33reduce_by_key_impl_wrapped_configILNS1_25lookback_scan_determinismE0ES3_S9_PaNS6_17constant_iteratorIiNS6_11use_defaultESE_EENS6_10device_ptrIaEENSG_IlEEPmS8_NS6_8equal_toIaEEEE10hipError_tPvRmT2_T3_mT4_T5_T6_T7_T8_P12ihipStream_tbENKUlT_T0_E_clISt17integral_constantIbLb0EES13_EEDaSY_SZ_EUlSY_E_NS1_11comp_targetILNS1_3genE0ELNS1_11target_archE4294967295ELNS1_3gpuE0ELNS1_3repE0EEENS1_30default_config_static_selectorELNS0_4arch9wavefront6targetE1EEEvT1_: ; @_ZN7rocprim17ROCPRIM_400000_NS6detail17trampoline_kernelINS0_14default_configENS1_29reduce_by_key_config_selectorIalN6thrust23THRUST_200600_302600_NS4plusIlEEEEZZNS1_33reduce_by_key_impl_wrapped_configILNS1_25lookback_scan_determinismE0ES3_S9_PaNS6_17constant_iteratorIiNS6_11use_defaultESE_EENS6_10device_ptrIaEENSG_IlEEPmS8_NS6_8equal_toIaEEEE10hipError_tPvRmT2_T3_mT4_T5_T6_T7_T8_P12ihipStream_tbENKUlT_T0_E_clISt17integral_constantIbLb0EES13_EEDaSY_SZ_EUlSY_E_NS1_11comp_targetILNS1_3genE0ELNS1_11target_archE4294967295ELNS1_3gpuE0ELNS1_3repE0EEENS1_30default_config_static_selectorELNS0_4arch9wavefront6targetE1EEEvT1_
; %bb.0:
	.section	.rodata,"a",@progbits
	.p2align	6, 0x0
	.amdhsa_kernel _ZN7rocprim17ROCPRIM_400000_NS6detail17trampoline_kernelINS0_14default_configENS1_29reduce_by_key_config_selectorIalN6thrust23THRUST_200600_302600_NS4plusIlEEEEZZNS1_33reduce_by_key_impl_wrapped_configILNS1_25lookback_scan_determinismE0ES3_S9_PaNS6_17constant_iteratorIiNS6_11use_defaultESE_EENS6_10device_ptrIaEENSG_IlEEPmS8_NS6_8equal_toIaEEEE10hipError_tPvRmT2_T3_mT4_T5_T6_T7_T8_P12ihipStream_tbENKUlT_T0_E_clISt17integral_constantIbLb0EES13_EEDaSY_SZ_EUlSY_E_NS1_11comp_targetILNS1_3genE0ELNS1_11target_archE4294967295ELNS1_3gpuE0ELNS1_3repE0EEENS1_30default_config_static_selectorELNS0_4arch9wavefront6targetE1EEEvT1_
		.amdhsa_group_segment_fixed_size 0
		.amdhsa_private_segment_fixed_size 0
		.amdhsa_kernarg_size 144
		.amdhsa_user_sgpr_count 6
		.amdhsa_user_sgpr_private_segment_buffer 1
		.amdhsa_user_sgpr_dispatch_ptr 0
		.amdhsa_user_sgpr_queue_ptr 0
		.amdhsa_user_sgpr_kernarg_segment_ptr 1
		.amdhsa_user_sgpr_dispatch_id 0
		.amdhsa_user_sgpr_flat_scratch_init 0
		.amdhsa_user_sgpr_kernarg_preload_length 0
		.amdhsa_user_sgpr_kernarg_preload_offset 0
		.amdhsa_user_sgpr_private_segment_size 0
		.amdhsa_uses_dynamic_stack 0
		.amdhsa_system_sgpr_private_segment_wavefront_offset 0
		.amdhsa_system_sgpr_workgroup_id_x 1
		.amdhsa_system_sgpr_workgroup_id_y 0
		.amdhsa_system_sgpr_workgroup_id_z 0
		.amdhsa_system_sgpr_workgroup_info 0
		.amdhsa_system_vgpr_workitem_id 0
		.amdhsa_next_free_vgpr 1
		.amdhsa_next_free_sgpr 0
		.amdhsa_accum_offset 4
		.amdhsa_reserve_vcc 0
		.amdhsa_reserve_flat_scratch 0
		.amdhsa_float_round_mode_32 0
		.amdhsa_float_round_mode_16_64 0
		.amdhsa_float_denorm_mode_32 3
		.amdhsa_float_denorm_mode_16_64 3
		.amdhsa_dx10_clamp 1
		.amdhsa_ieee_mode 1
		.amdhsa_fp16_overflow 0
		.amdhsa_tg_split 0
		.amdhsa_exception_fp_ieee_invalid_op 0
		.amdhsa_exception_fp_denorm_src 0
		.amdhsa_exception_fp_ieee_div_zero 0
		.amdhsa_exception_fp_ieee_overflow 0
		.amdhsa_exception_fp_ieee_underflow 0
		.amdhsa_exception_fp_ieee_inexact 0
		.amdhsa_exception_int_div_zero 0
	.end_amdhsa_kernel
	.section	.text._ZN7rocprim17ROCPRIM_400000_NS6detail17trampoline_kernelINS0_14default_configENS1_29reduce_by_key_config_selectorIalN6thrust23THRUST_200600_302600_NS4plusIlEEEEZZNS1_33reduce_by_key_impl_wrapped_configILNS1_25lookback_scan_determinismE0ES3_S9_PaNS6_17constant_iteratorIiNS6_11use_defaultESE_EENS6_10device_ptrIaEENSG_IlEEPmS8_NS6_8equal_toIaEEEE10hipError_tPvRmT2_T3_mT4_T5_T6_T7_T8_P12ihipStream_tbENKUlT_T0_E_clISt17integral_constantIbLb0EES13_EEDaSY_SZ_EUlSY_E_NS1_11comp_targetILNS1_3genE0ELNS1_11target_archE4294967295ELNS1_3gpuE0ELNS1_3repE0EEENS1_30default_config_static_selectorELNS0_4arch9wavefront6targetE1EEEvT1_,"axG",@progbits,_ZN7rocprim17ROCPRIM_400000_NS6detail17trampoline_kernelINS0_14default_configENS1_29reduce_by_key_config_selectorIalN6thrust23THRUST_200600_302600_NS4plusIlEEEEZZNS1_33reduce_by_key_impl_wrapped_configILNS1_25lookback_scan_determinismE0ES3_S9_PaNS6_17constant_iteratorIiNS6_11use_defaultESE_EENS6_10device_ptrIaEENSG_IlEEPmS8_NS6_8equal_toIaEEEE10hipError_tPvRmT2_T3_mT4_T5_T6_T7_T8_P12ihipStream_tbENKUlT_T0_E_clISt17integral_constantIbLb0EES13_EEDaSY_SZ_EUlSY_E_NS1_11comp_targetILNS1_3genE0ELNS1_11target_archE4294967295ELNS1_3gpuE0ELNS1_3repE0EEENS1_30default_config_static_selectorELNS0_4arch9wavefront6targetE1EEEvT1_,comdat
.Lfunc_end672:
	.size	_ZN7rocprim17ROCPRIM_400000_NS6detail17trampoline_kernelINS0_14default_configENS1_29reduce_by_key_config_selectorIalN6thrust23THRUST_200600_302600_NS4plusIlEEEEZZNS1_33reduce_by_key_impl_wrapped_configILNS1_25lookback_scan_determinismE0ES3_S9_PaNS6_17constant_iteratorIiNS6_11use_defaultESE_EENS6_10device_ptrIaEENSG_IlEEPmS8_NS6_8equal_toIaEEEE10hipError_tPvRmT2_T3_mT4_T5_T6_T7_T8_P12ihipStream_tbENKUlT_T0_E_clISt17integral_constantIbLb0EES13_EEDaSY_SZ_EUlSY_E_NS1_11comp_targetILNS1_3genE0ELNS1_11target_archE4294967295ELNS1_3gpuE0ELNS1_3repE0EEENS1_30default_config_static_selectorELNS0_4arch9wavefront6targetE1EEEvT1_, .Lfunc_end672-_ZN7rocprim17ROCPRIM_400000_NS6detail17trampoline_kernelINS0_14default_configENS1_29reduce_by_key_config_selectorIalN6thrust23THRUST_200600_302600_NS4plusIlEEEEZZNS1_33reduce_by_key_impl_wrapped_configILNS1_25lookback_scan_determinismE0ES3_S9_PaNS6_17constant_iteratorIiNS6_11use_defaultESE_EENS6_10device_ptrIaEENSG_IlEEPmS8_NS6_8equal_toIaEEEE10hipError_tPvRmT2_T3_mT4_T5_T6_T7_T8_P12ihipStream_tbENKUlT_T0_E_clISt17integral_constantIbLb0EES13_EEDaSY_SZ_EUlSY_E_NS1_11comp_targetILNS1_3genE0ELNS1_11target_archE4294967295ELNS1_3gpuE0ELNS1_3repE0EEENS1_30default_config_static_selectorELNS0_4arch9wavefront6targetE1EEEvT1_
                                        ; -- End function
	.section	.AMDGPU.csdata,"",@progbits
; Kernel info:
; codeLenInByte = 0
; NumSgprs: 4
; NumVgprs: 0
; NumAgprs: 0
; TotalNumVgprs: 0
; ScratchSize: 0
; MemoryBound: 0
; FloatMode: 240
; IeeeMode: 1
; LDSByteSize: 0 bytes/workgroup (compile time only)
; SGPRBlocks: 0
; VGPRBlocks: 0
; NumSGPRsForWavesPerEU: 4
; NumVGPRsForWavesPerEU: 1
; AccumOffset: 4
; Occupancy: 8
; WaveLimiterHint : 0
; COMPUTE_PGM_RSRC2:SCRATCH_EN: 0
; COMPUTE_PGM_RSRC2:USER_SGPR: 6
; COMPUTE_PGM_RSRC2:TRAP_HANDLER: 0
; COMPUTE_PGM_RSRC2:TGID_X_EN: 1
; COMPUTE_PGM_RSRC2:TGID_Y_EN: 0
; COMPUTE_PGM_RSRC2:TGID_Z_EN: 0
; COMPUTE_PGM_RSRC2:TIDIG_COMP_CNT: 0
; COMPUTE_PGM_RSRC3_GFX90A:ACCUM_OFFSET: 0
; COMPUTE_PGM_RSRC3_GFX90A:TG_SPLIT: 0
	.section	.text._ZN7rocprim17ROCPRIM_400000_NS6detail17trampoline_kernelINS0_14default_configENS1_29reduce_by_key_config_selectorIalN6thrust23THRUST_200600_302600_NS4plusIlEEEEZZNS1_33reduce_by_key_impl_wrapped_configILNS1_25lookback_scan_determinismE0ES3_S9_PaNS6_17constant_iteratorIiNS6_11use_defaultESE_EENS6_10device_ptrIaEENSG_IlEEPmS8_NS6_8equal_toIaEEEE10hipError_tPvRmT2_T3_mT4_T5_T6_T7_T8_P12ihipStream_tbENKUlT_T0_E_clISt17integral_constantIbLb0EES13_EEDaSY_SZ_EUlSY_E_NS1_11comp_targetILNS1_3genE5ELNS1_11target_archE942ELNS1_3gpuE9ELNS1_3repE0EEENS1_30default_config_static_selectorELNS0_4arch9wavefront6targetE1EEEvT1_,"axG",@progbits,_ZN7rocprim17ROCPRIM_400000_NS6detail17trampoline_kernelINS0_14default_configENS1_29reduce_by_key_config_selectorIalN6thrust23THRUST_200600_302600_NS4plusIlEEEEZZNS1_33reduce_by_key_impl_wrapped_configILNS1_25lookback_scan_determinismE0ES3_S9_PaNS6_17constant_iteratorIiNS6_11use_defaultESE_EENS6_10device_ptrIaEENSG_IlEEPmS8_NS6_8equal_toIaEEEE10hipError_tPvRmT2_T3_mT4_T5_T6_T7_T8_P12ihipStream_tbENKUlT_T0_E_clISt17integral_constantIbLb0EES13_EEDaSY_SZ_EUlSY_E_NS1_11comp_targetILNS1_3genE5ELNS1_11target_archE942ELNS1_3gpuE9ELNS1_3repE0EEENS1_30default_config_static_selectorELNS0_4arch9wavefront6targetE1EEEvT1_,comdat
	.protected	_ZN7rocprim17ROCPRIM_400000_NS6detail17trampoline_kernelINS0_14default_configENS1_29reduce_by_key_config_selectorIalN6thrust23THRUST_200600_302600_NS4plusIlEEEEZZNS1_33reduce_by_key_impl_wrapped_configILNS1_25lookback_scan_determinismE0ES3_S9_PaNS6_17constant_iteratorIiNS6_11use_defaultESE_EENS6_10device_ptrIaEENSG_IlEEPmS8_NS6_8equal_toIaEEEE10hipError_tPvRmT2_T3_mT4_T5_T6_T7_T8_P12ihipStream_tbENKUlT_T0_E_clISt17integral_constantIbLb0EES13_EEDaSY_SZ_EUlSY_E_NS1_11comp_targetILNS1_3genE5ELNS1_11target_archE942ELNS1_3gpuE9ELNS1_3repE0EEENS1_30default_config_static_selectorELNS0_4arch9wavefront6targetE1EEEvT1_ ; -- Begin function _ZN7rocprim17ROCPRIM_400000_NS6detail17trampoline_kernelINS0_14default_configENS1_29reduce_by_key_config_selectorIalN6thrust23THRUST_200600_302600_NS4plusIlEEEEZZNS1_33reduce_by_key_impl_wrapped_configILNS1_25lookback_scan_determinismE0ES3_S9_PaNS6_17constant_iteratorIiNS6_11use_defaultESE_EENS6_10device_ptrIaEENSG_IlEEPmS8_NS6_8equal_toIaEEEE10hipError_tPvRmT2_T3_mT4_T5_T6_T7_T8_P12ihipStream_tbENKUlT_T0_E_clISt17integral_constantIbLb0EES13_EEDaSY_SZ_EUlSY_E_NS1_11comp_targetILNS1_3genE5ELNS1_11target_archE942ELNS1_3gpuE9ELNS1_3repE0EEENS1_30default_config_static_selectorELNS0_4arch9wavefront6targetE1EEEvT1_
	.globl	_ZN7rocprim17ROCPRIM_400000_NS6detail17trampoline_kernelINS0_14default_configENS1_29reduce_by_key_config_selectorIalN6thrust23THRUST_200600_302600_NS4plusIlEEEEZZNS1_33reduce_by_key_impl_wrapped_configILNS1_25lookback_scan_determinismE0ES3_S9_PaNS6_17constant_iteratorIiNS6_11use_defaultESE_EENS6_10device_ptrIaEENSG_IlEEPmS8_NS6_8equal_toIaEEEE10hipError_tPvRmT2_T3_mT4_T5_T6_T7_T8_P12ihipStream_tbENKUlT_T0_E_clISt17integral_constantIbLb0EES13_EEDaSY_SZ_EUlSY_E_NS1_11comp_targetILNS1_3genE5ELNS1_11target_archE942ELNS1_3gpuE9ELNS1_3repE0EEENS1_30default_config_static_selectorELNS0_4arch9wavefront6targetE1EEEvT1_
	.p2align	8
	.type	_ZN7rocprim17ROCPRIM_400000_NS6detail17trampoline_kernelINS0_14default_configENS1_29reduce_by_key_config_selectorIalN6thrust23THRUST_200600_302600_NS4plusIlEEEEZZNS1_33reduce_by_key_impl_wrapped_configILNS1_25lookback_scan_determinismE0ES3_S9_PaNS6_17constant_iteratorIiNS6_11use_defaultESE_EENS6_10device_ptrIaEENSG_IlEEPmS8_NS6_8equal_toIaEEEE10hipError_tPvRmT2_T3_mT4_T5_T6_T7_T8_P12ihipStream_tbENKUlT_T0_E_clISt17integral_constantIbLb0EES13_EEDaSY_SZ_EUlSY_E_NS1_11comp_targetILNS1_3genE5ELNS1_11target_archE942ELNS1_3gpuE9ELNS1_3repE0EEENS1_30default_config_static_selectorELNS0_4arch9wavefront6targetE1EEEvT1_,@function
_ZN7rocprim17ROCPRIM_400000_NS6detail17trampoline_kernelINS0_14default_configENS1_29reduce_by_key_config_selectorIalN6thrust23THRUST_200600_302600_NS4plusIlEEEEZZNS1_33reduce_by_key_impl_wrapped_configILNS1_25lookback_scan_determinismE0ES3_S9_PaNS6_17constant_iteratorIiNS6_11use_defaultESE_EENS6_10device_ptrIaEENSG_IlEEPmS8_NS6_8equal_toIaEEEE10hipError_tPvRmT2_T3_mT4_T5_T6_T7_T8_P12ihipStream_tbENKUlT_T0_E_clISt17integral_constantIbLb0EES13_EEDaSY_SZ_EUlSY_E_NS1_11comp_targetILNS1_3genE5ELNS1_11target_archE942ELNS1_3gpuE9ELNS1_3repE0EEENS1_30default_config_static_selectorELNS0_4arch9wavefront6targetE1EEEvT1_: ; @_ZN7rocprim17ROCPRIM_400000_NS6detail17trampoline_kernelINS0_14default_configENS1_29reduce_by_key_config_selectorIalN6thrust23THRUST_200600_302600_NS4plusIlEEEEZZNS1_33reduce_by_key_impl_wrapped_configILNS1_25lookback_scan_determinismE0ES3_S9_PaNS6_17constant_iteratorIiNS6_11use_defaultESE_EENS6_10device_ptrIaEENSG_IlEEPmS8_NS6_8equal_toIaEEEE10hipError_tPvRmT2_T3_mT4_T5_T6_T7_T8_P12ihipStream_tbENKUlT_T0_E_clISt17integral_constantIbLb0EES13_EEDaSY_SZ_EUlSY_E_NS1_11comp_targetILNS1_3genE5ELNS1_11target_archE942ELNS1_3gpuE9ELNS1_3repE0EEENS1_30default_config_static_selectorELNS0_4arch9wavefront6targetE1EEEvT1_
; %bb.0:
	.section	.rodata,"a",@progbits
	.p2align	6, 0x0
	.amdhsa_kernel _ZN7rocprim17ROCPRIM_400000_NS6detail17trampoline_kernelINS0_14default_configENS1_29reduce_by_key_config_selectorIalN6thrust23THRUST_200600_302600_NS4plusIlEEEEZZNS1_33reduce_by_key_impl_wrapped_configILNS1_25lookback_scan_determinismE0ES3_S9_PaNS6_17constant_iteratorIiNS6_11use_defaultESE_EENS6_10device_ptrIaEENSG_IlEEPmS8_NS6_8equal_toIaEEEE10hipError_tPvRmT2_T3_mT4_T5_T6_T7_T8_P12ihipStream_tbENKUlT_T0_E_clISt17integral_constantIbLb0EES13_EEDaSY_SZ_EUlSY_E_NS1_11comp_targetILNS1_3genE5ELNS1_11target_archE942ELNS1_3gpuE9ELNS1_3repE0EEENS1_30default_config_static_selectorELNS0_4arch9wavefront6targetE1EEEvT1_
		.amdhsa_group_segment_fixed_size 0
		.amdhsa_private_segment_fixed_size 0
		.amdhsa_kernarg_size 144
		.amdhsa_user_sgpr_count 6
		.amdhsa_user_sgpr_private_segment_buffer 1
		.amdhsa_user_sgpr_dispatch_ptr 0
		.amdhsa_user_sgpr_queue_ptr 0
		.amdhsa_user_sgpr_kernarg_segment_ptr 1
		.amdhsa_user_sgpr_dispatch_id 0
		.amdhsa_user_sgpr_flat_scratch_init 0
		.amdhsa_user_sgpr_kernarg_preload_length 0
		.amdhsa_user_sgpr_kernarg_preload_offset 0
		.amdhsa_user_sgpr_private_segment_size 0
		.amdhsa_uses_dynamic_stack 0
		.amdhsa_system_sgpr_private_segment_wavefront_offset 0
		.amdhsa_system_sgpr_workgroup_id_x 1
		.amdhsa_system_sgpr_workgroup_id_y 0
		.amdhsa_system_sgpr_workgroup_id_z 0
		.amdhsa_system_sgpr_workgroup_info 0
		.amdhsa_system_vgpr_workitem_id 0
		.amdhsa_next_free_vgpr 1
		.amdhsa_next_free_sgpr 0
		.amdhsa_accum_offset 4
		.amdhsa_reserve_vcc 0
		.amdhsa_reserve_flat_scratch 0
		.amdhsa_float_round_mode_32 0
		.amdhsa_float_round_mode_16_64 0
		.amdhsa_float_denorm_mode_32 3
		.amdhsa_float_denorm_mode_16_64 3
		.amdhsa_dx10_clamp 1
		.amdhsa_ieee_mode 1
		.amdhsa_fp16_overflow 0
		.amdhsa_tg_split 0
		.amdhsa_exception_fp_ieee_invalid_op 0
		.amdhsa_exception_fp_denorm_src 0
		.amdhsa_exception_fp_ieee_div_zero 0
		.amdhsa_exception_fp_ieee_overflow 0
		.amdhsa_exception_fp_ieee_underflow 0
		.amdhsa_exception_fp_ieee_inexact 0
		.amdhsa_exception_int_div_zero 0
	.end_amdhsa_kernel
	.section	.text._ZN7rocprim17ROCPRIM_400000_NS6detail17trampoline_kernelINS0_14default_configENS1_29reduce_by_key_config_selectorIalN6thrust23THRUST_200600_302600_NS4plusIlEEEEZZNS1_33reduce_by_key_impl_wrapped_configILNS1_25lookback_scan_determinismE0ES3_S9_PaNS6_17constant_iteratorIiNS6_11use_defaultESE_EENS6_10device_ptrIaEENSG_IlEEPmS8_NS6_8equal_toIaEEEE10hipError_tPvRmT2_T3_mT4_T5_T6_T7_T8_P12ihipStream_tbENKUlT_T0_E_clISt17integral_constantIbLb0EES13_EEDaSY_SZ_EUlSY_E_NS1_11comp_targetILNS1_3genE5ELNS1_11target_archE942ELNS1_3gpuE9ELNS1_3repE0EEENS1_30default_config_static_selectorELNS0_4arch9wavefront6targetE1EEEvT1_,"axG",@progbits,_ZN7rocprim17ROCPRIM_400000_NS6detail17trampoline_kernelINS0_14default_configENS1_29reduce_by_key_config_selectorIalN6thrust23THRUST_200600_302600_NS4plusIlEEEEZZNS1_33reduce_by_key_impl_wrapped_configILNS1_25lookback_scan_determinismE0ES3_S9_PaNS6_17constant_iteratorIiNS6_11use_defaultESE_EENS6_10device_ptrIaEENSG_IlEEPmS8_NS6_8equal_toIaEEEE10hipError_tPvRmT2_T3_mT4_T5_T6_T7_T8_P12ihipStream_tbENKUlT_T0_E_clISt17integral_constantIbLb0EES13_EEDaSY_SZ_EUlSY_E_NS1_11comp_targetILNS1_3genE5ELNS1_11target_archE942ELNS1_3gpuE9ELNS1_3repE0EEENS1_30default_config_static_selectorELNS0_4arch9wavefront6targetE1EEEvT1_,comdat
.Lfunc_end673:
	.size	_ZN7rocprim17ROCPRIM_400000_NS6detail17trampoline_kernelINS0_14default_configENS1_29reduce_by_key_config_selectorIalN6thrust23THRUST_200600_302600_NS4plusIlEEEEZZNS1_33reduce_by_key_impl_wrapped_configILNS1_25lookback_scan_determinismE0ES3_S9_PaNS6_17constant_iteratorIiNS6_11use_defaultESE_EENS6_10device_ptrIaEENSG_IlEEPmS8_NS6_8equal_toIaEEEE10hipError_tPvRmT2_T3_mT4_T5_T6_T7_T8_P12ihipStream_tbENKUlT_T0_E_clISt17integral_constantIbLb0EES13_EEDaSY_SZ_EUlSY_E_NS1_11comp_targetILNS1_3genE5ELNS1_11target_archE942ELNS1_3gpuE9ELNS1_3repE0EEENS1_30default_config_static_selectorELNS0_4arch9wavefront6targetE1EEEvT1_, .Lfunc_end673-_ZN7rocprim17ROCPRIM_400000_NS6detail17trampoline_kernelINS0_14default_configENS1_29reduce_by_key_config_selectorIalN6thrust23THRUST_200600_302600_NS4plusIlEEEEZZNS1_33reduce_by_key_impl_wrapped_configILNS1_25lookback_scan_determinismE0ES3_S9_PaNS6_17constant_iteratorIiNS6_11use_defaultESE_EENS6_10device_ptrIaEENSG_IlEEPmS8_NS6_8equal_toIaEEEE10hipError_tPvRmT2_T3_mT4_T5_T6_T7_T8_P12ihipStream_tbENKUlT_T0_E_clISt17integral_constantIbLb0EES13_EEDaSY_SZ_EUlSY_E_NS1_11comp_targetILNS1_3genE5ELNS1_11target_archE942ELNS1_3gpuE9ELNS1_3repE0EEENS1_30default_config_static_selectorELNS0_4arch9wavefront6targetE1EEEvT1_
                                        ; -- End function
	.section	.AMDGPU.csdata,"",@progbits
; Kernel info:
; codeLenInByte = 0
; NumSgprs: 4
; NumVgprs: 0
; NumAgprs: 0
; TotalNumVgprs: 0
; ScratchSize: 0
; MemoryBound: 0
; FloatMode: 240
; IeeeMode: 1
; LDSByteSize: 0 bytes/workgroup (compile time only)
; SGPRBlocks: 0
; VGPRBlocks: 0
; NumSGPRsForWavesPerEU: 4
; NumVGPRsForWavesPerEU: 1
; AccumOffset: 4
; Occupancy: 8
; WaveLimiterHint : 0
; COMPUTE_PGM_RSRC2:SCRATCH_EN: 0
; COMPUTE_PGM_RSRC2:USER_SGPR: 6
; COMPUTE_PGM_RSRC2:TRAP_HANDLER: 0
; COMPUTE_PGM_RSRC2:TGID_X_EN: 1
; COMPUTE_PGM_RSRC2:TGID_Y_EN: 0
; COMPUTE_PGM_RSRC2:TGID_Z_EN: 0
; COMPUTE_PGM_RSRC2:TIDIG_COMP_CNT: 0
; COMPUTE_PGM_RSRC3_GFX90A:ACCUM_OFFSET: 0
; COMPUTE_PGM_RSRC3_GFX90A:TG_SPLIT: 0
	.section	.text._ZN7rocprim17ROCPRIM_400000_NS6detail17trampoline_kernelINS0_14default_configENS1_29reduce_by_key_config_selectorIalN6thrust23THRUST_200600_302600_NS4plusIlEEEEZZNS1_33reduce_by_key_impl_wrapped_configILNS1_25lookback_scan_determinismE0ES3_S9_PaNS6_17constant_iteratorIiNS6_11use_defaultESE_EENS6_10device_ptrIaEENSG_IlEEPmS8_NS6_8equal_toIaEEEE10hipError_tPvRmT2_T3_mT4_T5_T6_T7_T8_P12ihipStream_tbENKUlT_T0_E_clISt17integral_constantIbLb0EES13_EEDaSY_SZ_EUlSY_E_NS1_11comp_targetILNS1_3genE4ELNS1_11target_archE910ELNS1_3gpuE8ELNS1_3repE0EEENS1_30default_config_static_selectorELNS0_4arch9wavefront6targetE1EEEvT1_,"axG",@progbits,_ZN7rocprim17ROCPRIM_400000_NS6detail17trampoline_kernelINS0_14default_configENS1_29reduce_by_key_config_selectorIalN6thrust23THRUST_200600_302600_NS4plusIlEEEEZZNS1_33reduce_by_key_impl_wrapped_configILNS1_25lookback_scan_determinismE0ES3_S9_PaNS6_17constant_iteratorIiNS6_11use_defaultESE_EENS6_10device_ptrIaEENSG_IlEEPmS8_NS6_8equal_toIaEEEE10hipError_tPvRmT2_T3_mT4_T5_T6_T7_T8_P12ihipStream_tbENKUlT_T0_E_clISt17integral_constantIbLb0EES13_EEDaSY_SZ_EUlSY_E_NS1_11comp_targetILNS1_3genE4ELNS1_11target_archE910ELNS1_3gpuE8ELNS1_3repE0EEENS1_30default_config_static_selectorELNS0_4arch9wavefront6targetE1EEEvT1_,comdat
	.protected	_ZN7rocprim17ROCPRIM_400000_NS6detail17trampoline_kernelINS0_14default_configENS1_29reduce_by_key_config_selectorIalN6thrust23THRUST_200600_302600_NS4plusIlEEEEZZNS1_33reduce_by_key_impl_wrapped_configILNS1_25lookback_scan_determinismE0ES3_S9_PaNS6_17constant_iteratorIiNS6_11use_defaultESE_EENS6_10device_ptrIaEENSG_IlEEPmS8_NS6_8equal_toIaEEEE10hipError_tPvRmT2_T3_mT4_T5_T6_T7_T8_P12ihipStream_tbENKUlT_T0_E_clISt17integral_constantIbLb0EES13_EEDaSY_SZ_EUlSY_E_NS1_11comp_targetILNS1_3genE4ELNS1_11target_archE910ELNS1_3gpuE8ELNS1_3repE0EEENS1_30default_config_static_selectorELNS0_4arch9wavefront6targetE1EEEvT1_ ; -- Begin function _ZN7rocprim17ROCPRIM_400000_NS6detail17trampoline_kernelINS0_14default_configENS1_29reduce_by_key_config_selectorIalN6thrust23THRUST_200600_302600_NS4plusIlEEEEZZNS1_33reduce_by_key_impl_wrapped_configILNS1_25lookback_scan_determinismE0ES3_S9_PaNS6_17constant_iteratorIiNS6_11use_defaultESE_EENS6_10device_ptrIaEENSG_IlEEPmS8_NS6_8equal_toIaEEEE10hipError_tPvRmT2_T3_mT4_T5_T6_T7_T8_P12ihipStream_tbENKUlT_T0_E_clISt17integral_constantIbLb0EES13_EEDaSY_SZ_EUlSY_E_NS1_11comp_targetILNS1_3genE4ELNS1_11target_archE910ELNS1_3gpuE8ELNS1_3repE0EEENS1_30default_config_static_selectorELNS0_4arch9wavefront6targetE1EEEvT1_
	.globl	_ZN7rocprim17ROCPRIM_400000_NS6detail17trampoline_kernelINS0_14default_configENS1_29reduce_by_key_config_selectorIalN6thrust23THRUST_200600_302600_NS4plusIlEEEEZZNS1_33reduce_by_key_impl_wrapped_configILNS1_25lookback_scan_determinismE0ES3_S9_PaNS6_17constant_iteratorIiNS6_11use_defaultESE_EENS6_10device_ptrIaEENSG_IlEEPmS8_NS6_8equal_toIaEEEE10hipError_tPvRmT2_T3_mT4_T5_T6_T7_T8_P12ihipStream_tbENKUlT_T0_E_clISt17integral_constantIbLb0EES13_EEDaSY_SZ_EUlSY_E_NS1_11comp_targetILNS1_3genE4ELNS1_11target_archE910ELNS1_3gpuE8ELNS1_3repE0EEENS1_30default_config_static_selectorELNS0_4arch9wavefront6targetE1EEEvT1_
	.p2align	8
	.type	_ZN7rocprim17ROCPRIM_400000_NS6detail17trampoline_kernelINS0_14default_configENS1_29reduce_by_key_config_selectorIalN6thrust23THRUST_200600_302600_NS4plusIlEEEEZZNS1_33reduce_by_key_impl_wrapped_configILNS1_25lookback_scan_determinismE0ES3_S9_PaNS6_17constant_iteratorIiNS6_11use_defaultESE_EENS6_10device_ptrIaEENSG_IlEEPmS8_NS6_8equal_toIaEEEE10hipError_tPvRmT2_T3_mT4_T5_T6_T7_T8_P12ihipStream_tbENKUlT_T0_E_clISt17integral_constantIbLb0EES13_EEDaSY_SZ_EUlSY_E_NS1_11comp_targetILNS1_3genE4ELNS1_11target_archE910ELNS1_3gpuE8ELNS1_3repE0EEENS1_30default_config_static_selectorELNS0_4arch9wavefront6targetE1EEEvT1_,@function
_ZN7rocprim17ROCPRIM_400000_NS6detail17trampoline_kernelINS0_14default_configENS1_29reduce_by_key_config_selectorIalN6thrust23THRUST_200600_302600_NS4plusIlEEEEZZNS1_33reduce_by_key_impl_wrapped_configILNS1_25lookback_scan_determinismE0ES3_S9_PaNS6_17constant_iteratorIiNS6_11use_defaultESE_EENS6_10device_ptrIaEENSG_IlEEPmS8_NS6_8equal_toIaEEEE10hipError_tPvRmT2_T3_mT4_T5_T6_T7_T8_P12ihipStream_tbENKUlT_T0_E_clISt17integral_constantIbLb0EES13_EEDaSY_SZ_EUlSY_E_NS1_11comp_targetILNS1_3genE4ELNS1_11target_archE910ELNS1_3gpuE8ELNS1_3repE0EEENS1_30default_config_static_selectorELNS0_4arch9wavefront6targetE1EEEvT1_: ; @_ZN7rocprim17ROCPRIM_400000_NS6detail17trampoline_kernelINS0_14default_configENS1_29reduce_by_key_config_selectorIalN6thrust23THRUST_200600_302600_NS4plusIlEEEEZZNS1_33reduce_by_key_impl_wrapped_configILNS1_25lookback_scan_determinismE0ES3_S9_PaNS6_17constant_iteratorIiNS6_11use_defaultESE_EENS6_10device_ptrIaEENSG_IlEEPmS8_NS6_8equal_toIaEEEE10hipError_tPvRmT2_T3_mT4_T5_T6_T7_T8_P12ihipStream_tbENKUlT_T0_E_clISt17integral_constantIbLb0EES13_EEDaSY_SZ_EUlSY_E_NS1_11comp_targetILNS1_3genE4ELNS1_11target_archE910ELNS1_3gpuE8ELNS1_3repE0EEENS1_30default_config_static_selectorELNS0_4arch9wavefront6targetE1EEEvT1_
; %bb.0:
	s_load_dwordx16 s[36:51], s[4:5], 0x40
	s_load_dwordx4 s[0:3], s[4:5], 0x0
	s_load_dword s10, s[4:5], 0x18
	s_load_dwordx4 s[52:55], s[4:5], 0x20
	s_load_dwordx2 s[34:35], s[4:5], 0x30
	s_waitcnt lgkmcnt(0)
	s_mul_i32 s7, s44, s43
	s_mul_hi_u32 s8, s44, s42
	s_add_i32 s7, s8, s7
	s_mul_i32 s8, s45, s42
	s_add_i32 s7, s7, s8
	s_add_u32 s0, s0, s2
	s_addc_u32 s1, s1, s3
	s_mul_i32 s2, s6, 0xf00
	s_add_u32 s2, s0, s2
	s_mul_i32 s8, s44, s42
	s_addc_u32 s3, s1, 0
	s_add_u32 s0, s8, s6
	s_addc_u32 s1, s7, 0
	s_add_u32 s14, s46, -1
	s_addc_u32 s15, s47, -1
	s_cmp_eq_u64 s[0:1], s[14:15]
	s_cselect_b64 s[44:45], -1, 0
	s_cmp_lg_u64 s[0:1], s[14:15]
	s_mov_b64 s[12:13], -1
	s_cselect_b64 s[8:9], -1, 0
	s_mul_i32 s33, s14, 0xfffff100
	s_and_b64 vcc, exec, s[44:45]
	v_mad_u32_u24 v6, v0, 14, v0
	v_mad_u32_u24 v38, v0, 15, 1
	;; [unrolled: 1-line block ×15, first 2 shown]
	s_cbranch_vccnz .LBB674_2
; %bb.1:
	global_load_ubyte v1, v0, s[2:3]
	global_load_ubyte v2, v0, s[2:3] offset:256
	global_load_ubyte v3, v0, s[2:3] offset:512
	;; [unrolled: 1-line block ×14, first 2 shown]
	s_ashr_i32 s11, s10, 31
	v_mul_u32_u24_e32 v7, 15, v0
	v_mad_u32_u24 v20, v0, 15, 1
	v_mad_u32_u24 v19, v0, 15, 2
	;; [unrolled: 1-line block ×14, first 2 shown]
	v_mad_i32_i24 v33, v0, -7, v6
	v_pk_mov_b32 v[22:23], s[10:11], s[10:11] op_sel:[0,1]
	s_waitcnt vmcnt(14)
	ds_write_b8 v0, v1
	s_waitcnt vmcnt(13)
	ds_write_b8 v0, v2 offset:256
	s_waitcnt vmcnt(12)
	ds_write_b8 v0, v3 offset:512
	;; [unrolled: 2-line block ×14, first 2 shown]
	s_waitcnt lgkmcnt(0)
	s_barrier
	ds_read_b96 v[2:4], v6
	ds_read_u8 v73, v6 offset:12
	ds_read_u8 v5, v6 offset:13
	;; [unrolled: 1-line block ×3, first 2 shown]
	s_waitcnt lgkmcnt(0)
	v_lshrrev_b32_e32 v93, 8, v2
	v_lshrrev_b32_e32 v91, 16, v2
	;; [unrolled: 1-line block ×9, first 2 shown]
	s_barrier
	ds_write2st64_b64 v33, v[22:23], v[22:23] offset1:4
	ds_write2st64_b64 v33, v[22:23], v[22:23] offset0:8 offset1:12
	ds_write2st64_b64 v33, v[22:23], v[22:23] offset0:16 offset1:20
	;; [unrolled: 1-line block ×6, first 2 shown]
	ds_write_b64 v33, v[22:23] offset:28672
	s_waitcnt lgkmcnt(0)
	s_barrier
	s_load_dwordx2 s[30:31], s[4:5], 0x80
	s_add_i32 s33, s33, s48
	s_cbranch_execz .LBB674_3
	s_branch .LBB674_34
.LBB674_2:
                                        ; implicit-def: $vgpr16
                                        ; implicit-def: $vgpr17
                                        ; implicit-def: $vgpr34
                                        ; implicit-def: $vgpr8
                                        ; implicit-def: $vgpr9
                                        ; implicit-def: $vgpr10
                                        ; implicit-def: $vgpr11
                                        ; implicit-def: $vgpr12
                                        ; implicit-def: $vgpr13
                                        ; implicit-def: $vgpr14
                                        ; implicit-def: $vgpr15
                                        ; implicit-def: $vgpr18
                                        ; implicit-def: $vgpr19
                                        ; implicit-def: $vgpr20
                                        ; implicit-def: $vgpr7
                                        ; implicit-def: $vgpr2
                                        ; implicit-def: $vgpr93
                                        ; implicit-def: $vgpr91
                                        ; implicit-def: $vgpr90
                                        ; implicit-def: $vgpr87
                                        ; implicit-def: $vgpr86
                                        ; implicit-def: $vgpr84
                                        ; implicit-def: $vgpr82
                                        ; implicit-def: $vgpr80
                                        ; implicit-def: $vgpr79
                                        ; implicit-def: $vgpr73
                                        ; implicit-def: $vgpr5
                                        ; implicit-def: $vgpr1
	s_load_dwordx2 s[30:31], s[4:5], 0x80
	s_andn2_b64 vcc, exec, s[12:13]
	s_add_i32 s33, s33, s48
	s_cbranch_vccnz .LBB674_34
.LBB674_3:
	v_cmp_gt_u32_e32 vcc, s33, v0
                                        ; implicit-def: $vgpr1
	s_and_saveexec_b64 s[4:5], vcc
	s_cbranch_execz .LBB674_5
; %bb.4:
	global_load_ubyte v1, v0, s[2:3]
.LBB674_5:
	s_or_b64 exec, exec, s[4:5]
	v_or_b32_e32 v2, 0x100, v0
	v_cmp_gt_u32_e32 vcc, s33, v2
                                        ; implicit-def: $vgpr2
	s_and_saveexec_b64 s[4:5], vcc
	s_cbranch_execz .LBB674_7
; %bb.6:
	global_load_ubyte v2, v0, s[2:3] offset:256
.LBB674_7:
	s_or_b64 exec, exec, s[4:5]
	v_or_b32_e32 v3, 0x200, v0
	v_cmp_gt_u32_e32 vcc, s33, v3
                                        ; implicit-def: $vgpr3
	s_and_saveexec_b64 s[4:5], vcc
	s_cbranch_execz .LBB674_9
; %bb.8:
	global_load_ubyte v3, v0, s[2:3] offset:512
.LBB674_9:
	s_or_b64 exec, exec, s[4:5]
	v_or_b32_e32 v4, 0x300, v0
	v_cmp_gt_u32_e32 vcc, s33, v4
                                        ; implicit-def: $vgpr4
	s_and_saveexec_b64 s[4:5], vcc
	s_cbranch_execz .LBB674_11
; %bb.10:
	global_load_ubyte v4, v0, s[2:3] offset:768
.LBB674_11:
	s_or_b64 exec, exec, s[4:5]
	v_or_b32_e32 v5, 0x400, v0
	v_cmp_gt_u32_e32 vcc, s33, v5
                                        ; implicit-def: $vgpr5
	s_and_saveexec_b64 s[4:5], vcc
	s_cbranch_execz .LBB674_13
; %bb.12:
	global_load_ubyte v5, v0, s[2:3] offset:1024
.LBB674_13:
	s_or_b64 exec, exec, s[4:5]
	v_or_b32_e32 v7, 0x500, v0
	v_cmp_gt_u32_e32 vcc, s33, v7
                                        ; implicit-def: $vgpr7
	s_and_saveexec_b64 s[4:5], vcc
	s_cbranch_execz .LBB674_15
; %bb.14:
	global_load_ubyte v7, v0, s[2:3] offset:1280
.LBB674_15:
	s_or_b64 exec, exec, s[4:5]
	v_or_b32_e32 v8, 0x600, v0
	v_cmp_gt_u32_e32 vcc, s33, v8
                                        ; implicit-def: $vgpr8
	s_and_saveexec_b64 s[4:5], vcc
	s_cbranch_execz .LBB674_17
; %bb.16:
	global_load_ubyte v8, v0, s[2:3] offset:1536
.LBB674_17:
	s_or_b64 exec, exec, s[4:5]
	v_or_b32_e32 v9, 0x700, v0
	v_cmp_gt_u32_e32 vcc, s33, v9
                                        ; implicit-def: $vgpr9
	s_and_saveexec_b64 s[4:5], vcc
	s_cbranch_execz .LBB674_19
; %bb.18:
	global_load_ubyte v9, v0, s[2:3] offset:1792
.LBB674_19:
	s_or_b64 exec, exec, s[4:5]
	v_or_b32_e32 v10, 0x800, v0
	v_cmp_gt_u32_e32 vcc, s33, v10
                                        ; implicit-def: $vgpr10
	s_and_saveexec_b64 s[4:5], vcc
	s_cbranch_execz .LBB674_21
; %bb.20:
	global_load_ubyte v10, v0, s[2:3] offset:2048
.LBB674_21:
	s_or_b64 exec, exec, s[4:5]
	v_or_b32_e32 v11, 0x900, v0
	v_cmp_gt_u32_e32 vcc, s33, v11
                                        ; implicit-def: $vgpr11
	s_and_saveexec_b64 s[4:5], vcc
	s_cbranch_execz .LBB674_23
; %bb.22:
	global_load_ubyte v11, v0, s[2:3] offset:2304
.LBB674_23:
	s_or_b64 exec, exec, s[4:5]
	v_or_b32_e32 v12, 0xa00, v0
	v_cmp_gt_u32_e32 vcc, s33, v12
                                        ; implicit-def: $vgpr12
	s_and_saveexec_b64 s[4:5], vcc
	s_cbranch_execz .LBB674_25
; %bb.24:
	global_load_ubyte v12, v0, s[2:3] offset:2560
.LBB674_25:
	s_or_b64 exec, exec, s[4:5]
	v_or_b32_e32 v13, 0xb00, v0
	v_cmp_gt_u32_e32 vcc, s33, v13
                                        ; implicit-def: $vgpr13
	s_and_saveexec_b64 s[4:5], vcc
	s_cbranch_execz .LBB674_27
; %bb.26:
	global_load_ubyte v13, v0, s[2:3] offset:2816
.LBB674_27:
	s_or_b64 exec, exec, s[4:5]
	v_or_b32_e32 v14, 0xc00, v0
	v_cmp_gt_u32_e32 vcc, s33, v14
                                        ; implicit-def: $vgpr14
	s_and_saveexec_b64 s[4:5], vcc
	s_cbranch_execz .LBB674_29
; %bb.28:
	global_load_ubyte v14, v0, s[2:3] offset:3072
.LBB674_29:
	s_or_b64 exec, exec, s[4:5]
	v_or_b32_e32 v15, 0xd00, v0
	v_cmp_gt_u32_e32 vcc, s33, v15
                                        ; implicit-def: $vgpr15
	s_and_saveexec_b64 s[4:5], vcc
	s_cbranch_execz .LBB674_31
; %bb.30:
	global_load_ubyte v15, v0, s[2:3] offset:3328
.LBB674_31:
	s_or_b64 exec, exec, s[4:5]
	v_or_b32_e32 v16, 0xe00, v0
	v_cmp_gt_u32_e32 vcc, s33, v16
                                        ; implicit-def: $vgpr16
	s_and_saveexec_b64 s[4:5], vcc
	s_cbranch_execz .LBB674_33
; %bb.32:
	global_load_ubyte v16, v0, s[2:3] offset:3584
.LBB674_33:
	s_or_b64 exec, exec, s[4:5]
	s_waitcnt vmcnt(0)
	ds_write_b8 v0, v1
	ds_write_b8 v0, v2 offset:256
	ds_write_b8 v0, v3 offset:512
	;; [unrolled: 1-line block ×14, first 2 shown]
	s_waitcnt lgkmcnt(0)
	s_barrier
	ds_read_b96 v[2:4], v6
	ds_read_u8 v73, v6 offset:12
	ds_read_u8 v5, v6 offset:13
	;; [unrolled: 1-line block ×3, first 2 shown]
	s_ashr_i32 s11, s10, 31
	v_mad_i32_i24 v6, v0, -7, v6
	v_pk_mov_b32 v[8:9], s[10:11], s[10:11] op_sel:[0,1]
	v_mul_u32_u24_e32 v7, 15, v0
	s_waitcnt lgkmcnt(3)
	v_lshrrev_b32_e32 v93, 8, v2
	v_lshrrev_b32_e32 v91, 16, v2
	;; [unrolled: 1-line block ×9, first 2 shown]
	s_waitcnt lgkmcnt(0)
	s_barrier
	ds_write2st64_b64 v6, v[8:9], v[8:9] offset1:4
	ds_write2st64_b64 v6, v[8:9], v[8:9] offset0:8 offset1:12
	ds_write2st64_b64 v6, v[8:9], v[8:9] offset0:16 offset1:20
	ds_write2st64_b64 v6, v[8:9], v[8:9] offset0:24 offset1:28
	ds_write2st64_b64 v6, v[8:9], v[8:9] offset0:32 offset1:36
	ds_write2st64_b64 v6, v[8:9], v[8:9] offset0:40 offset1:44
	ds_write2st64_b64 v6, v[8:9], v[8:9] offset0:48 offset1:52
	ds_write_b64 v6, v[8:9] offset:28672
	v_mov_b32_e32 v16, v36
	v_mov_b32_e32 v17, v62
	;; [unrolled: 1-line block ×14, first 2 shown]
	s_waitcnt lgkmcnt(0)
	s_barrier
.LBB674_34:
	v_lshlrev_b32_e32 v6, 3, v7
	s_waitcnt lgkmcnt(0)
	v_lshlrev_b32_e32 v7, 3, v20
	v_lshlrev_b32_e32 v19, 3, v19
	v_lshlrev_b32_e32 v18, 3, v18
	ds_read_b64 v[32:33], v6
	ds_read_b64 v[30:31], v7
	ds_read_b64 v[28:29], v19
	ds_read_b64 v[24:25], v18
	v_lshlrev_b32_e32 v6, 3, v15
	v_lshlrev_b32_e32 v7, 3, v14
	v_lshlrev_b32_e32 v13, 3, v13
	v_lshlrev_b32_e32 v12, 3, v12
	ds_read_b64 v[26:27], v6
	ds_read_b64 v[22:23], v7
	ds_read_b64 v[20:21], v13
	ds_read_b64 v[14:15], v12
	v_lshlrev_b32_e32 v6, 3, v11
	;; [unrolled: 8-line block ×3, first 2 shown]
	v_lshlrev_b32_e32 v17, 3, v17
	v_lshlrev_b32_e32 v34, 3, v16
	ds_read_b64 v[6:7], v6
	ds_read_b64 v[16:17], v17
	;; [unrolled: 1-line block ×3, first 2 shown]
	s_cmp_eq_u64 s[0:1], 0
	s_cselect_b64 s[46:47], -1, 0
	s_cmp_lg_u64 s[0:1], 0
	s_mov_b64 s[4:5], 0
	s_cselect_b64 s[10:11], -1, 0
	s_and_b64 vcc, exec, s[8:9]
	s_waitcnt lgkmcnt(0)
	s_barrier
	s_cbranch_vccz .LBB674_40
; %bb.35:
	s_and_b64 vcc, exec, s[10:11]
	s_cbranch_vccz .LBB674_41
; %bb.36:
	v_mov_b32_e32 v37, 0
	global_load_ubyte v37, v37, s[2:3] offset:-1
	v_cmp_ne_u16_sdwa s[4:5], v5, v1 src0_sel:BYTE_0 src1_sel:BYTE_0
	v_cmp_ne_u16_sdwa s[8:9], v73, v5 src0_sel:BYTE_0 src1_sel:BYTE_0
	;; [unrolled: 1-line block ×14, first 2 shown]
	v_cmp_ne_u32_e32 vcc, 0, v0
	ds_write_b8 v0, v1
	s_waitcnt lgkmcnt(0)
	s_barrier
	s_and_saveexec_b64 s[62:63], vcc
	s_cbranch_execz .LBB674_38
; %bb.37:
	s_waitcnt vmcnt(0)
	v_add_u32_e32 v37, -1, v0
	ds_read_u8 v37, v37
.LBB674_38:
	s_or_b64 exec, exec, s[62:63]
	s_waitcnt vmcnt(0) lgkmcnt(0)
	v_and_b32_e32 v37, 0xff, v37
	v_cndmask_b32_e64 v72, 0, 1, s[4:5]
	v_cndmask_b32_e64 v74, 0, 1, s[8:9]
	;; [unrolled: 1-line block ×14, first 2 shown]
	v_cmp_ne_u16_sdwa s[8:9], v37, v2 src0_sel:DWORD src1_sel:BYTE_0
	s_mov_b64 s[4:5], -1
.LBB674_39:
                                        ; implicit-def: $sgpr7
	s_branch .LBB674_53
.LBB674_40:
                                        ; implicit-def: $sgpr8_sgpr9
                                        ; implicit-def: $vgpr72
                                        ; implicit-def: $vgpr74
                                        ; implicit-def: $vgpr75
                                        ; implicit-def: $vgpr76
                                        ; implicit-def: $vgpr77
                                        ; implicit-def: $vgpr78
                                        ; implicit-def: $vgpr81
                                        ; implicit-def: $vgpr83
                                        ; implicit-def: $vgpr85
                                        ; implicit-def: $vgpr88
                                        ; implicit-def: $vgpr89
                                        ; implicit-def: $vgpr92
                                        ; implicit-def: $vgpr94
                                        ; implicit-def: $vgpr95
                                        ; implicit-def: $sgpr7
	s_cbranch_execnz .LBB674_45
	s_branch .LBB674_53
.LBB674_41:
                                        ; implicit-def: $sgpr8_sgpr9
                                        ; implicit-def: $vgpr72
                                        ; implicit-def: $vgpr74
                                        ; implicit-def: $vgpr75
                                        ; implicit-def: $vgpr76
                                        ; implicit-def: $vgpr77
                                        ; implicit-def: $vgpr78
                                        ; implicit-def: $vgpr81
                                        ; implicit-def: $vgpr83
                                        ; implicit-def: $vgpr85
                                        ; implicit-def: $vgpr88
                                        ; implicit-def: $vgpr89
                                        ; implicit-def: $vgpr92
                                        ; implicit-def: $vgpr94
                                        ; implicit-def: $vgpr95
	s_cbranch_execz .LBB674_39
; %bb.42:
	v_cmp_ne_u16_sdwa s[8:9], v5, v1 src0_sel:BYTE_0 src1_sel:BYTE_0
	v_cndmask_b32_e64 v72, 0, 1, s[8:9]
	v_cmp_ne_u16_sdwa s[8:9], v73, v5 src0_sel:BYTE_0 src1_sel:BYTE_0
	v_cndmask_b32_e64 v74, 0, 1, s[8:9]
	;; [unrolled: 2-line block ×14, first 2 shown]
	v_cmp_ne_u32_e32 vcc, 0, v0
	ds_write_b8 v0, v1
	s_waitcnt lgkmcnt(0)
	s_barrier
	s_waitcnt lgkmcnt(0)
                                        ; implicit-def: $sgpr8_sgpr9
	s_and_saveexec_b64 s[12:13], vcc
	s_xor_b64 s[12:13], exec, s[12:13]
	s_cbranch_execz .LBB674_44
; %bb.43:
	v_add_u32_e32 v37, -1, v0
	ds_read_u8 v37, v37
	s_or_b64 s[4:5], s[4:5], exec
	s_waitcnt lgkmcnt(0)
	v_cmp_ne_u16_sdwa s[8:9], v37, v2 src0_sel:DWORD src1_sel:BYTE_0
	s_and_b64 s[8:9], s[8:9], exec
.LBB674_44:
	s_or_b64 exec, exec, s[12:13]
	s_mov_b32 s7, 1
	s_branch .LBB674_53
.LBB674_45:
	s_mul_hi_u32 s7, s0, 0xfffff100
	s_mulk_i32 s1, 0xf100
	s_sub_i32 s7, s7, s0
	s_add_i32 s7, s7, s1
	s_mulk_i32 s0, 0xf100
	s_add_u32 s12, s0, s48
	s_addc_u32 s13, s7, s49
	s_and_b64 vcc, exec, s[10:11]
	v_cmp_ne_u16_sdwa s[60:61], v5, v1 src0_sel:BYTE_0 src1_sel:BYTE_0
	v_cmp_ne_u16_sdwa s[58:59], v73, v5 src0_sel:BYTE_0 src1_sel:BYTE_0
	;; [unrolled: 1-line block ×14, first 2 shown]
	v_cmp_ne_u32_e64 s[0:1], 0, v0
	s_cbranch_vccz .LBB674_50
; %bb.46:
	v_mov_b32_e32 v37, 0
	global_load_ubyte v66, v37, s[2:3] offset:-1
	v_cmp_gt_u64_e32 vcc, s[12:13], v[36:37]
	v_mov_b32_e32 v63, v37
	s_and_b64 s[2:3], vcc, s[60:61]
	v_cmp_gt_u64_e32 vcc, s[12:13], v[62:63]
	v_mov_b32_e32 v61, v37
	s_and_b64 s[4:5], vcc, s[58:59]
	;; [unrolled: 3-line block ×13, first 2 shown]
	v_cmp_gt_u64_e32 vcc, s[12:13], v[38:39]
	v_mul_u32_u24_e32 v64, 15, v0
	s_and_b64 s[10:11], vcc, s[10:11]
	ds_write_b8 v0, v1
	s_waitcnt lgkmcnt(0)
	s_barrier
	s_and_saveexec_b64 s[58:59], s[0:1]
	s_cbranch_execz .LBB674_48
; %bb.47:
	v_add_u32_e32 v39, -1, v0
	s_waitcnt vmcnt(0)
	ds_read_u8 v66, v39
.LBB674_48:
	s_or_b64 exec, exec, s[58:59]
	v_mov_b32_e32 v65, v37
	s_waitcnt vmcnt(0) lgkmcnt(0)
	v_and_b32_e32 v37, 0xff, v66
	v_cmp_gt_u64_e32 vcc, s[12:13], v[64:65]
	v_cmp_ne_u16_sdwa s[0:1], v37, v2 src0_sel:DWORD src1_sel:BYTE_0
	v_cndmask_b32_e64 v72, 0, 1, s[2:3]
	v_cndmask_b32_e64 v74, 0, 1, s[4:5]
	;; [unrolled: 1-line block ×14, first 2 shown]
	s_and_b64 s[8:9], vcc, s[0:1]
	s_mov_b64 s[4:5], -1
.LBB674_49:
                                        ; implicit-def: $sgpr7
	v_mov_b32_e32 v96, s7
	s_and_saveexec_b64 s[0:1], s[4:5]
	s_cbranch_execnz .LBB674_54
	s_branch .LBB674_55
.LBB674_50:
                                        ; implicit-def: $sgpr8_sgpr9
                                        ; implicit-def: $vgpr72
                                        ; implicit-def: $vgpr74
                                        ; implicit-def: $vgpr75
                                        ; implicit-def: $vgpr76
                                        ; implicit-def: $vgpr77
                                        ; implicit-def: $vgpr78
                                        ; implicit-def: $vgpr81
                                        ; implicit-def: $vgpr83
                                        ; implicit-def: $vgpr85
                                        ; implicit-def: $vgpr88
                                        ; implicit-def: $vgpr89
                                        ; implicit-def: $vgpr92
                                        ; implicit-def: $vgpr94
                                        ; implicit-def: $vgpr95
	s_cbranch_execz .LBB674_49
; %bb.51:
	v_mov_b32_e32 v37, 0
	v_cmp_gt_u64_e32 vcc, s[12:13], v[36:37]
	v_cmp_ne_u16_sdwa s[0:1], v5, v1 src0_sel:BYTE_0 src1_sel:BYTE_0
	s_and_b64 s[0:1], vcc, s[0:1]
	v_mov_b32_e32 v63, v37
	v_cndmask_b32_e64 v72, 0, 1, s[0:1]
	v_cmp_gt_u64_e32 vcc, s[12:13], v[62:63]
	v_cmp_ne_u16_sdwa s[0:1], v73, v5 src0_sel:BYTE_0 src1_sel:BYTE_0
	s_and_b64 s[0:1], vcc, s[0:1]
	v_mov_b32_e32 v61, v37
	v_cndmask_b32_e64 v74, 0, 1, s[0:1]
	;; [unrolled: 5-line block ×13, first 2 shown]
	v_cmp_gt_u64_e32 vcc, s[12:13], v[38:39]
	v_cmp_ne_u16_sdwa s[0:1], v2, v93 src0_sel:BYTE_0 src1_sel:BYTE_0
	s_and_b64 s[0:1], vcc, s[0:1]
	s_mov_b32 s7, 1
	v_cndmask_b32_e64 v95, 0, 1, s[0:1]
	v_cmp_ne_u32_e32 vcc, 0, v0
	ds_write_b8 v0, v1
	s_waitcnt lgkmcnt(0)
	s_barrier
	s_waitcnt lgkmcnt(0)
                                        ; implicit-def: $sgpr8_sgpr9
	s_and_saveexec_b64 s[0:1], vcc
	s_cbranch_execz .LBB674_201
; %bb.52:
	v_add_u32_e32 v36, -1, v0
	ds_read_u8 v38, v36
	v_mul_u32_u24_e32 v36, 15, v0
	v_cmp_gt_u64_e32 vcc, s[12:13], v[36:37]
	s_or_b64 s[4:5], s[4:5], exec
	s_waitcnt lgkmcnt(0)
	v_and_b32_e32 v36, 0xff, v38
	v_cmp_ne_u16_sdwa s[2:3], v36, v2 src0_sel:DWORD src1_sel:BYTE_0
	s_and_b64 s[2:3], vcc, s[2:3]
	s_and_b64 s[8:9], s[2:3], exec
	s_or_b64 exec, exec, s[0:1]
.LBB674_53:
	v_mov_b32_e32 v96, s7
	s_and_saveexec_b64 s[0:1], s[4:5]
.LBB674_54:
	v_cndmask_b32_e64 v96, 0, 1, s[8:9]
.LBB674_55:
	s_or_b64 exec, exec, s[0:1]
	s_cmp_eq_u64 s[42:43], 0
	v_add3_u32 v36, v95, v96, v94
	s_cselect_b64 s[42:43], -1, 0
	s_cmp_lg_u32 s6, 0
	v_cmp_eq_u32_e64 s[24:25], 0, v95
	v_cmp_eq_u32_e64 s[22:23], 0, v94
	;; [unrolled: 1-line block ×3, first 2 shown]
	v_add3_u32 v99, v36, v92, v89
	v_cmp_eq_u32_e64 s[18:19], 0, v89
	v_cmp_eq_u32_e64 s[16:17], 0, v88
	;; [unrolled: 1-line block ×10, first 2 shown]
	v_cmp_eq_u32_e32 vcc, 0, v72
	v_mbcnt_lo_u32_b32 v98, -1, 0
	s_cbranch_scc0 .LBB674_122
; %bb.56:
	v_cndmask_b32_e64 v37, 0, v32, s[24:25]
	v_cndmask_b32_e64 v36, 0, v33, s[24:25]
	v_add_co_u32_e64 v37, s[26:27], v37, v30
	v_addc_co_u32_e64 v36, s[26:27], v36, v31, s[26:27]
	v_cndmask_b32_e64 v37, 0, v37, s[22:23]
	v_cndmask_b32_e64 v36, 0, v36, s[22:23]
	v_add_co_u32_e64 v37, s[26:27], v37, v28
	v_addc_co_u32_e64 v36, s[26:27], v36, v29, s[26:27]
	;; [unrolled: 4-line block ×11, first 2 shown]
	v_cndmask_b32_e64 v37, 0, v37, s[2:3]
	v_add3_u32 v38, v99, v88, v85
	v_cndmask_b32_e64 v36, 0, v36, s[2:3]
	v_add_co_u32_e64 v37, s[26:27], v37, v6
	v_add3_u32 v38, v38, v83, v81
	v_addc_co_u32_e64 v36, s[26:27], v36, v7, s[26:27]
	v_cndmask_b32_e64 v37, 0, v37, s[0:1]
	v_add3_u32 v38, v38, v78, v77
	v_cndmask_b32_e64 v36, 0, v36, s[0:1]
	v_add_co_u32_e64 v37, s[26:27], v37, v16
	v_add3_u32 v38, v38, v76, v75
	v_addc_co_u32_e64 v36, s[26:27], v36, v17, s[26:27]
	v_cndmask_b32_e32 v37, 0, v37, vcc
	v_add3_u32 v40, v38, v74, v72
	v_cndmask_b32_e32 v36, 0, v36, vcc
	v_add_co_u32_e32 v38, vcc, v37, v34
	v_mbcnt_hi_u32_b32 v41, -1, v98
	v_addc_co_u32_e32 v39, vcc, v36, v35, vcc
	v_and_b32_e32 v36, 15, v41
	v_mov_b32_dpp v42, v40 row_shr:1 row_mask:0xf bank_mask:0xf
	v_mov_b32_dpp v37, v38 row_shr:1 row_mask:0xf bank_mask:0xf
	;; [unrolled: 1-line block ×3, first 2 shown]
	v_cmp_ne_u32_e32 vcc, 0, v36
	s_and_saveexec_b64 s[26:27], vcc
; %bb.57:
	v_cmp_eq_u32_e32 vcc, 0, v40
	v_cndmask_b32_e32 v37, 0, v37, vcc
	v_add_u32_e32 v42, v42, v40
	v_cndmask_b32_e32 v40, 0, v43, vcc
	v_add_co_u32_e32 v38, vcc, v37, v38
	v_addc_co_u32_e32 v39, vcc, v40, v39, vcc
	v_mov_b32_e32 v40, v42
; %bb.58:
	s_or_b64 exec, exec, s[26:27]
	s_nop 0
	v_mov_b32_dpp v42, v40 row_shr:2 row_mask:0xf bank_mask:0xf
	v_mov_b32_dpp v37, v38 row_shr:2 row_mask:0xf bank_mask:0xf
	v_mov_b32_dpp v43, v39 row_shr:2 row_mask:0xf bank_mask:0xf
	v_cmp_lt_u32_e32 vcc, 1, v36
	s_and_saveexec_b64 s[26:27], vcc
; %bb.59:
	v_cmp_eq_u32_e32 vcc, 0, v40
	v_cndmask_b32_e32 v37, 0, v37, vcc
	v_add_u32_e32 v42, v42, v40
	v_cndmask_b32_e32 v40, 0, v43, vcc
	v_add_co_u32_e32 v38, vcc, v37, v38
	v_addc_co_u32_e32 v39, vcc, v40, v39, vcc
	v_mov_b32_e32 v40, v42
; %bb.60:
	s_or_b64 exec, exec, s[26:27]
	s_nop 0
	v_mov_b32_dpp v42, v40 row_shr:4 row_mask:0xf bank_mask:0xf
	v_mov_b32_dpp v37, v38 row_shr:4 row_mask:0xf bank_mask:0xf
	v_mov_b32_dpp v43, v39 row_shr:4 row_mask:0xf bank_mask:0xf
	v_cmp_lt_u32_e32 vcc, 3, v36
	;; [unrolled: 16-line block ×3, first 2 shown]
	s_and_saveexec_b64 s[26:27], vcc
; %bb.63:
	v_cmp_eq_u32_e32 vcc, 0, v40
	v_cndmask_b32_e32 v37, 0, v37, vcc
	v_add_u32_e32 v36, v42, v40
	v_cndmask_b32_e32 v40, 0, v43, vcc
	v_add_co_u32_e32 v38, vcc, v37, v38
	v_addc_co_u32_e32 v39, vcc, v40, v39, vcc
	v_mov_b32_e32 v40, v36
; %bb.64:
	s_or_b64 exec, exec, s[26:27]
	v_and_b32_e32 v43, 16, v41
	v_mov_b32_dpp v37, v40 row_bcast:15 row_mask:0xf bank_mask:0xf
	v_mov_b32_dpp v36, v38 row_bcast:15 row_mask:0xf bank_mask:0xf
	;; [unrolled: 1-line block ×3, first 2 shown]
	v_cmp_ne_u32_e32 vcc, 0, v43
	s_and_saveexec_b64 s[26:27], vcc
; %bb.65:
	v_cmp_eq_u32_e32 vcc, 0, v40
	v_cndmask_b32_e32 v36, 0, v36, vcc
	v_add_u32_e32 v37, v37, v40
	v_cndmask_b32_e32 v40, 0, v42, vcc
	v_add_co_u32_e32 v38, vcc, v36, v38
	v_addc_co_u32_e32 v39, vcc, v40, v39, vcc
	v_mov_b32_e32 v40, v37
; %bb.66:
	s_or_b64 exec, exec, s[26:27]
	s_nop 0
	v_mov_b32_dpp v37, v40 row_bcast:31 row_mask:0xf bank_mask:0xf
	v_mov_b32_dpp v36, v38 row_bcast:31 row_mask:0xf bank_mask:0xf
	;; [unrolled: 1-line block ×3, first 2 shown]
	v_cmp_lt_u32_e32 vcc, 31, v41
	s_and_saveexec_b64 s[26:27], vcc
; %bb.67:
	v_cmp_eq_u32_e32 vcc, 0, v40
	v_cndmask_b32_e32 v36, 0, v36, vcc
	v_add_u32_e32 v37, v37, v40
	v_cndmask_b32_e32 v40, 0, v42, vcc
	v_add_co_u32_e32 v38, vcc, v36, v38
	v_addc_co_u32_e32 v39, vcc, v40, v39, vcc
	v_mov_b32_e32 v40, v37
; %bb.68:
	s_or_b64 exec, exec, s[26:27]
	v_lshrrev_b32_e32 v36, 6, v0
	v_or_b32_e32 v37, 63, v0
	v_cmp_eq_u32_e32 vcc, v37, v0
	v_lshlrev_b32_e32 v42, 4, v36
	s_and_saveexec_b64 s[26:27], vcc
	s_cbranch_execz .LBB674_70
; %bb.69:
	ds_write_b32 v42, v40 offset:544
	ds_write_b64 v42, v[38:39] offset:552
.LBB674_70:
	s_or_b64 exec, exec, s[26:27]
	v_cmp_gt_u32_e32 vcc, 4, v0
	s_waitcnt lgkmcnt(0)
	s_barrier
	s_and_saveexec_b64 s[26:27], vcc
	s_cbranch_execz .LBB674_76
; %bb.71:
	v_lshlrev_b32_e32 v43, 4, v0
	ds_read_b32 v44, v43 offset:544
	ds_read_b64 v[36:37], v43 offset:552
	v_and_b32_e32 v45, 3, v41
	v_cmp_ne_u32_e32 vcc, 0, v45
	s_waitcnt lgkmcnt(1)
	v_mov_b32_dpp v47, v44 row_shr:1 row_mask:0xf bank_mask:0xf
	s_waitcnt lgkmcnt(0)
	v_mov_b32_dpp v46, v36 row_shr:1 row_mask:0xf bank_mask:0xf
	v_mov_b32_dpp v48, v37 row_shr:1 row_mask:0xf bank_mask:0xf
	s_and_saveexec_b64 s[48:49], vcc
; %bb.72:
	v_cmp_eq_u32_e32 vcc, 0, v44
	v_cndmask_b32_e32 v46, 0, v46, vcc
	v_add_u32_e32 v47, v47, v44
	v_cndmask_b32_e32 v44, 0, v48, vcc
	v_add_co_u32_e32 v36, vcc, v46, v36
	v_addc_co_u32_e32 v37, vcc, v44, v37, vcc
	v_mov_b32_e32 v44, v47
; %bb.73:
	s_or_b64 exec, exec, s[48:49]
	s_nop 0
	v_mov_b32_dpp v47, v44 row_shr:2 row_mask:0xf bank_mask:0xf
	v_mov_b32_dpp v46, v36 row_shr:2 row_mask:0xf bank_mask:0xf
	;; [unrolled: 1-line block ×3, first 2 shown]
	v_cmp_lt_u32_e32 vcc, 1, v45
	s_and_saveexec_b64 s[48:49], vcc
; %bb.74:
	v_cmp_eq_u32_e32 vcc, 0, v44
	v_cndmask_b32_e32 v46, 0, v46, vcc
	v_add_u32_e32 v45, v47, v44
	v_cndmask_b32_e32 v44, 0, v48, vcc
	v_add_co_u32_e32 v36, vcc, v46, v36
	v_addc_co_u32_e32 v37, vcc, v44, v37, vcc
	v_mov_b32_e32 v44, v45
; %bb.75:
	s_or_b64 exec, exec, s[48:49]
	ds_write_b32 v43, v44 offset:544
	ds_write_b64 v43, v[36:37] offset:552
.LBB674_76:
	s_or_b64 exec, exec, s[26:27]
	v_cmp_gt_u32_e32 vcc, 64, v0
	v_cmp_lt_u32_e64 s[26:27], 63, v0
	v_pk_mov_b32 v[36:37], 0, 0
	v_mov_b32_e32 v48, 0
	s_waitcnt lgkmcnt(0)
	s_barrier
	s_and_saveexec_b64 s[48:49], s[26:27]
	s_cbranch_execz .LBB674_78
; %bb.77:
	ds_read_b32 v48, v42 offset:528
	ds_read_b64 v[36:37], v42 offset:536
	v_cmp_eq_u32_e64 s[26:27], 0, v40
	s_waitcnt lgkmcnt(1)
	v_add_u32_e32 v42, v48, v40
	s_waitcnt lgkmcnt(0)
	v_cndmask_b32_e64 v43, 0, v36, s[26:27]
	v_cndmask_b32_e64 v40, 0, v37, s[26:27]
	v_add_co_u32_e64 v38, s[26:27], v43, v38
	v_addc_co_u32_e64 v39, s[26:27], v40, v39, s[26:27]
	v_mov_b32_e32 v40, v42
.LBB674_78:
	s_or_b64 exec, exec, s[48:49]
	v_add_u32_e32 v42, -1, v41
	v_and_b32_e32 v43, 64, v41
	v_cmp_lt_i32_e64 s[26:27], v42, v43
	v_cndmask_b32_e64 v42, v42, v41, s[26:27]
	v_lshlrev_b32_e32 v42, 2, v42
	ds_bpermute_b32 v49, v42, v40
	ds_bpermute_b32 v50, v42, v38
	;; [unrolled: 1-line block ×3, first 2 shown]
	v_cmp_eq_u32_e64 s[26:27], 0, v41
	s_and_saveexec_b64 s[48:49], vcc
	s_cbranch_execz .LBB674_121
; %bb.79:
	v_mov_b32_e32 v43, 0
	ds_read_b32 v52, v43 offset:592
	ds_read_b64 v[38:39], v43 offset:600
	s_and_saveexec_b64 s[56:57], s[26:27]
	s_cbranch_execz .LBB674_81
; %bb.80:
	s_add_i32 s58, s6, 64
	s_mov_b32 s59, 0
	s_lshl_b64 s[60:61], s[58:59], 4
	s_add_u32 s60, s36, s60
	s_addc_u32 s61, s37, s61
	v_mov_b32_e32 v40, s58
	v_mov_b32_e32 v42, 1
	s_waitcnt lgkmcnt(1)
	global_store_dword v43, v52, s[60:61]
	s_waitcnt lgkmcnt(0)
	global_store_dwordx2 v43, v[38:39], s[60:61] offset:8
	s_waitcnt vmcnt(0)
	buffer_wbinvl1_vol
	global_store_byte v40, v42, s[40:41]
.LBB674_81:
	s_or_b64 exec, exec, s[56:57]
	v_xad_u32 v40, v41, -1, s6
	v_add_u32_e32 v42, 64, v40
	global_load_ubyte v53, v42, s[40:41] glc
	s_waitcnt vmcnt(0)
	v_cmp_eq_u16_e32 vcc, 0, v53
	s_and_saveexec_b64 s[56:57], vcc
	s_cbranch_execz .LBB674_85
; %bb.82:
	v_mov_b32_e32 v45, s41
	v_add_co_u32_e32 v44, vcc, s40, v42
	v_addc_co_u32_e32 v45, vcc, 0, v45, vcc
	s_mov_b64 s[58:59], 0
.LBB674_83:                             ; =>This Inner Loop Header: Depth=1
	global_load_ubyte v53, v[44:45], off glc
	s_waitcnt vmcnt(0)
	v_cmp_ne_u16_e32 vcc, 0, v53
	s_or_b64 s[58:59], vcc, s[58:59]
	s_andn2_b64 exec, exec, s[58:59]
	s_cbranch_execnz .LBB674_83
; %bb.84:
	s_or_b64 exec, exec, s[58:59]
.LBB674_85:
	s_or_b64 exec, exec, s[56:57]
	v_mov_b32_e32 v44, s39
	v_mov_b32_e32 v45, s37
	v_cmp_eq_u16_e32 vcc, 1, v53
	v_cndmask_b32_e32 v44, v44, v45, vcc
	v_mov_b32_e32 v45, s38
	v_mov_b32_e32 v46, s36
	v_cndmask_b32_e32 v45, v45, v46, vcc
	v_lshlrev_b64 v[42:43], 4, v[42:43]
	v_add_co_u32_e32 v42, vcc, v45, v42
	v_addc_co_u32_e32 v43, vcc, v44, v43, vcc
	s_waitcnt lgkmcnt(0)
	buffer_wbinvl1_vol
	global_load_dword v68, v[42:43], off
	global_load_dwordx2 v[46:47], v[42:43], off offset:8
	v_cmp_eq_u16_e32 vcc, 2, v53
	v_lshlrev_b64 v[42:43], v41, -1
	v_and_b32_e32 v54, 63, v41
	v_and_b32_e32 v44, vcc_hi, v43
	v_and_b32_e32 v58, vcc_lo, v42
	v_cmp_ne_u32_e32 vcc, 63, v54
	v_addc_co_u32_e32 v45, vcc, 0, v41, vcc
	v_lshlrev_b32_e32 v55, 2, v45
	v_or_b32_e32 v44, 0x80000000, v44
	v_ffbl_b32_e32 v44, v44
	v_add_u32_e32 v44, 32, v44
	v_ffbl_b32_e32 v58, v58
	v_min_u32_e32 v44, v58, v44
	v_cmp_lt_u32_e32 vcc, v54, v44
	s_waitcnt vmcnt(1)
	ds_bpermute_b32 v56, v55, v68
	s_waitcnt vmcnt(0)
	ds_bpermute_b32 v45, v55, v46
	ds_bpermute_b32 v57, v55, v47
	s_and_saveexec_b64 s[56:57], vcc
	s_cbranch_execz .LBB674_87
; %bb.86:
	v_cmp_eq_u32_e32 vcc, 0, v68
	s_waitcnt lgkmcnt(1)
	v_cndmask_b32_e32 v45, 0, v45, vcc
	v_add_u32_e32 v56, v56, v68
	s_waitcnt lgkmcnt(0)
	v_cndmask_b32_e32 v57, 0, v57, vcc
	v_add_co_u32_e32 v46, vcc, v45, v46
	v_addc_co_u32_e32 v47, vcc, v57, v47, vcc
	v_mov_b32_e32 v68, v56
.LBB674_87:
	s_or_b64 exec, exec, s[56:57]
	v_cmp_gt_u32_e32 vcc, 62, v54
	s_waitcnt lgkmcnt(1)
	v_cndmask_b32_e64 v45, 0, 1, vcc
	v_lshlrev_b32_e32 v45, 1, v45
	v_add_lshl_u32 v56, v45, v41, 2
	ds_bpermute_b32 v58, v56, v68
	ds_bpermute_b32 v45, v56, v46
	ds_bpermute_b32 v59, v56, v47
	s_waitcnt lgkmcnt(3)
	v_add_u32_e32 v57, 2, v54
	v_cmp_le_u32_e32 vcc, v57, v44
	s_and_saveexec_b64 s[56:57], vcc
	s_cbranch_execz .LBB674_89
; %bb.88:
	v_cmp_eq_u32_e32 vcc, 0, v68
	s_waitcnt lgkmcnt(1)
	v_cndmask_b32_e32 v45, 0, v45, vcc
	v_add_u32_e32 v58, v58, v68
	s_waitcnt lgkmcnt(0)
	v_cndmask_b32_e32 v59, 0, v59, vcc
	v_add_co_u32_e32 v46, vcc, v45, v46
	v_addc_co_u32_e32 v47, vcc, v59, v47, vcc
	v_mov_b32_e32 v68, v58
.LBB674_89:
	s_or_b64 exec, exec, s[56:57]
	v_cmp_gt_u32_e32 vcc, 60, v54
	s_waitcnt lgkmcnt(1)
	v_cndmask_b32_e64 v45, 0, 1, vcc
	v_lshlrev_b32_e32 v45, 2, v45
	v_add_lshl_u32 v58, v45, v41, 2
	ds_bpermute_b32 v60, v58, v68
	ds_bpermute_b32 v45, v58, v46
	ds_bpermute_b32 v61, v58, v47
	s_waitcnt lgkmcnt(3)
	v_add_u32_e32 v59, 4, v54
	v_cmp_le_u32_e32 vcc, v59, v44
	;; [unrolled: 25-line block ×4, first 2 shown]
	s_and_saveexec_b64 s[56:57], vcc
	s_cbranch_execz .LBB674_95
; %bb.94:
	v_cmp_eq_u32_e32 vcc, 0, v68
	s_waitcnt lgkmcnt(1)
	v_cndmask_b32_e32 v45, 0, v45, vcc
	v_add_u32_e32 v64, v64, v68
	s_waitcnt lgkmcnt(0)
	v_cndmask_b32_e32 v65, 0, v65, vcc
	v_add_co_u32_e32 v46, vcc, v45, v46
	v_addc_co_u32_e32 v47, vcc, v65, v47, vcc
	v_mov_b32_e32 v68, v64
.LBB674_95:
	s_or_b64 exec, exec, s[56:57]
	v_cmp_gt_u32_e32 vcc, 32, v54
	s_waitcnt lgkmcnt(1)
	v_cndmask_b32_e64 v45, 0, 1, vcc
	v_lshlrev_b32_e32 v45, 5, v45
	v_add_lshl_u32 v64, v45, v41, 2
	ds_bpermute_b32 v45, v64, v68
	ds_bpermute_b32 v41, v64, v46
	s_waitcnt lgkmcnt(2)
	ds_bpermute_b32 v65, v64, v47
	v_add_u32_e32 v66, 32, v54
	v_cmp_le_u32_e32 vcc, v66, v44
	s_and_saveexec_b64 s[56:57], vcc
	s_cbranch_execz .LBB674_97
; %bb.96:
	v_cmp_eq_u32_e32 vcc, 0, v68
	s_waitcnt lgkmcnt(1)
	v_cndmask_b32_e32 v41, 0, v41, vcc
	v_add_u32_e32 v44, v45, v68
	s_waitcnt lgkmcnt(0)
	v_cndmask_b32_e32 v45, 0, v65, vcc
	v_add_co_u32_e32 v46, vcc, v41, v46
	v_addc_co_u32_e32 v47, vcc, v45, v47, vcc
	v_mov_b32_e32 v68, v44
.LBB674_97:
	s_or_b64 exec, exec, s[56:57]
	s_waitcnt lgkmcnt(1)
	v_mov_b32_e32 v41, 0
	v_mov_b32_e32 v67, 2
	s_branch .LBB674_99
.LBB674_98:                             ;   in Loop: Header=BB674_99 Depth=1
	s_or_b64 exec, exec, s[56:57]
	v_cmp_eq_u32_e32 vcc, 0, v65
	v_cndmask_b32_e32 v46, 0, v46, vcc
	v_cndmask_b32_e32 v47, 0, v47, vcc
	v_add_co_u32_e32 v46, vcc, v46, v44
	v_subrev_u32_e32 v40, 64, v40
	v_add_u32_e32 v68, v69, v65
	v_addc_co_u32_e32 v47, vcc, v47, v45, vcc
.LBB674_99:                             ; =>This Loop Header: Depth=1
                                        ;     Child Loop BB674_102 Depth 2
	v_cmp_ne_u16_sdwa s[56:57], v53, v67 src0_sel:BYTE_0 src1_sel:DWORD
	v_pk_mov_b32 v[44:45], v[46:47], v[46:47] op_sel:[0,1]
	v_cndmask_b32_e64 v46, 0, 1, s[56:57]
	;;#ASMSTART
	;;#ASMEND
	v_cmp_ne_u32_e32 vcc, 0, v46
	s_cmp_lg_u64 vcc, exec
	s_waitcnt lgkmcnt(0)
	v_mov_b32_e32 v65, v68
	s_cbranch_scc1 .LBB674_116
; %bb.100:                              ;   in Loop: Header=BB674_99 Depth=1
	global_load_ubyte v53, v40, s[40:41] glc
	s_waitcnt vmcnt(0)
	v_cmp_eq_u16_e32 vcc, 0, v53
	s_and_saveexec_b64 s[56:57], vcc
	s_cbranch_execz .LBB674_104
; %bb.101:                              ;   in Loop: Header=BB674_99 Depth=1
	v_mov_b32_e32 v47, s41
	v_add_co_u32_e32 v46, vcc, s40, v40
	v_addc_co_u32_e32 v47, vcc, 0, v47, vcc
	s_mov_b64 s[58:59], 0
.LBB674_102:                            ;   Parent Loop BB674_99 Depth=1
                                        ; =>  This Inner Loop Header: Depth=2
	global_load_ubyte v53, v[46:47], off glc
	s_waitcnt vmcnt(0)
	v_cmp_ne_u16_e32 vcc, 0, v53
	s_or_b64 s[58:59], vcc, s[58:59]
	s_andn2_b64 exec, exec, s[58:59]
	s_cbranch_execnz .LBB674_102
; %bb.103:                              ;   in Loop: Header=BB674_99 Depth=1
	s_or_b64 exec, exec, s[58:59]
.LBB674_104:                            ;   in Loop: Header=BB674_99 Depth=1
	s_or_b64 exec, exec, s[56:57]
	v_mov_b32_e32 v46, s39
	v_mov_b32_e32 v47, s37
	v_cmp_eq_u16_e32 vcc, 1, v53
	v_cndmask_b32_e32 v68, v46, v47, vcc
	v_mov_b32_e32 v46, s38
	v_mov_b32_e32 v47, s36
	v_cndmask_b32_e32 v69, v46, v47, vcc
	v_lshlrev_b64 v[46:47], 4, v[40:41]
	v_add_co_u32_e32 v46, vcc, v69, v46
	v_addc_co_u32_e32 v47, vcc, v68, v47, vcc
	buffer_wbinvl1_vol
	global_load_dword v69, v[46:47], off
	s_nop 0
	global_load_dwordx2 v[46:47], v[46:47], off offset:8
	v_cmp_eq_u16_e32 vcc, 2, v53
	v_and_b32_e32 v68, vcc_hi, v43
	v_or_b32_e32 v68, 0x80000000, v68
	v_and_b32_e32 v100, vcc_lo, v42
	v_ffbl_b32_e32 v68, v68
	v_add_u32_e32 v68, 32, v68
	v_ffbl_b32_e32 v100, v100
	v_min_u32_e32 v68, v100, v68
	v_cmp_lt_u32_e32 vcc, v54, v68
	s_waitcnt vmcnt(1)
	ds_bpermute_b32 v71, v55, v69
	s_waitcnt vmcnt(0)
	ds_bpermute_b32 v70, v55, v46
	ds_bpermute_b32 v97, v55, v47
	s_and_saveexec_b64 s[56:57], vcc
	s_cbranch_execz .LBB674_106
; %bb.105:                              ;   in Loop: Header=BB674_99 Depth=1
	v_cmp_eq_u32_e32 vcc, 0, v69
	s_waitcnt lgkmcnt(1)
	v_cndmask_b32_e32 v70, 0, v70, vcc
	v_add_u32_e32 v71, v71, v69
	s_waitcnt lgkmcnt(0)
	v_cndmask_b32_e32 v69, 0, v97, vcc
	v_add_co_u32_e32 v46, vcc, v70, v46
	v_addc_co_u32_e32 v47, vcc, v69, v47, vcc
	v_mov_b32_e32 v69, v71
.LBB674_106:                            ;   in Loop: Header=BB674_99 Depth=1
	s_or_b64 exec, exec, s[56:57]
	s_waitcnt lgkmcnt(2)
	ds_bpermute_b32 v71, v56, v69
	s_waitcnt lgkmcnt(2)
	ds_bpermute_b32 v70, v56, v46
	s_waitcnt lgkmcnt(2)
	ds_bpermute_b32 v97, v56, v47
	v_cmp_le_u32_e32 vcc, v57, v68
	s_and_saveexec_b64 s[56:57], vcc
	s_cbranch_execz .LBB674_108
; %bb.107:                              ;   in Loop: Header=BB674_99 Depth=1
	v_cmp_eq_u32_e32 vcc, 0, v69
	s_waitcnt lgkmcnt(1)
	v_cndmask_b32_e32 v70, 0, v70, vcc
	v_add_u32_e32 v71, v71, v69
	s_waitcnt lgkmcnt(0)
	v_cndmask_b32_e32 v69, 0, v97, vcc
	v_add_co_u32_e32 v46, vcc, v70, v46
	v_addc_co_u32_e32 v47, vcc, v69, v47, vcc
	v_mov_b32_e32 v69, v71
.LBB674_108:                            ;   in Loop: Header=BB674_99 Depth=1
	s_or_b64 exec, exec, s[56:57]
	s_waitcnt lgkmcnt(2)
	ds_bpermute_b32 v71, v58, v69
	s_waitcnt lgkmcnt(2)
	ds_bpermute_b32 v70, v58, v46
	s_waitcnt lgkmcnt(2)
	ds_bpermute_b32 v97, v58, v47
	v_cmp_le_u32_e32 vcc, v59, v68
	;; [unrolled: 21-line block ×5, first 2 shown]
	s_and_saveexec_b64 s[56:57], vcc
	s_cbranch_execz .LBB674_98
; %bb.115:                              ;   in Loop: Header=BB674_99 Depth=1
	v_cmp_eq_u32_e32 vcc, 0, v69
	s_waitcnt lgkmcnt(1)
	v_cndmask_b32_e32 v70, 0, v70, vcc
	v_add_u32_e32 v68, v71, v69
	s_waitcnt lgkmcnt(0)
	v_cndmask_b32_e32 v69, 0, v97, vcc
	v_add_co_u32_e32 v46, vcc, v70, v46
	v_addc_co_u32_e32 v47, vcc, v69, v47, vcc
	v_mov_b32_e32 v69, v68
	s_branch .LBB674_98
.LBB674_116:                            ;   in Loop: Header=BB674_99 Depth=1
                                        ; implicit-def: $vgpr46_vgpr47
                                        ; implicit-def: $vgpr68
                                        ; implicit-def: $vgpr53
	s_cbranch_execz .LBB674_99
; %bb.117:
	s_and_saveexec_b64 s[36:37], s[26:27]
	s_cbranch_execz .LBB674_119
; %bb.118:
	s_mov_b32 s7, 0
	v_cmp_eq_u32_e32 vcc, 0, v52
	s_add_i32 s6, s6, 64
	v_cndmask_b32_e32 v40, 0, v44, vcc
	s_lshl_b64 s[56:57], s[6:7], 4
	v_cndmask_b32_e32 v41, 0, v45, vcc
	v_add_co_u32_e32 v40, vcc, v40, v38
	s_add_u32 s56, s38, s56
	v_add_u32_e32 v42, v65, v52
	v_addc_co_u32_e32 v41, vcc, v41, v39, vcc
	s_addc_u32 s57, s39, s57
	v_mov_b32_e32 v43, 0
	global_store_dword v43, v42, s[56:57]
	global_store_dwordx2 v43, v[40:41], s[56:57] offset:8
	v_mov_b32_e32 v40, s6
	v_mov_b32_e32 v41, 2
	s_waitcnt vmcnt(0) lgkmcnt(0)
	buffer_wbinvl1_vol
	global_store_byte v40, v41, s[40:41]
	ds_write_b32 v43, v52 offset:512
	ds_write_b64 v43, v[38:39] offset:520
	ds_write_b32 v43, v65 offset:528
	ds_write_b64 v43, v[44:45] offset:536
.LBB674_119:
	s_or_b64 exec, exec, s[36:37]
	v_cmp_eq_u32_e32 vcc, 0, v0
	s_and_b64 exec, exec, vcc
	s_cbranch_execz .LBB674_121
; %bb.120:
	v_mov_b32_e32 v38, 0
	ds_write_b32 v38, v65 offset:592
	ds_write_b64 v38, v[44:45] offset:600
.LBB674_121:
	s_or_b64 exec, exec, s[48:49]
	v_mov_b32_e32 v41, 0
	s_waitcnt lgkmcnt(0)
	s_barrier
	ds_read_b32 v40, v41 offset:592
	ds_read_b64 v[38:39], v41 offset:600
	v_cndmask_b32_e64 v42, v49, v48, s[26:27]
	v_cmp_eq_u32_e32 vcc, 0, v42
	v_cndmask_b32_e64 v36, v50, v36, s[26:27]
	v_cndmask_b32_e64 v37, v51, v37, s[26:27]
	s_waitcnt lgkmcnt(0)
	v_cndmask_b32_e32 v44, 0, v38, vcc
	v_cndmask_b32_e32 v43, 0, v39, vcc
	v_add_co_u32_e32 v36, vcc, v44, v36
	v_addc_co_u32_e32 v37, vcc, v43, v37, vcc
	v_cmp_eq_u32_e32 vcc, 0, v0
	v_cndmask_b32_e64 v42, v42, 0, vcc
	v_cndmask_b32_e32 v67, v37, v39, vcc
	v_cndmask_b32_e32 v66, v36, v38, vcc
	v_cmp_eq_u32_e32 vcc, 0, v96
	v_cndmask_b32_e32 v37, 0, v66, vcc
	v_add_u32_e32 v97, v40, v42
	v_cndmask_b32_e32 v36, 0, v67, vcc
	v_add_co_u32_e32 v42, vcc, v37, v32
	v_addc_co_u32_e32 v43, vcc, v36, v33, vcc
	v_cndmask_b32_e64 v37, 0, v42, s[24:25]
	v_cndmask_b32_e64 v36, 0, v43, s[24:25]
	v_add_co_u32_e32 v44, vcc, v37, v30
	v_addc_co_u32_e32 v45, vcc, v36, v31, vcc
	v_cndmask_b32_e64 v37, 0, v44, s[22:23]
	v_cndmask_b32_e64 v36, 0, v45, s[22:23]
	;; [unrolled: 4-line block ×11, first 2 shown]
	v_add_co_u32_e32 v64, vcc, v37, v8
	v_addc_co_u32_e32 v65, vcc, v36, v9, vcc
	s_barrier
	ds_read_b32 v36, v41 offset:512
	ds_read_b64 v[38:39], v41 offset:520
	ds_read_b32 v40, v41 offset:528
	ds_read_b64 v[100:101], v41 offset:536
	v_cndmask_b32_e64 v68, 0, v64, s[2:3]
	v_cndmask_b32_e64 v37, 0, v65, s[2:3]
	v_add_co_u32_e32 v68, vcc, v68, v6
	v_addc_co_u32_e32 v69, vcc, v37, v7, vcc
	s_waitcnt lgkmcnt(3)
	v_cmp_eq_u32_e32 vcc, 0, v36
	s_waitcnt lgkmcnt(0)
	v_cndmask_b32_e32 v41, 0, v100, vcc
	v_cndmask_b32_e32 v37, 0, v101, vcc
	v_add_co_u32_e32 v38, vcc, v41, v38
	v_cndmask_b32_e64 v71, 0, v69, s[0:1]
	v_cndmask_b32_e64 v70, 0, v68, s[0:1]
	v_addc_co_u32_e32 v39, vcc, v37, v39, vcc
	s_branch .LBB674_150
.LBB674_122:
                                        ; implicit-def: $vgpr36
                                        ; implicit-def: $vgpr38_vgpr39
                                        ; implicit-def: $vgpr40
                                        ; implicit-def: $vgpr66_vgpr67
                                        ; implicit-def: $vgpr42_vgpr43
                                        ; implicit-def: $vgpr44_vgpr45
                                        ; implicit-def: $vgpr46_vgpr47
                                        ; implicit-def: $vgpr48_vgpr49
                                        ; implicit-def: $vgpr50_vgpr51
                                        ; implicit-def: $vgpr52_vgpr53
                                        ; implicit-def: $vgpr54_vgpr55
                                        ; implicit-def: $vgpr56_vgpr57
                                        ; implicit-def: $vgpr58_vgpr59
                                        ; implicit-def: $vgpr60_vgpr61
                                        ; implicit-def: $vgpr62_vgpr63
                                        ; implicit-def: $vgpr64_vgpr65
                                        ; implicit-def: $vgpr68_vgpr69
                                        ; implicit-def: $vgpr70_vgpr71
                                        ; implicit-def: $vgpr97
	s_cbranch_execz .LBB674_150
; %bb.123:
	s_and_b64 s[0:1], s[42:43], exec
	s_cselect_b32 s1, 0, s31
	s_cselect_b32 s0, 0, s30
	s_cmp_eq_u64 s[0:1], 0
	v_pk_mov_b32 v[40:41], v[32:33], v[32:33] op_sel:[0,1]
	s_cbranch_scc1 .LBB674_125
; %bb.124:
	v_mov_b32_e32 v36, 0
	global_load_dwordx2 v[40:41], v36, s[0:1]
.LBB674_125:
	v_cmp_eq_u32_e64 s[22:23], 0, v95
	v_cndmask_b32_e64 v37, 0, v32, s[22:23]
	v_cndmask_b32_e64 v36, 0, v33, s[22:23]
	v_add_co_u32_e32 v37, vcc, v37, v30
	v_cmp_eq_u32_e64 s[20:21], 0, v94
	v_addc_co_u32_e32 v36, vcc, v36, v31, vcc
	v_cndmask_b32_e64 v37, 0, v37, s[20:21]
	v_cndmask_b32_e64 v36, 0, v36, s[20:21]
	v_add_co_u32_e32 v37, vcc, v37, v28
	v_cmp_eq_u32_e64 s[18:19], 0, v92
	v_addc_co_u32_e32 v36, vcc, v36, v29, vcc
	;; [unrolled: 5-line block ×11, first 2 shown]
	v_cndmask_b32_e64 v37, 0, v37, s[2:3]
	v_cndmask_b32_e64 v36, 0, v36, s[2:3]
	v_add_co_u32_e32 v37, vcc, v37, v6
	v_addc_co_u32_e32 v36, vcc, v36, v7, vcc
	v_cmp_eq_u32_e32 vcc, 0, v74
	v_cndmask_b32_e32 v37, 0, v37, vcc
	v_add3_u32 v38, v99, v88, v85
	v_cndmask_b32_e32 v36, 0, v36, vcc
	v_add_co_u32_e64 v37, s[24:25], v37, v16
	v_add3_u32 v38, v38, v83, v81
	v_addc_co_u32_e64 v36, s[24:25], v36, v17, s[24:25]
	v_add3_u32 v38, v38, v78, v77
	v_cmp_eq_u32_e64 s[24:25], 0, v72
	v_add3_u32 v38, v38, v76, v75
	v_cndmask_b32_e64 v37, 0, v37, s[24:25]
	v_add3_u32 v39, v38, v74, v72
	v_cndmask_b32_e64 v36, 0, v36, s[24:25]
	v_add_co_u32_e64 v34, s[24:25], v37, v34
	v_mbcnt_hi_u32_b32 v38, -1, v98
	v_addc_co_u32_e64 v35, s[24:25], v36, v35, s[24:25]
	v_and_b32_e32 v36, 15, v38
	v_mov_b32_dpp v42, v39 row_shr:1 row_mask:0xf bank_mask:0xf
	v_mov_b32_dpp v37, v34 row_shr:1 row_mask:0xf bank_mask:0xf
	;; [unrolled: 1-line block ×3, first 2 shown]
	v_cmp_ne_u32_e64 s[24:25], 0, v36
	s_and_saveexec_b64 s[26:27], s[24:25]
; %bb.126:
	v_cmp_eq_u32_e64 s[24:25], 0, v39
	v_cndmask_b32_e64 v37, 0, v37, s[24:25]
	v_add_u32_e32 v42, v42, v39
	v_cndmask_b32_e64 v39, 0, v43, s[24:25]
	v_add_co_u32_e64 v34, s[24:25], v37, v34
	v_addc_co_u32_e64 v35, s[24:25], v39, v35, s[24:25]
	v_mov_b32_e32 v39, v42
; %bb.127:
	s_or_b64 exec, exec, s[26:27]
	s_nop 0
	v_mov_b32_dpp v42, v39 row_shr:2 row_mask:0xf bank_mask:0xf
	v_mov_b32_dpp v37, v34 row_shr:2 row_mask:0xf bank_mask:0xf
	v_mov_b32_dpp v43, v35 row_shr:2 row_mask:0xf bank_mask:0xf
	v_cmp_lt_u32_e64 s[24:25], 1, v36
	s_and_saveexec_b64 s[26:27], s[24:25]
; %bb.128:
	v_cmp_eq_u32_e64 s[24:25], 0, v39
	v_cndmask_b32_e64 v37, 0, v37, s[24:25]
	v_add_u32_e32 v42, v42, v39
	v_cndmask_b32_e64 v39, 0, v43, s[24:25]
	v_add_co_u32_e64 v34, s[24:25], v37, v34
	v_addc_co_u32_e64 v35, s[24:25], v39, v35, s[24:25]
	v_mov_b32_e32 v39, v42
; %bb.129:
	s_or_b64 exec, exec, s[26:27]
	s_nop 0
	v_mov_b32_dpp v42, v39 row_shr:4 row_mask:0xf bank_mask:0xf
	v_mov_b32_dpp v37, v34 row_shr:4 row_mask:0xf bank_mask:0xf
	v_mov_b32_dpp v43, v35 row_shr:4 row_mask:0xf bank_mask:0xf
	v_cmp_lt_u32_e64 s[24:25], 3, v36
	;; [unrolled: 16-line block ×3, first 2 shown]
	s_and_saveexec_b64 s[26:27], s[24:25]
; %bb.132:
	v_cmp_eq_u32_e64 s[24:25], 0, v39
	v_cndmask_b32_e64 v37, 0, v37, s[24:25]
	v_add_u32_e32 v36, v42, v39
	v_cndmask_b32_e64 v39, 0, v43, s[24:25]
	v_add_co_u32_e64 v34, s[24:25], v37, v34
	v_addc_co_u32_e64 v35, s[24:25], v39, v35, s[24:25]
	v_mov_b32_e32 v39, v36
; %bb.133:
	s_or_b64 exec, exec, s[26:27]
	v_and_b32_e32 v43, 16, v38
	v_mov_b32_dpp v37, v39 row_bcast:15 row_mask:0xf bank_mask:0xf
	v_mov_b32_dpp v36, v34 row_bcast:15 row_mask:0xf bank_mask:0xf
	;; [unrolled: 1-line block ×3, first 2 shown]
	v_cmp_ne_u32_e64 s[24:25], 0, v43
	s_and_saveexec_b64 s[26:27], s[24:25]
; %bb.134:
	v_cmp_eq_u32_e64 s[24:25], 0, v39
	v_cndmask_b32_e64 v36, 0, v36, s[24:25]
	v_add_u32_e32 v37, v37, v39
	v_cndmask_b32_e64 v39, 0, v42, s[24:25]
	v_add_co_u32_e64 v34, s[24:25], v36, v34
	v_addc_co_u32_e64 v35, s[24:25], v39, v35, s[24:25]
	v_mov_b32_e32 v39, v37
; %bb.135:
	s_or_b64 exec, exec, s[26:27]
	s_nop 0
	v_mov_b32_dpp v37, v39 row_bcast:31 row_mask:0xf bank_mask:0xf
	v_mov_b32_dpp v36, v34 row_bcast:31 row_mask:0xf bank_mask:0xf
	;; [unrolled: 1-line block ×3, first 2 shown]
	v_cmp_lt_u32_e64 s[24:25], 31, v38
	s_and_saveexec_b64 s[26:27], s[24:25]
; %bb.136:
	v_cmp_eq_u32_e64 s[24:25], 0, v39
	v_cndmask_b32_e64 v36, 0, v36, s[24:25]
	v_add_u32_e32 v37, v37, v39
	v_cndmask_b32_e64 v39, 0, v42, s[24:25]
	v_add_co_u32_e64 v34, s[24:25], v36, v34
	v_addc_co_u32_e64 v35, s[24:25], v39, v35, s[24:25]
	v_mov_b32_e32 v39, v37
; %bb.137:
	s_or_b64 exec, exec, s[26:27]
	v_lshrrev_b32_e32 v36, 6, v0
	v_or_b32_e32 v37, 63, v0
	v_cmp_eq_u32_e64 s[24:25], v37, v0
	v_lshlrev_b32_e32 v42, 4, v36
	s_and_saveexec_b64 s[26:27], s[24:25]
	s_cbranch_execz .LBB674_139
; %bb.138:
	ds_write_b32 v42, v39 offset:544
	ds_write_b64 v42, v[34:35] offset:552
.LBB674_139:
	s_or_b64 exec, exec, s[26:27]
	v_cmp_gt_u32_e64 s[24:25], 4, v0
	s_waitcnt lgkmcnt(0)
	s_barrier
	s_and_saveexec_b64 s[26:27], s[24:25]
	s_cbranch_execz .LBB674_145
; %bb.140:
	v_lshlrev_b32_e32 v43, 4, v0
	ds_read_b32 v44, v43 offset:544
	ds_read_b64 v[36:37], v43 offset:552
	v_and_b32_e32 v45, 3, v38
	v_cmp_ne_u32_e64 s[24:25], 0, v45
	s_waitcnt lgkmcnt(1)
	v_mov_b32_dpp v47, v44 row_shr:1 row_mask:0xf bank_mask:0xf
	s_waitcnt lgkmcnt(0)
	v_mov_b32_dpp v46, v36 row_shr:1 row_mask:0xf bank_mask:0xf
	v_mov_b32_dpp v48, v37 row_shr:1 row_mask:0xf bank_mask:0xf
	s_and_saveexec_b64 s[28:29], s[24:25]
; %bb.141:
	v_cmp_eq_u32_e64 s[24:25], 0, v44
	v_cndmask_b32_e64 v46, 0, v46, s[24:25]
	v_add_u32_e32 v47, v47, v44
	v_cndmask_b32_e64 v44, 0, v48, s[24:25]
	v_add_co_u32_e64 v36, s[24:25], v46, v36
	v_addc_co_u32_e64 v37, s[24:25], v44, v37, s[24:25]
	v_mov_b32_e32 v44, v47
; %bb.142:
	s_or_b64 exec, exec, s[28:29]
	s_nop 0
	v_mov_b32_dpp v47, v44 row_shr:2 row_mask:0xf bank_mask:0xf
	v_mov_b32_dpp v46, v36 row_shr:2 row_mask:0xf bank_mask:0xf
	;; [unrolled: 1-line block ×3, first 2 shown]
	v_cmp_lt_u32_e64 s[24:25], 1, v45
	s_and_saveexec_b64 s[28:29], s[24:25]
; %bb.143:
	v_cmp_eq_u32_e64 s[24:25], 0, v44
	v_cndmask_b32_e64 v46, 0, v46, s[24:25]
	v_add_u32_e32 v45, v47, v44
	v_cndmask_b32_e64 v44, 0, v48, s[24:25]
	v_add_co_u32_e64 v36, s[24:25], v46, v36
	v_addc_co_u32_e64 v37, s[24:25], v44, v37, s[24:25]
	v_mov_b32_e32 v44, v45
; %bb.144:
	s_or_b64 exec, exec, s[28:29]
	ds_write_b32 v43, v44 offset:544
	ds_write_b64 v43, v[36:37] offset:552
.LBB674_145:
	s_or_b64 exec, exec, s[26:27]
	v_cmp_lt_u32_e64 s[24:25], 63, v0
	v_mov_b32_e32 v98, 0
	v_mov_b32_e32 v43, 0
	s_waitcnt vmcnt(0)
	v_pk_mov_b32 v[36:37], v[40:41], v[40:41] op_sel:[0,1]
	s_waitcnt lgkmcnt(0)
	s_barrier
	s_and_saveexec_b64 s[26:27], s[24:25]
	s_cbranch_execz .LBB674_147
; %bb.146:
	ds_read_b32 v43, v42 offset:528
	ds_read_b64 v[36:37], v42 offset:536
	s_waitcnt lgkmcnt(1)
	v_cmp_eq_u32_e64 s[24:25], 0, v43
	v_cndmask_b32_e64 v44, 0, v40, s[24:25]
	v_cndmask_b32_e64 v42, 0, v41, s[24:25]
	s_waitcnt lgkmcnt(0)
	v_add_co_u32_e64 v36, s[24:25], v44, v36
	v_addc_co_u32_e64 v37, s[24:25], v42, v37, s[24:25]
.LBB674_147:
	s_or_b64 exec, exec, s[26:27]
	v_cmp_eq_u32_e64 s[24:25], 0, v39
	v_cndmask_b32_e64 v44, 0, v36, s[24:25]
	v_add_u32_e32 v42, v43, v39
	v_cndmask_b32_e64 v39, 0, v37, s[24:25]
	v_add_co_u32_e64 v34, s[24:25], v44, v34
	v_addc_co_u32_e64 v35, s[24:25], v39, v35, s[24:25]
	v_add_u32_e32 v39, -1, v38
	v_and_b32_e32 v44, 64, v38
	v_cmp_lt_i32_e64 s[24:25], v39, v44
	v_cndmask_b32_e64 v39, v39, v38, s[24:25]
	v_lshlrev_b32_e32 v39, 2, v39
	ds_bpermute_b32 v42, v39, v42
	ds_bpermute_b32 v35, v39, v35
	;; [unrolled: 1-line block ×3, first 2 shown]
	v_cmp_eq_u32_e64 s[24:25], 0, v38
	v_cmp_eq_u32_e64 s[26:27], 0, v96
	s_waitcnt lgkmcnt(2)
	v_cndmask_b32_e64 v97, v42, v43, s[24:25]
	s_waitcnt lgkmcnt(1)
	v_cndmask_b32_e64 v67, v35, v37, s[24:25]
	;; [unrolled: 2-line block ×3, first 2 shown]
	v_cmp_eq_u32_e64 s[24:25], 0, v0
	v_cndmask_b32_e64 v34, v66, v40, s[24:25]
	v_cndmask_b32_e64 v35, v67, v41, s[24:25]
	;; [unrolled: 1-line block ×4, first 2 shown]
	v_add_co_u32_e64 v42, s[26:27], v34, v32
	v_addc_co_u32_e64 v43, s[26:27], v35, v33, s[26:27]
	v_cndmask_b32_e64 v33, 0, v42, s[22:23]
	v_cndmask_b32_e64 v32, 0, v43, s[22:23]
	v_add_co_u32_e64 v44, s[22:23], v33, v30
	v_addc_co_u32_e64 v45, s[22:23], v32, v31, s[22:23]
	v_cndmask_b32_e64 v31, 0, v44, s[20:21]
	v_cndmask_b32_e64 v30, 0, v45, s[20:21]
	;; [unrolled: 4-line block ×11, first 2 shown]
	v_add_co_u32_e64 v64, s[0:1], v11, v8
	v_addc_co_u32_e64 v65, s[0:1], v10, v9, s[0:1]
	v_cndmask_b32_e64 v9, 0, v64, s[2:3]
	ds_read_b32 v36, v98 offset:592
	v_cndmask_b32_e64 v8, 0, v65, s[2:3]
	v_add_co_u32_e64 v68, s[0:1], v9, v6
	v_addc_co_u32_e64 v69, s[0:1], v8, v7, s[0:1]
	ds_read_b64 v[6:7], v98 offset:600
	v_cndmask_b32_e32 v71, 0, v69, vcc
	v_cndmask_b32_e32 v70, 0, v68, vcc
	s_waitcnt lgkmcnt(1)
	v_cmp_eq_u32_e32 vcc, 0, v36
	v_cndmask_b32_e32 v9, 0, v40, vcc
	v_cndmask_b32_e32 v8, 0, v41, vcc
	s_waitcnt lgkmcnt(0)
	v_add_co_u32_e32 v38, vcc, v9, v6
	v_addc_co_u32_e32 v39, vcc, v8, v7, vcc
	s_and_saveexec_b64 s[0:1], s[24:25]
	s_cbranch_execz .LBB674_149
; %bb.148:
	v_mov_b32_e32 v97, 0
	v_mov_b32_e32 v6, 2
	v_pk_mov_b32 v[66:67], v[40:41], v[40:41] op_sel:[0,1]
	global_store_dword v97, v36, s[38:39] offset:1024
	global_store_dwordx2 v97, v[38:39], s[38:39] offset:1032
	s_waitcnt vmcnt(0)
	buffer_wbinvl1_vol
	global_store_byte v97, v6, s[40:41] offset:64
.LBB674_149:
	s_or_b64 exec, exec, s[0:1]
	v_mov_b32_e32 v40, 0
.LBB674_150:
	s_and_b64 s[0:1], s[42:43], exec
	s_cselect_b32 s1, 0, s51
	s_cselect_b32 s0, 0, s50
	s_cmp_eq_u64 s[0:1], 0
	v_pk_mov_b32 v[18:19], 0, 0
	s_barrier
	s_cbranch_scc1 .LBB674_152
; %bb.151:
	v_mov_b32_e32 v6, 0
	global_load_dwordx2 v[18:19], v6, s[0:1]
.LBB674_152:
	v_mov_b32_e32 v6, s53
	s_waitcnt vmcnt(0)
	v_add_co_u32_e32 v7, vcc, s52, v18
	v_addc_co_u32_e32 v6, vcc, v6, v19, vcc
	v_add_co_u32_e32 v20, vcc, v7, v40
	v_addc_co_u32_e32 v21, vcc, 0, v6, vcc
	v_cmp_eq_u32_e32 vcc, 0, v96
	v_cndmask_b32_e64 v6, 1, 2, vcc
	v_cmp_eq_u32_e32 vcc, 0, v95
	v_cndmask_b32_e64 v7, 1, 2, vcc
	v_cmp_eq_u32_e32 vcc, 0, v94
	v_and_b32_e32 v6, v7, v6
	v_cndmask_b32_e64 v7, 1, 2, vcc
	v_cmp_eq_u32_e32 vcc, 0, v92
	v_add_u32_e32 v35, v97, v96
	v_and_b32_e32 v6, v6, v7
	v_cndmask_b32_e64 v7, 1, 2, vcc
	v_cmp_eq_u32_e32 vcc, 0, v89
	v_add_u32_e32 v34, v35, v95
	;; [unrolled: 4-line block ×12, first 2 shown]
	v_and_b32_e32 v6, v6, v7
	v_cndmask_b32_e64 v7, 1, 2, vcc
	s_movk_i32 s30, 0x100
	v_add_u32_e32 v23, v24, v75
	v_and_b32_e32 v6, v6, v7
	v_cmp_gt_u32_e32 vcc, s30, v36
	v_add_u32_e32 v22, v23, v74
	v_mov_b32_e32 v41, 0
	v_cmp_ne_u32_e64 s[28:29], 0, v96
	v_cmp_ne_u32_e64 s[26:27], 0, v95
	v_cmp_ne_u32_e64 s[24:25], 0, v94
	v_cmp_ne_u32_e64 s[22:23], 0, v92
	v_cmp_ne_u32_e64 s[20:21], 0, v89
	v_cmp_ne_u32_e64 s[18:19], 0, v88
	v_cmp_ne_u32_e64 s[16:17], 0, v85
	v_cmp_ne_u32_e64 s[14:15], 0, v83
	v_cmp_ne_u32_e64 s[12:13], 0, v81
	v_cmp_ne_u32_e64 s[10:11], 0, v78
	v_cmp_ne_u32_e64 s[8:9], 0, v77
	v_cmp_ne_u32_e64 s[6:7], 0, v76
	v_cmp_ne_u32_e64 s[4:5], 0, v75
	v_cmp_ne_u32_e64 s[2:3], 0, v74
	v_cmp_ne_u32_e64 s[0:1], 0, v72
	s_mov_b64 s[36:37], -1
	v_cmp_gt_i16_e64 s[30:31], 2, v6
	s_cbranch_vccz .LBB674_159
; %bb.153:
	s_and_saveexec_b64 s[36:37], s[30:31]
	s_cbranch_execz .LBB674_158
; %bb.154:
	v_cmp_ne_u16_e32 vcc, 1, v6
	s_mov_b64 s[38:39], 0
	s_and_saveexec_b64 s[30:31], vcc
	s_xor_b64 s[30:31], exec, s[30:31]
	s_cbranch_execnz .LBB674_202
; %bb.155:
	s_andn2_saveexec_b64 s[30:31], s[30:31]
	s_cbranch_execnz .LBB674_218
.LBB674_156:
	s_or_b64 exec, exec, s[30:31]
	s_and_b64 exec, exec, s[38:39]
	s_cbranch_execz .LBB674_158
.LBB674_157:
	v_sub_u32_e32 v7, v22, v40
	v_readfirstlane_b32 s30, v20
	v_readfirstlane_b32 s31, v21
	s_nop 4
	global_store_byte v7, v1, s[30:31]
.LBB674_158:
	s_or_b64 exec, exec, s[36:37]
	s_mov_b64 s[36:37], 0
.LBB674_159:
	s_and_b64 vcc, exec, s[36:37]
	s_cbranch_vccz .LBB674_180
; %bb.160:
	v_cmp_gt_i16_e32 vcc, 2, v6
	s_and_saveexec_b64 s[30:31], vcc
	s_cbranch_execz .LBB674_165
; %bb.161:
	v_cmp_ne_u16_e32 vcc, 1, v6
	s_mov_b64 s[38:39], 0
	s_and_saveexec_b64 s[36:37], vcc
	s_xor_b64 s[36:37], exec, s[36:37]
	s_cbranch_execnz .LBB674_219
; %bb.162:
	s_andn2_saveexec_b64 s[0:1], s[36:37]
	s_cbranch_execnz .LBB674_235
.LBB674_163:
	s_or_b64 exec, exec, s[0:1]
	s_and_b64 exec, exec, s[38:39]
	s_cbranch_execz .LBB674_165
.LBB674_164:
	v_sub_u32_e32 v2, v22, v40
	ds_write_b8 v2, v1
.LBB674_165:
	s_or_b64 exec, exec, s[30:31]
	v_cmp_lt_u32_e32 vcc, v0, v36
	s_waitcnt lgkmcnt(0)
	s_barrier
	s_and_saveexec_b64 s[0:1], vcc
	s_cbranch_execz .LBB674_179
; %bb.166:
	v_xad_u32 v2, v0, -1, v36
	s_movk_i32 s2, 0x1700
	s_movk_i32 s4, 0x16ff
	v_cmp_gt_u32_e64 s[2:3], s2, v2
	v_cmp_lt_u32_e32 vcc, s4, v2
	v_mov_b32_e32 v1, v0
	s_and_saveexec_b64 s[4:5], vcc
	s_cbranch_execz .LBB674_176
; %bb.167:
	v_sub_u32_e32 v1, v0, v36
	v_or_b32_e32 v1, 0xff, v1
	v_cmp_ge_u32_e32 vcc, v1, v0
	s_mov_b64 s[8:9], -1
	v_mov_b32_e32 v1, v0
	s_and_saveexec_b64 s[6:7], vcc
	s_cbranch_execz .LBB674_175
; %bb.168:
	v_lshrrev_b32_e32 v37, 8, v2
	v_or_b32_e32 v7, 0x700, v0
	v_or_b32_e32 v6, 0x600, v0
	;; [unrolled: 1-line block ×7, first 2 shown]
	v_add_u32_e32 v73, -7, v37
	v_pk_mov_b32 v[14:15], v[6:7], v[6:7] op_sel:[0,1]
	v_cmp_lt_u32_e32 vcc, 7, v73
	v_mov_b32_e32 v82, 0
	v_pk_mov_b32 v[12:13], v[4:5], v[4:5] op_sel:[0,1]
	v_pk_mov_b32 v[10:11], v[2:3], v[2:3] op_sel:[0,1]
	;; [unrolled: 1-line block ×3, first 2 shown]
	s_and_saveexec_b64 s[8:9], vcc
	s_cbranch_execz .LBB674_172
; %bb.169:
	v_lshrrev_b32_e32 v8, 3, v73
	v_add_u32_e32 v8, 1, v8
	v_and_b32_e32 v79, 0x3ffffffe, v8
	v_pk_mov_b32 v[14:15], v[6:7], v[6:7] op_sel:[0,1]
	s_mov_b32 s12, 0
	s_mov_b64 s[10:11], 0
	v_mov_b32_e32 v80, v0
	v_pk_mov_b32 v[12:13], v[4:5], v[4:5] op_sel:[0,1]
	v_pk_mov_b32 v[10:11], v[2:3], v[2:3] op_sel:[0,1]
	;; [unrolled: 1-line block ×3, first 2 shown]
.LBB674_170:                            ; =>This Inner Loop Header: Depth=1
	v_add_co_u32_e32 v2, vcc, v20, v8
	v_addc_co_u32_e32 v3, vcc, 0, v21, vcc
	v_add_co_u32_e32 v4, vcc, v20, v9
	v_addc_co_u32_e32 v5, vcc, 0, v21, vcc
	;; [unrolled: 2-line block ×8, first 2 shown]
	v_add_u32_e32 v104, 0x800, v8
	v_add_co_u32_e32 v104, vcc, v20, v104
	v_add_u32_e32 v106, 0x800, v9
	v_addc_co_u32_e32 v105, vcc, 0, v21, vcc
	v_add_co_u32_e32 v106, vcc, v20, v106
	v_add_u32_e32 v108, 0x800, v10
	v_addc_co_u32_e32 v107, vcc, 0, v21, vcc
	;; [unrolled: 3-line block ×6, first 2 shown]
	v_add_co_u32_e32 v116, vcc, v20, v116
	ds_read_u8 v1, v80
	ds_read_u8 v84, v80 offset:256
	ds_read_u8 v93, v80 offset:512
	;; [unrolled: 1-line block ×7, first 2 shown]
	v_add_u32_e32 v82, 0x800, v15
	ds_read_u8 v125, v80 offset:2048
	ds_read_u8 v126, v80 offset:2304
	;; [unrolled: 1-line block ×8, first 2 shown]
	v_addc_co_u32_e32 v117, vcc, 0, v21, vcc
	v_add_co_u32_e32 v118, vcc, v20, v82
	v_add_u32_e32 v79, -2, v79
	v_addc_co_u32_e32 v119, vcc, 0, v21, vcc
	s_add_i32 s12, s12, 16
	v_cmp_eq_u32_e32 vcc, 0, v79
	v_add_u32_e32 v15, 0x1000, v15
	v_add_u32_e32 v14, 0x1000, v14
	;; [unrolled: 1-line block ×9, first 2 shown]
	v_mov_b32_e32 v82, s12
	s_or_b64 s[10:11], vcc, s[10:11]
	s_waitcnt lgkmcnt(14)
	global_store_byte v[2:3], v1, off
	global_store_byte v[4:5], v84, off
	s_waitcnt lgkmcnt(13)
	global_store_byte v[6:7], v93, off
	s_waitcnt lgkmcnt(12)
	;; [unrolled: 2-line block ×14, first 2 shown]
	global_store_byte v[118:119], v132, off
	s_andn2_b64 exec, exec, s[10:11]
	s_cbranch_execnz .LBB674_170
; %bb.171:
	s_or_b64 exec, exec, s[10:11]
.LBB674_172:
	s_or_b64 exec, exec, s[8:9]
	v_and_b32_e32 v1, 8, v73
	v_cmp_eq_u32_e32 vcc, 0, v1
	s_and_saveexec_b64 s[8:9], vcc
	s_cbranch_execz .LBB674_174
; %bb.173:
	v_add_co_u32_e32 v2, vcc, v20, v8
	v_addc_co_u32_e32 v3, vcc, 0, v21, vcc
	v_add_co_u32_e32 v4, vcc, v20, v9
	v_addc_co_u32_e32 v5, vcc, 0, v21, vcc
	;; [unrolled: 2-line block ×4, first 2 shown]
	v_add_co_u32_e32 v10, vcc, v20, v12
	v_lshl_or_b32 v1, v82, 8, v0
	v_addc_co_u32_e32 v11, vcc, 0, v21, vcc
	v_add_co_u32_e32 v12, vcc, v20, v13
	ds_read_u8 v73, v1
	ds_read_u8 v79, v1 offset:256
	ds_read_u8 v80, v1 offset:512
	;; [unrolled: 1-line block ×7, first 2 shown]
	v_addc_co_u32_e32 v13, vcc, 0, v21, vcc
	v_add_co_u32_e32 v86, vcc, v20, v14
	v_addc_co_u32_e32 v87, vcc, 0, v21, vcc
	v_add_co_u32_e32 v14, vcc, v20, v15
	v_addc_co_u32_e32 v15, vcc, 0, v21, vcc
	s_waitcnt lgkmcnt(7)
	global_store_byte v[2:3], v73, off
	s_waitcnt lgkmcnt(6)
	global_store_byte v[4:5], v79, off
	;; [unrolled: 2-line block ×8, first 2 shown]
.LBB674_174:
	s_or_b64 exec, exec, s[8:9]
	v_add_u32_e32 v2, 1, v37
	v_and_b32_e32 v3, 0x1fffff8, v2
	v_cmp_ne_u32_e32 vcc, v2, v3
	v_lshl_or_b32 v1, v3, 8, v0
	s_orn2_b64 s[8:9], vcc, exec
.LBB674_175:
	s_or_b64 exec, exec, s[6:7]
	s_andn2_b64 s[2:3], s[2:3], exec
	s_and_b64 s[6:7], s[8:9], exec
	s_or_b64 s[2:3], s[2:3], s[6:7]
.LBB674_176:
	s_or_b64 exec, exec, s[4:5]
	s_and_b64 exec, exec, s[2:3]
	s_cbranch_execz .LBB674_179
; %bb.177:
	s_mov_b64 s[2:3], 0
.LBB674_178:                            ; =>This Inner Loop Header: Depth=1
	ds_read_u8 v2, v1
	v_readfirstlane_b32 s4, v20
	v_readfirstlane_b32 s5, v21
	s_waitcnt lgkmcnt(0)
	s_nop 3
	global_store_byte v1, v2, s[4:5]
	v_add_u32_e32 v1, 0x100, v1
	v_cmp_ge_u32_e32 vcc, v1, v36
	s_or_b64 s[2:3], vcc, s[2:3]
	s_andn2_b64 exec, exec, s[2:3]
	s_cbranch_execnz .LBB674_178
.LBB674_179:
	s_or_b64 exec, exec, s[0:1]
.LBB674_180:
	v_add_co_u32_e32 v2, vcc, v70, v16
	s_cmpk_lg_i32 s33, 0xf00
	v_addc_co_u32_e32 v3, vcc, v71, v17, vcc
	s_cselect_b64 s[0:1], -1, 0
	v_cndmask_b32_e64 v8, 0, 1, s[46:47]
	s_and_b64 s[0:1], s[44:45], s[0:1]
	v_cmp_eq_u32_e32 vcc, 0, v0
	v_sub_u32_e32 v1, v36, v8
	v_cndmask_b32_e64 v4, 0, 1, s[0:1]
	s_and_b64 s[0:1], vcc, s[46:47]
	v_add_u32_e32 v1, v1, v4
	v_cndmask_b32_e64 v4, v96, 0, s[0:1]
	s_mul_hi_u32 s0, s33, 0x88888889
	s_lshr_b32 s0, s0, 3
	v_mad_i32_i24 v5, v0, -15, s33
	v_cmp_eq_u32_e32 vcc, s0, v0
	v_cmp_ne_u32_e64 s[0:1], 0, v5
	v_cndmask_b32_e64 v6, 1, v4, s[0:1]
	v_cmp_ne_u32_e64 s[0:1], 1, v5
	v_cndmask_b32_e64 v7, 1, v95, s[0:1]
	;; [unrolled: 2-line block ×15, first 2 shown]
	s_and_b64 vcc, s[44:45], vcc
	v_cndmask_b32_e32 v70, v72, v5, vcc
	v_cndmask_b32_e32 v72, v4, v6, vcc
	v_lshlrev_b64 v[4:5], 3, v[18:19]
	v_cndmask_b32_e32 v37, v74, v37, vcc
	v_cndmask_b32_e32 v21, v75, v21, vcc
	;; [unrolled: 1-line block ×13, first 2 shown]
	v_mov_b32_e32 v6, s55
	v_add_co_u32_e32 v7, vcc, s54, v4
	v_addc_co_u32_e32 v6, vcc, v6, v5, vcc
	v_lshlrev_b64 v[4:5], 3, v[40:41]
	v_add_co_u32_e32 v4, vcc, v7, v4
	v_addc_co_u32_e32 v5, vcc, v6, v5, vcc
	v_lshlrev_b32_e32 v6, 3, v8
	v_add_co_u32_e32 v6, vcc, v6, v4
	v_addc_co_u32_e32 v7, vcc, 0, v5, vcc
	v_add_co_u32_e32 v6, vcc, -8, v6
	v_addc_co_u32_e32 v7, vcc, -1, v7, vcc
	v_cmp_eq_u32_e32 vcc, 0, v72
	v_cndmask_b32_e64 v41, 1, 2, vcc
	v_cmp_eq_u32_e32 vcc, 0, v71
	v_cmp_ne_u32_e64 s[26:27], 0, v71
	v_cndmask_b32_e64 v71, 1, 2, vcc
	v_cmp_eq_u32_e32 vcc, 0, v9
	v_and_b32_e32 v41, v71, v41
	v_cmp_ne_u32_e64 s[24:25], 0, v9
	v_cndmask_b32_e64 v9, 1, 2, vcc
	v_cmp_eq_u32_e32 vcc, 0, v10
	v_and_b32_e32 v9, v41, v9
	v_cmp_ne_u32_e64 s[22:23], 0, v10
	v_cndmask_b32_e64 v10, 1, 2, vcc
	v_cmp_eq_u32_e32 vcc, 0, v11
	v_and_b32_e32 v9, v9, v10
	v_cndmask_b32_e64 v10, 1, 2, vcc
	v_cmp_eq_u32_e32 vcc, 0, v12
	v_and_b32_e32 v9, v9, v10
	v_cndmask_b32_e64 v10, 1, 2, vcc
	v_cmp_eq_u32_e32 vcc, 0, v13
	v_and_b32_e32 v9, v9, v10
	;; [unrolled: 3-line block ×10, first 2 shown]
	v_cndmask_b32_e64 v10, 1, 2, vcc
	s_movk_i32 s30, 0x100
	v_and_b32_e32 v9, v9, v10
	v_cmp_gt_u32_e32 vcc, s30, v1
	v_add_u32_e32 v8, v40, v8
	v_cmp_ne_u32_e64 s[28:29], 0, v72
	v_cmp_ne_u32_e64 s[20:21], 0, v11
	;; [unrolled: 1-line block ×12, first 2 shown]
	s_mov_b64 s[36:37], -1
	v_cmp_gt_i16_e64 s[30:31], 2, v9
	s_barrier
	s_cbranch_vccz .LBB674_187
; %bb.181:
	s_and_saveexec_b64 s[36:37], s[30:31]
	s_cbranch_execz .LBB674_186
; %bb.182:
	v_cmp_ne_u16_e32 vcc, 1, v9
	s_mov_b64 s[38:39], 0
	s_and_saveexec_b64 s[30:31], vcc
	s_xor_b64 s[30:31], exec, s[30:31]
	s_cbranch_execnz .LBB674_236
; %bb.183:
	s_andn2_saveexec_b64 s[30:31], s[30:31]
	s_cbranch_execnz .LBB674_252
.LBB674_184:
	s_or_b64 exec, exec, s[30:31]
	s_and_b64 exec, exec, s[38:39]
	s_cbranch_execz .LBB674_186
.LBB674_185:
	v_sub_u32_e32 v10, v22, v8
	v_mov_b32_e32 v11, 0
	v_lshlrev_b64 v[10:11], 3, v[10:11]
	v_add_co_u32_e32 v10, vcc, v6, v10
	v_addc_co_u32_e32 v11, vcc, v7, v11, vcc
	global_store_dwordx2 v[10:11], v[2:3], off
.LBB674_186:
	s_or_b64 exec, exec, s[36:37]
	s_mov_b64 s[36:37], 0
.LBB674_187:
	s_and_b64 vcc, exec, s[36:37]
	s_cbranch_vccz .LBB674_197
; %bb.188:
	v_cmp_gt_i16_e32 vcc, 2, v9
	s_and_saveexec_b64 s[30:31], vcc
	s_cbranch_execz .LBB674_193
; %bb.189:
	v_cmp_ne_u16_e32 vcc, 1, v9
	s_mov_b64 s[38:39], 0
	s_and_saveexec_b64 s[36:37], vcc
	s_xor_b64 s[36:37], exec, s[36:37]
	s_cbranch_execnz .LBB674_253
; %bb.190:
	s_andn2_saveexec_b64 s[0:1], s[36:37]
	s_cbranch_execnz .LBB674_269
.LBB674_191:
	s_or_b64 exec, exec, s[0:1]
	s_and_b64 exec, exec, s[38:39]
	s_cbranch_execz .LBB674_193
.LBB674_192:
	v_sub_u32_e32 v8, v22, v8
	v_lshlrev_b32_e32 v8, 3, v8
	ds_write_b64 v8, v[2:3]
.LBB674_193:
	s_or_b64 exec, exec, s[30:31]
	v_cmp_lt_u32_e32 vcc, v0, v1
	s_waitcnt lgkmcnt(0)
	s_barrier
	s_and_saveexec_b64 s[0:1], vcc
	s_cbranch_execz .LBB674_196
; %bb.194:
	v_lshlrev_b32_e32 v8, 3, v0
	s_mov_b64 s[2:3], 0
	v_mov_b32_e32 v3, 0
	v_mov_b32_e32 v2, v0
.LBB674_195:                            ; =>This Inner Loop Header: Depth=1
	v_lshlrev_b64 v[10:11], 3, v[2:3]
	ds_read_b64 v[12:13], v8
	v_add_co_u32_e32 v10, vcc, v6, v10
	v_add_u32_e32 v2, 0x100, v2
	v_addc_co_u32_e32 v11, vcc, v7, v11, vcc
	v_cmp_ge_u32_e32 vcc, v2, v1
	v_add_u32_e32 v8, 0x800, v8
	s_or_b64 s[2:3], vcc, s[2:3]
	s_waitcnt lgkmcnt(0)
	global_store_dwordx2 v[10:11], v[12:13], off
	s_andn2_b64 exec, exec, s[2:3]
	s_cbranch_execnz .LBB674_195
.LBB674_196:
	s_or_b64 exec, exec, s[0:1]
.LBB674_197:
	s_movk_i32 s0, 0xff
	v_cmp_eq_u32_e32 vcc, s0, v0
	s_and_b64 s[0:1], vcc, s[44:45]
	s_and_saveexec_b64 s[2:3], s[0:1]
	s_cbranch_execz .LBB674_200
; %bb.198:
	v_add_co_u32_e32 v0, vcc, v36, v40
	v_addc_co_u32_e64 v1, s[0:1], 0, 0, vcc
	v_add_co_u32_e32 v0, vcc, v0, v18
	v_mov_b32_e32 v37, 0
	v_addc_co_u32_e32 v1, vcc, v1, v19, vcc
	s_cmpk_lg_i32 s33, 0xf00
	global_store_dwordx2 v37, v[0:1], s[34:35]
	s_cbranch_scc1 .LBB674_200
; %bb.199:
	v_lshlrev_b64 v[0:1], 3, v[36:37]
	v_add_co_u32_e32 v0, vcc, v4, v0
	v_addc_co_u32_e32 v1, vcc, v5, v1, vcc
	global_store_dwordx2 v[0:1], v[38:39], off offset:-8
.LBB674_200:
	s_endpgm
.LBB674_201:
	s_or_b64 exec, exec, s[0:1]
	v_mov_b32_e32 v96, s7
	s_and_saveexec_b64 s[0:1], s[4:5]
	s_cbranch_execnz .LBB674_54
	s_branch .LBB674_55
.LBB674_202:
	s_and_saveexec_b64 s[38:39], s[28:29]
	s_cbranch_execnz .LBB674_270
; %bb.203:
	s_or_b64 exec, exec, s[38:39]
	s_and_saveexec_b64 s[38:39], s[26:27]
	s_cbranch_execnz .LBB674_271
.LBB674_204:
	s_or_b64 exec, exec, s[38:39]
	s_and_saveexec_b64 s[38:39], s[24:25]
	s_cbranch_execnz .LBB674_272
.LBB674_205:
	s_or_b64 exec, exec, s[38:39]
	s_and_saveexec_b64 s[38:39], s[22:23]
	s_cbranch_execnz .LBB674_273
.LBB674_206:
	s_or_b64 exec, exec, s[38:39]
	s_and_saveexec_b64 s[38:39], s[20:21]
	s_cbranch_execnz .LBB674_274
.LBB674_207:
	s_or_b64 exec, exec, s[38:39]
	s_and_saveexec_b64 s[38:39], s[18:19]
	s_cbranch_execnz .LBB674_275
.LBB674_208:
	s_or_b64 exec, exec, s[38:39]
	s_and_saveexec_b64 s[38:39], s[16:17]
	s_cbranch_execnz .LBB674_276
.LBB674_209:
	s_or_b64 exec, exec, s[38:39]
	s_and_saveexec_b64 s[38:39], s[14:15]
	s_cbranch_execnz .LBB674_277
.LBB674_210:
	s_or_b64 exec, exec, s[38:39]
	s_and_saveexec_b64 s[38:39], s[12:13]
	s_cbranch_execnz .LBB674_278
.LBB674_211:
	s_or_b64 exec, exec, s[38:39]
	s_and_saveexec_b64 s[38:39], s[10:11]
	s_cbranch_execnz .LBB674_279
.LBB674_212:
	s_or_b64 exec, exec, s[38:39]
	s_and_saveexec_b64 s[38:39], s[8:9]
	s_cbranch_execnz .LBB674_280
.LBB674_213:
	s_or_b64 exec, exec, s[38:39]
	s_and_saveexec_b64 s[38:39], s[6:7]
	s_cbranch_execnz .LBB674_281
.LBB674_214:
	s_or_b64 exec, exec, s[38:39]
	s_and_saveexec_b64 s[38:39], s[4:5]
	s_cbranch_execnz .LBB674_282
.LBB674_215:
	s_or_b64 exec, exec, s[38:39]
	s_and_saveexec_b64 s[38:39], s[2:3]
	s_cbranch_execz .LBB674_217
.LBB674_216:
	v_sub_u32_e32 v7, v23, v40
	v_readfirstlane_b32 s40, v20
	v_readfirstlane_b32 s41, v21
	s_nop 4
	global_store_byte v7, v5, s[40:41]
.LBB674_217:
	s_or_b64 exec, exec, s[38:39]
	s_and_b64 s[38:39], s[0:1], exec
	s_andn2_saveexec_b64 s[30:31], s[30:31]
	s_cbranch_execz .LBB674_156
.LBB674_218:
	v_sub_u32_e32 v7, v97, v40
	v_readfirstlane_b32 s40, v20
	v_readfirstlane_b32 s41, v21
	s_or_b64 s[38:39], s[38:39], exec
	s_nop 3
	global_store_byte v7, v2, s[40:41]
	v_sub_u32_e32 v7, v35, v40
	global_store_byte v7, v93, s[40:41]
	v_sub_u32_e32 v7, v34, v40
	;; [unrolled: 2-line block ×13, first 2 shown]
	global_store_byte v7, v5, s[40:41]
	s_or_b64 exec, exec, s[30:31]
	s_and_b64 exec, exec, s[38:39]
	s_cbranch_execnz .LBB674_157
	s_branch .LBB674_158
.LBB674_219:
	s_and_saveexec_b64 s[38:39], s[28:29]
	s_cbranch_execnz .LBB674_283
; %bb.220:
	s_or_b64 exec, exec, s[38:39]
	s_and_saveexec_b64 s[28:29], s[26:27]
	s_cbranch_execnz .LBB674_284
.LBB674_221:
	s_or_b64 exec, exec, s[28:29]
	s_and_saveexec_b64 s[26:27], s[24:25]
	s_cbranch_execnz .LBB674_285
.LBB674_222:
	s_or_b64 exec, exec, s[26:27]
	s_and_saveexec_b64 s[24:25], s[22:23]
	s_cbranch_execnz .LBB674_286
.LBB674_223:
	s_or_b64 exec, exec, s[24:25]
	s_and_saveexec_b64 s[22:23], s[20:21]
	s_cbranch_execnz .LBB674_287
.LBB674_224:
	s_or_b64 exec, exec, s[22:23]
	s_and_saveexec_b64 s[20:21], s[18:19]
	s_cbranch_execnz .LBB674_288
.LBB674_225:
	s_or_b64 exec, exec, s[20:21]
	s_and_saveexec_b64 s[18:19], s[16:17]
	s_cbranch_execnz .LBB674_289
.LBB674_226:
	s_or_b64 exec, exec, s[18:19]
	s_and_saveexec_b64 s[16:17], s[14:15]
	s_cbranch_execnz .LBB674_290
.LBB674_227:
	s_or_b64 exec, exec, s[16:17]
	s_and_saveexec_b64 s[14:15], s[12:13]
	s_cbranch_execnz .LBB674_291
.LBB674_228:
	s_or_b64 exec, exec, s[14:15]
	s_and_saveexec_b64 s[12:13], s[10:11]
	s_cbranch_execnz .LBB674_292
.LBB674_229:
	s_or_b64 exec, exec, s[12:13]
	s_and_saveexec_b64 s[10:11], s[8:9]
	s_cbranch_execnz .LBB674_293
.LBB674_230:
	s_or_b64 exec, exec, s[10:11]
	s_and_saveexec_b64 s[8:9], s[6:7]
	s_cbranch_execnz .LBB674_294
.LBB674_231:
	s_or_b64 exec, exec, s[8:9]
	s_and_saveexec_b64 s[6:7], s[4:5]
	s_cbranch_execnz .LBB674_295
.LBB674_232:
	s_or_b64 exec, exec, s[6:7]
	s_and_saveexec_b64 s[4:5], s[2:3]
	s_cbranch_execz .LBB674_234
.LBB674_233:
	v_sub_u32_e32 v2, v23, v40
	ds_write_b8 v2, v5
.LBB674_234:
	s_or_b64 exec, exec, s[4:5]
	s_and_b64 s[38:39], s[0:1], exec
                                        ; implicit-def: $vgpr2
                                        ; implicit-def: $vgpr93
                                        ; implicit-def: $vgpr91
                                        ; implicit-def: $vgpr90
                                        ; implicit-def: $vgpr87
                                        ; implicit-def: $vgpr86
                                        ; implicit-def: $vgpr84
                                        ; implicit-def: $vgpr82
                                        ; implicit-def: $vgpr80
                                        ; implicit-def: $vgpr79
                                        ; implicit-def: $vgpr73
                                        ; implicit-def: $vgpr5
	s_andn2_saveexec_b64 s[0:1], s[36:37]
	s_cbranch_execz .LBB674_163
.LBB674_235:
	v_sub_u32_e32 v6, v97, v40
	ds_write_b8 v6, v2
	v_sub_u32_e32 v2, v35, v40
	ds_write_b8 v2, v93
	;; [unrolled: 2-line block ×13, first 2 shown]
	v_sub_u32_e32 v2, v23, v40
	s_or_b64 s[38:39], s[38:39], exec
	ds_write_b8 v2, v5
	s_or_b64 exec, exec, s[0:1]
	s_and_b64 exec, exec, s[38:39]
	s_cbranch_execnz .LBB674_164
	s_branch .LBB674_165
.LBB674_236:
	s_and_saveexec_b64 s[38:39], s[28:29]
	s_cbranch_execnz .LBB674_296
; %bb.237:
	s_or_b64 exec, exec, s[38:39]
	s_and_saveexec_b64 s[38:39], s[26:27]
	s_cbranch_execnz .LBB674_297
.LBB674_238:
	s_or_b64 exec, exec, s[38:39]
	s_and_saveexec_b64 s[38:39], s[24:25]
	s_cbranch_execnz .LBB674_298
.LBB674_239:
	s_or_b64 exec, exec, s[38:39]
	s_and_saveexec_b64 s[38:39], s[22:23]
	s_cbranch_execnz .LBB674_299
.LBB674_240:
	s_or_b64 exec, exec, s[38:39]
	s_and_saveexec_b64 s[38:39], s[20:21]
	s_cbranch_execnz .LBB674_300
.LBB674_241:
	s_or_b64 exec, exec, s[38:39]
	s_and_saveexec_b64 s[38:39], s[18:19]
	s_cbranch_execnz .LBB674_301
.LBB674_242:
	s_or_b64 exec, exec, s[38:39]
	s_and_saveexec_b64 s[38:39], s[16:17]
	s_cbranch_execnz .LBB674_302
.LBB674_243:
	s_or_b64 exec, exec, s[38:39]
	s_and_saveexec_b64 s[38:39], s[14:15]
	s_cbranch_execnz .LBB674_303
.LBB674_244:
	s_or_b64 exec, exec, s[38:39]
	s_and_saveexec_b64 s[38:39], s[12:13]
	s_cbranch_execnz .LBB674_304
.LBB674_245:
	s_or_b64 exec, exec, s[38:39]
	s_and_saveexec_b64 s[38:39], s[10:11]
	s_cbranch_execnz .LBB674_305
.LBB674_246:
	s_or_b64 exec, exec, s[38:39]
	s_and_saveexec_b64 s[38:39], s[8:9]
	s_cbranch_execnz .LBB674_306
.LBB674_247:
	s_or_b64 exec, exec, s[38:39]
	s_and_saveexec_b64 s[38:39], s[6:7]
	s_cbranch_execnz .LBB674_307
.LBB674_248:
	s_or_b64 exec, exec, s[38:39]
	s_and_saveexec_b64 s[38:39], s[4:5]
	s_cbranch_execnz .LBB674_308
.LBB674_249:
	s_or_b64 exec, exec, s[38:39]
	s_and_saveexec_b64 s[38:39], s[2:3]
	s_cbranch_execz .LBB674_251
.LBB674_250:
	v_sub_u32_e32 v10, v23, v8
	v_mov_b32_e32 v11, 0
	v_lshlrev_b64 v[10:11], 3, v[10:11]
	v_add_co_u32_e32 v10, vcc, v6, v10
	v_addc_co_u32_e32 v11, vcc, v7, v11, vcc
	global_store_dwordx2 v[10:11], v[68:69], off
.LBB674_251:
	s_or_b64 exec, exec, s[38:39]
	s_and_b64 s[38:39], s[0:1], exec
	s_andn2_saveexec_b64 s[30:31], s[30:31]
	s_cbranch_execz .LBB674_184
.LBB674_252:
	v_sub_u32_e32 v10, v97, v8
	v_mov_b32_e32 v11, 0
	v_lshlrev_b64 v[12:13], 3, v[10:11]
	v_add_co_u32_e32 v12, vcc, v6, v12
	v_addc_co_u32_e32 v13, vcc, v7, v13, vcc
	v_sub_u32_e32 v10, v35, v8
	global_store_dwordx2 v[12:13], v[66:67], off
	v_lshlrev_b64 v[12:13], 3, v[10:11]
	v_add_co_u32_e32 v12, vcc, v6, v12
	v_addc_co_u32_e32 v13, vcc, v7, v13, vcc
	v_sub_u32_e32 v10, v34, v8
	global_store_dwordx2 v[12:13], v[42:43], off
	;; [unrolled: 5-line block ×12, first 2 shown]
	v_lshlrev_b64 v[12:13], 3, v[10:11]
	v_add_co_u32_e32 v12, vcc, v6, v12
	v_sub_u32_e32 v10, v23, v8
	v_addc_co_u32_e32 v13, vcc, v7, v13, vcc
	v_lshlrev_b64 v[10:11], 3, v[10:11]
	v_add_co_u32_e32 v10, vcc, v6, v10
	v_addc_co_u32_e32 v11, vcc, v7, v11, vcc
	s_or_b64 s[38:39], s[38:39], exec
	global_store_dwordx2 v[12:13], v[64:65], off
	global_store_dwordx2 v[10:11], v[68:69], off
	s_or_b64 exec, exec, s[30:31]
	s_and_b64 exec, exec, s[38:39]
	s_cbranch_execnz .LBB674_185
	s_branch .LBB674_186
.LBB674_253:
	s_and_saveexec_b64 s[38:39], s[28:29]
	s_cbranch_execnz .LBB674_309
; %bb.254:
	s_or_b64 exec, exec, s[38:39]
	s_and_saveexec_b64 s[28:29], s[26:27]
	s_cbranch_execnz .LBB674_310
.LBB674_255:
	s_or_b64 exec, exec, s[28:29]
	s_and_saveexec_b64 s[26:27], s[24:25]
	s_cbranch_execnz .LBB674_311
.LBB674_256:
	s_or_b64 exec, exec, s[26:27]
	s_and_saveexec_b64 s[24:25], s[22:23]
	s_cbranch_execnz .LBB674_312
.LBB674_257:
	s_or_b64 exec, exec, s[24:25]
	s_and_saveexec_b64 s[22:23], s[20:21]
	s_cbranch_execnz .LBB674_313
.LBB674_258:
	s_or_b64 exec, exec, s[22:23]
	s_and_saveexec_b64 s[20:21], s[18:19]
	s_cbranch_execnz .LBB674_314
.LBB674_259:
	s_or_b64 exec, exec, s[20:21]
	s_and_saveexec_b64 s[18:19], s[16:17]
	s_cbranch_execnz .LBB674_315
.LBB674_260:
	s_or_b64 exec, exec, s[18:19]
	s_and_saveexec_b64 s[16:17], s[14:15]
	s_cbranch_execnz .LBB674_316
.LBB674_261:
	s_or_b64 exec, exec, s[16:17]
	s_and_saveexec_b64 s[14:15], s[12:13]
	s_cbranch_execnz .LBB674_317
.LBB674_262:
	s_or_b64 exec, exec, s[14:15]
	s_and_saveexec_b64 s[12:13], s[10:11]
	s_cbranch_execnz .LBB674_318
.LBB674_263:
	s_or_b64 exec, exec, s[12:13]
	s_and_saveexec_b64 s[10:11], s[8:9]
	s_cbranch_execnz .LBB674_319
.LBB674_264:
	s_or_b64 exec, exec, s[10:11]
	s_and_saveexec_b64 s[8:9], s[6:7]
	s_cbranch_execnz .LBB674_320
.LBB674_265:
	s_or_b64 exec, exec, s[8:9]
	s_and_saveexec_b64 s[6:7], s[4:5]
	s_cbranch_execnz .LBB674_321
.LBB674_266:
	s_or_b64 exec, exec, s[6:7]
	s_and_saveexec_b64 s[4:5], s[2:3]
	s_cbranch_execz .LBB674_268
.LBB674_267:
	v_sub_u32_e32 v9, v23, v8
	v_lshlrev_b32_e32 v9, 3, v9
	ds_write_b64 v9, v[68:69]
.LBB674_268:
	s_or_b64 exec, exec, s[4:5]
	s_and_b64 s[38:39], s[0:1], exec
                                        ; implicit-def: $vgpr66_vgpr67
                                        ; implicit-def: $vgpr42_vgpr43
                                        ; implicit-def: $vgpr44_vgpr45
                                        ; implicit-def: $vgpr46_vgpr47
                                        ; implicit-def: $vgpr48_vgpr49
                                        ; implicit-def: $vgpr50_vgpr51
                                        ; implicit-def: $vgpr52_vgpr53
                                        ; implicit-def: $vgpr54_vgpr55
                                        ; implicit-def: $vgpr56_vgpr57
                                        ; implicit-def: $vgpr58_vgpr59
                                        ; implicit-def: $vgpr60_vgpr61
                                        ; implicit-def: $vgpr62_vgpr63
                                        ; implicit-def: $vgpr64_vgpr65
                                        ; implicit-def: $vgpr68_vgpr69
                                        ; implicit-def: $vgpr97
                                        ; implicit-def: $vgpr35
                                        ; implicit-def: $vgpr34
                                        ; implicit-def: $vgpr33
                                        ; implicit-def: $vgpr32
                                        ; implicit-def: $vgpr31
                                        ; implicit-def: $vgpr30
                                        ; implicit-def: $vgpr29
                                        ; implicit-def: $vgpr28
                                        ; implicit-def: $vgpr27
                                        ; implicit-def: $vgpr26
                                        ; implicit-def: $vgpr25
                                        ; implicit-def: $vgpr24
                                        ; implicit-def: $vgpr23
	s_andn2_saveexec_b64 s[0:1], s[36:37]
	s_cbranch_execz .LBB674_191
.LBB674_269:
	v_sub_u32_e32 v9, v97, v8
	v_lshlrev_b32_e32 v9, 3, v9
	ds_write_b64 v9, v[66:67]
	v_sub_u32_e32 v9, v35, v8
	v_lshlrev_b32_e32 v9, 3, v9
	ds_write_b64 v9, v[42:43]
	;; [unrolled: 3-line block ×13, first 2 shown]
	v_sub_u32_e32 v9, v23, v8
	v_lshlrev_b32_e32 v9, 3, v9
	s_or_b64 s[38:39], s[38:39], exec
	ds_write_b64 v9, v[68:69]
	s_or_b64 exec, exec, s[0:1]
	s_and_b64 exec, exec, s[38:39]
	s_cbranch_execnz .LBB674_192
	s_branch .LBB674_193
.LBB674_270:
	v_sub_u32_e32 v7, v97, v40
	v_readfirstlane_b32 s40, v20
	v_readfirstlane_b32 s41, v21
	s_nop 4
	global_store_byte v7, v2, s[40:41]
	s_or_b64 exec, exec, s[38:39]
	s_and_saveexec_b64 s[38:39], s[26:27]
	s_cbranch_execz .LBB674_204
.LBB674_271:
	v_sub_u32_e32 v7, v35, v40
	v_readfirstlane_b32 s40, v20
	v_readfirstlane_b32 s41, v21
	s_nop 4
	global_store_byte v7, v93, s[40:41]
	s_or_b64 exec, exec, s[38:39]
	s_and_saveexec_b64 s[38:39], s[24:25]
	s_cbranch_execz .LBB674_205
.LBB674_272:
	v_sub_u32_e32 v7, v34, v40
	v_readfirstlane_b32 s40, v20
	v_readfirstlane_b32 s41, v21
	s_nop 4
	global_store_byte v7, v91, s[40:41]
	s_or_b64 exec, exec, s[38:39]
	s_and_saveexec_b64 s[38:39], s[22:23]
	s_cbranch_execz .LBB674_206
.LBB674_273:
	v_sub_u32_e32 v7, v33, v40
	v_readfirstlane_b32 s40, v20
	v_readfirstlane_b32 s41, v21
	s_nop 4
	global_store_byte v7, v90, s[40:41]
	s_or_b64 exec, exec, s[38:39]
	s_and_saveexec_b64 s[38:39], s[20:21]
	s_cbranch_execz .LBB674_207
.LBB674_274:
	v_sub_u32_e32 v7, v32, v40
	v_readfirstlane_b32 s40, v20
	v_readfirstlane_b32 s41, v21
	s_nop 4
	global_store_byte v7, v3, s[40:41]
	s_or_b64 exec, exec, s[38:39]
	s_and_saveexec_b64 s[38:39], s[18:19]
	s_cbranch_execz .LBB674_208
.LBB674_275:
	v_sub_u32_e32 v7, v31, v40
	v_readfirstlane_b32 s40, v20
	v_readfirstlane_b32 s41, v21
	s_nop 4
	global_store_byte v7, v87, s[40:41]
	s_or_b64 exec, exec, s[38:39]
	s_and_saveexec_b64 s[38:39], s[16:17]
	s_cbranch_execz .LBB674_209
.LBB674_276:
	v_sub_u32_e32 v7, v30, v40
	v_readfirstlane_b32 s40, v20
	v_readfirstlane_b32 s41, v21
	s_nop 4
	global_store_byte v7, v86, s[40:41]
	s_or_b64 exec, exec, s[38:39]
	s_and_saveexec_b64 s[38:39], s[14:15]
	s_cbranch_execz .LBB674_210
.LBB674_277:
	v_sub_u32_e32 v7, v29, v40
	v_readfirstlane_b32 s40, v20
	v_readfirstlane_b32 s41, v21
	s_nop 4
	global_store_byte v7, v84, s[40:41]
	s_or_b64 exec, exec, s[38:39]
	s_and_saveexec_b64 s[38:39], s[12:13]
	s_cbranch_execz .LBB674_211
.LBB674_278:
	v_sub_u32_e32 v7, v28, v40
	v_readfirstlane_b32 s40, v20
	v_readfirstlane_b32 s41, v21
	s_nop 4
	global_store_byte v7, v4, s[40:41]
	s_or_b64 exec, exec, s[38:39]
	s_and_saveexec_b64 s[38:39], s[10:11]
	s_cbranch_execz .LBB674_212
.LBB674_279:
	v_sub_u32_e32 v7, v27, v40
	v_readfirstlane_b32 s40, v20
	v_readfirstlane_b32 s41, v21
	s_nop 4
	global_store_byte v7, v82, s[40:41]
	s_or_b64 exec, exec, s[38:39]
	s_and_saveexec_b64 s[38:39], s[8:9]
	s_cbranch_execz .LBB674_213
.LBB674_280:
	v_sub_u32_e32 v7, v26, v40
	v_readfirstlane_b32 s40, v20
	v_readfirstlane_b32 s41, v21
	s_nop 4
	global_store_byte v7, v80, s[40:41]
	s_or_b64 exec, exec, s[38:39]
	s_and_saveexec_b64 s[38:39], s[6:7]
	s_cbranch_execz .LBB674_214
.LBB674_281:
	v_sub_u32_e32 v7, v25, v40
	v_readfirstlane_b32 s40, v20
	v_readfirstlane_b32 s41, v21
	s_nop 4
	global_store_byte v7, v79, s[40:41]
	s_or_b64 exec, exec, s[38:39]
	s_and_saveexec_b64 s[38:39], s[4:5]
	s_cbranch_execz .LBB674_215
.LBB674_282:
	v_sub_u32_e32 v7, v24, v40
	v_readfirstlane_b32 s40, v20
	v_readfirstlane_b32 s41, v21
	s_nop 4
	global_store_byte v7, v73, s[40:41]
	s_or_b64 exec, exec, s[38:39]
	s_and_saveexec_b64 s[38:39], s[2:3]
	s_cbranch_execnz .LBB674_216
	s_branch .LBB674_217
.LBB674_283:
	v_sub_u32_e32 v6, v97, v40
	ds_write_b8 v6, v2
	s_or_b64 exec, exec, s[38:39]
	s_and_saveexec_b64 s[28:29], s[26:27]
	s_cbranch_execz .LBB674_221
.LBB674_284:
	v_sub_u32_e32 v2, v35, v40
	ds_write_b8 v2, v93
	s_or_b64 exec, exec, s[28:29]
	s_and_saveexec_b64 s[26:27], s[24:25]
	s_cbranch_execz .LBB674_222
.LBB674_285:
	v_sub_u32_e32 v2, v34, v40
	ds_write_b8 v2, v91
	s_or_b64 exec, exec, s[26:27]
	s_and_saveexec_b64 s[24:25], s[22:23]
	s_cbranch_execz .LBB674_223
.LBB674_286:
	v_sub_u32_e32 v2, v33, v40
	ds_write_b8 v2, v90
	s_or_b64 exec, exec, s[24:25]
	s_and_saveexec_b64 s[22:23], s[20:21]
	s_cbranch_execz .LBB674_224
.LBB674_287:
	v_sub_u32_e32 v2, v32, v40
	ds_write_b8 v2, v3
	s_or_b64 exec, exec, s[22:23]
	s_and_saveexec_b64 s[20:21], s[18:19]
	s_cbranch_execz .LBB674_225
.LBB674_288:
	v_sub_u32_e32 v2, v31, v40
	ds_write_b8 v2, v87
	s_or_b64 exec, exec, s[20:21]
	s_and_saveexec_b64 s[18:19], s[16:17]
	s_cbranch_execz .LBB674_226
.LBB674_289:
	v_sub_u32_e32 v2, v30, v40
	ds_write_b8 v2, v86
	s_or_b64 exec, exec, s[18:19]
	s_and_saveexec_b64 s[16:17], s[14:15]
	s_cbranch_execz .LBB674_227
.LBB674_290:
	v_sub_u32_e32 v2, v29, v40
	ds_write_b8 v2, v84
	s_or_b64 exec, exec, s[16:17]
	s_and_saveexec_b64 s[14:15], s[12:13]
	s_cbranch_execz .LBB674_228
.LBB674_291:
	v_sub_u32_e32 v2, v28, v40
	ds_write_b8 v2, v4
	s_or_b64 exec, exec, s[14:15]
	s_and_saveexec_b64 s[12:13], s[10:11]
	s_cbranch_execz .LBB674_229
.LBB674_292:
	v_sub_u32_e32 v2, v27, v40
	ds_write_b8 v2, v82
	s_or_b64 exec, exec, s[12:13]
	s_and_saveexec_b64 s[10:11], s[8:9]
	s_cbranch_execz .LBB674_230
.LBB674_293:
	v_sub_u32_e32 v2, v26, v40
	ds_write_b8 v2, v80
	s_or_b64 exec, exec, s[10:11]
	s_and_saveexec_b64 s[8:9], s[6:7]
	s_cbranch_execz .LBB674_231
.LBB674_294:
	v_sub_u32_e32 v2, v25, v40
	ds_write_b8 v2, v79
	s_or_b64 exec, exec, s[8:9]
	s_and_saveexec_b64 s[6:7], s[4:5]
	s_cbranch_execz .LBB674_232
.LBB674_295:
	v_sub_u32_e32 v2, v24, v40
	ds_write_b8 v2, v73
	s_or_b64 exec, exec, s[6:7]
	s_and_saveexec_b64 s[4:5], s[2:3]
	s_cbranch_execnz .LBB674_233
	s_branch .LBB674_234
.LBB674_296:
	v_sub_u32_e32 v10, v97, v8
	v_mov_b32_e32 v11, 0
	v_lshlrev_b64 v[10:11], 3, v[10:11]
	v_add_co_u32_e32 v10, vcc, v6, v10
	v_addc_co_u32_e32 v11, vcc, v7, v11, vcc
	global_store_dwordx2 v[10:11], v[66:67], off
	s_or_b64 exec, exec, s[38:39]
	s_and_saveexec_b64 s[38:39], s[26:27]
	s_cbranch_execz .LBB674_238
.LBB674_297:
	v_sub_u32_e32 v10, v35, v8
	v_mov_b32_e32 v11, 0
	v_lshlrev_b64 v[10:11], 3, v[10:11]
	v_add_co_u32_e32 v10, vcc, v6, v10
	v_addc_co_u32_e32 v11, vcc, v7, v11, vcc
	global_store_dwordx2 v[10:11], v[42:43], off
	s_or_b64 exec, exec, s[38:39]
	s_and_saveexec_b64 s[38:39], s[24:25]
	s_cbranch_execz .LBB674_239
.LBB674_298:
	v_sub_u32_e32 v10, v34, v8
	v_mov_b32_e32 v11, 0
	v_lshlrev_b64 v[10:11], 3, v[10:11]
	v_add_co_u32_e32 v10, vcc, v6, v10
	v_addc_co_u32_e32 v11, vcc, v7, v11, vcc
	global_store_dwordx2 v[10:11], v[44:45], off
	s_or_b64 exec, exec, s[38:39]
	s_and_saveexec_b64 s[38:39], s[22:23]
	s_cbranch_execz .LBB674_240
.LBB674_299:
	v_sub_u32_e32 v10, v33, v8
	v_mov_b32_e32 v11, 0
	v_lshlrev_b64 v[10:11], 3, v[10:11]
	v_add_co_u32_e32 v10, vcc, v6, v10
	v_addc_co_u32_e32 v11, vcc, v7, v11, vcc
	global_store_dwordx2 v[10:11], v[46:47], off
	s_or_b64 exec, exec, s[38:39]
	s_and_saveexec_b64 s[38:39], s[20:21]
	s_cbranch_execz .LBB674_241
.LBB674_300:
	v_sub_u32_e32 v10, v32, v8
	v_mov_b32_e32 v11, 0
	v_lshlrev_b64 v[10:11], 3, v[10:11]
	v_add_co_u32_e32 v10, vcc, v6, v10
	v_addc_co_u32_e32 v11, vcc, v7, v11, vcc
	global_store_dwordx2 v[10:11], v[48:49], off
	s_or_b64 exec, exec, s[38:39]
	s_and_saveexec_b64 s[38:39], s[18:19]
	s_cbranch_execz .LBB674_242
.LBB674_301:
	v_sub_u32_e32 v10, v31, v8
	v_mov_b32_e32 v11, 0
	v_lshlrev_b64 v[10:11], 3, v[10:11]
	v_add_co_u32_e32 v10, vcc, v6, v10
	v_addc_co_u32_e32 v11, vcc, v7, v11, vcc
	global_store_dwordx2 v[10:11], v[50:51], off
	s_or_b64 exec, exec, s[38:39]
	s_and_saveexec_b64 s[38:39], s[16:17]
	s_cbranch_execz .LBB674_243
.LBB674_302:
	v_sub_u32_e32 v10, v30, v8
	v_mov_b32_e32 v11, 0
	v_lshlrev_b64 v[10:11], 3, v[10:11]
	v_add_co_u32_e32 v10, vcc, v6, v10
	v_addc_co_u32_e32 v11, vcc, v7, v11, vcc
	global_store_dwordx2 v[10:11], v[52:53], off
	s_or_b64 exec, exec, s[38:39]
	s_and_saveexec_b64 s[38:39], s[14:15]
	s_cbranch_execz .LBB674_244
.LBB674_303:
	v_sub_u32_e32 v10, v29, v8
	v_mov_b32_e32 v11, 0
	v_lshlrev_b64 v[10:11], 3, v[10:11]
	v_add_co_u32_e32 v10, vcc, v6, v10
	v_addc_co_u32_e32 v11, vcc, v7, v11, vcc
	global_store_dwordx2 v[10:11], v[54:55], off
	s_or_b64 exec, exec, s[38:39]
	s_and_saveexec_b64 s[38:39], s[12:13]
	s_cbranch_execz .LBB674_245
.LBB674_304:
	v_sub_u32_e32 v10, v28, v8
	v_mov_b32_e32 v11, 0
	v_lshlrev_b64 v[10:11], 3, v[10:11]
	v_add_co_u32_e32 v10, vcc, v6, v10
	v_addc_co_u32_e32 v11, vcc, v7, v11, vcc
	global_store_dwordx2 v[10:11], v[56:57], off
	s_or_b64 exec, exec, s[38:39]
	s_and_saveexec_b64 s[38:39], s[10:11]
	s_cbranch_execz .LBB674_246
.LBB674_305:
	v_sub_u32_e32 v10, v27, v8
	v_mov_b32_e32 v11, 0
	v_lshlrev_b64 v[10:11], 3, v[10:11]
	v_add_co_u32_e32 v10, vcc, v6, v10
	v_addc_co_u32_e32 v11, vcc, v7, v11, vcc
	global_store_dwordx2 v[10:11], v[58:59], off
	s_or_b64 exec, exec, s[38:39]
	s_and_saveexec_b64 s[38:39], s[8:9]
	s_cbranch_execz .LBB674_247
.LBB674_306:
	v_sub_u32_e32 v10, v26, v8
	v_mov_b32_e32 v11, 0
	v_lshlrev_b64 v[10:11], 3, v[10:11]
	v_add_co_u32_e32 v10, vcc, v6, v10
	v_addc_co_u32_e32 v11, vcc, v7, v11, vcc
	global_store_dwordx2 v[10:11], v[60:61], off
	s_or_b64 exec, exec, s[38:39]
	s_and_saveexec_b64 s[38:39], s[6:7]
	s_cbranch_execz .LBB674_248
.LBB674_307:
	v_sub_u32_e32 v10, v25, v8
	v_mov_b32_e32 v11, 0
	v_lshlrev_b64 v[10:11], 3, v[10:11]
	v_add_co_u32_e32 v10, vcc, v6, v10
	v_addc_co_u32_e32 v11, vcc, v7, v11, vcc
	global_store_dwordx2 v[10:11], v[62:63], off
	s_or_b64 exec, exec, s[38:39]
	s_and_saveexec_b64 s[38:39], s[4:5]
	s_cbranch_execz .LBB674_249
.LBB674_308:
	v_sub_u32_e32 v10, v24, v8
	v_mov_b32_e32 v11, 0
	v_lshlrev_b64 v[10:11], 3, v[10:11]
	v_add_co_u32_e32 v10, vcc, v6, v10
	v_addc_co_u32_e32 v11, vcc, v7, v11, vcc
	global_store_dwordx2 v[10:11], v[64:65], off
	s_or_b64 exec, exec, s[38:39]
	s_and_saveexec_b64 s[38:39], s[2:3]
	s_cbranch_execnz .LBB674_250
	s_branch .LBB674_251
.LBB674_309:
	v_sub_u32_e32 v9, v97, v8
	v_lshlrev_b32_e32 v9, 3, v9
	ds_write_b64 v9, v[66:67]
	s_or_b64 exec, exec, s[38:39]
	s_and_saveexec_b64 s[28:29], s[26:27]
	s_cbranch_execz .LBB674_255
.LBB674_310:
	v_sub_u32_e32 v9, v35, v8
	v_lshlrev_b32_e32 v9, 3, v9
	ds_write_b64 v9, v[42:43]
	s_or_b64 exec, exec, s[28:29]
	s_and_saveexec_b64 s[26:27], s[24:25]
	s_cbranch_execz .LBB674_256
.LBB674_311:
	v_sub_u32_e32 v9, v34, v8
	v_lshlrev_b32_e32 v9, 3, v9
	ds_write_b64 v9, v[44:45]
	s_or_b64 exec, exec, s[26:27]
	s_and_saveexec_b64 s[24:25], s[22:23]
	s_cbranch_execz .LBB674_257
.LBB674_312:
	v_sub_u32_e32 v9, v33, v8
	v_lshlrev_b32_e32 v9, 3, v9
	ds_write_b64 v9, v[46:47]
	s_or_b64 exec, exec, s[24:25]
	s_and_saveexec_b64 s[22:23], s[20:21]
	s_cbranch_execz .LBB674_258
.LBB674_313:
	v_sub_u32_e32 v9, v32, v8
	v_lshlrev_b32_e32 v9, 3, v9
	ds_write_b64 v9, v[48:49]
	s_or_b64 exec, exec, s[22:23]
	s_and_saveexec_b64 s[20:21], s[18:19]
	s_cbranch_execz .LBB674_259
.LBB674_314:
	v_sub_u32_e32 v9, v31, v8
	v_lshlrev_b32_e32 v9, 3, v9
	ds_write_b64 v9, v[50:51]
	s_or_b64 exec, exec, s[20:21]
	s_and_saveexec_b64 s[18:19], s[16:17]
	s_cbranch_execz .LBB674_260
.LBB674_315:
	v_sub_u32_e32 v9, v30, v8
	v_lshlrev_b32_e32 v9, 3, v9
	ds_write_b64 v9, v[52:53]
	s_or_b64 exec, exec, s[18:19]
	s_and_saveexec_b64 s[16:17], s[14:15]
	s_cbranch_execz .LBB674_261
.LBB674_316:
	v_sub_u32_e32 v9, v29, v8
	v_lshlrev_b32_e32 v9, 3, v9
	ds_write_b64 v9, v[54:55]
	s_or_b64 exec, exec, s[16:17]
	s_and_saveexec_b64 s[14:15], s[12:13]
	s_cbranch_execz .LBB674_262
.LBB674_317:
	v_sub_u32_e32 v9, v28, v8
	v_lshlrev_b32_e32 v9, 3, v9
	ds_write_b64 v9, v[56:57]
	s_or_b64 exec, exec, s[14:15]
	s_and_saveexec_b64 s[12:13], s[10:11]
	s_cbranch_execz .LBB674_263
.LBB674_318:
	v_sub_u32_e32 v9, v27, v8
	v_lshlrev_b32_e32 v9, 3, v9
	ds_write_b64 v9, v[58:59]
	s_or_b64 exec, exec, s[12:13]
	s_and_saveexec_b64 s[10:11], s[8:9]
	s_cbranch_execz .LBB674_264
.LBB674_319:
	v_sub_u32_e32 v9, v26, v8
	v_lshlrev_b32_e32 v9, 3, v9
	ds_write_b64 v9, v[60:61]
	s_or_b64 exec, exec, s[10:11]
	s_and_saveexec_b64 s[8:9], s[6:7]
	s_cbranch_execz .LBB674_265
.LBB674_320:
	v_sub_u32_e32 v9, v25, v8
	v_lshlrev_b32_e32 v9, 3, v9
	ds_write_b64 v9, v[62:63]
	s_or_b64 exec, exec, s[8:9]
	s_and_saveexec_b64 s[6:7], s[4:5]
	s_cbranch_execz .LBB674_266
.LBB674_321:
	v_sub_u32_e32 v9, v24, v8
	v_lshlrev_b32_e32 v9, 3, v9
	ds_write_b64 v9, v[64:65]
	s_or_b64 exec, exec, s[6:7]
	s_and_saveexec_b64 s[4:5], s[2:3]
	s_cbranch_execnz .LBB674_267
	s_branch .LBB674_268
	.section	.rodata,"a",@progbits
	.p2align	6, 0x0
	.amdhsa_kernel _ZN7rocprim17ROCPRIM_400000_NS6detail17trampoline_kernelINS0_14default_configENS1_29reduce_by_key_config_selectorIalN6thrust23THRUST_200600_302600_NS4plusIlEEEEZZNS1_33reduce_by_key_impl_wrapped_configILNS1_25lookback_scan_determinismE0ES3_S9_PaNS6_17constant_iteratorIiNS6_11use_defaultESE_EENS6_10device_ptrIaEENSG_IlEEPmS8_NS6_8equal_toIaEEEE10hipError_tPvRmT2_T3_mT4_T5_T6_T7_T8_P12ihipStream_tbENKUlT_T0_E_clISt17integral_constantIbLb0EES13_EEDaSY_SZ_EUlSY_E_NS1_11comp_targetILNS1_3genE4ELNS1_11target_archE910ELNS1_3gpuE8ELNS1_3repE0EEENS1_30default_config_static_selectorELNS0_4arch9wavefront6targetE1EEEvT1_
		.amdhsa_group_segment_fixed_size 30720
		.amdhsa_private_segment_fixed_size 0
		.amdhsa_kernarg_size 144
		.amdhsa_user_sgpr_count 6
		.amdhsa_user_sgpr_private_segment_buffer 1
		.amdhsa_user_sgpr_dispatch_ptr 0
		.amdhsa_user_sgpr_queue_ptr 0
		.amdhsa_user_sgpr_kernarg_segment_ptr 1
		.amdhsa_user_sgpr_dispatch_id 0
		.amdhsa_user_sgpr_flat_scratch_init 0
		.amdhsa_user_sgpr_kernarg_preload_length 0
		.amdhsa_user_sgpr_kernarg_preload_offset 0
		.amdhsa_user_sgpr_private_segment_size 0
		.amdhsa_uses_dynamic_stack 0
		.amdhsa_system_sgpr_private_segment_wavefront_offset 0
		.amdhsa_system_sgpr_workgroup_id_x 1
		.amdhsa_system_sgpr_workgroup_id_y 0
		.amdhsa_system_sgpr_workgroup_id_z 0
		.amdhsa_system_sgpr_workgroup_info 0
		.amdhsa_system_vgpr_workitem_id 0
		.amdhsa_next_free_vgpr 133
		.amdhsa_next_free_sgpr 64
		.amdhsa_accum_offset 136
		.amdhsa_reserve_vcc 1
		.amdhsa_reserve_flat_scratch 0
		.amdhsa_float_round_mode_32 0
		.amdhsa_float_round_mode_16_64 0
		.amdhsa_float_denorm_mode_32 3
		.amdhsa_float_denorm_mode_16_64 3
		.amdhsa_dx10_clamp 1
		.amdhsa_ieee_mode 1
		.amdhsa_fp16_overflow 0
		.amdhsa_tg_split 0
		.amdhsa_exception_fp_ieee_invalid_op 0
		.amdhsa_exception_fp_denorm_src 0
		.amdhsa_exception_fp_ieee_div_zero 0
		.amdhsa_exception_fp_ieee_overflow 0
		.amdhsa_exception_fp_ieee_underflow 0
		.amdhsa_exception_fp_ieee_inexact 0
		.amdhsa_exception_int_div_zero 0
	.end_amdhsa_kernel
	.section	.text._ZN7rocprim17ROCPRIM_400000_NS6detail17trampoline_kernelINS0_14default_configENS1_29reduce_by_key_config_selectorIalN6thrust23THRUST_200600_302600_NS4plusIlEEEEZZNS1_33reduce_by_key_impl_wrapped_configILNS1_25lookback_scan_determinismE0ES3_S9_PaNS6_17constant_iteratorIiNS6_11use_defaultESE_EENS6_10device_ptrIaEENSG_IlEEPmS8_NS6_8equal_toIaEEEE10hipError_tPvRmT2_T3_mT4_T5_T6_T7_T8_P12ihipStream_tbENKUlT_T0_E_clISt17integral_constantIbLb0EES13_EEDaSY_SZ_EUlSY_E_NS1_11comp_targetILNS1_3genE4ELNS1_11target_archE910ELNS1_3gpuE8ELNS1_3repE0EEENS1_30default_config_static_selectorELNS0_4arch9wavefront6targetE1EEEvT1_,"axG",@progbits,_ZN7rocprim17ROCPRIM_400000_NS6detail17trampoline_kernelINS0_14default_configENS1_29reduce_by_key_config_selectorIalN6thrust23THRUST_200600_302600_NS4plusIlEEEEZZNS1_33reduce_by_key_impl_wrapped_configILNS1_25lookback_scan_determinismE0ES3_S9_PaNS6_17constant_iteratorIiNS6_11use_defaultESE_EENS6_10device_ptrIaEENSG_IlEEPmS8_NS6_8equal_toIaEEEE10hipError_tPvRmT2_T3_mT4_T5_T6_T7_T8_P12ihipStream_tbENKUlT_T0_E_clISt17integral_constantIbLb0EES13_EEDaSY_SZ_EUlSY_E_NS1_11comp_targetILNS1_3genE4ELNS1_11target_archE910ELNS1_3gpuE8ELNS1_3repE0EEENS1_30default_config_static_selectorELNS0_4arch9wavefront6targetE1EEEvT1_,comdat
.Lfunc_end674:
	.size	_ZN7rocprim17ROCPRIM_400000_NS6detail17trampoline_kernelINS0_14default_configENS1_29reduce_by_key_config_selectorIalN6thrust23THRUST_200600_302600_NS4plusIlEEEEZZNS1_33reduce_by_key_impl_wrapped_configILNS1_25lookback_scan_determinismE0ES3_S9_PaNS6_17constant_iteratorIiNS6_11use_defaultESE_EENS6_10device_ptrIaEENSG_IlEEPmS8_NS6_8equal_toIaEEEE10hipError_tPvRmT2_T3_mT4_T5_T6_T7_T8_P12ihipStream_tbENKUlT_T0_E_clISt17integral_constantIbLb0EES13_EEDaSY_SZ_EUlSY_E_NS1_11comp_targetILNS1_3genE4ELNS1_11target_archE910ELNS1_3gpuE8ELNS1_3repE0EEENS1_30default_config_static_selectorELNS0_4arch9wavefront6targetE1EEEvT1_, .Lfunc_end674-_ZN7rocprim17ROCPRIM_400000_NS6detail17trampoline_kernelINS0_14default_configENS1_29reduce_by_key_config_selectorIalN6thrust23THRUST_200600_302600_NS4plusIlEEEEZZNS1_33reduce_by_key_impl_wrapped_configILNS1_25lookback_scan_determinismE0ES3_S9_PaNS6_17constant_iteratorIiNS6_11use_defaultESE_EENS6_10device_ptrIaEENSG_IlEEPmS8_NS6_8equal_toIaEEEE10hipError_tPvRmT2_T3_mT4_T5_T6_T7_T8_P12ihipStream_tbENKUlT_T0_E_clISt17integral_constantIbLb0EES13_EEDaSY_SZ_EUlSY_E_NS1_11comp_targetILNS1_3genE4ELNS1_11target_archE910ELNS1_3gpuE8ELNS1_3repE0EEENS1_30default_config_static_selectorELNS0_4arch9wavefront6targetE1EEEvT1_
                                        ; -- End function
	.section	.AMDGPU.csdata,"",@progbits
; Kernel info:
; codeLenInByte = 16484
; NumSgprs: 68
; NumVgprs: 133
; NumAgprs: 0
; TotalNumVgprs: 133
; ScratchSize: 0
; MemoryBound: 0
; FloatMode: 240
; IeeeMode: 1
; LDSByteSize: 30720 bytes/workgroup (compile time only)
; SGPRBlocks: 8
; VGPRBlocks: 16
; NumSGPRsForWavesPerEU: 68
; NumVGPRsForWavesPerEU: 133
; AccumOffset: 136
; Occupancy: 2
; WaveLimiterHint : 1
; COMPUTE_PGM_RSRC2:SCRATCH_EN: 0
; COMPUTE_PGM_RSRC2:USER_SGPR: 6
; COMPUTE_PGM_RSRC2:TRAP_HANDLER: 0
; COMPUTE_PGM_RSRC2:TGID_X_EN: 1
; COMPUTE_PGM_RSRC2:TGID_Y_EN: 0
; COMPUTE_PGM_RSRC2:TGID_Z_EN: 0
; COMPUTE_PGM_RSRC2:TIDIG_COMP_CNT: 0
; COMPUTE_PGM_RSRC3_GFX90A:ACCUM_OFFSET: 33
; COMPUTE_PGM_RSRC3_GFX90A:TG_SPLIT: 0
	.section	.text._ZN7rocprim17ROCPRIM_400000_NS6detail17trampoline_kernelINS0_14default_configENS1_29reduce_by_key_config_selectorIalN6thrust23THRUST_200600_302600_NS4plusIlEEEEZZNS1_33reduce_by_key_impl_wrapped_configILNS1_25lookback_scan_determinismE0ES3_S9_PaNS6_17constant_iteratorIiNS6_11use_defaultESE_EENS6_10device_ptrIaEENSG_IlEEPmS8_NS6_8equal_toIaEEEE10hipError_tPvRmT2_T3_mT4_T5_T6_T7_T8_P12ihipStream_tbENKUlT_T0_E_clISt17integral_constantIbLb0EES13_EEDaSY_SZ_EUlSY_E_NS1_11comp_targetILNS1_3genE3ELNS1_11target_archE908ELNS1_3gpuE7ELNS1_3repE0EEENS1_30default_config_static_selectorELNS0_4arch9wavefront6targetE1EEEvT1_,"axG",@progbits,_ZN7rocprim17ROCPRIM_400000_NS6detail17trampoline_kernelINS0_14default_configENS1_29reduce_by_key_config_selectorIalN6thrust23THRUST_200600_302600_NS4plusIlEEEEZZNS1_33reduce_by_key_impl_wrapped_configILNS1_25lookback_scan_determinismE0ES3_S9_PaNS6_17constant_iteratorIiNS6_11use_defaultESE_EENS6_10device_ptrIaEENSG_IlEEPmS8_NS6_8equal_toIaEEEE10hipError_tPvRmT2_T3_mT4_T5_T6_T7_T8_P12ihipStream_tbENKUlT_T0_E_clISt17integral_constantIbLb0EES13_EEDaSY_SZ_EUlSY_E_NS1_11comp_targetILNS1_3genE3ELNS1_11target_archE908ELNS1_3gpuE7ELNS1_3repE0EEENS1_30default_config_static_selectorELNS0_4arch9wavefront6targetE1EEEvT1_,comdat
	.protected	_ZN7rocprim17ROCPRIM_400000_NS6detail17trampoline_kernelINS0_14default_configENS1_29reduce_by_key_config_selectorIalN6thrust23THRUST_200600_302600_NS4plusIlEEEEZZNS1_33reduce_by_key_impl_wrapped_configILNS1_25lookback_scan_determinismE0ES3_S9_PaNS6_17constant_iteratorIiNS6_11use_defaultESE_EENS6_10device_ptrIaEENSG_IlEEPmS8_NS6_8equal_toIaEEEE10hipError_tPvRmT2_T3_mT4_T5_T6_T7_T8_P12ihipStream_tbENKUlT_T0_E_clISt17integral_constantIbLb0EES13_EEDaSY_SZ_EUlSY_E_NS1_11comp_targetILNS1_3genE3ELNS1_11target_archE908ELNS1_3gpuE7ELNS1_3repE0EEENS1_30default_config_static_selectorELNS0_4arch9wavefront6targetE1EEEvT1_ ; -- Begin function _ZN7rocprim17ROCPRIM_400000_NS6detail17trampoline_kernelINS0_14default_configENS1_29reduce_by_key_config_selectorIalN6thrust23THRUST_200600_302600_NS4plusIlEEEEZZNS1_33reduce_by_key_impl_wrapped_configILNS1_25lookback_scan_determinismE0ES3_S9_PaNS6_17constant_iteratorIiNS6_11use_defaultESE_EENS6_10device_ptrIaEENSG_IlEEPmS8_NS6_8equal_toIaEEEE10hipError_tPvRmT2_T3_mT4_T5_T6_T7_T8_P12ihipStream_tbENKUlT_T0_E_clISt17integral_constantIbLb0EES13_EEDaSY_SZ_EUlSY_E_NS1_11comp_targetILNS1_3genE3ELNS1_11target_archE908ELNS1_3gpuE7ELNS1_3repE0EEENS1_30default_config_static_selectorELNS0_4arch9wavefront6targetE1EEEvT1_
	.globl	_ZN7rocprim17ROCPRIM_400000_NS6detail17trampoline_kernelINS0_14default_configENS1_29reduce_by_key_config_selectorIalN6thrust23THRUST_200600_302600_NS4plusIlEEEEZZNS1_33reduce_by_key_impl_wrapped_configILNS1_25lookback_scan_determinismE0ES3_S9_PaNS6_17constant_iteratorIiNS6_11use_defaultESE_EENS6_10device_ptrIaEENSG_IlEEPmS8_NS6_8equal_toIaEEEE10hipError_tPvRmT2_T3_mT4_T5_T6_T7_T8_P12ihipStream_tbENKUlT_T0_E_clISt17integral_constantIbLb0EES13_EEDaSY_SZ_EUlSY_E_NS1_11comp_targetILNS1_3genE3ELNS1_11target_archE908ELNS1_3gpuE7ELNS1_3repE0EEENS1_30default_config_static_selectorELNS0_4arch9wavefront6targetE1EEEvT1_
	.p2align	8
	.type	_ZN7rocprim17ROCPRIM_400000_NS6detail17trampoline_kernelINS0_14default_configENS1_29reduce_by_key_config_selectorIalN6thrust23THRUST_200600_302600_NS4plusIlEEEEZZNS1_33reduce_by_key_impl_wrapped_configILNS1_25lookback_scan_determinismE0ES3_S9_PaNS6_17constant_iteratorIiNS6_11use_defaultESE_EENS6_10device_ptrIaEENSG_IlEEPmS8_NS6_8equal_toIaEEEE10hipError_tPvRmT2_T3_mT4_T5_T6_T7_T8_P12ihipStream_tbENKUlT_T0_E_clISt17integral_constantIbLb0EES13_EEDaSY_SZ_EUlSY_E_NS1_11comp_targetILNS1_3genE3ELNS1_11target_archE908ELNS1_3gpuE7ELNS1_3repE0EEENS1_30default_config_static_selectorELNS0_4arch9wavefront6targetE1EEEvT1_,@function
_ZN7rocprim17ROCPRIM_400000_NS6detail17trampoline_kernelINS0_14default_configENS1_29reduce_by_key_config_selectorIalN6thrust23THRUST_200600_302600_NS4plusIlEEEEZZNS1_33reduce_by_key_impl_wrapped_configILNS1_25lookback_scan_determinismE0ES3_S9_PaNS6_17constant_iteratorIiNS6_11use_defaultESE_EENS6_10device_ptrIaEENSG_IlEEPmS8_NS6_8equal_toIaEEEE10hipError_tPvRmT2_T3_mT4_T5_T6_T7_T8_P12ihipStream_tbENKUlT_T0_E_clISt17integral_constantIbLb0EES13_EEDaSY_SZ_EUlSY_E_NS1_11comp_targetILNS1_3genE3ELNS1_11target_archE908ELNS1_3gpuE7ELNS1_3repE0EEENS1_30default_config_static_selectorELNS0_4arch9wavefront6targetE1EEEvT1_: ; @_ZN7rocprim17ROCPRIM_400000_NS6detail17trampoline_kernelINS0_14default_configENS1_29reduce_by_key_config_selectorIalN6thrust23THRUST_200600_302600_NS4plusIlEEEEZZNS1_33reduce_by_key_impl_wrapped_configILNS1_25lookback_scan_determinismE0ES3_S9_PaNS6_17constant_iteratorIiNS6_11use_defaultESE_EENS6_10device_ptrIaEENSG_IlEEPmS8_NS6_8equal_toIaEEEE10hipError_tPvRmT2_T3_mT4_T5_T6_T7_T8_P12ihipStream_tbENKUlT_T0_E_clISt17integral_constantIbLb0EES13_EEDaSY_SZ_EUlSY_E_NS1_11comp_targetILNS1_3genE3ELNS1_11target_archE908ELNS1_3gpuE7ELNS1_3repE0EEENS1_30default_config_static_selectorELNS0_4arch9wavefront6targetE1EEEvT1_
; %bb.0:
	.section	.rodata,"a",@progbits
	.p2align	6, 0x0
	.amdhsa_kernel _ZN7rocprim17ROCPRIM_400000_NS6detail17trampoline_kernelINS0_14default_configENS1_29reduce_by_key_config_selectorIalN6thrust23THRUST_200600_302600_NS4plusIlEEEEZZNS1_33reduce_by_key_impl_wrapped_configILNS1_25lookback_scan_determinismE0ES3_S9_PaNS6_17constant_iteratorIiNS6_11use_defaultESE_EENS6_10device_ptrIaEENSG_IlEEPmS8_NS6_8equal_toIaEEEE10hipError_tPvRmT2_T3_mT4_T5_T6_T7_T8_P12ihipStream_tbENKUlT_T0_E_clISt17integral_constantIbLb0EES13_EEDaSY_SZ_EUlSY_E_NS1_11comp_targetILNS1_3genE3ELNS1_11target_archE908ELNS1_3gpuE7ELNS1_3repE0EEENS1_30default_config_static_selectorELNS0_4arch9wavefront6targetE1EEEvT1_
		.amdhsa_group_segment_fixed_size 0
		.amdhsa_private_segment_fixed_size 0
		.amdhsa_kernarg_size 144
		.amdhsa_user_sgpr_count 6
		.amdhsa_user_sgpr_private_segment_buffer 1
		.amdhsa_user_sgpr_dispatch_ptr 0
		.amdhsa_user_sgpr_queue_ptr 0
		.amdhsa_user_sgpr_kernarg_segment_ptr 1
		.amdhsa_user_sgpr_dispatch_id 0
		.amdhsa_user_sgpr_flat_scratch_init 0
		.amdhsa_user_sgpr_kernarg_preload_length 0
		.amdhsa_user_sgpr_kernarg_preload_offset 0
		.amdhsa_user_sgpr_private_segment_size 0
		.amdhsa_uses_dynamic_stack 0
		.amdhsa_system_sgpr_private_segment_wavefront_offset 0
		.amdhsa_system_sgpr_workgroup_id_x 1
		.amdhsa_system_sgpr_workgroup_id_y 0
		.amdhsa_system_sgpr_workgroup_id_z 0
		.amdhsa_system_sgpr_workgroup_info 0
		.amdhsa_system_vgpr_workitem_id 0
		.amdhsa_next_free_vgpr 1
		.amdhsa_next_free_sgpr 0
		.amdhsa_accum_offset 4
		.amdhsa_reserve_vcc 0
		.amdhsa_reserve_flat_scratch 0
		.amdhsa_float_round_mode_32 0
		.amdhsa_float_round_mode_16_64 0
		.amdhsa_float_denorm_mode_32 3
		.amdhsa_float_denorm_mode_16_64 3
		.amdhsa_dx10_clamp 1
		.amdhsa_ieee_mode 1
		.amdhsa_fp16_overflow 0
		.amdhsa_tg_split 0
		.amdhsa_exception_fp_ieee_invalid_op 0
		.amdhsa_exception_fp_denorm_src 0
		.amdhsa_exception_fp_ieee_div_zero 0
		.amdhsa_exception_fp_ieee_overflow 0
		.amdhsa_exception_fp_ieee_underflow 0
		.amdhsa_exception_fp_ieee_inexact 0
		.amdhsa_exception_int_div_zero 0
	.end_amdhsa_kernel
	.section	.text._ZN7rocprim17ROCPRIM_400000_NS6detail17trampoline_kernelINS0_14default_configENS1_29reduce_by_key_config_selectorIalN6thrust23THRUST_200600_302600_NS4plusIlEEEEZZNS1_33reduce_by_key_impl_wrapped_configILNS1_25lookback_scan_determinismE0ES3_S9_PaNS6_17constant_iteratorIiNS6_11use_defaultESE_EENS6_10device_ptrIaEENSG_IlEEPmS8_NS6_8equal_toIaEEEE10hipError_tPvRmT2_T3_mT4_T5_T6_T7_T8_P12ihipStream_tbENKUlT_T0_E_clISt17integral_constantIbLb0EES13_EEDaSY_SZ_EUlSY_E_NS1_11comp_targetILNS1_3genE3ELNS1_11target_archE908ELNS1_3gpuE7ELNS1_3repE0EEENS1_30default_config_static_selectorELNS0_4arch9wavefront6targetE1EEEvT1_,"axG",@progbits,_ZN7rocprim17ROCPRIM_400000_NS6detail17trampoline_kernelINS0_14default_configENS1_29reduce_by_key_config_selectorIalN6thrust23THRUST_200600_302600_NS4plusIlEEEEZZNS1_33reduce_by_key_impl_wrapped_configILNS1_25lookback_scan_determinismE0ES3_S9_PaNS6_17constant_iteratorIiNS6_11use_defaultESE_EENS6_10device_ptrIaEENSG_IlEEPmS8_NS6_8equal_toIaEEEE10hipError_tPvRmT2_T3_mT4_T5_T6_T7_T8_P12ihipStream_tbENKUlT_T0_E_clISt17integral_constantIbLb0EES13_EEDaSY_SZ_EUlSY_E_NS1_11comp_targetILNS1_3genE3ELNS1_11target_archE908ELNS1_3gpuE7ELNS1_3repE0EEENS1_30default_config_static_selectorELNS0_4arch9wavefront6targetE1EEEvT1_,comdat
.Lfunc_end675:
	.size	_ZN7rocprim17ROCPRIM_400000_NS6detail17trampoline_kernelINS0_14default_configENS1_29reduce_by_key_config_selectorIalN6thrust23THRUST_200600_302600_NS4plusIlEEEEZZNS1_33reduce_by_key_impl_wrapped_configILNS1_25lookback_scan_determinismE0ES3_S9_PaNS6_17constant_iteratorIiNS6_11use_defaultESE_EENS6_10device_ptrIaEENSG_IlEEPmS8_NS6_8equal_toIaEEEE10hipError_tPvRmT2_T3_mT4_T5_T6_T7_T8_P12ihipStream_tbENKUlT_T0_E_clISt17integral_constantIbLb0EES13_EEDaSY_SZ_EUlSY_E_NS1_11comp_targetILNS1_3genE3ELNS1_11target_archE908ELNS1_3gpuE7ELNS1_3repE0EEENS1_30default_config_static_selectorELNS0_4arch9wavefront6targetE1EEEvT1_, .Lfunc_end675-_ZN7rocprim17ROCPRIM_400000_NS6detail17trampoline_kernelINS0_14default_configENS1_29reduce_by_key_config_selectorIalN6thrust23THRUST_200600_302600_NS4plusIlEEEEZZNS1_33reduce_by_key_impl_wrapped_configILNS1_25lookback_scan_determinismE0ES3_S9_PaNS6_17constant_iteratorIiNS6_11use_defaultESE_EENS6_10device_ptrIaEENSG_IlEEPmS8_NS6_8equal_toIaEEEE10hipError_tPvRmT2_T3_mT4_T5_T6_T7_T8_P12ihipStream_tbENKUlT_T0_E_clISt17integral_constantIbLb0EES13_EEDaSY_SZ_EUlSY_E_NS1_11comp_targetILNS1_3genE3ELNS1_11target_archE908ELNS1_3gpuE7ELNS1_3repE0EEENS1_30default_config_static_selectorELNS0_4arch9wavefront6targetE1EEEvT1_
                                        ; -- End function
	.section	.AMDGPU.csdata,"",@progbits
; Kernel info:
; codeLenInByte = 0
; NumSgprs: 4
; NumVgprs: 0
; NumAgprs: 0
; TotalNumVgprs: 0
; ScratchSize: 0
; MemoryBound: 0
; FloatMode: 240
; IeeeMode: 1
; LDSByteSize: 0 bytes/workgroup (compile time only)
; SGPRBlocks: 0
; VGPRBlocks: 0
; NumSGPRsForWavesPerEU: 4
; NumVGPRsForWavesPerEU: 1
; AccumOffset: 4
; Occupancy: 8
; WaveLimiterHint : 0
; COMPUTE_PGM_RSRC2:SCRATCH_EN: 0
; COMPUTE_PGM_RSRC2:USER_SGPR: 6
; COMPUTE_PGM_RSRC2:TRAP_HANDLER: 0
; COMPUTE_PGM_RSRC2:TGID_X_EN: 1
; COMPUTE_PGM_RSRC2:TGID_Y_EN: 0
; COMPUTE_PGM_RSRC2:TGID_Z_EN: 0
; COMPUTE_PGM_RSRC2:TIDIG_COMP_CNT: 0
; COMPUTE_PGM_RSRC3_GFX90A:ACCUM_OFFSET: 0
; COMPUTE_PGM_RSRC3_GFX90A:TG_SPLIT: 0
	.section	.text._ZN7rocprim17ROCPRIM_400000_NS6detail17trampoline_kernelINS0_14default_configENS1_29reduce_by_key_config_selectorIalN6thrust23THRUST_200600_302600_NS4plusIlEEEEZZNS1_33reduce_by_key_impl_wrapped_configILNS1_25lookback_scan_determinismE0ES3_S9_PaNS6_17constant_iteratorIiNS6_11use_defaultESE_EENS6_10device_ptrIaEENSG_IlEEPmS8_NS6_8equal_toIaEEEE10hipError_tPvRmT2_T3_mT4_T5_T6_T7_T8_P12ihipStream_tbENKUlT_T0_E_clISt17integral_constantIbLb0EES13_EEDaSY_SZ_EUlSY_E_NS1_11comp_targetILNS1_3genE2ELNS1_11target_archE906ELNS1_3gpuE6ELNS1_3repE0EEENS1_30default_config_static_selectorELNS0_4arch9wavefront6targetE1EEEvT1_,"axG",@progbits,_ZN7rocprim17ROCPRIM_400000_NS6detail17trampoline_kernelINS0_14default_configENS1_29reduce_by_key_config_selectorIalN6thrust23THRUST_200600_302600_NS4plusIlEEEEZZNS1_33reduce_by_key_impl_wrapped_configILNS1_25lookback_scan_determinismE0ES3_S9_PaNS6_17constant_iteratorIiNS6_11use_defaultESE_EENS6_10device_ptrIaEENSG_IlEEPmS8_NS6_8equal_toIaEEEE10hipError_tPvRmT2_T3_mT4_T5_T6_T7_T8_P12ihipStream_tbENKUlT_T0_E_clISt17integral_constantIbLb0EES13_EEDaSY_SZ_EUlSY_E_NS1_11comp_targetILNS1_3genE2ELNS1_11target_archE906ELNS1_3gpuE6ELNS1_3repE0EEENS1_30default_config_static_selectorELNS0_4arch9wavefront6targetE1EEEvT1_,comdat
	.protected	_ZN7rocprim17ROCPRIM_400000_NS6detail17trampoline_kernelINS0_14default_configENS1_29reduce_by_key_config_selectorIalN6thrust23THRUST_200600_302600_NS4plusIlEEEEZZNS1_33reduce_by_key_impl_wrapped_configILNS1_25lookback_scan_determinismE0ES3_S9_PaNS6_17constant_iteratorIiNS6_11use_defaultESE_EENS6_10device_ptrIaEENSG_IlEEPmS8_NS6_8equal_toIaEEEE10hipError_tPvRmT2_T3_mT4_T5_T6_T7_T8_P12ihipStream_tbENKUlT_T0_E_clISt17integral_constantIbLb0EES13_EEDaSY_SZ_EUlSY_E_NS1_11comp_targetILNS1_3genE2ELNS1_11target_archE906ELNS1_3gpuE6ELNS1_3repE0EEENS1_30default_config_static_selectorELNS0_4arch9wavefront6targetE1EEEvT1_ ; -- Begin function _ZN7rocprim17ROCPRIM_400000_NS6detail17trampoline_kernelINS0_14default_configENS1_29reduce_by_key_config_selectorIalN6thrust23THRUST_200600_302600_NS4plusIlEEEEZZNS1_33reduce_by_key_impl_wrapped_configILNS1_25lookback_scan_determinismE0ES3_S9_PaNS6_17constant_iteratorIiNS6_11use_defaultESE_EENS6_10device_ptrIaEENSG_IlEEPmS8_NS6_8equal_toIaEEEE10hipError_tPvRmT2_T3_mT4_T5_T6_T7_T8_P12ihipStream_tbENKUlT_T0_E_clISt17integral_constantIbLb0EES13_EEDaSY_SZ_EUlSY_E_NS1_11comp_targetILNS1_3genE2ELNS1_11target_archE906ELNS1_3gpuE6ELNS1_3repE0EEENS1_30default_config_static_selectorELNS0_4arch9wavefront6targetE1EEEvT1_
	.globl	_ZN7rocprim17ROCPRIM_400000_NS6detail17trampoline_kernelINS0_14default_configENS1_29reduce_by_key_config_selectorIalN6thrust23THRUST_200600_302600_NS4plusIlEEEEZZNS1_33reduce_by_key_impl_wrapped_configILNS1_25lookback_scan_determinismE0ES3_S9_PaNS6_17constant_iteratorIiNS6_11use_defaultESE_EENS6_10device_ptrIaEENSG_IlEEPmS8_NS6_8equal_toIaEEEE10hipError_tPvRmT2_T3_mT4_T5_T6_T7_T8_P12ihipStream_tbENKUlT_T0_E_clISt17integral_constantIbLb0EES13_EEDaSY_SZ_EUlSY_E_NS1_11comp_targetILNS1_3genE2ELNS1_11target_archE906ELNS1_3gpuE6ELNS1_3repE0EEENS1_30default_config_static_selectorELNS0_4arch9wavefront6targetE1EEEvT1_
	.p2align	8
	.type	_ZN7rocprim17ROCPRIM_400000_NS6detail17trampoline_kernelINS0_14default_configENS1_29reduce_by_key_config_selectorIalN6thrust23THRUST_200600_302600_NS4plusIlEEEEZZNS1_33reduce_by_key_impl_wrapped_configILNS1_25lookback_scan_determinismE0ES3_S9_PaNS6_17constant_iteratorIiNS6_11use_defaultESE_EENS6_10device_ptrIaEENSG_IlEEPmS8_NS6_8equal_toIaEEEE10hipError_tPvRmT2_T3_mT4_T5_T6_T7_T8_P12ihipStream_tbENKUlT_T0_E_clISt17integral_constantIbLb0EES13_EEDaSY_SZ_EUlSY_E_NS1_11comp_targetILNS1_3genE2ELNS1_11target_archE906ELNS1_3gpuE6ELNS1_3repE0EEENS1_30default_config_static_selectorELNS0_4arch9wavefront6targetE1EEEvT1_,@function
_ZN7rocprim17ROCPRIM_400000_NS6detail17trampoline_kernelINS0_14default_configENS1_29reduce_by_key_config_selectorIalN6thrust23THRUST_200600_302600_NS4plusIlEEEEZZNS1_33reduce_by_key_impl_wrapped_configILNS1_25lookback_scan_determinismE0ES3_S9_PaNS6_17constant_iteratorIiNS6_11use_defaultESE_EENS6_10device_ptrIaEENSG_IlEEPmS8_NS6_8equal_toIaEEEE10hipError_tPvRmT2_T3_mT4_T5_T6_T7_T8_P12ihipStream_tbENKUlT_T0_E_clISt17integral_constantIbLb0EES13_EEDaSY_SZ_EUlSY_E_NS1_11comp_targetILNS1_3genE2ELNS1_11target_archE906ELNS1_3gpuE6ELNS1_3repE0EEENS1_30default_config_static_selectorELNS0_4arch9wavefront6targetE1EEEvT1_: ; @_ZN7rocprim17ROCPRIM_400000_NS6detail17trampoline_kernelINS0_14default_configENS1_29reduce_by_key_config_selectorIalN6thrust23THRUST_200600_302600_NS4plusIlEEEEZZNS1_33reduce_by_key_impl_wrapped_configILNS1_25lookback_scan_determinismE0ES3_S9_PaNS6_17constant_iteratorIiNS6_11use_defaultESE_EENS6_10device_ptrIaEENSG_IlEEPmS8_NS6_8equal_toIaEEEE10hipError_tPvRmT2_T3_mT4_T5_T6_T7_T8_P12ihipStream_tbENKUlT_T0_E_clISt17integral_constantIbLb0EES13_EEDaSY_SZ_EUlSY_E_NS1_11comp_targetILNS1_3genE2ELNS1_11target_archE906ELNS1_3gpuE6ELNS1_3repE0EEENS1_30default_config_static_selectorELNS0_4arch9wavefront6targetE1EEEvT1_
; %bb.0:
	.section	.rodata,"a",@progbits
	.p2align	6, 0x0
	.amdhsa_kernel _ZN7rocprim17ROCPRIM_400000_NS6detail17trampoline_kernelINS0_14default_configENS1_29reduce_by_key_config_selectorIalN6thrust23THRUST_200600_302600_NS4plusIlEEEEZZNS1_33reduce_by_key_impl_wrapped_configILNS1_25lookback_scan_determinismE0ES3_S9_PaNS6_17constant_iteratorIiNS6_11use_defaultESE_EENS6_10device_ptrIaEENSG_IlEEPmS8_NS6_8equal_toIaEEEE10hipError_tPvRmT2_T3_mT4_T5_T6_T7_T8_P12ihipStream_tbENKUlT_T0_E_clISt17integral_constantIbLb0EES13_EEDaSY_SZ_EUlSY_E_NS1_11comp_targetILNS1_3genE2ELNS1_11target_archE906ELNS1_3gpuE6ELNS1_3repE0EEENS1_30default_config_static_selectorELNS0_4arch9wavefront6targetE1EEEvT1_
		.amdhsa_group_segment_fixed_size 0
		.amdhsa_private_segment_fixed_size 0
		.amdhsa_kernarg_size 144
		.amdhsa_user_sgpr_count 6
		.amdhsa_user_sgpr_private_segment_buffer 1
		.amdhsa_user_sgpr_dispatch_ptr 0
		.amdhsa_user_sgpr_queue_ptr 0
		.amdhsa_user_sgpr_kernarg_segment_ptr 1
		.amdhsa_user_sgpr_dispatch_id 0
		.amdhsa_user_sgpr_flat_scratch_init 0
		.amdhsa_user_sgpr_kernarg_preload_length 0
		.amdhsa_user_sgpr_kernarg_preload_offset 0
		.amdhsa_user_sgpr_private_segment_size 0
		.amdhsa_uses_dynamic_stack 0
		.amdhsa_system_sgpr_private_segment_wavefront_offset 0
		.amdhsa_system_sgpr_workgroup_id_x 1
		.amdhsa_system_sgpr_workgroup_id_y 0
		.amdhsa_system_sgpr_workgroup_id_z 0
		.amdhsa_system_sgpr_workgroup_info 0
		.amdhsa_system_vgpr_workitem_id 0
		.amdhsa_next_free_vgpr 1
		.amdhsa_next_free_sgpr 0
		.amdhsa_accum_offset 4
		.amdhsa_reserve_vcc 0
		.amdhsa_reserve_flat_scratch 0
		.amdhsa_float_round_mode_32 0
		.amdhsa_float_round_mode_16_64 0
		.amdhsa_float_denorm_mode_32 3
		.amdhsa_float_denorm_mode_16_64 3
		.amdhsa_dx10_clamp 1
		.amdhsa_ieee_mode 1
		.amdhsa_fp16_overflow 0
		.amdhsa_tg_split 0
		.amdhsa_exception_fp_ieee_invalid_op 0
		.amdhsa_exception_fp_denorm_src 0
		.amdhsa_exception_fp_ieee_div_zero 0
		.amdhsa_exception_fp_ieee_overflow 0
		.amdhsa_exception_fp_ieee_underflow 0
		.amdhsa_exception_fp_ieee_inexact 0
		.amdhsa_exception_int_div_zero 0
	.end_amdhsa_kernel
	.section	.text._ZN7rocprim17ROCPRIM_400000_NS6detail17trampoline_kernelINS0_14default_configENS1_29reduce_by_key_config_selectorIalN6thrust23THRUST_200600_302600_NS4plusIlEEEEZZNS1_33reduce_by_key_impl_wrapped_configILNS1_25lookback_scan_determinismE0ES3_S9_PaNS6_17constant_iteratorIiNS6_11use_defaultESE_EENS6_10device_ptrIaEENSG_IlEEPmS8_NS6_8equal_toIaEEEE10hipError_tPvRmT2_T3_mT4_T5_T6_T7_T8_P12ihipStream_tbENKUlT_T0_E_clISt17integral_constantIbLb0EES13_EEDaSY_SZ_EUlSY_E_NS1_11comp_targetILNS1_3genE2ELNS1_11target_archE906ELNS1_3gpuE6ELNS1_3repE0EEENS1_30default_config_static_selectorELNS0_4arch9wavefront6targetE1EEEvT1_,"axG",@progbits,_ZN7rocprim17ROCPRIM_400000_NS6detail17trampoline_kernelINS0_14default_configENS1_29reduce_by_key_config_selectorIalN6thrust23THRUST_200600_302600_NS4plusIlEEEEZZNS1_33reduce_by_key_impl_wrapped_configILNS1_25lookback_scan_determinismE0ES3_S9_PaNS6_17constant_iteratorIiNS6_11use_defaultESE_EENS6_10device_ptrIaEENSG_IlEEPmS8_NS6_8equal_toIaEEEE10hipError_tPvRmT2_T3_mT4_T5_T6_T7_T8_P12ihipStream_tbENKUlT_T0_E_clISt17integral_constantIbLb0EES13_EEDaSY_SZ_EUlSY_E_NS1_11comp_targetILNS1_3genE2ELNS1_11target_archE906ELNS1_3gpuE6ELNS1_3repE0EEENS1_30default_config_static_selectorELNS0_4arch9wavefront6targetE1EEEvT1_,comdat
.Lfunc_end676:
	.size	_ZN7rocprim17ROCPRIM_400000_NS6detail17trampoline_kernelINS0_14default_configENS1_29reduce_by_key_config_selectorIalN6thrust23THRUST_200600_302600_NS4plusIlEEEEZZNS1_33reduce_by_key_impl_wrapped_configILNS1_25lookback_scan_determinismE0ES3_S9_PaNS6_17constant_iteratorIiNS6_11use_defaultESE_EENS6_10device_ptrIaEENSG_IlEEPmS8_NS6_8equal_toIaEEEE10hipError_tPvRmT2_T3_mT4_T5_T6_T7_T8_P12ihipStream_tbENKUlT_T0_E_clISt17integral_constantIbLb0EES13_EEDaSY_SZ_EUlSY_E_NS1_11comp_targetILNS1_3genE2ELNS1_11target_archE906ELNS1_3gpuE6ELNS1_3repE0EEENS1_30default_config_static_selectorELNS0_4arch9wavefront6targetE1EEEvT1_, .Lfunc_end676-_ZN7rocprim17ROCPRIM_400000_NS6detail17trampoline_kernelINS0_14default_configENS1_29reduce_by_key_config_selectorIalN6thrust23THRUST_200600_302600_NS4plusIlEEEEZZNS1_33reduce_by_key_impl_wrapped_configILNS1_25lookback_scan_determinismE0ES3_S9_PaNS6_17constant_iteratorIiNS6_11use_defaultESE_EENS6_10device_ptrIaEENSG_IlEEPmS8_NS6_8equal_toIaEEEE10hipError_tPvRmT2_T3_mT4_T5_T6_T7_T8_P12ihipStream_tbENKUlT_T0_E_clISt17integral_constantIbLb0EES13_EEDaSY_SZ_EUlSY_E_NS1_11comp_targetILNS1_3genE2ELNS1_11target_archE906ELNS1_3gpuE6ELNS1_3repE0EEENS1_30default_config_static_selectorELNS0_4arch9wavefront6targetE1EEEvT1_
                                        ; -- End function
	.section	.AMDGPU.csdata,"",@progbits
; Kernel info:
; codeLenInByte = 0
; NumSgprs: 4
; NumVgprs: 0
; NumAgprs: 0
; TotalNumVgprs: 0
; ScratchSize: 0
; MemoryBound: 0
; FloatMode: 240
; IeeeMode: 1
; LDSByteSize: 0 bytes/workgroup (compile time only)
; SGPRBlocks: 0
; VGPRBlocks: 0
; NumSGPRsForWavesPerEU: 4
; NumVGPRsForWavesPerEU: 1
; AccumOffset: 4
; Occupancy: 8
; WaveLimiterHint : 0
; COMPUTE_PGM_RSRC2:SCRATCH_EN: 0
; COMPUTE_PGM_RSRC2:USER_SGPR: 6
; COMPUTE_PGM_RSRC2:TRAP_HANDLER: 0
; COMPUTE_PGM_RSRC2:TGID_X_EN: 1
; COMPUTE_PGM_RSRC2:TGID_Y_EN: 0
; COMPUTE_PGM_RSRC2:TGID_Z_EN: 0
; COMPUTE_PGM_RSRC2:TIDIG_COMP_CNT: 0
; COMPUTE_PGM_RSRC3_GFX90A:ACCUM_OFFSET: 0
; COMPUTE_PGM_RSRC3_GFX90A:TG_SPLIT: 0
	.section	.text._ZN7rocprim17ROCPRIM_400000_NS6detail17trampoline_kernelINS0_14default_configENS1_29reduce_by_key_config_selectorIalN6thrust23THRUST_200600_302600_NS4plusIlEEEEZZNS1_33reduce_by_key_impl_wrapped_configILNS1_25lookback_scan_determinismE0ES3_S9_PaNS6_17constant_iteratorIiNS6_11use_defaultESE_EENS6_10device_ptrIaEENSG_IlEEPmS8_NS6_8equal_toIaEEEE10hipError_tPvRmT2_T3_mT4_T5_T6_T7_T8_P12ihipStream_tbENKUlT_T0_E_clISt17integral_constantIbLb0EES13_EEDaSY_SZ_EUlSY_E_NS1_11comp_targetILNS1_3genE10ELNS1_11target_archE1201ELNS1_3gpuE5ELNS1_3repE0EEENS1_30default_config_static_selectorELNS0_4arch9wavefront6targetE1EEEvT1_,"axG",@progbits,_ZN7rocprim17ROCPRIM_400000_NS6detail17trampoline_kernelINS0_14default_configENS1_29reduce_by_key_config_selectorIalN6thrust23THRUST_200600_302600_NS4plusIlEEEEZZNS1_33reduce_by_key_impl_wrapped_configILNS1_25lookback_scan_determinismE0ES3_S9_PaNS6_17constant_iteratorIiNS6_11use_defaultESE_EENS6_10device_ptrIaEENSG_IlEEPmS8_NS6_8equal_toIaEEEE10hipError_tPvRmT2_T3_mT4_T5_T6_T7_T8_P12ihipStream_tbENKUlT_T0_E_clISt17integral_constantIbLb0EES13_EEDaSY_SZ_EUlSY_E_NS1_11comp_targetILNS1_3genE10ELNS1_11target_archE1201ELNS1_3gpuE5ELNS1_3repE0EEENS1_30default_config_static_selectorELNS0_4arch9wavefront6targetE1EEEvT1_,comdat
	.protected	_ZN7rocprim17ROCPRIM_400000_NS6detail17trampoline_kernelINS0_14default_configENS1_29reduce_by_key_config_selectorIalN6thrust23THRUST_200600_302600_NS4plusIlEEEEZZNS1_33reduce_by_key_impl_wrapped_configILNS1_25lookback_scan_determinismE0ES3_S9_PaNS6_17constant_iteratorIiNS6_11use_defaultESE_EENS6_10device_ptrIaEENSG_IlEEPmS8_NS6_8equal_toIaEEEE10hipError_tPvRmT2_T3_mT4_T5_T6_T7_T8_P12ihipStream_tbENKUlT_T0_E_clISt17integral_constantIbLb0EES13_EEDaSY_SZ_EUlSY_E_NS1_11comp_targetILNS1_3genE10ELNS1_11target_archE1201ELNS1_3gpuE5ELNS1_3repE0EEENS1_30default_config_static_selectorELNS0_4arch9wavefront6targetE1EEEvT1_ ; -- Begin function _ZN7rocprim17ROCPRIM_400000_NS6detail17trampoline_kernelINS0_14default_configENS1_29reduce_by_key_config_selectorIalN6thrust23THRUST_200600_302600_NS4plusIlEEEEZZNS1_33reduce_by_key_impl_wrapped_configILNS1_25lookback_scan_determinismE0ES3_S9_PaNS6_17constant_iteratorIiNS6_11use_defaultESE_EENS6_10device_ptrIaEENSG_IlEEPmS8_NS6_8equal_toIaEEEE10hipError_tPvRmT2_T3_mT4_T5_T6_T7_T8_P12ihipStream_tbENKUlT_T0_E_clISt17integral_constantIbLb0EES13_EEDaSY_SZ_EUlSY_E_NS1_11comp_targetILNS1_3genE10ELNS1_11target_archE1201ELNS1_3gpuE5ELNS1_3repE0EEENS1_30default_config_static_selectorELNS0_4arch9wavefront6targetE1EEEvT1_
	.globl	_ZN7rocprim17ROCPRIM_400000_NS6detail17trampoline_kernelINS0_14default_configENS1_29reduce_by_key_config_selectorIalN6thrust23THRUST_200600_302600_NS4plusIlEEEEZZNS1_33reduce_by_key_impl_wrapped_configILNS1_25lookback_scan_determinismE0ES3_S9_PaNS6_17constant_iteratorIiNS6_11use_defaultESE_EENS6_10device_ptrIaEENSG_IlEEPmS8_NS6_8equal_toIaEEEE10hipError_tPvRmT2_T3_mT4_T5_T6_T7_T8_P12ihipStream_tbENKUlT_T0_E_clISt17integral_constantIbLb0EES13_EEDaSY_SZ_EUlSY_E_NS1_11comp_targetILNS1_3genE10ELNS1_11target_archE1201ELNS1_3gpuE5ELNS1_3repE0EEENS1_30default_config_static_selectorELNS0_4arch9wavefront6targetE1EEEvT1_
	.p2align	8
	.type	_ZN7rocprim17ROCPRIM_400000_NS6detail17trampoline_kernelINS0_14default_configENS1_29reduce_by_key_config_selectorIalN6thrust23THRUST_200600_302600_NS4plusIlEEEEZZNS1_33reduce_by_key_impl_wrapped_configILNS1_25lookback_scan_determinismE0ES3_S9_PaNS6_17constant_iteratorIiNS6_11use_defaultESE_EENS6_10device_ptrIaEENSG_IlEEPmS8_NS6_8equal_toIaEEEE10hipError_tPvRmT2_T3_mT4_T5_T6_T7_T8_P12ihipStream_tbENKUlT_T0_E_clISt17integral_constantIbLb0EES13_EEDaSY_SZ_EUlSY_E_NS1_11comp_targetILNS1_3genE10ELNS1_11target_archE1201ELNS1_3gpuE5ELNS1_3repE0EEENS1_30default_config_static_selectorELNS0_4arch9wavefront6targetE1EEEvT1_,@function
_ZN7rocprim17ROCPRIM_400000_NS6detail17trampoline_kernelINS0_14default_configENS1_29reduce_by_key_config_selectorIalN6thrust23THRUST_200600_302600_NS4plusIlEEEEZZNS1_33reduce_by_key_impl_wrapped_configILNS1_25lookback_scan_determinismE0ES3_S9_PaNS6_17constant_iteratorIiNS6_11use_defaultESE_EENS6_10device_ptrIaEENSG_IlEEPmS8_NS6_8equal_toIaEEEE10hipError_tPvRmT2_T3_mT4_T5_T6_T7_T8_P12ihipStream_tbENKUlT_T0_E_clISt17integral_constantIbLb0EES13_EEDaSY_SZ_EUlSY_E_NS1_11comp_targetILNS1_3genE10ELNS1_11target_archE1201ELNS1_3gpuE5ELNS1_3repE0EEENS1_30default_config_static_selectorELNS0_4arch9wavefront6targetE1EEEvT1_: ; @_ZN7rocprim17ROCPRIM_400000_NS6detail17trampoline_kernelINS0_14default_configENS1_29reduce_by_key_config_selectorIalN6thrust23THRUST_200600_302600_NS4plusIlEEEEZZNS1_33reduce_by_key_impl_wrapped_configILNS1_25lookback_scan_determinismE0ES3_S9_PaNS6_17constant_iteratorIiNS6_11use_defaultESE_EENS6_10device_ptrIaEENSG_IlEEPmS8_NS6_8equal_toIaEEEE10hipError_tPvRmT2_T3_mT4_T5_T6_T7_T8_P12ihipStream_tbENKUlT_T0_E_clISt17integral_constantIbLb0EES13_EEDaSY_SZ_EUlSY_E_NS1_11comp_targetILNS1_3genE10ELNS1_11target_archE1201ELNS1_3gpuE5ELNS1_3repE0EEENS1_30default_config_static_selectorELNS0_4arch9wavefront6targetE1EEEvT1_
; %bb.0:
	.section	.rodata,"a",@progbits
	.p2align	6, 0x0
	.amdhsa_kernel _ZN7rocprim17ROCPRIM_400000_NS6detail17trampoline_kernelINS0_14default_configENS1_29reduce_by_key_config_selectorIalN6thrust23THRUST_200600_302600_NS4plusIlEEEEZZNS1_33reduce_by_key_impl_wrapped_configILNS1_25lookback_scan_determinismE0ES3_S9_PaNS6_17constant_iteratorIiNS6_11use_defaultESE_EENS6_10device_ptrIaEENSG_IlEEPmS8_NS6_8equal_toIaEEEE10hipError_tPvRmT2_T3_mT4_T5_T6_T7_T8_P12ihipStream_tbENKUlT_T0_E_clISt17integral_constantIbLb0EES13_EEDaSY_SZ_EUlSY_E_NS1_11comp_targetILNS1_3genE10ELNS1_11target_archE1201ELNS1_3gpuE5ELNS1_3repE0EEENS1_30default_config_static_selectorELNS0_4arch9wavefront6targetE1EEEvT1_
		.amdhsa_group_segment_fixed_size 0
		.amdhsa_private_segment_fixed_size 0
		.amdhsa_kernarg_size 144
		.amdhsa_user_sgpr_count 6
		.amdhsa_user_sgpr_private_segment_buffer 1
		.amdhsa_user_sgpr_dispatch_ptr 0
		.amdhsa_user_sgpr_queue_ptr 0
		.amdhsa_user_sgpr_kernarg_segment_ptr 1
		.amdhsa_user_sgpr_dispatch_id 0
		.amdhsa_user_sgpr_flat_scratch_init 0
		.amdhsa_user_sgpr_kernarg_preload_length 0
		.amdhsa_user_sgpr_kernarg_preload_offset 0
		.amdhsa_user_sgpr_private_segment_size 0
		.amdhsa_uses_dynamic_stack 0
		.amdhsa_system_sgpr_private_segment_wavefront_offset 0
		.amdhsa_system_sgpr_workgroup_id_x 1
		.amdhsa_system_sgpr_workgroup_id_y 0
		.amdhsa_system_sgpr_workgroup_id_z 0
		.amdhsa_system_sgpr_workgroup_info 0
		.amdhsa_system_vgpr_workitem_id 0
		.amdhsa_next_free_vgpr 1
		.amdhsa_next_free_sgpr 0
		.amdhsa_accum_offset 4
		.amdhsa_reserve_vcc 0
		.amdhsa_reserve_flat_scratch 0
		.amdhsa_float_round_mode_32 0
		.amdhsa_float_round_mode_16_64 0
		.amdhsa_float_denorm_mode_32 3
		.amdhsa_float_denorm_mode_16_64 3
		.amdhsa_dx10_clamp 1
		.amdhsa_ieee_mode 1
		.amdhsa_fp16_overflow 0
		.amdhsa_tg_split 0
		.amdhsa_exception_fp_ieee_invalid_op 0
		.amdhsa_exception_fp_denorm_src 0
		.amdhsa_exception_fp_ieee_div_zero 0
		.amdhsa_exception_fp_ieee_overflow 0
		.amdhsa_exception_fp_ieee_underflow 0
		.amdhsa_exception_fp_ieee_inexact 0
		.amdhsa_exception_int_div_zero 0
	.end_amdhsa_kernel
	.section	.text._ZN7rocprim17ROCPRIM_400000_NS6detail17trampoline_kernelINS0_14default_configENS1_29reduce_by_key_config_selectorIalN6thrust23THRUST_200600_302600_NS4plusIlEEEEZZNS1_33reduce_by_key_impl_wrapped_configILNS1_25lookback_scan_determinismE0ES3_S9_PaNS6_17constant_iteratorIiNS6_11use_defaultESE_EENS6_10device_ptrIaEENSG_IlEEPmS8_NS6_8equal_toIaEEEE10hipError_tPvRmT2_T3_mT4_T5_T6_T7_T8_P12ihipStream_tbENKUlT_T0_E_clISt17integral_constantIbLb0EES13_EEDaSY_SZ_EUlSY_E_NS1_11comp_targetILNS1_3genE10ELNS1_11target_archE1201ELNS1_3gpuE5ELNS1_3repE0EEENS1_30default_config_static_selectorELNS0_4arch9wavefront6targetE1EEEvT1_,"axG",@progbits,_ZN7rocprim17ROCPRIM_400000_NS6detail17trampoline_kernelINS0_14default_configENS1_29reduce_by_key_config_selectorIalN6thrust23THRUST_200600_302600_NS4plusIlEEEEZZNS1_33reduce_by_key_impl_wrapped_configILNS1_25lookback_scan_determinismE0ES3_S9_PaNS6_17constant_iteratorIiNS6_11use_defaultESE_EENS6_10device_ptrIaEENSG_IlEEPmS8_NS6_8equal_toIaEEEE10hipError_tPvRmT2_T3_mT4_T5_T6_T7_T8_P12ihipStream_tbENKUlT_T0_E_clISt17integral_constantIbLb0EES13_EEDaSY_SZ_EUlSY_E_NS1_11comp_targetILNS1_3genE10ELNS1_11target_archE1201ELNS1_3gpuE5ELNS1_3repE0EEENS1_30default_config_static_selectorELNS0_4arch9wavefront6targetE1EEEvT1_,comdat
.Lfunc_end677:
	.size	_ZN7rocprim17ROCPRIM_400000_NS6detail17trampoline_kernelINS0_14default_configENS1_29reduce_by_key_config_selectorIalN6thrust23THRUST_200600_302600_NS4plusIlEEEEZZNS1_33reduce_by_key_impl_wrapped_configILNS1_25lookback_scan_determinismE0ES3_S9_PaNS6_17constant_iteratorIiNS6_11use_defaultESE_EENS6_10device_ptrIaEENSG_IlEEPmS8_NS6_8equal_toIaEEEE10hipError_tPvRmT2_T3_mT4_T5_T6_T7_T8_P12ihipStream_tbENKUlT_T0_E_clISt17integral_constantIbLb0EES13_EEDaSY_SZ_EUlSY_E_NS1_11comp_targetILNS1_3genE10ELNS1_11target_archE1201ELNS1_3gpuE5ELNS1_3repE0EEENS1_30default_config_static_selectorELNS0_4arch9wavefront6targetE1EEEvT1_, .Lfunc_end677-_ZN7rocprim17ROCPRIM_400000_NS6detail17trampoline_kernelINS0_14default_configENS1_29reduce_by_key_config_selectorIalN6thrust23THRUST_200600_302600_NS4plusIlEEEEZZNS1_33reduce_by_key_impl_wrapped_configILNS1_25lookback_scan_determinismE0ES3_S9_PaNS6_17constant_iteratorIiNS6_11use_defaultESE_EENS6_10device_ptrIaEENSG_IlEEPmS8_NS6_8equal_toIaEEEE10hipError_tPvRmT2_T3_mT4_T5_T6_T7_T8_P12ihipStream_tbENKUlT_T0_E_clISt17integral_constantIbLb0EES13_EEDaSY_SZ_EUlSY_E_NS1_11comp_targetILNS1_3genE10ELNS1_11target_archE1201ELNS1_3gpuE5ELNS1_3repE0EEENS1_30default_config_static_selectorELNS0_4arch9wavefront6targetE1EEEvT1_
                                        ; -- End function
	.section	.AMDGPU.csdata,"",@progbits
; Kernel info:
; codeLenInByte = 0
; NumSgprs: 4
; NumVgprs: 0
; NumAgprs: 0
; TotalNumVgprs: 0
; ScratchSize: 0
; MemoryBound: 0
; FloatMode: 240
; IeeeMode: 1
; LDSByteSize: 0 bytes/workgroup (compile time only)
; SGPRBlocks: 0
; VGPRBlocks: 0
; NumSGPRsForWavesPerEU: 4
; NumVGPRsForWavesPerEU: 1
; AccumOffset: 4
; Occupancy: 8
; WaveLimiterHint : 0
; COMPUTE_PGM_RSRC2:SCRATCH_EN: 0
; COMPUTE_PGM_RSRC2:USER_SGPR: 6
; COMPUTE_PGM_RSRC2:TRAP_HANDLER: 0
; COMPUTE_PGM_RSRC2:TGID_X_EN: 1
; COMPUTE_PGM_RSRC2:TGID_Y_EN: 0
; COMPUTE_PGM_RSRC2:TGID_Z_EN: 0
; COMPUTE_PGM_RSRC2:TIDIG_COMP_CNT: 0
; COMPUTE_PGM_RSRC3_GFX90A:ACCUM_OFFSET: 0
; COMPUTE_PGM_RSRC3_GFX90A:TG_SPLIT: 0
	.section	.text._ZN7rocprim17ROCPRIM_400000_NS6detail17trampoline_kernelINS0_14default_configENS1_29reduce_by_key_config_selectorIalN6thrust23THRUST_200600_302600_NS4plusIlEEEEZZNS1_33reduce_by_key_impl_wrapped_configILNS1_25lookback_scan_determinismE0ES3_S9_PaNS6_17constant_iteratorIiNS6_11use_defaultESE_EENS6_10device_ptrIaEENSG_IlEEPmS8_NS6_8equal_toIaEEEE10hipError_tPvRmT2_T3_mT4_T5_T6_T7_T8_P12ihipStream_tbENKUlT_T0_E_clISt17integral_constantIbLb0EES13_EEDaSY_SZ_EUlSY_E_NS1_11comp_targetILNS1_3genE10ELNS1_11target_archE1200ELNS1_3gpuE4ELNS1_3repE0EEENS1_30default_config_static_selectorELNS0_4arch9wavefront6targetE1EEEvT1_,"axG",@progbits,_ZN7rocprim17ROCPRIM_400000_NS6detail17trampoline_kernelINS0_14default_configENS1_29reduce_by_key_config_selectorIalN6thrust23THRUST_200600_302600_NS4plusIlEEEEZZNS1_33reduce_by_key_impl_wrapped_configILNS1_25lookback_scan_determinismE0ES3_S9_PaNS6_17constant_iteratorIiNS6_11use_defaultESE_EENS6_10device_ptrIaEENSG_IlEEPmS8_NS6_8equal_toIaEEEE10hipError_tPvRmT2_T3_mT4_T5_T6_T7_T8_P12ihipStream_tbENKUlT_T0_E_clISt17integral_constantIbLb0EES13_EEDaSY_SZ_EUlSY_E_NS1_11comp_targetILNS1_3genE10ELNS1_11target_archE1200ELNS1_3gpuE4ELNS1_3repE0EEENS1_30default_config_static_selectorELNS0_4arch9wavefront6targetE1EEEvT1_,comdat
	.protected	_ZN7rocprim17ROCPRIM_400000_NS6detail17trampoline_kernelINS0_14default_configENS1_29reduce_by_key_config_selectorIalN6thrust23THRUST_200600_302600_NS4plusIlEEEEZZNS1_33reduce_by_key_impl_wrapped_configILNS1_25lookback_scan_determinismE0ES3_S9_PaNS6_17constant_iteratorIiNS6_11use_defaultESE_EENS6_10device_ptrIaEENSG_IlEEPmS8_NS6_8equal_toIaEEEE10hipError_tPvRmT2_T3_mT4_T5_T6_T7_T8_P12ihipStream_tbENKUlT_T0_E_clISt17integral_constantIbLb0EES13_EEDaSY_SZ_EUlSY_E_NS1_11comp_targetILNS1_3genE10ELNS1_11target_archE1200ELNS1_3gpuE4ELNS1_3repE0EEENS1_30default_config_static_selectorELNS0_4arch9wavefront6targetE1EEEvT1_ ; -- Begin function _ZN7rocprim17ROCPRIM_400000_NS6detail17trampoline_kernelINS0_14default_configENS1_29reduce_by_key_config_selectorIalN6thrust23THRUST_200600_302600_NS4plusIlEEEEZZNS1_33reduce_by_key_impl_wrapped_configILNS1_25lookback_scan_determinismE0ES3_S9_PaNS6_17constant_iteratorIiNS6_11use_defaultESE_EENS6_10device_ptrIaEENSG_IlEEPmS8_NS6_8equal_toIaEEEE10hipError_tPvRmT2_T3_mT4_T5_T6_T7_T8_P12ihipStream_tbENKUlT_T0_E_clISt17integral_constantIbLb0EES13_EEDaSY_SZ_EUlSY_E_NS1_11comp_targetILNS1_3genE10ELNS1_11target_archE1200ELNS1_3gpuE4ELNS1_3repE0EEENS1_30default_config_static_selectorELNS0_4arch9wavefront6targetE1EEEvT1_
	.globl	_ZN7rocprim17ROCPRIM_400000_NS6detail17trampoline_kernelINS0_14default_configENS1_29reduce_by_key_config_selectorIalN6thrust23THRUST_200600_302600_NS4plusIlEEEEZZNS1_33reduce_by_key_impl_wrapped_configILNS1_25lookback_scan_determinismE0ES3_S9_PaNS6_17constant_iteratorIiNS6_11use_defaultESE_EENS6_10device_ptrIaEENSG_IlEEPmS8_NS6_8equal_toIaEEEE10hipError_tPvRmT2_T3_mT4_T5_T6_T7_T8_P12ihipStream_tbENKUlT_T0_E_clISt17integral_constantIbLb0EES13_EEDaSY_SZ_EUlSY_E_NS1_11comp_targetILNS1_3genE10ELNS1_11target_archE1200ELNS1_3gpuE4ELNS1_3repE0EEENS1_30default_config_static_selectorELNS0_4arch9wavefront6targetE1EEEvT1_
	.p2align	8
	.type	_ZN7rocprim17ROCPRIM_400000_NS6detail17trampoline_kernelINS0_14default_configENS1_29reduce_by_key_config_selectorIalN6thrust23THRUST_200600_302600_NS4plusIlEEEEZZNS1_33reduce_by_key_impl_wrapped_configILNS1_25lookback_scan_determinismE0ES3_S9_PaNS6_17constant_iteratorIiNS6_11use_defaultESE_EENS6_10device_ptrIaEENSG_IlEEPmS8_NS6_8equal_toIaEEEE10hipError_tPvRmT2_T3_mT4_T5_T6_T7_T8_P12ihipStream_tbENKUlT_T0_E_clISt17integral_constantIbLb0EES13_EEDaSY_SZ_EUlSY_E_NS1_11comp_targetILNS1_3genE10ELNS1_11target_archE1200ELNS1_3gpuE4ELNS1_3repE0EEENS1_30default_config_static_selectorELNS0_4arch9wavefront6targetE1EEEvT1_,@function
_ZN7rocprim17ROCPRIM_400000_NS6detail17trampoline_kernelINS0_14default_configENS1_29reduce_by_key_config_selectorIalN6thrust23THRUST_200600_302600_NS4plusIlEEEEZZNS1_33reduce_by_key_impl_wrapped_configILNS1_25lookback_scan_determinismE0ES3_S9_PaNS6_17constant_iteratorIiNS6_11use_defaultESE_EENS6_10device_ptrIaEENSG_IlEEPmS8_NS6_8equal_toIaEEEE10hipError_tPvRmT2_T3_mT4_T5_T6_T7_T8_P12ihipStream_tbENKUlT_T0_E_clISt17integral_constantIbLb0EES13_EEDaSY_SZ_EUlSY_E_NS1_11comp_targetILNS1_3genE10ELNS1_11target_archE1200ELNS1_3gpuE4ELNS1_3repE0EEENS1_30default_config_static_selectorELNS0_4arch9wavefront6targetE1EEEvT1_: ; @_ZN7rocprim17ROCPRIM_400000_NS6detail17trampoline_kernelINS0_14default_configENS1_29reduce_by_key_config_selectorIalN6thrust23THRUST_200600_302600_NS4plusIlEEEEZZNS1_33reduce_by_key_impl_wrapped_configILNS1_25lookback_scan_determinismE0ES3_S9_PaNS6_17constant_iteratorIiNS6_11use_defaultESE_EENS6_10device_ptrIaEENSG_IlEEPmS8_NS6_8equal_toIaEEEE10hipError_tPvRmT2_T3_mT4_T5_T6_T7_T8_P12ihipStream_tbENKUlT_T0_E_clISt17integral_constantIbLb0EES13_EEDaSY_SZ_EUlSY_E_NS1_11comp_targetILNS1_3genE10ELNS1_11target_archE1200ELNS1_3gpuE4ELNS1_3repE0EEENS1_30default_config_static_selectorELNS0_4arch9wavefront6targetE1EEEvT1_
; %bb.0:
	.section	.rodata,"a",@progbits
	.p2align	6, 0x0
	.amdhsa_kernel _ZN7rocprim17ROCPRIM_400000_NS6detail17trampoline_kernelINS0_14default_configENS1_29reduce_by_key_config_selectorIalN6thrust23THRUST_200600_302600_NS4plusIlEEEEZZNS1_33reduce_by_key_impl_wrapped_configILNS1_25lookback_scan_determinismE0ES3_S9_PaNS6_17constant_iteratorIiNS6_11use_defaultESE_EENS6_10device_ptrIaEENSG_IlEEPmS8_NS6_8equal_toIaEEEE10hipError_tPvRmT2_T3_mT4_T5_T6_T7_T8_P12ihipStream_tbENKUlT_T0_E_clISt17integral_constantIbLb0EES13_EEDaSY_SZ_EUlSY_E_NS1_11comp_targetILNS1_3genE10ELNS1_11target_archE1200ELNS1_3gpuE4ELNS1_3repE0EEENS1_30default_config_static_selectorELNS0_4arch9wavefront6targetE1EEEvT1_
		.amdhsa_group_segment_fixed_size 0
		.amdhsa_private_segment_fixed_size 0
		.amdhsa_kernarg_size 144
		.amdhsa_user_sgpr_count 6
		.amdhsa_user_sgpr_private_segment_buffer 1
		.amdhsa_user_sgpr_dispatch_ptr 0
		.amdhsa_user_sgpr_queue_ptr 0
		.amdhsa_user_sgpr_kernarg_segment_ptr 1
		.amdhsa_user_sgpr_dispatch_id 0
		.amdhsa_user_sgpr_flat_scratch_init 0
		.amdhsa_user_sgpr_kernarg_preload_length 0
		.amdhsa_user_sgpr_kernarg_preload_offset 0
		.amdhsa_user_sgpr_private_segment_size 0
		.amdhsa_uses_dynamic_stack 0
		.amdhsa_system_sgpr_private_segment_wavefront_offset 0
		.amdhsa_system_sgpr_workgroup_id_x 1
		.amdhsa_system_sgpr_workgroup_id_y 0
		.amdhsa_system_sgpr_workgroup_id_z 0
		.amdhsa_system_sgpr_workgroup_info 0
		.amdhsa_system_vgpr_workitem_id 0
		.amdhsa_next_free_vgpr 1
		.amdhsa_next_free_sgpr 0
		.amdhsa_accum_offset 4
		.amdhsa_reserve_vcc 0
		.amdhsa_reserve_flat_scratch 0
		.amdhsa_float_round_mode_32 0
		.amdhsa_float_round_mode_16_64 0
		.amdhsa_float_denorm_mode_32 3
		.amdhsa_float_denorm_mode_16_64 3
		.amdhsa_dx10_clamp 1
		.amdhsa_ieee_mode 1
		.amdhsa_fp16_overflow 0
		.amdhsa_tg_split 0
		.amdhsa_exception_fp_ieee_invalid_op 0
		.amdhsa_exception_fp_denorm_src 0
		.amdhsa_exception_fp_ieee_div_zero 0
		.amdhsa_exception_fp_ieee_overflow 0
		.amdhsa_exception_fp_ieee_underflow 0
		.amdhsa_exception_fp_ieee_inexact 0
		.amdhsa_exception_int_div_zero 0
	.end_amdhsa_kernel
	.section	.text._ZN7rocprim17ROCPRIM_400000_NS6detail17trampoline_kernelINS0_14default_configENS1_29reduce_by_key_config_selectorIalN6thrust23THRUST_200600_302600_NS4plusIlEEEEZZNS1_33reduce_by_key_impl_wrapped_configILNS1_25lookback_scan_determinismE0ES3_S9_PaNS6_17constant_iteratorIiNS6_11use_defaultESE_EENS6_10device_ptrIaEENSG_IlEEPmS8_NS6_8equal_toIaEEEE10hipError_tPvRmT2_T3_mT4_T5_T6_T7_T8_P12ihipStream_tbENKUlT_T0_E_clISt17integral_constantIbLb0EES13_EEDaSY_SZ_EUlSY_E_NS1_11comp_targetILNS1_3genE10ELNS1_11target_archE1200ELNS1_3gpuE4ELNS1_3repE0EEENS1_30default_config_static_selectorELNS0_4arch9wavefront6targetE1EEEvT1_,"axG",@progbits,_ZN7rocprim17ROCPRIM_400000_NS6detail17trampoline_kernelINS0_14default_configENS1_29reduce_by_key_config_selectorIalN6thrust23THRUST_200600_302600_NS4plusIlEEEEZZNS1_33reduce_by_key_impl_wrapped_configILNS1_25lookback_scan_determinismE0ES3_S9_PaNS6_17constant_iteratorIiNS6_11use_defaultESE_EENS6_10device_ptrIaEENSG_IlEEPmS8_NS6_8equal_toIaEEEE10hipError_tPvRmT2_T3_mT4_T5_T6_T7_T8_P12ihipStream_tbENKUlT_T0_E_clISt17integral_constantIbLb0EES13_EEDaSY_SZ_EUlSY_E_NS1_11comp_targetILNS1_3genE10ELNS1_11target_archE1200ELNS1_3gpuE4ELNS1_3repE0EEENS1_30default_config_static_selectorELNS0_4arch9wavefront6targetE1EEEvT1_,comdat
.Lfunc_end678:
	.size	_ZN7rocprim17ROCPRIM_400000_NS6detail17trampoline_kernelINS0_14default_configENS1_29reduce_by_key_config_selectorIalN6thrust23THRUST_200600_302600_NS4plusIlEEEEZZNS1_33reduce_by_key_impl_wrapped_configILNS1_25lookback_scan_determinismE0ES3_S9_PaNS6_17constant_iteratorIiNS6_11use_defaultESE_EENS6_10device_ptrIaEENSG_IlEEPmS8_NS6_8equal_toIaEEEE10hipError_tPvRmT2_T3_mT4_T5_T6_T7_T8_P12ihipStream_tbENKUlT_T0_E_clISt17integral_constantIbLb0EES13_EEDaSY_SZ_EUlSY_E_NS1_11comp_targetILNS1_3genE10ELNS1_11target_archE1200ELNS1_3gpuE4ELNS1_3repE0EEENS1_30default_config_static_selectorELNS0_4arch9wavefront6targetE1EEEvT1_, .Lfunc_end678-_ZN7rocprim17ROCPRIM_400000_NS6detail17trampoline_kernelINS0_14default_configENS1_29reduce_by_key_config_selectorIalN6thrust23THRUST_200600_302600_NS4plusIlEEEEZZNS1_33reduce_by_key_impl_wrapped_configILNS1_25lookback_scan_determinismE0ES3_S9_PaNS6_17constant_iteratorIiNS6_11use_defaultESE_EENS6_10device_ptrIaEENSG_IlEEPmS8_NS6_8equal_toIaEEEE10hipError_tPvRmT2_T3_mT4_T5_T6_T7_T8_P12ihipStream_tbENKUlT_T0_E_clISt17integral_constantIbLb0EES13_EEDaSY_SZ_EUlSY_E_NS1_11comp_targetILNS1_3genE10ELNS1_11target_archE1200ELNS1_3gpuE4ELNS1_3repE0EEENS1_30default_config_static_selectorELNS0_4arch9wavefront6targetE1EEEvT1_
                                        ; -- End function
	.section	.AMDGPU.csdata,"",@progbits
; Kernel info:
; codeLenInByte = 0
; NumSgprs: 4
; NumVgprs: 0
; NumAgprs: 0
; TotalNumVgprs: 0
; ScratchSize: 0
; MemoryBound: 0
; FloatMode: 240
; IeeeMode: 1
; LDSByteSize: 0 bytes/workgroup (compile time only)
; SGPRBlocks: 0
; VGPRBlocks: 0
; NumSGPRsForWavesPerEU: 4
; NumVGPRsForWavesPerEU: 1
; AccumOffset: 4
; Occupancy: 8
; WaveLimiterHint : 0
; COMPUTE_PGM_RSRC2:SCRATCH_EN: 0
; COMPUTE_PGM_RSRC2:USER_SGPR: 6
; COMPUTE_PGM_RSRC2:TRAP_HANDLER: 0
; COMPUTE_PGM_RSRC2:TGID_X_EN: 1
; COMPUTE_PGM_RSRC2:TGID_Y_EN: 0
; COMPUTE_PGM_RSRC2:TGID_Z_EN: 0
; COMPUTE_PGM_RSRC2:TIDIG_COMP_CNT: 0
; COMPUTE_PGM_RSRC3_GFX90A:ACCUM_OFFSET: 0
; COMPUTE_PGM_RSRC3_GFX90A:TG_SPLIT: 0
	.section	.text._ZN7rocprim17ROCPRIM_400000_NS6detail17trampoline_kernelINS0_14default_configENS1_29reduce_by_key_config_selectorIalN6thrust23THRUST_200600_302600_NS4plusIlEEEEZZNS1_33reduce_by_key_impl_wrapped_configILNS1_25lookback_scan_determinismE0ES3_S9_PaNS6_17constant_iteratorIiNS6_11use_defaultESE_EENS6_10device_ptrIaEENSG_IlEEPmS8_NS6_8equal_toIaEEEE10hipError_tPvRmT2_T3_mT4_T5_T6_T7_T8_P12ihipStream_tbENKUlT_T0_E_clISt17integral_constantIbLb0EES13_EEDaSY_SZ_EUlSY_E_NS1_11comp_targetILNS1_3genE9ELNS1_11target_archE1100ELNS1_3gpuE3ELNS1_3repE0EEENS1_30default_config_static_selectorELNS0_4arch9wavefront6targetE1EEEvT1_,"axG",@progbits,_ZN7rocprim17ROCPRIM_400000_NS6detail17trampoline_kernelINS0_14default_configENS1_29reduce_by_key_config_selectorIalN6thrust23THRUST_200600_302600_NS4plusIlEEEEZZNS1_33reduce_by_key_impl_wrapped_configILNS1_25lookback_scan_determinismE0ES3_S9_PaNS6_17constant_iteratorIiNS6_11use_defaultESE_EENS6_10device_ptrIaEENSG_IlEEPmS8_NS6_8equal_toIaEEEE10hipError_tPvRmT2_T3_mT4_T5_T6_T7_T8_P12ihipStream_tbENKUlT_T0_E_clISt17integral_constantIbLb0EES13_EEDaSY_SZ_EUlSY_E_NS1_11comp_targetILNS1_3genE9ELNS1_11target_archE1100ELNS1_3gpuE3ELNS1_3repE0EEENS1_30default_config_static_selectorELNS0_4arch9wavefront6targetE1EEEvT1_,comdat
	.protected	_ZN7rocprim17ROCPRIM_400000_NS6detail17trampoline_kernelINS0_14default_configENS1_29reduce_by_key_config_selectorIalN6thrust23THRUST_200600_302600_NS4plusIlEEEEZZNS1_33reduce_by_key_impl_wrapped_configILNS1_25lookback_scan_determinismE0ES3_S9_PaNS6_17constant_iteratorIiNS6_11use_defaultESE_EENS6_10device_ptrIaEENSG_IlEEPmS8_NS6_8equal_toIaEEEE10hipError_tPvRmT2_T3_mT4_T5_T6_T7_T8_P12ihipStream_tbENKUlT_T0_E_clISt17integral_constantIbLb0EES13_EEDaSY_SZ_EUlSY_E_NS1_11comp_targetILNS1_3genE9ELNS1_11target_archE1100ELNS1_3gpuE3ELNS1_3repE0EEENS1_30default_config_static_selectorELNS0_4arch9wavefront6targetE1EEEvT1_ ; -- Begin function _ZN7rocprim17ROCPRIM_400000_NS6detail17trampoline_kernelINS0_14default_configENS1_29reduce_by_key_config_selectorIalN6thrust23THRUST_200600_302600_NS4plusIlEEEEZZNS1_33reduce_by_key_impl_wrapped_configILNS1_25lookback_scan_determinismE0ES3_S9_PaNS6_17constant_iteratorIiNS6_11use_defaultESE_EENS6_10device_ptrIaEENSG_IlEEPmS8_NS6_8equal_toIaEEEE10hipError_tPvRmT2_T3_mT4_T5_T6_T7_T8_P12ihipStream_tbENKUlT_T0_E_clISt17integral_constantIbLb0EES13_EEDaSY_SZ_EUlSY_E_NS1_11comp_targetILNS1_3genE9ELNS1_11target_archE1100ELNS1_3gpuE3ELNS1_3repE0EEENS1_30default_config_static_selectorELNS0_4arch9wavefront6targetE1EEEvT1_
	.globl	_ZN7rocprim17ROCPRIM_400000_NS6detail17trampoline_kernelINS0_14default_configENS1_29reduce_by_key_config_selectorIalN6thrust23THRUST_200600_302600_NS4plusIlEEEEZZNS1_33reduce_by_key_impl_wrapped_configILNS1_25lookback_scan_determinismE0ES3_S9_PaNS6_17constant_iteratorIiNS6_11use_defaultESE_EENS6_10device_ptrIaEENSG_IlEEPmS8_NS6_8equal_toIaEEEE10hipError_tPvRmT2_T3_mT4_T5_T6_T7_T8_P12ihipStream_tbENKUlT_T0_E_clISt17integral_constantIbLb0EES13_EEDaSY_SZ_EUlSY_E_NS1_11comp_targetILNS1_3genE9ELNS1_11target_archE1100ELNS1_3gpuE3ELNS1_3repE0EEENS1_30default_config_static_selectorELNS0_4arch9wavefront6targetE1EEEvT1_
	.p2align	8
	.type	_ZN7rocprim17ROCPRIM_400000_NS6detail17trampoline_kernelINS0_14default_configENS1_29reduce_by_key_config_selectorIalN6thrust23THRUST_200600_302600_NS4plusIlEEEEZZNS1_33reduce_by_key_impl_wrapped_configILNS1_25lookback_scan_determinismE0ES3_S9_PaNS6_17constant_iteratorIiNS6_11use_defaultESE_EENS6_10device_ptrIaEENSG_IlEEPmS8_NS6_8equal_toIaEEEE10hipError_tPvRmT2_T3_mT4_T5_T6_T7_T8_P12ihipStream_tbENKUlT_T0_E_clISt17integral_constantIbLb0EES13_EEDaSY_SZ_EUlSY_E_NS1_11comp_targetILNS1_3genE9ELNS1_11target_archE1100ELNS1_3gpuE3ELNS1_3repE0EEENS1_30default_config_static_selectorELNS0_4arch9wavefront6targetE1EEEvT1_,@function
_ZN7rocprim17ROCPRIM_400000_NS6detail17trampoline_kernelINS0_14default_configENS1_29reduce_by_key_config_selectorIalN6thrust23THRUST_200600_302600_NS4plusIlEEEEZZNS1_33reduce_by_key_impl_wrapped_configILNS1_25lookback_scan_determinismE0ES3_S9_PaNS6_17constant_iteratorIiNS6_11use_defaultESE_EENS6_10device_ptrIaEENSG_IlEEPmS8_NS6_8equal_toIaEEEE10hipError_tPvRmT2_T3_mT4_T5_T6_T7_T8_P12ihipStream_tbENKUlT_T0_E_clISt17integral_constantIbLb0EES13_EEDaSY_SZ_EUlSY_E_NS1_11comp_targetILNS1_3genE9ELNS1_11target_archE1100ELNS1_3gpuE3ELNS1_3repE0EEENS1_30default_config_static_selectorELNS0_4arch9wavefront6targetE1EEEvT1_: ; @_ZN7rocprim17ROCPRIM_400000_NS6detail17trampoline_kernelINS0_14default_configENS1_29reduce_by_key_config_selectorIalN6thrust23THRUST_200600_302600_NS4plusIlEEEEZZNS1_33reduce_by_key_impl_wrapped_configILNS1_25lookback_scan_determinismE0ES3_S9_PaNS6_17constant_iteratorIiNS6_11use_defaultESE_EENS6_10device_ptrIaEENSG_IlEEPmS8_NS6_8equal_toIaEEEE10hipError_tPvRmT2_T3_mT4_T5_T6_T7_T8_P12ihipStream_tbENKUlT_T0_E_clISt17integral_constantIbLb0EES13_EEDaSY_SZ_EUlSY_E_NS1_11comp_targetILNS1_3genE9ELNS1_11target_archE1100ELNS1_3gpuE3ELNS1_3repE0EEENS1_30default_config_static_selectorELNS0_4arch9wavefront6targetE1EEEvT1_
; %bb.0:
	.section	.rodata,"a",@progbits
	.p2align	6, 0x0
	.amdhsa_kernel _ZN7rocprim17ROCPRIM_400000_NS6detail17trampoline_kernelINS0_14default_configENS1_29reduce_by_key_config_selectorIalN6thrust23THRUST_200600_302600_NS4plusIlEEEEZZNS1_33reduce_by_key_impl_wrapped_configILNS1_25lookback_scan_determinismE0ES3_S9_PaNS6_17constant_iteratorIiNS6_11use_defaultESE_EENS6_10device_ptrIaEENSG_IlEEPmS8_NS6_8equal_toIaEEEE10hipError_tPvRmT2_T3_mT4_T5_T6_T7_T8_P12ihipStream_tbENKUlT_T0_E_clISt17integral_constantIbLb0EES13_EEDaSY_SZ_EUlSY_E_NS1_11comp_targetILNS1_3genE9ELNS1_11target_archE1100ELNS1_3gpuE3ELNS1_3repE0EEENS1_30default_config_static_selectorELNS0_4arch9wavefront6targetE1EEEvT1_
		.amdhsa_group_segment_fixed_size 0
		.amdhsa_private_segment_fixed_size 0
		.amdhsa_kernarg_size 144
		.amdhsa_user_sgpr_count 6
		.amdhsa_user_sgpr_private_segment_buffer 1
		.amdhsa_user_sgpr_dispatch_ptr 0
		.amdhsa_user_sgpr_queue_ptr 0
		.amdhsa_user_sgpr_kernarg_segment_ptr 1
		.amdhsa_user_sgpr_dispatch_id 0
		.amdhsa_user_sgpr_flat_scratch_init 0
		.amdhsa_user_sgpr_kernarg_preload_length 0
		.amdhsa_user_sgpr_kernarg_preload_offset 0
		.amdhsa_user_sgpr_private_segment_size 0
		.amdhsa_uses_dynamic_stack 0
		.amdhsa_system_sgpr_private_segment_wavefront_offset 0
		.amdhsa_system_sgpr_workgroup_id_x 1
		.amdhsa_system_sgpr_workgroup_id_y 0
		.amdhsa_system_sgpr_workgroup_id_z 0
		.amdhsa_system_sgpr_workgroup_info 0
		.amdhsa_system_vgpr_workitem_id 0
		.amdhsa_next_free_vgpr 1
		.amdhsa_next_free_sgpr 0
		.amdhsa_accum_offset 4
		.amdhsa_reserve_vcc 0
		.amdhsa_reserve_flat_scratch 0
		.amdhsa_float_round_mode_32 0
		.amdhsa_float_round_mode_16_64 0
		.amdhsa_float_denorm_mode_32 3
		.amdhsa_float_denorm_mode_16_64 3
		.amdhsa_dx10_clamp 1
		.amdhsa_ieee_mode 1
		.amdhsa_fp16_overflow 0
		.amdhsa_tg_split 0
		.amdhsa_exception_fp_ieee_invalid_op 0
		.amdhsa_exception_fp_denorm_src 0
		.amdhsa_exception_fp_ieee_div_zero 0
		.amdhsa_exception_fp_ieee_overflow 0
		.amdhsa_exception_fp_ieee_underflow 0
		.amdhsa_exception_fp_ieee_inexact 0
		.amdhsa_exception_int_div_zero 0
	.end_amdhsa_kernel
	.section	.text._ZN7rocprim17ROCPRIM_400000_NS6detail17trampoline_kernelINS0_14default_configENS1_29reduce_by_key_config_selectorIalN6thrust23THRUST_200600_302600_NS4plusIlEEEEZZNS1_33reduce_by_key_impl_wrapped_configILNS1_25lookback_scan_determinismE0ES3_S9_PaNS6_17constant_iteratorIiNS6_11use_defaultESE_EENS6_10device_ptrIaEENSG_IlEEPmS8_NS6_8equal_toIaEEEE10hipError_tPvRmT2_T3_mT4_T5_T6_T7_T8_P12ihipStream_tbENKUlT_T0_E_clISt17integral_constantIbLb0EES13_EEDaSY_SZ_EUlSY_E_NS1_11comp_targetILNS1_3genE9ELNS1_11target_archE1100ELNS1_3gpuE3ELNS1_3repE0EEENS1_30default_config_static_selectorELNS0_4arch9wavefront6targetE1EEEvT1_,"axG",@progbits,_ZN7rocprim17ROCPRIM_400000_NS6detail17trampoline_kernelINS0_14default_configENS1_29reduce_by_key_config_selectorIalN6thrust23THRUST_200600_302600_NS4plusIlEEEEZZNS1_33reduce_by_key_impl_wrapped_configILNS1_25lookback_scan_determinismE0ES3_S9_PaNS6_17constant_iteratorIiNS6_11use_defaultESE_EENS6_10device_ptrIaEENSG_IlEEPmS8_NS6_8equal_toIaEEEE10hipError_tPvRmT2_T3_mT4_T5_T6_T7_T8_P12ihipStream_tbENKUlT_T0_E_clISt17integral_constantIbLb0EES13_EEDaSY_SZ_EUlSY_E_NS1_11comp_targetILNS1_3genE9ELNS1_11target_archE1100ELNS1_3gpuE3ELNS1_3repE0EEENS1_30default_config_static_selectorELNS0_4arch9wavefront6targetE1EEEvT1_,comdat
.Lfunc_end679:
	.size	_ZN7rocprim17ROCPRIM_400000_NS6detail17trampoline_kernelINS0_14default_configENS1_29reduce_by_key_config_selectorIalN6thrust23THRUST_200600_302600_NS4plusIlEEEEZZNS1_33reduce_by_key_impl_wrapped_configILNS1_25lookback_scan_determinismE0ES3_S9_PaNS6_17constant_iteratorIiNS6_11use_defaultESE_EENS6_10device_ptrIaEENSG_IlEEPmS8_NS6_8equal_toIaEEEE10hipError_tPvRmT2_T3_mT4_T5_T6_T7_T8_P12ihipStream_tbENKUlT_T0_E_clISt17integral_constantIbLb0EES13_EEDaSY_SZ_EUlSY_E_NS1_11comp_targetILNS1_3genE9ELNS1_11target_archE1100ELNS1_3gpuE3ELNS1_3repE0EEENS1_30default_config_static_selectorELNS0_4arch9wavefront6targetE1EEEvT1_, .Lfunc_end679-_ZN7rocprim17ROCPRIM_400000_NS6detail17trampoline_kernelINS0_14default_configENS1_29reduce_by_key_config_selectorIalN6thrust23THRUST_200600_302600_NS4plusIlEEEEZZNS1_33reduce_by_key_impl_wrapped_configILNS1_25lookback_scan_determinismE0ES3_S9_PaNS6_17constant_iteratorIiNS6_11use_defaultESE_EENS6_10device_ptrIaEENSG_IlEEPmS8_NS6_8equal_toIaEEEE10hipError_tPvRmT2_T3_mT4_T5_T6_T7_T8_P12ihipStream_tbENKUlT_T0_E_clISt17integral_constantIbLb0EES13_EEDaSY_SZ_EUlSY_E_NS1_11comp_targetILNS1_3genE9ELNS1_11target_archE1100ELNS1_3gpuE3ELNS1_3repE0EEENS1_30default_config_static_selectorELNS0_4arch9wavefront6targetE1EEEvT1_
                                        ; -- End function
	.section	.AMDGPU.csdata,"",@progbits
; Kernel info:
; codeLenInByte = 0
; NumSgprs: 4
; NumVgprs: 0
; NumAgprs: 0
; TotalNumVgprs: 0
; ScratchSize: 0
; MemoryBound: 0
; FloatMode: 240
; IeeeMode: 1
; LDSByteSize: 0 bytes/workgroup (compile time only)
; SGPRBlocks: 0
; VGPRBlocks: 0
; NumSGPRsForWavesPerEU: 4
; NumVGPRsForWavesPerEU: 1
; AccumOffset: 4
; Occupancy: 8
; WaveLimiterHint : 0
; COMPUTE_PGM_RSRC2:SCRATCH_EN: 0
; COMPUTE_PGM_RSRC2:USER_SGPR: 6
; COMPUTE_PGM_RSRC2:TRAP_HANDLER: 0
; COMPUTE_PGM_RSRC2:TGID_X_EN: 1
; COMPUTE_PGM_RSRC2:TGID_Y_EN: 0
; COMPUTE_PGM_RSRC2:TGID_Z_EN: 0
; COMPUTE_PGM_RSRC2:TIDIG_COMP_CNT: 0
; COMPUTE_PGM_RSRC3_GFX90A:ACCUM_OFFSET: 0
; COMPUTE_PGM_RSRC3_GFX90A:TG_SPLIT: 0
	.section	.text._ZN7rocprim17ROCPRIM_400000_NS6detail17trampoline_kernelINS0_14default_configENS1_29reduce_by_key_config_selectorIalN6thrust23THRUST_200600_302600_NS4plusIlEEEEZZNS1_33reduce_by_key_impl_wrapped_configILNS1_25lookback_scan_determinismE0ES3_S9_PaNS6_17constant_iteratorIiNS6_11use_defaultESE_EENS6_10device_ptrIaEENSG_IlEEPmS8_NS6_8equal_toIaEEEE10hipError_tPvRmT2_T3_mT4_T5_T6_T7_T8_P12ihipStream_tbENKUlT_T0_E_clISt17integral_constantIbLb0EES13_EEDaSY_SZ_EUlSY_E_NS1_11comp_targetILNS1_3genE8ELNS1_11target_archE1030ELNS1_3gpuE2ELNS1_3repE0EEENS1_30default_config_static_selectorELNS0_4arch9wavefront6targetE1EEEvT1_,"axG",@progbits,_ZN7rocprim17ROCPRIM_400000_NS6detail17trampoline_kernelINS0_14default_configENS1_29reduce_by_key_config_selectorIalN6thrust23THRUST_200600_302600_NS4plusIlEEEEZZNS1_33reduce_by_key_impl_wrapped_configILNS1_25lookback_scan_determinismE0ES3_S9_PaNS6_17constant_iteratorIiNS6_11use_defaultESE_EENS6_10device_ptrIaEENSG_IlEEPmS8_NS6_8equal_toIaEEEE10hipError_tPvRmT2_T3_mT4_T5_T6_T7_T8_P12ihipStream_tbENKUlT_T0_E_clISt17integral_constantIbLb0EES13_EEDaSY_SZ_EUlSY_E_NS1_11comp_targetILNS1_3genE8ELNS1_11target_archE1030ELNS1_3gpuE2ELNS1_3repE0EEENS1_30default_config_static_selectorELNS0_4arch9wavefront6targetE1EEEvT1_,comdat
	.protected	_ZN7rocprim17ROCPRIM_400000_NS6detail17trampoline_kernelINS0_14default_configENS1_29reduce_by_key_config_selectorIalN6thrust23THRUST_200600_302600_NS4plusIlEEEEZZNS1_33reduce_by_key_impl_wrapped_configILNS1_25lookback_scan_determinismE0ES3_S9_PaNS6_17constant_iteratorIiNS6_11use_defaultESE_EENS6_10device_ptrIaEENSG_IlEEPmS8_NS6_8equal_toIaEEEE10hipError_tPvRmT2_T3_mT4_T5_T6_T7_T8_P12ihipStream_tbENKUlT_T0_E_clISt17integral_constantIbLb0EES13_EEDaSY_SZ_EUlSY_E_NS1_11comp_targetILNS1_3genE8ELNS1_11target_archE1030ELNS1_3gpuE2ELNS1_3repE0EEENS1_30default_config_static_selectorELNS0_4arch9wavefront6targetE1EEEvT1_ ; -- Begin function _ZN7rocprim17ROCPRIM_400000_NS6detail17trampoline_kernelINS0_14default_configENS1_29reduce_by_key_config_selectorIalN6thrust23THRUST_200600_302600_NS4plusIlEEEEZZNS1_33reduce_by_key_impl_wrapped_configILNS1_25lookback_scan_determinismE0ES3_S9_PaNS6_17constant_iteratorIiNS6_11use_defaultESE_EENS6_10device_ptrIaEENSG_IlEEPmS8_NS6_8equal_toIaEEEE10hipError_tPvRmT2_T3_mT4_T5_T6_T7_T8_P12ihipStream_tbENKUlT_T0_E_clISt17integral_constantIbLb0EES13_EEDaSY_SZ_EUlSY_E_NS1_11comp_targetILNS1_3genE8ELNS1_11target_archE1030ELNS1_3gpuE2ELNS1_3repE0EEENS1_30default_config_static_selectorELNS0_4arch9wavefront6targetE1EEEvT1_
	.globl	_ZN7rocprim17ROCPRIM_400000_NS6detail17trampoline_kernelINS0_14default_configENS1_29reduce_by_key_config_selectorIalN6thrust23THRUST_200600_302600_NS4plusIlEEEEZZNS1_33reduce_by_key_impl_wrapped_configILNS1_25lookback_scan_determinismE0ES3_S9_PaNS6_17constant_iteratorIiNS6_11use_defaultESE_EENS6_10device_ptrIaEENSG_IlEEPmS8_NS6_8equal_toIaEEEE10hipError_tPvRmT2_T3_mT4_T5_T6_T7_T8_P12ihipStream_tbENKUlT_T0_E_clISt17integral_constantIbLb0EES13_EEDaSY_SZ_EUlSY_E_NS1_11comp_targetILNS1_3genE8ELNS1_11target_archE1030ELNS1_3gpuE2ELNS1_3repE0EEENS1_30default_config_static_selectorELNS0_4arch9wavefront6targetE1EEEvT1_
	.p2align	8
	.type	_ZN7rocprim17ROCPRIM_400000_NS6detail17trampoline_kernelINS0_14default_configENS1_29reduce_by_key_config_selectorIalN6thrust23THRUST_200600_302600_NS4plusIlEEEEZZNS1_33reduce_by_key_impl_wrapped_configILNS1_25lookback_scan_determinismE0ES3_S9_PaNS6_17constant_iteratorIiNS6_11use_defaultESE_EENS6_10device_ptrIaEENSG_IlEEPmS8_NS6_8equal_toIaEEEE10hipError_tPvRmT2_T3_mT4_T5_T6_T7_T8_P12ihipStream_tbENKUlT_T0_E_clISt17integral_constantIbLb0EES13_EEDaSY_SZ_EUlSY_E_NS1_11comp_targetILNS1_3genE8ELNS1_11target_archE1030ELNS1_3gpuE2ELNS1_3repE0EEENS1_30default_config_static_selectorELNS0_4arch9wavefront6targetE1EEEvT1_,@function
_ZN7rocprim17ROCPRIM_400000_NS6detail17trampoline_kernelINS0_14default_configENS1_29reduce_by_key_config_selectorIalN6thrust23THRUST_200600_302600_NS4plusIlEEEEZZNS1_33reduce_by_key_impl_wrapped_configILNS1_25lookback_scan_determinismE0ES3_S9_PaNS6_17constant_iteratorIiNS6_11use_defaultESE_EENS6_10device_ptrIaEENSG_IlEEPmS8_NS6_8equal_toIaEEEE10hipError_tPvRmT2_T3_mT4_T5_T6_T7_T8_P12ihipStream_tbENKUlT_T0_E_clISt17integral_constantIbLb0EES13_EEDaSY_SZ_EUlSY_E_NS1_11comp_targetILNS1_3genE8ELNS1_11target_archE1030ELNS1_3gpuE2ELNS1_3repE0EEENS1_30default_config_static_selectorELNS0_4arch9wavefront6targetE1EEEvT1_: ; @_ZN7rocprim17ROCPRIM_400000_NS6detail17trampoline_kernelINS0_14default_configENS1_29reduce_by_key_config_selectorIalN6thrust23THRUST_200600_302600_NS4plusIlEEEEZZNS1_33reduce_by_key_impl_wrapped_configILNS1_25lookback_scan_determinismE0ES3_S9_PaNS6_17constant_iteratorIiNS6_11use_defaultESE_EENS6_10device_ptrIaEENSG_IlEEPmS8_NS6_8equal_toIaEEEE10hipError_tPvRmT2_T3_mT4_T5_T6_T7_T8_P12ihipStream_tbENKUlT_T0_E_clISt17integral_constantIbLb0EES13_EEDaSY_SZ_EUlSY_E_NS1_11comp_targetILNS1_3genE8ELNS1_11target_archE1030ELNS1_3gpuE2ELNS1_3repE0EEENS1_30default_config_static_selectorELNS0_4arch9wavefront6targetE1EEEvT1_
; %bb.0:
	.section	.rodata,"a",@progbits
	.p2align	6, 0x0
	.amdhsa_kernel _ZN7rocprim17ROCPRIM_400000_NS6detail17trampoline_kernelINS0_14default_configENS1_29reduce_by_key_config_selectorIalN6thrust23THRUST_200600_302600_NS4plusIlEEEEZZNS1_33reduce_by_key_impl_wrapped_configILNS1_25lookback_scan_determinismE0ES3_S9_PaNS6_17constant_iteratorIiNS6_11use_defaultESE_EENS6_10device_ptrIaEENSG_IlEEPmS8_NS6_8equal_toIaEEEE10hipError_tPvRmT2_T3_mT4_T5_T6_T7_T8_P12ihipStream_tbENKUlT_T0_E_clISt17integral_constantIbLb0EES13_EEDaSY_SZ_EUlSY_E_NS1_11comp_targetILNS1_3genE8ELNS1_11target_archE1030ELNS1_3gpuE2ELNS1_3repE0EEENS1_30default_config_static_selectorELNS0_4arch9wavefront6targetE1EEEvT1_
		.amdhsa_group_segment_fixed_size 0
		.amdhsa_private_segment_fixed_size 0
		.amdhsa_kernarg_size 144
		.amdhsa_user_sgpr_count 6
		.amdhsa_user_sgpr_private_segment_buffer 1
		.amdhsa_user_sgpr_dispatch_ptr 0
		.amdhsa_user_sgpr_queue_ptr 0
		.amdhsa_user_sgpr_kernarg_segment_ptr 1
		.amdhsa_user_sgpr_dispatch_id 0
		.amdhsa_user_sgpr_flat_scratch_init 0
		.amdhsa_user_sgpr_kernarg_preload_length 0
		.amdhsa_user_sgpr_kernarg_preload_offset 0
		.amdhsa_user_sgpr_private_segment_size 0
		.amdhsa_uses_dynamic_stack 0
		.amdhsa_system_sgpr_private_segment_wavefront_offset 0
		.amdhsa_system_sgpr_workgroup_id_x 1
		.amdhsa_system_sgpr_workgroup_id_y 0
		.amdhsa_system_sgpr_workgroup_id_z 0
		.amdhsa_system_sgpr_workgroup_info 0
		.amdhsa_system_vgpr_workitem_id 0
		.amdhsa_next_free_vgpr 1
		.amdhsa_next_free_sgpr 0
		.amdhsa_accum_offset 4
		.amdhsa_reserve_vcc 0
		.amdhsa_reserve_flat_scratch 0
		.amdhsa_float_round_mode_32 0
		.amdhsa_float_round_mode_16_64 0
		.amdhsa_float_denorm_mode_32 3
		.amdhsa_float_denorm_mode_16_64 3
		.amdhsa_dx10_clamp 1
		.amdhsa_ieee_mode 1
		.amdhsa_fp16_overflow 0
		.amdhsa_tg_split 0
		.amdhsa_exception_fp_ieee_invalid_op 0
		.amdhsa_exception_fp_denorm_src 0
		.amdhsa_exception_fp_ieee_div_zero 0
		.amdhsa_exception_fp_ieee_overflow 0
		.amdhsa_exception_fp_ieee_underflow 0
		.amdhsa_exception_fp_ieee_inexact 0
		.amdhsa_exception_int_div_zero 0
	.end_amdhsa_kernel
	.section	.text._ZN7rocprim17ROCPRIM_400000_NS6detail17trampoline_kernelINS0_14default_configENS1_29reduce_by_key_config_selectorIalN6thrust23THRUST_200600_302600_NS4plusIlEEEEZZNS1_33reduce_by_key_impl_wrapped_configILNS1_25lookback_scan_determinismE0ES3_S9_PaNS6_17constant_iteratorIiNS6_11use_defaultESE_EENS6_10device_ptrIaEENSG_IlEEPmS8_NS6_8equal_toIaEEEE10hipError_tPvRmT2_T3_mT4_T5_T6_T7_T8_P12ihipStream_tbENKUlT_T0_E_clISt17integral_constantIbLb0EES13_EEDaSY_SZ_EUlSY_E_NS1_11comp_targetILNS1_3genE8ELNS1_11target_archE1030ELNS1_3gpuE2ELNS1_3repE0EEENS1_30default_config_static_selectorELNS0_4arch9wavefront6targetE1EEEvT1_,"axG",@progbits,_ZN7rocprim17ROCPRIM_400000_NS6detail17trampoline_kernelINS0_14default_configENS1_29reduce_by_key_config_selectorIalN6thrust23THRUST_200600_302600_NS4plusIlEEEEZZNS1_33reduce_by_key_impl_wrapped_configILNS1_25lookback_scan_determinismE0ES3_S9_PaNS6_17constant_iteratorIiNS6_11use_defaultESE_EENS6_10device_ptrIaEENSG_IlEEPmS8_NS6_8equal_toIaEEEE10hipError_tPvRmT2_T3_mT4_T5_T6_T7_T8_P12ihipStream_tbENKUlT_T0_E_clISt17integral_constantIbLb0EES13_EEDaSY_SZ_EUlSY_E_NS1_11comp_targetILNS1_3genE8ELNS1_11target_archE1030ELNS1_3gpuE2ELNS1_3repE0EEENS1_30default_config_static_selectorELNS0_4arch9wavefront6targetE1EEEvT1_,comdat
.Lfunc_end680:
	.size	_ZN7rocprim17ROCPRIM_400000_NS6detail17trampoline_kernelINS0_14default_configENS1_29reduce_by_key_config_selectorIalN6thrust23THRUST_200600_302600_NS4plusIlEEEEZZNS1_33reduce_by_key_impl_wrapped_configILNS1_25lookback_scan_determinismE0ES3_S9_PaNS6_17constant_iteratorIiNS6_11use_defaultESE_EENS6_10device_ptrIaEENSG_IlEEPmS8_NS6_8equal_toIaEEEE10hipError_tPvRmT2_T3_mT4_T5_T6_T7_T8_P12ihipStream_tbENKUlT_T0_E_clISt17integral_constantIbLb0EES13_EEDaSY_SZ_EUlSY_E_NS1_11comp_targetILNS1_3genE8ELNS1_11target_archE1030ELNS1_3gpuE2ELNS1_3repE0EEENS1_30default_config_static_selectorELNS0_4arch9wavefront6targetE1EEEvT1_, .Lfunc_end680-_ZN7rocprim17ROCPRIM_400000_NS6detail17trampoline_kernelINS0_14default_configENS1_29reduce_by_key_config_selectorIalN6thrust23THRUST_200600_302600_NS4plusIlEEEEZZNS1_33reduce_by_key_impl_wrapped_configILNS1_25lookback_scan_determinismE0ES3_S9_PaNS6_17constant_iteratorIiNS6_11use_defaultESE_EENS6_10device_ptrIaEENSG_IlEEPmS8_NS6_8equal_toIaEEEE10hipError_tPvRmT2_T3_mT4_T5_T6_T7_T8_P12ihipStream_tbENKUlT_T0_E_clISt17integral_constantIbLb0EES13_EEDaSY_SZ_EUlSY_E_NS1_11comp_targetILNS1_3genE8ELNS1_11target_archE1030ELNS1_3gpuE2ELNS1_3repE0EEENS1_30default_config_static_selectorELNS0_4arch9wavefront6targetE1EEEvT1_
                                        ; -- End function
	.section	.AMDGPU.csdata,"",@progbits
; Kernel info:
; codeLenInByte = 0
; NumSgprs: 4
; NumVgprs: 0
; NumAgprs: 0
; TotalNumVgprs: 0
; ScratchSize: 0
; MemoryBound: 0
; FloatMode: 240
; IeeeMode: 1
; LDSByteSize: 0 bytes/workgroup (compile time only)
; SGPRBlocks: 0
; VGPRBlocks: 0
; NumSGPRsForWavesPerEU: 4
; NumVGPRsForWavesPerEU: 1
; AccumOffset: 4
; Occupancy: 8
; WaveLimiterHint : 0
; COMPUTE_PGM_RSRC2:SCRATCH_EN: 0
; COMPUTE_PGM_RSRC2:USER_SGPR: 6
; COMPUTE_PGM_RSRC2:TRAP_HANDLER: 0
; COMPUTE_PGM_RSRC2:TGID_X_EN: 1
; COMPUTE_PGM_RSRC2:TGID_Y_EN: 0
; COMPUTE_PGM_RSRC2:TGID_Z_EN: 0
; COMPUTE_PGM_RSRC2:TIDIG_COMP_CNT: 0
; COMPUTE_PGM_RSRC3_GFX90A:ACCUM_OFFSET: 0
; COMPUTE_PGM_RSRC3_GFX90A:TG_SPLIT: 0
	.section	.text._ZN7rocprim17ROCPRIM_400000_NS6detail17trampoline_kernelINS0_14default_configENS1_29reduce_by_key_config_selectorIalN6thrust23THRUST_200600_302600_NS4plusIlEEEEZZNS1_33reduce_by_key_impl_wrapped_configILNS1_25lookback_scan_determinismE0ES3_S9_PaNS6_17constant_iteratorIiNS6_11use_defaultESE_EENS6_10device_ptrIaEENSG_IlEEPmS8_NS6_8equal_toIaEEEE10hipError_tPvRmT2_T3_mT4_T5_T6_T7_T8_P12ihipStream_tbENKUlT_T0_E_clISt17integral_constantIbLb1EES13_EEDaSY_SZ_EUlSY_E_NS1_11comp_targetILNS1_3genE0ELNS1_11target_archE4294967295ELNS1_3gpuE0ELNS1_3repE0EEENS1_30default_config_static_selectorELNS0_4arch9wavefront6targetE1EEEvT1_,"axG",@progbits,_ZN7rocprim17ROCPRIM_400000_NS6detail17trampoline_kernelINS0_14default_configENS1_29reduce_by_key_config_selectorIalN6thrust23THRUST_200600_302600_NS4plusIlEEEEZZNS1_33reduce_by_key_impl_wrapped_configILNS1_25lookback_scan_determinismE0ES3_S9_PaNS6_17constant_iteratorIiNS6_11use_defaultESE_EENS6_10device_ptrIaEENSG_IlEEPmS8_NS6_8equal_toIaEEEE10hipError_tPvRmT2_T3_mT4_T5_T6_T7_T8_P12ihipStream_tbENKUlT_T0_E_clISt17integral_constantIbLb1EES13_EEDaSY_SZ_EUlSY_E_NS1_11comp_targetILNS1_3genE0ELNS1_11target_archE4294967295ELNS1_3gpuE0ELNS1_3repE0EEENS1_30default_config_static_selectorELNS0_4arch9wavefront6targetE1EEEvT1_,comdat
	.protected	_ZN7rocprim17ROCPRIM_400000_NS6detail17trampoline_kernelINS0_14default_configENS1_29reduce_by_key_config_selectorIalN6thrust23THRUST_200600_302600_NS4plusIlEEEEZZNS1_33reduce_by_key_impl_wrapped_configILNS1_25lookback_scan_determinismE0ES3_S9_PaNS6_17constant_iteratorIiNS6_11use_defaultESE_EENS6_10device_ptrIaEENSG_IlEEPmS8_NS6_8equal_toIaEEEE10hipError_tPvRmT2_T3_mT4_T5_T6_T7_T8_P12ihipStream_tbENKUlT_T0_E_clISt17integral_constantIbLb1EES13_EEDaSY_SZ_EUlSY_E_NS1_11comp_targetILNS1_3genE0ELNS1_11target_archE4294967295ELNS1_3gpuE0ELNS1_3repE0EEENS1_30default_config_static_selectorELNS0_4arch9wavefront6targetE1EEEvT1_ ; -- Begin function _ZN7rocprim17ROCPRIM_400000_NS6detail17trampoline_kernelINS0_14default_configENS1_29reduce_by_key_config_selectorIalN6thrust23THRUST_200600_302600_NS4plusIlEEEEZZNS1_33reduce_by_key_impl_wrapped_configILNS1_25lookback_scan_determinismE0ES3_S9_PaNS6_17constant_iteratorIiNS6_11use_defaultESE_EENS6_10device_ptrIaEENSG_IlEEPmS8_NS6_8equal_toIaEEEE10hipError_tPvRmT2_T3_mT4_T5_T6_T7_T8_P12ihipStream_tbENKUlT_T0_E_clISt17integral_constantIbLb1EES13_EEDaSY_SZ_EUlSY_E_NS1_11comp_targetILNS1_3genE0ELNS1_11target_archE4294967295ELNS1_3gpuE0ELNS1_3repE0EEENS1_30default_config_static_selectorELNS0_4arch9wavefront6targetE1EEEvT1_
	.globl	_ZN7rocprim17ROCPRIM_400000_NS6detail17trampoline_kernelINS0_14default_configENS1_29reduce_by_key_config_selectorIalN6thrust23THRUST_200600_302600_NS4plusIlEEEEZZNS1_33reduce_by_key_impl_wrapped_configILNS1_25lookback_scan_determinismE0ES3_S9_PaNS6_17constant_iteratorIiNS6_11use_defaultESE_EENS6_10device_ptrIaEENSG_IlEEPmS8_NS6_8equal_toIaEEEE10hipError_tPvRmT2_T3_mT4_T5_T6_T7_T8_P12ihipStream_tbENKUlT_T0_E_clISt17integral_constantIbLb1EES13_EEDaSY_SZ_EUlSY_E_NS1_11comp_targetILNS1_3genE0ELNS1_11target_archE4294967295ELNS1_3gpuE0ELNS1_3repE0EEENS1_30default_config_static_selectorELNS0_4arch9wavefront6targetE1EEEvT1_
	.p2align	8
	.type	_ZN7rocprim17ROCPRIM_400000_NS6detail17trampoline_kernelINS0_14default_configENS1_29reduce_by_key_config_selectorIalN6thrust23THRUST_200600_302600_NS4plusIlEEEEZZNS1_33reduce_by_key_impl_wrapped_configILNS1_25lookback_scan_determinismE0ES3_S9_PaNS6_17constant_iteratorIiNS6_11use_defaultESE_EENS6_10device_ptrIaEENSG_IlEEPmS8_NS6_8equal_toIaEEEE10hipError_tPvRmT2_T3_mT4_T5_T6_T7_T8_P12ihipStream_tbENKUlT_T0_E_clISt17integral_constantIbLb1EES13_EEDaSY_SZ_EUlSY_E_NS1_11comp_targetILNS1_3genE0ELNS1_11target_archE4294967295ELNS1_3gpuE0ELNS1_3repE0EEENS1_30default_config_static_selectorELNS0_4arch9wavefront6targetE1EEEvT1_,@function
_ZN7rocprim17ROCPRIM_400000_NS6detail17trampoline_kernelINS0_14default_configENS1_29reduce_by_key_config_selectorIalN6thrust23THRUST_200600_302600_NS4plusIlEEEEZZNS1_33reduce_by_key_impl_wrapped_configILNS1_25lookback_scan_determinismE0ES3_S9_PaNS6_17constant_iteratorIiNS6_11use_defaultESE_EENS6_10device_ptrIaEENSG_IlEEPmS8_NS6_8equal_toIaEEEE10hipError_tPvRmT2_T3_mT4_T5_T6_T7_T8_P12ihipStream_tbENKUlT_T0_E_clISt17integral_constantIbLb1EES13_EEDaSY_SZ_EUlSY_E_NS1_11comp_targetILNS1_3genE0ELNS1_11target_archE4294967295ELNS1_3gpuE0ELNS1_3repE0EEENS1_30default_config_static_selectorELNS0_4arch9wavefront6targetE1EEEvT1_: ; @_ZN7rocprim17ROCPRIM_400000_NS6detail17trampoline_kernelINS0_14default_configENS1_29reduce_by_key_config_selectorIalN6thrust23THRUST_200600_302600_NS4plusIlEEEEZZNS1_33reduce_by_key_impl_wrapped_configILNS1_25lookback_scan_determinismE0ES3_S9_PaNS6_17constant_iteratorIiNS6_11use_defaultESE_EENS6_10device_ptrIaEENSG_IlEEPmS8_NS6_8equal_toIaEEEE10hipError_tPvRmT2_T3_mT4_T5_T6_T7_T8_P12ihipStream_tbENKUlT_T0_E_clISt17integral_constantIbLb1EES13_EEDaSY_SZ_EUlSY_E_NS1_11comp_targetILNS1_3genE0ELNS1_11target_archE4294967295ELNS1_3gpuE0ELNS1_3repE0EEENS1_30default_config_static_selectorELNS0_4arch9wavefront6targetE1EEEvT1_
; %bb.0:
	.section	.rodata,"a",@progbits
	.p2align	6, 0x0
	.amdhsa_kernel _ZN7rocprim17ROCPRIM_400000_NS6detail17trampoline_kernelINS0_14default_configENS1_29reduce_by_key_config_selectorIalN6thrust23THRUST_200600_302600_NS4plusIlEEEEZZNS1_33reduce_by_key_impl_wrapped_configILNS1_25lookback_scan_determinismE0ES3_S9_PaNS6_17constant_iteratorIiNS6_11use_defaultESE_EENS6_10device_ptrIaEENSG_IlEEPmS8_NS6_8equal_toIaEEEE10hipError_tPvRmT2_T3_mT4_T5_T6_T7_T8_P12ihipStream_tbENKUlT_T0_E_clISt17integral_constantIbLb1EES13_EEDaSY_SZ_EUlSY_E_NS1_11comp_targetILNS1_3genE0ELNS1_11target_archE4294967295ELNS1_3gpuE0ELNS1_3repE0EEENS1_30default_config_static_selectorELNS0_4arch9wavefront6targetE1EEEvT1_
		.amdhsa_group_segment_fixed_size 0
		.amdhsa_private_segment_fixed_size 0
		.amdhsa_kernarg_size 144
		.amdhsa_user_sgpr_count 6
		.amdhsa_user_sgpr_private_segment_buffer 1
		.amdhsa_user_sgpr_dispatch_ptr 0
		.amdhsa_user_sgpr_queue_ptr 0
		.amdhsa_user_sgpr_kernarg_segment_ptr 1
		.amdhsa_user_sgpr_dispatch_id 0
		.amdhsa_user_sgpr_flat_scratch_init 0
		.amdhsa_user_sgpr_kernarg_preload_length 0
		.amdhsa_user_sgpr_kernarg_preload_offset 0
		.amdhsa_user_sgpr_private_segment_size 0
		.amdhsa_uses_dynamic_stack 0
		.amdhsa_system_sgpr_private_segment_wavefront_offset 0
		.amdhsa_system_sgpr_workgroup_id_x 1
		.amdhsa_system_sgpr_workgroup_id_y 0
		.amdhsa_system_sgpr_workgroup_id_z 0
		.amdhsa_system_sgpr_workgroup_info 0
		.amdhsa_system_vgpr_workitem_id 0
		.amdhsa_next_free_vgpr 1
		.amdhsa_next_free_sgpr 0
		.amdhsa_accum_offset 4
		.amdhsa_reserve_vcc 0
		.amdhsa_reserve_flat_scratch 0
		.amdhsa_float_round_mode_32 0
		.amdhsa_float_round_mode_16_64 0
		.amdhsa_float_denorm_mode_32 3
		.amdhsa_float_denorm_mode_16_64 3
		.amdhsa_dx10_clamp 1
		.amdhsa_ieee_mode 1
		.amdhsa_fp16_overflow 0
		.amdhsa_tg_split 0
		.amdhsa_exception_fp_ieee_invalid_op 0
		.amdhsa_exception_fp_denorm_src 0
		.amdhsa_exception_fp_ieee_div_zero 0
		.amdhsa_exception_fp_ieee_overflow 0
		.amdhsa_exception_fp_ieee_underflow 0
		.amdhsa_exception_fp_ieee_inexact 0
		.amdhsa_exception_int_div_zero 0
	.end_amdhsa_kernel
	.section	.text._ZN7rocprim17ROCPRIM_400000_NS6detail17trampoline_kernelINS0_14default_configENS1_29reduce_by_key_config_selectorIalN6thrust23THRUST_200600_302600_NS4plusIlEEEEZZNS1_33reduce_by_key_impl_wrapped_configILNS1_25lookback_scan_determinismE0ES3_S9_PaNS6_17constant_iteratorIiNS6_11use_defaultESE_EENS6_10device_ptrIaEENSG_IlEEPmS8_NS6_8equal_toIaEEEE10hipError_tPvRmT2_T3_mT4_T5_T6_T7_T8_P12ihipStream_tbENKUlT_T0_E_clISt17integral_constantIbLb1EES13_EEDaSY_SZ_EUlSY_E_NS1_11comp_targetILNS1_3genE0ELNS1_11target_archE4294967295ELNS1_3gpuE0ELNS1_3repE0EEENS1_30default_config_static_selectorELNS0_4arch9wavefront6targetE1EEEvT1_,"axG",@progbits,_ZN7rocprim17ROCPRIM_400000_NS6detail17trampoline_kernelINS0_14default_configENS1_29reduce_by_key_config_selectorIalN6thrust23THRUST_200600_302600_NS4plusIlEEEEZZNS1_33reduce_by_key_impl_wrapped_configILNS1_25lookback_scan_determinismE0ES3_S9_PaNS6_17constant_iteratorIiNS6_11use_defaultESE_EENS6_10device_ptrIaEENSG_IlEEPmS8_NS6_8equal_toIaEEEE10hipError_tPvRmT2_T3_mT4_T5_T6_T7_T8_P12ihipStream_tbENKUlT_T0_E_clISt17integral_constantIbLb1EES13_EEDaSY_SZ_EUlSY_E_NS1_11comp_targetILNS1_3genE0ELNS1_11target_archE4294967295ELNS1_3gpuE0ELNS1_3repE0EEENS1_30default_config_static_selectorELNS0_4arch9wavefront6targetE1EEEvT1_,comdat
.Lfunc_end681:
	.size	_ZN7rocprim17ROCPRIM_400000_NS6detail17trampoline_kernelINS0_14default_configENS1_29reduce_by_key_config_selectorIalN6thrust23THRUST_200600_302600_NS4plusIlEEEEZZNS1_33reduce_by_key_impl_wrapped_configILNS1_25lookback_scan_determinismE0ES3_S9_PaNS6_17constant_iteratorIiNS6_11use_defaultESE_EENS6_10device_ptrIaEENSG_IlEEPmS8_NS6_8equal_toIaEEEE10hipError_tPvRmT2_T3_mT4_T5_T6_T7_T8_P12ihipStream_tbENKUlT_T0_E_clISt17integral_constantIbLb1EES13_EEDaSY_SZ_EUlSY_E_NS1_11comp_targetILNS1_3genE0ELNS1_11target_archE4294967295ELNS1_3gpuE0ELNS1_3repE0EEENS1_30default_config_static_selectorELNS0_4arch9wavefront6targetE1EEEvT1_, .Lfunc_end681-_ZN7rocprim17ROCPRIM_400000_NS6detail17trampoline_kernelINS0_14default_configENS1_29reduce_by_key_config_selectorIalN6thrust23THRUST_200600_302600_NS4plusIlEEEEZZNS1_33reduce_by_key_impl_wrapped_configILNS1_25lookback_scan_determinismE0ES3_S9_PaNS6_17constant_iteratorIiNS6_11use_defaultESE_EENS6_10device_ptrIaEENSG_IlEEPmS8_NS6_8equal_toIaEEEE10hipError_tPvRmT2_T3_mT4_T5_T6_T7_T8_P12ihipStream_tbENKUlT_T0_E_clISt17integral_constantIbLb1EES13_EEDaSY_SZ_EUlSY_E_NS1_11comp_targetILNS1_3genE0ELNS1_11target_archE4294967295ELNS1_3gpuE0ELNS1_3repE0EEENS1_30default_config_static_selectorELNS0_4arch9wavefront6targetE1EEEvT1_
                                        ; -- End function
	.section	.AMDGPU.csdata,"",@progbits
; Kernel info:
; codeLenInByte = 0
; NumSgprs: 4
; NumVgprs: 0
; NumAgprs: 0
; TotalNumVgprs: 0
; ScratchSize: 0
; MemoryBound: 0
; FloatMode: 240
; IeeeMode: 1
; LDSByteSize: 0 bytes/workgroup (compile time only)
; SGPRBlocks: 0
; VGPRBlocks: 0
; NumSGPRsForWavesPerEU: 4
; NumVGPRsForWavesPerEU: 1
; AccumOffset: 4
; Occupancy: 8
; WaveLimiterHint : 0
; COMPUTE_PGM_RSRC2:SCRATCH_EN: 0
; COMPUTE_PGM_RSRC2:USER_SGPR: 6
; COMPUTE_PGM_RSRC2:TRAP_HANDLER: 0
; COMPUTE_PGM_RSRC2:TGID_X_EN: 1
; COMPUTE_PGM_RSRC2:TGID_Y_EN: 0
; COMPUTE_PGM_RSRC2:TGID_Z_EN: 0
; COMPUTE_PGM_RSRC2:TIDIG_COMP_CNT: 0
; COMPUTE_PGM_RSRC3_GFX90A:ACCUM_OFFSET: 0
; COMPUTE_PGM_RSRC3_GFX90A:TG_SPLIT: 0
	.section	.text._ZN7rocprim17ROCPRIM_400000_NS6detail17trampoline_kernelINS0_14default_configENS1_29reduce_by_key_config_selectorIalN6thrust23THRUST_200600_302600_NS4plusIlEEEEZZNS1_33reduce_by_key_impl_wrapped_configILNS1_25lookback_scan_determinismE0ES3_S9_PaNS6_17constant_iteratorIiNS6_11use_defaultESE_EENS6_10device_ptrIaEENSG_IlEEPmS8_NS6_8equal_toIaEEEE10hipError_tPvRmT2_T3_mT4_T5_T6_T7_T8_P12ihipStream_tbENKUlT_T0_E_clISt17integral_constantIbLb1EES13_EEDaSY_SZ_EUlSY_E_NS1_11comp_targetILNS1_3genE5ELNS1_11target_archE942ELNS1_3gpuE9ELNS1_3repE0EEENS1_30default_config_static_selectorELNS0_4arch9wavefront6targetE1EEEvT1_,"axG",@progbits,_ZN7rocprim17ROCPRIM_400000_NS6detail17trampoline_kernelINS0_14default_configENS1_29reduce_by_key_config_selectorIalN6thrust23THRUST_200600_302600_NS4plusIlEEEEZZNS1_33reduce_by_key_impl_wrapped_configILNS1_25lookback_scan_determinismE0ES3_S9_PaNS6_17constant_iteratorIiNS6_11use_defaultESE_EENS6_10device_ptrIaEENSG_IlEEPmS8_NS6_8equal_toIaEEEE10hipError_tPvRmT2_T3_mT4_T5_T6_T7_T8_P12ihipStream_tbENKUlT_T0_E_clISt17integral_constantIbLb1EES13_EEDaSY_SZ_EUlSY_E_NS1_11comp_targetILNS1_3genE5ELNS1_11target_archE942ELNS1_3gpuE9ELNS1_3repE0EEENS1_30default_config_static_selectorELNS0_4arch9wavefront6targetE1EEEvT1_,comdat
	.protected	_ZN7rocprim17ROCPRIM_400000_NS6detail17trampoline_kernelINS0_14default_configENS1_29reduce_by_key_config_selectorIalN6thrust23THRUST_200600_302600_NS4plusIlEEEEZZNS1_33reduce_by_key_impl_wrapped_configILNS1_25lookback_scan_determinismE0ES3_S9_PaNS6_17constant_iteratorIiNS6_11use_defaultESE_EENS6_10device_ptrIaEENSG_IlEEPmS8_NS6_8equal_toIaEEEE10hipError_tPvRmT2_T3_mT4_T5_T6_T7_T8_P12ihipStream_tbENKUlT_T0_E_clISt17integral_constantIbLb1EES13_EEDaSY_SZ_EUlSY_E_NS1_11comp_targetILNS1_3genE5ELNS1_11target_archE942ELNS1_3gpuE9ELNS1_3repE0EEENS1_30default_config_static_selectorELNS0_4arch9wavefront6targetE1EEEvT1_ ; -- Begin function _ZN7rocprim17ROCPRIM_400000_NS6detail17trampoline_kernelINS0_14default_configENS1_29reduce_by_key_config_selectorIalN6thrust23THRUST_200600_302600_NS4plusIlEEEEZZNS1_33reduce_by_key_impl_wrapped_configILNS1_25lookback_scan_determinismE0ES3_S9_PaNS6_17constant_iteratorIiNS6_11use_defaultESE_EENS6_10device_ptrIaEENSG_IlEEPmS8_NS6_8equal_toIaEEEE10hipError_tPvRmT2_T3_mT4_T5_T6_T7_T8_P12ihipStream_tbENKUlT_T0_E_clISt17integral_constantIbLb1EES13_EEDaSY_SZ_EUlSY_E_NS1_11comp_targetILNS1_3genE5ELNS1_11target_archE942ELNS1_3gpuE9ELNS1_3repE0EEENS1_30default_config_static_selectorELNS0_4arch9wavefront6targetE1EEEvT1_
	.globl	_ZN7rocprim17ROCPRIM_400000_NS6detail17trampoline_kernelINS0_14default_configENS1_29reduce_by_key_config_selectorIalN6thrust23THRUST_200600_302600_NS4plusIlEEEEZZNS1_33reduce_by_key_impl_wrapped_configILNS1_25lookback_scan_determinismE0ES3_S9_PaNS6_17constant_iteratorIiNS6_11use_defaultESE_EENS6_10device_ptrIaEENSG_IlEEPmS8_NS6_8equal_toIaEEEE10hipError_tPvRmT2_T3_mT4_T5_T6_T7_T8_P12ihipStream_tbENKUlT_T0_E_clISt17integral_constantIbLb1EES13_EEDaSY_SZ_EUlSY_E_NS1_11comp_targetILNS1_3genE5ELNS1_11target_archE942ELNS1_3gpuE9ELNS1_3repE0EEENS1_30default_config_static_selectorELNS0_4arch9wavefront6targetE1EEEvT1_
	.p2align	8
	.type	_ZN7rocprim17ROCPRIM_400000_NS6detail17trampoline_kernelINS0_14default_configENS1_29reduce_by_key_config_selectorIalN6thrust23THRUST_200600_302600_NS4plusIlEEEEZZNS1_33reduce_by_key_impl_wrapped_configILNS1_25lookback_scan_determinismE0ES3_S9_PaNS6_17constant_iteratorIiNS6_11use_defaultESE_EENS6_10device_ptrIaEENSG_IlEEPmS8_NS6_8equal_toIaEEEE10hipError_tPvRmT2_T3_mT4_T5_T6_T7_T8_P12ihipStream_tbENKUlT_T0_E_clISt17integral_constantIbLb1EES13_EEDaSY_SZ_EUlSY_E_NS1_11comp_targetILNS1_3genE5ELNS1_11target_archE942ELNS1_3gpuE9ELNS1_3repE0EEENS1_30default_config_static_selectorELNS0_4arch9wavefront6targetE1EEEvT1_,@function
_ZN7rocprim17ROCPRIM_400000_NS6detail17trampoline_kernelINS0_14default_configENS1_29reduce_by_key_config_selectorIalN6thrust23THRUST_200600_302600_NS4plusIlEEEEZZNS1_33reduce_by_key_impl_wrapped_configILNS1_25lookback_scan_determinismE0ES3_S9_PaNS6_17constant_iteratorIiNS6_11use_defaultESE_EENS6_10device_ptrIaEENSG_IlEEPmS8_NS6_8equal_toIaEEEE10hipError_tPvRmT2_T3_mT4_T5_T6_T7_T8_P12ihipStream_tbENKUlT_T0_E_clISt17integral_constantIbLb1EES13_EEDaSY_SZ_EUlSY_E_NS1_11comp_targetILNS1_3genE5ELNS1_11target_archE942ELNS1_3gpuE9ELNS1_3repE0EEENS1_30default_config_static_selectorELNS0_4arch9wavefront6targetE1EEEvT1_: ; @_ZN7rocprim17ROCPRIM_400000_NS6detail17trampoline_kernelINS0_14default_configENS1_29reduce_by_key_config_selectorIalN6thrust23THRUST_200600_302600_NS4plusIlEEEEZZNS1_33reduce_by_key_impl_wrapped_configILNS1_25lookback_scan_determinismE0ES3_S9_PaNS6_17constant_iteratorIiNS6_11use_defaultESE_EENS6_10device_ptrIaEENSG_IlEEPmS8_NS6_8equal_toIaEEEE10hipError_tPvRmT2_T3_mT4_T5_T6_T7_T8_P12ihipStream_tbENKUlT_T0_E_clISt17integral_constantIbLb1EES13_EEDaSY_SZ_EUlSY_E_NS1_11comp_targetILNS1_3genE5ELNS1_11target_archE942ELNS1_3gpuE9ELNS1_3repE0EEENS1_30default_config_static_selectorELNS0_4arch9wavefront6targetE1EEEvT1_
; %bb.0:
	.section	.rodata,"a",@progbits
	.p2align	6, 0x0
	.amdhsa_kernel _ZN7rocprim17ROCPRIM_400000_NS6detail17trampoline_kernelINS0_14default_configENS1_29reduce_by_key_config_selectorIalN6thrust23THRUST_200600_302600_NS4plusIlEEEEZZNS1_33reduce_by_key_impl_wrapped_configILNS1_25lookback_scan_determinismE0ES3_S9_PaNS6_17constant_iteratorIiNS6_11use_defaultESE_EENS6_10device_ptrIaEENSG_IlEEPmS8_NS6_8equal_toIaEEEE10hipError_tPvRmT2_T3_mT4_T5_T6_T7_T8_P12ihipStream_tbENKUlT_T0_E_clISt17integral_constantIbLb1EES13_EEDaSY_SZ_EUlSY_E_NS1_11comp_targetILNS1_3genE5ELNS1_11target_archE942ELNS1_3gpuE9ELNS1_3repE0EEENS1_30default_config_static_selectorELNS0_4arch9wavefront6targetE1EEEvT1_
		.amdhsa_group_segment_fixed_size 0
		.amdhsa_private_segment_fixed_size 0
		.amdhsa_kernarg_size 144
		.amdhsa_user_sgpr_count 6
		.amdhsa_user_sgpr_private_segment_buffer 1
		.amdhsa_user_sgpr_dispatch_ptr 0
		.amdhsa_user_sgpr_queue_ptr 0
		.amdhsa_user_sgpr_kernarg_segment_ptr 1
		.amdhsa_user_sgpr_dispatch_id 0
		.amdhsa_user_sgpr_flat_scratch_init 0
		.amdhsa_user_sgpr_kernarg_preload_length 0
		.amdhsa_user_sgpr_kernarg_preload_offset 0
		.amdhsa_user_sgpr_private_segment_size 0
		.amdhsa_uses_dynamic_stack 0
		.amdhsa_system_sgpr_private_segment_wavefront_offset 0
		.amdhsa_system_sgpr_workgroup_id_x 1
		.amdhsa_system_sgpr_workgroup_id_y 0
		.amdhsa_system_sgpr_workgroup_id_z 0
		.amdhsa_system_sgpr_workgroup_info 0
		.amdhsa_system_vgpr_workitem_id 0
		.amdhsa_next_free_vgpr 1
		.amdhsa_next_free_sgpr 0
		.amdhsa_accum_offset 4
		.amdhsa_reserve_vcc 0
		.amdhsa_reserve_flat_scratch 0
		.amdhsa_float_round_mode_32 0
		.amdhsa_float_round_mode_16_64 0
		.amdhsa_float_denorm_mode_32 3
		.amdhsa_float_denorm_mode_16_64 3
		.amdhsa_dx10_clamp 1
		.amdhsa_ieee_mode 1
		.amdhsa_fp16_overflow 0
		.amdhsa_tg_split 0
		.amdhsa_exception_fp_ieee_invalid_op 0
		.amdhsa_exception_fp_denorm_src 0
		.amdhsa_exception_fp_ieee_div_zero 0
		.amdhsa_exception_fp_ieee_overflow 0
		.amdhsa_exception_fp_ieee_underflow 0
		.amdhsa_exception_fp_ieee_inexact 0
		.amdhsa_exception_int_div_zero 0
	.end_amdhsa_kernel
	.section	.text._ZN7rocprim17ROCPRIM_400000_NS6detail17trampoline_kernelINS0_14default_configENS1_29reduce_by_key_config_selectorIalN6thrust23THRUST_200600_302600_NS4plusIlEEEEZZNS1_33reduce_by_key_impl_wrapped_configILNS1_25lookback_scan_determinismE0ES3_S9_PaNS6_17constant_iteratorIiNS6_11use_defaultESE_EENS6_10device_ptrIaEENSG_IlEEPmS8_NS6_8equal_toIaEEEE10hipError_tPvRmT2_T3_mT4_T5_T6_T7_T8_P12ihipStream_tbENKUlT_T0_E_clISt17integral_constantIbLb1EES13_EEDaSY_SZ_EUlSY_E_NS1_11comp_targetILNS1_3genE5ELNS1_11target_archE942ELNS1_3gpuE9ELNS1_3repE0EEENS1_30default_config_static_selectorELNS0_4arch9wavefront6targetE1EEEvT1_,"axG",@progbits,_ZN7rocprim17ROCPRIM_400000_NS6detail17trampoline_kernelINS0_14default_configENS1_29reduce_by_key_config_selectorIalN6thrust23THRUST_200600_302600_NS4plusIlEEEEZZNS1_33reduce_by_key_impl_wrapped_configILNS1_25lookback_scan_determinismE0ES3_S9_PaNS6_17constant_iteratorIiNS6_11use_defaultESE_EENS6_10device_ptrIaEENSG_IlEEPmS8_NS6_8equal_toIaEEEE10hipError_tPvRmT2_T3_mT4_T5_T6_T7_T8_P12ihipStream_tbENKUlT_T0_E_clISt17integral_constantIbLb1EES13_EEDaSY_SZ_EUlSY_E_NS1_11comp_targetILNS1_3genE5ELNS1_11target_archE942ELNS1_3gpuE9ELNS1_3repE0EEENS1_30default_config_static_selectorELNS0_4arch9wavefront6targetE1EEEvT1_,comdat
.Lfunc_end682:
	.size	_ZN7rocprim17ROCPRIM_400000_NS6detail17trampoline_kernelINS0_14default_configENS1_29reduce_by_key_config_selectorIalN6thrust23THRUST_200600_302600_NS4plusIlEEEEZZNS1_33reduce_by_key_impl_wrapped_configILNS1_25lookback_scan_determinismE0ES3_S9_PaNS6_17constant_iteratorIiNS6_11use_defaultESE_EENS6_10device_ptrIaEENSG_IlEEPmS8_NS6_8equal_toIaEEEE10hipError_tPvRmT2_T3_mT4_T5_T6_T7_T8_P12ihipStream_tbENKUlT_T0_E_clISt17integral_constantIbLb1EES13_EEDaSY_SZ_EUlSY_E_NS1_11comp_targetILNS1_3genE5ELNS1_11target_archE942ELNS1_3gpuE9ELNS1_3repE0EEENS1_30default_config_static_selectorELNS0_4arch9wavefront6targetE1EEEvT1_, .Lfunc_end682-_ZN7rocprim17ROCPRIM_400000_NS6detail17trampoline_kernelINS0_14default_configENS1_29reduce_by_key_config_selectorIalN6thrust23THRUST_200600_302600_NS4plusIlEEEEZZNS1_33reduce_by_key_impl_wrapped_configILNS1_25lookback_scan_determinismE0ES3_S9_PaNS6_17constant_iteratorIiNS6_11use_defaultESE_EENS6_10device_ptrIaEENSG_IlEEPmS8_NS6_8equal_toIaEEEE10hipError_tPvRmT2_T3_mT4_T5_T6_T7_T8_P12ihipStream_tbENKUlT_T0_E_clISt17integral_constantIbLb1EES13_EEDaSY_SZ_EUlSY_E_NS1_11comp_targetILNS1_3genE5ELNS1_11target_archE942ELNS1_3gpuE9ELNS1_3repE0EEENS1_30default_config_static_selectorELNS0_4arch9wavefront6targetE1EEEvT1_
                                        ; -- End function
	.section	.AMDGPU.csdata,"",@progbits
; Kernel info:
; codeLenInByte = 0
; NumSgprs: 4
; NumVgprs: 0
; NumAgprs: 0
; TotalNumVgprs: 0
; ScratchSize: 0
; MemoryBound: 0
; FloatMode: 240
; IeeeMode: 1
; LDSByteSize: 0 bytes/workgroup (compile time only)
; SGPRBlocks: 0
; VGPRBlocks: 0
; NumSGPRsForWavesPerEU: 4
; NumVGPRsForWavesPerEU: 1
; AccumOffset: 4
; Occupancy: 8
; WaveLimiterHint : 0
; COMPUTE_PGM_RSRC2:SCRATCH_EN: 0
; COMPUTE_PGM_RSRC2:USER_SGPR: 6
; COMPUTE_PGM_RSRC2:TRAP_HANDLER: 0
; COMPUTE_PGM_RSRC2:TGID_X_EN: 1
; COMPUTE_PGM_RSRC2:TGID_Y_EN: 0
; COMPUTE_PGM_RSRC2:TGID_Z_EN: 0
; COMPUTE_PGM_RSRC2:TIDIG_COMP_CNT: 0
; COMPUTE_PGM_RSRC3_GFX90A:ACCUM_OFFSET: 0
; COMPUTE_PGM_RSRC3_GFX90A:TG_SPLIT: 0
	.section	.text._ZN7rocprim17ROCPRIM_400000_NS6detail17trampoline_kernelINS0_14default_configENS1_29reduce_by_key_config_selectorIalN6thrust23THRUST_200600_302600_NS4plusIlEEEEZZNS1_33reduce_by_key_impl_wrapped_configILNS1_25lookback_scan_determinismE0ES3_S9_PaNS6_17constant_iteratorIiNS6_11use_defaultESE_EENS6_10device_ptrIaEENSG_IlEEPmS8_NS6_8equal_toIaEEEE10hipError_tPvRmT2_T3_mT4_T5_T6_T7_T8_P12ihipStream_tbENKUlT_T0_E_clISt17integral_constantIbLb1EES13_EEDaSY_SZ_EUlSY_E_NS1_11comp_targetILNS1_3genE4ELNS1_11target_archE910ELNS1_3gpuE8ELNS1_3repE0EEENS1_30default_config_static_selectorELNS0_4arch9wavefront6targetE1EEEvT1_,"axG",@progbits,_ZN7rocprim17ROCPRIM_400000_NS6detail17trampoline_kernelINS0_14default_configENS1_29reduce_by_key_config_selectorIalN6thrust23THRUST_200600_302600_NS4plusIlEEEEZZNS1_33reduce_by_key_impl_wrapped_configILNS1_25lookback_scan_determinismE0ES3_S9_PaNS6_17constant_iteratorIiNS6_11use_defaultESE_EENS6_10device_ptrIaEENSG_IlEEPmS8_NS6_8equal_toIaEEEE10hipError_tPvRmT2_T3_mT4_T5_T6_T7_T8_P12ihipStream_tbENKUlT_T0_E_clISt17integral_constantIbLb1EES13_EEDaSY_SZ_EUlSY_E_NS1_11comp_targetILNS1_3genE4ELNS1_11target_archE910ELNS1_3gpuE8ELNS1_3repE0EEENS1_30default_config_static_selectorELNS0_4arch9wavefront6targetE1EEEvT1_,comdat
	.protected	_ZN7rocprim17ROCPRIM_400000_NS6detail17trampoline_kernelINS0_14default_configENS1_29reduce_by_key_config_selectorIalN6thrust23THRUST_200600_302600_NS4plusIlEEEEZZNS1_33reduce_by_key_impl_wrapped_configILNS1_25lookback_scan_determinismE0ES3_S9_PaNS6_17constant_iteratorIiNS6_11use_defaultESE_EENS6_10device_ptrIaEENSG_IlEEPmS8_NS6_8equal_toIaEEEE10hipError_tPvRmT2_T3_mT4_T5_T6_T7_T8_P12ihipStream_tbENKUlT_T0_E_clISt17integral_constantIbLb1EES13_EEDaSY_SZ_EUlSY_E_NS1_11comp_targetILNS1_3genE4ELNS1_11target_archE910ELNS1_3gpuE8ELNS1_3repE0EEENS1_30default_config_static_selectorELNS0_4arch9wavefront6targetE1EEEvT1_ ; -- Begin function _ZN7rocprim17ROCPRIM_400000_NS6detail17trampoline_kernelINS0_14default_configENS1_29reduce_by_key_config_selectorIalN6thrust23THRUST_200600_302600_NS4plusIlEEEEZZNS1_33reduce_by_key_impl_wrapped_configILNS1_25lookback_scan_determinismE0ES3_S9_PaNS6_17constant_iteratorIiNS6_11use_defaultESE_EENS6_10device_ptrIaEENSG_IlEEPmS8_NS6_8equal_toIaEEEE10hipError_tPvRmT2_T3_mT4_T5_T6_T7_T8_P12ihipStream_tbENKUlT_T0_E_clISt17integral_constantIbLb1EES13_EEDaSY_SZ_EUlSY_E_NS1_11comp_targetILNS1_3genE4ELNS1_11target_archE910ELNS1_3gpuE8ELNS1_3repE0EEENS1_30default_config_static_selectorELNS0_4arch9wavefront6targetE1EEEvT1_
	.globl	_ZN7rocprim17ROCPRIM_400000_NS6detail17trampoline_kernelINS0_14default_configENS1_29reduce_by_key_config_selectorIalN6thrust23THRUST_200600_302600_NS4plusIlEEEEZZNS1_33reduce_by_key_impl_wrapped_configILNS1_25lookback_scan_determinismE0ES3_S9_PaNS6_17constant_iteratorIiNS6_11use_defaultESE_EENS6_10device_ptrIaEENSG_IlEEPmS8_NS6_8equal_toIaEEEE10hipError_tPvRmT2_T3_mT4_T5_T6_T7_T8_P12ihipStream_tbENKUlT_T0_E_clISt17integral_constantIbLb1EES13_EEDaSY_SZ_EUlSY_E_NS1_11comp_targetILNS1_3genE4ELNS1_11target_archE910ELNS1_3gpuE8ELNS1_3repE0EEENS1_30default_config_static_selectorELNS0_4arch9wavefront6targetE1EEEvT1_
	.p2align	8
	.type	_ZN7rocprim17ROCPRIM_400000_NS6detail17trampoline_kernelINS0_14default_configENS1_29reduce_by_key_config_selectorIalN6thrust23THRUST_200600_302600_NS4plusIlEEEEZZNS1_33reduce_by_key_impl_wrapped_configILNS1_25lookback_scan_determinismE0ES3_S9_PaNS6_17constant_iteratorIiNS6_11use_defaultESE_EENS6_10device_ptrIaEENSG_IlEEPmS8_NS6_8equal_toIaEEEE10hipError_tPvRmT2_T3_mT4_T5_T6_T7_T8_P12ihipStream_tbENKUlT_T0_E_clISt17integral_constantIbLb1EES13_EEDaSY_SZ_EUlSY_E_NS1_11comp_targetILNS1_3genE4ELNS1_11target_archE910ELNS1_3gpuE8ELNS1_3repE0EEENS1_30default_config_static_selectorELNS0_4arch9wavefront6targetE1EEEvT1_,@function
_ZN7rocprim17ROCPRIM_400000_NS6detail17trampoline_kernelINS0_14default_configENS1_29reduce_by_key_config_selectorIalN6thrust23THRUST_200600_302600_NS4plusIlEEEEZZNS1_33reduce_by_key_impl_wrapped_configILNS1_25lookback_scan_determinismE0ES3_S9_PaNS6_17constant_iteratorIiNS6_11use_defaultESE_EENS6_10device_ptrIaEENSG_IlEEPmS8_NS6_8equal_toIaEEEE10hipError_tPvRmT2_T3_mT4_T5_T6_T7_T8_P12ihipStream_tbENKUlT_T0_E_clISt17integral_constantIbLb1EES13_EEDaSY_SZ_EUlSY_E_NS1_11comp_targetILNS1_3genE4ELNS1_11target_archE910ELNS1_3gpuE8ELNS1_3repE0EEENS1_30default_config_static_selectorELNS0_4arch9wavefront6targetE1EEEvT1_: ; @_ZN7rocprim17ROCPRIM_400000_NS6detail17trampoline_kernelINS0_14default_configENS1_29reduce_by_key_config_selectorIalN6thrust23THRUST_200600_302600_NS4plusIlEEEEZZNS1_33reduce_by_key_impl_wrapped_configILNS1_25lookback_scan_determinismE0ES3_S9_PaNS6_17constant_iteratorIiNS6_11use_defaultESE_EENS6_10device_ptrIaEENSG_IlEEPmS8_NS6_8equal_toIaEEEE10hipError_tPvRmT2_T3_mT4_T5_T6_T7_T8_P12ihipStream_tbENKUlT_T0_E_clISt17integral_constantIbLb1EES13_EEDaSY_SZ_EUlSY_E_NS1_11comp_targetILNS1_3genE4ELNS1_11target_archE910ELNS1_3gpuE8ELNS1_3repE0EEENS1_30default_config_static_selectorELNS0_4arch9wavefront6targetE1EEEvT1_
; %bb.0:
	s_load_dwordx4 s[52:55], s[4:5], 0x20
	s_load_dwordx2 s[56:57], s[4:5], 0x30
	s_load_dwordx2 s[30:31], s[4:5], 0x80
	v_cmp_ne_u32_e64 s[2:3], 0, v0
	v_cmp_eq_u32_e64 s[0:1], 0, v0
	s_and_saveexec_b64 s[6:7], s[0:1]
	s_cbranch_execz .LBB683_4
; %bb.1:
	s_mov_b64 s[10:11], exec
	v_mbcnt_lo_u32_b32 v1, s10, 0
	v_mbcnt_hi_u32_b32 v1, s11, v1
	v_cmp_eq_u32_e32 vcc, 0, v1
                                        ; implicit-def: $vgpr2
	s_and_saveexec_b64 s[8:9], vcc
	s_cbranch_execz .LBB683_3
; %bb.2:
	s_load_dwordx2 s[12:13], s[4:5], 0x88
	s_bcnt1_i32_b64 s10, s[10:11]
	v_mov_b32_e32 v2, 0
	v_mov_b32_e32 v3, s10
	s_waitcnt lgkmcnt(0)
	global_atomic_add v2, v2, v3, s[12:13] glc
.LBB683_3:
	s_or_b64 exec, exec, s[8:9]
	s_waitcnt vmcnt(0)
	v_readfirstlane_b32 s8, v2
	v_add_u32_e32 v1, s8, v1
	v_mov_b32_e32 v2, 0
	ds_write_b32 v2, v1
.LBB683_4:
	s_or_b64 exec, exec, s[6:7]
	s_load_dwordx4 s[8:11], s[4:5], 0x0
	s_load_dword s6, s[4:5], 0x18
	s_load_dwordx16 s[36:51], s[4:5], 0x40
	v_mov_b32_e32 v1, 0
	s_waitcnt lgkmcnt(0)
	s_barrier
	ds_read_b32 v1, v1
	s_mul_i32 s4, s44, s43
	s_mul_hi_u32 s5, s44, s42
	s_add_i32 s4, s5, s4
	s_mul_i32 s5, s45, s42
	s_add_i32 s5, s4, s5
	s_add_u32 s7, s8, s10
	s_mul_i32 s4, s44, s42
	s_addc_u32 s8, s9, s11
	s_waitcnt lgkmcnt(0)
	v_readfirstlane_b32 s64, v1
	s_add_u32 s4, s4, s64
	s_addc_u32 s5, s5, 0
	s_movk_i32 s9, 0xf00
	s_add_u32 s12, s46, -1
	v_mul_lo_u32 v1, v1, s9
	s_addc_u32 s13, s47, -1
	v_mov_b32_e32 v2, s8
	v_add_co_u32_e32 v36, vcc, s7, v1
	s_cmp_eq_u64 s[4:5], s[12:13]
	v_addc_co_u32_e32 v37, vcc, 0, v2, vcc
	s_cselect_b64 s[44:45], -1, 0
	s_cmp_lg_u64 s[4:5], s[12:13]
	s_mov_b64 s[10:11], -1
	s_cselect_b64 s[8:9], -1, 0
	s_mul_i32 s33, s12, 0xfffff100
	s_and_b64 vcc, exec, s[44:45]
	v_mad_u32_u24 v6, v0, 14, v0
	s_barrier
	s_cbranch_vccnz .LBB683_6
; %bb.5:
	v_readfirstlane_b32 s10, v36
	v_readfirstlane_b32 s11, v37
	s_nop 4
	global_load_ubyte v1, v0, s[10:11]
	global_load_ubyte v2, v0, s[10:11] offset:256
	global_load_ubyte v3, v0, s[10:11] offset:512
	;; [unrolled: 1-line block ×14, first 2 shown]
	s_ashr_i32 s7, s6, 31
	v_mul_u32_u24_e32 v7, 15, v0
	v_mad_u32_u24 v20, v0, 15, 1
	v_mad_u32_u24 v19, v0, 15, 2
	;; [unrolled: 1-line block ×14, first 2 shown]
	v_mad_i32_i24 v33, v0, -7, v6
	v_pk_mov_b32 v[22:23], s[6:7], s[6:7] op_sel:[0,1]
	s_waitcnt vmcnt(14)
	ds_write_b8 v0, v1
	s_waitcnt vmcnt(13)
	ds_write_b8 v0, v2 offset:256
	s_waitcnt vmcnt(12)
	ds_write_b8 v0, v3 offset:512
	;; [unrolled: 2-line block ×14, first 2 shown]
	s_waitcnt lgkmcnt(0)
	s_barrier
	ds_read_b96 v[2:4], v6
	ds_read_u8 v72, v6 offset:12
	ds_read_u8 v5, v6 offset:13
	;; [unrolled: 1-line block ×3, first 2 shown]
	s_waitcnt lgkmcnt(0)
	v_lshrrev_b32_e32 v90, 8, v2
	v_lshrrev_b32_e32 v89, 16, v2
	;; [unrolled: 1-line block ×9, first 2 shown]
	s_barrier
	ds_write2st64_b64 v33, v[22:23], v[22:23] offset1:4
	ds_write2st64_b64 v33, v[22:23], v[22:23] offset0:8 offset1:12
	ds_write2st64_b64 v33, v[22:23], v[22:23] offset0:16 offset1:20
	;; [unrolled: 1-line block ×6, first 2 shown]
	ds_write_b64 v33, v[22:23] offset:28672
	s_waitcnt lgkmcnt(0)
	s_barrier
	s_add_i32 s33, s33, s48
	s_cbranch_execz .LBB683_7
	s_branch .LBB683_38
.LBB683_6:
                                        ; implicit-def: $vgpr16
                                        ; implicit-def: $vgpr17
                                        ; implicit-def: $vgpr34
                                        ; implicit-def: $vgpr8
                                        ; implicit-def: $vgpr9
                                        ; implicit-def: $vgpr10
                                        ; implicit-def: $vgpr11
                                        ; implicit-def: $vgpr12
                                        ; implicit-def: $vgpr13
                                        ; implicit-def: $vgpr14
                                        ; implicit-def: $vgpr15
                                        ; implicit-def: $vgpr18
                                        ; implicit-def: $vgpr19
                                        ; implicit-def: $vgpr20
                                        ; implicit-def: $vgpr7
                                        ; implicit-def: $vgpr2
                                        ; implicit-def: $vgpr90
                                        ; implicit-def: $vgpr89
                                        ; implicit-def: $vgpr87
                                        ; implicit-def: $vgpr85
                                        ; implicit-def: $vgpr83
                                        ; implicit-def: $vgpr82
                                        ; implicit-def: $vgpr79
                                        ; implicit-def: $vgpr78
                                        ; implicit-def: $vgpr76
                                        ; implicit-def: $vgpr72
                                        ; implicit-def: $vgpr5
                                        ; implicit-def: $vgpr1
	s_andn2_b64 vcc, exec, s[10:11]
	s_add_i32 s33, s33, s48
	s_cbranch_vccnz .LBB683_38
.LBB683_7:
	v_cmp_gt_u32_e32 vcc, s33, v0
                                        ; implicit-def: $vgpr1
	s_and_saveexec_b64 s[10:11], vcc
	s_cbranch_execz .LBB683_9
; %bb.8:
	v_readfirstlane_b32 s12, v36
	v_readfirstlane_b32 s13, v37
	s_nop 4
	global_load_ubyte v1, v0, s[12:13]
.LBB683_9:
	s_or_b64 exec, exec, s[10:11]
	v_or_b32_e32 v2, 0x100, v0
	v_cmp_gt_u32_e32 vcc, s33, v2
                                        ; implicit-def: $vgpr2
	s_and_saveexec_b64 s[10:11], vcc
	s_cbranch_execz .LBB683_11
; %bb.10:
	v_readfirstlane_b32 s12, v36
	v_readfirstlane_b32 s13, v37
	s_nop 4
	global_load_ubyte v2, v0, s[12:13] offset:256
.LBB683_11:
	s_or_b64 exec, exec, s[10:11]
	v_or_b32_e32 v3, 0x200, v0
	v_cmp_gt_u32_e32 vcc, s33, v3
                                        ; implicit-def: $vgpr3
	s_and_saveexec_b64 s[10:11], vcc
	s_cbranch_execz .LBB683_13
; %bb.12:
	v_readfirstlane_b32 s12, v36
	v_readfirstlane_b32 s13, v37
	s_nop 4
	global_load_ubyte v3, v0, s[12:13] offset:512
.LBB683_13:
	s_or_b64 exec, exec, s[10:11]
	v_or_b32_e32 v4, 0x300, v0
	v_cmp_gt_u32_e32 vcc, s33, v4
                                        ; implicit-def: $vgpr4
	s_and_saveexec_b64 s[10:11], vcc
	s_cbranch_execz .LBB683_15
; %bb.14:
	v_readfirstlane_b32 s12, v36
	v_readfirstlane_b32 s13, v37
	s_nop 4
	global_load_ubyte v4, v0, s[12:13] offset:768
.LBB683_15:
	s_or_b64 exec, exec, s[10:11]
	v_or_b32_e32 v5, 0x400, v0
	v_cmp_gt_u32_e32 vcc, s33, v5
                                        ; implicit-def: $vgpr5
	s_and_saveexec_b64 s[10:11], vcc
	s_cbranch_execz .LBB683_17
; %bb.16:
	v_readfirstlane_b32 s12, v36
	v_readfirstlane_b32 s13, v37
	s_nop 4
	global_load_ubyte v5, v0, s[12:13] offset:1024
.LBB683_17:
	s_or_b64 exec, exec, s[10:11]
	v_or_b32_e32 v7, 0x500, v0
	v_cmp_gt_u32_e32 vcc, s33, v7
                                        ; implicit-def: $vgpr7
	s_and_saveexec_b64 s[10:11], vcc
	s_cbranch_execz .LBB683_19
; %bb.18:
	v_readfirstlane_b32 s12, v36
	v_readfirstlane_b32 s13, v37
	s_nop 4
	global_load_ubyte v7, v0, s[12:13] offset:1280
.LBB683_19:
	s_or_b64 exec, exec, s[10:11]
	v_or_b32_e32 v8, 0x600, v0
	v_cmp_gt_u32_e32 vcc, s33, v8
                                        ; implicit-def: $vgpr8
	s_and_saveexec_b64 s[10:11], vcc
	s_cbranch_execz .LBB683_21
; %bb.20:
	v_readfirstlane_b32 s12, v36
	v_readfirstlane_b32 s13, v37
	s_nop 4
	global_load_ubyte v8, v0, s[12:13] offset:1536
.LBB683_21:
	s_or_b64 exec, exec, s[10:11]
	v_or_b32_e32 v9, 0x700, v0
	v_cmp_gt_u32_e32 vcc, s33, v9
                                        ; implicit-def: $vgpr9
	s_and_saveexec_b64 s[10:11], vcc
	s_cbranch_execz .LBB683_23
; %bb.22:
	v_readfirstlane_b32 s12, v36
	v_readfirstlane_b32 s13, v37
	s_nop 4
	global_load_ubyte v9, v0, s[12:13] offset:1792
.LBB683_23:
	s_or_b64 exec, exec, s[10:11]
	v_or_b32_e32 v10, 0x800, v0
	v_cmp_gt_u32_e32 vcc, s33, v10
                                        ; implicit-def: $vgpr10
	s_and_saveexec_b64 s[10:11], vcc
	s_cbranch_execz .LBB683_25
; %bb.24:
	v_readfirstlane_b32 s12, v36
	v_readfirstlane_b32 s13, v37
	s_nop 4
	global_load_ubyte v10, v0, s[12:13] offset:2048
.LBB683_25:
	s_or_b64 exec, exec, s[10:11]
	v_or_b32_e32 v11, 0x900, v0
	v_cmp_gt_u32_e32 vcc, s33, v11
                                        ; implicit-def: $vgpr11
	s_and_saveexec_b64 s[10:11], vcc
	s_cbranch_execz .LBB683_27
; %bb.26:
	v_readfirstlane_b32 s12, v36
	v_readfirstlane_b32 s13, v37
	s_nop 4
	global_load_ubyte v11, v0, s[12:13] offset:2304
.LBB683_27:
	s_or_b64 exec, exec, s[10:11]
	v_or_b32_e32 v12, 0xa00, v0
	v_cmp_gt_u32_e32 vcc, s33, v12
                                        ; implicit-def: $vgpr12
	s_and_saveexec_b64 s[10:11], vcc
	s_cbranch_execz .LBB683_29
; %bb.28:
	v_readfirstlane_b32 s12, v36
	v_readfirstlane_b32 s13, v37
	s_nop 4
	global_load_ubyte v12, v0, s[12:13] offset:2560
.LBB683_29:
	s_or_b64 exec, exec, s[10:11]
	v_or_b32_e32 v13, 0xb00, v0
	v_cmp_gt_u32_e32 vcc, s33, v13
                                        ; implicit-def: $vgpr13
	s_and_saveexec_b64 s[10:11], vcc
	s_cbranch_execz .LBB683_31
; %bb.30:
	v_readfirstlane_b32 s12, v36
	v_readfirstlane_b32 s13, v37
	s_nop 4
	global_load_ubyte v13, v0, s[12:13] offset:2816
.LBB683_31:
	s_or_b64 exec, exec, s[10:11]
	v_or_b32_e32 v14, 0xc00, v0
	v_cmp_gt_u32_e32 vcc, s33, v14
                                        ; implicit-def: $vgpr14
	s_and_saveexec_b64 s[10:11], vcc
	s_cbranch_execz .LBB683_33
; %bb.32:
	v_readfirstlane_b32 s12, v36
	v_readfirstlane_b32 s13, v37
	s_nop 4
	global_load_ubyte v14, v0, s[12:13] offset:3072
.LBB683_33:
	s_or_b64 exec, exec, s[10:11]
	v_or_b32_e32 v15, 0xd00, v0
	v_cmp_gt_u32_e32 vcc, s33, v15
                                        ; implicit-def: $vgpr15
	s_and_saveexec_b64 s[10:11], vcc
	s_cbranch_execz .LBB683_35
; %bb.34:
	v_readfirstlane_b32 s12, v36
	v_readfirstlane_b32 s13, v37
	s_nop 4
	global_load_ubyte v15, v0, s[12:13] offset:3328
.LBB683_35:
	s_or_b64 exec, exec, s[10:11]
	v_or_b32_e32 v16, 0xe00, v0
	v_cmp_gt_u32_e32 vcc, s33, v16
                                        ; implicit-def: $vgpr16
	s_and_saveexec_b64 s[10:11], vcc
	s_cbranch_execz .LBB683_37
; %bb.36:
	v_readfirstlane_b32 s12, v36
	v_readfirstlane_b32 s13, v37
	s_nop 4
	global_load_ubyte v16, v0, s[12:13] offset:3584
.LBB683_37:
	s_or_b64 exec, exec, s[10:11]
	s_waitcnt vmcnt(0)
	ds_write_b8 v0, v1
	ds_write_b8 v0, v2 offset:256
	ds_write_b8 v0, v3 offset:512
	ds_write_b8 v0, v4 offset:768
	ds_write_b8 v0, v5 offset:1024
	ds_write_b8 v0, v7 offset:1280
	ds_write_b8 v0, v8 offset:1536
	ds_write_b8 v0, v9 offset:1792
	ds_write_b8 v0, v10 offset:2048
	ds_write_b8 v0, v11 offset:2304
	ds_write_b8 v0, v12 offset:2560
	ds_write_b8 v0, v13 offset:2816
	ds_write_b8 v0, v14 offset:3072
	ds_write_b8 v0, v15 offset:3328
	ds_write_b8 v0, v16 offset:3584
	s_waitcnt lgkmcnt(0)
	s_barrier
	ds_read_b96 v[2:4], v6
	ds_read_u8 v72, v6 offset:12
	ds_read_u8 v5, v6 offset:13
	ds_read_u8 v1, v6 offset:14
	s_ashr_i32 s7, s6, 31
	v_mul_u32_u24_e32 v7, 15, v0
	v_mad_u32_u24 v20, v0, 15, 1
	s_waitcnt lgkmcnt(3)
	v_lshrrev_b32_e32 v90, 8, v2
	v_lshrrev_b32_e32 v89, 16, v2
	;; [unrolled: 1-line block ×9, first 2 shown]
	v_mad_u32_u24 v19, v0, 15, 2
	v_mad_u32_u24 v18, v0, 15, 3
	;; [unrolled: 1-line block ×13, first 2 shown]
	v_mad_i32_i24 v6, v0, -7, v6
	v_pk_mov_b32 v[22:23], s[6:7], s[6:7] op_sel:[0,1]
	s_waitcnt lgkmcnt(0)
	s_barrier
	ds_write2st64_b64 v6, v[22:23], v[22:23] offset1:4
	ds_write2st64_b64 v6, v[22:23], v[22:23] offset0:8 offset1:12
	ds_write2st64_b64 v6, v[22:23], v[22:23] offset0:16 offset1:20
	;; [unrolled: 1-line block ×6, first 2 shown]
	ds_write_b64 v6, v[22:23] offset:28672
	s_waitcnt lgkmcnt(0)
	s_barrier
.LBB683_38:
	v_lshlrev_b32_e32 v6, 3, v7
	v_lshlrev_b32_e32 v7, 3, v20
	v_lshlrev_b32_e32 v19, 3, v19
	v_lshlrev_b32_e32 v18, 3, v18
	ds_read_b64 v[32:33], v6
	ds_read_b64 v[30:31], v7
	ds_read_b64 v[28:29], v19
	ds_read_b64 v[24:25], v18
	v_lshlrev_b32_e32 v6, 3, v15
	v_lshlrev_b32_e32 v7, 3, v14
	v_lshlrev_b32_e32 v13, 3, v13
	v_lshlrev_b32_e32 v12, 3, v12
	ds_read_b64 v[26:27], v6
	ds_read_b64 v[22:23], v7
	ds_read_b64 v[20:21], v13
	ds_read_b64 v[14:15], v12
	;; [unrolled: 8-line block ×3, first 2 shown]
	v_lshlrev_b32_e32 v6, 3, v34
	v_lshlrev_b32_e32 v17, 3, v17
	;; [unrolled: 1-line block ×3, first 2 shown]
	ds_read_b64 v[6:7], v6
	ds_read_b64 v[16:17], v17
	ds_read_b64 v[34:35], v34
	s_cmp_eq_u64 s[4:5], 0
	s_cselect_b64 s[46:47], -1, 0
	s_cmp_lg_u64 s[4:5], 0
	s_mov_b64 s[6:7], 0
	s_cselect_b64 s[10:11], -1, 0
	s_and_b64 vcc, exec, s[8:9]
	s_waitcnt lgkmcnt(0)
	s_barrier
	s_cbranch_vccz .LBB683_44
; %bb.39:
	s_and_b64 vcc, exec, s[10:11]
	s_cbranch_vccz .LBB683_45
; %bb.40:
	global_load_ubyte v38, v[36:37], off offset:-1
	v_cmp_ne_u16_sdwa s[6:7], v5, v1 src0_sel:BYTE_0 src1_sel:BYTE_0
	v_cmp_ne_u16_sdwa s[8:9], v72, v5 src0_sel:BYTE_0 src1_sel:BYTE_0
	;; [unrolled: 1-line block ×14, first 2 shown]
	ds_write_b8 v0, v1
	s_waitcnt lgkmcnt(0)
	s_barrier
	s_and_saveexec_b64 s[62:63], s[2:3]
	s_cbranch_execz .LBB683_42
; %bb.41:
	s_waitcnt vmcnt(0)
	v_add_u32_e32 v38, -1, v0
	ds_read_u8 v38, v38
.LBB683_42:
	s_or_b64 exec, exec, s[62:63]
	s_waitcnt vmcnt(0) lgkmcnt(0)
	v_and_b32_e32 v38, 0xff, v38
	v_cndmask_b32_e64 v73, 0, 1, s[6:7]
	v_cndmask_b32_e64 v74, 0, 1, s[8:9]
	;; [unrolled: 1-line block ×14, first 2 shown]
	v_cmp_ne_u16_sdwa s[8:9], v38, v2 src0_sel:DWORD src1_sel:BYTE_0
	s_mov_b64 s[6:7], -1
.LBB683_43:
                                        ; implicit-def: $sgpr14
	s_branch .LBB683_57
.LBB683_44:
                                        ; implicit-def: $sgpr8_sgpr9
                                        ; implicit-def: $vgpr73
                                        ; implicit-def: $vgpr74
                                        ; implicit-def: $vgpr75
                                        ; implicit-def: $vgpr77
                                        ; implicit-def: $vgpr80
                                        ; implicit-def: $vgpr81
                                        ; implicit-def: $vgpr84
                                        ; implicit-def: $vgpr86
                                        ; implicit-def: $vgpr88
                                        ; implicit-def: $vgpr91
                                        ; implicit-def: $vgpr92
                                        ; implicit-def: $vgpr93
                                        ; implicit-def: $vgpr94
                                        ; implicit-def: $vgpr95
                                        ; implicit-def: $sgpr14
	s_cbranch_execnz .LBB683_49
	s_branch .LBB683_57
.LBB683_45:
                                        ; implicit-def: $sgpr8_sgpr9
                                        ; implicit-def: $vgpr73
                                        ; implicit-def: $vgpr74
                                        ; implicit-def: $vgpr75
                                        ; implicit-def: $vgpr77
                                        ; implicit-def: $vgpr80
                                        ; implicit-def: $vgpr81
                                        ; implicit-def: $vgpr84
                                        ; implicit-def: $vgpr86
                                        ; implicit-def: $vgpr88
                                        ; implicit-def: $vgpr91
                                        ; implicit-def: $vgpr92
                                        ; implicit-def: $vgpr93
                                        ; implicit-def: $vgpr94
                                        ; implicit-def: $vgpr95
	s_cbranch_execz .LBB683_43
; %bb.46:
	v_cmp_ne_u16_sdwa s[8:9], v5, v1 src0_sel:BYTE_0 src1_sel:BYTE_0
	v_cndmask_b32_e64 v73, 0, 1, s[8:9]
	v_cmp_ne_u16_sdwa s[8:9], v72, v5 src0_sel:BYTE_0 src1_sel:BYTE_0
	v_cndmask_b32_e64 v74, 0, 1, s[8:9]
	;; [unrolled: 2-line block ×14, first 2 shown]
	ds_write_b8 v0, v1
	s_waitcnt lgkmcnt(0)
	s_barrier
	s_waitcnt lgkmcnt(0)
                                        ; implicit-def: $sgpr8_sgpr9
	s_and_saveexec_b64 s[12:13], s[2:3]
	s_xor_b64 s[12:13], exec, s[12:13]
	s_cbranch_execz .LBB683_48
; %bb.47:
	v_add_u32_e32 v38, -1, v0
	ds_read_u8 v38, v38
	s_or_b64 s[6:7], s[6:7], exec
	s_waitcnt lgkmcnt(0)
	v_cmp_ne_u16_sdwa s[8:9], v38, v2 src0_sel:DWORD src1_sel:BYTE_0
	s_and_b64 s[8:9], s[8:9], exec
.LBB683_48:
	s_or_b64 exec, exec, s[12:13]
	s_mov_b32 s14, 1
	s_branch .LBB683_57
.LBB683_49:
	s_mul_hi_u32 s8, s4, 0xfffff100
	s_mulk_i32 s5, 0xf100
	s_sub_i32 s8, s8, s4
	s_add_i32 s8, s8, s5
	s_mulk_i32 s4, 0xf100
	s_add_u32 s4, s4, s48
	s_addc_u32 s5, s8, s49
	s_and_b64 vcc, exec, s[10:11]
	s_cbranch_vccz .LBB683_54
; %bb.50:
	global_load_ubyte v40, v[36:37], off offset:-1
	v_mad_u32_u24 v38, v0, 15, 14
	v_mov_b32_e32 v39, 0
	v_cmp_gt_u64_e32 vcc, s[4:5], v[38:39]
	v_cmp_ne_u16_sdwa s[6:7], v5, v1 src0_sel:BYTE_0 src1_sel:BYTE_0
	v_mad_u32_u24 v38, v0, 15, 13
	s_and_b64 s[6:7], vcc, s[6:7]
	v_cmp_gt_u64_e32 vcc, s[4:5], v[38:39]
	v_cmp_ne_u16_sdwa s[8:9], v72, v5 src0_sel:BYTE_0 src1_sel:BYTE_0
	v_mad_u32_u24 v38, v0, 15, 12
	s_and_b64 s[8:9], vcc, s[8:9]
	;; [unrolled: 4-line block ×13, first 2 shown]
	v_cmp_gt_u64_e32 vcc, s[4:5], v[38:39]
	v_cmp_ne_u16_sdwa s[48:49], v2, v90 src0_sel:BYTE_0 src1_sel:BYTE_0
	v_mul_u32_u24_e32 v36, 15, v0
	s_and_b64 s[48:49], vcc, s[48:49]
	ds_write_b8 v0, v1
	s_waitcnt lgkmcnt(0)
	s_barrier
	s_and_saveexec_b64 s[58:59], s[2:3]
	s_cbranch_execz .LBB683_52
; %bb.51:
	v_add_u32_e32 v37, -1, v0
	s_waitcnt vmcnt(0)
	ds_read_u8 v40, v37
.LBB683_52:
	s_or_b64 exec, exec, s[58:59]
	v_mov_b32_e32 v37, v39
	v_cmp_gt_u64_e32 vcc, s[4:5], v[36:37]
	s_waitcnt vmcnt(0) lgkmcnt(0)
	v_and_b32_e32 v36, 0xff, v40
	v_cndmask_b32_e64 v73, 0, 1, s[6:7]
	v_cmp_ne_u16_sdwa s[6:7], v36, v2 src0_sel:DWORD src1_sel:BYTE_0
	v_cndmask_b32_e64 v74, 0, 1, s[8:9]
	v_cndmask_b32_e64 v75, 0, 1, s[10:11]
	;; [unrolled: 1-line block ×13, first 2 shown]
	s_and_b64 s[8:9], vcc, s[6:7]
	s_mov_b64 s[6:7], -1
.LBB683_53:
                                        ; implicit-def: $sgpr14
	v_mov_b32_e32 v96, s14
	s_and_saveexec_b64 s[2:3], s[6:7]
	s_cbranch_execnz .LBB683_58
	s_branch .LBB683_59
.LBB683_54:
                                        ; implicit-def: $sgpr8_sgpr9
                                        ; implicit-def: $vgpr73
                                        ; implicit-def: $vgpr74
                                        ; implicit-def: $vgpr75
                                        ; implicit-def: $vgpr77
                                        ; implicit-def: $vgpr80
                                        ; implicit-def: $vgpr81
                                        ; implicit-def: $vgpr84
                                        ; implicit-def: $vgpr86
                                        ; implicit-def: $vgpr88
                                        ; implicit-def: $vgpr91
                                        ; implicit-def: $vgpr92
                                        ; implicit-def: $vgpr93
                                        ; implicit-def: $vgpr94
                                        ; implicit-def: $vgpr95
	s_cbranch_execz .LBB683_53
; %bb.55:
	v_mad_u32_u24 v36, v0, 15, 14
	v_mov_b32_e32 v37, 0
	v_cmp_gt_u64_e32 vcc, s[4:5], v[36:37]
	v_cmp_ne_u16_sdwa s[8:9], v5, v1 src0_sel:BYTE_0 src1_sel:BYTE_0
	s_and_b64 s[8:9], vcc, s[8:9]
	v_mad_u32_u24 v36, v0, 15, 13
	v_cndmask_b32_e64 v73, 0, 1, s[8:9]
	v_cmp_gt_u64_e32 vcc, s[4:5], v[36:37]
	v_cmp_ne_u16_sdwa s[8:9], v72, v5 src0_sel:BYTE_0 src1_sel:BYTE_0
	s_and_b64 s[8:9], vcc, s[8:9]
	v_mad_u32_u24 v36, v0, 15, 12
	v_cndmask_b32_e64 v74, 0, 1, s[8:9]
	;; [unrolled: 5-line block ×13, first 2 shown]
	v_cmp_gt_u64_e32 vcc, s[4:5], v[36:37]
	v_cmp_ne_u16_sdwa s[8:9], v2, v90 src0_sel:BYTE_0 src1_sel:BYTE_0
	s_and_b64 s[8:9], vcc, s[8:9]
	s_mov_b32 s14, 1
	v_cndmask_b32_e64 v95, 0, 1, s[8:9]
	ds_write_b8 v0, v1
	s_waitcnt lgkmcnt(0)
	s_barrier
	s_waitcnt lgkmcnt(0)
                                        ; implicit-def: $sgpr8_sgpr9
	s_and_saveexec_b64 s[10:11], s[2:3]
	s_cbranch_execz .LBB683_209
; %bb.56:
	v_add_u32_e32 v36, -1, v0
	ds_read_u8 v38, v36
	v_mul_u32_u24_e32 v36, 15, v0
	v_cmp_gt_u64_e32 vcc, s[4:5], v[36:37]
	s_or_b64 s[6:7], s[6:7], exec
	s_waitcnt lgkmcnt(0)
	v_and_b32_e32 v36, 0xff, v38
	v_cmp_ne_u16_sdwa s[2:3], v36, v2 src0_sel:DWORD src1_sel:BYTE_0
	s_and_b64 s[2:3], vcc, s[2:3]
	s_and_b64 s[8:9], s[2:3], exec
	s_or_b64 exec, exec, s[10:11]
.LBB683_57:
	v_mov_b32_e32 v96, s14
	s_and_saveexec_b64 s[2:3], s[6:7]
.LBB683_58:
	v_cndmask_b32_e64 v96, 0, 1, s[8:9]
.LBB683_59:
	s_or_b64 exec, exec, s[2:3]
	s_cmp_eq_u64 s[42:43], 0
	v_add3_u32 v36, v95, v96, v94
	s_cselect_b64 s[34:35], -1, 0
	s_cmp_lg_u32 s64, 0
	v_cmp_eq_u32_e64 s[26:27], 0, v95
	v_cmp_eq_u32_e64 s[24:25], 0, v94
	;; [unrolled: 1-line block ×3, first 2 shown]
	v_add3_u32 v99, v36, v93, v92
	v_cmp_eq_u32_e64 s[20:21], 0, v92
	v_cmp_eq_u32_e64 s[18:19], 0, v91
	v_cmp_eq_u32_e64 s[16:17], 0, v88
	v_cmp_eq_u32_e64 s[14:15], 0, v86
	v_cmp_eq_u32_e64 s[12:13], 0, v84
	v_cmp_eq_u32_e64 s[10:11], 0, v81
	v_cmp_eq_u32_e64 s[8:9], 0, v80
	v_cmp_eq_u32_e64 s[6:7], 0, v77
	v_cmp_eq_u32_e64 s[4:5], 0, v75
	v_cmp_eq_u32_e64 s[2:3], 0, v74
	v_cmp_eq_u32_e32 vcc, 0, v73
	v_mbcnt_lo_u32_b32 v98, -1, 0
	s_cbranch_scc0 .LBB683_130
; %bb.60:
	v_cndmask_b32_e64 v37, 0, v32, s[26:27]
	v_cndmask_b32_e64 v36, 0, v33, s[26:27]
	v_add_co_u32_e64 v37, s[28:29], v37, v30
	v_addc_co_u32_e64 v36, s[28:29], v36, v31, s[28:29]
	v_cndmask_b32_e64 v37, 0, v37, s[24:25]
	v_cndmask_b32_e64 v36, 0, v36, s[24:25]
	v_add_co_u32_e64 v37, s[28:29], v37, v28
	v_addc_co_u32_e64 v36, s[28:29], v36, v29, s[28:29]
	;; [unrolled: 4-line block ×11, first 2 shown]
	v_cndmask_b32_e64 v37, 0, v37, s[4:5]
	v_add3_u32 v38, v99, v91, v88
	v_cndmask_b32_e64 v36, 0, v36, s[4:5]
	v_add_co_u32_e64 v37, s[28:29], v37, v6
	v_add3_u32 v38, v38, v86, v84
	v_addc_co_u32_e64 v36, s[28:29], v36, v7, s[28:29]
	v_cndmask_b32_e64 v37, 0, v37, s[2:3]
	v_add3_u32 v38, v38, v81, v80
	v_cndmask_b32_e64 v36, 0, v36, s[2:3]
	v_add_co_u32_e64 v37, s[28:29], v37, v16
	v_add3_u32 v38, v38, v77, v75
	v_addc_co_u32_e64 v36, s[28:29], v36, v17, s[28:29]
	v_cndmask_b32_e32 v37, 0, v37, vcc
	v_add3_u32 v40, v38, v74, v73
	v_cndmask_b32_e32 v36, 0, v36, vcc
	v_add_co_u32_e32 v38, vcc, v37, v34
	v_mbcnt_hi_u32_b32 v41, -1, v98
	v_addc_co_u32_e32 v39, vcc, v36, v35, vcc
	v_and_b32_e32 v36, 15, v41
	v_mov_b32_dpp v42, v40 row_shr:1 row_mask:0xf bank_mask:0xf
	v_mov_b32_dpp v37, v38 row_shr:1 row_mask:0xf bank_mask:0xf
	;; [unrolled: 1-line block ×3, first 2 shown]
	v_cmp_ne_u32_e32 vcc, 0, v36
	s_and_saveexec_b64 s[28:29], vcc
; %bb.61:
	v_cmp_eq_u32_e32 vcc, 0, v40
	v_cndmask_b32_e32 v37, 0, v37, vcc
	v_add_u32_e32 v42, v42, v40
	v_cndmask_b32_e32 v40, 0, v43, vcc
	v_add_co_u32_e32 v38, vcc, v37, v38
	v_addc_co_u32_e32 v39, vcc, v40, v39, vcc
	v_mov_b32_e32 v40, v42
; %bb.62:
	s_or_b64 exec, exec, s[28:29]
	s_nop 0
	v_mov_b32_dpp v42, v40 row_shr:2 row_mask:0xf bank_mask:0xf
	v_mov_b32_dpp v37, v38 row_shr:2 row_mask:0xf bank_mask:0xf
	v_mov_b32_dpp v43, v39 row_shr:2 row_mask:0xf bank_mask:0xf
	v_cmp_lt_u32_e32 vcc, 1, v36
	s_and_saveexec_b64 s[28:29], vcc
; %bb.63:
	v_cmp_eq_u32_e32 vcc, 0, v40
	v_cndmask_b32_e32 v37, 0, v37, vcc
	v_add_u32_e32 v42, v42, v40
	v_cndmask_b32_e32 v40, 0, v43, vcc
	v_add_co_u32_e32 v38, vcc, v37, v38
	v_addc_co_u32_e32 v39, vcc, v40, v39, vcc
	v_mov_b32_e32 v40, v42
; %bb.64:
	s_or_b64 exec, exec, s[28:29]
	s_nop 0
	v_mov_b32_dpp v42, v40 row_shr:4 row_mask:0xf bank_mask:0xf
	v_mov_b32_dpp v37, v38 row_shr:4 row_mask:0xf bank_mask:0xf
	v_mov_b32_dpp v43, v39 row_shr:4 row_mask:0xf bank_mask:0xf
	v_cmp_lt_u32_e32 vcc, 3, v36
	;; [unrolled: 16-line block ×3, first 2 shown]
	s_and_saveexec_b64 s[28:29], vcc
; %bb.67:
	v_cmp_eq_u32_e32 vcc, 0, v40
	v_cndmask_b32_e32 v37, 0, v37, vcc
	v_add_u32_e32 v36, v42, v40
	v_cndmask_b32_e32 v40, 0, v43, vcc
	v_add_co_u32_e32 v38, vcc, v37, v38
	v_addc_co_u32_e32 v39, vcc, v40, v39, vcc
	v_mov_b32_e32 v40, v36
; %bb.68:
	s_or_b64 exec, exec, s[28:29]
	v_and_b32_e32 v43, 16, v41
	v_mov_b32_dpp v37, v40 row_bcast:15 row_mask:0xf bank_mask:0xf
	v_mov_b32_dpp v36, v38 row_bcast:15 row_mask:0xf bank_mask:0xf
	v_mov_b32_dpp v42, v39 row_bcast:15 row_mask:0xf bank_mask:0xf
	v_cmp_ne_u32_e32 vcc, 0, v43
	s_and_saveexec_b64 s[28:29], vcc
; %bb.69:
	v_cmp_eq_u32_e32 vcc, 0, v40
	v_cndmask_b32_e32 v36, 0, v36, vcc
	v_add_u32_e32 v37, v37, v40
	v_cndmask_b32_e32 v40, 0, v42, vcc
	v_add_co_u32_e32 v38, vcc, v36, v38
	v_addc_co_u32_e32 v39, vcc, v40, v39, vcc
	v_mov_b32_e32 v40, v37
; %bb.70:
	s_or_b64 exec, exec, s[28:29]
	s_nop 0
	v_mov_b32_dpp v37, v40 row_bcast:31 row_mask:0xf bank_mask:0xf
	v_mov_b32_dpp v36, v38 row_bcast:31 row_mask:0xf bank_mask:0xf
	v_mov_b32_dpp v42, v39 row_bcast:31 row_mask:0xf bank_mask:0xf
	v_cmp_lt_u32_e32 vcc, 31, v41
	s_and_saveexec_b64 s[28:29], vcc
; %bb.71:
	v_cmp_eq_u32_e32 vcc, 0, v40
	v_cndmask_b32_e32 v36, 0, v36, vcc
	v_add_u32_e32 v37, v37, v40
	v_cndmask_b32_e32 v40, 0, v42, vcc
	v_add_co_u32_e32 v38, vcc, v36, v38
	v_addc_co_u32_e32 v39, vcc, v40, v39, vcc
	v_mov_b32_e32 v40, v37
; %bb.72:
	s_or_b64 exec, exec, s[28:29]
	v_lshrrev_b32_e32 v36, 6, v0
	v_or_b32_e32 v37, 63, v0
	v_cmp_eq_u32_e32 vcc, v37, v0
	v_lshlrev_b32_e32 v42, 4, v36
	s_and_saveexec_b64 s[28:29], vcc
	s_cbranch_execz .LBB683_74
; %bb.73:
	ds_write_b32 v42, v40 offset:544
	ds_write_b64 v42, v[38:39] offset:552
.LBB683_74:
	s_or_b64 exec, exec, s[28:29]
	v_cmp_gt_u32_e32 vcc, 4, v0
	s_waitcnt lgkmcnt(0)
	s_barrier
	s_and_saveexec_b64 s[28:29], vcc
	s_cbranch_execz .LBB683_80
; %bb.75:
	v_lshlrev_b32_e32 v43, 4, v0
	ds_read_b32 v44, v43 offset:544
	ds_read_b64 v[36:37], v43 offset:552
	v_and_b32_e32 v45, 3, v41
	v_cmp_ne_u32_e32 vcc, 0, v45
	s_waitcnt lgkmcnt(1)
	v_mov_b32_dpp v47, v44 row_shr:1 row_mask:0xf bank_mask:0xf
	s_waitcnt lgkmcnt(0)
	v_mov_b32_dpp v46, v36 row_shr:1 row_mask:0xf bank_mask:0xf
	v_mov_b32_dpp v48, v37 row_shr:1 row_mask:0xf bank_mask:0xf
	s_and_saveexec_b64 s[42:43], vcc
; %bb.76:
	v_cmp_eq_u32_e32 vcc, 0, v44
	v_cndmask_b32_e32 v46, 0, v46, vcc
	v_add_u32_e32 v47, v47, v44
	v_cndmask_b32_e32 v44, 0, v48, vcc
	v_add_co_u32_e32 v36, vcc, v46, v36
	v_addc_co_u32_e32 v37, vcc, v44, v37, vcc
	v_mov_b32_e32 v44, v47
; %bb.77:
	s_or_b64 exec, exec, s[42:43]
	s_nop 0
	v_mov_b32_dpp v47, v44 row_shr:2 row_mask:0xf bank_mask:0xf
	v_mov_b32_dpp v46, v36 row_shr:2 row_mask:0xf bank_mask:0xf
	;; [unrolled: 1-line block ×3, first 2 shown]
	v_cmp_lt_u32_e32 vcc, 1, v45
	s_and_saveexec_b64 s[42:43], vcc
; %bb.78:
	v_cmp_eq_u32_e32 vcc, 0, v44
	v_cndmask_b32_e32 v46, 0, v46, vcc
	v_add_u32_e32 v45, v47, v44
	v_cndmask_b32_e32 v44, 0, v48, vcc
	v_add_co_u32_e32 v36, vcc, v46, v36
	v_addc_co_u32_e32 v37, vcc, v44, v37, vcc
	v_mov_b32_e32 v44, v45
; %bb.79:
	s_or_b64 exec, exec, s[42:43]
	ds_write_b32 v43, v44 offset:544
	ds_write_b64 v43, v[36:37] offset:552
.LBB683_80:
	s_or_b64 exec, exec, s[28:29]
	v_cmp_gt_u32_e32 vcc, 64, v0
	v_cmp_lt_u32_e64 s[28:29], 63, v0
	v_pk_mov_b32 v[36:37], 0, 0
	v_mov_b32_e32 v48, 0
	s_waitcnt lgkmcnt(0)
	s_barrier
	s_and_saveexec_b64 s[42:43], s[28:29]
	s_cbranch_execz .LBB683_82
; %bb.81:
	ds_read_b32 v48, v42 offset:528
	ds_read_b64 v[36:37], v42 offset:536
	v_cmp_eq_u32_e64 s[28:29], 0, v40
	s_waitcnt lgkmcnt(1)
	v_add_u32_e32 v42, v48, v40
	s_waitcnt lgkmcnt(0)
	v_cndmask_b32_e64 v43, 0, v36, s[28:29]
	v_cndmask_b32_e64 v40, 0, v37, s[28:29]
	v_add_co_u32_e64 v38, s[28:29], v43, v38
	v_addc_co_u32_e64 v39, s[28:29], v40, v39, s[28:29]
	v_mov_b32_e32 v40, v42
.LBB683_82:
	s_or_b64 exec, exec, s[42:43]
	v_add_u32_e32 v42, -1, v41
	v_and_b32_e32 v43, 64, v41
	v_cmp_lt_i32_e64 s[28:29], v42, v43
	v_cndmask_b32_e64 v42, v42, v41, s[28:29]
	v_lshlrev_b32_e32 v42, 2, v42
	ds_bpermute_b32 v49, v42, v40
	ds_bpermute_b32 v50, v42, v38
	;; [unrolled: 1-line block ×3, first 2 shown]
	v_cmp_eq_u32_e64 s[28:29], 0, v41
	s_and_saveexec_b64 s[42:43], vcc
	s_cbranch_execz .LBB683_129
; %bb.83:
	v_mov_b32_e32 v43, 0
	ds_read_b32 v52, v43 offset:592
	ds_read_b64 v[38:39], v43 offset:600
	s_and_saveexec_b64 s[48:49], s[28:29]
	s_cbranch_execz .LBB683_85
; %bb.84:
	s_add_i32 s58, s64, 64
	s_mov_b32 s59, 0
	s_lshl_b64 s[60:61], s[58:59], 4
	s_add_u32 s60, s36, s60
	s_addc_u32 s61, s37, s61
	v_mov_b32_e32 v40, s58
	v_mov_b32_e32 v42, 1
	s_waitcnt lgkmcnt(1)
	global_store_dword v43, v52, s[60:61]
	s_waitcnt lgkmcnt(0)
	global_store_dwordx2 v43, v[38:39], s[60:61] offset:8
	s_waitcnt vmcnt(0)
	buffer_wbinvl1_vol
	global_store_byte v40, v42, s[40:41]
.LBB683_85:
	s_or_b64 exec, exec, s[48:49]
	v_xad_u32 v40, v41, -1, s64
	v_add_u32_e32 v42, 64, v40
	global_load_ubyte v53, v42, s[40:41] glc
	s_waitcnt vmcnt(0)
	v_cmp_eq_u16_e32 vcc, 0, v53
	s_and_saveexec_b64 s[48:49], vcc
	s_cbranch_execz .LBB683_91
; %bb.86:
	v_mov_b32_e32 v45, s41
	v_add_co_u32_e32 v44, vcc, s40, v42
	v_addc_co_u32_e32 v45, vcc, 0, v45, vcc
	s_mov_b32 s60, 1
	s_mov_b64 s[58:59], 0
.LBB683_87:                             ; =>This Loop Header: Depth=1
                                        ;     Child Loop BB683_88 Depth 2
	s_max_u32 s61, s60, 1
.LBB683_88:                             ;   Parent Loop BB683_87 Depth=1
                                        ; =>  This Inner Loop Header: Depth=2
	s_add_i32 s61, s61, -1
	s_cmp_eq_u32 s61, 0
	s_sleep 1
	s_cbranch_scc0 .LBB683_88
; %bb.89:                               ;   in Loop: Header=BB683_87 Depth=1
	global_load_ubyte v53, v[44:45], off glc
	s_cmp_lt_u32 s60, 32
	s_cselect_b64 s[62:63], -1, 0
	s_cmp_lg_u64 s[62:63], 0
	s_addc_u32 s60, s60, 0
	s_waitcnt vmcnt(0)
	v_cmp_ne_u16_e32 vcc, 0, v53
	s_or_b64 s[58:59], vcc, s[58:59]
	s_andn2_b64 exec, exec, s[58:59]
	s_cbranch_execnz .LBB683_87
; %bb.90:
	s_or_b64 exec, exec, s[58:59]
.LBB683_91:
	s_or_b64 exec, exec, s[48:49]
	v_mov_b32_e32 v44, s39
	v_mov_b32_e32 v45, s37
	v_cmp_eq_u16_e32 vcc, 1, v53
	v_cndmask_b32_e32 v44, v44, v45, vcc
	v_mov_b32_e32 v45, s38
	v_mov_b32_e32 v46, s36
	v_cndmask_b32_e32 v45, v45, v46, vcc
	v_lshlrev_b64 v[42:43], 4, v[42:43]
	v_add_co_u32_e32 v42, vcc, v45, v42
	v_addc_co_u32_e32 v43, vcc, v44, v43, vcc
	s_waitcnt lgkmcnt(0)
	buffer_wbinvl1_vol
	global_load_dword v68, v[42:43], off
	global_load_dwordx2 v[46:47], v[42:43], off offset:8
	v_cmp_eq_u16_e32 vcc, 2, v53
	v_lshlrev_b64 v[42:43], v41, -1
	v_and_b32_e32 v54, 63, v41
	v_and_b32_e32 v44, vcc_hi, v43
	v_and_b32_e32 v58, vcc_lo, v42
	v_cmp_ne_u32_e32 vcc, 63, v54
	v_addc_co_u32_e32 v45, vcc, 0, v41, vcc
	v_lshlrev_b32_e32 v55, 2, v45
	v_or_b32_e32 v44, 0x80000000, v44
	v_ffbl_b32_e32 v44, v44
	v_add_u32_e32 v44, 32, v44
	v_ffbl_b32_e32 v58, v58
	v_min_u32_e32 v44, v58, v44
	v_cmp_lt_u32_e32 vcc, v54, v44
	s_waitcnt vmcnt(1)
	ds_bpermute_b32 v56, v55, v68
	s_waitcnt vmcnt(0)
	ds_bpermute_b32 v45, v55, v46
	ds_bpermute_b32 v57, v55, v47
	s_and_saveexec_b64 s[48:49], vcc
	s_cbranch_execz .LBB683_93
; %bb.92:
	v_cmp_eq_u32_e32 vcc, 0, v68
	s_waitcnt lgkmcnt(1)
	v_cndmask_b32_e32 v45, 0, v45, vcc
	v_add_u32_e32 v56, v56, v68
	s_waitcnt lgkmcnt(0)
	v_cndmask_b32_e32 v57, 0, v57, vcc
	v_add_co_u32_e32 v46, vcc, v45, v46
	v_addc_co_u32_e32 v47, vcc, v57, v47, vcc
	v_mov_b32_e32 v68, v56
.LBB683_93:
	s_or_b64 exec, exec, s[48:49]
	v_cmp_gt_u32_e32 vcc, 62, v54
	s_waitcnt lgkmcnt(1)
	v_cndmask_b32_e64 v45, 0, 1, vcc
	v_lshlrev_b32_e32 v45, 1, v45
	v_add_lshl_u32 v56, v45, v41, 2
	ds_bpermute_b32 v58, v56, v68
	ds_bpermute_b32 v45, v56, v46
	ds_bpermute_b32 v59, v56, v47
	s_waitcnt lgkmcnt(3)
	v_add_u32_e32 v57, 2, v54
	v_cmp_le_u32_e32 vcc, v57, v44
	s_and_saveexec_b64 s[48:49], vcc
	s_cbranch_execz .LBB683_95
; %bb.94:
	v_cmp_eq_u32_e32 vcc, 0, v68
	s_waitcnt lgkmcnt(1)
	v_cndmask_b32_e32 v45, 0, v45, vcc
	v_add_u32_e32 v58, v58, v68
	s_waitcnt lgkmcnt(0)
	v_cndmask_b32_e32 v59, 0, v59, vcc
	v_add_co_u32_e32 v46, vcc, v45, v46
	v_addc_co_u32_e32 v47, vcc, v59, v47, vcc
	v_mov_b32_e32 v68, v58
.LBB683_95:
	s_or_b64 exec, exec, s[48:49]
	v_cmp_gt_u32_e32 vcc, 60, v54
	s_waitcnt lgkmcnt(1)
	v_cndmask_b32_e64 v45, 0, 1, vcc
	v_lshlrev_b32_e32 v45, 2, v45
	v_add_lshl_u32 v58, v45, v41, 2
	ds_bpermute_b32 v60, v58, v68
	ds_bpermute_b32 v45, v58, v46
	ds_bpermute_b32 v61, v58, v47
	s_waitcnt lgkmcnt(3)
	v_add_u32_e32 v59, 4, v54
	v_cmp_le_u32_e32 vcc, v59, v44
	;; [unrolled: 25-line block ×4, first 2 shown]
	s_and_saveexec_b64 s[48:49], vcc
	s_cbranch_execz .LBB683_101
; %bb.100:
	v_cmp_eq_u32_e32 vcc, 0, v68
	s_waitcnt lgkmcnt(1)
	v_cndmask_b32_e32 v45, 0, v45, vcc
	v_add_u32_e32 v64, v64, v68
	s_waitcnt lgkmcnt(0)
	v_cndmask_b32_e32 v65, 0, v65, vcc
	v_add_co_u32_e32 v46, vcc, v45, v46
	v_addc_co_u32_e32 v47, vcc, v65, v47, vcc
	v_mov_b32_e32 v68, v64
.LBB683_101:
	s_or_b64 exec, exec, s[48:49]
	v_cmp_gt_u32_e32 vcc, 32, v54
	s_waitcnt lgkmcnt(1)
	v_cndmask_b32_e64 v45, 0, 1, vcc
	v_lshlrev_b32_e32 v45, 5, v45
	v_add_lshl_u32 v64, v45, v41, 2
	ds_bpermute_b32 v45, v64, v68
	ds_bpermute_b32 v41, v64, v46
	s_waitcnt lgkmcnt(2)
	ds_bpermute_b32 v65, v64, v47
	v_add_u32_e32 v66, 32, v54
	v_cmp_le_u32_e32 vcc, v66, v44
	s_and_saveexec_b64 s[48:49], vcc
	s_cbranch_execz .LBB683_103
; %bb.102:
	v_cmp_eq_u32_e32 vcc, 0, v68
	s_waitcnt lgkmcnt(1)
	v_cndmask_b32_e32 v41, 0, v41, vcc
	v_add_u32_e32 v44, v45, v68
	s_waitcnt lgkmcnt(0)
	v_cndmask_b32_e32 v45, 0, v65, vcc
	v_add_co_u32_e32 v46, vcc, v41, v46
	v_addc_co_u32_e32 v47, vcc, v45, v47, vcc
	v_mov_b32_e32 v68, v44
.LBB683_103:
	s_or_b64 exec, exec, s[48:49]
	s_waitcnt lgkmcnt(1)
	v_mov_b32_e32 v41, 0
	v_mov_b32_e32 v67, 2
	s_branch .LBB683_105
.LBB683_104:                            ;   in Loop: Header=BB683_105 Depth=1
	s_or_b64 exec, exec, s[48:49]
	v_cmp_eq_u32_e32 vcc, 0, v65
	v_cndmask_b32_e32 v46, 0, v46, vcc
	v_cndmask_b32_e32 v47, 0, v47, vcc
	v_add_co_u32_e32 v46, vcc, v46, v44
	v_subrev_u32_e32 v40, 64, v40
	v_add_u32_e32 v68, v69, v65
	v_addc_co_u32_e32 v47, vcc, v47, v45, vcc
.LBB683_105:                            ; =>This Loop Header: Depth=1
                                        ;     Child Loop BB683_108 Depth 2
                                        ;       Child Loop BB683_109 Depth 3
	v_cmp_ne_u16_sdwa s[48:49], v53, v67 src0_sel:BYTE_0 src1_sel:DWORD
	v_pk_mov_b32 v[44:45], v[46:47], v[46:47] op_sel:[0,1]
	v_cndmask_b32_e64 v46, 0, 1, s[48:49]
	;;#ASMSTART
	;;#ASMEND
	v_cmp_ne_u32_e32 vcc, 0, v46
	s_cmp_lg_u64 vcc, exec
	s_waitcnt lgkmcnt(0)
	v_mov_b32_e32 v65, v68
	s_cbranch_scc1 .LBB683_124
; %bb.106:                              ;   in Loop: Header=BB683_105 Depth=1
	global_load_ubyte v53, v40, s[40:41] glc
	s_waitcnt vmcnt(0)
	v_cmp_eq_u16_e32 vcc, 0, v53
	s_and_saveexec_b64 s[48:49], vcc
	s_cbranch_execz .LBB683_112
; %bb.107:                              ;   in Loop: Header=BB683_105 Depth=1
	v_mov_b32_e32 v47, s41
	v_add_co_u32_e32 v46, vcc, s40, v40
	v_addc_co_u32_e32 v47, vcc, 0, v47, vcc
	s_mov_b32 s60, 1
	s_mov_b64 s[58:59], 0
.LBB683_108:                            ;   Parent Loop BB683_105 Depth=1
                                        ; =>  This Loop Header: Depth=2
                                        ;       Child Loop BB683_109 Depth 3
	s_max_u32 s61, s60, 1
.LBB683_109:                            ;   Parent Loop BB683_105 Depth=1
                                        ;     Parent Loop BB683_108 Depth=2
                                        ; =>    This Inner Loop Header: Depth=3
	s_add_i32 s61, s61, -1
	s_cmp_eq_u32 s61, 0
	s_sleep 1
	s_cbranch_scc0 .LBB683_109
; %bb.110:                              ;   in Loop: Header=BB683_108 Depth=2
	global_load_ubyte v53, v[46:47], off glc
	s_cmp_lt_u32 s60, 32
	s_cselect_b64 s[62:63], -1, 0
	s_cmp_lg_u64 s[62:63], 0
	s_addc_u32 s60, s60, 0
	s_waitcnt vmcnt(0)
	v_cmp_ne_u16_e32 vcc, 0, v53
	s_or_b64 s[58:59], vcc, s[58:59]
	s_andn2_b64 exec, exec, s[58:59]
	s_cbranch_execnz .LBB683_108
; %bb.111:                              ;   in Loop: Header=BB683_105 Depth=1
	s_or_b64 exec, exec, s[58:59]
.LBB683_112:                            ;   in Loop: Header=BB683_105 Depth=1
	s_or_b64 exec, exec, s[48:49]
	v_mov_b32_e32 v46, s39
	v_mov_b32_e32 v47, s37
	v_cmp_eq_u16_e32 vcc, 1, v53
	v_cndmask_b32_e32 v68, v46, v47, vcc
	v_mov_b32_e32 v46, s38
	v_mov_b32_e32 v47, s36
	v_cndmask_b32_e32 v69, v46, v47, vcc
	v_lshlrev_b64 v[46:47], 4, v[40:41]
	v_add_co_u32_e32 v46, vcc, v69, v46
	v_addc_co_u32_e32 v47, vcc, v68, v47, vcc
	buffer_wbinvl1_vol
	global_load_dword v69, v[46:47], off
	s_nop 0
	global_load_dwordx2 v[46:47], v[46:47], off offset:8
	v_cmp_eq_u16_e32 vcc, 2, v53
	v_and_b32_e32 v68, vcc_hi, v43
	v_or_b32_e32 v68, 0x80000000, v68
	v_and_b32_e32 v100, vcc_lo, v42
	v_ffbl_b32_e32 v68, v68
	v_add_u32_e32 v68, 32, v68
	v_ffbl_b32_e32 v100, v100
	v_min_u32_e32 v68, v100, v68
	v_cmp_lt_u32_e32 vcc, v54, v68
	s_waitcnt vmcnt(1)
	ds_bpermute_b32 v71, v55, v69
	s_waitcnt vmcnt(0)
	ds_bpermute_b32 v70, v55, v46
	ds_bpermute_b32 v97, v55, v47
	s_and_saveexec_b64 s[48:49], vcc
	s_cbranch_execz .LBB683_114
; %bb.113:                              ;   in Loop: Header=BB683_105 Depth=1
	v_cmp_eq_u32_e32 vcc, 0, v69
	s_waitcnt lgkmcnt(1)
	v_cndmask_b32_e32 v70, 0, v70, vcc
	v_add_u32_e32 v71, v71, v69
	s_waitcnt lgkmcnt(0)
	v_cndmask_b32_e32 v69, 0, v97, vcc
	v_add_co_u32_e32 v46, vcc, v70, v46
	v_addc_co_u32_e32 v47, vcc, v69, v47, vcc
	v_mov_b32_e32 v69, v71
.LBB683_114:                            ;   in Loop: Header=BB683_105 Depth=1
	s_or_b64 exec, exec, s[48:49]
	s_waitcnt lgkmcnt(2)
	ds_bpermute_b32 v71, v56, v69
	s_waitcnt lgkmcnt(2)
	ds_bpermute_b32 v70, v56, v46
	s_waitcnt lgkmcnt(2)
	ds_bpermute_b32 v97, v56, v47
	v_cmp_le_u32_e32 vcc, v57, v68
	s_and_saveexec_b64 s[48:49], vcc
	s_cbranch_execz .LBB683_116
; %bb.115:                              ;   in Loop: Header=BB683_105 Depth=1
	v_cmp_eq_u32_e32 vcc, 0, v69
	s_waitcnt lgkmcnt(1)
	v_cndmask_b32_e32 v70, 0, v70, vcc
	v_add_u32_e32 v71, v71, v69
	s_waitcnt lgkmcnt(0)
	v_cndmask_b32_e32 v69, 0, v97, vcc
	v_add_co_u32_e32 v46, vcc, v70, v46
	v_addc_co_u32_e32 v47, vcc, v69, v47, vcc
	v_mov_b32_e32 v69, v71
.LBB683_116:                            ;   in Loop: Header=BB683_105 Depth=1
	s_or_b64 exec, exec, s[48:49]
	s_waitcnt lgkmcnt(2)
	ds_bpermute_b32 v71, v58, v69
	s_waitcnt lgkmcnt(2)
	ds_bpermute_b32 v70, v58, v46
	s_waitcnt lgkmcnt(2)
	ds_bpermute_b32 v97, v58, v47
	v_cmp_le_u32_e32 vcc, v59, v68
	;; [unrolled: 21-line block ×5, first 2 shown]
	s_and_saveexec_b64 s[48:49], vcc
	s_cbranch_execz .LBB683_104
; %bb.123:                              ;   in Loop: Header=BB683_105 Depth=1
	v_cmp_eq_u32_e32 vcc, 0, v69
	s_waitcnt lgkmcnt(1)
	v_cndmask_b32_e32 v70, 0, v70, vcc
	v_add_u32_e32 v68, v71, v69
	s_waitcnt lgkmcnt(0)
	v_cndmask_b32_e32 v69, 0, v97, vcc
	v_add_co_u32_e32 v46, vcc, v70, v46
	v_addc_co_u32_e32 v47, vcc, v69, v47, vcc
	v_mov_b32_e32 v69, v68
	s_branch .LBB683_104
.LBB683_124:                            ;   in Loop: Header=BB683_105 Depth=1
                                        ; implicit-def: $vgpr46_vgpr47
                                        ; implicit-def: $vgpr68
                                        ; implicit-def: $vgpr53
	s_cbranch_execz .LBB683_105
; %bb.125:
	s_and_saveexec_b64 s[36:37], s[28:29]
	s_cbranch_execz .LBB683_127
; %bb.126:
	s_mov_b32 s49, 0
	v_cmp_eq_u32_e32 vcc, 0, v52
	s_add_i32 s48, s64, 64
	v_cndmask_b32_e32 v40, 0, v44, vcc
	s_lshl_b64 s[58:59], s[48:49], 4
	v_cndmask_b32_e32 v41, 0, v45, vcc
	v_add_co_u32_e32 v40, vcc, v40, v38
	s_add_u32 s58, s38, s58
	v_add_u32_e32 v42, v65, v52
	v_addc_co_u32_e32 v41, vcc, v41, v39, vcc
	s_addc_u32 s59, s39, s59
	v_mov_b32_e32 v43, 0
	global_store_dword v43, v42, s[58:59]
	global_store_dwordx2 v43, v[40:41], s[58:59] offset:8
	v_mov_b32_e32 v40, s48
	v_mov_b32_e32 v41, 2
	s_waitcnt vmcnt(0) lgkmcnt(0)
	buffer_wbinvl1_vol
	global_store_byte v40, v41, s[40:41]
	ds_write_b32 v43, v52 offset:512
	ds_write_b64 v43, v[38:39] offset:520
	ds_write_b32 v43, v65 offset:528
	ds_write_b64 v43, v[44:45] offset:536
.LBB683_127:
	s_or_b64 exec, exec, s[36:37]
	s_and_b64 exec, exec, s[0:1]
	s_cbranch_execz .LBB683_129
; %bb.128:
	v_mov_b32_e32 v38, 0
	ds_write_b32 v38, v65 offset:592
	ds_write_b64 v38, v[44:45] offset:600
.LBB683_129:
	s_or_b64 exec, exec, s[42:43]
	v_mov_b32_e32 v41, 0
	s_waitcnt lgkmcnt(0)
	s_barrier
	ds_read_b32 v40, v41 offset:592
	ds_read_b64 v[38:39], v41 offset:600
	v_cndmask_b32_e64 v42, v49, v48, s[28:29]
	v_cmp_eq_u32_e32 vcc, 0, v42
	v_cndmask_b32_e64 v36, v50, v36, s[28:29]
	v_cndmask_b32_e64 v37, v51, v37, s[28:29]
	s_waitcnt lgkmcnt(0)
	v_cndmask_b32_e32 v44, 0, v38, vcc
	v_cndmask_b32_e32 v43, 0, v39, vcc
	v_add_co_u32_e32 v36, vcc, v44, v36
	v_addc_co_u32_e32 v37, vcc, v43, v37, vcc
	v_cndmask_b32_e64 v66, v36, v38, s[0:1]
	v_cmp_eq_u32_e32 vcc, 0, v96
	v_cndmask_b32_e64 v42, v42, 0, s[0:1]
	v_cndmask_b32_e64 v67, v37, v39, s[0:1]
	v_cndmask_b32_e32 v37, 0, v66, vcc
	v_add_u32_e32 v97, v40, v42
	v_cndmask_b32_e32 v36, 0, v67, vcc
	v_add_co_u32_e32 v42, vcc, v37, v32
	v_addc_co_u32_e32 v43, vcc, v36, v33, vcc
	v_cndmask_b32_e64 v37, 0, v42, s[26:27]
	v_cndmask_b32_e64 v36, 0, v43, s[26:27]
	v_add_co_u32_e32 v44, vcc, v37, v30
	v_addc_co_u32_e32 v45, vcc, v36, v31, vcc
	v_cndmask_b32_e64 v37, 0, v44, s[24:25]
	v_cndmask_b32_e64 v36, 0, v45, s[24:25]
	;; [unrolled: 4-line block ×11, first 2 shown]
	v_add_co_u32_e32 v64, vcc, v37, v8
	v_addc_co_u32_e32 v65, vcc, v36, v9, vcc
	s_barrier
	ds_read_b32 v36, v41 offset:512
	ds_read_b64 v[38:39], v41 offset:520
	ds_read_b32 v40, v41 offset:528
	ds_read_b64 v[100:101], v41 offset:536
	v_cndmask_b32_e64 v68, 0, v64, s[4:5]
	v_cndmask_b32_e64 v37, 0, v65, s[4:5]
	v_add_co_u32_e32 v68, vcc, v68, v6
	v_addc_co_u32_e32 v69, vcc, v37, v7, vcc
	s_waitcnt lgkmcnt(3)
	v_cmp_eq_u32_e32 vcc, 0, v36
	s_waitcnt lgkmcnt(0)
	v_cndmask_b32_e32 v41, 0, v100, vcc
	v_cndmask_b32_e32 v37, 0, v101, vcc
	v_add_co_u32_e32 v38, vcc, v41, v38
	v_cndmask_b32_e64 v71, 0, v69, s[2:3]
	v_cndmask_b32_e64 v70, 0, v68, s[2:3]
	v_addc_co_u32_e32 v39, vcc, v37, v39, vcc
	s_branch .LBB683_158
.LBB683_130:
                                        ; implicit-def: $vgpr36
                                        ; implicit-def: $vgpr38_vgpr39
                                        ; implicit-def: $vgpr40
                                        ; implicit-def: $vgpr66_vgpr67
                                        ; implicit-def: $vgpr42_vgpr43
                                        ; implicit-def: $vgpr44_vgpr45
                                        ; implicit-def: $vgpr46_vgpr47
                                        ; implicit-def: $vgpr48_vgpr49
                                        ; implicit-def: $vgpr50_vgpr51
                                        ; implicit-def: $vgpr52_vgpr53
                                        ; implicit-def: $vgpr54_vgpr55
                                        ; implicit-def: $vgpr56_vgpr57
                                        ; implicit-def: $vgpr58_vgpr59
                                        ; implicit-def: $vgpr60_vgpr61
                                        ; implicit-def: $vgpr62_vgpr63
                                        ; implicit-def: $vgpr64_vgpr65
                                        ; implicit-def: $vgpr68_vgpr69
                                        ; implicit-def: $vgpr70_vgpr71
                                        ; implicit-def: $vgpr97
	s_cbranch_execz .LBB683_158
; %bb.131:
	s_and_b64 s[2:3], s[34:35], exec
	s_cselect_b32 s3, 0, s31
	s_cselect_b32 s2, 0, s30
	s_cmp_eq_u64 s[2:3], 0
	v_pk_mov_b32 v[40:41], v[32:33], v[32:33] op_sel:[0,1]
	s_cbranch_scc1 .LBB683_133
; %bb.132:
	v_mov_b32_e32 v36, 0
	global_load_dwordx2 v[40:41], v36, s[2:3]
.LBB683_133:
	v_cmp_eq_u32_e64 s[24:25], 0, v95
	v_cndmask_b32_e64 v37, 0, v32, s[24:25]
	v_cndmask_b32_e64 v36, 0, v33, s[24:25]
	v_add_co_u32_e32 v37, vcc, v37, v30
	v_cmp_eq_u32_e64 s[22:23], 0, v94
	v_addc_co_u32_e32 v36, vcc, v36, v31, vcc
	v_cndmask_b32_e64 v37, 0, v37, s[22:23]
	v_cndmask_b32_e64 v36, 0, v36, s[22:23]
	v_add_co_u32_e32 v37, vcc, v37, v28
	v_cmp_eq_u32_e64 s[20:21], 0, v93
	v_addc_co_u32_e32 v36, vcc, v36, v29, vcc
	;; [unrolled: 5-line block ×11, first 2 shown]
	v_cndmask_b32_e64 v37, 0, v37, s[4:5]
	v_cndmask_b32_e64 v36, 0, v36, s[4:5]
	v_add_co_u32_e32 v37, vcc, v37, v6
	v_addc_co_u32_e32 v36, vcc, v36, v7, vcc
	v_cmp_eq_u32_e32 vcc, 0, v74
	v_cndmask_b32_e32 v37, 0, v37, vcc
	v_add3_u32 v38, v99, v91, v88
	v_cndmask_b32_e32 v36, 0, v36, vcc
	v_add_co_u32_e64 v37, s[26:27], v37, v16
	v_add3_u32 v38, v38, v86, v84
	v_addc_co_u32_e64 v36, s[26:27], v36, v17, s[26:27]
	v_add3_u32 v38, v38, v81, v80
	v_cmp_eq_u32_e64 s[26:27], 0, v73
	v_add3_u32 v38, v38, v77, v75
	v_cndmask_b32_e64 v37, 0, v37, s[26:27]
	v_add3_u32 v39, v38, v74, v73
	v_cndmask_b32_e64 v36, 0, v36, s[26:27]
	v_add_co_u32_e64 v34, s[26:27], v37, v34
	v_mbcnt_hi_u32_b32 v38, -1, v98
	v_addc_co_u32_e64 v35, s[26:27], v36, v35, s[26:27]
	v_and_b32_e32 v36, 15, v38
	v_mov_b32_dpp v42, v39 row_shr:1 row_mask:0xf bank_mask:0xf
	v_mov_b32_dpp v37, v34 row_shr:1 row_mask:0xf bank_mask:0xf
	;; [unrolled: 1-line block ×3, first 2 shown]
	v_cmp_ne_u32_e64 s[26:27], 0, v36
	s_and_saveexec_b64 s[28:29], s[26:27]
; %bb.134:
	v_cmp_eq_u32_e64 s[26:27], 0, v39
	v_cndmask_b32_e64 v37, 0, v37, s[26:27]
	v_add_u32_e32 v42, v42, v39
	v_cndmask_b32_e64 v39, 0, v43, s[26:27]
	v_add_co_u32_e64 v34, s[26:27], v37, v34
	v_addc_co_u32_e64 v35, s[26:27], v39, v35, s[26:27]
	v_mov_b32_e32 v39, v42
; %bb.135:
	s_or_b64 exec, exec, s[28:29]
	s_nop 0
	v_mov_b32_dpp v42, v39 row_shr:2 row_mask:0xf bank_mask:0xf
	v_mov_b32_dpp v37, v34 row_shr:2 row_mask:0xf bank_mask:0xf
	v_mov_b32_dpp v43, v35 row_shr:2 row_mask:0xf bank_mask:0xf
	v_cmp_lt_u32_e64 s[26:27], 1, v36
	s_and_saveexec_b64 s[28:29], s[26:27]
; %bb.136:
	v_cmp_eq_u32_e64 s[26:27], 0, v39
	v_cndmask_b32_e64 v37, 0, v37, s[26:27]
	v_add_u32_e32 v42, v42, v39
	v_cndmask_b32_e64 v39, 0, v43, s[26:27]
	v_add_co_u32_e64 v34, s[26:27], v37, v34
	v_addc_co_u32_e64 v35, s[26:27], v39, v35, s[26:27]
	v_mov_b32_e32 v39, v42
; %bb.137:
	s_or_b64 exec, exec, s[28:29]
	s_nop 0
	v_mov_b32_dpp v42, v39 row_shr:4 row_mask:0xf bank_mask:0xf
	v_mov_b32_dpp v37, v34 row_shr:4 row_mask:0xf bank_mask:0xf
	v_mov_b32_dpp v43, v35 row_shr:4 row_mask:0xf bank_mask:0xf
	v_cmp_lt_u32_e64 s[26:27], 3, v36
	;; [unrolled: 16-line block ×3, first 2 shown]
	s_and_saveexec_b64 s[28:29], s[26:27]
; %bb.140:
	v_cmp_eq_u32_e64 s[26:27], 0, v39
	v_cndmask_b32_e64 v37, 0, v37, s[26:27]
	v_add_u32_e32 v36, v42, v39
	v_cndmask_b32_e64 v39, 0, v43, s[26:27]
	v_add_co_u32_e64 v34, s[26:27], v37, v34
	v_addc_co_u32_e64 v35, s[26:27], v39, v35, s[26:27]
	v_mov_b32_e32 v39, v36
; %bb.141:
	s_or_b64 exec, exec, s[28:29]
	v_and_b32_e32 v43, 16, v38
	v_mov_b32_dpp v37, v39 row_bcast:15 row_mask:0xf bank_mask:0xf
	v_mov_b32_dpp v36, v34 row_bcast:15 row_mask:0xf bank_mask:0xf
	;; [unrolled: 1-line block ×3, first 2 shown]
	v_cmp_ne_u32_e64 s[26:27], 0, v43
	s_and_saveexec_b64 s[28:29], s[26:27]
; %bb.142:
	v_cmp_eq_u32_e64 s[26:27], 0, v39
	v_cndmask_b32_e64 v36, 0, v36, s[26:27]
	v_add_u32_e32 v37, v37, v39
	v_cndmask_b32_e64 v39, 0, v42, s[26:27]
	v_add_co_u32_e64 v34, s[26:27], v36, v34
	v_addc_co_u32_e64 v35, s[26:27], v39, v35, s[26:27]
	v_mov_b32_e32 v39, v37
; %bb.143:
	s_or_b64 exec, exec, s[28:29]
	s_nop 0
	v_mov_b32_dpp v37, v39 row_bcast:31 row_mask:0xf bank_mask:0xf
	v_mov_b32_dpp v36, v34 row_bcast:31 row_mask:0xf bank_mask:0xf
	;; [unrolled: 1-line block ×3, first 2 shown]
	v_cmp_lt_u32_e64 s[26:27], 31, v38
	s_and_saveexec_b64 s[28:29], s[26:27]
; %bb.144:
	v_cmp_eq_u32_e64 s[26:27], 0, v39
	v_cndmask_b32_e64 v36, 0, v36, s[26:27]
	v_add_u32_e32 v37, v37, v39
	v_cndmask_b32_e64 v39, 0, v42, s[26:27]
	v_add_co_u32_e64 v34, s[26:27], v36, v34
	v_addc_co_u32_e64 v35, s[26:27], v39, v35, s[26:27]
	v_mov_b32_e32 v39, v37
; %bb.145:
	s_or_b64 exec, exec, s[28:29]
	v_or_b32_e32 v36, 63, v0
	v_lshrrev_b32_e32 v42, 6, v0
	v_cmp_eq_u32_e64 s[26:27], v36, v0
	s_and_saveexec_b64 s[28:29], s[26:27]
	s_cbranch_execz .LBB683_147
; %bb.146:
	v_lshlrev_b32_e32 v36, 4, v42
	ds_write_b32 v36, v39 offset:544
	ds_write_b64 v36, v[34:35] offset:552
.LBB683_147:
	s_or_b64 exec, exec, s[28:29]
	v_cmp_gt_u32_e64 s[26:27], 4, v0
	s_waitcnt lgkmcnt(0)
	s_barrier
	s_and_saveexec_b64 s[28:29], s[26:27]
	s_cbranch_execz .LBB683_153
; %bb.148:
	v_lshlrev_b32_e32 v43, 4, v0
	ds_read_b32 v44, v43 offset:544
	ds_read_b64 v[36:37], v43 offset:552
	v_and_b32_e32 v45, 3, v38
	v_cmp_ne_u32_e64 s[26:27], 0, v45
	s_waitcnt lgkmcnt(1)
	v_mov_b32_dpp v47, v44 row_shr:1 row_mask:0xf bank_mask:0xf
	s_waitcnt lgkmcnt(0)
	v_mov_b32_dpp v46, v36 row_shr:1 row_mask:0xf bank_mask:0xf
	v_mov_b32_dpp v48, v37 row_shr:1 row_mask:0xf bank_mask:0xf
	s_and_saveexec_b64 s[30:31], s[26:27]
; %bb.149:
	v_cmp_eq_u32_e64 s[26:27], 0, v44
	v_cndmask_b32_e64 v46, 0, v46, s[26:27]
	v_add_u32_e32 v47, v47, v44
	v_cndmask_b32_e64 v44, 0, v48, s[26:27]
	v_add_co_u32_e64 v36, s[26:27], v46, v36
	v_addc_co_u32_e64 v37, s[26:27], v44, v37, s[26:27]
	v_mov_b32_e32 v44, v47
; %bb.150:
	s_or_b64 exec, exec, s[30:31]
	s_nop 0
	v_mov_b32_dpp v47, v44 row_shr:2 row_mask:0xf bank_mask:0xf
	v_mov_b32_dpp v46, v36 row_shr:2 row_mask:0xf bank_mask:0xf
	;; [unrolled: 1-line block ×3, first 2 shown]
	v_cmp_lt_u32_e64 s[26:27], 1, v45
	s_and_saveexec_b64 s[30:31], s[26:27]
; %bb.151:
	v_cmp_eq_u32_e64 s[26:27], 0, v44
	v_cndmask_b32_e64 v46, 0, v46, s[26:27]
	v_add_u32_e32 v45, v47, v44
	v_cndmask_b32_e64 v44, 0, v48, s[26:27]
	v_add_co_u32_e64 v36, s[26:27], v46, v36
	v_addc_co_u32_e64 v37, s[26:27], v44, v37, s[26:27]
	v_mov_b32_e32 v44, v45
; %bb.152:
	s_or_b64 exec, exec, s[30:31]
	ds_write_b32 v43, v44 offset:544
	ds_write_b64 v43, v[36:37] offset:552
.LBB683_153:
	s_or_b64 exec, exec, s[28:29]
	v_cmp_lt_u32_e64 s[26:27], 63, v0
	v_mov_b32_e32 v98, 0
	v_mov_b32_e32 v43, 0
	s_waitcnt vmcnt(0)
	v_pk_mov_b32 v[36:37], v[40:41], v[40:41] op_sel:[0,1]
	s_waitcnt lgkmcnt(0)
	s_barrier
	s_and_saveexec_b64 s[28:29], s[26:27]
	s_cbranch_execz .LBB683_155
; %bb.154:
	v_lshlrev_b32_e32 v36, 4, v42
	ds_read_b32 v43, v36 offset:528
	ds_read_b64 v[36:37], v36 offset:536
	s_waitcnt lgkmcnt(1)
	v_cmp_eq_u32_e64 s[26:27], 0, v43
	v_cndmask_b32_e64 v44, 0, v40, s[26:27]
	v_cndmask_b32_e64 v42, 0, v41, s[26:27]
	s_waitcnt lgkmcnt(0)
	v_add_co_u32_e64 v36, s[26:27], v44, v36
	v_addc_co_u32_e64 v37, s[26:27], v42, v37, s[26:27]
.LBB683_155:
	s_or_b64 exec, exec, s[28:29]
	v_cmp_eq_u32_e64 s[26:27], 0, v39
	v_cndmask_b32_e64 v44, 0, v36, s[26:27]
	v_add_u32_e32 v42, v43, v39
	v_cndmask_b32_e64 v39, 0, v37, s[26:27]
	v_add_co_u32_e64 v34, s[26:27], v44, v34
	v_addc_co_u32_e64 v35, s[26:27], v39, v35, s[26:27]
	v_add_u32_e32 v39, -1, v38
	v_and_b32_e32 v44, 64, v38
	v_cmp_lt_i32_e64 s[26:27], v39, v44
	v_cndmask_b32_e64 v39, v39, v38, s[26:27]
	v_lshlrev_b32_e32 v39, 2, v39
	ds_bpermute_b32 v34, v39, v34
	ds_bpermute_b32 v42, v39, v42
	;; [unrolled: 1-line block ×3, first 2 shown]
	v_cmp_eq_u32_e64 s[26:27], 0, v38
	s_waitcnt lgkmcnt(2)
	v_cndmask_b32_e64 v66, v34, v36, s[26:27]
	s_waitcnt lgkmcnt(1)
	v_cndmask_b32_e64 v97, v42, v43, s[26:27]
	;; [unrolled: 2-line block ×3, first 2 shown]
	v_cndmask_b32_e64 v34, v66, v40, s[0:1]
	v_cmp_eq_u32_e64 s[26:27], 0, v96
	v_cndmask_b32_e64 v35, v67, v41, s[0:1]
	v_cndmask_b32_e64 v34, 0, v34, s[26:27]
	;; [unrolled: 1-line block ×3, first 2 shown]
	v_add_co_u32_e64 v42, s[26:27], v34, v32
	v_addc_co_u32_e64 v43, s[26:27], v35, v33, s[26:27]
	v_cndmask_b32_e64 v33, 0, v42, s[24:25]
	v_cndmask_b32_e64 v32, 0, v43, s[24:25]
	v_add_co_u32_e64 v44, s[24:25], v33, v30
	v_addc_co_u32_e64 v45, s[24:25], v32, v31, s[24:25]
	v_cndmask_b32_e64 v31, 0, v44, s[22:23]
	v_cndmask_b32_e64 v30, 0, v45, s[22:23]
	;; [unrolled: 4-line block ×11, first 2 shown]
	v_add_co_u32_e64 v64, s[2:3], v11, v8
	v_addc_co_u32_e64 v65, s[2:3], v10, v9, s[2:3]
	v_cndmask_b32_e64 v9, 0, v64, s[4:5]
	ds_read_b32 v36, v98 offset:592
	v_cndmask_b32_e64 v8, 0, v65, s[4:5]
	v_add_co_u32_e64 v68, s[2:3], v9, v6
	v_addc_co_u32_e64 v69, s[2:3], v8, v7, s[2:3]
	ds_read_b64 v[6:7], v98 offset:600
	v_cndmask_b32_e32 v71, 0, v69, vcc
	v_cndmask_b32_e32 v70, 0, v68, vcc
	s_waitcnt lgkmcnt(1)
	v_cmp_eq_u32_e32 vcc, 0, v36
	v_cndmask_b32_e32 v9, 0, v40, vcc
	v_cndmask_b32_e32 v8, 0, v41, vcc
	s_waitcnt lgkmcnt(0)
	v_add_co_u32_e32 v38, vcc, v9, v6
	v_addc_co_u32_e32 v39, vcc, v8, v7, vcc
	s_and_saveexec_b64 s[2:3], s[0:1]
	s_cbranch_execz .LBB683_157
; %bb.156:
	v_mov_b32_e32 v97, 0
	v_mov_b32_e32 v6, 2
	v_pk_mov_b32 v[66:67], v[40:41], v[40:41] op_sel:[0,1]
	global_store_dword v97, v36, s[38:39] offset:1024
	global_store_dwordx2 v97, v[38:39], s[38:39] offset:1032
	s_waitcnt vmcnt(0)
	buffer_wbinvl1_vol
	global_store_byte v97, v6, s[40:41] offset:64
.LBB683_157:
	s_or_b64 exec, exec, s[2:3]
	v_mov_b32_e32 v40, 0
.LBB683_158:
	s_and_b64 s[2:3], s[34:35], exec
	s_cselect_b32 s3, 0, s51
	s_cselect_b32 s2, 0, s50
	s_cmp_eq_u64 s[2:3], 0
	v_pk_mov_b32 v[18:19], 0, 0
	s_barrier
	s_cbranch_scc1 .LBB683_160
; %bb.159:
	v_mov_b32_e32 v6, 0
	global_load_dwordx2 v[18:19], v6, s[2:3]
.LBB683_160:
	v_mov_b32_e32 v6, s53
	s_waitcnt vmcnt(0)
	v_add_co_u32_e32 v7, vcc, s52, v18
	v_addc_co_u32_e32 v6, vcc, v6, v19, vcc
	v_add_co_u32_e32 v20, vcc, v7, v40
	v_addc_co_u32_e32 v21, vcc, 0, v6, vcc
	v_cmp_eq_u32_e32 vcc, 0, v96
	v_cndmask_b32_e64 v6, 1, 2, vcc
	v_cmp_eq_u32_e32 vcc, 0, v95
	v_cndmask_b32_e64 v7, 1, 2, vcc
	v_cmp_eq_u32_e32 vcc, 0, v94
	v_and_b32_e32 v6, v7, v6
	v_cndmask_b32_e64 v7, 1, 2, vcc
	v_cmp_eq_u32_e32 vcc, 0, v93
	v_add_u32_e32 v35, v97, v96
	v_and_b32_e32 v6, v6, v7
	v_cndmask_b32_e64 v7, 1, 2, vcc
	v_cmp_eq_u32_e32 vcc, 0, v92
	v_add_u32_e32 v34, v35, v95
	;; [unrolled: 4-line block ×12, first 2 shown]
	v_and_b32_e32 v6, v6, v7
	v_cndmask_b32_e64 v7, 1, 2, vcc
	s_movk_i32 s34, 0x100
	v_add_u32_e32 v23, v24, v75
	v_and_b32_e32 v6, v6, v7
	v_cmp_gt_u32_e32 vcc, s34, v36
	v_add_u32_e32 v22, v23, v74
	v_mov_b32_e32 v41, 0
	v_cmp_ne_u32_e64 s[30:31], 0, v96
	v_cmp_ne_u32_e64 s[28:29], 0, v95
	v_cmp_ne_u32_e64 s[26:27], 0, v94
	v_cmp_ne_u32_e64 s[24:25], 0, v93
	v_cmp_ne_u32_e64 s[22:23], 0, v92
	v_cmp_ne_u32_e64 s[20:21], 0, v91
	v_cmp_ne_u32_e64 s[18:19], 0, v88
	v_cmp_ne_u32_e64 s[16:17], 0, v86
	v_cmp_ne_u32_e64 s[14:15], 0, v84
	v_cmp_ne_u32_e64 s[12:13], 0, v81
	v_cmp_ne_u32_e64 s[10:11], 0, v80
	v_cmp_ne_u32_e64 s[8:9], 0, v77
	v_cmp_ne_u32_e64 s[6:7], 0, v75
	v_cmp_ne_u32_e64 s[4:5], 0, v74
	v_cmp_ne_u32_e64 s[2:3], 0, v73
	s_mov_b64 s[36:37], -1
	v_cmp_gt_i16_e64 s[34:35], 2, v6
	s_cbranch_vccz .LBB683_167
; %bb.161:
	s_and_saveexec_b64 s[36:37], s[34:35]
	s_cbranch_execz .LBB683_166
; %bb.162:
	v_cmp_ne_u16_e32 vcc, 1, v6
	s_mov_b64 s[38:39], 0
	s_and_saveexec_b64 s[34:35], vcc
	s_xor_b64 s[34:35], exec, s[34:35]
	s_cbranch_execnz .LBB683_210
; %bb.163:
	s_andn2_saveexec_b64 s[34:35], s[34:35]
	s_cbranch_execnz .LBB683_226
.LBB683_164:
	s_or_b64 exec, exec, s[34:35]
	s_and_b64 exec, exec, s[38:39]
	s_cbranch_execz .LBB683_166
.LBB683_165:
	v_sub_u32_e32 v7, v22, v40
	v_readfirstlane_b32 s34, v20
	v_readfirstlane_b32 s35, v21
	s_nop 4
	global_store_byte v7, v1, s[34:35]
.LBB683_166:
	s_or_b64 exec, exec, s[36:37]
	s_mov_b64 s[36:37], 0
.LBB683_167:
	s_and_b64 vcc, exec, s[36:37]
	s_cbranch_vccz .LBB683_188
; %bb.168:
	v_cmp_gt_i16_e32 vcc, 2, v6
	s_and_saveexec_b64 s[34:35], vcc
	s_cbranch_execz .LBB683_173
; %bb.169:
	v_cmp_ne_u16_e32 vcc, 1, v6
	s_mov_b64 s[38:39], 0
	s_and_saveexec_b64 s[36:37], vcc
	s_xor_b64 s[36:37], exec, s[36:37]
	s_cbranch_execnz .LBB683_227
; %bb.170:
	s_andn2_saveexec_b64 s[2:3], s[36:37]
	s_cbranch_execnz .LBB683_243
.LBB683_171:
	s_or_b64 exec, exec, s[2:3]
	s_and_b64 exec, exec, s[38:39]
	s_cbranch_execz .LBB683_173
.LBB683_172:
	v_sub_u32_e32 v2, v22, v40
	ds_write_b8 v2, v1
.LBB683_173:
	s_or_b64 exec, exec, s[34:35]
	v_cmp_lt_u32_e32 vcc, v0, v36
	s_waitcnt lgkmcnt(0)
	s_barrier
	s_and_saveexec_b64 s[2:3], vcc
	s_cbranch_execz .LBB683_187
; %bb.174:
	v_xad_u32 v2, v0, -1, v36
	s_movk_i32 s4, 0x1700
	s_movk_i32 s6, 0x16ff
	v_cmp_gt_u32_e64 s[4:5], s4, v2
	v_cmp_lt_u32_e32 vcc, s6, v2
	v_mov_b32_e32 v1, v0
	s_and_saveexec_b64 s[6:7], vcc
	s_cbranch_execz .LBB683_184
; %bb.175:
	v_sub_u32_e32 v1, v0, v36
	v_or_b32_e32 v1, 0xff, v1
	v_cmp_ge_u32_e32 vcc, v1, v0
	s_mov_b64 s[10:11], -1
	v_mov_b32_e32 v1, v0
	s_and_saveexec_b64 s[8:9], vcc
	s_cbranch_execz .LBB683_183
; %bb.176:
	v_lshrrev_b32_e32 v37, 8, v2
	v_or_b32_e32 v7, 0x700, v0
	v_or_b32_e32 v6, 0x600, v0
	;; [unrolled: 1-line block ×7, first 2 shown]
	v_add_u32_e32 v72, -7, v37
	v_pk_mov_b32 v[14:15], v[6:7], v[6:7] op_sel:[0,1]
	v_cmp_lt_u32_e32 vcc, 7, v72
	v_mov_b32_e32 v79, 0
	v_pk_mov_b32 v[12:13], v[4:5], v[4:5] op_sel:[0,1]
	v_pk_mov_b32 v[10:11], v[2:3], v[2:3] op_sel:[0,1]
	;; [unrolled: 1-line block ×3, first 2 shown]
	s_and_saveexec_b64 s[10:11], vcc
	s_cbranch_execz .LBB683_180
; %bb.177:
	v_lshrrev_b32_e32 v8, 3, v72
	v_add_u32_e32 v8, 1, v8
	v_and_b32_e32 v76, 0x3ffffffe, v8
	v_pk_mov_b32 v[14:15], v[6:7], v[6:7] op_sel:[0,1]
	s_mov_b32 s14, 0
	s_mov_b64 s[12:13], 0
	v_mov_b32_e32 v78, v0
	v_pk_mov_b32 v[12:13], v[4:5], v[4:5] op_sel:[0,1]
	v_pk_mov_b32 v[10:11], v[2:3], v[2:3] op_sel:[0,1]
	;; [unrolled: 1-line block ×3, first 2 shown]
.LBB683_178:                            ; =>This Inner Loop Header: Depth=1
	v_add_co_u32_e32 v2, vcc, v20, v8
	v_addc_co_u32_e32 v3, vcc, 0, v21, vcc
	v_add_co_u32_e32 v4, vcc, v20, v9
	v_addc_co_u32_e32 v5, vcc, 0, v21, vcc
	;; [unrolled: 2-line block ×8, first 2 shown]
	v_add_u32_e32 v106, 0x800, v8
	v_add_co_u32_e32 v106, vcc, v20, v106
	v_add_u32_e32 v108, 0x800, v9
	v_addc_co_u32_e32 v107, vcc, 0, v21, vcc
	v_add_co_u32_e32 v108, vcc, v20, v108
	v_add_u32_e32 v110, 0x800, v10
	v_addc_co_u32_e32 v109, vcc, 0, v21, vcc
	;; [unrolled: 3-line block ×6, first 2 shown]
	v_add_co_u32_e32 v118, vcc, v20, v118
	ds_read_u8 v1, v78
	ds_read_u8 v85, v78 offset:256
	ds_read_u8 v87, v78 offset:512
	;; [unrolled: 1-line block ×7, first 2 shown]
	v_add_u32_e32 v79, 0x800, v15
	ds_read_u8 v125, v78 offset:2048
	ds_read_u8 v126, v78 offset:2304
	;; [unrolled: 1-line block ×8, first 2 shown]
	v_addc_co_u32_e32 v119, vcc, 0, v21, vcc
	v_add_co_u32_e32 v120, vcc, v20, v79
	v_add_u32_e32 v76, -2, v76
	v_addc_co_u32_e32 v121, vcc, 0, v21, vcc
	s_add_i32 s14, s14, 16
	v_cmp_eq_u32_e32 vcc, 0, v76
	v_add_u32_e32 v15, 0x1000, v15
	v_add_u32_e32 v14, 0x1000, v14
	;; [unrolled: 1-line block ×9, first 2 shown]
	v_mov_b32_e32 v79, s14
	s_or_b64 s[12:13], vcc, s[12:13]
	s_waitcnt lgkmcnt(14)
	global_store_byte v[2:3], v1, off
	global_store_byte v[4:5], v85, off
	s_waitcnt lgkmcnt(13)
	global_store_byte v[6:7], v87, off
	s_waitcnt lgkmcnt(12)
	;; [unrolled: 2-line block ×14, first 2 shown]
	global_store_byte v[120:121], v132, off
	s_andn2_b64 exec, exec, s[12:13]
	s_cbranch_execnz .LBB683_178
; %bb.179:
	s_or_b64 exec, exec, s[12:13]
.LBB683_180:
	s_or_b64 exec, exec, s[10:11]
	v_and_b32_e32 v1, 8, v72
	v_cmp_eq_u32_e32 vcc, 0, v1
	s_and_saveexec_b64 s[10:11], vcc
	s_cbranch_execz .LBB683_182
; %bb.181:
	v_add_co_u32_e32 v2, vcc, v20, v8
	v_addc_co_u32_e32 v3, vcc, 0, v21, vcc
	v_add_co_u32_e32 v4, vcc, v20, v9
	v_addc_co_u32_e32 v5, vcc, 0, v21, vcc
	;; [unrolled: 2-line block ×4, first 2 shown]
	v_add_co_u32_e32 v10, vcc, v20, v12
	v_lshl_or_b32 v1, v79, 8, v0
	v_addc_co_u32_e32 v11, vcc, 0, v21, vcc
	v_add_co_u32_e32 v12, vcc, v20, v13
	ds_read_u8 v72, v1
	ds_read_u8 v76, v1 offset:256
	ds_read_u8 v82, v1 offset:512
	;; [unrolled: 1-line block ×7, first 2 shown]
	v_addc_co_u32_e32 v13, vcc, 0, v21, vcc
	v_add_co_u32_e32 v78, vcc, v20, v14
	v_addc_co_u32_e32 v79, vcc, 0, v21, vcc
	v_add_co_u32_e32 v14, vcc, v20, v15
	v_addc_co_u32_e32 v15, vcc, 0, v21, vcc
	s_waitcnt lgkmcnt(7)
	global_store_byte v[2:3], v72, off
	s_waitcnt lgkmcnt(6)
	global_store_byte v[4:5], v76, off
	;; [unrolled: 2-line block ×8, first 2 shown]
.LBB683_182:
	s_or_b64 exec, exec, s[10:11]
	v_add_u32_e32 v2, 1, v37
	v_and_b32_e32 v3, 0x1fffff8, v2
	v_cmp_ne_u32_e32 vcc, v2, v3
	v_lshl_or_b32 v1, v3, 8, v0
	s_orn2_b64 s[10:11], vcc, exec
.LBB683_183:
	s_or_b64 exec, exec, s[8:9]
	s_andn2_b64 s[4:5], s[4:5], exec
	s_and_b64 s[8:9], s[10:11], exec
	s_or_b64 s[4:5], s[4:5], s[8:9]
.LBB683_184:
	s_or_b64 exec, exec, s[6:7]
	s_and_b64 exec, exec, s[4:5]
	s_cbranch_execz .LBB683_187
; %bb.185:
	s_mov_b64 s[4:5], 0
.LBB683_186:                            ; =>This Inner Loop Header: Depth=1
	ds_read_u8 v2, v1
	v_readfirstlane_b32 s6, v20
	v_readfirstlane_b32 s7, v21
	s_waitcnt lgkmcnt(0)
	s_nop 3
	global_store_byte v1, v2, s[6:7]
	v_add_u32_e32 v1, 0x100, v1
	v_cmp_ge_u32_e32 vcc, v1, v36
	s_or_b64 s[4:5], vcc, s[4:5]
	s_andn2_b64 exec, exec, s[4:5]
	s_cbranch_execnz .LBB683_186
.LBB683_187:
	s_or_b64 exec, exec, s[2:3]
.LBB683_188:
	s_cmpk_lg_i32 s33, 0xf00
	s_cselect_b64 s[2:3], -1, 0
	v_cndmask_b32_e64 v8, 0, 1, s[46:47]
	s_and_b64 s[2:3], s[2:3], s[44:45]
	v_sub_u32_e32 v1, v36, v8
	v_cndmask_b32_e64 v4, 0, 1, s[2:3]
	s_and_b64 s[0:1], s[0:1], s[46:47]
	v_add_co_u32_e32 v2, vcc, v70, v16
	v_add_u32_e32 v1, v1, v4
	v_cndmask_b32_e64 v4, v96, 0, s[0:1]
	s_mul_hi_u32 s0, s33, 0x88888889
	v_addc_co_u32_e32 v3, vcc, v71, v17, vcc
	s_lshr_b32 s0, s0, 3
	v_mad_i32_i24 v5, v0, -15, s33
	v_cmp_eq_u32_e32 vcc, s0, v0
	v_cmp_ne_u32_e64 s[0:1], 0, v5
	v_cndmask_b32_e64 v6, 1, v4, s[0:1]
	v_cmp_ne_u32_e64 s[0:1], 1, v5
	v_cndmask_b32_e64 v7, 1, v95, s[0:1]
	;; [unrolled: 2-line block ×15, first 2 shown]
	s_and_b64 vcc, vcc, s[44:45]
	v_cndmask_b32_e32 v70, v73, v5, vcc
	v_cndmask_b32_e32 v72, v4, v6, vcc
	v_lshlrev_b64 v[4:5], 3, v[18:19]
	v_cndmask_b32_e32 v37, v74, v37, vcc
	v_cndmask_b32_e32 v21, v75, v21, vcc
	v_cndmask_b32_e32 v20, v77, v20, vcc
	v_cndmask_b32_e32 v17, v80, v17, vcc
	v_cndmask_b32_e32 v16, v81, v16, vcc
	v_cndmask_b32_e32 v15, v84, v15, vcc
	v_cndmask_b32_e32 v14, v86, v14, vcc
	v_cndmask_b32_e32 v13, v88, v13, vcc
	v_cndmask_b32_e32 v12, v91, v12, vcc
	v_cndmask_b32_e32 v11, v92, v11, vcc
	v_cndmask_b32_e32 v10, v93, v10, vcc
	v_cndmask_b32_e32 v9, v94, v9, vcc
	v_cndmask_b32_e32 v71, v95, v7, vcc
	v_mov_b32_e32 v6, s55
	v_add_co_u32_e32 v7, vcc, s54, v4
	v_addc_co_u32_e32 v6, vcc, v6, v5, vcc
	v_lshlrev_b64 v[4:5], 3, v[40:41]
	v_add_co_u32_e32 v4, vcc, v7, v4
	v_addc_co_u32_e32 v5, vcc, v6, v5, vcc
	v_lshlrev_b32_e32 v6, 3, v8
	v_add_co_u32_e32 v6, vcc, v6, v4
	v_addc_co_u32_e32 v7, vcc, 0, v5, vcc
	v_add_co_u32_e32 v6, vcc, -8, v6
	v_addc_co_u32_e32 v7, vcc, -1, v7, vcc
	v_cmp_eq_u32_e32 vcc, 0, v72
	v_cndmask_b32_e64 v41, 1, 2, vcc
	v_cmp_eq_u32_e32 vcc, 0, v71
	v_cmp_ne_u32_e64 s[26:27], 0, v71
	v_cndmask_b32_e64 v71, 1, 2, vcc
	v_cmp_eq_u32_e32 vcc, 0, v9
	v_and_b32_e32 v41, v71, v41
	v_cmp_ne_u32_e64 s[24:25], 0, v9
	v_cndmask_b32_e64 v9, 1, 2, vcc
	v_cmp_eq_u32_e32 vcc, 0, v10
	v_and_b32_e32 v9, v41, v9
	;; [unrolled: 4-line block ×3, first 2 shown]
	v_cndmask_b32_e64 v10, 1, 2, vcc
	v_cmp_eq_u32_e32 vcc, 0, v12
	v_and_b32_e32 v9, v9, v10
	v_cndmask_b32_e64 v10, 1, 2, vcc
	v_cmp_eq_u32_e32 vcc, 0, v13
	v_and_b32_e32 v9, v9, v10
	;; [unrolled: 3-line block ×10, first 2 shown]
	v_cndmask_b32_e64 v10, 1, 2, vcc
	s_movk_i32 s30, 0x100
	v_and_b32_e32 v9, v9, v10
	v_cmp_gt_u32_e32 vcc, s30, v1
	v_add_u32_e32 v8, v40, v8
	v_cmp_ne_u32_e64 s[28:29], 0, v72
	v_cmp_ne_u32_e64 s[20:21], 0, v11
	;; [unrolled: 1-line block ×12, first 2 shown]
	s_mov_b64 s[34:35], -1
	v_cmp_gt_i16_e64 s[30:31], 2, v9
	s_barrier
	s_cbranch_vccz .LBB683_195
; %bb.189:
	s_and_saveexec_b64 s[34:35], s[30:31]
	s_cbranch_execz .LBB683_194
; %bb.190:
	v_cmp_ne_u16_e32 vcc, 1, v9
	s_mov_b64 s[36:37], 0
	s_and_saveexec_b64 s[30:31], vcc
	s_xor_b64 s[30:31], exec, s[30:31]
	s_cbranch_execnz .LBB683_244
; %bb.191:
	s_andn2_saveexec_b64 s[30:31], s[30:31]
	s_cbranch_execnz .LBB683_260
.LBB683_192:
	s_or_b64 exec, exec, s[30:31]
	s_and_b64 exec, exec, s[36:37]
	s_cbranch_execz .LBB683_194
.LBB683_193:
	v_sub_u32_e32 v10, v22, v8
	v_mov_b32_e32 v11, 0
	v_lshlrev_b64 v[10:11], 3, v[10:11]
	v_add_co_u32_e32 v10, vcc, v6, v10
	v_addc_co_u32_e32 v11, vcc, v7, v11, vcc
	global_store_dwordx2 v[10:11], v[2:3], off
.LBB683_194:
	s_or_b64 exec, exec, s[34:35]
	s_mov_b64 s[34:35], 0
.LBB683_195:
	s_and_b64 vcc, exec, s[34:35]
	s_cbranch_vccz .LBB683_205
; %bb.196:
	v_cmp_gt_i16_e32 vcc, 2, v9
	s_and_saveexec_b64 s[30:31], vcc
	s_cbranch_execz .LBB683_201
; %bb.197:
	v_cmp_ne_u16_e32 vcc, 1, v9
	s_mov_b64 s[36:37], 0
	s_and_saveexec_b64 s[34:35], vcc
	s_xor_b64 s[34:35], exec, s[34:35]
	s_cbranch_execnz .LBB683_261
; %bb.198:
	s_andn2_saveexec_b64 s[0:1], s[34:35]
	s_cbranch_execnz .LBB683_277
.LBB683_199:
	s_or_b64 exec, exec, s[0:1]
	s_and_b64 exec, exec, s[36:37]
	s_cbranch_execz .LBB683_201
.LBB683_200:
	v_sub_u32_e32 v8, v22, v8
	v_lshlrev_b32_e32 v8, 3, v8
	ds_write_b64 v8, v[2:3]
.LBB683_201:
	s_or_b64 exec, exec, s[30:31]
	v_cmp_lt_u32_e32 vcc, v0, v1
	s_waitcnt lgkmcnt(0)
	s_barrier
	s_and_saveexec_b64 s[0:1], vcc
	s_cbranch_execz .LBB683_204
; %bb.202:
	v_lshlrev_b32_e32 v8, 3, v0
	s_mov_b64 s[2:3], 0
	v_mov_b32_e32 v3, 0
	v_mov_b32_e32 v2, v0
.LBB683_203:                            ; =>This Inner Loop Header: Depth=1
	v_lshlrev_b64 v[10:11], 3, v[2:3]
	ds_read_b64 v[12:13], v8
	v_add_co_u32_e32 v10, vcc, v6, v10
	v_add_u32_e32 v2, 0x100, v2
	v_addc_co_u32_e32 v11, vcc, v7, v11, vcc
	v_cmp_ge_u32_e32 vcc, v2, v1
	v_add_u32_e32 v8, 0x800, v8
	s_or_b64 s[2:3], vcc, s[2:3]
	s_waitcnt lgkmcnt(0)
	global_store_dwordx2 v[10:11], v[12:13], off
	s_andn2_b64 exec, exec, s[2:3]
	s_cbranch_execnz .LBB683_203
.LBB683_204:
	s_or_b64 exec, exec, s[0:1]
.LBB683_205:
	s_movk_i32 s0, 0xff
	v_cmp_eq_u32_e32 vcc, s0, v0
	s_and_b64 s[0:1], vcc, s[44:45]
	s_and_saveexec_b64 s[2:3], s[0:1]
	s_cbranch_execz .LBB683_208
; %bb.206:
	v_add_co_u32_e32 v0, vcc, v36, v40
	v_addc_co_u32_e64 v1, s[0:1], 0, 0, vcc
	v_add_co_u32_e32 v0, vcc, v0, v18
	v_mov_b32_e32 v37, 0
	v_addc_co_u32_e32 v1, vcc, v1, v19, vcc
	s_cmpk_lg_i32 s33, 0xf00
	global_store_dwordx2 v37, v[0:1], s[56:57]
	s_cbranch_scc1 .LBB683_208
; %bb.207:
	v_lshlrev_b64 v[0:1], 3, v[36:37]
	v_add_co_u32_e32 v0, vcc, v4, v0
	v_addc_co_u32_e32 v1, vcc, v5, v1, vcc
	global_store_dwordx2 v[0:1], v[38:39], off offset:-8
.LBB683_208:
	s_endpgm
.LBB683_209:
	s_or_b64 exec, exec, s[10:11]
	v_mov_b32_e32 v96, s14
	s_and_saveexec_b64 s[2:3], s[6:7]
	s_cbranch_execnz .LBB683_58
	s_branch .LBB683_59
.LBB683_210:
	s_and_saveexec_b64 s[38:39], s[30:31]
	s_cbranch_execnz .LBB683_278
; %bb.211:
	s_or_b64 exec, exec, s[38:39]
	s_and_saveexec_b64 s[38:39], s[28:29]
	s_cbranch_execnz .LBB683_279
.LBB683_212:
	s_or_b64 exec, exec, s[38:39]
	s_and_saveexec_b64 s[38:39], s[26:27]
	s_cbranch_execnz .LBB683_280
.LBB683_213:
	s_or_b64 exec, exec, s[38:39]
	s_and_saveexec_b64 s[38:39], s[24:25]
	s_cbranch_execnz .LBB683_281
.LBB683_214:
	s_or_b64 exec, exec, s[38:39]
	s_and_saveexec_b64 s[38:39], s[22:23]
	s_cbranch_execnz .LBB683_282
.LBB683_215:
	s_or_b64 exec, exec, s[38:39]
	s_and_saveexec_b64 s[38:39], s[20:21]
	s_cbranch_execnz .LBB683_283
.LBB683_216:
	s_or_b64 exec, exec, s[38:39]
	s_and_saveexec_b64 s[38:39], s[18:19]
	s_cbranch_execnz .LBB683_284
.LBB683_217:
	s_or_b64 exec, exec, s[38:39]
	s_and_saveexec_b64 s[38:39], s[16:17]
	s_cbranch_execnz .LBB683_285
.LBB683_218:
	s_or_b64 exec, exec, s[38:39]
	s_and_saveexec_b64 s[38:39], s[14:15]
	s_cbranch_execnz .LBB683_286
.LBB683_219:
	s_or_b64 exec, exec, s[38:39]
	s_and_saveexec_b64 s[38:39], s[12:13]
	s_cbranch_execnz .LBB683_287
.LBB683_220:
	s_or_b64 exec, exec, s[38:39]
	s_and_saveexec_b64 s[38:39], s[10:11]
	s_cbranch_execnz .LBB683_288
.LBB683_221:
	s_or_b64 exec, exec, s[38:39]
	s_and_saveexec_b64 s[38:39], s[8:9]
	s_cbranch_execnz .LBB683_289
.LBB683_222:
	s_or_b64 exec, exec, s[38:39]
	s_and_saveexec_b64 s[38:39], s[6:7]
	s_cbranch_execnz .LBB683_290
.LBB683_223:
	s_or_b64 exec, exec, s[38:39]
	s_and_saveexec_b64 s[38:39], s[4:5]
	s_cbranch_execz .LBB683_225
.LBB683_224:
	v_sub_u32_e32 v7, v23, v40
	v_readfirstlane_b32 s40, v20
	v_readfirstlane_b32 s41, v21
	s_nop 4
	global_store_byte v7, v5, s[40:41]
.LBB683_225:
	s_or_b64 exec, exec, s[38:39]
	s_and_b64 s[38:39], s[2:3], exec
	s_andn2_saveexec_b64 s[34:35], s[34:35]
	s_cbranch_execz .LBB683_164
.LBB683_226:
	v_sub_u32_e32 v7, v97, v40
	v_readfirstlane_b32 s40, v20
	v_readfirstlane_b32 s41, v21
	s_or_b64 s[38:39], s[38:39], exec
	s_nop 3
	global_store_byte v7, v2, s[40:41]
	v_sub_u32_e32 v7, v35, v40
	global_store_byte v7, v90, s[40:41]
	v_sub_u32_e32 v7, v34, v40
	global_store_byte v7, v89, s[40:41]
	v_sub_u32_e32 v7, v33, v40
	global_store_byte v7, v87, s[40:41]
	v_sub_u32_e32 v7, v32, v40
	global_store_byte v7, v3, s[40:41]
	v_sub_u32_e32 v7, v31, v40
	global_store_byte v7, v85, s[40:41]
	v_sub_u32_e32 v7, v30, v40
	global_store_byte v7, v83, s[40:41]
	v_sub_u32_e32 v7, v29, v40
	global_store_byte v7, v82, s[40:41]
	v_sub_u32_e32 v7, v28, v40
	global_store_byte v7, v4, s[40:41]
	v_sub_u32_e32 v7, v27, v40
	global_store_byte v7, v79, s[40:41]
	v_sub_u32_e32 v7, v26, v40
	global_store_byte v7, v78, s[40:41]
	v_sub_u32_e32 v7, v25, v40
	global_store_byte v7, v76, s[40:41]
	v_sub_u32_e32 v7, v24, v40
	global_store_byte v7, v72, s[40:41]
	v_sub_u32_e32 v7, v23, v40
	global_store_byte v7, v5, s[40:41]
	s_or_b64 exec, exec, s[34:35]
	s_and_b64 exec, exec, s[38:39]
	s_cbranch_execnz .LBB683_165
	s_branch .LBB683_166
.LBB683_227:
	s_and_saveexec_b64 s[38:39], s[30:31]
	s_cbranch_execnz .LBB683_291
; %bb.228:
	s_or_b64 exec, exec, s[38:39]
	s_and_saveexec_b64 s[30:31], s[28:29]
	s_cbranch_execnz .LBB683_292
.LBB683_229:
	s_or_b64 exec, exec, s[30:31]
	s_and_saveexec_b64 s[28:29], s[26:27]
	s_cbranch_execnz .LBB683_293
.LBB683_230:
	s_or_b64 exec, exec, s[28:29]
	s_and_saveexec_b64 s[26:27], s[24:25]
	s_cbranch_execnz .LBB683_294
.LBB683_231:
	s_or_b64 exec, exec, s[26:27]
	s_and_saveexec_b64 s[24:25], s[22:23]
	s_cbranch_execnz .LBB683_295
.LBB683_232:
	s_or_b64 exec, exec, s[24:25]
	s_and_saveexec_b64 s[22:23], s[20:21]
	s_cbranch_execnz .LBB683_296
.LBB683_233:
	s_or_b64 exec, exec, s[22:23]
	s_and_saveexec_b64 s[20:21], s[18:19]
	s_cbranch_execnz .LBB683_297
.LBB683_234:
	s_or_b64 exec, exec, s[20:21]
	s_and_saveexec_b64 s[18:19], s[16:17]
	s_cbranch_execnz .LBB683_298
.LBB683_235:
	s_or_b64 exec, exec, s[18:19]
	s_and_saveexec_b64 s[16:17], s[14:15]
	s_cbranch_execnz .LBB683_299
.LBB683_236:
	s_or_b64 exec, exec, s[16:17]
	s_and_saveexec_b64 s[14:15], s[12:13]
	s_cbranch_execnz .LBB683_300
.LBB683_237:
	s_or_b64 exec, exec, s[14:15]
	s_and_saveexec_b64 s[12:13], s[10:11]
	s_cbranch_execnz .LBB683_301
.LBB683_238:
	s_or_b64 exec, exec, s[12:13]
	s_and_saveexec_b64 s[10:11], s[8:9]
	s_cbranch_execnz .LBB683_302
.LBB683_239:
	s_or_b64 exec, exec, s[10:11]
	s_and_saveexec_b64 s[8:9], s[6:7]
	s_cbranch_execnz .LBB683_303
.LBB683_240:
	s_or_b64 exec, exec, s[8:9]
	s_and_saveexec_b64 s[6:7], s[4:5]
	s_cbranch_execz .LBB683_242
.LBB683_241:
	v_sub_u32_e32 v2, v23, v40
	ds_write_b8 v2, v5
.LBB683_242:
	s_or_b64 exec, exec, s[6:7]
	s_and_b64 s[38:39], s[2:3], exec
                                        ; implicit-def: $vgpr2
                                        ; implicit-def: $vgpr90
                                        ; implicit-def: $vgpr89
                                        ; implicit-def: $vgpr87
                                        ; implicit-def: $vgpr85
                                        ; implicit-def: $vgpr83
                                        ; implicit-def: $vgpr82
                                        ; implicit-def: $vgpr79
                                        ; implicit-def: $vgpr78
                                        ; implicit-def: $vgpr76
                                        ; implicit-def: $vgpr72
                                        ; implicit-def: $vgpr5
	s_andn2_saveexec_b64 s[2:3], s[36:37]
	s_cbranch_execz .LBB683_171
.LBB683_243:
	v_sub_u32_e32 v6, v97, v40
	ds_write_b8 v6, v2
	v_sub_u32_e32 v2, v35, v40
	ds_write_b8 v2, v90
	;; [unrolled: 2-line block ×13, first 2 shown]
	v_sub_u32_e32 v2, v23, v40
	s_or_b64 s[38:39], s[38:39], exec
	ds_write_b8 v2, v5
	s_or_b64 exec, exec, s[2:3]
	s_and_b64 exec, exec, s[38:39]
	s_cbranch_execnz .LBB683_172
	s_branch .LBB683_173
.LBB683_244:
	s_and_saveexec_b64 s[36:37], s[28:29]
	s_cbranch_execnz .LBB683_304
; %bb.245:
	s_or_b64 exec, exec, s[36:37]
	s_and_saveexec_b64 s[36:37], s[26:27]
	s_cbranch_execnz .LBB683_305
.LBB683_246:
	s_or_b64 exec, exec, s[36:37]
	s_and_saveexec_b64 s[36:37], s[24:25]
	s_cbranch_execnz .LBB683_306
.LBB683_247:
	s_or_b64 exec, exec, s[36:37]
	s_and_saveexec_b64 s[36:37], s[22:23]
	s_cbranch_execnz .LBB683_307
.LBB683_248:
	s_or_b64 exec, exec, s[36:37]
	s_and_saveexec_b64 s[36:37], s[20:21]
	s_cbranch_execnz .LBB683_308
.LBB683_249:
	s_or_b64 exec, exec, s[36:37]
	s_and_saveexec_b64 s[36:37], s[18:19]
	s_cbranch_execnz .LBB683_309
.LBB683_250:
	s_or_b64 exec, exec, s[36:37]
	s_and_saveexec_b64 s[36:37], s[16:17]
	s_cbranch_execnz .LBB683_310
.LBB683_251:
	s_or_b64 exec, exec, s[36:37]
	s_and_saveexec_b64 s[36:37], s[14:15]
	s_cbranch_execnz .LBB683_311
.LBB683_252:
	s_or_b64 exec, exec, s[36:37]
	s_and_saveexec_b64 s[36:37], s[12:13]
	s_cbranch_execnz .LBB683_312
.LBB683_253:
	s_or_b64 exec, exec, s[36:37]
	s_and_saveexec_b64 s[36:37], s[10:11]
	s_cbranch_execnz .LBB683_313
.LBB683_254:
	s_or_b64 exec, exec, s[36:37]
	s_and_saveexec_b64 s[36:37], s[8:9]
	s_cbranch_execnz .LBB683_314
.LBB683_255:
	s_or_b64 exec, exec, s[36:37]
	s_and_saveexec_b64 s[36:37], s[6:7]
	s_cbranch_execnz .LBB683_315
.LBB683_256:
	s_or_b64 exec, exec, s[36:37]
	s_and_saveexec_b64 s[36:37], s[4:5]
	s_cbranch_execnz .LBB683_316
.LBB683_257:
	s_or_b64 exec, exec, s[36:37]
	s_and_saveexec_b64 s[36:37], s[2:3]
	s_cbranch_execz .LBB683_259
.LBB683_258:
	v_sub_u32_e32 v10, v23, v8
	v_mov_b32_e32 v11, 0
	v_lshlrev_b64 v[10:11], 3, v[10:11]
	v_add_co_u32_e32 v10, vcc, v6, v10
	v_addc_co_u32_e32 v11, vcc, v7, v11, vcc
	global_store_dwordx2 v[10:11], v[68:69], off
.LBB683_259:
	s_or_b64 exec, exec, s[36:37]
	s_and_b64 s[36:37], s[0:1], exec
	s_andn2_saveexec_b64 s[30:31], s[30:31]
	s_cbranch_execz .LBB683_192
.LBB683_260:
	v_sub_u32_e32 v10, v97, v8
	v_mov_b32_e32 v11, 0
	v_lshlrev_b64 v[12:13], 3, v[10:11]
	v_add_co_u32_e32 v12, vcc, v6, v12
	v_addc_co_u32_e32 v13, vcc, v7, v13, vcc
	v_sub_u32_e32 v10, v35, v8
	global_store_dwordx2 v[12:13], v[66:67], off
	v_lshlrev_b64 v[12:13], 3, v[10:11]
	v_add_co_u32_e32 v12, vcc, v6, v12
	v_addc_co_u32_e32 v13, vcc, v7, v13, vcc
	v_sub_u32_e32 v10, v34, v8
	global_store_dwordx2 v[12:13], v[42:43], off
	;; [unrolled: 5-line block ×12, first 2 shown]
	v_lshlrev_b64 v[12:13], 3, v[10:11]
	v_add_co_u32_e32 v12, vcc, v6, v12
	v_sub_u32_e32 v10, v23, v8
	v_addc_co_u32_e32 v13, vcc, v7, v13, vcc
	v_lshlrev_b64 v[10:11], 3, v[10:11]
	v_add_co_u32_e32 v10, vcc, v6, v10
	v_addc_co_u32_e32 v11, vcc, v7, v11, vcc
	s_or_b64 s[36:37], s[36:37], exec
	global_store_dwordx2 v[12:13], v[64:65], off
	global_store_dwordx2 v[10:11], v[68:69], off
	s_or_b64 exec, exec, s[30:31]
	s_and_b64 exec, exec, s[36:37]
	s_cbranch_execnz .LBB683_193
	s_branch .LBB683_194
.LBB683_261:
	s_and_saveexec_b64 s[36:37], s[28:29]
	s_cbranch_execnz .LBB683_317
; %bb.262:
	s_or_b64 exec, exec, s[36:37]
	s_and_saveexec_b64 s[28:29], s[26:27]
	s_cbranch_execnz .LBB683_318
.LBB683_263:
	s_or_b64 exec, exec, s[28:29]
	s_and_saveexec_b64 s[26:27], s[24:25]
	s_cbranch_execnz .LBB683_319
.LBB683_264:
	s_or_b64 exec, exec, s[26:27]
	s_and_saveexec_b64 s[24:25], s[22:23]
	s_cbranch_execnz .LBB683_320
.LBB683_265:
	s_or_b64 exec, exec, s[24:25]
	s_and_saveexec_b64 s[22:23], s[20:21]
	s_cbranch_execnz .LBB683_321
.LBB683_266:
	s_or_b64 exec, exec, s[22:23]
	s_and_saveexec_b64 s[20:21], s[18:19]
	s_cbranch_execnz .LBB683_322
.LBB683_267:
	s_or_b64 exec, exec, s[20:21]
	s_and_saveexec_b64 s[18:19], s[16:17]
	s_cbranch_execnz .LBB683_323
.LBB683_268:
	s_or_b64 exec, exec, s[18:19]
	s_and_saveexec_b64 s[16:17], s[14:15]
	s_cbranch_execnz .LBB683_324
.LBB683_269:
	s_or_b64 exec, exec, s[16:17]
	s_and_saveexec_b64 s[14:15], s[12:13]
	s_cbranch_execnz .LBB683_325
.LBB683_270:
	s_or_b64 exec, exec, s[14:15]
	s_and_saveexec_b64 s[12:13], s[10:11]
	s_cbranch_execnz .LBB683_326
.LBB683_271:
	s_or_b64 exec, exec, s[12:13]
	s_and_saveexec_b64 s[10:11], s[8:9]
	s_cbranch_execnz .LBB683_327
.LBB683_272:
	s_or_b64 exec, exec, s[10:11]
	s_and_saveexec_b64 s[8:9], s[6:7]
	s_cbranch_execnz .LBB683_328
.LBB683_273:
	s_or_b64 exec, exec, s[8:9]
	s_and_saveexec_b64 s[6:7], s[4:5]
	s_cbranch_execnz .LBB683_329
.LBB683_274:
	s_or_b64 exec, exec, s[6:7]
	s_and_saveexec_b64 s[4:5], s[2:3]
	s_cbranch_execz .LBB683_276
.LBB683_275:
	v_sub_u32_e32 v9, v23, v8
	v_lshlrev_b32_e32 v9, 3, v9
	ds_write_b64 v9, v[68:69]
.LBB683_276:
	s_or_b64 exec, exec, s[4:5]
	s_and_b64 s[36:37], s[0:1], exec
                                        ; implicit-def: $vgpr66_vgpr67
                                        ; implicit-def: $vgpr42_vgpr43
                                        ; implicit-def: $vgpr44_vgpr45
                                        ; implicit-def: $vgpr46_vgpr47
                                        ; implicit-def: $vgpr48_vgpr49
                                        ; implicit-def: $vgpr50_vgpr51
                                        ; implicit-def: $vgpr52_vgpr53
                                        ; implicit-def: $vgpr54_vgpr55
                                        ; implicit-def: $vgpr56_vgpr57
                                        ; implicit-def: $vgpr58_vgpr59
                                        ; implicit-def: $vgpr60_vgpr61
                                        ; implicit-def: $vgpr62_vgpr63
                                        ; implicit-def: $vgpr64_vgpr65
                                        ; implicit-def: $vgpr68_vgpr69
                                        ; implicit-def: $vgpr97
                                        ; implicit-def: $vgpr35
                                        ; implicit-def: $vgpr34
                                        ; implicit-def: $vgpr33
                                        ; implicit-def: $vgpr32
                                        ; implicit-def: $vgpr31
                                        ; implicit-def: $vgpr30
                                        ; implicit-def: $vgpr29
                                        ; implicit-def: $vgpr28
                                        ; implicit-def: $vgpr27
                                        ; implicit-def: $vgpr26
                                        ; implicit-def: $vgpr25
                                        ; implicit-def: $vgpr24
                                        ; implicit-def: $vgpr23
	s_andn2_saveexec_b64 s[0:1], s[34:35]
	s_cbranch_execz .LBB683_199
.LBB683_277:
	v_sub_u32_e32 v9, v97, v8
	v_lshlrev_b32_e32 v9, 3, v9
	ds_write_b64 v9, v[66:67]
	v_sub_u32_e32 v9, v35, v8
	v_lshlrev_b32_e32 v9, 3, v9
	ds_write_b64 v9, v[42:43]
	;; [unrolled: 3-line block ×13, first 2 shown]
	v_sub_u32_e32 v9, v23, v8
	v_lshlrev_b32_e32 v9, 3, v9
	s_or_b64 s[36:37], s[36:37], exec
	ds_write_b64 v9, v[68:69]
	s_or_b64 exec, exec, s[0:1]
	s_and_b64 exec, exec, s[36:37]
	s_cbranch_execnz .LBB683_200
	s_branch .LBB683_201
.LBB683_278:
	v_sub_u32_e32 v7, v97, v40
	v_readfirstlane_b32 s40, v20
	v_readfirstlane_b32 s41, v21
	s_nop 4
	global_store_byte v7, v2, s[40:41]
	s_or_b64 exec, exec, s[38:39]
	s_and_saveexec_b64 s[38:39], s[28:29]
	s_cbranch_execz .LBB683_212
.LBB683_279:
	v_sub_u32_e32 v7, v35, v40
	v_readfirstlane_b32 s40, v20
	v_readfirstlane_b32 s41, v21
	s_nop 4
	global_store_byte v7, v90, s[40:41]
	s_or_b64 exec, exec, s[38:39]
	s_and_saveexec_b64 s[38:39], s[26:27]
	s_cbranch_execz .LBB683_213
.LBB683_280:
	v_sub_u32_e32 v7, v34, v40
	v_readfirstlane_b32 s40, v20
	v_readfirstlane_b32 s41, v21
	s_nop 4
	global_store_byte v7, v89, s[40:41]
	s_or_b64 exec, exec, s[38:39]
	s_and_saveexec_b64 s[38:39], s[24:25]
	s_cbranch_execz .LBB683_214
.LBB683_281:
	v_sub_u32_e32 v7, v33, v40
	v_readfirstlane_b32 s40, v20
	v_readfirstlane_b32 s41, v21
	s_nop 4
	global_store_byte v7, v87, s[40:41]
	s_or_b64 exec, exec, s[38:39]
	s_and_saveexec_b64 s[38:39], s[22:23]
	s_cbranch_execz .LBB683_215
.LBB683_282:
	v_sub_u32_e32 v7, v32, v40
	v_readfirstlane_b32 s40, v20
	v_readfirstlane_b32 s41, v21
	s_nop 4
	global_store_byte v7, v3, s[40:41]
	s_or_b64 exec, exec, s[38:39]
	s_and_saveexec_b64 s[38:39], s[20:21]
	s_cbranch_execz .LBB683_216
.LBB683_283:
	v_sub_u32_e32 v7, v31, v40
	v_readfirstlane_b32 s40, v20
	v_readfirstlane_b32 s41, v21
	s_nop 4
	global_store_byte v7, v85, s[40:41]
	s_or_b64 exec, exec, s[38:39]
	s_and_saveexec_b64 s[38:39], s[18:19]
	s_cbranch_execz .LBB683_217
.LBB683_284:
	v_sub_u32_e32 v7, v30, v40
	v_readfirstlane_b32 s40, v20
	v_readfirstlane_b32 s41, v21
	s_nop 4
	global_store_byte v7, v83, s[40:41]
	s_or_b64 exec, exec, s[38:39]
	s_and_saveexec_b64 s[38:39], s[16:17]
	s_cbranch_execz .LBB683_218
.LBB683_285:
	v_sub_u32_e32 v7, v29, v40
	v_readfirstlane_b32 s40, v20
	v_readfirstlane_b32 s41, v21
	s_nop 4
	global_store_byte v7, v82, s[40:41]
	s_or_b64 exec, exec, s[38:39]
	s_and_saveexec_b64 s[38:39], s[14:15]
	s_cbranch_execz .LBB683_219
.LBB683_286:
	v_sub_u32_e32 v7, v28, v40
	v_readfirstlane_b32 s40, v20
	v_readfirstlane_b32 s41, v21
	s_nop 4
	global_store_byte v7, v4, s[40:41]
	s_or_b64 exec, exec, s[38:39]
	s_and_saveexec_b64 s[38:39], s[12:13]
	s_cbranch_execz .LBB683_220
.LBB683_287:
	v_sub_u32_e32 v7, v27, v40
	v_readfirstlane_b32 s40, v20
	v_readfirstlane_b32 s41, v21
	s_nop 4
	global_store_byte v7, v79, s[40:41]
	s_or_b64 exec, exec, s[38:39]
	s_and_saveexec_b64 s[38:39], s[10:11]
	s_cbranch_execz .LBB683_221
.LBB683_288:
	v_sub_u32_e32 v7, v26, v40
	v_readfirstlane_b32 s40, v20
	v_readfirstlane_b32 s41, v21
	s_nop 4
	global_store_byte v7, v78, s[40:41]
	s_or_b64 exec, exec, s[38:39]
	s_and_saveexec_b64 s[38:39], s[8:9]
	s_cbranch_execz .LBB683_222
.LBB683_289:
	v_sub_u32_e32 v7, v25, v40
	v_readfirstlane_b32 s40, v20
	v_readfirstlane_b32 s41, v21
	s_nop 4
	global_store_byte v7, v76, s[40:41]
	s_or_b64 exec, exec, s[38:39]
	s_and_saveexec_b64 s[38:39], s[6:7]
	s_cbranch_execz .LBB683_223
.LBB683_290:
	v_sub_u32_e32 v7, v24, v40
	v_readfirstlane_b32 s40, v20
	v_readfirstlane_b32 s41, v21
	s_nop 4
	global_store_byte v7, v72, s[40:41]
	s_or_b64 exec, exec, s[38:39]
	s_and_saveexec_b64 s[38:39], s[4:5]
	s_cbranch_execnz .LBB683_224
	s_branch .LBB683_225
.LBB683_291:
	v_sub_u32_e32 v6, v97, v40
	ds_write_b8 v6, v2
	s_or_b64 exec, exec, s[38:39]
	s_and_saveexec_b64 s[30:31], s[28:29]
	s_cbranch_execz .LBB683_229
.LBB683_292:
	v_sub_u32_e32 v2, v35, v40
	ds_write_b8 v2, v90
	s_or_b64 exec, exec, s[30:31]
	s_and_saveexec_b64 s[28:29], s[26:27]
	s_cbranch_execz .LBB683_230
.LBB683_293:
	v_sub_u32_e32 v2, v34, v40
	ds_write_b8 v2, v89
	s_or_b64 exec, exec, s[28:29]
	s_and_saveexec_b64 s[26:27], s[24:25]
	s_cbranch_execz .LBB683_231
.LBB683_294:
	v_sub_u32_e32 v2, v33, v40
	ds_write_b8 v2, v87
	s_or_b64 exec, exec, s[26:27]
	s_and_saveexec_b64 s[24:25], s[22:23]
	s_cbranch_execz .LBB683_232
.LBB683_295:
	v_sub_u32_e32 v2, v32, v40
	ds_write_b8 v2, v3
	s_or_b64 exec, exec, s[24:25]
	s_and_saveexec_b64 s[22:23], s[20:21]
	s_cbranch_execz .LBB683_233
.LBB683_296:
	v_sub_u32_e32 v2, v31, v40
	ds_write_b8 v2, v85
	s_or_b64 exec, exec, s[22:23]
	s_and_saveexec_b64 s[20:21], s[18:19]
	s_cbranch_execz .LBB683_234
.LBB683_297:
	v_sub_u32_e32 v2, v30, v40
	ds_write_b8 v2, v83
	s_or_b64 exec, exec, s[20:21]
	s_and_saveexec_b64 s[18:19], s[16:17]
	s_cbranch_execz .LBB683_235
.LBB683_298:
	v_sub_u32_e32 v2, v29, v40
	ds_write_b8 v2, v82
	s_or_b64 exec, exec, s[18:19]
	s_and_saveexec_b64 s[16:17], s[14:15]
	s_cbranch_execz .LBB683_236
.LBB683_299:
	v_sub_u32_e32 v2, v28, v40
	ds_write_b8 v2, v4
	s_or_b64 exec, exec, s[16:17]
	s_and_saveexec_b64 s[14:15], s[12:13]
	s_cbranch_execz .LBB683_237
.LBB683_300:
	v_sub_u32_e32 v2, v27, v40
	ds_write_b8 v2, v79
	s_or_b64 exec, exec, s[14:15]
	s_and_saveexec_b64 s[12:13], s[10:11]
	s_cbranch_execz .LBB683_238
.LBB683_301:
	v_sub_u32_e32 v2, v26, v40
	ds_write_b8 v2, v78
	s_or_b64 exec, exec, s[12:13]
	s_and_saveexec_b64 s[10:11], s[8:9]
	s_cbranch_execz .LBB683_239
.LBB683_302:
	v_sub_u32_e32 v2, v25, v40
	ds_write_b8 v2, v76
	s_or_b64 exec, exec, s[10:11]
	s_and_saveexec_b64 s[8:9], s[6:7]
	s_cbranch_execz .LBB683_240
.LBB683_303:
	v_sub_u32_e32 v2, v24, v40
	ds_write_b8 v2, v72
	s_or_b64 exec, exec, s[8:9]
	s_and_saveexec_b64 s[6:7], s[4:5]
	s_cbranch_execnz .LBB683_241
	s_branch .LBB683_242
.LBB683_304:
	v_sub_u32_e32 v10, v97, v8
	v_mov_b32_e32 v11, 0
	v_lshlrev_b64 v[10:11], 3, v[10:11]
	v_add_co_u32_e32 v10, vcc, v6, v10
	v_addc_co_u32_e32 v11, vcc, v7, v11, vcc
	global_store_dwordx2 v[10:11], v[66:67], off
	s_or_b64 exec, exec, s[36:37]
	s_and_saveexec_b64 s[36:37], s[26:27]
	s_cbranch_execz .LBB683_246
.LBB683_305:
	v_sub_u32_e32 v10, v35, v8
	v_mov_b32_e32 v11, 0
	v_lshlrev_b64 v[10:11], 3, v[10:11]
	v_add_co_u32_e32 v10, vcc, v6, v10
	v_addc_co_u32_e32 v11, vcc, v7, v11, vcc
	global_store_dwordx2 v[10:11], v[42:43], off
	s_or_b64 exec, exec, s[36:37]
	s_and_saveexec_b64 s[36:37], s[24:25]
	s_cbranch_execz .LBB683_247
.LBB683_306:
	v_sub_u32_e32 v10, v34, v8
	v_mov_b32_e32 v11, 0
	v_lshlrev_b64 v[10:11], 3, v[10:11]
	v_add_co_u32_e32 v10, vcc, v6, v10
	v_addc_co_u32_e32 v11, vcc, v7, v11, vcc
	global_store_dwordx2 v[10:11], v[44:45], off
	s_or_b64 exec, exec, s[36:37]
	s_and_saveexec_b64 s[36:37], s[22:23]
	s_cbranch_execz .LBB683_248
.LBB683_307:
	v_sub_u32_e32 v10, v33, v8
	v_mov_b32_e32 v11, 0
	v_lshlrev_b64 v[10:11], 3, v[10:11]
	v_add_co_u32_e32 v10, vcc, v6, v10
	v_addc_co_u32_e32 v11, vcc, v7, v11, vcc
	global_store_dwordx2 v[10:11], v[46:47], off
	s_or_b64 exec, exec, s[36:37]
	s_and_saveexec_b64 s[36:37], s[20:21]
	s_cbranch_execz .LBB683_249
.LBB683_308:
	v_sub_u32_e32 v10, v32, v8
	v_mov_b32_e32 v11, 0
	v_lshlrev_b64 v[10:11], 3, v[10:11]
	v_add_co_u32_e32 v10, vcc, v6, v10
	v_addc_co_u32_e32 v11, vcc, v7, v11, vcc
	global_store_dwordx2 v[10:11], v[48:49], off
	s_or_b64 exec, exec, s[36:37]
	s_and_saveexec_b64 s[36:37], s[18:19]
	s_cbranch_execz .LBB683_250
.LBB683_309:
	v_sub_u32_e32 v10, v31, v8
	v_mov_b32_e32 v11, 0
	v_lshlrev_b64 v[10:11], 3, v[10:11]
	v_add_co_u32_e32 v10, vcc, v6, v10
	v_addc_co_u32_e32 v11, vcc, v7, v11, vcc
	global_store_dwordx2 v[10:11], v[50:51], off
	s_or_b64 exec, exec, s[36:37]
	s_and_saveexec_b64 s[36:37], s[16:17]
	s_cbranch_execz .LBB683_251
.LBB683_310:
	v_sub_u32_e32 v10, v30, v8
	v_mov_b32_e32 v11, 0
	v_lshlrev_b64 v[10:11], 3, v[10:11]
	v_add_co_u32_e32 v10, vcc, v6, v10
	v_addc_co_u32_e32 v11, vcc, v7, v11, vcc
	global_store_dwordx2 v[10:11], v[52:53], off
	s_or_b64 exec, exec, s[36:37]
	s_and_saveexec_b64 s[36:37], s[14:15]
	s_cbranch_execz .LBB683_252
.LBB683_311:
	v_sub_u32_e32 v10, v29, v8
	v_mov_b32_e32 v11, 0
	v_lshlrev_b64 v[10:11], 3, v[10:11]
	v_add_co_u32_e32 v10, vcc, v6, v10
	v_addc_co_u32_e32 v11, vcc, v7, v11, vcc
	global_store_dwordx2 v[10:11], v[54:55], off
	s_or_b64 exec, exec, s[36:37]
	s_and_saveexec_b64 s[36:37], s[12:13]
	s_cbranch_execz .LBB683_253
.LBB683_312:
	v_sub_u32_e32 v10, v28, v8
	v_mov_b32_e32 v11, 0
	v_lshlrev_b64 v[10:11], 3, v[10:11]
	v_add_co_u32_e32 v10, vcc, v6, v10
	v_addc_co_u32_e32 v11, vcc, v7, v11, vcc
	global_store_dwordx2 v[10:11], v[56:57], off
	s_or_b64 exec, exec, s[36:37]
	s_and_saveexec_b64 s[36:37], s[10:11]
	s_cbranch_execz .LBB683_254
.LBB683_313:
	v_sub_u32_e32 v10, v27, v8
	v_mov_b32_e32 v11, 0
	v_lshlrev_b64 v[10:11], 3, v[10:11]
	v_add_co_u32_e32 v10, vcc, v6, v10
	v_addc_co_u32_e32 v11, vcc, v7, v11, vcc
	global_store_dwordx2 v[10:11], v[58:59], off
	s_or_b64 exec, exec, s[36:37]
	s_and_saveexec_b64 s[36:37], s[8:9]
	s_cbranch_execz .LBB683_255
.LBB683_314:
	v_sub_u32_e32 v10, v26, v8
	v_mov_b32_e32 v11, 0
	v_lshlrev_b64 v[10:11], 3, v[10:11]
	v_add_co_u32_e32 v10, vcc, v6, v10
	v_addc_co_u32_e32 v11, vcc, v7, v11, vcc
	global_store_dwordx2 v[10:11], v[60:61], off
	s_or_b64 exec, exec, s[36:37]
	s_and_saveexec_b64 s[36:37], s[6:7]
	s_cbranch_execz .LBB683_256
.LBB683_315:
	v_sub_u32_e32 v10, v25, v8
	v_mov_b32_e32 v11, 0
	v_lshlrev_b64 v[10:11], 3, v[10:11]
	v_add_co_u32_e32 v10, vcc, v6, v10
	v_addc_co_u32_e32 v11, vcc, v7, v11, vcc
	global_store_dwordx2 v[10:11], v[62:63], off
	s_or_b64 exec, exec, s[36:37]
	s_and_saveexec_b64 s[36:37], s[4:5]
	s_cbranch_execz .LBB683_257
.LBB683_316:
	v_sub_u32_e32 v10, v24, v8
	v_mov_b32_e32 v11, 0
	v_lshlrev_b64 v[10:11], 3, v[10:11]
	v_add_co_u32_e32 v10, vcc, v6, v10
	v_addc_co_u32_e32 v11, vcc, v7, v11, vcc
	global_store_dwordx2 v[10:11], v[64:65], off
	s_or_b64 exec, exec, s[36:37]
	s_and_saveexec_b64 s[36:37], s[2:3]
	s_cbranch_execnz .LBB683_258
	s_branch .LBB683_259
.LBB683_317:
	v_sub_u32_e32 v9, v97, v8
	v_lshlrev_b32_e32 v9, 3, v9
	ds_write_b64 v9, v[66:67]
	s_or_b64 exec, exec, s[36:37]
	s_and_saveexec_b64 s[28:29], s[26:27]
	s_cbranch_execz .LBB683_263
.LBB683_318:
	v_sub_u32_e32 v9, v35, v8
	v_lshlrev_b32_e32 v9, 3, v9
	ds_write_b64 v9, v[42:43]
	s_or_b64 exec, exec, s[28:29]
	s_and_saveexec_b64 s[26:27], s[24:25]
	s_cbranch_execz .LBB683_264
.LBB683_319:
	v_sub_u32_e32 v9, v34, v8
	v_lshlrev_b32_e32 v9, 3, v9
	ds_write_b64 v9, v[44:45]
	s_or_b64 exec, exec, s[26:27]
	s_and_saveexec_b64 s[24:25], s[22:23]
	s_cbranch_execz .LBB683_265
.LBB683_320:
	v_sub_u32_e32 v9, v33, v8
	v_lshlrev_b32_e32 v9, 3, v9
	ds_write_b64 v9, v[46:47]
	s_or_b64 exec, exec, s[24:25]
	s_and_saveexec_b64 s[22:23], s[20:21]
	s_cbranch_execz .LBB683_266
.LBB683_321:
	v_sub_u32_e32 v9, v32, v8
	v_lshlrev_b32_e32 v9, 3, v9
	ds_write_b64 v9, v[48:49]
	s_or_b64 exec, exec, s[22:23]
	s_and_saveexec_b64 s[20:21], s[18:19]
	s_cbranch_execz .LBB683_267
.LBB683_322:
	v_sub_u32_e32 v9, v31, v8
	v_lshlrev_b32_e32 v9, 3, v9
	ds_write_b64 v9, v[50:51]
	s_or_b64 exec, exec, s[20:21]
	s_and_saveexec_b64 s[18:19], s[16:17]
	s_cbranch_execz .LBB683_268
.LBB683_323:
	v_sub_u32_e32 v9, v30, v8
	v_lshlrev_b32_e32 v9, 3, v9
	ds_write_b64 v9, v[52:53]
	s_or_b64 exec, exec, s[18:19]
	s_and_saveexec_b64 s[16:17], s[14:15]
	s_cbranch_execz .LBB683_269
.LBB683_324:
	v_sub_u32_e32 v9, v29, v8
	v_lshlrev_b32_e32 v9, 3, v9
	ds_write_b64 v9, v[54:55]
	s_or_b64 exec, exec, s[16:17]
	s_and_saveexec_b64 s[14:15], s[12:13]
	s_cbranch_execz .LBB683_270
.LBB683_325:
	v_sub_u32_e32 v9, v28, v8
	v_lshlrev_b32_e32 v9, 3, v9
	ds_write_b64 v9, v[56:57]
	s_or_b64 exec, exec, s[14:15]
	s_and_saveexec_b64 s[12:13], s[10:11]
	s_cbranch_execz .LBB683_271
.LBB683_326:
	v_sub_u32_e32 v9, v27, v8
	v_lshlrev_b32_e32 v9, 3, v9
	ds_write_b64 v9, v[58:59]
	s_or_b64 exec, exec, s[12:13]
	s_and_saveexec_b64 s[10:11], s[8:9]
	s_cbranch_execz .LBB683_272
.LBB683_327:
	v_sub_u32_e32 v9, v26, v8
	v_lshlrev_b32_e32 v9, 3, v9
	ds_write_b64 v9, v[60:61]
	s_or_b64 exec, exec, s[10:11]
	s_and_saveexec_b64 s[8:9], s[6:7]
	s_cbranch_execz .LBB683_273
.LBB683_328:
	v_sub_u32_e32 v9, v25, v8
	v_lshlrev_b32_e32 v9, 3, v9
	ds_write_b64 v9, v[62:63]
	s_or_b64 exec, exec, s[8:9]
	s_and_saveexec_b64 s[6:7], s[4:5]
	s_cbranch_execz .LBB683_274
.LBB683_329:
	v_sub_u32_e32 v9, v24, v8
	v_lshlrev_b32_e32 v9, 3, v9
	ds_write_b64 v9, v[64:65]
	s_or_b64 exec, exec, s[6:7]
	s_and_saveexec_b64 s[4:5], s[2:3]
	s_cbranch_execnz .LBB683_275
	s_branch .LBB683_276
	.section	.rodata,"a",@progbits
	.p2align	6, 0x0
	.amdhsa_kernel _ZN7rocprim17ROCPRIM_400000_NS6detail17trampoline_kernelINS0_14default_configENS1_29reduce_by_key_config_selectorIalN6thrust23THRUST_200600_302600_NS4plusIlEEEEZZNS1_33reduce_by_key_impl_wrapped_configILNS1_25lookback_scan_determinismE0ES3_S9_PaNS6_17constant_iteratorIiNS6_11use_defaultESE_EENS6_10device_ptrIaEENSG_IlEEPmS8_NS6_8equal_toIaEEEE10hipError_tPvRmT2_T3_mT4_T5_T6_T7_T8_P12ihipStream_tbENKUlT_T0_E_clISt17integral_constantIbLb1EES13_EEDaSY_SZ_EUlSY_E_NS1_11comp_targetILNS1_3genE4ELNS1_11target_archE910ELNS1_3gpuE8ELNS1_3repE0EEENS1_30default_config_static_selectorELNS0_4arch9wavefront6targetE1EEEvT1_
		.amdhsa_group_segment_fixed_size 30720
		.amdhsa_private_segment_fixed_size 0
		.amdhsa_kernarg_size 144
		.amdhsa_user_sgpr_count 6
		.amdhsa_user_sgpr_private_segment_buffer 1
		.amdhsa_user_sgpr_dispatch_ptr 0
		.amdhsa_user_sgpr_queue_ptr 0
		.amdhsa_user_sgpr_kernarg_segment_ptr 1
		.amdhsa_user_sgpr_dispatch_id 0
		.amdhsa_user_sgpr_flat_scratch_init 0
		.amdhsa_user_sgpr_kernarg_preload_length 0
		.amdhsa_user_sgpr_kernarg_preload_offset 0
		.amdhsa_user_sgpr_private_segment_size 0
		.amdhsa_uses_dynamic_stack 0
		.amdhsa_system_sgpr_private_segment_wavefront_offset 0
		.amdhsa_system_sgpr_workgroup_id_x 1
		.amdhsa_system_sgpr_workgroup_id_y 0
		.amdhsa_system_sgpr_workgroup_id_z 0
		.amdhsa_system_sgpr_workgroup_info 0
		.amdhsa_system_vgpr_workitem_id 0
		.amdhsa_next_free_vgpr 133
		.amdhsa_next_free_sgpr 65
		.amdhsa_accum_offset 136
		.amdhsa_reserve_vcc 1
		.amdhsa_reserve_flat_scratch 0
		.amdhsa_float_round_mode_32 0
		.amdhsa_float_round_mode_16_64 0
		.amdhsa_float_denorm_mode_32 3
		.amdhsa_float_denorm_mode_16_64 3
		.amdhsa_dx10_clamp 1
		.amdhsa_ieee_mode 1
		.amdhsa_fp16_overflow 0
		.amdhsa_tg_split 0
		.amdhsa_exception_fp_ieee_invalid_op 0
		.amdhsa_exception_fp_denorm_src 0
		.amdhsa_exception_fp_ieee_div_zero 0
		.amdhsa_exception_fp_ieee_overflow 0
		.amdhsa_exception_fp_ieee_underflow 0
		.amdhsa_exception_fp_ieee_inexact 0
		.amdhsa_exception_int_div_zero 0
	.end_amdhsa_kernel
	.section	.text._ZN7rocprim17ROCPRIM_400000_NS6detail17trampoline_kernelINS0_14default_configENS1_29reduce_by_key_config_selectorIalN6thrust23THRUST_200600_302600_NS4plusIlEEEEZZNS1_33reduce_by_key_impl_wrapped_configILNS1_25lookback_scan_determinismE0ES3_S9_PaNS6_17constant_iteratorIiNS6_11use_defaultESE_EENS6_10device_ptrIaEENSG_IlEEPmS8_NS6_8equal_toIaEEEE10hipError_tPvRmT2_T3_mT4_T5_T6_T7_T8_P12ihipStream_tbENKUlT_T0_E_clISt17integral_constantIbLb1EES13_EEDaSY_SZ_EUlSY_E_NS1_11comp_targetILNS1_3genE4ELNS1_11target_archE910ELNS1_3gpuE8ELNS1_3repE0EEENS1_30default_config_static_selectorELNS0_4arch9wavefront6targetE1EEEvT1_,"axG",@progbits,_ZN7rocprim17ROCPRIM_400000_NS6detail17trampoline_kernelINS0_14default_configENS1_29reduce_by_key_config_selectorIalN6thrust23THRUST_200600_302600_NS4plusIlEEEEZZNS1_33reduce_by_key_impl_wrapped_configILNS1_25lookback_scan_determinismE0ES3_S9_PaNS6_17constant_iteratorIiNS6_11use_defaultESE_EENS6_10device_ptrIaEENSG_IlEEPmS8_NS6_8equal_toIaEEEE10hipError_tPvRmT2_T3_mT4_T5_T6_T7_T8_P12ihipStream_tbENKUlT_T0_E_clISt17integral_constantIbLb1EES13_EEDaSY_SZ_EUlSY_E_NS1_11comp_targetILNS1_3genE4ELNS1_11target_archE910ELNS1_3gpuE8ELNS1_3repE0EEENS1_30default_config_static_selectorELNS0_4arch9wavefront6targetE1EEEvT1_,comdat
.Lfunc_end683:
	.size	_ZN7rocprim17ROCPRIM_400000_NS6detail17trampoline_kernelINS0_14default_configENS1_29reduce_by_key_config_selectorIalN6thrust23THRUST_200600_302600_NS4plusIlEEEEZZNS1_33reduce_by_key_impl_wrapped_configILNS1_25lookback_scan_determinismE0ES3_S9_PaNS6_17constant_iteratorIiNS6_11use_defaultESE_EENS6_10device_ptrIaEENSG_IlEEPmS8_NS6_8equal_toIaEEEE10hipError_tPvRmT2_T3_mT4_T5_T6_T7_T8_P12ihipStream_tbENKUlT_T0_E_clISt17integral_constantIbLb1EES13_EEDaSY_SZ_EUlSY_E_NS1_11comp_targetILNS1_3genE4ELNS1_11target_archE910ELNS1_3gpuE8ELNS1_3repE0EEENS1_30default_config_static_selectorELNS0_4arch9wavefront6targetE1EEEvT1_, .Lfunc_end683-_ZN7rocprim17ROCPRIM_400000_NS6detail17trampoline_kernelINS0_14default_configENS1_29reduce_by_key_config_selectorIalN6thrust23THRUST_200600_302600_NS4plusIlEEEEZZNS1_33reduce_by_key_impl_wrapped_configILNS1_25lookback_scan_determinismE0ES3_S9_PaNS6_17constant_iteratorIiNS6_11use_defaultESE_EENS6_10device_ptrIaEENSG_IlEEPmS8_NS6_8equal_toIaEEEE10hipError_tPvRmT2_T3_mT4_T5_T6_T7_T8_P12ihipStream_tbENKUlT_T0_E_clISt17integral_constantIbLb1EES13_EEDaSY_SZ_EUlSY_E_NS1_11comp_targetILNS1_3genE4ELNS1_11target_archE910ELNS1_3gpuE8ELNS1_3repE0EEENS1_30default_config_static_selectorELNS0_4arch9wavefront6targetE1EEEvT1_
                                        ; -- End function
	.section	.AMDGPU.csdata,"",@progbits
; Kernel info:
; codeLenInByte = 16932
; NumSgprs: 69
; NumVgprs: 133
; NumAgprs: 0
; TotalNumVgprs: 133
; ScratchSize: 0
; MemoryBound: 0
; FloatMode: 240
; IeeeMode: 1
; LDSByteSize: 30720 bytes/workgroup (compile time only)
; SGPRBlocks: 8
; VGPRBlocks: 16
; NumSGPRsForWavesPerEU: 69
; NumVGPRsForWavesPerEU: 133
; AccumOffset: 136
; Occupancy: 2
; WaveLimiterHint : 1
; COMPUTE_PGM_RSRC2:SCRATCH_EN: 0
; COMPUTE_PGM_RSRC2:USER_SGPR: 6
; COMPUTE_PGM_RSRC2:TRAP_HANDLER: 0
; COMPUTE_PGM_RSRC2:TGID_X_EN: 1
; COMPUTE_PGM_RSRC2:TGID_Y_EN: 0
; COMPUTE_PGM_RSRC2:TGID_Z_EN: 0
; COMPUTE_PGM_RSRC2:TIDIG_COMP_CNT: 0
; COMPUTE_PGM_RSRC3_GFX90A:ACCUM_OFFSET: 33
; COMPUTE_PGM_RSRC3_GFX90A:TG_SPLIT: 0
	.section	.text._ZN7rocprim17ROCPRIM_400000_NS6detail17trampoline_kernelINS0_14default_configENS1_29reduce_by_key_config_selectorIalN6thrust23THRUST_200600_302600_NS4plusIlEEEEZZNS1_33reduce_by_key_impl_wrapped_configILNS1_25lookback_scan_determinismE0ES3_S9_PaNS6_17constant_iteratorIiNS6_11use_defaultESE_EENS6_10device_ptrIaEENSG_IlEEPmS8_NS6_8equal_toIaEEEE10hipError_tPvRmT2_T3_mT4_T5_T6_T7_T8_P12ihipStream_tbENKUlT_T0_E_clISt17integral_constantIbLb1EES13_EEDaSY_SZ_EUlSY_E_NS1_11comp_targetILNS1_3genE3ELNS1_11target_archE908ELNS1_3gpuE7ELNS1_3repE0EEENS1_30default_config_static_selectorELNS0_4arch9wavefront6targetE1EEEvT1_,"axG",@progbits,_ZN7rocprim17ROCPRIM_400000_NS6detail17trampoline_kernelINS0_14default_configENS1_29reduce_by_key_config_selectorIalN6thrust23THRUST_200600_302600_NS4plusIlEEEEZZNS1_33reduce_by_key_impl_wrapped_configILNS1_25lookback_scan_determinismE0ES3_S9_PaNS6_17constant_iteratorIiNS6_11use_defaultESE_EENS6_10device_ptrIaEENSG_IlEEPmS8_NS6_8equal_toIaEEEE10hipError_tPvRmT2_T3_mT4_T5_T6_T7_T8_P12ihipStream_tbENKUlT_T0_E_clISt17integral_constantIbLb1EES13_EEDaSY_SZ_EUlSY_E_NS1_11comp_targetILNS1_3genE3ELNS1_11target_archE908ELNS1_3gpuE7ELNS1_3repE0EEENS1_30default_config_static_selectorELNS0_4arch9wavefront6targetE1EEEvT1_,comdat
	.protected	_ZN7rocprim17ROCPRIM_400000_NS6detail17trampoline_kernelINS0_14default_configENS1_29reduce_by_key_config_selectorIalN6thrust23THRUST_200600_302600_NS4plusIlEEEEZZNS1_33reduce_by_key_impl_wrapped_configILNS1_25lookback_scan_determinismE0ES3_S9_PaNS6_17constant_iteratorIiNS6_11use_defaultESE_EENS6_10device_ptrIaEENSG_IlEEPmS8_NS6_8equal_toIaEEEE10hipError_tPvRmT2_T3_mT4_T5_T6_T7_T8_P12ihipStream_tbENKUlT_T0_E_clISt17integral_constantIbLb1EES13_EEDaSY_SZ_EUlSY_E_NS1_11comp_targetILNS1_3genE3ELNS1_11target_archE908ELNS1_3gpuE7ELNS1_3repE0EEENS1_30default_config_static_selectorELNS0_4arch9wavefront6targetE1EEEvT1_ ; -- Begin function _ZN7rocprim17ROCPRIM_400000_NS6detail17trampoline_kernelINS0_14default_configENS1_29reduce_by_key_config_selectorIalN6thrust23THRUST_200600_302600_NS4plusIlEEEEZZNS1_33reduce_by_key_impl_wrapped_configILNS1_25lookback_scan_determinismE0ES3_S9_PaNS6_17constant_iteratorIiNS6_11use_defaultESE_EENS6_10device_ptrIaEENSG_IlEEPmS8_NS6_8equal_toIaEEEE10hipError_tPvRmT2_T3_mT4_T5_T6_T7_T8_P12ihipStream_tbENKUlT_T0_E_clISt17integral_constantIbLb1EES13_EEDaSY_SZ_EUlSY_E_NS1_11comp_targetILNS1_3genE3ELNS1_11target_archE908ELNS1_3gpuE7ELNS1_3repE0EEENS1_30default_config_static_selectorELNS0_4arch9wavefront6targetE1EEEvT1_
	.globl	_ZN7rocprim17ROCPRIM_400000_NS6detail17trampoline_kernelINS0_14default_configENS1_29reduce_by_key_config_selectorIalN6thrust23THRUST_200600_302600_NS4plusIlEEEEZZNS1_33reduce_by_key_impl_wrapped_configILNS1_25lookback_scan_determinismE0ES3_S9_PaNS6_17constant_iteratorIiNS6_11use_defaultESE_EENS6_10device_ptrIaEENSG_IlEEPmS8_NS6_8equal_toIaEEEE10hipError_tPvRmT2_T3_mT4_T5_T6_T7_T8_P12ihipStream_tbENKUlT_T0_E_clISt17integral_constantIbLb1EES13_EEDaSY_SZ_EUlSY_E_NS1_11comp_targetILNS1_3genE3ELNS1_11target_archE908ELNS1_3gpuE7ELNS1_3repE0EEENS1_30default_config_static_selectorELNS0_4arch9wavefront6targetE1EEEvT1_
	.p2align	8
	.type	_ZN7rocprim17ROCPRIM_400000_NS6detail17trampoline_kernelINS0_14default_configENS1_29reduce_by_key_config_selectorIalN6thrust23THRUST_200600_302600_NS4plusIlEEEEZZNS1_33reduce_by_key_impl_wrapped_configILNS1_25lookback_scan_determinismE0ES3_S9_PaNS6_17constant_iteratorIiNS6_11use_defaultESE_EENS6_10device_ptrIaEENSG_IlEEPmS8_NS6_8equal_toIaEEEE10hipError_tPvRmT2_T3_mT4_T5_T6_T7_T8_P12ihipStream_tbENKUlT_T0_E_clISt17integral_constantIbLb1EES13_EEDaSY_SZ_EUlSY_E_NS1_11comp_targetILNS1_3genE3ELNS1_11target_archE908ELNS1_3gpuE7ELNS1_3repE0EEENS1_30default_config_static_selectorELNS0_4arch9wavefront6targetE1EEEvT1_,@function
_ZN7rocprim17ROCPRIM_400000_NS6detail17trampoline_kernelINS0_14default_configENS1_29reduce_by_key_config_selectorIalN6thrust23THRUST_200600_302600_NS4plusIlEEEEZZNS1_33reduce_by_key_impl_wrapped_configILNS1_25lookback_scan_determinismE0ES3_S9_PaNS6_17constant_iteratorIiNS6_11use_defaultESE_EENS6_10device_ptrIaEENSG_IlEEPmS8_NS6_8equal_toIaEEEE10hipError_tPvRmT2_T3_mT4_T5_T6_T7_T8_P12ihipStream_tbENKUlT_T0_E_clISt17integral_constantIbLb1EES13_EEDaSY_SZ_EUlSY_E_NS1_11comp_targetILNS1_3genE3ELNS1_11target_archE908ELNS1_3gpuE7ELNS1_3repE0EEENS1_30default_config_static_selectorELNS0_4arch9wavefront6targetE1EEEvT1_: ; @_ZN7rocprim17ROCPRIM_400000_NS6detail17trampoline_kernelINS0_14default_configENS1_29reduce_by_key_config_selectorIalN6thrust23THRUST_200600_302600_NS4plusIlEEEEZZNS1_33reduce_by_key_impl_wrapped_configILNS1_25lookback_scan_determinismE0ES3_S9_PaNS6_17constant_iteratorIiNS6_11use_defaultESE_EENS6_10device_ptrIaEENSG_IlEEPmS8_NS6_8equal_toIaEEEE10hipError_tPvRmT2_T3_mT4_T5_T6_T7_T8_P12ihipStream_tbENKUlT_T0_E_clISt17integral_constantIbLb1EES13_EEDaSY_SZ_EUlSY_E_NS1_11comp_targetILNS1_3genE3ELNS1_11target_archE908ELNS1_3gpuE7ELNS1_3repE0EEENS1_30default_config_static_selectorELNS0_4arch9wavefront6targetE1EEEvT1_
; %bb.0:
	.section	.rodata,"a",@progbits
	.p2align	6, 0x0
	.amdhsa_kernel _ZN7rocprim17ROCPRIM_400000_NS6detail17trampoline_kernelINS0_14default_configENS1_29reduce_by_key_config_selectorIalN6thrust23THRUST_200600_302600_NS4plusIlEEEEZZNS1_33reduce_by_key_impl_wrapped_configILNS1_25lookback_scan_determinismE0ES3_S9_PaNS6_17constant_iteratorIiNS6_11use_defaultESE_EENS6_10device_ptrIaEENSG_IlEEPmS8_NS6_8equal_toIaEEEE10hipError_tPvRmT2_T3_mT4_T5_T6_T7_T8_P12ihipStream_tbENKUlT_T0_E_clISt17integral_constantIbLb1EES13_EEDaSY_SZ_EUlSY_E_NS1_11comp_targetILNS1_3genE3ELNS1_11target_archE908ELNS1_3gpuE7ELNS1_3repE0EEENS1_30default_config_static_selectorELNS0_4arch9wavefront6targetE1EEEvT1_
		.amdhsa_group_segment_fixed_size 0
		.amdhsa_private_segment_fixed_size 0
		.amdhsa_kernarg_size 144
		.amdhsa_user_sgpr_count 6
		.amdhsa_user_sgpr_private_segment_buffer 1
		.amdhsa_user_sgpr_dispatch_ptr 0
		.amdhsa_user_sgpr_queue_ptr 0
		.amdhsa_user_sgpr_kernarg_segment_ptr 1
		.amdhsa_user_sgpr_dispatch_id 0
		.amdhsa_user_sgpr_flat_scratch_init 0
		.amdhsa_user_sgpr_kernarg_preload_length 0
		.amdhsa_user_sgpr_kernarg_preload_offset 0
		.amdhsa_user_sgpr_private_segment_size 0
		.amdhsa_uses_dynamic_stack 0
		.amdhsa_system_sgpr_private_segment_wavefront_offset 0
		.amdhsa_system_sgpr_workgroup_id_x 1
		.amdhsa_system_sgpr_workgroup_id_y 0
		.amdhsa_system_sgpr_workgroup_id_z 0
		.amdhsa_system_sgpr_workgroup_info 0
		.amdhsa_system_vgpr_workitem_id 0
		.amdhsa_next_free_vgpr 1
		.amdhsa_next_free_sgpr 0
		.amdhsa_accum_offset 4
		.amdhsa_reserve_vcc 0
		.amdhsa_reserve_flat_scratch 0
		.amdhsa_float_round_mode_32 0
		.amdhsa_float_round_mode_16_64 0
		.amdhsa_float_denorm_mode_32 3
		.amdhsa_float_denorm_mode_16_64 3
		.amdhsa_dx10_clamp 1
		.amdhsa_ieee_mode 1
		.amdhsa_fp16_overflow 0
		.amdhsa_tg_split 0
		.amdhsa_exception_fp_ieee_invalid_op 0
		.amdhsa_exception_fp_denorm_src 0
		.amdhsa_exception_fp_ieee_div_zero 0
		.amdhsa_exception_fp_ieee_overflow 0
		.amdhsa_exception_fp_ieee_underflow 0
		.amdhsa_exception_fp_ieee_inexact 0
		.amdhsa_exception_int_div_zero 0
	.end_amdhsa_kernel
	.section	.text._ZN7rocprim17ROCPRIM_400000_NS6detail17trampoline_kernelINS0_14default_configENS1_29reduce_by_key_config_selectorIalN6thrust23THRUST_200600_302600_NS4plusIlEEEEZZNS1_33reduce_by_key_impl_wrapped_configILNS1_25lookback_scan_determinismE0ES3_S9_PaNS6_17constant_iteratorIiNS6_11use_defaultESE_EENS6_10device_ptrIaEENSG_IlEEPmS8_NS6_8equal_toIaEEEE10hipError_tPvRmT2_T3_mT4_T5_T6_T7_T8_P12ihipStream_tbENKUlT_T0_E_clISt17integral_constantIbLb1EES13_EEDaSY_SZ_EUlSY_E_NS1_11comp_targetILNS1_3genE3ELNS1_11target_archE908ELNS1_3gpuE7ELNS1_3repE0EEENS1_30default_config_static_selectorELNS0_4arch9wavefront6targetE1EEEvT1_,"axG",@progbits,_ZN7rocprim17ROCPRIM_400000_NS6detail17trampoline_kernelINS0_14default_configENS1_29reduce_by_key_config_selectorIalN6thrust23THRUST_200600_302600_NS4plusIlEEEEZZNS1_33reduce_by_key_impl_wrapped_configILNS1_25lookback_scan_determinismE0ES3_S9_PaNS6_17constant_iteratorIiNS6_11use_defaultESE_EENS6_10device_ptrIaEENSG_IlEEPmS8_NS6_8equal_toIaEEEE10hipError_tPvRmT2_T3_mT4_T5_T6_T7_T8_P12ihipStream_tbENKUlT_T0_E_clISt17integral_constantIbLb1EES13_EEDaSY_SZ_EUlSY_E_NS1_11comp_targetILNS1_3genE3ELNS1_11target_archE908ELNS1_3gpuE7ELNS1_3repE0EEENS1_30default_config_static_selectorELNS0_4arch9wavefront6targetE1EEEvT1_,comdat
.Lfunc_end684:
	.size	_ZN7rocprim17ROCPRIM_400000_NS6detail17trampoline_kernelINS0_14default_configENS1_29reduce_by_key_config_selectorIalN6thrust23THRUST_200600_302600_NS4plusIlEEEEZZNS1_33reduce_by_key_impl_wrapped_configILNS1_25lookback_scan_determinismE0ES3_S9_PaNS6_17constant_iteratorIiNS6_11use_defaultESE_EENS6_10device_ptrIaEENSG_IlEEPmS8_NS6_8equal_toIaEEEE10hipError_tPvRmT2_T3_mT4_T5_T6_T7_T8_P12ihipStream_tbENKUlT_T0_E_clISt17integral_constantIbLb1EES13_EEDaSY_SZ_EUlSY_E_NS1_11comp_targetILNS1_3genE3ELNS1_11target_archE908ELNS1_3gpuE7ELNS1_3repE0EEENS1_30default_config_static_selectorELNS0_4arch9wavefront6targetE1EEEvT1_, .Lfunc_end684-_ZN7rocprim17ROCPRIM_400000_NS6detail17trampoline_kernelINS0_14default_configENS1_29reduce_by_key_config_selectorIalN6thrust23THRUST_200600_302600_NS4plusIlEEEEZZNS1_33reduce_by_key_impl_wrapped_configILNS1_25lookback_scan_determinismE0ES3_S9_PaNS6_17constant_iteratorIiNS6_11use_defaultESE_EENS6_10device_ptrIaEENSG_IlEEPmS8_NS6_8equal_toIaEEEE10hipError_tPvRmT2_T3_mT4_T5_T6_T7_T8_P12ihipStream_tbENKUlT_T0_E_clISt17integral_constantIbLb1EES13_EEDaSY_SZ_EUlSY_E_NS1_11comp_targetILNS1_3genE3ELNS1_11target_archE908ELNS1_3gpuE7ELNS1_3repE0EEENS1_30default_config_static_selectorELNS0_4arch9wavefront6targetE1EEEvT1_
                                        ; -- End function
	.section	.AMDGPU.csdata,"",@progbits
; Kernel info:
; codeLenInByte = 0
; NumSgprs: 4
; NumVgprs: 0
; NumAgprs: 0
; TotalNumVgprs: 0
; ScratchSize: 0
; MemoryBound: 0
; FloatMode: 240
; IeeeMode: 1
; LDSByteSize: 0 bytes/workgroup (compile time only)
; SGPRBlocks: 0
; VGPRBlocks: 0
; NumSGPRsForWavesPerEU: 4
; NumVGPRsForWavesPerEU: 1
; AccumOffset: 4
; Occupancy: 8
; WaveLimiterHint : 0
; COMPUTE_PGM_RSRC2:SCRATCH_EN: 0
; COMPUTE_PGM_RSRC2:USER_SGPR: 6
; COMPUTE_PGM_RSRC2:TRAP_HANDLER: 0
; COMPUTE_PGM_RSRC2:TGID_X_EN: 1
; COMPUTE_PGM_RSRC2:TGID_Y_EN: 0
; COMPUTE_PGM_RSRC2:TGID_Z_EN: 0
; COMPUTE_PGM_RSRC2:TIDIG_COMP_CNT: 0
; COMPUTE_PGM_RSRC3_GFX90A:ACCUM_OFFSET: 0
; COMPUTE_PGM_RSRC3_GFX90A:TG_SPLIT: 0
	.section	.text._ZN7rocprim17ROCPRIM_400000_NS6detail17trampoline_kernelINS0_14default_configENS1_29reduce_by_key_config_selectorIalN6thrust23THRUST_200600_302600_NS4plusIlEEEEZZNS1_33reduce_by_key_impl_wrapped_configILNS1_25lookback_scan_determinismE0ES3_S9_PaNS6_17constant_iteratorIiNS6_11use_defaultESE_EENS6_10device_ptrIaEENSG_IlEEPmS8_NS6_8equal_toIaEEEE10hipError_tPvRmT2_T3_mT4_T5_T6_T7_T8_P12ihipStream_tbENKUlT_T0_E_clISt17integral_constantIbLb1EES13_EEDaSY_SZ_EUlSY_E_NS1_11comp_targetILNS1_3genE2ELNS1_11target_archE906ELNS1_3gpuE6ELNS1_3repE0EEENS1_30default_config_static_selectorELNS0_4arch9wavefront6targetE1EEEvT1_,"axG",@progbits,_ZN7rocprim17ROCPRIM_400000_NS6detail17trampoline_kernelINS0_14default_configENS1_29reduce_by_key_config_selectorIalN6thrust23THRUST_200600_302600_NS4plusIlEEEEZZNS1_33reduce_by_key_impl_wrapped_configILNS1_25lookback_scan_determinismE0ES3_S9_PaNS6_17constant_iteratorIiNS6_11use_defaultESE_EENS6_10device_ptrIaEENSG_IlEEPmS8_NS6_8equal_toIaEEEE10hipError_tPvRmT2_T3_mT4_T5_T6_T7_T8_P12ihipStream_tbENKUlT_T0_E_clISt17integral_constantIbLb1EES13_EEDaSY_SZ_EUlSY_E_NS1_11comp_targetILNS1_3genE2ELNS1_11target_archE906ELNS1_3gpuE6ELNS1_3repE0EEENS1_30default_config_static_selectorELNS0_4arch9wavefront6targetE1EEEvT1_,comdat
	.protected	_ZN7rocprim17ROCPRIM_400000_NS6detail17trampoline_kernelINS0_14default_configENS1_29reduce_by_key_config_selectorIalN6thrust23THRUST_200600_302600_NS4plusIlEEEEZZNS1_33reduce_by_key_impl_wrapped_configILNS1_25lookback_scan_determinismE0ES3_S9_PaNS6_17constant_iteratorIiNS6_11use_defaultESE_EENS6_10device_ptrIaEENSG_IlEEPmS8_NS6_8equal_toIaEEEE10hipError_tPvRmT2_T3_mT4_T5_T6_T7_T8_P12ihipStream_tbENKUlT_T0_E_clISt17integral_constantIbLb1EES13_EEDaSY_SZ_EUlSY_E_NS1_11comp_targetILNS1_3genE2ELNS1_11target_archE906ELNS1_3gpuE6ELNS1_3repE0EEENS1_30default_config_static_selectorELNS0_4arch9wavefront6targetE1EEEvT1_ ; -- Begin function _ZN7rocprim17ROCPRIM_400000_NS6detail17trampoline_kernelINS0_14default_configENS1_29reduce_by_key_config_selectorIalN6thrust23THRUST_200600_302600_NS4plusIlEEEEZZNS1_33reduce_by_key_impl_wrapped_configILNS1_25lookback_scan_determinismE0ES3_S9_PaNS6_17constant_iteratorIiNS6_11use_defaultESE_EENS6_10device_ptrIaEENSG_IlEEPmS8_NS6_8equal_toIaEEEE10hipError_tPvRmT2_T3_mT4_T5_T6_T7_T8_P12ihipStream_tbENKUlT_T0_E_clISt17integral_constantIbLb1EES13_EEDaSY_SZ_EUlSY_E_NS1_11comp_targetILNS1_3genE2ELNS1_11target_archE906ELNS1_3gpuE6ELNS1_3repE0EEENS1_30default_config_static_selectorELNS0_4arch9wavefront6targetE1EEEvT1_
	.globl	_ZN7rocprim17ROCPRIM_400000_NS6detail17trampoline_kernelINS0_14default_configENS1_29reduce_by_key_config_selectorIalN6thrust23THRUST_200600_302600_NS4plusIlEEEEZZNS1_33reduce_by_key_impl_wrapped_configILNS1_25lookback_scan_determinismE0ES3_S9_PaNS6_17constant_iteratorIiNS6_11use_defaultESE_EENS6_10device_ptrIaEENSG_IlEEPmS8_NS6_8equal_toIaEEEE10hipError_tPvRmT2_T3_mT4_T5_T6_T7_T8_P12ihipStream_tbENKUlT_T0_E_clISt17integral_constantIbLb1EES13_EEDaSY_SZ_EUlSY_E_NS1_11comp_targetILNS1_3genE2ELNS1_11target_archE906ELNS1_3gpuE6ELNS1_3repE0EEENS1_30default_config_static_selectorELNS0_4arch9wavefront6targetE1EEEvT1_
	.p2align	8
	.type	_ZN7rocprim17ROCPRIM_400000_NS6detail17trampoline_kernelINS0_14default_configENS1_29reduce_by_key_config_selectorIalN6thrust23THRUST_200600_302600_NS4plusIlEEEEZZNS1_33reduce_by_key_impl_wrapped_configILNS1_25lookback_scan_determinismE0ES3_S9_PaNS6_17constant_iteratorIiNS6_11use_defaultESE_EENS6_10device_ptrIaEENSG_IlEEPmS8_NS6_8equal_toIaEEEE10hipError_tPvRmT2_T3_mT4_T5_T6_T7_T8_P12ihipStream_tbENKUlT_T0_E_clISt17integral_constantIbLb1EES13_EEDaSY_SZ_EUlSY_E_NS1_11comp_targetILNS1_3genE2ELNS1_11target_archE906ELNS1_3gpuE6ELNS1_3repE0EEENS1_30default_config_static_selectorELNS0_4arch9wavefront6targetE1EEEvT1_,@function
_ZN7rocprim17ROCPRIM_400000_NS6detail17trampoline_kernelINS0_14default_configENS1_29reduce_by_key_config_selectorIalN6thrust23THRUST_200600_302600_NS4plusIlEEEEZZNS1_33reduce_by_key_impl_wrapped_configILNS1_25lookback_scan_determinismE0ES3_S9_PaNS6_17constant_iteratorIiNS6_11use_defaultESE_EENS6_10device_ptrIaEENSG_IlEEPmS8_NS6_8equal_toIaEEEE10hipError_tPvRmT2_T3_mT4_T5_T6_T7_T8_P12ihipStream_tbENKUlT_T0_E_clISt17integral_constantIbLb1EES13_EEDaSY_SZ_EUlSY_E_NS1_11comp_targetILNS1_3genE2ELNS1_11target_archE906ELNS1_3gpuE6ELNS1_3repE0EEENS1_30default_config_static_selectorELNS0_4arch9wavefront6targetE1EEEvT1_: ; @_ZN7rocprim17ROCPRIM_400000_NS6detail17trampoline_kernelINS0_14default_configENS1_29reduce_by_key_config_selectorIalN6thrust23THRUST_200600_302600_NS4plusIlEEEEZZNS1_33reduce_by_key_impl_wrapped_configILNS1_25lookback_scan_determinismE0ES3_S9_PaNS6_17constant_iteratorIiNS6_11use_defaultESE_EENS6_10device_ptrIaEENSG_IlEEPmS8_NS6_8equal_toIaEEEE10hipError_tPvRmT2_T3_mT4_T5_T6_T7_T8_P12ihipStream_tbENKUlT_T0_E_clISt17integral_constantIbLb1EES13_EEDaSY_SZ_EUlSY_E_NS1_11comp_targetILNS1_3genE2ELNS1_11target_archE906ELNS1_3gpuE6ELNS1_3repE0EEENS1_30default_config_static_selectorELNS0_4arch9wavefront6targetE1EEEvT1_
; %bb.0:
	.section	.rodata,"a",@progbits
	.p2align	6, 0x0
	.amdhsa_kernel _ZN7rocprim17ROCPRIM_400000_NS6detail17trampoline_kernelINS0_14default_configENS1_29reduce_by_key_config_selectorIalN6thrust23THRUST_200600_302600_NS4plusIlEEEEZZNS1_33reduce_by_key_impl_wrapped_configILNS1_25lookback_scan_determinismE0ES3_S9_PaNS6_17constant_iteratorIiNS6_11use_defaultESE_EENS6_10device_ptrIaEENSG_IlEEPmS8_NS6_8equal_toIaEEEE10hipError_tPvRmT2_T3_mT4_T5_T6_T7_T8_P12ihipStream_tbENKUlT_T0_E_clISt17integral_constantIbLb1EES13_EEDaSY_SZ_EUlSY_E_NS1_11comp_targetILNS1_3genE2ELNS1_11target_archE906ELNS1_3gpuE6ELNS1_3repE0EEENS1_30default_config_static_selectorELNS0_4arch9wavefront6targetE1EEEvT1_
		.amdhsa_group_segment_fixed_size 0
		.amdhsa_private_segment_fixed_size 0
		.amdhsa_kernarg_size 144
		.amdhsa_user_sgpr_count 6
		.amdhsa_user_sgpr_private_segment_buffer 1
		.amdhsa_user_sgpr_dispatch_ptr 0
		.amdhsa_user_sgpr_queue_ptr 0
		.amdhsa_user_sgpr_kernarg_segment_ptr 1
		.amdhsa_user_sgpr_dispatch_id 0
		.amdhsa_user_sgpr_flat_scratch_init 0
		.amdhsa_user_sgpr_kernarg_preload_length 0
		.amdhsa_user_sgpr_kernarg_preload_offset 0
		.amdhsa_user_sgpr_private_segment_size 0
		.amdhsa_uses_dynamic_stack 0
		.amdhsa_system_sgpr_private_segment_wavefront_offset 0
		.amdhsa_system_sgpr_workgroup_id_x 1
		.amdhsa_system_sgpr_workgroup_id_y 0
		.amdhsa_system_sgpr_workgroup_id_z 0
		.amdhsa_system_sgpr_workgroup_info 0
		.amdhsa_system_vgpr_workitem_id 0
		.amdhsa_next_free_vgpr 1
		.amdhsa_next_free_sgpr 0
		.amdhsa_accum_offset 4
		.amdhsa_reserve_vcc 0
		.amdhsa_reserve_flat_scratch 0
		.amdhsa_float_round_mode_32 0
		.amdhsa_float_round_mode_16_64 0
		.amdhsa_float_denorm_mode_32 3
		.amdhsa_float_denorm_mode_16_64 3
		.amdhsa_dx10_clamp 1
		.amdhsa_ieee_mode 1
		.amdhsa_fp16_overflow 0
		.amdhsa_tg_split 0
		.amdhsa_exception_fp_ieee_invalid_op 0
		.amdhsa_exception_fp_denorm_src 0
		.amdhsa_exception_fp_ieee_div_zero 0
		.amdhsa_exception_fp_ieee_overflow 0
		.amdhsa_exception_fp_ieee_underflow 0
		.amdhsa_exception_fp_ieee_inexact 0
		.amdhsa_exception_int_div_zero 0
	.end_amdhsa_kernel
	.section	.text._ZN7rocprim17ROCPRIM_400000_NS6detail17trampoline_kernelINS0_14default_configENS1_29reduce_by_key_config_selectorIalN6thrust23THRUST_200600_302600_NS4plusIlEEEEZZNS1_33reduce_by_key_impl_wrapped_configILNS1_25lookback_scan_determinismE0ES3_S9_PaNS6_17constant_iteratorIiNS6_11use_defaultESE_EENS6_10device_ptrIaEENSG_IlEEPmS8_NS6_8equal_toIaEEEE10hipError_tPvRmT2_T3_mT4_T5_T6_T7_T8_P12ihipStream_tbENKUlT_T0_E_clISt17integral_constantIbLb1EES13_EEDaSY_SZ_EUlSY_E_NS1_11comp_targetILNS1_3genE2ELNS1_11target_archE906ELNS1_3gpuE6ELNS1_3repE0EEENS1_30default_config_static_selectorELNS0_4arch9wavefront6targetE1EEEvT1_,"axG",@progbits,_ZN7rocprim17ROCPRIM_400000_NS6detail17trampoline_kernelINS0_14default_configENS1_29reduce_by_key_config_selectorIalN6thrust23THRUST_200600_302600_NS4plusIlEEEEZZNS1_33reduce_by_key_impl_wrapped_configILNS1_25lookback_scan_determinismE0ES3_S9_PaNS6_17constant_iteratorIiNS6_11use_defaultESE_EENS6_10device_ptrIaEENSG_IlEEPmS8_NS6_8equal_toIaEEEE10hipError_tPvRmT2_T3_mT4_T5_T6_T7_T8_P12ihipStream_tbENKUlT_T0_E_clISt17integral_constantIbLb1EES13_EEDaSY_SZ_EUlSY_E_NS1_11comp_targetILNS1_3genE2ELNS1_11target_archE906ELNS1_3gpuE6ELNS1_3repE0EEENS1_30default_config_static_selectorELNS0_4arch9wavefront6targetE1EEEvT1_,comdat
.Lfunc_end685:
	.size	_ZN7rocprim17ROCPRIM_400000_NS6detail17trampoline_kernelINS0_14default_configENS1_29reduce_by_key_config_selectorIalN6thrust23THRUST_200600_302600_NS4plusIlEEEEZZNS1_33reduce_by_key_impl_wrapped_configILNS1_25lookback_scan_determinismE0ES3_S9_PaNS6_17constant_iteratorIiNS6_11use_defaultESE_EENS6_10device_ptrIaEENSG_IlEEPmS8_NS6_8equal_toIaEEEE10hipError_tPvRmT2_T3_mT4_T5_T6_T7_T8_P12ihipStream_tbENKUlT_T0_E_clISt17integral_constantIbLb1EES13_EEDaSY_SZ_EUlSY_E_NS1_11comp_targetILNS1_3genE2ELNS1_11target_archE906ELNS1_3gpuE6ELNS1_3repE0EEENS1_30default_config_static_selectorELNS0_4arch9wavefront6targetE1EEEvT1_, .Lfunc_end685-_ZN7rocprim17ROCPRIM_400000_NS6detail17trampoline_kernelINS0_14default_configENS1_29reduce_by_key_config_selectorIalN6thrust23THRUST_200600_302600_NS4plusIlEEEEZZNS1_33reduce_by_key_impl_wrapped_configILNS1_25lookback_scan_determinismE0ES3_S9_PaNS6_17constant_iteratorIiNS6_11use_defaultESE_EENS6_10device_ptrIaEENSG_IlEEPmS8_NS6_8equal_toIaEEEE10hipError_tPvRmT2_T3_mT4_T5_T6_T7_T8_P12ihipStream_tbENKUlT_T0_E_clISt17integral_constantIbLb1EES13_EEDaSY_SZ_EUlSY_E_NS1_11comp_targetILNS1_3genE2ELNS1_11target_archE906ELNS1_3gpuE6ELNS1_3repE0EEENS1_30default_config_static_selectorELNS0_4arch9wavefront6targetE1EEEvT1_
                                        ; -- End function
	.section	.AMDGPU.csdata,"",@progbits
; Kernel info:
; codeLenInByte = 0
; NumSgprs: 4
; NumVgprs: 0
; NumAgprs: 0
; TotalNumVgprs: 0
; ScratchSize: 0
; MemoryBound: 0
; FloatMode: 240
; IeeeMode: 1
; LDSByteSize: 0 bytes/workgroup (compile time only)
; SGPRBlocks: 0
; VGPRBlocks: 0
; NumSGPRsForWavesPerEU: 4
; NumVGPRsForWavesPerEU: 1
; AccumOffset: 4
; Occupancy: 8
; WaveLimiterHint : 0
; COMPUTE_PGM_RSRC2:SCRATCH_EN: 0
; COMPUTE_PGM_RSRC2:USER_SGPR: 6
; COMPUTE_PGM_RSRC2:TRAP_HANDLER: 0
; COMPUTE_PGM_RSRC2:TGID_X_EN: 1
; COMPUTE_PGM_RSRC2:TGID_Y_EN: 0
; COMPUTE_PGM_RSRC2:TGID_Z_EN: 0
; COMPUTE_PGM_RSRC2:TIDIG_COMP_CNT: 0
; COMPUTE_PGM_RSRC3_GFX90A:ACCUM_OFFSET: 0
; COMPUTE_PGM_RSRC3_GFX90A:TG_SPLIT: 0
	.section	.text._ZN7rocprim17ROCPRIM_400000_NS6detail17trampoline_kernelINS0_14default_configENS1_29reduce_by_key_config_selectorIalN6thrust23THRUST_200600_302600_NS4plusIlEEEEZZNS1_33reduce_by_key_impl_wrapped_configILNS1_25lookback_scan_determinismE0ES3_S9_PaNS6_17constant_iteratorIiNS6_11use_defaultESE_EENS6_10device_ptrIaEENSG_IlEEPmS8_NS6_8equal_toIaEEEE10hipError_tPvRmT2_T3_mT4_T5_T6_T7_T8_P12ihipStream_tbENKUlT_T0_E_clISt17integral_constantIbLb1EES13_EEDaSY_SZ_EUlSY_E_NS1_11comp_targetILNS1_3genE10ELNS1_11target_archE1201ELNS1_3gpuE5ELNS1_3repE0EEENS1_30default_config_static_selectorELNS0_4arch9wavefront6targetE1EEEvT1_,"axG",@progbits,_ZN7rocprim17ROCPRIM_400000_NS6detail17trampoline_kernelINS0_14default_configENS1_29reduce_by_key_config_selectorIalN6thrust23THRUST_200600_302600_NS4plusIlEEEEZZNS1_33reduce_by_key_impl_wrapped_configILNS1_25lookback_scan_determinismE0ES3_S9_PaNS6_17constant_iteratorIiNS6_11use_defaultESE_EENS6_10device_ptrIaEENSG_IlEEPmS8_NS6_8equal_toIaEEEE10hipError_tPvRmT2_T3_mT4_T5_T6_T7_T8_P12ihipStream_tbENKUlT_T0_E_clISt17integral_constantIbLb1EES13_EEDaSY_SZ_EUlSY_E_NS1_11comp_targetILNS1_3genE10ELNS1_11target_archE1201ELNS1_3gpuE5ELNS1_3repE0EEENS1_30default_config_static_selectorELNS0_4arch9wavefront6targetE1EEEvT1_,comdat
	.protected	_ZN7rocprim17ROCPRIM_400000_NS6detail17trampoline_kernelINS0_14default_configENS1_29reduce_by_key_config_selectorIalN6thrust23THRUST_200600_302600_NS4plusIlEEEEZZNS1_33reduce_by_key_impl_wrapped_configILNS1_25lookback_scan_determinismE0ES3_S9_PaNS6_17constant_iteratorIiNS6_11use_defaultESE_EENS6_10device_ptrIaEENSG_IlEEPmS8_NS6_8equal_toIaEEEE10hipError_tPvRmT2_T3_mT4_T5_T6_T7_T8_P12ihipStream_tbENKUlT_T0_E_clISt17integral_constantIbLb1EES13_EEDaSY_SZ_EUlSY_E_NS1_11comp_targetILNS1_3genE10ELNS1_11target_archE1201ELNS1_3gpuE5ELNS1_3repE0EEENS1_30default_config_static_selectorELNS0_4arch9wavefront6targetE1EEEvT1_ ; -- Begin function _ZN7rocprim17ROCPRIM_400000_NS6detail17trampoline_kernelINS0_14default_configENS1_29reduce_by_key_config_selectorIalN6thrust23THRUST_200600_302600_NS4plusIlEEEEZZNS1_33reduce_by_key_impl_wrapped_configILNS1_25lookback_scan_determinismE0ES3_S9_PaNS6_17constant_iteratorIiNS6_11use_defaultESE_EENS6_10device_ptrIaEENSG_IlEEPmS8_NS6_8equal_toIaEEEE10hipError_tPvRmT2_T3_mT4_T5_T6_T7_T8_P12ihipStream_tbENKUlT_T0_E_clISt17integral_constantIbLb1EES13_EEDaSY_SZ_EUlSY_E_NS1_11comp_targetILNS1_3genE10ELNS1_11target_archE1201ELNS1_3gpuE5ELNS1_3repE0EEENS1_30default_config_static_selectorELNS0_4arch9wavefront6targetE1EEEvT1_
	.globl	_ZN7rocprim17ROCPRIM_400000_NS6detail17trampoline_kernelINS0_14default_configENS1_29reduce_by_key_config_selectorIalN6thrust23THRUST_200600_302600_NS4plusIlEEEEZZNS1_33reduce_by_key_impl_wrapped_configILNS1_25lookback_scan_determinismE0ES3_S9_PaNS6_17constant_iteratorIiNS6_11use_defaultESE_EENS6_10device_ptrIaEENSG_IlEEPmS8_NS6_8equal_toIaEEEE10hipError_tPvRmT2_T3_mT4_T5_T6_T7_T8_P12ihipStream_tbENKUlT_T0_E_clISt17integral_constantIbLb1EES13_EEDaSY_SZ_EUlSY_E_NS1_11comp_targetILNS1_3genE10ELNS1_11target_archE1201ELNS1_3gpuE5ELNS1_3repE0EEENS1_30default_config_static_selectorELNS0_4arch9wavefront6targetE1EEEvT1_
	.p2align	8
	.type	_ZN7rocprim17ROCPRIM_400000_NS6detail17trampoline_kernelINS0_14default_configENS1_29reduce_by_key_config_selectorIalN6thrust23THRUST_200600_302600_NS4plusIlEEEEZZNS1_33reduce_by_key_impl_wrapped_configILNS1_25lookback_scan_determinismE0ES3_S9_PaNS6_17constant_iteratorIiNS6_11use_defaultESE_EENS6_10device_ptrIaEENSG_IlEEPmS8_NS6_8equal_toIaEEEE10hipError_tPvRmT2_T3_mT4_T5_T6_T7_T8_P12ihipStream_tbENKUlT_T0_E_clISt17integral_constantIbLb1EES13_EEDaSY_SZ_EUlSY_E_NS1_11comp_targetILNS1_3genE10ELNS1_11target_archE1201ELNS1_3gpuE5ELNS1_3repE0EEENS1_30default_config_static_selectorELNS0_4arch9wavefront6targetE1EEEvT1_,@function
_ZN7rocprim17ROCPRIM_400000_NS6detail17trampoline_kernelINS0_14default_configENS1_29reduce_by_key_config_selectorIalN6thrust23THRUST_200600_302600_NS4plusIlEEEEZZNS1_33reduce_by_key_impl_wrapped_configILNS1_25lookback_scan_determinismE0ES3_S9_PaNS6_17constant_iteratorIiNS6_11use_defaultESE_EENS6_10device_ptrIaEENSG_IlEEPmS8_NS6_8equal_toIaEEEE10hipError_tPvRmT2_T3_mT4_T5_T6_T7_T8_P12ihipStream_tbENKUlT_T0_E_clISt17integral_constantIbLb1EES13_EEDaSY_SZ_EUlSY_E_NS1_11comp_targetILNS1_3genE10ELNS1_11target_archE1201ELNS1_3gpuE5ELNS1_3repE0EEENS1_30default_config_static_selectorELNS0_4arch9wavefront6targetE1EEEvT1_: ; @_ZN7rocprim17ROCPRIM_400000_NS6detail17trampoline_kernelINS0_14default_configENS1_29reduce_by_key_config_selectorIalN6thrust23THRUST_200600_302600_NS4plusIlEEEEZZNS1_33reduce_by_key_impl_wrapped_configILNS1_25lookback_scan_determinismE0ES3_S9_PaNS6_17constant_iteratorIiNS6_11use_defaultESE_EENS6_10device_ptrIaEENSG_IlEEPmS8_NS6_8equal_toIaEEEE10hipError_tPvRmT2_T3_mT4_T5_T6_T7_T8_P12ihipStream_tbENKUlT_T0_E_clISt17integral_constantIbLb1EES13_EEDaSY_SZ_EUlSY_E_NS1_11comp_targetILNS1_3genE10ELNS1_11target_archE1201ELNS1_3gpuE5ELNS1_3repE0EEENS1_30default_config_static_selectorELNS0_4arch9wavefront6targetE1EEEvT1_
; %bb.0:
	.section	.rodata,"a",@progbits
	.p2align	6, 0x0
	.amdhsa_kernel _ZN7rocprim17ROCPRIM_400000_NS6detail17trampoline_kernelINS0_14default_configENS1_29reduce_by_key_config_selectorIalN6thrust23THRUST_200600_302600_NS4plusIlEEEEZZNS1_33reduce_by_key_impl_wrapped_configILNS1_25lookback_scan_determinismE0ES3_S9_PaNS6_17constant_iteratorIiNS6_11use_defaultESE_EENS6_10device_ptrIaEENSG_IlEEPmS8_NS6_8equal_toIaEEEE10hipError_tPvRmT2_T3_mT4_T5_T6_T7_T8_P12ihipStream_tbENKUlT_T0_E_clISt17integral_constantIbLb1EES13_EEDaSY_SZ_EUlSY_E_NS1_11comp_targetILNS1_3genE10ELNS1_11target_archE1201ELNS1_3gpuE5ELNS1_3repE0EEENS1_30default_config_static_selectorELNS0_4arch9wavefront6targetE1EEEvT1_
		.amdhsa_group_segment_fixed_size 0
		.amdhsa_private_segment_fixed_size 0
		.amdhsa_kernarg_size 144
		.amdhsa_user_sgpr_count 6
		.amdhsa_user_sgpr_private_segment_buffer 1
		.amdhsa_user_sgpr_dispatch_ptr 0
		.amdhsa_user_sgpr_queue_ptr 0
		.amdhsa_user_sgpr_kernarg_segment_ptr 1
		.amdhsa_user_sgpr_dispatch_id 0
		.amdhsa_user_sgpr_flat_scratch_init 0
		.amdhsa_user_sgpr_kernarg_preload_length 0
		.amdhsa_user_sgpr_kernarg_preload_offset 0
		.amdhsa_user_sgpr_private_segment_size 0
		.amdhsa_uses_dynamic_stack 0
		.amdhsa_system_sgpr_private_segment_wavefront_offset 0
		.amdhsa_system_sgpr_workgroup_id_x 1
		.amdhsa_system_sgpr_workgroup_id_y 0
		.amdhsa_system_sgpr_workgroup_id_z 0
		.amdhsa_system_sgpr_workgroup_info 0
		.amdhsa_system_vgpr_workitem_id 0
		.amdhsa_next_free_vgpr 1
		.amdhsa_next_free_sgpr 0
		.amdhsa_accum_offset 4
		.amdhsa_reserve_vcc 0
		.amdhsa_reserve_flat_scratch 0
		.amdhsa_float_round_mode_32 0
		.amdhsa_float_round_mode_16_64 0
		.amdhsa_float_denorm_mode_32 3
		.amdhsa_float_denorm_mode_16_64 3
		.amdhsa_dx10_clamp 1
		.amdhsa_ieee_mode 1
		.amdhsa_fp16_overflow 0
		.amdhsa_tg_split 0
		.amdhsa_exception_fp_ieee_invalid_op 0
		.amdhsa_exception_fp_denorm_src 0
		.amdhsa_exception_fp_ieee_div_zero 0
		.amdhsa_exception_fp_ieee_overflow 0
		.amdhsa_exception_fp_ieee_underflow 0
		.amdhsa_exception_fp_ieee_inexact 0
		.amdhsa_exception_int_div_zero 0
	.end_amdhsa_kernel
	.section	.text._ZN7rocprim17ROCPRIM_400000_NS6detail17trampoline_kernelINS0_14default_configENS1_29reduce_by_key_config_selectorIalN6thrust23THRUST_200600_302600_NS4plusIlEEEEZZNS1_33reduce_by_key_impl_wrapped_configILNS1_25lookback_scan_determinismE0ES3_S9_PaNS6_17constant_iteratorIiNS6_11use_defaultESE_EENS6_10device_ptrIaEENSG_IlEEPmS8_NS6_8equal_toIaEEEE10hipError_tPvRmT2_T3_mT4_T5_T6_T7_T8_P12ihipStream_tbENKUlT_T0_E_clISt17integral_constantIbLb1EES13_EEDaSY_SZ_EUlSY_E_NS1_11comp_targetILNS1_3genE10ELNS1_11target_archE1201ELNS1_3gpuE5ELNS1_3repE0EEENS1_30default_config_static_selectorELNS0_4arch9wavefront6targetE1EEEvT1_,"axG",@progbits,_ZN7rocprim17ROCPRIM_400000_NS6detail17trampoline_kernelINS0_14default_configENS1_29reduce_by_key_config_selectorIalN6thrust23THRUST_200600_302600_NS4plusIlEEEEZZNS1_33reduce_by_key_impl_wrapped_configILNS1_25lookback_scan_determinismE0ES3_S9_PaNS6_17constant_iteratorIiNS6_11use_defaultESE_EENS6_10device_ptrIaEENSG_IlEEPmS8_NS6_8equal_toIaEEEE10hipError_tPvRmT2_T3_mT4_T5_T6_T7_T8_P12ihipStream_tbENKUlT_T0_E_clISt17integral_constantIbLb1EES13_EEDaSY_SZ_EUlSY_E_NS1_11comp_targetILNS1_3genE10ELNS1_11target_archE1201ELNS1_3gpuE5ELNS1_3repE0EEENS1_30default_config_static_selectorELNS0_4arch9wavefront6targetE1EEEvT1_,comdat
.Lfunc_end686:
	.size	_ZN7rocprim17ROCPRIM_400000_NS6detail17trampoline_kernelINS0_14default_configENS1_29reduce_by_key_config_selectorIalN6thrust23THRUST_200600_302600_NS4plusIlEEEEZZNS1_33reduce_by_key_impl_wrapped_configILNS1_25lookback_scan_determinismE0ES3_S9_PaNS6_17constant_iteratorIiNS6_11use_defaultESE_EENS6_10device_ptrIaEENSG_IlEEPmS8_NS6_8equal_toIaEEEE10hipError_tPvRmT2_T3_mT4_T5_T6_T7_T8_P12ihipStream_tbENKUlT_T0_E_clISt17integral_constantIbLb1EES13_EEDaSY_SZ_EUlSY_E_NS1_11comp_targetILNS1_3genE10ELNS1_11target_archE1201ELNS1_3gpuE5ELNS1_3repE0EEENS1_30default_config_static_selectorELNS0_4arch9wavefront6targetE1EEEvT1_, .Lfunc_end686-_ZN7rocprim17ROCPRIM_400000_NS6detail17trampoline_kernelINS0_14default_configENS1_29reduce_by_key_config_selectorIalN6thrust23THRUST_200600_302600_NS4plusIlEEEEZZNS1_33reduce_by_key_impl_wrapped_configILNS1_25lookback_scan_determinismE0ES3_S9_PaNS6_17constant_iteratorIiNS6_11use_defaultESE_EENS6_10device_ptrIaEENSG_IlEEPmS8_NS6_8equal_toIaEEEE10hipError_tPvRmT2_T3_mT4_T5_T6_T7_T8_P12ihipStream_tbENKUlT_T0_E_clISt17integral_constantIbLb1EES13_EEDaSY_SZ_EUlSY_E_NS1_11comp_targetILNS1_3genE10ELNS1_11target_archE1201ELNS1_3gpuE5ELNS1_3repE0EEENS1_30default_config_static_selectorELNS0_4arch9wavefront6targetE1EEEvT1_
                                        ; -- End function
	.section	.AMDGPU.csdata,"",@progbits
; Kernel info:
; codeLenInByte = 0
; NumSgprs: 4
; NumVgprs: 0
; NumAgprs: 0
; TotalNumVgprs: 0
; ScratchSize: 0
; MemoryBound: 0
; FloatMode: 240
; IeeeMode: 1
; LDSByteSize: 0 bytes/workgroup (compile time only)
; SGPRBlocks: 0
; VGPRBlocks: 0
; NumSGPRsForWavesPerEU: 4
; NumVGPRsForWavesPerEU: 1
; AccumOffset: 4
; Occupancy: 8
; WaveLimiterHint : 0
; COMPUTE_PGM_RSRC2:SCRATCH_EN: 0
; COMPUTE_PGM_RSRC2:USER_SGPR: 6
; COMPUTE_PGM_RSRC2:TRAP_HANDLER: 0
; COMPUTE_PGM_RSRC2:TGID_X_EN: 1
; COMPUTE_PGM_RSRC2:TGID_Y_EN: 0
; COMPUTE_PGM_RSRC2:TGID_Z_EN: 0
; COMPUTE_PGM_RSRC2:TIDIG_COMP_CNT: 0
; COMPUTE_PGM_RSRC3_GFX90A:ACCUM_OFFSET: 0
; COMPUTE_PGM_RSRC3_GFX90A:TG_SPLIT: 0
	.section	.text._ZN7rocprim17ROCPRIM_400000_NS6detail17trampoline_kernelINS0_14default_configENS1_29reduce_by_key_config_selectorIalN6thrust23THRUST_200600_302600_NS4plusIlEEEEZZNS1_33reduce_by_key_impl_wrapped_configILNS1_25lookback_scan_determinismE0ES3_S9_PaNS6_17constant_iteratorIiNS6_11use_defaultESE_EENS6_10device_ptrIaEENSG_IlEEPmS8_NS6_8equal_toIaEEEE10hipError_tPvRmT2_T3_mT4_T5_T6_T7_T8_P12ihipStream_tbENKUlT_T0_E_clISt17integral_constantIbLb1EES13_EEDaSY_SZ_EUlSY_E_NS1_11comp_targetILNS1_3genE10ELNS1_11target_archE1200ELNS1_3gpuE4ELNS1_3repE0EEENS1_30default_config_static_selectorELNS0_4arch9wavefront6targetE1EEEvT1_,"axG",@progbits,_ZN7rocprim17ROCPRIM_400000_NS6detail17trampoline_kernelINS0_14default_configENS1_29reduce_by_key_config_selectorIalN6thrust23THRUST_200600_302600_NS4plusIlEEEEZZNS1_33reduce_by_key_impl_wrapped_configILNS1_25lookback_scan_determinismE0ES3_S9_PaNS6_17constant_iteratorIiNS6_11use_defaultESE_EENS6_10device_ptrIaEENSG_IlEEPmS8_NS6_8equal_toIaEEEE10hipError_tPvRmT2_T3_mT4_T5_T6_T7_T8_P12ihipStream_tbENKUlT_T0_E_clISt17integral_constantIbLb1EES13_EEDaSY_SZ_EUlSY_E_NS1_11comp_targetILNS1_3genE10ELNS1_11target_archE1200ELNS1_3gpuE4ELNS1_3repE0EEENS1_30default_config_static_selectorELNS0_4arch9wavefront6targetE1EEEvT1_,comdat
	.protected	_ZN7rocprim17ROCPRIM_400000_NS6detail17trampoline_kernelINS0_14default_configENS1_29reduce_by_key_config_selectorIalN6thrust23THRUST_200600_302600_NS4plusIlEEEEZZNS1_33reduce_by_key_impl_wrapped_configILNS1_25lookback_scan_determinismE0ES3_S9_PaNS6_17constant_iteratorIiNS6_11use_defaultESE_EENS6_10device_ptrIaEENSG_IlEEPmS8_NS6_8equal_toIaEEEE10hipError_tPvRmT2_T3_mT4_T5_T6_T7_T8_P12ihipStream_tbENKUlT_T0_E_clISt17integral_constantIbLb1EES13_EEDaSY_SZ_EUlSY_E_NS1_11comp_targetILNS1_3genE10ELNS1_11target_archE1200ELNS1_3gpuE4ELNS1_3repE0EEENS1_30default_config_static_selectorELNS0_4arch9wavefront6targetE1EEEvT1_ ; -- Begin function _ZN7rocprim17ROCPRIM_400000_NS6detail17trampoline_kernelINS0_14default_configENS1_29reduce_by_key_config_selectorIalN6thrust23THRUST_200600_302600_NS4plusIlEEEEZZNS1_33reduce_by_key_impl_wrapped_configILNS1_25lookback_scan_determinismE0ES3_S9_PaNS6_17constant_iteratorIiNS6_11use_defaultESE_EENS6_10device_ptrIaEENSG_IlEEPmS8_NS6_8equal_toIaEEEE10hipError_tPvRmT2_T3_mT4_T5_T6_T7_T8_P12ihipStream_tbENKUlT_T0_E_clISt17integral_constantIbLb1EES13_EEDaSY_SZ_EUlSY_E_NS1_11comp_targetILNS1_3genE10ELNS1_11target_archE1200ELNS1_3gpuE4ELNS1_3repE0EEENS1_30default_config_static_selectorELNS0_4arch9wavefront6targetE1EEEvT1_
	.globl	_ZN7rocprim17ROCPRIM_400000_NS6detail17trampoline_kernelINS0_14default_configENS1_29reduce_by_key_config_selectorIalN6thrust23THRUST_200600_302600_NS4plusIlEEEEZZNS1_33reduce_by_key_impl_wrapped_configILNS1_25lookback_scan_determinismE0ES3_S9_PaNS6_17constant_iteratorIiNS6_11use_defaultESE_EENS6_10device_ptrIaEENSG_IlEEPmS8_NS6_8equal_toIaEEEE10hipError_tPvRmT2_T3_mT4_T5_T6_T7_T8_P12ihipStream_tbENKUlT_T0_E_clISt17integral_constantIbLb1EES13_EEDaSY_SZ_EUlSY_E_NS1_11comp_targetILNS1_3genE10ELNS1_11target_archE1200ELNS1_3gpuE4ELNS1_3repE0EEENS1_30default_config_static_selectorELNS0_4arch9wavefront6targetE1EEEvT1_
	.p2align	8
	.type	_ZN7rocprim17ROCPRIM_400000_NS6detail17trampoline_kernelINS0_14default_configENS1_29reduce_by_key_config_selectorIalN6thrust23THRUST_200600_302600_NS4plusIlEEEEZZNS1_33reduce_by_key_impl_wrapped_configILNS1_25lookback_scan_determinismE0ES3_S9_PaNS6_17constant_iteratorIiNS6_11use_defaultESE_EENS6_10device_ptrIaEENSG_IlEEPmS8_NS6_8equal_toIaEEEE10hipError_tPvRmT2_T3_mT4_T5_T6_T7_T8_P12ihipStream_tbENKUlT_T0_E_clISt17integral_constantIbLb1EES13_EEDaSY_SZ_EUlSY_E_NS1_11comp_targetILNS1_3genE10ELNS1_11target_archE1200ELNS1_3gpuE4ELNS1_3repE0EEENS1_30default_config_static_selectorELNS0_4arch9wavefront6targetE1EEEvT1_,@function
_ZN7rocprim17ROCPRIM_400000_NS6detail17trampoline_kernelINS0_14default_configENS1_29reduce_by_key_config_selectorIalN6thrust23THRUST_200600_302600_NS4plusIlEEEEZZNS1_33reduce_by_key_impl_wrapped_configILNS1_25lookback_scan_determinismE0ES3_S9_PaNS6_17constant_iteratorIiNS6_11use_defaultESE_EENS6_10device_ptrIaEENSG_IlEEPmS8_NS6_8equal_toIaEEEE10hipError_tPvRmT2_T3_mT4_T5_T6_T7_T8_P12ihipStream_tbENKUlT_T0_E_clISt17integral_constantIbLb1EES13_EEDaSY_SZ_EUlSY_E_NS1_11comp_targetILNS1_3genE10ELNS1_11target_archE1200ELNS1_3gpuE4ELNS1_3repE0EEENS1_30default_config_static_selectorELNS0_4arch9wavefront6targetE1EEEvT1_: ; @_ZN7rocprim17ROCPRIM_400000_NS6detail17trampoline_kernelINS0_14default_configENS1_29reduce_by_key_config_selectorIalN6thrust23THRUST_200600_302600_NS4plusIlEEEEZZNS1_33reduce_by_key_impl_wrapped_configILNS1_25lookback_scan_determinismE0ES3_S9_PaNS6_17constant_iteratorIiNS6_11use_defaultESE_EENS6_10device_ptrIaEENSG_IlEEPmS8_NS6_8equal_toIaEEEE10hipError_tPvRmT2_T3_mT4_T5_T6_T7_T8_P12ihipStream_tbENKUlT_T0_E_clISt17integral_constantIbLb1EES13_EEDaSY_SZ_EUlSY_E_NS1_11comp_targetILNS1_3genE10ELNS1_11target_archE1200ELNS1_3gpuE4ELNS1_3repE0EEENS1_30default_config_static_selectorELNS0_4arch9wavefront6targetE1EEEvT1_
; %bb.0:
	.section	.rodata,"a",@progbits
	.p2align	6, 0x0
	.amdhsa_kernel _ZN7rocprim17ROCPRIM_400000_NS6detail17trampoline_kernelINS0_14default_configENS1_29reduce_by_key_config_selectorIalN6thrust23THRUST_200600_302600_NS4plusIlEEEEZZNS1_33reduce_by_key_impl_wrapped_configILNS1_25lookback_scan_determinismE0ES3_S9_PaNS6_17constant_iteratorIiNS6_11use_defaultESE_EENS6_10device_ptrIaEENSG_IlEEPmS8_NS6_8equal_toIaEEEE10hipError_tPvRmT2_T3_mT4_T5_T6_T7_T8_P12ihipStream_tbENKUlT_T0_E_clISt17integral_constantIbLb1EES13_EEDaSY_SZ_EUlSY_E_NS1_11comp_targetILNS1_3genE10ELNS1_11target_archE1200ELNS1_3gpuE4ELNS1_3repE0EEENS1_30default_config_static_selectorELNS0_4arch9wavefront6targetE1EEEvT1_
		.amdhsa_group_segment_fixed_size 0
		.amdhsa_private_segment_fixed_size 0
		.amdhsa_kernarg_size 144
		.amdhsa_user_sgpr_count 6
		.amdhsa_user_sgpr_private_segment_buffer 1
		.amdhsa_user_sgpr_dispatch_ptr 0
		.amdhsa_user_sgpr_queue_ptr 0
		.amdhsa_user_sgpr_kernarg_segment_ptr 1
		.amdhsa_user_sgpr_dispatch_id 0
		.amdhsa_user_sgpr_flat_scratch_init 0
		.amdhsa_user_sgpr_kernarg_preload_length 0
		.amdhsa_user_sgpr_kernarg_preload_offset 0
		.amdhsa_user_sgpr_private_segment_size 0
		.amdhsa_uses_dynamic_stack 0
		.amdhsa_system_sgpr_private_segment_wavefront_offset 0
		.amdhsa_system_sgpr_workgroup_id_x 1
		.amdhsa_system_sgpr_workgroup_id_y 0
		.amdhsa_system_sgpr_workgroup_id_z 0
		.amdhsa_system_sgpr_workgroup_info 0
		.amdhsa_system_vgpr_workitem_id 0
		.amdhsa_next_free_vgpr 1
		.amdhsa_next_free_sgpr 0
		.amdhsa_accum_offset 4
		.amdhsa_reserve_vcc 0
		.amdhsa_reserve_flat_scratch 0
		.amdhsa_float_round_mode_32 0
		.amdhsa_float_round_mode_16_64 0
		.amdhsa_float_denorm_mode_32 3
		.amdhsa_float_denorm_mode_16_64 3
		.amdhsa_dx10_clamp 1
		.amdhsa_ieee_mode 1
		.amdhsa_fp16_overflow 0
		.amdhsa_tg_split 0
		.amdhsa_exception_fp_ieee_invalid_op 0
		.amdhsa_exception_fp_denorm_src 0
		.amdhsa_exception_fp_ieee_div_zero 0
		.amdhsa_exception_fp_ieee_overflow 0
		.amdhsa_exception_fp_ieee_underflow 0
		.amdhsa_exception_fp_ieee_inexact 0
		.amdhsa_exception_int_div_zero 0
	.end_amdhsa_kernel
	.section	.text._ZN7rocprim17ROCPRIM_400000_NS6detail17trampoline_kernelINS0_14default_configENS1_29reduce_by_key_config_selectorIalN6thrust23THRUST_200600_302600_NS4plusIlEEEEZZNS1_33reduce_by_key_impl_wrapped_configILNS1_25lookback_scan_determinismE0ES3_S9_PaNS6_17constant_iteratorIiNS6_11use_defaultESE_EENS6_10device_ptrIaEENSG_IlEEPmS8_NS6_8equal_toIaEEEE10hipError_tPvRmT2_T3_mT4_T5_T6_T7_T8_P12ihipStream_tbENKUlT_T0_E_clISt17integral_constantIbLb1EES13_EEDaSY_SZ_EUlSY_E_NS1_11comp_targetILNS1_3genE10ELNS1_11target_archE1200ELNS1_3gpuE4ELNS1_3repE0EEENS1_30default_config_static_selectorELNS0_4arch9wavefront6targetE1EEEvT1_,"axG",@progbits,_ZN7rocprim17ROCPRIM_400000_NS6detail17trampoline_kernelINS0_14default_configENS1_29reduce_by_key_config_selectorIalN6thrust23THRUST_200600_302600_NS4plusIlEEEEZZNS1_33reduce_by_key_impl_wrapped_configILNS1_25lookback_scan_determinismE0ES3_S9_PaNS6_17constant_iteratorIiNS6_11use_defaultESE_EENS6_10device_ptrIaEENSG_IlEEPmS8_NS6_8equal_toIaEEEE10hipError_tPvRmT2_T3_mT4_T5_T6_T7_T8_P12ihipStream_tbENKUlT_T0_E_clISt17integral_constantIbLb1EES13_EEDaSY_SZ_EUlSY_E_NS1_11comp_targetILNS1_3genE10ELNS1_11target_archE1200ELNS1_3gpuE4ELNS1_3repE0EEENS1_30default_config_static_selectorELNS0_4arch9wavefront6targetE1EEEvT1_,comdat
.Lfunc_end687:
	.size	_ZN7rocprim17ROCPRIM_400000_NS6detail17trampoline_kernelINS0_14default_configENS1_29reduce_by_key_config_selectorIalN6thrust23THRUST_200600_302600_NS4plusIlEEEEZZNS1_33reduce_by_key_impl_wrapped_configILNS1_25lookback_scan_determinismE0ES3_S9_PaNS6_17constant_iteratorIiNS6_11use_defaultESE_EENS6_10device_ptrIaEENSG_IlEEPmS8_NS6_8equal_toIaEEEE10hipError_tPvRmT2_T3_mT4_T5_T6_T7_T8_P12ihipStream_tbENKUlT_T0_E_clISt17integral_constantIbLb1EES13_EEDaSY_SZ_EUlSY_E_NS1_11comp_targetILNS1_3genE10ELNS1_11target_archE1200ELNS1_3gpuE4ELNS1_3repE0EEENS1_30default_config_static_selectorELNS0_4arch9wavefront6targetE1EEEvT1_, .Lfunc_end687-_ZN7rocprim17ROCPRIM_400000_NS6detail17trampoline_kernelINS0_14default_configENS1_29reduce_by_key_config_selectorIalN6thrust23THRUST_200600_302600_NS4plusIlEEEEZZNS1_33reduce_by_key_impl_wrapped_configILNS1_25lookback_scan_determinismE0ES3_S9_PaNS6_17constant_iteratorIiNS6_11use_defaultESE_EENS6_10device_ptrIaEENSG_IlEEPmS8_NS6_8equal_toIaEEEE10hipError_tPvRmT2_T3_mT4_T5_T6_T7_T8_P12ihipStream_tbENKUlT_T0_E_clISt17integral_constantIbLb1EES13_EEDaSY_SZ_EUlSY_E_NS1_11comp_targetILNS1_3genE10ELNS1_11target_archE1200ELNS1_3gpuE4ELNS1_3repE0EEENS1_30default_config_static_selectorELNS0_4arch9wavefront6targetE1EEEvT1_
                                        ; -- End function
	.section	.AMDGPU.csdata,"",@progbits
; Kernel info:
; codeLenInByte = 0
; NumSgprs: 4
; NumVgprs: 0
; NumAgprs: 0
; TotalNumVgprs: 0
; ScratchSize: 0
; MemoryBound: 0
; FloatMode: 240
; IeeeMode: 1
; LDSByteSize: 0 bytes/workgroup (compile time only)
; SGPRBlocks: 0
; VGPRBlocks: 0
; NumSGPRsForWavesPerEU: 4
; NumVGPRsForWavesPerEU: 1
; AccumOffset: 4
; Occupancy: 8
; WaveLimiterHint : 0
; COMPUTE_PGM_RSRC2:SCRATCH_EN: 0
; COMPUTE_PGM_RSRC2:USER_SGPR: 6
; COMPUTE_PGM_RSRC2:TRAP_HANDLER: 0
; COMPUTE_PGM_RSRC2:TGID_X_EN: 1
; COMPUTE_PGM_RSRC2:TGID_Y_EN: 0
; COMPUTE_PGM_RSRC2:TGID_Z_EN: 0
; COMPUTE_PGM_RSRC2:TIDIG_COMP_CNT: 0
; COMPUTE_PGM_RSRC3_GFX90A:ACCUM_OFFSET: 0
; COMPUTE_PGM_RSRC3_GFX90A:TG_SPLIT: 0
	.section	.text._ZN7rocprim17ROCPRIM_400000_NS6detail17trampoline_kernelINS0_14default_configENS1_29reduce_by_key_config_selectorIalN6thrust23THRUST_200600_302600_NS4plusIlEEEEZZNS1_33reduce_by_key_impl_wrapped_configILNS1_25lookback_scan_determinismE0ES3_S9_PaNS6_17constant_iteratorIiNS6_11use_defaultESE_EENS6_10device_ptrIaEENSG_IlEEPmS8_NS6_8equal_toIaEEEE10hipError_tPvRmT2_T3_mT4_T5_T6_T7_T8_P12ihipStream_tbENKUlT_T0_E_clISt17integral_constantIbLb1EES13_EEDaSY_SZ_EUlSY_E_NS1_11comp_targetILNS1_3genE9ELNS1_11target_archE1100ELNS1_3gpuE3ELNS1_3repE0EEENS1_30default_config_static_selectorELNS0_4arch9wavefront6targetE1EEEvT1_,"axG",@progbits,_ZN7rocprim17ROCPRIM_400000_NS6detail17trampoline_kernelINS0_14default_configENS1_29reduce_by_key_config_selectorIalN6thrust23THRUST_200600_302600_NS4plusIlEEEEZZNS1_33reduce_by_key_impl_wrapped_configILNS1_25lookback_scan_determinismE0ES3_S9_PaNS6_17constant_iteratorIiNS6_11use_defaultESE_EENS6_10device_ptrIaEENSG_IlEEPmS8_NS6_8equal_toIaEEEE10hipError_tPvRmT2_T3_mT4_T5_T6_T7_T8_P12ihipStream_tbENKUlT_T0_E_clISt17integral_constantIbLb1EES13_EEDaSY_SZ_EUlSY_E_NS1_11comp_targetILNS1_3genE9ELNS1_11target_archE1100ELNS1_3gpuE3ELNS1_3repE0EEENS1_30default_config_static_selectorELNS0_4arch9wavefront6targetE1EEEvT1_,comdat
	.protected	_ZN7rocprim17ROCPRIM_400000_NS6detail17trampoline_kernelINS0_14default_configENS1_29reduce_by_key_config_selectorIalN6thrust23THRUST_200600_302600_NS4plusIlEEEEZZNS1_33reduce_by_key_impl_wrapped_configILNS1_25lookback_scan_determinismE0ES3_S9_PaNS6_17constant_iteratorIiNS6_11use_defaultESE_EENS6_10device_ptrIaEENSG_IlEEPmS8_NS6_8equal_toIaEEEE10hipError_tPvRmT2_T3_mT4_T5_T6_T7_T8_P12ihipStream_tbENKUlT_T0_E_clISt17integral_constantIbLb1EES13_EEDaSY_SZ_EUlSY_E_NS1_11comp_targetILNS1_3genE9ELNS1_11target_archE1100ELNS1_3gpuE3ELNS1_3repE0EEENS1_30default_config_static_selectorELNS0_4arch9wavefront6targetE1EEEvT1_ ; -- Begin function _ZN7rocprim17ROCPRIM_400000_NS6detail17trampoline_kernelINS0_14default_configENS1_29reduce_by_key_config_selectorIalN6thrust23THRUST_200600_302600_NS4plusIlEEEEZZNS1_33reduce_by_key_impl_wrapped_configILNS1_25lookback_scan_determinismE0ES3_S9_PaNS6_17constant_iteratorIiNS6_11use_defaultESE_EENS6_10device_ptrIaEENSG_IlEEPmS8_NS6_8equal_toIaEEEE10hipError_tPvRmT2_T3_mT4_T5_T6_T7_T8_P12ihipStream_tbENKUlT_T0_E_clISt17integral_constantIbLb1EES13_EEDaSY_SZ_EUlSY_E_NS1_11comp_targetILNS1_3genE9ELNS1_11target_archE1100ELNS1_3gpuE3ELNS1_3repE0EEENS1_30default_config_static_selectorELNS0_4arch9wavefront6targetE1EEEvT1_
	.globl	_ZN7rocprim17ROCPRIM_400000_NS6detail17trampoline_kernelINS0_14default_configENS1_29reduce_by_key_config_selectorIalN6thrust23THRUST_200600_302600_NS4plusIlEEEEZZNS1_33reduce_by_key_impl_wrapped_configILNS1_25lookback_scan_determinismE0ES3_S9_PaNS6_17constant_iteratorIiNS6_11use_defaultESE_EENS6_10device_ptrIaEENSG_IlEEPmS8_NS6_8equal_toIaEEEE10hipError_tPvRmT2_T3_mT4_T5_T6_T7_T8_P12ihipStream_tbENKUlT_T0_E_clISt17integral_constantIbLb1EES13_EEDaSY_SZ_EUlSY_E_NS1_11comp_targetILNS1_3genE9ELNS1_11target_archE1100ELNS1_3gpuE3ELNS1_3repE0EEENS1_30default_config_static_selectorELNS0_4arch9wavefront6targetE1EEEvT1_
	.p2align	8
	.type	_ZN7rocprim17ROCPRIM_400000_NS6detail17trampoline_kernelINS0_14default_configENS1_29reduce_by_key_config_selectorIalN6thrust23THRUST_200600_302600_NS4plusIlEEEEZZNS1_33reduce_by_key_impl_wrapped_configILNS1_25lookback_scan_determinismE0ES3_S9_PaNS6_17constant_iteratorIiNS6_11use_defaultESE_EENS6_10device_ptrIaEENSG_IlEEPmS8_NS6_8equal_toIaEEEE10hipError_tPvRmT2_T3_mT4_T5_T6_T7_T8_P12ihipStream_tbENKUlT_T0_E_clISt17integral_constantIbLb1EES13_EEDaSY_SZ_EUlSY_E_NS1_11comp_targetILNS1_3genE9ELNS1_11target_archE1100ELNS1_3gpuE3ELNS1_3repE0EEENS1_30default_config_static_selectorELNS0_4arch9wavefront6targetE1EEEvT1_,@function
_ZN7rocprim17ROCPRIM_400000_NS6detail17trampoline_kernelINS0_14default_configENS1_29reduce_by_key_config_selectorIalN6thrust23THRUST_200600_302600_NS4plusIlEEEEZZNS1_33reduce_by_key_impl_wrapped_configILNS1_25lookback_scan_determinismE0ES3_S9_PaNS6_17constant_iteratorIiNS6_11use_defaultESE_EENS6_10device_ptrIaEENSG_IlEEPmS8_NS6_8equal_toIaEEEE10hipError_tPvRmT2_T3_mT4_T5_T6_T7_T8_P12ihipStream_tbENKUlT_T0_E_clISt17integral_constantIbLb1EES13_EEDaSY_SZ_EUlSY_E_NS1_11comp_targetILNS1_3genE9ELNS1_11target_archE1100ELNS1_3gpuE3ELNS1_3repE0EEENS1_30default_config_static_selectorELNS0_4arch9wavefront6targetE1EEEvT1_: ; @_ZN7rocprim17ROCPRIM_400000_NS6detail17trampoline_kernelINS0_14default_configENS1_29reduce_by_key_config_selectorIalN6thrust23THRUST_200600_302600_NS4plusIlEEEEZZNS1_33reduce_by_key_impl_wrapped_configILNS1_25lookback_scan_determinismE0ES3_S9_PaNS6_17constant_iteratorIiNS6_11use_defaultESE_EENS6_10device_ptrIaEENSG_IlEEPmS8_NS6_8equal_toIaEEEE10hipError_tPvRmT2_T3_mT4_T5_T6_T7_T8_P12ihipStream_tbENKUlT_T0_E_clISt17integral_constantIbLb1EES13_EEDaSY_SZ_EUlSY_E_NS1_11comp_targetILNS1_3genE9ELNS1_11target_archE1100ELNS1_3gpuE3ELNS1_3repE0EEENS1_30default_config_static_selectorELNS0_4arch9wavefront6targetE1EEEvT1_
; %bb.0:
	.section	.rodata,"a",@progbits
	.p2align	6, 0x0
	.amdhsa_kernel _ZN7rocprim17ROCPRIM_400000_NS6detail17trampoline_kernelINS0_14default_configENS1_29reduce_by_key_config_selectorIalN6thrust23THRUST_200600_302600_NS4plusIlEEEEZZNS1_33reduce_by_key_impl_wrapped_configILNS1_25lookback_scan_determinismE0ES3_S9_PaNS6_17constant_iteratorIiNS6_11use_defaultESE_EENS6_10device_ptrIaEENSG_IlEEPmS8_NS6_8equal_toIaEEEE10hipError_tPvRmT2_T3_mT4_T5_T6_T7_T8_P12ihipStream_tbENKUlT_T0_E_clISt17integral_constantIbLb1EES13_EEDaSY_SZ_EUlSY_E_NS1_11comp_targetILNS1_3genE9ELNS1_11target_archE1100ELNS1_3gpuE3ELNS1_3repE0EEENS1_30default_config_static_selectorELNS0_4arch9wavefront6targetE1EEEvT1_
		.amdhsa_group_segment_fixed_size 0
		.amdhsa_private_segment_fixed_size 0
		.amdhsa_kernarg_size 144
		.amdhsa_user_sgpr_count 6
		.amdhsa_user_sgpr_private_segment_buffer 1
		.amdhsa_user_sgpr_dispatch_ptr 0
		.amdhsa_user_sgpr_queue_ptr 0
		.amdhsa_user_sgpr_kernarg_segment_ptr 1
		.amdhsa_user_sgpr_dispatch_id 0
		.amdhsa_user_sgpr_flat_scratch_init 0
		.amdhsa_user_sgpr_kernarg_preload_length 0
		.amdhsa_user_sgpr_kernarg_preload_offset 0
		.amdhsa_user_sgpr_private_segment_size 0
		.amdhsa_uses_dynamic_stack 0
		.amdhsa_system_sgpr_private_segment_wavefront_offset 0
		.amdhsa_system_sgpr_workgroup_id_x 1
		.amdhsa_system_sgpr_workgroup_id_y 0
		.amdhsa_system_sgpr_workgroup_id_z 0
		.amdhsa_system_sgpr_workgroup_info 0
		.amdhsa_system_vgpr_workitem_id 0
		.amdhsa_next_free_vgpr 1
		.amdhsa_next_free_sgpr 0
		.amdhsa_accum_offset 4
		.amdhsa_reserve_vcc 0
		.amdhsa_reserve_flat_scratch 0
		.amdhsa_float_round_mode_32 0
		.amdhsa_float_round_mode_16_64 0
		.amdhsa_float_denorm_mode_32 3
		.amdhsa_float_denorm_mode_16_64 3
		.amdhsa_dx10_clamp 1
		.amdhsa_ieee_mode 1
		.amdhsa_fp16_overflow 0
		.amdhsa_tg_split 0
		.amdhsa_exception_fp_ieee_invalid_op 0
		.amdhsa_exception_fp_denorm_src 0
		.amdhsa_exception_fp_ieee_div_zero 0
		.amdhsa_exception_fp_ieee_overflow 0
		.amdhsa_exception_fp_ieee_underflow 0
		.amdhsa_exception_fp_ieee_inexact 0
		.amdhsa_exception_int_div_zero 0
	.end_amdhsa_kernel
	.section	.text._ZN7rocprim17ROCPRIM_400000_NS6detail17trampoline_kernelINS0_14default_configENS1_29reduce_by_key_config_selectorIalN6thrust23THRUST_200600_302600_NS4plusIlEEEEZZNS1_33reduce_by_key_impl_wrapped_configILNS1_25lookback_scan_determinismE0ES3_S9_PaNS6_17constant_iteratorIiNS6_11use_defaultESE_EENS6_10device_ptrIaEENSG_IlEEPmS8_NS6_8equal_toIaEEEE10hipError_tPvRmT2_T3_mT4_T5_T6_T7_T8_P12ihipStream_tbENKUlT_T0_E_clISt17integral_constantIbLb1EES13_EEDaSY_SZ_EUlSY_E_NS1_11comp_targetILNS1_3genE9ELNS1_11target_archE1100ELNS1_3gpuE3ELNS1_3repE0EEENS1_30default_config_static_selectorELNS0_4arch9wavefront6targetE1EEEvT1_,"axG",@progbits,_ZN7rocprim17ROCPRIM_400000_NS6detail17trampoline_kernelINS0_14default_configENS1_29reduce_by_key_config_selectorIalN6thrust23THRUST_200600_302600_NS4plusIlEEEEZZNS1_33reduce_by_key_impl_wrapped_configILNS1_25lookback_scan_determinismE0ES3_S9_PaNS6_17constant_iteratorIiNS6_11use_defaultESE_EENS6_10device_ptrIaEENSG_IlEEPmS8_NS6_8equal_toIaEEEE10hipError_tPvRmT2_T3_mT4_T5_T6_T7_T8_P12ihipStream_tbENKUlT_T0_E_clISt17integral_constantIbLb1EES13_EEDaSY_SZ_EUlSY_E_NS1_11comp_targetILNS1_3genE9ELNS1_11target_archE1100ELNS1_3gpuE3ELNS1_3repE0EEENS1_30default_config_static_selectorELNS0_4arch9wavefront6targetE1EEEvT1_,comdat
.Lfunc_end688:
	.size	_ZN7rocprim17ROCPRIM_400000_NS6detail17trampoline_kernelINS0_14default_configENS1_29reduce_by_key_config_selectorIalN6thrust23THRUST_200600_302600_NS4plusIlEEEEZZNS1_33reduce_by_key_impl_wrapped_configILNS1_25lookback_scan_determinismE0ES3_S9_PaNS6_17constant_iteratorIiNS6_11use_defaultESE_EENS6_10device_ptrIaEENSG_IlEEPmS8_NS6_8equal_toIaEEEE10hipError_tPvRmT2_T3_mT4_T5_T6_T7_T8_P12ihipStream_tbENKUlT_T0_E_clISt17integral_constantIbLb1EES13_EEDaSY_SZ_EUlSY_E_NS1_11comp_targetILNS1_3genE9ELNS1_11target_archE1100ELNS1_3gpuE3ELNS1_3repE0EEENS1_30default_config_static_selectorELNS0_4arch9wavefront6targetE1EEEvT1_, .Lfunc_end688-_ZN7rocprim17ROCPRIM_400000_NS6detail17trampoline_kernelINS0_14default_configENS1_29reduce_by_key_config_selectorIalN6thrust23THRUST_200600_302600_NS4plusIlEEEEZZNS1_33reduce_by_key_impl_wrapped_configILNS1_25lookback_scan_determinismE0ES3_S9_PaNS6_17constant_iteratorIiNS6_11use_defaultESE_EENS6_10device_ptrIaEENSG_IlEEPmS8_NS6_8equal_toIaEEEE10hipError_tPvRmT2_T3_mT4_T5_T6_T7_T8_P12ihipStream_tbENKUlT_T0_E_clISt17integral_constantIbLb1EES13_EEDaSY_SZ_EUlSY_E_NS1_11comp_targetILNS1_3genE9ELNS1_11target_archE1100ELNS1_3gpuE3ELNS1_3repE0EEENS1_30default_config_static_selectorELNS0_4arch9wavefront6targetE1EEEvT1_
                                        ; -- End function
	.section	.AMDGPU.csdata,"",@progbits
; Kernel info:
; codeLenInByte = 0
; NumSgprs: 4
; NumVgprs: 0
; NumAgprs: 0
; TotalNumVgprs: 0
; ScratchSize: 0
; MemoryBound: 0
; FloatMode: 240
; IeeeMode: 1
; LDSByteSize: 0 bytes/workgroup (compile time only)
; SGPRBlocks: 0
; VGPRBlocks: 0
; NumSGPRsForWavesPerEU: 4
; NumVGPRsForWavesPerEU: 1
; AccumOffset: 4
; Occupancy: 8
; WaveLimiterHint : 0
; COMPUTE_PGM_RSRC2:SCRATCH_EN: 0
; COMPUTE_PGM_RSRC2:USER_SGPR: 6
; COMPUTE_PGM_RSRC2:TRAP_HANDLER: 0
; COMPUTE_PGM_RSRC2:TGID_X_EN: 1
; COMPUTE_PGM_RSRC2:TGID_Y_EN: 0
; COMPUTE_PGM_RSRC2:TGID_Z_EN: 0
; COMPUTE_PGM_RSRC2:TIDIG_COMP_CNT: 0
; COMPUTE_PGM_RSRC3_GFX90A:ACCUM_OFFSET: 0
; COMPUTE_PGM_RSRC3_GFX90A:TG_SPLIT: 0
	.section	.text._ZN7rocprim17ROCPRIM_400000_NS6detail17trampoline_kernelINS0_14default_configENS1_29reduce_by_key_config_selectorIalN6thrust23THRUST_200600_302600_NS4plusIlEEEEZZNS1_33reduce_by_key_impl_wrapped_configILNS1_25lookback_scan_determinismE0ES3_S9_PaNS6_17constant_iteratorIiNS6_11use_defaultESE_EENS6_10device_ptrIaEENSG_IlEEPmS8_NS6_8equal_toIaEEEE10hipError_tPvRmT2_T3_mT4_T5_T6_T7_T8_P12ihipStream_tbENKUlT_T0_E_clISt17integral_constantIbLb1EES13_EEDaSY_SZ_EUlSY_E_NS1_11comp_targetILNS1_3genE8ELNS1_11target_archE1030ELNS1_3gpuE2ELNS1_3repE0EEENS1_30default_config_static_selectorELNS0_4arch9wavefront6targetE1EEEvT1_,"axG",@progbits,_ZN7rocprim17ROCPRIM_400000_NS6detail17trampoline_kernelINS0_14default_configENS1_29reduce_by_key_config_selectorIalN6thrust23THRUST_200600_302600_NS4plusIlEEEEZZNS1_33reduce_by_key_impl_wrapped_configILNS1_25lookback_scan_determinismE0ES3_S9_PaNS6_17constant_iteratorIiNS6_11use_defaultESE_EENS6_10device_ptrIaEENSG_IlEEPmS8_NS6_8equal_toIaEEEE10hipError_tPvRmT2_T3_mT4_T5_T6_T7_T8_P12ihipStream_tbENKUlT_T0_E_clISt17integral_constantIbLb1EES13_EEDaSY_SZ_EUlSY_E_NS1_11comp_targetILNS1_3genE8ELNS1_11target_archE1030ELNS1_3gpuE2ELNS1_3repE0EEENS1_30default_config_static_selectorELNS0_4arch9wavefront6targetE1EEEvT1_,comdat
	.protected	_ZN7rocprim17ROCPRIM_400000_NS6detail17trampoline_kernelINS0_14default_configENS1_29reduce_by_key_config_selectorIalN6thrust23THRUST_200600_302600_NS4plusIlEEEEZZNS1_33reduce_by_key_impl_wrapped_configILNS1_25lookback_scan_determinismE0ES3_S9_PaNS6_17constant_iteratorIiNS6_11use_defaultESE_EENS6_10device_ptrIaEENSG_IlEEPmS8_NS6_8equal_toIaEEEE10hipError_tPvRmT2_T3_mT4_T5_T6_T7_T8_P12ihipStream_tbENKUlT_T0_E_clISt17integral_constantIbLb1EES13_EEDaSY_SZ_EUlSY_E_NS1_11comp_targetILNS1_3genE8ELNS1_11target_archE1030ELNS1_3gpuE2ELNS1_3repE0EEENS1_30default_config_static_selectorELNS0_4arch9wavefront6targetE1EEEvT1_ ; -- Begin function _ZN7rocprim17ROCPRIM_400000_NS6detail17trampoline_kernelINS0_14default_configENS1_29reduce_by_key_config_selectorIalN6thrust23THRUST_200600_302600_NS4plusIlEEEEZZNS1_33reduce_by_key_impl_wrapped_configILNS1_25lookback_scan_determinismE0ES3_S9_PaNS6_17constant_iteratorIiNS6_11use_defaultESE_EENS6_10device_ptrIaEENSG_IlEEPmS8_NS6_8equal_toIaEEEE10hipError_tPvRmT2_T3_mT4_T5_T6_T7_T8_P12ihipStream_tbENKUlT_T0_E_clISt17integral_constantIbLb1EES13_EEDaSY_SZ_EUlSY_E_NS1_11comp_targetILNS1_3genE8ELNS1_11target_archE1030ELNS1_3gpuE2ELNS1_3repE0EEENS1_30default_config_static_selectorELNS0_4arch9wavefront6targetE1EEEvT1_
	.globl	_ZN7rocprim17ROCPRIM_400000_NS6detail17trampoline_kernelINS0_14default_configENS1_29reduce_by_key_config_selectorIalN6thrust23THRUST_200600_302600_NS4plusIlEEEEZZNS1_33reduce_by_key_impl_wrapped_configILNS1_25lookback_scan_determinismE0ES3_S9_PaNS6_17constant_iteratorIiNS6_11use_defaultESE_EENS6_10device_ptrIaEENSG_IlEEPmS8_NS6_8equal_toIaEEEE10hipError_tPvRmT2_T3_mT4_T5_T6_T7_T8_P12ihipStream_tbENKUlT_T0_E_clISt17integral_constantIbLb1EES13_EEDaSY_SZ_EUlSY_E_NS1_11comp_targetILNS1_3genE8ELNS1_11target_archE1030ELNS1_3gpuE2ELNS1_3repE0EEENS1_30default_config_static_selectorELNS0_4arch9wavefront6targetE1EEEvT1_
	.p2align	8
	.type	_ZN7rocprim17ROCPRIM_400000_NS6detail17trampoline_kernelINS0_14default_configENS1_29reduce_by_key_config_selectorIalN6thrust23THRUST_200600_302600_NS4plusIlEEEEZZNS1_33reduce_by_key_impl_wrapped_configILNS1_25lookback_scan_determinismE0ES3_S9_PaNS6_17constant_iteratorIiNS6_11use_defaultESE_EENS6_10device_ptrIaEENSG_IlEEPmS8_NS6_8equal_toIaEEEE10hipError_tPvRmT2_T3_mT4_T5_T6_T7_T8_P12ihipStream_tbENKUlT_T0_E_clISt17integral_constantIbLb1EES13_EEDaSY_SZ_EUlSY_E_NS1_11comp_targetILNS1_3genE8ELNS1_11target_archE1030ELNS1_3gpuE2ELNS1_3repE0EEENS1_30default_config_static_selectorELNS0_4arch9wavefront6targetE1EEEvT1_,@function
_ZN7rocprim17ROCPRIM_400000_NS6detail17trampoline_kernelINS0_14default_configENS1_29reduce_by_key_config_selectorIalN6thrust23THRUST_200600_302600_NS4plusIlEEEEZZNS1_33reduce_by_key_impl_wrapped_configILNS1_25lookback_scan_determinismE0ES3_S9_PaNS6_17constant_iteratorIiNS6_11use_defaultESE_EENS6_10device_ptrIaEENSG_IlEEPmS8_NS6_8equal_toIaEEEE10hipError_tPvRmT2_T3_mT4_T5_T6_T7_T8_P12ihipStream_tbENKUlT_T0_E_clISt17integral_constantIbLb1EES13_EEDaSY_SZ_EUlSY_E_NS1_11comp_targetILNS1_3genE8ELNS1_11target_archE1030ELNS1_3gpuE2ELNS1_3repE0EEENS1_30default_config_static_selectorELNS0_4arch9wavefront6targetE1EEEvT1_: ; @_ZN7rocprim17ROCPRIM_400000_NS6detail17trampoline_kernelINS0_14default_configENS1_29reduce_by_key_config_selectorIalN6thrust23THRUST_200600_302600_NS4plusIlEEEEZZNS1_33reduce_by_key_impl_wrapped_configILNS1_25lookback_scan_determinismE0ES3_S9_PaNS6_17constant_iteratorIiNS6_11use_defaultESE_EENS6_10device_ptrIaEENSG_IlEEPmS8_NS6_8equal_toIaEEEE10hipError_tPvRmT2_T3_mT4_T5_T6_T7_T8_P12ihipStream_tbENKUlT_T0_E_clISt17integral_constantIbLb1EES13_EEDaSY_SZ_EUlSY_E_NS1_11comp_targetILNS1_3genE8ELNS1_11target_archE1030ELNS1_3gpuE2ELNS1_3repE0EEENS1_30default_config_static_selectorELNS0_4arch9wavefront6targetE1EEEvT1_
; %bb.0:
	.section	.rodata,"a",@progbits
	.p2align	6, 0x0
	.amdhsa_kernel _ZN7rocprim17ROCPRIM_400000_NS6detail17trampoline_kernelINS0_14default_configENS1_29reduce_by_key_config_selectorIalN6thrust23THRUST_200600_302600_NS4plusIlEEEEZZNS1_33reduce_by_key_impl_wrapped_configILNS1_25lookback_scan_determinismE0ES3_S9_PaNS6_17constant_iteratorIiNS6_11use_defaultESE_EENS6_10device_ptrIaEENSG_IlEEPmS8_NS6_8equal_toIaEEEE10hipError_tPvRmT2_T3_mT4_T5_T6_T7_T8_P12ihipStream_tbENKUlT_T0_E_clISt17integral_constantIbLb1EES13_EEDaSY_SZ_EUlSY_E_NS1_11comp_targetILNS1_3genE8ELNS1_11target_archE1030ELNS1_3gpuE2ELNS1_3repE0EEENS1_30default_config_static_selectorELNS0_4arch9wavefront6targetE1EEEvT1_
		.amdhsa_group_segment_fixed_size 0
		.amdhsa_private_segment_fixed_size 0
		.amdhsa_kernarg_size 144
		.amdhsa_user_sgpr_count 6
		.amdhsa_user_sgpr_private_segment_buffer 1
		.amdhsa_user_sgpr_dispatch_ptr 0
		.amdhsa_user_sgpr_queue_ptr 0
		.amdhsa_user_sgpr_kernarg_segment_ptr 1
		.amdhsa_user_sgpr_dispatch_id 0
		.amdhsa_user_sgpr_flat_scratch_init 0
		.amdhsa_user_sgpr_kernarg_preload_length 0
		.amdhsa_user_sgpr_kernarg_preload_offset 0
		.amdhsa_user_sgpr_private_segment_size 0
		.amdhsa_uses_dynamic_stack 0
		.amdhsa_system_sgpr_private_segment_wavefront_offset 0
		.amdhsa_system_sgpr_workgroup_id_x 1
		.amdhsa_system_sgpr_workgroup_id_y 0
		.amdhsa_system_sgpr_workgroup_id_z 0
		.amdhsa_system_sgpr_workgroup_info 0
		.amdhsa_system_vgpr_workitem_id 0
		.amdhsa_next_free_vgpr 1
		.amdhsa_next_free_sgpr 0
		.amdhsa_accum_offset 4
		.amdhsa_reserve_vcc 0
		.amdhsa_reserve_flat_scratch 0
		.amdhsa_float_round_mode_32 0
		.amdhsa_float_round_mode_16_64 0
		.amdhsa_float_denorm_mode_32 3
		.amdhsa_float_denorm_mode_16_64 3
		.amdhsa_dx10_clamp 1
		.amdhsa_ieee_mode 1
		.amdhsa_fp16_overflow 0
		.amdhsa_tg_split 0
		.amdhsa_exception_fp_ieee_invalid_op 0
		.amdhsa_exception_fp_denorm_src 0
		.amdhsa_exception_fp_ieee_div_zero 0
		.amdhsa_exception_fp_ieee_overflow 0
		.amdhsa_exception_fp_ieee_underflow 0
		.amdhsa_exception_fp_ieee_inexact 0
		.amdhsa_exception_int_div_zero 0
	.end_amdhsa_kernel
	.section	.text._ZN7rocprim17ROCPRIM_400000_NS6detail17trampoline_kernelINS0_14default_configENS1_29reduce_by_key_config_selectorIalN6thrust23THRUST_200600_302600_NS4plusIlEEEEZZNS1_33reduce_by_key_impl_wrapped_configILNS1_25lookback_scan_determinismE0ES3_S9_PaNS6_17constant_iteratorIiNS6_11use_defaultESE_EENS6_10device_ptrIaEENSG_IlEEPmS8_NS6_8equal_toIaEEEE10hipError_tPvRmT2_T3_mT4_T5_T6_T7_T8_P12ihipStream_tbENKUlT_T0_E_clISt17integral_constantIbLb1EES13_EEDaSY_SZ_EUlSY_E_NS1_11comp_targetILNS1_3genE8ELNS1_11target_archE1030ELNS1_3gpuE2ELNS1_3repE0EEENS1_30default_config_static_selectorELNS0_4arch9wavefront6targetE1EEEvT1_,"axG",@progbits,_ZN7rocprim17ROCPRIM_400000_NS6detail17trampoline_kernelINS0_14default_configENS1_29reduce_by_key_config_selectorIalN6thrust23THRUST_200600_302600_NS4plusIlEEEEZZNS1_33reduce_by_key_impl_wrapped_configILNS1_25lookback_scan_determinismE0ES3_S9_PaNS6_17constant_iteratorIiNS6_11use_defaultESE_EENS6_10device_ptrIaEENSG_IlEEPmS8_NS6_8equal_toIaEEEE10hipError_tPvRmT2_T3_mT4_T5_T6_T7_T8_P12ihipStream_tbENKUlT_T0_E_clISt17integral_constantIbLb1EES13_EEDaSY_SZ_EUlSY_E_NS1_11comp_targetILNS1_3genE8ELNS1_11target_archE1030ELNS1_3gpuE2ELNS1_3repE0EEENS1_30default_config_static_selectorELNS0_4arch9wavefront6targetE1EEEvT1_,comdat
.Lfunc_end689:
	.size	_ZN7rocprim17ROCPRIM_400000_NS6detail17trampoline_kernelINS0_14default_configENS1_29reduce_by_key_config_selectorIalN6thrust23THRUST_200600_302600_NS4plusIlEEEEZZNS1_33reduce_by_key_impl_wrapped_configILNS1_25lookback_scan_determinismE0ES3_S9_PaNS6_17constant_iteratorIiNS6_11use_defaultESE_EENS6_10device_ptrIaEENSG_IlEEPmS8_NS6_8equal_toIaEEEE10hipError_tPvRmT2_T3_mT4_T5_T6_T7_T8_P12ihipStream_tbENKUlT_T0_E_clISt17integral_constantIbLb1EES13_EEDaSY_SZ_EUlSY_E_NS1_11comp_targetILNS1_3genE8ELNS1_11target_archE1030ELNS1_3gpuE2ELNS1_3repE0EEENS1_30default_config_static_selectorELNS0_4arch9wavefront6targetE1EEEvT1_, .Lfunc_end689-_ZN7rocprim17ROCPRIM_400000_NS6detail17trampoline_kernelINS0_14default_configENS1_29reduce_by_key_config_selectorIalN6thrust23THRUST_200600_302600_NS4plusIlEEEEZZNS1_33reduce_by_key_impl_wrapped_configILNS1_25lookback_scan_determinismE0ES3_S9_PaNS6_17constant_iteratorIiNS6_11use_defaultESE_EENS6_10device_ptrIaEENSG_IlEEPmS8_NS6_8equal_toIaEEEE10hipError_tPvRmT2_T3_mT4_T5_T6_T7_T8_P12ihipStream_tbENKUlT_T0_E_clISt17integral_constantIbLb1EES13_EEDaSY_SZ_EUlSY_E_NS1_11comp_targetILNS1_3genE8ELNS1_11target_archE1030ELNS1_3gpuE2ELNS1_3repE0EEENS1_30default_config_static_selectorELNS0_4arch9wavefront6targetE1EEEvT1_
                                        ; -- End function
	.section	.AMDGPU.csdata,"",@progbits
; Kernel info:
; codeLenInByte = 0
; NumSgprs: 4
; NumVgprs: 0
; NumAgprs: 0
; TotalNumVgprs: 0
; ScratchSize: 0
; MemoryBound: 0
; FloatMode: 240
; IeeeMode: 1
; LDSByteSize: 0 bytes/workgroup (compile time only)
; SGPRBlocks: 0
; VGPRBlocks: 0
; NumSGPRsForWavesPerEU: 4
; NumVGPRsForWavesPerEU: 1
; AccumOffset: 4
; Occupancy: 8
; WaveLimiterHint : 0
; COMPUTE_PGM_RSRC2:SCRATCH_EN: 0
; COMPUTE_PGM_RSRC2:USER_SGPR: 6
; COMPUTE_PGM_RSRC2:TRAP_HANDLER: 0
; COMPUTE_PGM_RSRC2:TGID_X_EN: 1
; COMPUTE_PGM_RSRC2:TGID_Y_EN: 0
; COMPUTE_PGM_RSRC2:TGID_Z_EN: 0
; COMPUTE_PGM_RSRC2:TIDIG_COMP_CNT: 0
; COMPUTE_PGM_RSRC3_GFX90A:ACCUM_OFFSET: 0
; COMPUTE_PGM_RSRC3_GFX90A:TG_SPLIT: 0
	.section	.text._ZN7rocprim17ROCPRIM_400000_NS6detail17trampoline_kernelINS0_14default_configENS1_29reduce_by_key_config_selectorIalN6thrust23THRUST_200600_302600_NS4plusIlEEEEZZNS1_33reduce_by_key_impl_wrapped_configILNS1_25lookback_scan_determinismE0ES3_S9_PaNS6_17constant_iteratorIiNS6_11use_defaultESE_EENS6_10device_ptrIaEENSG_IlEEPmS8_NS6_8equal_toIaEEEE10hipError_tPvRmT2_T3_mT4_T5_T6_T7_T8_P12ihipStream_tbENKUlT_T0_E_clISt17integral_constantIbLb1EES12_IbLb0EEEEDaSY_SZ_EUlSY_E_NS1_11comp_targetILNS1_3genE0ELNS1_11target_archE4294967295ELNS1_3gpuE0ELNS1_3repE0EEENS1_30default_config_static_selectorELNS0_4arch9wavefront6targetE1EEEvT1_,"axG",@progbits,_ZN7rocprim17ROCPRIM_400000_NS6detail17trampoline_kernelINS0_14default_configENS1_29reduce_by_key_config_selectorIalN6thrust23THRUST_200600_302600_NS4plusIlEEEEZZNS1_33reduce_by_key_impl_wrapped_configILNS1_25lookback_scan_determinismE0ES3_S9_PaNS6_17constant_iteratorIiNS6_11use_defaultESE_EENS6_10device_ptrIaEENSG_IlEEPmS8_NS6_8equal_toIaEEEE10hipError_tPvRmT2_T3_mT4_T5_T6_T7_T8_P12ihipStream_tbENKUlT_T0_E_clISt17integral_constantIbLb1EES12_IbLb0EEEEDaSY_SZ_EUlSY_E_NS1_11comp_targetILNS1_3genE0ELNS1_11target_archE4294967295ELNS1_3gpuE0ELNS1_3repE0EEENS1_30default_config_static_selectorELNS0_4arch9wavefront6targetE1EEEvT1_,comdat
	.protected	_ZN7rocprim17ROCPRIM_400000_NS6detail17trampoline_kernelINS0_14default_configENS1_29reduce_by_key_config_selectorIalN6thrust23THRUST_200600_302600_NS4plusIlEEEEZZNS1_33reduce_by_key_impl_wrapped_configILNS1_25lookback_scan_determinismE0ES3_S9_PaNS6_17constant_iteratorIiNS6_11use_defaultESE_EENS6_10device_ptrIaEENSG_IlEEPmS8_NS6_8equal_toIaEEEE10hipError_tPvRmT2_T3_mT4_T5_T6_T7_T8_P12ihipStream_tbENKUlT_T0_E_clISt17integral_constantIbLb1EES12_IbLb0EEEEDaSY_SZ_EUlSY_E_NS1_11comp_targetILNS1_3genE0ELNS1_11target_archE4294967295ELNS1_3gpuE0ELNS1_3repE0EEENS1_30default_config_static_selectorELNS0_4arch9wavefront6targetE1EEEvT1_ ; -- Begin function _ZN7rocprim17ROCPRIM_400000_NS6detail17trampoline_kernelINS0_14default_configENS1_29reduce_by_key_config_selectorIalN6thrust23THRUST_200600_302600_NS4plusIlEEEEZZNS1_33reduce_by_key_impl_wrapped_configILNS1_25lookback_scan_determinismE0ES3_S9_PaNS6_17constant_iteratorIiNS6_11use_defaultESE_EENS6_10device_ptrIaEENSG_IlEEPmS8_NS6_8equal_toIaEEEE10hipError_tPvRmT2_T3_mT4_T5_T6_T7_T8_P12ihipStream_tbENKUlT_T0_E_clISt17integral_constantIbLb1EES12_IbLb0EEEEDaSY_SZ_EUlSY_E_NS1_11comp_targetILNS1_3genE0ELNS1_11target_archE4294967295ELNS1_3gpuE0ELNS1_3repE0EEENS1_30default_config_static_selectorELNS0_4arch9wavefront6targetE1EEEvT1_
	.globl	_ZN7rocprim17ROCPRIM_400000_NS6detail17trampoline_kernelINS0_14default_configENS1_29reduce_by_key_config_selectorIalN6thrust23THRUST_200600_302600_NS4plusIlEEEEZZNS1_33reduce_by_key_impl_wrapped_configILNS1_25lookback_scan_determinismE0ES3_S9_PaNS6_17constant_iteratorIiNS6_11use_defaultESE_EENS6_10device_ptrIaEENSG_IlEEPmS8_NS6_8equal_toIaEEEE10hipError_tPvRmT2_T3_mT4_T5_T6_T7_T8_P12ihipStream_tbENKUlT_T0_E_clISt17integral_constantIbLb1EES12_IbLb0EEEEDaSY_SZ_EUlSY_E_NS1_11comp_targetILNS1_3genE0ELNS1_11target_archE4294967295ELNS1_3gpuE0ELNS1_3repE0EEENS1_30default_config_static_selectorELNS0_4arch9wavefront6targetE1EEEvT1_
	.p2align	8
	.type	_ZN7rocprim17ROCPRIM_400000_NS6detail17trampoline_kernelINS0_14default_configENS1_29reduce_by_key_config_selectorIalN6thrust23THRUST_200600_302600_NS4plusIlEEEEZZNS1_33reduce_by_key_impl_wrapped_configILNS1_25lookback_scan_determinismE0ES3_S9_PaNS6_17constant_iteratorIiNS6_11use_defaultESE_EENS6_10device_ptrIaEENSG_IlEEPmS8_NS6_8equal_toIaEEEE10hipError_tPvRmT2_T3_mT4_T5_T6_T7_T8_P12ihipStream_tbENKUlT_T0_E_clISt17integral_constantIbLb1EES12_IbLb0EEEEDaSY_SZ_EUlSY_E_NS1_11comp_targetILNS1_3genE0ELNS1_11target_archE4294967295ELNS1_3gpuE0ELNS1_3repE0EEENS1_30default_config_static_selectorELNS0_4arch9wavefront6targetE1EEEvT1_,@function
_ZN7rocprim17ROCPRIM_400000_NS6detail17trampoline_kernelINS0_14default_configENS1_29reduce_by_key_config_selectorIalN6thrust23THRUST_200600_302600_NS4plusIlEEEEZZNS1_33reduce_by_key_impl_wrapped_configILNS1_25lookback_scan_determinismE0ES3_S9_PaNS6_17constant_iteratorIiNS6_11use_defaultESE_EENS6_10device_ptrIaEENSG_IlEEPmS8_NS6_8equal_toIaEEEE10hipError_tPvRmT2_T3_mT4_T5_T6_T7_T8_P12ihipStream_tbENKUlT_T0_E_clISt17integral_constantIbLb1EES12_IbLb0EEEEDaSY_SZ_EUlSY_E_NS1_11comp_targetILNS1_3genE0ELNS1_11target_archE4294967295ELNS1_3gpuE0ELNS1_3repE0EEENS1_30default_config_static_selectorELNS0_4arch9wavefront6targetE1EEEvT1_: ; @_ZN7rocprim17ROCPRIM_400000_NS6detail17trampoline_kernelINS0_14default_configENS1_29reduce_by_key_config_selectorIalN6thrust23THRUST_200600_302600_NS4plusIlEEEEZZNS1_33reduce_by_key_impl_wrapped_configILNS1_25lookback_scan_determinismE0ES3_S9_PaNS6_17constant_iteratorIiNS6_11use_defaultESE_EENS6_10device_ptrIaEENSG_IlEEPmS8_NS6_8equal_toIaEEEE10hipError_tPvRmT2_T3_mT4_T5_T6_T7_T8_P12ihipStream_tbENKUlT_T0_E_clISt17integral_constantIbLb1EES12_IbLb0EEEEDaSY_SZ_EUlSY_E_NS1_11comp_targetILNS1_3genE0ELNS1_11target_archE4294967295ELNS1_3gpuE0ELNS1_3repE0EEENS1_30default_config_static_selectorELNS0_4arch9wavefront6targetE1EEEvT1_
; %bb.0:
	.section	.rodata,"a",@progbits
	.p2align	6, 0x0
	.amdhsa_kernel _ZN7rocprim17ROCPRIM_400000_NS6detail17trampoline_kernelINS0_14default_configENS1_29reduce_by_key_config_selectorIalN6thrust23THRUST_200600_302600_NS4plusIlEEEEZZNS1_33reduce_by_key_impl_wrapped_configILNS1_25lookback_scan_determinismE0ES3_S9_PaNS6_17constant_iteratorIiNS6_11use_defaultESE_EENS6_10device_ptrIaEENSG_IlEEPmS8_NS6_8equal_toIaEEEE10hipError_tPvRmT2_T3_mT4_T5_T6_T7_T8_P12ihipStream_tbENKUlT_T0_E_clISt17integral_constantIbLb1EES12_IbLb0EEEEDaSY_SZ_EUlSY_E_NS1_11comp_targetILNS1_3genE0ELNS1_11target_archE4294967295ELNS1_3gpuE0ELNS1_3repE0EEENS1_30default_config_static_selectorELNS0_4arch9wavefront6targetE1EEEvT1_
		.amdhsa_group_segment_fixed_size 0
		.amdhsa_private_segment_fixed_size 0
		.amdhsa_kernarg_size 144
		.amdhsa_user_sgpr_count 6
		.amdhsa_user_sgpr_private_segment_buffer 1
		.amdhsa_user_sgpr_dispatch_ptr 0
		.amdhsa_user_sgpr_queue_ptr 0
		.amdhsa_user_sgpr_kernarg_segment_ptr 1
		.amdhsa_user_sgpr_dispatch_id 0
		.amdhsa_user_sgpr_flat_scratch_init 0
		.amdhsa_user_sgpr_kernarg_preload_length 0
		.amdhsa_user_sgpr_kernarg_preload_offset 0
		.amdhsa_user_sgpr_private_segment_size 0
		.amdhsa_uses_dynamic_stack 0
		.amdhsa_system_sgpr_private_segment_wavefront_offset 0
		.amdhsa_system_sgpr_workgroup_id_x 1
		.amdhsa_system_sgpr_workgroup_id_y 0
		.amdhsa_system_sgpr_workgroup_id_z 0
		.amdhsa_system_sgpr_workgroup_info 0
		.amdhsa_system_vgpr_workitem_id 0
		.amdhsa_next_free_vgpr 1
		.amdhsa_next_free_sgpr 0
		.amdhsa_accum_offset 4
		.amdhsa_reserve_vcc 0
		.amdhsa_reserve_flat_scratch 0
		.amdhsa_float_round_mode_32 0
		.amdhsa_float_round_mode_16_64 0
		.amdhsa_float_denorm_mode_32 3
		.amdhsa_float_denorm_mode_16_64 3
		.amdhsa_dx10_clamp 1
		.amdhsa_ieee_mode 1
		.amdhsa_fp16_overflow 0
		.amdhsa_tg_split 0
		.amdhsa_exception_fp_ieee_invalid_op 0
		.amdhsa_exception_fp_denorm_src 0
		.amdhsa_exception_fp_ieee_div_zero 0
		.amdhsa_exception_fp_ieee_overflow 0
		.amdhsa_exception_fp_ieee_underflow 0
		.amdhsa_exception_fp_ieee_inexact 0
		.amdhsa_exception_int_div_zero 0
	.end_amdhsa_kernel
	.section	.text._ZN7rocprim17ROCPRIM_400000_NS6detail17trampoline_kernelINS0_14default_configENS1_29reduce_by_key_config_selectorIalN6thrust23THRUST_200600_302600_NS4plusIlEEEEZZNS1_33reduce_by_key_impl_wrapped_configILNS1_25lookback_scan_determinismE0ES3_S9_PaNS6_17constant_iteratorIiNS6_11use_defaultESE_EENS6_10device_ptrIaEENSG_IlEEPmS8_NS6_8equal_toIaEEEE10hipError_tPvRmT2_T3_mT4_T5_T6_T7_T8_P12ihipStream_tbENKUlT_T0_E_clISt17integral_constantIbLb1EES12_IbLb0EEEEDaSY_SZ_EUlSY_E_NS1_11comp_targetILNS1_3genE0ELNS1_11target_archE4294967295ELNS1_3gpuE0ELNS1_3repE0EEENS1_30default_config_static_selectorELNS0_4arch9wavefront6targetE1EEEvT1_,"axG",@progbits,_ZN7rocprim17ROCPRIM_400000_NS6detail17trampoline_kernelINS0_14default_configENS1_29reduce_by_key_config_selectorIalN6thrust23THRUST_200600_302600_NS4plusIlEEEEZZNS1_33reduce_by_key_impl_wrapped_configILNS1_25lookback_scan_determinismE0ES3_S9_PaNS6_17constant_iteratorIiNS6_11use_defaultESE_EENS6_10device_ptrIaEENSG_IlEEPmS8_NS6_8equal_toIaEEEE10hipError_tPvRmT2_T3_mT4_T5_T6_T7_T8_P12ihipStream_tbENKUlT_T0_E_clISt17integral_constantIbLb1EES12_IbLb0EEEEDaSY_SZ_EUlSY_E_NS1_11comp_targetILNS1_3genE0ELNS1_11target_archE4294967295ELNS1_3gpuE0ELNS1_3repE0EEENS1_30default_config_static_selectorELNS0_4arch9wavefront6targetE1EEEvT1_,comdat
.Lfunc_end690:
	.size	_ZN7rocprim17ROCPRIM_400000_NS6detail17trampoline_kernelINS0_14default_configENS1_29reduce_by_key_config_selectorIalN6thrust23THRUST_200600_302600_NS4plusIlEEEEZZNS1_33reduce_by_key_impl_wrapped_configILNS1_25lookback_scan_determinismE0ES3_S9_PaNS6_17constant_iteratorIiNS6_11use_defaultESE_EENS6_10device_ptrIaEENSG_IlEEPmS8_NS6_8equal_toIaEEEE10hipError_tPvRmT2_T3_mT4_T5_T6_T7_T8_P12ihipStream_tbENKUlT_T0_E_clISt17integral_constantIbLb1EES12_IbLb0EEEEDaSY_SZ_EUlSY_E_NS1_11comp_targetILNS1_3genE0ELNS1_11target_archE4294967295ELNS1_3gpuE0ELNS1_3repE0EEENS1_30default_config_static_selectorELNS0_4arch9wavefront6targetE1EEEvT1_, .Lfunc_end690-_ZN7rocprim17ROCPRIM_400000_NS6detail17trampoline_kernelINS0_14default_configENS1_29reduce_by_key_config_selectorIalN6thrust23THRUST_200600_302600_NS4plusIlEEEEZZNS1_33reduce_by_key_impl_wrapped_configILNS1_25lookback_scan_determinismE0ES3_S9_PaNS6_17constant_iteratorIiNS6_11use_defaultESE_EENS6_10device_ptrIaEENSG_IlEEPmS8_NS6_8equal_toIaEEEE10hipError_tPvRmT2_T3_mT4_T5_T6_T7_T8_P12ihipStream_tbENKUlT_T0_E_clISt17integral_constantIbLb1EES12_IbLb0EEEEDaSY_SZ_EUlSY_E_NS1_11comp_targetILNS1_3genE0ELNS1_11target_archE4294967295ELNS1_3gpuE0ELNS1_3repE0EEENS1_30default_config_static_selectorELNS0_4arch9wavefront6targetE1EEEvT1_
                                        ; -- End function
	.section	.AMDGPU.csdata,"",@progbits
; Kernel info:
; codeLenInByte = 0
; NumSgprs: 4
; NumVgprs: 0
; NumAgprs: 0
; TotalNumVgprs: 0
; ScratchSize: 0
; MemoryBound: 0
; FloatMode: 240
; IeeeMode: 1
; LDSByteSize: 0 bytes/workgroup (compile time only)
; SGPRBlocks: 0
; VGPRBlocks: 0
; NumSGPRsForWavesPerEU: 4
; NumVGPRsForWavesPerEU: 1
; AccumOffset: 4
; Occupancy: 8
; WaveLimiterHint : 0
; COMPUTE_PGM_RSRC2:SCRATCH_EN: 0
; COMPUTE_PGM_RSRC2:USER_SGPR: 6
; COMPUTE_PGM_RSRC2:TRAP_HANDLER: 0
; COMPUTE_PGM_RSRC2:TGID_X_EN: 1
; COMPUTE_PGM_RSRC2:TGID_Y_EN: 0
; COMPUTE_PGM_RSRC2:TGID_Z_EN: 0
; COMPUTE_PGM_RSRC2:TIDIG_COMP_CNT: 0
; COMPUTE_PGM_RSRC3_GFX90A:ACCUM_OFFSET: 0
; COMPUTE_PGM_RSRC3_GFX90A:TG_SPLIT: 0
	.section	.text._ZN7rocprim17ROCPRIM_400000_NS6detail17trampoline_kernelINS0_14default_configENS1_29reduce_by_key_config_selectorIalN6thrust23THRUST_200600_302600_NS4plusIlEEEEZZNS1_33reduce_by_key_impl_wrapped_configILNS1_25lookback_scan_determinismE0ES3_S9_PaNS6_17constant_iteratorIiNS6_11use_defaultESE_EENS6_10device_ptrIaEENSG_IlEEPmS8_NS6_8equal_toIaEEEE10hipError_tPvRmT2_T3_mT4_T5_T6_T7_T8_P12ihipStream_tbENKUlT_T0_E_clISt17integral_constantIbLb1EES12_IbLb0EEEEDaSY_SZ_EUlSY_E_NS1_11comp_targetILNS1_3genE5ELNS1_11target_archE942ELNS1_3gpuE9ELNS1_3repE0EEENS1_30default_config_static_selectorELNS0_4arch9wavefront6targetE1EEEvT1_,"axG",@progbits,_ZN7rocprim17ROCPRIM_400000_NS6detail17trampoline_kernelINS0_14default_configENS1_29reduce_by_key_config_selectorIalN6thrust23THRUST_200600_302600_NS4plusIlEEEEZZNS1_33reduce_by_key_impl_wrapped_configILNS1_25lookback_scan_determinismE0ES3_S9_PaNS6_17constant_iteratorIiNS6_11use_defaultESE_EENS6_10device_ptrIaEENSG_IlEEPmS8_NS6_8equal_toIaEEEE10hipError_tPvRmT2_T3_mT4_T5_T6_T7_T8_P12ihipStream_tbENKUlT_T0_E_clISt17integral_constantIbLb1EES12_IbLb0EEEEDaSY_SZ_EUlSY_E_NS1_11comp_targetILNS1_3genE5ELNS1_11target_archE942ELNS1_3gpuE9ELNS1_3repE0EEENS1_30default_config_static_selectorELNS0_4arch9wavefront6targetE1EEEvT1_,comdat
	.protected	_ZN7rocprim17ROCPRIM_400000_NS6detail17trampoline_kernelINS0_14default_configENS1_29reduce_by_key_config_selectorIalN6thrust23THRUST_200600_302600_NS4plusIlEEEEZZNS1_33reduce_by_key_impl_wrapped_configILNS1_25lookback_scan_determinismE0ES3_S9_PaNS6_17constant_iteratorIiNS6_11use_defaultESE_EENS6_10device_ptrIaEENSG_IlEEPmS8_NS6_8equal_toIaEEEE10hipError_tPvRmT2_T3_mT4_T5_T6_T7_T8_P12ihipStream_tbENKUlT_T0_E_clISt17integral_constantIbLb1EES12_IbLb0EEEEDaSY_SZ_EUlSY_E_NS1_11comp_targetILNS1_3genE5ELNS1_11target_archE942ELNS1_3gpuE9ELNS1_3repE0EEENS1_30default_config_static_selectorELNS0_4arch9wavefront6targetE1EEEvT1_ ; -- Begin function _ZN7rocprim17ROCPRIM_400000_NS6detail17trampoline_kernelINS0_14default_configENS1_29reduce_by_key_config_selectorIalN6thrust23THRUST_200600_302600_NS4plusIlEEEEZZNS1_33reduce_by_key_impl_wrapped_configILNS1_25lookback_scan_determinismE0ES3_S9_PaNS6_17constant_iteratorIiNS6_11use_defaultESE_EENS6_10device_ptrIaEENSG_IlEEPmS8_NS6_8equal_toIaEEEE10hipError_tPvRmT2_T3_mT4_T5_T6_T7_T8_P12ihipStream_tbENKUlT_T0_E_clISt17integral_constantIbLb1EES12_IbLb0EEEEDaSY_SZ_EUlSY_E_NS1_11comp_targetILNS1_3genE5ELNS1_11target_archE942ELNS1_3gpuE9ELNS1_3repE0EEENS1_30default_config_static_selectorELNS0_4arch9wavefront6targetE1EEEvT1_
	.globl	_ZN7rocprim17ROCPRIM_400000_NS6detail17trampoline_kernelINS0_14default_configENS1_29reduce_by_key_config_selectorIalN6thrust23THRUST_200600_302600_NS4plusIlEEEEZZNS1_33reduce_by_key_impl_wrapped_configILNS1_25lookback_scan_determinismE0ES3_S9_PaNS6_17constant_iteratorIiNS6_11use_defaultESE_EENS6_10device_ptrIaEENSG_IlEEPmS8_NS6_8equal_toIaEEEE10hipError_tPvRmT2_T3_mT4_T5_T6_T7_T8_P12ihipStream_tbENKUlT_T0_E_clISt17integral_constantIbLb1EES12_IbLb0EEEEDaSY_SZ_EUlSY_E_NS1_11comp_targetILNS1_3genE5ELNS1_11target_archE942ELNS1_3gpuE9ELNS1_3repE0EEENS1_30default_config_static_selectorELNS0_4arch9wavefront6targetE1EEEvT1_
	.p2align	8
	.type	_ZN7rocprim17ROCPRIM_400000_NS6detail17trampoline_kernelINS0_14default_configENS1_29reduce_by_key_config_selectorIalN6thrust23THRUST_200600_302600_NS4plusIlEEEEZZNS1_33reduce_by_key_impl_wrapped_configILNS1_25lookback_scan_determinismE0ES3_S9_PaNS6_17constant_iteratorIiNS6_11use_defaultESE_EENS6_10device_ptrIaEENSG_IlEEPmS8_NS6_8equal_toIaEEEE10hipError_tPvRmT2_T3_mT4_T5_T6_T7_T8_P12ihipStream_tbENKUlT_T0_E_clISt17integral_constantIbLb1EES12_IbLb0EEEEDaSY_SZ_EUlSY_E_NS1_11comp_targetILNS1_3genE5ELNS1_11target_archE942ELNS1_3gpuE9ELNS1_3repE0EEENS1_30default_config_static_selectorELNS0_4arch9wavefront6targetE1EEEvT1_,@function
_ZN7rocprim17ROCPRIM_400000_NS6detail17trampoline_kernelINS0_14default_configENS1_29reduce_by_key_config_selectorIalN6thrust23THRUST_200600_302600_NS4plusIlEEEEZZNS1_33reduce_by_key_impl_wrapped_configILNS1_25lookback_scan_determinismE0ES3_S9_PaNS6_17constant_iteratorIiNS6_11use_defaultESE_EENS6_10device_ptrIaEENSG_IlEEPmS8_NS6_8equal_toIaEEEE10hipError_tPvRmT2_T3_mT4_T5_T6_T7_T8_P12ihipStream_tbENKUlT_T0_E_clISt17integral_constantIbLb1EES12_IbLb0EEEEDaSY_SZ_EUlSY_E_NS1_11comp_targetILNS1_3genE5ELNS1_11target_archE942ELNS1_3gpuE9ELNS1_3repE0EEENS1_30default_config_static_selectorELNS0_4arch9wavefront6targetE1EEEvT1_: ; @_ZN7rocprim17ROCPRIM_400000_NS6detail17trampoline_kernelINS0_14default_configENS1_29reduce_by_key_config_selectorIalN6thrust23THRUST_200600_302600_NS4plusIlEEEEZZNS1_33reduce_by_key_impl_wrapped_configILNS1_25lookback_scan_determinismE0ES3_S9_PaNS6_17constant_iteratorIiNS6_11use_defaultESE_EENS6_10device_ptrIaEENSG_IlEEPmS8_NS6_8equal_toIaEEEE10hipError_tPvRmT2_T3_mT4_T5_T6_T7_T8_P12ihipStream_tbENKUlT_T0_E_clISt17integral_constantIbLb1EES12_IbLb0EEEEDaSY_SZ_EUlSY_E_NS1_11comp_targetILNS1_3genE5ELNS1_11target_archE942ELNS1_3gpuE9ELNS1_3repE0EEENS1_30default_config_static_selectorELNS0_4arch9wavefront6targetE1EEEvT1_
; %bb.0:
	.section	.rodata,"a",@progbits
	.p2align	6, 0x0
	.amdhsa_kernel _ZN7rocprim17ROCPRIM_400000_NS6detail17trampoline_kernelINS0_14default_configENS1_29reduce_by_key_config_selectorIalN6thrust23THRUST_200600_302600_NS4plusIlEEEEZZNS1_33reduce_by_key_impl_wrapped_configILNS1_25lookback_scan_determinismE0ES3_S9_PaNS6_17constant_iteratorIiNS6_11use_defaultESE_EENS6_10device_ptrIaEENSG_IlEEPmS8_NS6_8equal_toIaEEEE10hipError_tPvRmT2_T3_mT4_T5_T6_T7_T8_P12ihipStream_tbENKUlT_T0_E_clISt17integral_constantIbLb1EES12_IbLb0EEEEDaSY_SZ_EUlSY_E_NS1_11comp_targetILNS1_3genE5ELNS1_11target_archE942ELNS1_3gpuE9ELNS1_3repE0EEENS1_30default_config_static_selectorELNS0_4arch9wavefront6targetE1EEEvT1_
		.amdhsa_group_segment_fixed_size 0
		.amdhsa_private_segment_fixed_size 0
		.amdhsa_kernarg_size 144
		.amdhsa_user_sgpr_count 6
		.amdhsa_user_sgpr_private_segment_buffer 1
		.amdhsa_user_sgpr_dispatch_ptr 0
		.amdhsa_user_sgpr_queue_ptr 0
		.amdhsa_user_sgpr_kernarg_segment_ptr 1
		.amdhsa_user_sgpr_dispatch_id 0
		.amdhsa_user_sgpr_flat_scratch_init 0
		.amdhsa_user_sgpr_kernarg_preload_length 0
		.amdhsa_user_sgpr_kernarg_preload_offset 0
		.amdhsa_user_sgpr_private_segment_size 0
		.amdhsa_uses_dynamic_stack 0
		.amdhsa_system_sgpr_private_segment_wavefront_offset 0
		.amdhsa_system_sgpr_workgroup_id_x 1
		.amdhsa_system_sgpr_workgroup_id_y 0
		.amdhsa_system_sgpr_workgroup_id_z 0
		.amdhsa_system_sgpr_workgroup_info 0
		.amdhsa_system_vgpr_workitem_id 0
		.amdhsa_next_free_vgpr 1
		.amdhsa_next_free_sgpr 0
		.amdhsa_accum_offset 4
		.amdhsa_reserve_vcc 0
		.amdhsa_reserve_flat_scratch 0
		.amdhsa_float_round_mode_32 0
		.amdhsa_float_round_mode_16_64 0
		.amdhsa_float_denorm_mode_32 3
		.amdhsa_float_denorm_mode_16_64 3
		.amdhsa_dx10_clamp 1
		.amdhsa_ieee_mode 1
		.amdhsa_fp16_overflow 0
		.amdhsa_tg_split 0
		.amdhsa_exception_fp_ieee_invalid_op 0
		.amdhsa_exception_fp_denorm_src 0
		.amdhsa_exception_fp_ieee_div_zero 0
		.amdhsa_exception_fp_ieee_overflow 0
		.amdhsa_exception_fp_ieee_underflow 0
		.amdhsa_exception_fp_ieee_inexact 0
		.amdhsa_exception_int_div_zero 0
	.end_amdhsa_kernel
	.section	.text._ZN7rocprim17ROCPRIM_400000_NS6detail17trampoline_kernelINS0_14default_configENS1_29reduce_by_key_config_selectorIalN6thrust23THRUST_200600_302600_NS4plusIlEEEEZZNS1_33reduce_by_key_impl_wrapped_configILNS1_25lookback_scan_determinismE0ES3_S9_PaNS6_17constant_iteratorIiNS6_11use_defaultESE_EENS6_10device_ptrIaEENSG_IlEEPmS8_NS6_8equal_toIaEEEE10hipError_tPvRmT2_T3_mT4_T5_T6_T7_T8_P12ihipStream_tbENKUlT_T0_E_clISt17integral_constantIbLb1EES12_IbLb0EEEEDaSY_SZ_EUlSY_E_NS1_11comp_targetILNS1_3genE5ELNS1_11target_archE942ELNS1_3gpuE9ELNS1_3repE0EEENS1_30default_config_static_selectorELNS0_4arch9wavefront6targetE1EEEvT1_,"axG",@progbits,_ZN7rocprim17ROCPRIM_400000_NS6detail17trampoline_kernelINS0_14default_configENS1_29reduce_by_key_config_selectorIalN6thrust23THRUST_200600_302600_NS4plusIlEEEEZZNS1_33reduce_by_key_impl_wrapped_configILNS1_25lookback_scan_determinismE0ES3_S9_PaNS6_17constant_iteratorIiNS6_11use_defaultESE_EENS6_10device_ptrIaEENSG_IlEEPmS8_NS6_8equal_toIaEEEE10hipError_tPvRmT2_T3_mT4_T5_T6_T7_T8_P12ihipStream_tbENKUlT_T0_E_clISt17integral_constantIbLb1EES12_IbLb0EEEEDaSY_SZ_EUlSY_E_NS1_11comp_targetILNS1_3genE5ELNS1_11target_archE942ELNS1_3gpuE9ELNS1_3repE0EEENS1_30default_config_static_selectorELNS0_4arch9wavefront6targetE1EEEvT1_,comdat
.Lfunc_end691:
	.size	_ZN7rocprim17ROCPRIM_400000_NS6detail17trampoline_kernelINS0_14default_configENS1_29reduce_by_key_config_selectorIalN6thrust23THRUST_200600_302600_NS4plusIlEEEEZZNS1_33reduce_by_key_impl_wrapped_configILNS1_25lookback_scan_determinismE0ES3_S9_PaNS6_17constant_iteratorIiNS6_11use_defaultESE_EENS6_10device_ptrIaEENSG_IlEEPmS8_NS6_8equal_toIaEEEE10hipError_tPvRmT2_T3_mT4_T5_T6_T7_T8_P12ihipStream_tbENKUlT_T0_E_clISt17integral_constantIbLb1EES12_IbLb0EEEEDaSY_SZ_EUlSY_E_NS1_11comp_targetILNS1_3genE5ELNS1_11target_archE942ELNS1_3gpuE9ELNS1_3repE0EEENS1_30default_config_static_selectorELNS0_4arch9wavefront6targetE1EEEvT1_, .Lfunc_end691-_ZN7rocprim17ROCPRIM_400000_NS6detail17trampoline_kernelINS0_14default_configENS1_29reduce_by_key_config_selectorIalN6thrust23THRUST_200600_302600_NS4plusIlEEEEZZNS1_33reduce_by_key_impl_wrapped_configILNS1_25lookback_scan_determinismE0ES3_S9_PaNS6_17constant_iteratorIiNS6_11use_defaultESE_EENS6_10device_ptrIaEENSG_IlEEPmS8_NS6_8equal_toIaEEEE10hipError_tPvRmT2_T3_mT4_T5_T6_T7_T8_P12ihipStream_tbENKUlT_T0_E_clISt17integral_constantIbLb1EES12_IbLb0EEEEDaSY_SZ_EUlSY_E_NS1_11comp_targetILNS1_3genE5ELNS1_11target_archE942ELNS1_3gpuE9ELNS1_3repE0EEENS1_30default_config_static_selectorELNS0_4arch9wavefront6targetE1EEEvT1_
                                        ; -- End function
	.section	.AMDGPU.csdata,"",@progbits
; Kernel info:
; codeLenInByte = 0
; NumSgprs: 4
; NumVgprs: 0
; NumAgprs: 0
; TotalNumVgprs: 0
; ScratchSize: 0
; MemoryBound: 0
; FloatMode: 240
; IeeeMode: 1
; LDSByteSize: 0 bytes/workgroup (compile time only)
; SGPRBlocks: 0
; VGPRBlocks: 0
; NumSGPRsForWavesPerEU: 4
; NumVGPRsForWavesPerEU: 1
; AccumOffset: 4
; Occupancy: 8
; WaveLimiterHint : 0
; COMPUTE_PGM_RSRC2:SCRATCH_EN: 0
; COMPUTE_PGM_RSRC2:USER_SGPR: 6
; COMPUTE_PGM_RSRC2:TRAP_HANDLER: 0
; COMPUTE_PGM_RSRC2:TGID_X_EN: 1
; COMPUTE_PGM_RSRC2:TGID_Y_EN: 0
; COMPUTE_PGM_RSRC2:TGID_Z_EN: 0
; COMPUTE_PGM_RSRC2:TIDIG_COMP_CNT: 0
; COMPUTE_PGM_RSRC3_GFX90A:ACCUM_OFFSET: 0
; COMPUTE_PGM_RSRC3_GFX90A:TG_SPLIT: 0
	.section	.text._ZN7rocprim17ROCPRIM_400000_NS6detail17trampoline_kernelINS0_14default_configENS1_29reduce_by_key_config_selectorIalN6thrust23THRUST_200600_302600_NS4plusIlEEEEZZNS1_33reduce_by_key_impl_wrapped_configILNS1_25lookback_scan_determinismE0ES3_S9_PaNS6_17constant_iteratorIiNS6_11use_defaultESE_EENS6_10device_ptrIaEENSG_IlEEPmS8_NS6_8equal_toIaEEEE10hipError_tPvRmT2_T3_mT4_T5_T6_T7_T8_P12ihipStream_tbENKUlT_T0_E_clISt17integral_constantIbLb1EES12_IbLb0EEEEDaSY_SZ_EUlSY_E_NS1_11comp_targetILNS1_3genE4ELNS1_11target_archE910ELNS1_3gpuE8ELNS1_3repE0EEENS1_30default_config_static_selectorELNS0_4arch9wavefront6targetE1EEEvT1_,"axG",@progbits,_ZN7rocprim17ROCPRIM_400000_NS6detail17trampoline_kernelINS0_14default_configENS1_29reduce_by_key_config_selectorIalN6thrust23THRUST_200600_302600_NS4plusIlEEEEZZNS1_33reduce_by_key_impl_wrapped_configILNS1_25lookback_scan_determinismE0ES3_S9_PaNS6_17constant_iteratorIiNS6_11use_defaultESE_EENS6_10device_ptrIaEENSG_IlEEPmS8_NS6_8equal_toIaEEEE10hipError_tPvRmT2_T3_mT4_T5_T6_T7_T8_P12ihipStream_tbENKUlT_T0_E_clISt17integral_constantIbLb1EES12_IbLb0EEEEDaSY_SZ_EUlSY_E_NS1_11comp_targetILNS1_3genE4ELNS1_11target_archE910ELNS1_3gpuE8ELNS1_3repE0EEENS1_30default_config_static_selectorELNS0_4arch9wavefront6targetE1EEEvT1_,comdat
	.protected	_ZN7rocprim17ROCPRIM_400000_NS6detail17trampoline_kernelINS0_14default_configENS1_29reduce_by_key_config_selectorIalN6thrust23THRUST_200600_302600_NS4plusIlEEEEZZNS1_33reduce_by_key_impl_wrapped_configILNS1_25lookback_scan_determinismE0ES3_S9_PaNS6_17constant_iteratorIiNS6_11use_defaultESE_EENS6_10device_ptrIaEENSG_IlEEPmS8_NS6_8equal_toIaEEEE10hipError_tPvRmT2_T3_mT4_T5_T6_T7_T8_P12ihipStream_tbENKUlT_T0_E_clISt17integral_constantIbLb1EES12_IbLb0EEEEDaSY_SZ_EUlSY_E_NS1_11comp_targetILNS1_3genE4ELNS1_11target_archE910ELNS1_3gpuE8ELNS1_3repE0EEENS1_30default_config_static_selectorELNS0_4arch9wavefront6targetE1EEEvT1_ ; -- Begin function _ZN7rocprim17ROCPRIM_400000_NS6detail17trampoline_kernelINS0_14default_configENS1_29reduce_by_key_config_selectorIalN6thrust23THRUST_200600_302600_NS4plusIlEEEEZZNS1_33reduce_by_key_impl_wrapped_configILNS1_25lookback_scan_determinismE0ES3_S9_PaNS6_17constant_iteratorIiNS6_11use_defaultESE_EENS6_10device_ptrIaEENSG_IlEEPmS8_NS6_8equal_toIaEEEE10hipError_tPvRmT2_T3_mT4_T5_T6_T7_T8_P12ihipStream_tbENKUlT_T0_E_clISt17integral_constantIbLb1EES12_IbLb0EEEEDaSY_SZ_EUlSY_E_NS1_11comp_targetILNS1_3genE4ELNS1_11target_archE910ELNS1_3gpuE8ELNS1_3repE0EEENS1_30default_config_static_selectorELNS0_4arch9wavefront6targetE1EEEvT1_
	.globl	_ZN7rocprim17ROCPRIM_400000_NS6detail17trampoline_kernelINS0_14default_configENS1_29reduce_by_key_config_selectorIalN6thrust23THRUST_200600_302600_NS4plusIlEEEEZZNS1_33reduce_by_key_impl_wrapped_configILNS1_25lookback_scan_determinismE0ES3_S9_PaNS6_17constant_iteratorIiNS6_11use_defaultESE_EENS6_10device_ptrIaEENSG_IlEEPmS8_NS6_8equal_toIaEEEE10hipError_tPvRmT2_T3_mT4_T5_T6_T7_T8_P12ihipStream_tbENKUlT_T0_E_clISt17integral_constantIbLb1EES12_IbLb0EEEEDaSY_SZ_EUlSY_E_NS1_11comp_targetILNS1_3genE4ELNS1_11target_archE910ELNS1_3gpuE8ELNS1_3repE0EEENS1_30default_config_static_selectorELNS0_4arch9wavefront6targetE1EEEvT1_
	.p2align	8
	.type	_ZN7rocprim17ROCPRIM_400000_NS6detail17trampoline_kernelINS0_14default_configENS1_29reduce_by_key_config_selectorIalN6thrust23THRUST_200600_302600_NS4plusIlEEEEZZNS1_33reduce_by_key_impl_wrapped_configILNS1_25lookback_scan_determinismE0ES3_S9_PaNS6_17constant_iteratorIiNS6_11use_defaultESE_EENS6_10device_ptrIaEENSG_IlEEPmS8_NS6_8equal_toIaEEEE10hipError_tPvRmT2_T3_mT4_T5_T6_T7_T8_P12ihipStream_tbENKUlT_T0_E_clISt17integral_constantIbLb1EES12_IbLb0EEEEDaSY_SZ_EUlSY_E_NS1_11comp_targetILNS1_3genE4ELNS1_11target_archE910ELNS1_3gpuE8ELNS1_3repE0EEENS1_30default_config_static_selectorELNS0_4arch9wavefront6targetE1EEEvT1_,@function
_ZN7rocprim17ROCPRIM_400000_NS6detail17trampoline_kernelINS0_14default_configENS1_29reduce_by_key_config_selectorIalN6thrust23THRUST_200600_302600_NS4plusIlEEEEZZNS1_33reduce_by_key_impl_wrapped_configILNS1_25lookback_scan_determinismE0ES3_S9_PaNS6_17constant_iteratorIiNS6_11use_defaultESE_EENS6_10device_ptrIaEENSG_IlEEPmS8_NS6_8equal_toIaEEEE10hipError_tPvRmT2_T3_mT4_T5_T6_T7_T8_P12ihipStream_tbENKUlT_T0_E_clISt17integral_constantIbLb1EES12_IbLb0EEEEDaSY_SZ_EUlSY_E_NS1_11comp_targetILNS1_3genE4ELNS1_11target_archE910ELNS1_3gpuE8ELNS1_3repE0EEENS1_30default_config_static_selectorELNS0_4arch9wavefront6targetE1EEEvT1_: ; @_ZN7rocprim17ROCPRIM_400000_NS6detail17trampoline_kernelINS0_14default_configENS1_29reduce_by_key_config_selectorIalN6thrust23THRUST_200600_302600_NS4plusIlEEEEZZNS1_33reduce_by_key_impl_wrapped_configILNS1_25lookback_scan_determinismE0ES3_S9_PaNS6_17constant_iteratorIiNS6_11use_defaultESE_EENS6_10device_ptrIaEENSG_IlEEPmS8_NS6_8equal_toIaEEEE10hipError_tPvRmT2_T3_mT4_T5_T6_T7_T8_P12ihipStream_tbENKUlT_T0_E_clISt17integral_constantIbLb1EES12_IbLb0EEEEDaSY_SZ_EUlSY_E_NS1_11comp_targetILNS1_3genE4ELNS1_11target_archE910ELNS1_3gpuE8ELNS1_3repE0EEENS1_30default_config_static_selectorELNS0_4arch9wavefront6targetE1EEEvT1_
; %bb.0:
	s_load_dwordx16 s[36:51], s[4:5], 0x40
	s_load_dwordx4 s[0:3], s[4:5], 0x0
	s_load_dword s10, s[4:5], 0x18
	s_load_dwordx4 s[52:55], s[4:5], 0x20
	s_load_dwordx2 s[34:35], s[4:5], 0x30
	s_waitcnt lgkmcnt(0)
	s_mul_i32 s7, s44, s43
	s_mul_hi_u32 s8, s44, s42
	s_add_i32 s7, s8, s7
	s_mul_i32 s8, s45, s42
	s_add_i32 s7, s7, s8
	s_add_u32 s0, s0, s2
	s_addc_u32 s1, s1, s3
	s_mul_i32 s2, s6, 0xf00
	s_add_u32 s0, s0, s2
	s_mul_i32 s8, s44, s42
	s_addc_u32 s1, s1, 0
	s_add_u32 s2, s8, s6
	s_addc_u32 s3, s7, 0
	s_add_u32 s14, s46, -1
	s_addc_u32 s15, s47, -1
	s_cmp_eq_u64 s[2:3], s[14:15]
	s_cselect_b64 s[44:45], -1, 0
	s_cmp_lg_u64 s[2:3], s[14:15]
	s_mov_b64 s[12:13], -1
	s_cselect_b64 s[8:9], -1, 0
	s_mul_i32 s33, s14, 0xfffff100
	s_and_b64 vcc, exec, s[44:45]
	v_mad_u32_u24 v6, v0, 14, v0
	s_cbranch_vccnz .LBB692_2
; %bb.1:
	global_load_ubyte v1, v0, s[0:1]
	global_load_ubyte v2, v0, s[0:1] offset:256
	global_load_ubyte v3, v0, s[0:1] offset:512
	;; [unrolled: 1-line block ×14, first 2 shown]
	s_ashr_i32 s11, s10, 31
	v_mul_u32_u24_e32 v7, 15, v0
	v_mad_u32_u24 v20, v0, 15, 1
	v_mad_u32_u24 v19, v0, 15, 2
	;; [unrolled: 1-line block ×14, first 2 shown]
	v_mad_i32_i24 v33, v0, -7, v6
	v_pk_mov_b32 v[22:23], s[10:11], s[10:11] op_sel:[0,1]
	s_waitcnt vmcnt(14)
	ds_write_b8 v0, v1
	s_waitcnt vmcnt(13)
	ds_write_b8 v0, v2 offset:256
	s_waitcnt vmcnt(12)
	ds_write_b8 v0, v3 offset:512
	;; [unrolled: 2-line block ×14, first 2 shown]
	s_waitcnt lgkmcnt(0)
	s_barrier
	ds_read_b96 v[2:4], v6
	ds_read_u8 v72, v6 offset:12
	ds_read_u8 v5, v6 offset:13
	;; [unrolled: 1-line block ×3, first 2 shown]
	s_waitcnt lgkmcnt(0)
	v_lshrrev_b32_e32 v90, 8, v2
	v_lshrrev_b32_e32 v88, 16, v2
	;; [unrolled: 1-line block ×9, first 2 shown]
	s_barrier
	ds_write2st64_b64 v33, v[22:23], v[22:23] offset1:4
	ds_write2st64_b64 v33, v[22:23], v[22:23] offset0:8 offset1:12
	ds_write2st64_b64 v33, v[22:23], v[22:23] offset0:16 offset1:20
	;; [unrolled: 1-line block ×6, first 2 shown]
	ds_write_b64 v33, v[22:23] offset:28672
	s_waitcnt lgkmcnt(0)
	s_barrier
	s_load_dwordx2 s[30:31], s[4:5], 0x80
	s_add_i32 s33, s33, s48
	s_cbranch_execz .LBB692_3
	s_branch .LBB692_34
.LBB692_2:
                                        ; implicit-def: $vgpr16
                                        ; implicit-def: $vgpr17
                                        ; implicit-def: $vgpr34
                                        ; implicit-def: $vgpr8
                                        ; implicit-def: $vgpr9
                                        ; implicit-def: $vgpr10
                                        ; implicit-def: $vgpr11
                                        ; implicit-def: $vgpr12
                                        ; implicit-def: $vgpr13
                                        ; implicit-def: $vgpr14
                                        ; implicit-def: $vgpr15
                                        ; implicit-def: $vgpr18
                                        ; implicit-def: $vgpr19
                                        ; implicit-def: $vgpr20
                                        ; implicit-def: $vgpr7
                                        ; implicit-def: $vgpr2
                                        ; implicit-def: $vgpr90
                                        ; implicit-def: $vgpr88
                                        ; implicit-def: $vgpr87
                                        ; implicit-def: $vgpr85
                                        ; implicit-def: $vgpr83
                                        ; implicit-def: $vgpr81
                                        ; implicit-def: $vgpr79
                                        ; implicit-def: $vgpr78
                                        ; implicit-def: $vgpr76
                                        ; implicit-def: $vgpr72
                                        ; implicit-def: $vgpr5
                                        ; implicit-def: $vgpr1
	s_load_dwordx2 s[30:31], s[4:5], 0x80
	s_andn2_b64 vcc, exec, s[12:13]
	s_add_i32 s33, s33, s48
	s_cbranch_vccnz .LBB692_34
.LBB692_3:
	v_cmp_gt_u32_e32 vcc, s33, v0
                                        ; implicit-def: $vgpr1
	s_and_saveexec_b64 s[4:5], vcc
	s_cbranch_execz .LBB692_5
; %bb.4:
	global_load_ubyte v1, v0, s[0:1]
.LBB692_5:
	s_or_b64 exec, exec, s[4:5]
	v_or_b32_e32 v2, 0x100, v0
	v_cmp_gt_u32_e32 vcc, s33, v2
                                        ; implicit-def: $vgpr2
	s_and_saveexec_b64 s[4:5], vcc
	s_cbranch_execz .LBB692_7
; %bb.6:
	global_load_ubyte v2, v0, s[0:1] offset:256
.LBB692_7:
	s_or_b64 exec, exec, s[4:5]
	v_or_b32_e32 v3, 0x200, v0
	v_cmp_gt_u32_e32 vcc, s33, v3
                                        ; implicit-def: $vgpr3
	s_and_saveexec_b64 s[4:5], vcc
	s_cbranch_execz .LBB692_9
; %bb.8:
	global_load_ubyte v3, v0, s[0:1] offset:512
.LBB692_9:
	s_or_b64 exec, exec, s[4:5]
	v_or_b32_e32 v4, 0x300, v0
	v_cmp_gt_u32_e32 vcc, s33, v4
                                        ; implicit-def: $vgpr4
	s_and_saveexec_b64 s[4:5], vcc
	s_cbranch_execz .LBB692_11
; %bb.10:
	global_load_ubyte v4, v0, s[0:1] offset:768
.LBB692_11:
	s_or_b64 exec, exec, s[4:5]
	v_or_b32_e32 v5, 0x400, v0
	v_cmp_gt_u32_e32 vcc, s33, v5
                                        ; implicit-def: $vgpr5
	s_and_saveexec_b64 s[4:5], vcc
	s_cbranch_execz .LBB692_13
; %bb.12:
	global_load_ubyte v5, v0, s[0:1] offset:1024
.LBB692_13:
	s_or_b64 exec, exec, s[4:5]
	v_or_b32_e32 v7, 0x500, v0
	v_cmp_gt_u32_e32 vcc, s33, v7
                                        ; implicit-def: $vgpr7
	s_and_saveexec_b64 s[4:5], vcc
	s_cbranch_execz .LBB692_15
; %bb.14:
	global_load_ubyte v7, v0, s[0:1] offset:1280
.LBB692_15:
	s_or_b64 exec, exec, s[4:5]
	v_or_b32_e32 v8, 0x600, v0
	v_cmp_gt_u32_e32 vcc, s33, v8
                                        ; implicit-def: $vgpr8
	s_and_saveexec_b64 s[4:5], vcc
	s_cbranch_execz .LBB692_17
; %bb.16:
	global_load_ubyte v8, v0, s[0:1] offset:1536
.LBB692_17:
	s_or_b64 exec, exec, s[4:5]
	v_or_b32_e32 v9, 0x700, v0
	v_cmp_gt_u32_e32 vcc, s33, v9
                                        ; implicit-def: $vgpr9
	s_and_saveexec_b64 s[4:5], vcc
	s_cbranch_execz .LBB692_19
; %bb.18:
	global_load_ubyte v9, v0, s[0:1] offset:1792
.LBB692_19:
	s_or_b64 exec, exec, s[4:5]
	v_or_b32_e32 v10, 0x800, v0
	v_cmp_gt_u32_e32 vcc, s33, v10
                                        ; implicit-def: $vgpr10
	s_and_saveexec_b64 s[4:5], vcc
	s_cbranch_execz .LBB692_21
; %bb.20:
	global_load_ubyte v10, v0, s[0:1] offset:2048
.LBB692_21:
	s_or_b64 exec, exec, s[4:5]
	v_or_b32_e32 v11, 0x900, v0
	v_cmp_gt_u32_e32 vcc, s33, v11
                                        ; implicit-def: $vgpr11
	s_and_saveexec_b64 s[4:5], vcc
	s_cbranch_execz .LBB692_23
; %bb.22:
	global_load_ubyte v11, v0, s[0:1] offset:2304
.LBB692_23:
	s_or_b64 exec, exec, s[4:5]
	v_or_b32_e32 v12, 0xa00, v0
	v_cmp_gt_u32_e32 vcc, s33, v12
                                        ; implicit-def: $vgpr12
	s_and_saveexec_b64 s[4:5], vcc
	s_cbranch_execz .LBB692_25
; %bb.24:
	global_load_ubyte v12, v0, s[0:1] offset:2560
.LBB692_25:
	s_or_b64 exec, exec, s[4:5]
	v_or_b32_e32 v13, 0xb00, v0
	v_cmp_gt_u32_e32 vcc, s33, v13
                                        ; implicit-def: $vgpr13
	s_and_saveexec_b64 s[4:5], vcc
	s_cbranch_execz .LBB692_27
; %bb.26:
	global_load_ubyte v13, v0, s[0:1] offset:2816
.LBB692_27:
	s_or_b64 exec, exec, s[4:5]
	v_or_b32_e32 v14, 0xc00, v0
	v_cmp_gt_u32_e32 vcc, s33, v14
                                        ; implicit-def: $vgpr14
	s_and_saveexec_b64 s[4:5], vcc
	s_cbranch_execz .LBB692_29
; %bb.28:
	global_load_ubyte v14, v0, s[0:1] offset:3072
.LBB692_29:
	s_or_b64 exec, exec, s[4:5]
	v_or_b32_e32 v15, 0xd00, v0
	v_cmp_gt_u32_e32 vcc, s33, v15
                                        ; implicit-def: $vgpr15
	s_and_saveexec_b64 s[4:5], vcc
	s_cbranch_execz .LBB692_31
; %bb.30:
	global_load_ubyte v15, v0, s[0:1] offset:3328
.LBB692_31:
	s_or_b64 exec, exec, s[4:5]
	v_or_b32_e32 v16, 0xe00, v0
	v_cmp_gt_u32_e32 vcc, s33, v16
                                        ; implicit-def: $vgpr16
	s_and_saveexec_b64 s[4:5], vcc
	s_cbranch_execz .LBB692_33
; %bb.32:
	global_load_ubyte v16, v0, s[0:1] offset:3584
.LBB692_33:
	s_or_b64 exec, exec, s[4:5]
	s_waitcnt vmcnt(0)
	ds_write_b8 v0, v1
	ds_write_b8 v0, v2 offset:256
	ds_write_b8 v0, v3 offset:512
	;; [unrolled: 1-line block ×14, first 2 shown]
	s_waitcnt lgkmcnt(0)
	s_barrier
	ds_read_b96 v[2:4], v6
	ds_read_u8 v72, v6 offset:12
	ds_read_u8 v5, v6 offset:13
	;; [unrolled: 1-line block ×3, first 2 shown]
	s_ashr_i32 s11, s10, 31
	v_mul_u32_u24_e32 v7, 15, v0
	v_mad_u32_u24 v20, v0, 15, 1
	s_waitcnt lgkmcnt(3)
	v_lshrrev_b32_e32 v90, 8, v2
	v_lshrrev_b32_e32 v88, 16, v2
	;; [unrolled: 1-line block ×9, first 2 shown]
	v_mad_u32_u24 v19, v0, 15, 2
	v_mad_u32_u24 v18, v0, 15, 3
	;; [unrolled: 1-line block ×13, first 2 shown]
	v_mad_i32_i24 v6, v0, -7, v6
	v_pk_mov_b32 v[22:23], s[10:11], s[10:11] op_sel:[0,1]
	s_waitcnt lgkmcnt(0)
	s_barrier
	ds_write2st64_b64 v6, v[22:23], v[22:23] offset1:4
	ds_write2st64_b64 v6, v[22:23], v[22:23] offset0:8 offset1:12
	ds_write2st64_b64 v6, v[22:23], v[22:23] offset0:16 offset1:20
	ds_write2st64_b64 v6, v[22:23], v[22:23] offset0:24 offset1:28
	ds_write2st64_b64 v6, v[22:23], v[22:23] offset0:32 offset1:36
	ds_write2st64_b64 v6, v[22:23], v[22:23] offset0:40 offset1:44
	ds_write2st64_b64 v6, v[22:23], v[22:23] offset0:48 offset1:52
	ds_write_b64 v6, v[22:23] offset:28672
	s_waitcnt lgkmcnt(0)
	s_barrier
.LBB692_34:
	v_lshlrev_b32_e32 v6, 3, v7
	s_waitcnt lgkmcnt(0)
	v_lshlrev_b32_e32 v7, 3, v20
	v_lshlrev_b32_e32 v19, 3, v19
	v_lshlrev_b32_e32 v18, 3, v18
	ds_read_b64 v[32:33], v6
	ds_read_b64 v[30:31], v7
	ds_read_b64 v[28:29], v19
	ds_read_b64 v[24:25], v18
	v_lshlrev_b32_e32 v6, 3, v15
	v_lshlrev_b32_e32 v7, 3, v14
	v_lshlrev_b32_e32 v13, 3, v13
	v_lshlrev_b32_e32 v12, 3, v12
	ds_read_b64 v[26:27], v6
	ds_read_b64 v[22:23], v7
	ds_read_b64 v[20:21], v13
	ds_read_b64 v[14:15], v12
	v_lshlrev_b32_e32 v6, 3, v11
	;; [unrolled: 8-line block ×3, first 2 shown]
	v_lshlrev_b32_e32 v17, 3, v17
	v_lshlrev_b32_e32 v34, 3, v16
	ds_read_b64 v[6:7], v6
	ds_read_b64 v[16:17], v17
	ds_read_b64 v[34:35], v34
	s_cmp_eq_u64 s[2:3], 0
	s_cselect_b64 s[46:47], -1, 0
	s_cmp_lg_u64 s[2:3], 0
	s_mov_b64 s[4:5], 0
	s_cselect_b64 s[10:11], -1, 0
	s_and_b64 vcc, exec, s[8:9]
	s_waitcnt lgkmcnt(0)
	s_barrier
	s_cbranch_vccz .LBB692_40
; %bb.35:
	s_and_b64 vcc, exec, s[10:11]
	s_cbranch_vccz .LBB692_41
; %bb.36:
	v_mov_b32_e32 v36, 0
	global_load_ubyte v36, v36, s[0:1] offset:-1
	v_cmp_ne_u16_sdwa s[4:5], v5, v1 src0_sel:BYTE_0 src1_sel:BYTE_0
	v_cmp_ne_u16_sdwa s[8:9], v72, v5 src0_sel:BYTE_0 src1_sel:BYTE_0
	;; [unrolled: 1-line block ×14, first 2 shown]
	v_cmp_ne_u32_e32 vcc, 0, v0
	ds_write_b8 v0, v1
	s_waitcnt lgkmcnt(0)
	s_barrier
	s_and_saveexec_b64 s[62:63], vcc
	s_cbranch_execz .LBB692_38
; %bb.37:
	s_waitcnt vmcnt(0)
	v_add_u32_e32 v36, -1, v0
	ds_read_u8 v36, v36
.LBB692_38:
	s_or_b64 exec, exec, s[62:63]
	s_waitcnt vmcnt(0) lgkmcnt(0)
	v_and_b32_e32 v36, 0xff, v36
	v_cndmask_b32_e64 v73, 0, 1, s[4:5]
	v_cndmask_b32_e64 v74, 0, 1, s[8:9]
	;; [unrolled: 1-line block ×14, first 2 shown]
	v_cmp_ne_u16_sdwa s[8:9], v36, v2 src0_sel:DWORD src1_sel:BYTE_0
	s_mov_b64 s[4:5], -1
.LBB692_39:
                                        ; implicit-def: $sgpr7
	s_branch .LBB692_53
.LBB692_40:
                                        ; implicit-def: $sgpr8_sgpr9
                                        ; implicit-def: $vgpr73
                                        ; implicit-def: $vgpr74
                                        ; implicit-def: $vgpr75
                                        ; implicit-def: $vgpr77
                                        ; implicit-def: $vgpr80
                                        ; implicit-def: $vgpr82
                                        ; implicit-def: $vgpr84
                                        ; implicit-def: $vgpr86
                                        ; implicit-def: $vgpr89
                                        ; implicit-def: $vgpr91
                                        ; implicit-def: $vgpr92
                                        ; implicit-def: $vgpr93
                                        ; implicit-def: $vgpr94
                                        ; implicit-def: $vgpr95
                                        ; implicit-def: $sgpr7
	s_cbranch_execnz .LBB692_45
	s_branch .LBB692_53
.LBB692_41:
                                        ; implicit-def: $sgpr8_sgpr9
                                        ; implicit-def: $vgpr73
                                        ; implicit-def: $vgpr74
                                        ; implicit-def: $vgpr75
                                        ; implicit-def: $vgpr77
                                        ; implicit-def: $vgpr80
                                        ; implicit-def: $vgpr82
                                        ; implicit-def: $vgpr84
                                        ; implicit-def: $vgpr86
                                        ; implicit-def: $vgpr89
                                        ; implicit-def: $vgpr91
                                        ; implicit-def: $vgpr92
                                        ; implicit-def: $vgpr93
                                        ; implicit-def: $vgpr94
                                        ; implicit-def: $vgpr95
	s_cbranch_execz .LBB692_39
; %bb.42:
	v_cmp_ne_u16_sdwa s[8:9], v5, v1 src0_sel:BYTE_0 src1_sel:BYTE_0
	v_cndmask_b32_e64 v73, 0, 1, s[8:9]
	v_cmp_ne_u16_sdwa s[8:9], v72, v5 src0_sel:BYTE_0 src1_sel:BYTE_0
	v_cndmask_b32_e64 v74, 0, 1, s[8:9]
	v_cmp_ne_u16_sdwa s[8:9], v76, v72 src0_sel:BYTE_0 src1_sel:BYTE_0
	v_cndmask_b32_e64 v75, 0, 1, s[8:9]
	v_cmp_ne_u16_sdwa s[8:9], v78, v76 src0_sel:BYTE_0 src1_sel:BYTE_0
	v_cndmask_b32_e64 v77, 0, 1, s[8:9]
	v_cmp_ne_u16_sdwa s[8:9], v79, v78 src0_sel:BYTE_0 src1_sel:BYTE_0
	v_cndmask_b32_e64 v80, 0, 1, s[8:9]
	v_cmp_ne_u16_sdwa s[8:9], v4, v79 src0_sel:BYTE_0 src1_sel:BYTE_0
	v_cndmask_b32_e64 v82, 0, 1, s[8:9]
	v_cmp_ne_u16_sdwa s[8:9], v81, v4 src0_sel:BYTE_0 src1_sel:BYTE_0
	v_cndmask_b32_e64 v84, 0, 1, s[8:9]
	v_cmp_ne_u16_sdwa s[8:9], v83, v81 src0_sel:BYTE_0 src1_sel:BYTE_0
	v_cndmask_b32_e64 v86, 0, 1, s[8:9]
	v_cmp_ne_u16_sdwa s[8:9], v85, v83 src0_sel:BYTE_0 src1_sel:BYTE_0
	v_cndmask_b32_e64 v89, 0, 1, s[8:9]
	v_cmp_ne_u16_sdwa s[8:9], v3, v85 src0_sel:BYTE_0 src1_sel:BYTE_0
	v_cndmask_b32_e64 v91, 0, 1, s[8:9]
	v_cmp_ne_u16_sdwa s[8:9], v87, v3 src0_sel:BYTE_0 src1_sel:BYTE_0
	v_cndmask_b32_e64 v92, 0, 1, s[8:9]
	v_cmp_ne_u16_sdwa s[8:9], v88, v87 src0_sel:BYTE_0 src1_sel:BYTE_0
	v_cndmask_b32_e64 v93, 0, 1, s[8:9]
	v_cmp_ne_u16_sdwa s[8:9], v90, v88 src0_sel:BYTE_0 src1_sel:BYTE_0
	v_cndmask_b32_e64 v94, 0, 1, s[8:9]
	v_cmp_ne_u16_sdwa s[8:9], v2, v90 src0_sel:BYTE_0 src1_sel:BYTE_0
	v_cndmask_b32_e64 v95, 0, 1, s[8:9]
	v_cmp_ne_u32_e32 vcc, 0, v0
	ds_write_b8 v0, v1
	s_waitcnt lgkmcnt(0)
	s_barrier
	s_waitcnt lgkmcnt(0)
                                        ; implicit-def: $sgpr8_sgpr9
	s_and_saveexec_b64 s[12:13], vcc
	s_xor_b64 s[12:13], exec, s[12:13]
	s_cbranch_execz .LBB692_44
; %bb.43:
	v_add_u32_e32 v36, -1, v0
	ds_read_u8 v36, v36
	s_or_b64 s[4:5], s[4:5], exec
	s_waitcnt lgkmcnt(0)
	v_cmp_ne_u16_sdwa s[8:9], v36, v2 src0_sel:DWORD src1_sel:BYTE_0
	s_and_b64 s[8:9], s[8:9], exec
.LBB692_44:
	s_or_b64 exec, exec, s[12:13]
	s_mov_b32 s7, 1
	s_branch .LBB692_53
.LBB692_45:
	s_mul_hi_u32 s7, s2, 0xfffff100
	s_mulk_i32 s3, 0xf100
	s_sub_i32 s7, s7, s2
	s_add_i32 s7, s7, s3
	s_mulk_i32 s2, 0xf100
	s_add_u32 s2, s2, s48
	s_addc_u32 s3, s7, s49
	s_and_b64 vcc, exec, s[10:11]
	s_cbranch_vccz .LBB692_50
; %bb.46:
	v_mov_b32_e32 v37, 0
	global_load_ubyte v40, v37, s[0:1] offset:-1
	v_mad_u32_u24 v36, v0, 15, 14
	v_cmp_gt_u64_e32 vcc, s[2:3], v[36:37]
	v_cmp_ne_u16_sdwa s[0:1], v5, v1 src0_sel:BYTE_0 src1_sel:BYTE_0
	v_mad_u32_u24 v36, v0, 15, 13
	s_and_b64 s[0:1], vcc, s[0:1]
	v_cmp_gt_u64_e32 vcc, s[2:3], v[36:37]
	v_cmp_ne_u16_sdwa s[4:5], v72, v5 src0_sel:BYTE_0 src1_sel:BYTE_0
	v_mad_u32_u24 v36, v0, 15, 12
	s_and_b64 s[4:5], vcc, s[4:5]
	;; [unrolled: 4-line block ×13, first 2 shown]
	v_cmp_gt_u64_e32 vcc, s[2:3], v[36:37]
	v_cmp_ne_u16_sdwa s[48:49], v2, v90 src0_sel:BYTE_0 src1_sel:BYTE_0
	v_mul_u32_u24_e32 v38, 15, v0
	s_and_b64 s[48:49], vcc, s[48:49]
	v_cmp_ne_u32_e32 vcc, 0, v0
	ds_write_b8 v0, v1
	s_waitcnt lgkmcnt(0)
	s_barrier
	s_and_saveexec_b64 s[56:57], vcc
	s_cbranch_execz .LBB692_48
; %bb.47:
	v_add_u32_e32 v36, -1, v0
	s_waitcnt vmcnt(0)
	ds_read_u8 v40, v36
.LBB692_48:
	s_or_b64 exec, exec, s[56:57]
	v_mov_b32_e32 v39, v37
	s_waitcnt vmcnt(0) lgkmcnt(0)
	v_and_b32_e32 v36, 0xff, v40
	v_cndmask_b32_e64 v73, 0, 1, s[0:1]
	v_cmp_gt_u64_e32 vcc, s[2:3], v[38:39]
	v_cmp_ne_u16_sdwa s[0:1], v36, v2 src0_sel:DWORD src1_sel:BYTE_0
	v_cndmask_b32_e64 v74, 0, 1, s[4:5]
	v_cndmask_b32_e64 v75, 0, 1, s[8:9]
	;; [unrolled: 1-line block ×13, first 2 shown]
	s_and_b64 s[8:9], vcc, s[0:1]
	s_mov_b64 s[4:5], -1
.LBB692_49:
                                        ; implicit-def: $sgpr7
	v_mov_b32_e32 v96, s7
	s_and_saveexec_b64 s[0:1], s[4:5]
	s_cbranch_execnz .LBB692_54
	s_branch .LBB692_55
.LBB692_50:
                                        ; implicit-def: $sgpr8_sgpr9
                                        ; implicit-def: $vgpr73
                                        ; implicit-def: $vgpr74
                                        ; implicit-def: $vgpr75
                                        ; implicit-def: $vgpr77
                                        ; implicit-def: $vgpr80
                                        ; implicit-def: $vgpr82
                                        ; implicit-def: $vgpr84
                                        ; implicit-def: $vgpr86
                                        ; implicit-def: $vgpr89
                                        ; implicit-def: $vgpr91
                                        ; implicit-def: $vgpr92
                                        ; implicit-def: $vgpr93
                                        ; implicit-def: $vgpr94
                                        ; implicit-def: $vgpr95
	s_cbranch_execz .LBB692_49
; %bb.51:
	v_mad_u32_u24 v36, v0, 15, 14
	v_mov_b32_e32 v37, 0
	v_cmp_gt_u64_e32 vcc, s[2:3], v[36:37]
	v_cmp_ne_u16_sdwa s[0:1], v5, v1 src0_sel:BYTE_0 src1_sel:BYTE_0
	s_and_b64 s[0:1], vcc, s[0:1]
	v_mad_u32_u24 v36, v0, 15, 13
	v_cndmask_b32_e64 v73, 0, 1, s[0:1]
	v_cmp_gt_u64_e32 vcc, s[2:3], v[36:37]
	v_cmp_ne_u16_sdwa s[0:1], v72, v5 src0_sel:BYTE_0 src1_sel:BYTE_0
	s_and_b64 s[0:1], vcc, s[0:1]
	v_mad_u32_u24 v36, v0, 15, 12
	v_cndmask_b32_e64 v74, 0, 1, s[0:1]
	;; [unrolled: 5-line block ×13, first 2 shown]
	v_cmp_gt_u64_e32 vcc, s[2:3], v[36:37]
	v_cmp_ne_u16_sdwa s[0:1], v2, v90 src0_sel:BYTE_0 src1_sel:BYTE_0
	s_and_b64 s[0:1], vcc, s[0:1]
	s_mov_b32 s7, 1
	v_cndmask_b32_e64 v95, 0, 1, s[0:1]
	v_cmp_ne_u32_e32 vcc, 0, v0
	ds_write_b8 v0, v1
	s_waitcnt lgkmcnt(0)
	s_barrier
	s_waitcnt lgkmcnt(0)
                                        ; implicit-def: $sgpr8_sgpr9
	s_and_saveexec_b64 s[0:1], vcc
	s_cbranch_execz .LBB692_205
; %bb.52:
	v_add_u32_e32 v36, -1, v0
	ds_read_u8 v38, v36
	v_mul_u32_u24_e32 v36, 15, v0
	v_cmp_gt_u64_e32 vcc, s[2:3], v[36:37]
	s_or_b64 s[4:5], s[4:5], exec
	s_waitcnt lgkmcnt(0)
	v_and_b32_e32 v36, 0xff, v38
	v_cmp_ne_u16_sdwa s[2:3], v36, v2 src0_sel:DWORD src1_sel:BYTE_0
	s_and_b64 s[2:3], vcc, s[2:3]
	s_and_b64 s[8:9], s[2:3], exec
	s_or_b64 exec, exec, s[0:1]
.LBB692_53:
	v_mov_b32_e32 v96, s7
	s_and_saveexec_b64 s[0:1], s[4:5]
.LBB692_54:
	v_cndmask_b32_e64 v96, 0, 1, s[8:9]
.LBB692_55:
	s_or_b64 exec, exec, s[0:1]
	s_cmp_eq_u64 s[42:43], 0
	v_add3_u32 v36, v95, v96, v94
	s_cselect_b64 s[42:43], -1, 0
	s_cmp_lg_u32 s6, 0
	v_cmp_eq_u32_e64 s[24:25], 0, v95
	v_cmp_eq_u32_e64 s[22:23], 0, v94
	;; [unrolled: 1-line block ×3, first 2 shown]
	v_add3_u32 v99, v36, v93, v92
	v_cmp_eq_u32_e64 s[18:19], 0, v92
	v_cmp_eq_u32_e64 s[16:17], 0, v91
	;; [unrolled: 1-line block ×10, first 2 shown]
	v_cmp_eq_u32_e32 vcc, 0, v73
	v_mbcnt_lo_u32_b32 v98, -1, 0
	s_cbranch_scc0 .LBB692_126
; %bb.56:
	v_cndmask_b32_e64 v37, 0, v32, s[24:25]
	v_cndmask_b32_e64 v36, 0, v33, s[24:25]
	v_add_co_u32_e64 v37, s[26:27], v37, v30
	v_addc_co_u32_e64 v36, s[26:27], v36, v31, s[26:27]
	v_cndmask_b32_e64 v37, 0, v37, s[22:23]
	v_cndmask_b32_e64 v36, 0, v36, s[22:23]
	v_add_co_u32_e64 v37, s[26:27], v37, v28
	v_addc_co_u32_e64 v36, s[26:27], v36, v29, s[26:27]
	v_cndmask_b32_e64 v37, 0, v37, s[20:21]
	v_cndmask_b32_e64 v36, 0, v36, s[20:21]
	v_add_co_u32_e64 v37, s[26:27], v37, v24
	v_addc_co_u32_e64 v36, s[26:27], v36, v25, s[26:27]
	v_cndmask_b32_e64 v37, 0, v37, s[18:19]
	v_cndmask_b32_e64 v36, 0, v36, s[18:19]
	v_add_co_u32_e64 v37, s[26:27], v37, v26
	v_addc_co_u32_e64 v36, s[26:27], v36, v27, s[26:27]
	v_cndmask_b32_e64 v37, 0, v37, s[16:17]
	v_cndmask_b32_e64 v36, 0, v36, s[16:17]
	v_add_co_u32_e64 v37, s[26:27], v37, v22
	v_addc_co_u32_e64 v36, s[26:27], v36, v23, s[26:27]
	v_cndmask_b32_e64 v37, 0, v37, s[14:15]
	v_cndmask_b32_e64 v36, 0, v36, s[14:15]
	v_add_co_u32_e64 v37, s[26:27], v37, v20
	v_addc_co_u32_e64 v36, s[26:27], v36, v21, s[26:27]
	v_cndmask_b32_e64 v37, 0, v37, s[12:13]
	v_cndmask_b32_e64 v36, 0, v36, s[12:13]
	v_add_co_u32_e64 v37, s[26:27], v37, v14
	v_addc_co_u32_e64 v36, s[26:27], v36, v15, s[26:27]
	v_cndmask_b32_e64 v37, 0, v37, s[10:11]
	v_cndmask_b32_e64 v36, 0, v36, s[10:11]
	v_add_co_u32_e64 v37, s[26:27], v37, v18
	v_addc_co_u32_e64 v36, s[26:27], v36, v19, s[26:27]
	v_cndmask_b32_e64 v37, 0, v37, s[8:9]
	v_cndmask_b32_e64 v36, 0, v36, s[8:9]
	v_add_co_u32_e64 v37, s[26:27], v37, v12
	v_addc_co_u32_e64 v36, s[26:27], v36, v13, s[26:27]
	v_cndmask_b32_e64 v37, 0, v37, s[28:29]
	v_cndmask_b32_e64 v36, 0, v36, s[28:29]
	v_add_co_u32_e64 v37, s[26:27], v37, v10
	v_addc_co_u32_e64 v36, s[26:27], v36, v11, s[26:27]
	v_cndmask_b32_e64 v37, 0, v37, s[4:5]
	v_cndmask_b32_e64 v36, 0, v36, s[4:5]
	v_add_co_u32_e64 v37, s[26:27], v37, v8
	v_addc_co_u32_e64 v36, s[26:27], v36, v9, s[26:27]
	v_cndmask_b32_e64 v37, 0, v37, s[2:3]
	v_add3_u32 v38, v99, v91, v89
	v_cndmask_b32_e64 v36, 0, v36, s[2:3]
	v_add_co_u32_e64 v37, s[26:27], v37, v6
	v_add3_u32 v38, v38, v86, v84
	v_addc_co_u32_e64 v36, s[26:27], v36, v7, s[26:27]
	v_cndmask_b32_e64 v37, 0, v37, s[0:1]
	v_add3_u32 v38, v38, v82, v80
	v_cndmask_b32_e64 v36, 0, v36, s[0:1]
	v_add_co_u32_e64 v37, s[26:27], v37, v16
	v_add3_u32 v38, v38, v77, v75
	v_addc_co_u32_e64 v36, s[26:27], v36, v17, s[26:27]
	v_cndmask_b32_e32 v37, 0, v37, vcc
	v_add3_u32 v40, v38, v74, v73
	v_cndmask_b32_e32 v36, 0, v36, vcc
	v_add_co_u32_e32 v38, vcc, v37, v34
	v_mbcnt_hi_u32_b32 v41, -1, v98
	v_addc_co_u32_e32 v39, vcc, v36, v35, vcc
	v_and_b32_e32 v36, 15, v41
	v_mov_b32_dpp v42, v40 row_shr:1 row_mask:0xf bank_mask:0xf
	v_mov_b32_dpp v37, v38 row_shr:1 row_mask:0xf bank_mask:0xf
	;; [unrolled: 1-line block ×3, first 2 shown]
	v_cmp_ne_u32_e32 vcc, 0, v36
	s_and_saveexec_b64 s[26:27], vcc
; %bb.57:
	v_cmp_eq_u32_e32 vcc, 0, v40
	v_cndmask_b32_e32 v37, 0, v37, vcc
	v_add_u32_e32 v42, v42, v40
	v_cndmask_b32_e32 v40, 0, v43, vcc
	v_add_co_u32_e32 v38, vcc, v37, v38
	v_addc_co_u32_e32 v39, vcc, v40, v39, vcc
	v_mov_b32_e32 v40, v42
; %bb.58:
	s_or_b64 exec, exec, s[26:27]
	s_nop 0
	v_mov_b32_dpp v42, v40 row_shr:2 row_mask:0xf bank_mask:0xf
	v_mov_b32_dpp v37, v38 row_shr:2 row_mask:0xf bank_mask:0xf
	v_mov_b32_dpp v43, v39 row_shr:2 row_mask:0xf bank_mask:0xf
	v_cmp_lt_u32_e32 vcc, 1, v36
	s_and_saveexec_b64 s[26:27], vcc
; %bb.59:
	v_cmp_eq_u32_e32 vcc, 0, v40
	v_cndmask_b32_e32 v37, 0, v37, vcc
	v_add_u32_e32 v42, v42, v40
	v_cndmask_b32_e32 v40, 0, v43, vcc
	v_add_co_u32_e32 v38, vcc, v37, v38
	v_addc_co_u32_e32 v39, vcc, v40, v39, vcc
	v_mov_b32_e32 v40, v42
; %bb.60:
	s_or_b64 exec, exec, s[26:27]
	s_nop 0
	v_mov_b32_dpp v42, v40 row_shr:4 row_mask:0xf bank_mask:0xf
	v_mov_b32_dpp v37, v38 row_shr:4 row_mask:0xf bank_mask:0xf
	v_mov_b32_dpp v43, v39 row_shr:4 row_mask:0xf bank_mask:0xf
	v_cmp_lt_u32_e32 vcc, 3, v36
	s_and_saveexec_b64 s[26:27], vcc
; %bb.61:
	v_cmp_eq_u32_e32 vcc, 0, v40
	v_cndmask_b32_e32 v37, 0, v37, vcc
	v_add_u32_e32 v42, v42, v40
	v_cndmask_b32_e32 v40, 0, v43, vcc
	v_add_co_u32_e32 v38, vcc, v37, v38
	v_addc_co_u32_e32 v39, vcc, v40, v39, vcc
	v_mov_b32_e32 v40, v42
; %bb.62:
	s_or_b64 exec, exec, s[26:27]
	s_nop 0
	v_mov_b32_dpp v42, v40 row_shr:8 row_mask:0xf bank_mask:0xf
	v_mov_b32_dpp v37, v38 row_shr:8 row_mask:0xf bank_mask:0xf
	v_mov_b32_dpp v43, v39 row_shr:8 row_mask:0xf bank_mask:0xf
	v_cmp_lt_u32_e32 vcc, 7, v36
	s_and_saveexec_b64 s[26:27], vcc
; %bb.63:
	v_cmp_eq_u32_e32 vcc, 0, v40
	v_cndmask_b32_e32 v37, 0, v37, vcc
	v_add_u32_e32 v36, v42, v40
	v_cndmask_b32_e32 v40, 0, v43, vcc
	v_add_co_u32_e32 v38, vcc, v37, v38
	v_addc_co_u32_e32 v39, vcc, v40, v39, vcc
	v_mov_b32_e32 v40, v36
; %bb.64:
	s_or_b64 exec, exec, s[26:27]
	v_and_b32_e32 v43, 16, v41
	v_mov_b32_dpp v37, v40 row_bcast:15 row_mask:0xf bank_mask:0xf
	v_mov_b32_dpp v36, v38 row_bcast:15 row_mask:0xf bank_mask:0xf
	;; [unrolled: 1-line block ×3, first 2 shown]
	v_cmp_ne_u32_e32 vcc, 0, v43
	s_and_saveexec_b64 s[26:27], vcc
; %bb.65:
	v_cmp_eq_u32_e32 vcc, 0, v40
	v_cndmask_b32_e32 v36, 0, v36, vcc
	v_add_u32_e32 v37, v37, v40
	v_cndmask_b32_e32 v40, 0, v42, vcc
	v_add_co_u32_e32 v38, vcc, v36, v38
	v_addc_co_u32_e32 v39, vcc, v40, v39, vcc
	v_mov_b32_e32 v40, v37
; %bb.66:
	s_or_b64 exec, exec, s[26:27]
	s_nop 0
	v_mov_b32_dpp v37, v40 row_bcast:31 row_mask:0xf bank_mask:0xf
	v_mov_b32_dpp v36, v38 row_bcast:31 row_mask:0xf bank_mask:0xf
	;; [unrolled: 1-line block ×3, first 2 shown]
	v_cmp_lt_u32_e32 vcc, 31, v41
	s_and_saveexec_b64 s[26:27], vcc
; %bb.67:
	v_cmp_eq_u32_e32 vcc, 0, v40
	v_cndmask_b32_e32 v36, 0, v36, vcc
	v_add_u32_e32 v37, v37, v40
	v_cndmask_b32_e32 v40, 0, v42, vcc
	v_add_co_u32_e32 v38, vcc, v36, v38
	v_addc_co_u32_e32 v39, vcc, v40, v39, vcc
	v_mov_b32_e32 v40, v37
; %bb.68:
	s_or_b64 exec, exec, s[26:27]
	v_lshrrev_b32_e32 v36, 6, v0
	v_or_b32_e32 v37, 63, v0
	v_cmp_eq_u32_e32 vcc, v37, v0
	v_lshlrev_b32_e32 v42, 4, v36
	s_and_saveexec_b64 s[26:27], vcc
	s_cbranch_execz .LBB692_70
; %bb.69:
	ds_write_b32 v42, v40 offset:544
	ds_write_b64 v42, v[38:39] offset:552
.LBB692_70:
	s_or_b64 exec, exec, s[26:27]
	v_cmp_gt_u32_e32 vcc, 4, v0
	s_waitcnt lgkmcnt(0)
	s_barrier
	s_and_saveexec_b64 s[26:27], vcc
	s_cbranch_execz .LBB692_76
; %bb.71:
	v_lshlrev_b32_e32 v43, 4, v0
	ds_read_b32 v44, v43 offset:544
	ds_read_b64 v[36:37], v43 offset:552
	v_and_b32_e32 v45, 3, v41
	v_cmp_ne_u32_e32 vcc, 0, v45
	s_waitcnt lgkmcnt(1)
	v_mov_b32_dpp v47, v44 row_shr:1 row_mask:0xf bank_mask:0xf
	s_waitcnt lgkmcnt(0)
	v_mov_b32_dpp v46, v36 row_shr:1 row_mask:0xf bank_mask:0xf
	v_mov_b32_dpp v48, v37 row_shr:1 row_mask:0xf bank_mask:0xf
	s_and_saveexec_b64 s[48:49], vcc
; %bb.72:
	v_cmp_eq_u32_e32 vcc, 0, v44
	v_cndmask_b32_e32 v46, 0, v46, vcc
	v_add_u32_e32 v47, v47, v44
	v_cndmask_b32_e32 v44, 0, v48, vcc
	v_add_co_u32_e32 v36, vcc, v46, v36
	v_addc_co_u32_e32 v37, vcc, v44, v37, vcc
	v_mov_b32_e32 v44, v47
; %bb.73:
	s_or_b64 exec, exec, s[48:49]
	s_nop 0
	v_mov_b32_dpp v47, v44 row_shr:2 row_mask:0xf bank_mask:0xf
	v_mov_b32_dpp v46, v36 row_shr:2 row_mask:0xf bank_mask:0xf
	;; [unrolled: 1-line block ×3, first 2 shown]
	v_cmp_lt_u32_e32 vcc, 1, v45
	s_and_saveexec_b64 s[48:49], vcc
; %bb.74:
	v_cmp_eq_u32_e32 vcc, 0, v44
	v_cndmask_b32_e32 v46, 0, v46, vcc
	v_add_u32_e32 v45, v47, v44
	v_cndmask_b32_e32 v44, 0, v48, vcc
	v_add_co_u32_e32 v36, vcc, v46, v36
	v_addc_co_u32_e32 v37, vcc, v44, v37, vcc
	v_mov_b32_e32 v44, v45
; %bb.75:
	s_or_b64 exec, exec, s[48:49]
	ds_write_b32 v43, v44 offset:544
	ds_write_b64 v43, v[36:37] offset:552
.LBB692_76:
	s_or_b64 exec, exec, s[26:27]
	v_cmp_gt_u32_e32 vcc, 64, v0
	v_cmp_lt_u32_e64 s[26:27], 63, v0
	v_pk_mov_b32 v[36:37], 0, 0
	v_mov_b32_e32 v48, 0
	s_waitcnt lgkmcnt(0)
	s_barrier
	s_and_saveexec_b64 s[48:49], s[26:27]
	s_cbranch_execz .LBB692_78
; %bb.77:
	ds_read_b32 v48, v42 offset:528
	ds_read_b64 v[36:37], v42 offset:536
	v_cmp_eq_u32_e64 s[26:27], 0, v40
	s_waitcnt lgkmcnt(1)
	v_add_u32_e32 v42, v48, v40
	s_waitcnt lgkmcnt(0)
	v_cndmask_b32_e64 v43, 0, v36, s[26:27]
	v_cndmask_b32_e64 v40, 0, v37, s[26:27]
	v_add_co_u32_e64 v38, s[26:27], v43, v38
	v_addc_co_u32_e64 v39, s[26:27], v40, v39, s[26:27]
	v_mov_b32_e32 v40, v42
.LBB692_78:
	s_or_b64 exec, exec, s[48:49]
	v_add_u32_e32 v42, -1, v41
	v_and_b32_e32 v43, 64, v41
	v_cmp_lt_i32_e64 s[26:27], v42, v43
	v_cndmask_b32_e64 v42, v42, v41, s[26:27]
	v_lshlrev_b32_e32 v42, 2, v42
	ds_bpermute_b32 v49, v42, v40
	ds_bpermute_b32 v50, v42, v38
	ds_bpermute_b32 v51, v42, v39
	v_cmp_eq_u32_e64 s[26:27], 0, v41
	s_and_saveexec_b64 s[48:49], vcc
	s_cbranch_execz .LBB692_125
; %bb.79:
	v_mov_b32_e32 v43, 0
	ds_read_b32 v52, v43 offset:592
	ds_read_b64 v[38:39], v43 offset:600
	s_and_saveexec_b64 s[56:57], s[26:27]
	s_cbranch_execz .LBB692_81
; %bb.80:
	s_add_i32 s58, s6, 64
	s_mov_b32 s59, 0
	s_lshl_b64 s[60:61], s[58:59], 4
	s_add_u32 s60, s36, s60
	s_addc_u32 s61, s37, s61
	v_mov_b32_e32 v40, s58
	v_mov_b32_e32 v42, 1
	s_waitcnt lgkmcnt(1)
	global_store_dword v43, v52, s[60:61]
	s_waitcnt lgkmcnt(0)
	global_store_dwordx2 v43, v[38:39], s[60:61] offset:8
	s_waitcnt vmcnt(0)
	buffer_wbinvl1_vol
	global_store_byte v40, v42, s[40:41]
.LBB692_81:
	s_or_b64 exec, exec, s[56:57]
	v_xad_u32 v40, v41, -1, s6
	v_add_u32_e32 v42, 64, v40
	global_load_ubyte v53, v42, s[40:41] glc
	s_waitcnt vmcnt(0)
	v_cmp_eq_u16_e32 vcc, 0, v53
	s_and_saveexec_b64 s[56:57], vcc
	s_cbranch_execz .LBB692_87
; %bb.82:
	v_mov_b32_e32 v45, s41
	v_add_co_u32_e32 v44, vcc, s40, v42
	v_addc_co_u32_e32 v45, vcc, 0, v45, vcc
	s_mov_b32 s7, 1
	s_mov_b64 s[58:59], 0
.LBB692_83:                             ; =>This Loop Header: Depth=1
                                        ;     Child Loop BB692_84 Depth 2
	s_max_u32 s60, s7, 1
.LBB692_84:                             ;   Parent Loop BB692_83 Depth=1
                                        ; =>  This Inner Loop Header: Depth=2
	s_add_i32 s60, s60, -1
	s_cmp_eq_u32 s60, 0
	s_sleep 1
	s_cbranch_scc0 .LBB692_84
; %bb.85:                               ;   in Loop: Header=BB692_83 Depth=1
	global_load_ubyte v53, v[44:45], off glc
	s_cmp_lt_u32 s7, 32
	s_cselect_b64 s[60:61], -1, 0
	s_cmp_lg_u64 s[60:61], 0
	s_addc_u32 s7, s7, 0
	s_waitcnt vmcnt(0)
	v_cmp_ne_u16_e32 vcc, 0, v53
	s_or_b64 s[58:59], vcc, s[58:59]
	s_andn2_b64 exec, exec, s[58:59]
	s_cbranch_execnz .LBB692_83
; %bb.86:
	s_or_b64 exec, exec, s[58:59]
.LBB692_87:
	s_or_b64 exec, exec, s[56:57]
	v_mov_b32_e32 v44, s39
	v_mov_b32_e32 v45, s37
	v_cmp_eq_u16_e32 vcc, 1, v53
	v_cndmask_b32_e32 v44, v44, v45, vcc
	v_mov_b32_e32 v45, s38
	v_mov_b32_e32 v46, s36
	v_cndmask_b32_e32 v45, v45, v46, vcc
	v_lshlrev_b64 v[42:43], 4, v[42:43]
	v_add_co_u32_e32 v42, vcc, v45, v42
	v_addc_co_u32_e32 v43, vcc, v44, v43, vcc
	s_waitcnt lgkmcnt(0)
	buffer_wbinvl1_vol
	global_load_dword v68, v[42:43], off
	global_load_dwordx2 v[46:47], v[42:43], off offset:8
	v_cmp_eq_u16_e32 vcc, 2, v53
	v_lshlrev_b64 v[42:43], v41, -1
	v_and_b32_e32 v54, 63, v41
	v_and_b32_e32 v44, vcc_hi, v43
	v_and_b32_e32 v58, vcc_lo, v42
	v_cmp_ne_u32_e32 vcc, 63, v54
	v_addc_co_u32_e32 v45, vcc, 0, v41, vcc
	v_lshlrev_b32_e32 v55, 2, v45
	v_or_b32_e32 v44, 0x80000000, v44
	v_ffbl_b32_e32 v44, v44
	v_add_u32_e32 v44, 32, v44
	v_ffbl_b32_e32 v58, v58
	v_min_u32_e32 v44, v58, v44
	v_cmp_lt_u32_e32 vcc, v54, v44
	s_waitcnt vmcnt(1)
	ds_bpermute_b32 v56, v55, v68
	s_waitcnt vmcnt(0)
	ds_bpermute_b32 v45, v55, v46
	ds_bpermute_b32 v57, v55, v47
	s_and_saveexec_b64 s[56:57], vcc
	s_cbranch_execz .LBB692_89
; %bb.88:
	v_cmp_eq_u32_e32 vcc, 0, v68
	s_waitcnt lgkmcnt(1)
	v_cndmask_b32_e32 v45, 0, v45, vcc
	v_add_u32_e32 v56, v56, v68
	s_waitcnt lgkmcnt(0)
	v_cndmask_b32_e32 v57, 0, v57, vcc
	v_add_co_u32_e32 v46, vcc, v45, v46
	v_addc_co_u32_e32 v47, vcc, v57, v47, vcc
	v_mov_b32_e32 v68, v56
.LBB692_89:
	s_or_b64 exec, exec, s[56:57]
	v_cmp_gt_u32_e32 vcc, 62, v54
	s_waitcnt lgkmcnt(1)
	v_cndmask_b32_e64 v45, 0, 1, vcc
	v_lshlrev_b32_e32 v45, 1, v45
	v_add_lshl_u32 v56, v45, v41, 2
	ds_bpermute_b32 v58, v56, v68
	ds_bpermute_b32 v45, v56, v46
	ds_bpermute_b32 v59, v56, v47
	s_waitcnt lgkmcnt(3)
	v_add_u32_e32 v57, 2, v54
	v_cmp_le_u32_e32 vcc, v57, v44
	s_and_saveexec_b64 s[56:57], vcc
	s_cbranch_execz .LBB692_91
; %bb.90:
	v_cmp_eq_u32_e32 vcc, 0, v68
	s_waitcnt lgkmcnt(1)
	v_cndmask_b32_e32 v45, 0, v45, vcc
	v_add_u32_e32 v58, v58, v68
	s_waitcnt lgkmcnt(0)
	v_cndmask_b32_e32 v59, 0, v59, vcc
	v_add_co_u32_e32 v46, vcc, v45, v46
	v_addc_co_u32_e32 v47, vcc, v59, v47, vcc
	v_mov_b32_e32 v68, v58
.LBB692_91:
	s_or_b64 exec, exec, s[56:57]
	v_cmp_gt_u32_e32 vcc, 60, v54
	s_waitcnt lgkmcnt(1)
	v_cndmask_b32_e64 v45, 0, 1, vcc
	v_lshlrev_b32_e32 v45, 2, v45
	v_add_lshl_u32 v58, v45, v41, 2
	ds_bpermute_b32 v60, v58, v68
	ds_bpermute_b32 v45, v58, v46
	ds_bpermute_b32 v61, v58, v47
	s_waitcnt lgkmcnt(3)
	v_add_u32_e32 v59, 4, v54
	v_cmp_le_u32_e32 vcc, v59, v44
	s_and_saveexec_b64 s[56:57], vcc
	s_cbranch_execz .LBB692_93
; %bb.92:
	v_cmp_eq_u32_e32 vcc, 0, v68
	s_waitcnt lgkmcnt(1)
	v_cndmask_b32_e32 v45, 0, v45, vcc
	v_add_u32_e32 v60, v60, v68
	s_waitcnt lgkmcnt(0)
	v_cndmask_b32_e32 v61, 0, v61, vcc
	v_add_co_u32_e32 v46, vcc, v45, v46
	v_addc_co_u32_e32 v47, vcc, v61, v47, vcc
	v_mov_b32_e32 v68, v60
.LBB692_93:
	s_or_b64 exec, exec, s[56:57]
	v_cmp_gt_u32_e32 vcc, 56, v54
	s_waitcnt lgkmcnt(1)
	v_cndmask_b32_e64 v45, 0, 1, vcc
	v_lshlrev_b32_e32 v45, 3, v45
	v_add_lshl_u32 v60, v45, v41, 2
	ds_bpermute_b32 v62, v60, v68
	ds_bpermute_b32 v45, v60, v46
	ds_bpermute_b32 v63, v60, v47
	s_waitcnt lgkmcnt(3)
	v_add_u32_e32 v61, 8, v54
	v_cmp_le_u32_e32 vcc, v61, v44
	s_and_saveexec_b64 s[56:57], vcc
	s_cbranch_execz .LBB692_95
; %bb.94:
	v_cmp_eq_u32_e32 vcc, 0, v68
	s_waitcnt lgkmcnt(1)
	v_cndmask_b32_e32 v45, 0, v45, vcc
	v_add_u32_e32 v62, v62, v68
	s_waitcnt lgkmcnt(0)
	v_cndmask_b32_e32 v63, 0, v63, vcc
	v_add_co_u32_e32 v46, vcc, v45, v46
	v_addc_co_u32_e32 v47, vcc, v63, v47, vcc
	v_mov_b32_e32 v68, v62
.LBB692_95:
	s_or_b64 exec, exec, s[56:57]
	v_cmp_gt_u32_e32 vcc, 48, v54
	s_waitcnt lgkmcnt(1)
	v_cndmask_b32_e64 v45, 0, 1, vcc
	v_lshlrev_b32_e32 v45, 4, v45
	v_add_lshl_u32 v62, v45, v41, 2
	ds_bpermute_b32 v64, v62, v68
	ds_bpermute_b32 v45, v62, v46
	ds_bpermute_b32 v65, v62, v47
	s_waitcnt lgkmcnt(3)
	v_add_u32_e32 v63, 16, v54
	v_cmp_le_u32_e32 vcc, v63, v44
	s_and_saveexec_b64 s[56:57], vcc
	s_cbranch_execz .LBB692_97
; %bb.96:
	v_cmp_eq_u32_e32 vcc, 0, v68
	s_waitcnt lgkmcnt(1)
	v_cndmask_b32_e32 v45, 0, v45, vcc
	v_add_u32_e32 v64, v64, v68
	s_waitcnt lgkmcnt(0)
	v_cndmask_b32_e32 v65, 0, v65, vcc
	v_add_co_u32_e32 v46, vcc, v45, v46
	v_addc_co_u32_e32 v47, vcc, v65, v47, vcc
	v_mov_b32_e32 v68, v64
.LBB692_97:
	s_or_b64 exec, exec, s[56:57]
	v_cmp_gt_u32_e32 vcc, 32, v54
	s_waitcnt lgkmcnt(1)
	v_cndmask_b32_e64 v45, 0, 1, vcc
	v_lshlrev_b32_e32 v45, 5, v45
	v_add_lshl_u32 v64, v45, v41, 2
	ds_bpermute_b32 v45, v64, v68
	ds_bpermute_b32 v41, v64, v46
	s_waitcnt lgkmcnt(2)
	ds_bpermute_b32 v65, v64, v47
	v_add_u32_e32 v66, 32, v54
	v_cmp_le_u32_e32 vcc, v66, v44
	s_and_saveexec_b64 s[56:57], vcc
	s_cbranch_execz .LBB692_99
; %bb.98:
	v_cmp_eq_u32_e32 vcc, 0, v68
	s_waitcnt lgkmcnt(1)
	v_cndmask_b32_e32 v41, 0, v41, vcc
	v_add_u32_e32 v44, v45, v68
	s_waitcnt lgkmcnt(0)
	v_cndmask_b32_e32 v45, 0, v65, vcc
	v_add_co_u32_e32 v46, vcc, v41, v46
	v_addc_co_u32_e32 v47, vcc, v45, v47, vcc
	v_mov_b32_e32 v68, v44
.LBB692_99:
	s_or_b64 exec, exec, s[56:57]
	s_waitcnt lgkmcnt(1)
	v_mov_b32_e32 v41, 0
	v_mov_b32_e32 v67, 2
	s_branch .LBB692_101
.LBB692_100:                            ;   in Loop: Header=BB692_101 Depth=1
	s_or_b64 exec, exec, s[56:57]
	v_cmp_eq_u32_e32 vcc, 0, v65
	v_cndmask_b32_e32 v46, 0, v46, vcc
	v_cndmask_b32_e32 v47, 0, v47, vcc
	v_add_co_u32_e32 v46, vcc, v46, v44
	v_subrev_u32_e32 v40, 64, v40
	v_add_u32_e32 v68, v69, v65
	v_addc_co_u32_e32 v47, vcc, v47, v45, vcc
.LBB692_101:                            ; =>This Loop Header: Depth=1
                                        ;     Child Loop BB692_104 Depth 2
                                        ;       Child Loop BB692_105 Depth 3
	v_cmp_ne_u16_sdwa s[56:57], v53, v67 src0_sel:BYTE_0 src1_sel:DWORD
	v_pk_mov_b32 v[44:45], v[46:47], v[46:47] op_sel:[0,1]
	v_cndmask_b32_e64 v46, 0, 1, s[56:57]
	;;#ASMSTART
	;;#ASMEND
	v_cmp_ne_u32_e32 vcc, 0, v46
	s_cmp_lg_u64 vcc, exec
	s_waitcnt lgkmcnt(0)
	v_mov_b32_e32 v65, v68
	s_cbranch_scc1 .LBB692_120
; %bb.102:                              ;   in Loop: Header=BB692_101 Depth=1
	global_load_ubyte v53, v40, s[40:41] glc
	s_waitcnt vmcnt(0)
	v_cmp_eq_u16_e32 vcc, 0, v53
	s_and_saveexec_b64 s[56:57], vcc
	s_cbranch_execz .LBB692_108
; %bb.103:                              ;   in Loop: Header=BB692_101 Depth=1
	v_mov_b32_e32 v47, s41
	v_add_co_u32_e32 v46, vcc, s40, v40
	v_addc_co_u32_e32 v47, vcc, 0, v47, vcc
	s_mov_b32 s7, 1
	s_mov_b64 s[58:59], 0
.LBB692_104:                            ;   Parent Loop BB692_101 Depth=1
                                        ; =>  This Loop Header: Depth=2
                                        ;       Child Loop BB692_105 Depth 3
	s_max_u32 s60, s7, 1
.LBB692_105:                            ;   Parent Loop BB692_101 Depth=1
                                        ;     Parent Loop BB692_104 Depth=2
                                        ; =>    This Inner Loop Header: Depth=3
	s_add_i32 s60, s60, -1
	s_cmp_eq_u32 s60, 0
	s_sleep 1
	s_cbranch_scc0 .LBB692_105
; %bb.106:                              ;   in Loop: Header=BB692_104 Depth=2
	global_load_ubyte v53, v[46:47], off glc
	s_cmp_lt_u32 s7, 32
	s_cselect_b64 s[60:61], -1, 0
	s_cmp_lg_u64 s[60:61], 0
	s_addc_u32 s7, s7, 0
	s_waitcnt vmcnt(0)
	v_cmp_ne_u16_e32 vcc, 0, v53
	s_or_b64 s[58:59], vcc, s[58:59]
	s_andn2_b64 exec, exec, s[58:59]
	s_cbranch_execnz .LBB692_104
; %bb.107:                              ;   in Loop: Header=BB692_101 Depth=1
	s_or_b64 exec, exec, s[58:59]
.LBB692_108:                            ;   in Loop: Header=BB692_101 Depth=1
	s_or_b64 exec, exec, s[56:57]
	v_mov_b32_e32 v46, s39
	v_mov_b32_e32 v47, s37
	v_cmp_eq_u16_e32 vcc, 1, v53
	v_cndmask_b32_e32 v68, v46, v47, vcc
	v_mov_b32_e32 v46, s38
	v_mov_b32_e32 v47, s36
	v_cndmask_b32_e32 v69, v46, v47, vcc
	v_lshlrev_b64 v[46:47], 4, v[40:41]
	v_add_co_u32_e32 v46, vcc, v69, v46
	v_addc_co_u32_e32 v47, vcc, v68, v47, vcc
	buffer_wbinvl1_vol
	global_load_dword v69, v[46:47], off
	s_nop 0
	global_load_dwordx2 v[46:47], v[46:47], off offset:8
	v_cmp_eq_u16_e32 vcc, 2, v53
	v_and_b32_e32 v68, vcc_hi, v43
	v_or_b32_e32 v68, 0x80000000, v68
	v_and_b32_e32 v100, vcc_lo, v42
	v_ffbl_b32_e32 v68, v68
	v_add_u32_e32 v68, 32, v68
	v_ffbl_b32_e32 v100, v100
	v_min_u32_e32 v68, v100, v68
	v_cmp_lt_u32_e32 vcc, v54, v68
	s_waitcnt vmcnt(1)
	ds_bpermute_b32 v71, v55, v69
	s_waitcnt vmcnt(0)
	ds_bpermute_b32 v70, v55, v46
	ds_bpermute_b32 v97, v55, v47
	s_and_saveexec_b64 s[56:57], vcc
	s_cbranch_execz .LBB692_110
; %bb.109:                              ;   in Loop: Header=BB692_101 Depth=1
	v_cmp_eq_u32_e32 vcc, 0, v69
	s_waitcnt lgkmcnt(1)
	v_cndmask_b32_e32 v70, 0, v70, vcc
	v_add_u32_e32 v71, v71, v69
	s_waitcnt lgkmcnt(0)
	v_cndmask_b32_e32 v69, 0, v97, vcc
	v_add_co_u32_e32 v46, vcc, v70, v46
	v_addc_co_u32_e32 v47, vcc, v69, v47, vcc
	v_mov_b32_e32 v69, v71
.LBB692_110:                            ;   in Loop: Header=BB692_101 Depth=1
	s_or_b64 exec, exec, s[56:57]
	s_waitcnt lgkmcnt(2)
	ds_bpermute_b32 v71, v56, v69
	s_waitcnt lgkmcnt(2)
	ds_bpermute_b32 v70, v56, v46
	s_waitcnt lgkmcnt(2)
	ds_bpermute_b32 v97, v56, v47
	v_cmp_le_u32_e32 vcc, v57, v68
	s_and_saveexec_b64 s[56:57], vcc
	s_cbranch_execz .LBB692_112
; %bb.111:                              ;   in Loop: Header=BB692_101 Depth=1
	v_cmp_eq_u32_e32 vcc, 0, v69
	s_waitcnt lgkmcnt(1)
	v_cndmask_b32_e32 v70, 0, v70, vcc
	v_add_u32_e32 v71, v71, v69
	s_waitcnt lgkmcnt(0)
	v_cndmask_b32_e32 v69, 0, v97, vcc
	v_add_co_u32_e32 v46, vcc, v70, v46
	v_addc_co_u32_e32 v47, vcc, v69, v47, vcc
	v_mov_b32_e32 v69, v71
.LBB692_112:                            ;   in Loop: Header=BB692_101 Depth=1
	s_or_b64 exec, exec, s[56:57]
	s_waitcnt lgkmcnt(2)
	ds_bpermute_b32 v71, v58, v69
	s_waitcnt lgkmcnt(2)
	ds_bpermute_b32 v70, v58, v46
	s_waitcnt lgkmcnt(2)
	ds_bpermute_b32 v97, v58, v47
	v_cmp_le_u32_e32 vcc, v59, v68
	;; [unrolled: 21-line block ×5, first 2 shown]
	s_and_saveexec_b64 s[56:57], vcc
	s_cbranch_execz .LBB692_100
; %bb.119:                              ;   in Loop: Header=BB692_101 Depth=1
	v_cmp_eq_u32_e32 vcc, 0, v69
	s_waitcnt lgkmcnt(1)
	v_cndmask_b32_e32 v70, 0, v70, vcc
	v_add_u32_e32 v68, v71, v69
	s_waitcnt lgkmcnt(0)
	v_cndmask_b32_e32 v69, 0, v97, vcc
	v_add_co_u32_e32 v46, vcc, v70, v46
	v_addc_co_u32_e32 v47, vcc, v69, v47, vcc
	v_mov_b32_e32 v69, v68
	s_branch .LBB692_100
.LBB692_120:                            ;   in Loop: Header=BB692_101 Depth=1
                                        ; implicit-def: $vgpr46_vgpr47
                                        ; implicit-def: $vgpr68
                                        ; implicit-def: $vgpr53
	s_cbranch_execz .LBB692_101
; %bb.121:
	s_and_saveexec_b64 s[36:37], s[26:27]
	s_cbranch_execz .LBB692_123
; %bb.122:
	s_mov_b32 s7, 0
	v_cmp_eq_u32_e32 vcc, 0, v52
	s_add_i32 s6, s6, 64
	v_cndmask_b32_e32 v40, 0, v44, vcc
	s_lshl_b64 s[56:57], s[6:7], 4
	v_cndmask_b32_e32 v41, 0, v45, vcc
	v_add_co_u32_e32 v40, vcc, v40, v38
	s_add_u32 s56, s38, s56
	v_add_u32_e32 v42, v65, v52
	v_addc_co_u32_e32 v41, vcc, v41, v39, vcc
	s_addc_u32 s57, s39, s57
	v_mov_b32_e32 v43, 0
	global_store_dword v43, v42, s[56:57]
	global_store_dwordx2 v43, v[40:41], s[56:57] offset:8
	v_mov_b32_e32 v40, s6
	v_mov_b32_e32 v41, 2
	s_waitcnt vmcnt(0) lgkmcnt(0)
	buffer_wbinvl1_vol
	global_store_byte v40, v41, s[40:41]
	ds_write_b32 v43, v52 offset:512
	ds_write_b64 v43, v[38:39] offset:520
	ds_write_b32 v43, v65 offset:528
	ds_write_b64 v43, v[44:45] offset:536
.LBB692_123:
	s_or_b64 exec, exec, s[36:37]
	v_cmp_eq_u32_e32 vcc, 0, v0
	s_and_b64 exec, exec, vcc
	s_cbranch_execz .LBB692_125
; %bb.124:
	v_mov_b32_e32 v38, 0
	ds_write_b32 v38, v65 offset:592
	ds_write_b64 v38, v[44:45] offset:600
.LBB692_125:
	s_or_b64 exec, exec, s[48:49]
	v_mov_b32_e32 v41, 0
	s_waitcnt lgkmcnt(0)
	s_barrier
	ds_read_b32 v40, v41 offset:592
	ds_read_b64 v[38:39], v41 offset:600
	v_cndmask_b32_e64 v42, v49, v48, s[26:27]
	v_cmp_eq_u32_e32 vcc, 0, v42
	v_cndmask_b32_e64 v36, v50, v36, s[26:27]
	v_cndmask_b32_e64 v37, v51, v37, s[26:27]
	s_waitcnt lgkmcnt(0)
	v_cndmask_b32_e32 v44, 0, v38, vcc
	v_cndmask_b32_e32 v43, 0, v39, vcc
	v_add_co_u32_e32 v36, vcc, v44, v36
	v_addc_co_u32_e32 v37, vcc, v43, v37, vcc
	v_cmp_eq_u32_e32 vcc, 0, v0
	v_cndmask_b32_e64 v42, v42, 0, vcc
	v_cndmask_b32_e32 v67, v37, v39, vcc
	v_cndmask_b32_e32 v66, v36, v38, vcc
	v_cmp_eq_u32_e32 vcc, 0, v96
	v_cndmask_b32_e32 v37, 0, v66, vcc
	v_add_u32_e32 v97, v40, v42
	v_cndmask_b32_e32 v36, 0, v67, vcc
	v_add_co_u32_e32 v42, vcc, v37, v32
	v_addc_co_u32_e32 v43, vcc, v36, v33, vcc
	v_cndmask_b32_e64 v37, 0, v42, s[24:25]
	v_cndmask_b32_e64 v36, 0, v43, s[24:25]
	v_add_co_u32_e32 v44, vcc, v37, v30
	v_addc_co_u32_e32 v45, vcc, v36, v31, vcc
	v_cndmask_b32_e64 v37, 0, v44, s[22:23]
	v_cndmask_b32_e64 v36, 0, v45, s[22:23]
	;; [unrolled: 4-line block ×11, first 2 shown]
	v_add_co_u32_e32 v64, vcc, v37, v8
	v_addc_co_u32_e32 v65, vcc, v36, v9, vcc
	s_barrier
	ds_read_b32 v36, v41 offset:512
	ds_read_b64 v[38:39], v41 offset:520
	ds_read_b32 v40, v41 offset:528
	ds_read_b64 v[100:101], v41 offset:536
	v_cndmask_b32_e64 v68, 0, v64, s[2:3]
	v_cndmask_b32_e64 v37, 0, v65, s[2:3]
	v_add_co_u32_e32 v68, vcc, v68, v6
	v_addc_co_u32_e32 v69, vcc, v37, v7, vcc
	s_waitcnt lgkmcnt(3)
	v_cmp_eq_u32_e32 vcc, 0, v36
	s_waitcnt lgkmcnt(0)
	v_cndmask_b32_e32 v41, 0, v100, vcc
	v_cndmask_b32_e32 v37, 0, v101, vcc
	v_add_co_u32_e32 v38, vcc, v41, v38
	v_cndmask_b32_e64 v71, 0, v69, s[0:1]
	v_cndmask_b32_e64 v70, 0, v68, s[0:1]
	v_addc_co_u32_e32 v39, vcc, v37, v39, vcc
	s_branch .LBB692_154
.LBB692_126:
                                        ; implicit-def: $vgpr36
                                        ; implicit-def: $vgpr38_vgpr39
                                        ; implicit-def: $vgpr40
                                        ; implicit-def: $vgpr66_vgpr67
                                        ; implicit-def: $vgpr42_vgpr43
                                        ; implicit-def: $vgpr44_vgpr45
                                        ; implicit-def: $vgpr46_vgpr47
                                        ; implicit-def: $vgpr48_vgpr49
                                        ; implicit-def: $vgpr50_vgpr51
                                        ; implicit-def: $vgpr52_vgpr53
                                        ; implicit-def: $vgpr54_vgpr55
                                        ; implicit-def: $vgpr56_vgpr57
                                        ; implicit-def: $vgpr58_vgpr59
                                        ; implicit-def: $vgpr60_vgpr61
                                        ; implicit-def: $vgpr62_vgpr63
                                        ; implicit-def: $vgpr64_vgpr65
                                        ; implicit-def: $vgpr68_vgpr69
                                        ; implicit-def: $vgpr70_vgpr71
                                        ; implicit-def: $vgpr97
	s_cbranch_execz .LBB692_154
; %bb.127:
	s_and_b64 s[0:1], s[42:43], exec
	s_cselect_b32 s1, 0, s31
	s_cselect_b32 s0, 0, s30
	s_cmp_eq_u64 s[0:1], 0
	v_pk_mov_b32 v[40:41], v[32:33], v[32:33] op_sel:[0,1]
	s_cbranch_scc1 .LBB692_129
; %bb.128:
	v_mov_b32_e32 v36, 0
	global_load_dwordx2 v[40:41], v36, s[0:1]
.LBB692_129:
	v_cmp_eq_u32_e64 s[22:23], 0, v95
	v_cndmask_b32_e64 v37, 0, v32, s[22:23]
	v_cndmask_b32_e64 v36, 0, v33, s[22:23]
	v_add_co_u32_e32 v37, vcc, v37, v30
	v_cmp_eq_u32_e64 s[20:21], 0, v94
	v_addc_co_u32_e32 v36, vcc, v36, v31, vcc
	v_cndmask_b32_e64 v37, 0, v37, s[20:21]
	v_cndmask_b32_e64 v36, 0, v36, s[20:21]
	v_add_co_u32_e32 v37, vcc, v37, v28
	v_cmp_eq_u32_e64 s[18:19], 0, v93
	v_addc_co_u32_e32 v36, vcc, v36, v29, vcc
	;; [unrolled: 5-line block ×11, first 2 shown]
	v_cndmask_b32_e64 v37, 0, v37, s[2:3]
	v_cndmask_b32_e64 v36, 0, v36, s[2:3]
	v_add_co_u32_e32 v37, vcc, v37, v6
	v_addc_co_u32_e32 v36, vcc, v36, v7, vcc
	v_cmp_eq_u32_e32 vcc, 0, v74
	v_cndmask_b32_e32 v37, 0, v37, vcc
	v_add3_u32 v38, v99, v91, v89
	v_cndmask_b32_e32 v36, 0, v36, vcc
	v_add_co_u32_e64 v37, s[24:25], v37, v16
	v_add3_u32 v38, v38, v86, v84
	v_addc_co_u32_e64 v36, s[24:25], v36, v17, s[24:25]
	v_add3_u32 v38, v38, v82, v80
	v_cmp_eq_u32_e64 s[24:25], 0, v73
	v_add3_u32 v38, v38, v77, v75
	v_cndmask_b32_e64 v37, 0, v37, s[24:25]
	v_add3_u32 v39, v38, v74, v73
	v_cndmask_b32_e64 v36, 0, v36, s[24:25]
	v_add_co_u32_e64 v34, s[24:25], v37, v34
	v_mbcnt_hi_u32_b32 v38, -1, v98
	v_addc_co_u32_e64 v35, s[24:25], v36, v35, s[24:25]
	v_and_b32_e32 v36, 15, v38
	v_mov_b32_dpp v42, v39 row_shr:1 row_mask:0xf bank_mask:0xf
	v_mov_b32_dpp v37, v34 row_shr:1 row_mask:0xf bank_mask:0xf
	v_mov_b32_dpp v43, v35 row_shr:1 row_mask:0xf bank_mask:0xf
	v_cmp_ne_u32_e64 s[24:25], 0, v36
	s_and_saveexec_b64 s[26:27], s[24:25]
; %bb.130:
	v_cmp_eq_u32_e64 s[24:25], 0, v39
	v_cndmask_b32_e64 v37, 0, v37, s[24:25]
	v_add_u32_e32 v42, v42, v39
	v_cndmask_b32_e64 v39, 0, v43, s[24:25]
	v_add_co_u32_e64 v34, s[24:25], v37, v34
	v_addc_co_u32_e64 v35, s[24:25], v39, v35, s[24:25]
	v_mov_b32_e32 v39, v42
; %bb.131:
	s_or_b64 exec, exec, s[26:27]
	s_nop 0
	v_mov_b32_dpp v42, v39 row_shr:2 row_mask:0xf bank_mask:0xf
	v_mov_b32_dpp v37, v34 row_shr:2 row_mask:0xf bank_mask:0xf
	v_mov_b32_dpp v43, v35 row_shr:2 row_mask:0xf bank_mask:0xf
	v_cmp_lt_u32_e64 s[24:25], 1, v36
	s_and_saveexec_b64 s[26:27], s[24:25]
; %bb.132:
	v_cmp_eq_u32_e64 s[24:25], 0, v39
	v_cndmask_b32_e64 v37, 0, v37, s[24:25]
	v_add_u32_e32 v42, v42, v39
	v_cndmask_b32_e64 v39, 0, v43, s[24:25]
	v_add_co_u32_e64 v34, s[24:25], v37, v34
	v_addc_co_u32_e64 v35, s[24:25], v39, v35, s[24:25]
	v_mov_b32_e32 v39, v42
; %bb.133:
	s_or_b64 exec, exec, s[26:27]
	s_nop 0
	v_mov_b32_dpp v42, v39 row_shr:4 row_mask:0xf bank_mask:0xf
	v_mov_b32_dpp v37, v34 row_shr:4 row_mask:0xf bank_mask:0xf
	v_mov_b32_dpp v43, v35 row_shr:4 row_mask:0xf bank_mask:0xf
	v_cmp_lt_u32_e64 s[24:25], 3, v36
	s_and_saveexec_b64 s[26:27], s[24:25]
; %bb.134:
	v_cmp_eq_u32_e64 s[24:25], 0, v39
	v_cndmask_b32_e64 v37, 0, v37, s[24:25]
	v_add_u32_e32 v42, v42, v39
	v_cndmask_b32_e64 v39, 0, v43, s[24:25]
	v_add_co_u32_e64 v34, s[24:25], v37, v34
	v_addc_co_u32_e64 v35, s[24:25], v39, v35, s[24:25]
	v_mov_b32_e32 v39, v42
; %bb.135:
	s_or_b64 exec, exec, s[26:27]
	s_nop 0
	v_mov_b32_dpp v42, v39 row_shr:8 row_mask:0xf bank_mask:0xf
	v_mov_b32_dpp v37, v34 row_shr:8 row_mask:0xf bank_mask:0xf
	v_mov_b32_dpp v43, v35 row_shr:8 row_mask:0xf bank_mask:0xf
	v_cmp_lt_u32_e64 s[24:25], 7, v36
	s_and_saveexec_b64 s[26:27], s[24:25]
; %bb.136:
	v_cmp_eq_u32_e64 s[24:25], 0, v39
	v_cndmask_b32_e64 v37, 0, v37, s[24:25]
	v_add_u32_e32 v36, v42, v39
	v_cndmask_b32_e64 v39, 0, v43, s[24:25]
	v_add_co_u32_e64 v34, s[24:25], v37, v34
	v_addc_co_u32_e64 v35, s[24:25], v39, v35, s[24:25]
	v_mov_b32_e32 v39, v36
; %bb.137:
	s_or_b64 exec, exec, s[26:27]
	v_and_b32_e32 v43, 16, v38
	v_mov_b32_dpp v37, v39 row_bcast:15 row_mask:0xf bank_mask:0xf
	v_mov_b32_dpp v36, v34 row_bcast:15 row_mask:0xf bank_mask:0xf
	;; [unrolled: 1-line block ×3, first 2 shown]
	v_cmp_ne_u32_e64 s[24:25], 0, v43
	s_and_saveexec_b64 s[26:27], s[24:25]
; %bb.138:
	v_cmp_eq_u32_e64 s[24:25], 0, v39
	v_cndmask_b32_e64 v36, 0, v36, s[24:25]
	v_add_u32_e32 v37, v37, v39
	v_cndmask_b32_e64 v39, 0, v42, s[24:25]
	v_add_co_u32_e64 v34, s[24:25], v36, v34
	v_addc_co_u32_e64 v35, s[24:25], v39, v35, s[24:25]
	v_mov_b32_e32 v39, v37
; %bb.139:
	s_or_b64 exec, exec, s[26:27]
	s_nop 0
	v_mov_b32_dpp v37, v39 row_bcast:31 row_mask:0xf bank_mask:0xf
	v_mov_b32_dpp v36, v34 row_bcast:31 row_mask:0xf bank_mask:0xf
	;; [unrolled: 1-line block ×3, first 2 shown]
	v_cmp_lt_u32_e64 s[24:25], 31, v38
	s_and_saveexec_b64 s[26:27], s[24:25]
; %bb.140:
	v_cmp_eq_u32_e64 s[24:25], 0, v39
	v_cndmask_b32_e64 v36, 0, v36, s[24:25]
	v_add_u32_e32 v37, v37, v39
	v_cndmask_b32_e64 v39, 0, v42, s[24:25]
	v_add_co_u32_e64 v34, s[24:25], v36, v34
	v_addc_co_u32_e64 v35, s[24:25], v39, v35, s[24:25]
	v_mov_b32_e32 v39, v37
; %bb.141:
	s_or_b64 exec, exec, s[26:27]
	v_or_b32_e32 v36, 63, v0
	v_lshrrev_b32_e32 v42, 6, v0
	v_cmp_eq_u32_e64 s[24:25], v36, v0
	s_and_saveexec_b64 s[26:27], s[24:25]
	s_cbranch_execz .LBB692_143
; %bb.142:
	v_lshlrev_b32_e32 v36, 4, v42
	ds_write_b32 v36, v39 offset:544
	ds_write_b64 v36, v[34:35] offset:552
.LBB692_143:
	s_or_b64 exec, exec, s[26:27]
	v_cmp_gt_u32_e64 s[24:25], 4, v0
	s_waitcnt lgkmcnt(0)
	s_barrier
	s_and_saveexec_b64 s[26:27], s[24:25]
	s_cbranch_execz .LBB692_149
; %bb.144:
	v_lshlrev_b32_e32 v43, 4, v0
	ds_read_b32 v44, v43 offset:544
	ds_read_b64 v[36:37], v43 offset:552
	v_and_b32_e32 v45, 3, v38
	v_cmp_ne_u32_e64 s[24:25], 0, v45
	s_waitcnt lgkmcnt(1)
	v_mov_b32_dpp v47, v44 row_shr:1 row_mask:0xf bank_mask:0xf
	s_waitcnt lgkmcnt(0)
	v_mov_b32_dpp v46, v36 row_shr:1 row_mask:0xf bank_mask:0xf
	v_mov_b32_dpp v48, v37 row_shr:1 row_mask:0xf bank_mask:0xf
	s_and_saveexec_b64 s[28:29], s[24:25]
; %bb.145:
	v_cmp_eq_u32_e64 s[24:25], 0, v44
	v_cndmask_b32_e64 v46, 0, v46, s[24:25]
	v_add_u32_e32 v47, v47, v44
	v_cndmask_b32_e64 v44, 0, v48, s[24:25]
	v_add_co_u32_e64 v36, s[24:25], v46, v36
	v_addc_co_u32_e64 v37, s[24:25], v44, v37, s[24:25]
	v_mov_b32_e32 v44, v47
; %bb.146:
	s_or_b64 exec, exec, s[28:29]
	s_nop 0
	v_mov_b32_dpp v47, v44 row_shr:2 row_mask:0xf bank_mask:0xf
	v_mov_b32_dpp v46, v36 row_shr:2 row_mask:0xf bank_mask:0xf
	;; [unrolled: 1-line block ×3, first 2 shown]
	v_cmp_lt_u32_e64 s[24:25], 1, v45
	s_and_saveexec_b64 s[28:29], s[24:25]
; %bb.147:
	v_cmp_eq_u32_e64 s[24:25], 0, v44
	v_cndmask_b32_e64 v46, 0, v46, s[24:25]
	v_add_u32_e32 v45, v47, v44
	v_cndmask_b32_e64 v44, 0, v48, s[24:25]
	v_add_co_u32_e64 v36, s[24:25], v46, v36
	v_addc_co_u32_e64 v37, s[24:25], v44, v37, s[24:25]
	v_mov_b32_e32 v44, v45
; %bb.148:
	s_or_b64 exec, exec, s[28:29]
	ds_write_b32 v43, v44 offset:544
	ds_write_b64 v43, v[36:37] offset:552
.LBB692_149:
	s_or_b64 exec, exec, s[26:27]
	v_cmp_lt_u32_e64 s[24:25], 63, v0
	v_mov_b32_e32 v98, 0
	v_mov_b32_e32 v43, 0
	s_waitcnt vmcnt(0)
	v_pk_mov_b32 v[36:37], v[40:41], v[40:41] op_sel:[0,1]
	s_waitcnt lgkmcnt(0)
	s_barrier
	s_and_saveexec_b64 s[26:27], s[24:25]
	s_cbranch_execz .LBB692_151
; %bb.150:
	v_lshlrev_b32_e32 v36, 4, v42
	ds_read_b32 v43, v36 offset:528
	ds_read_b64 v[36:37], v36 offset:536
	s_waitcnt lgkmcnt(1)
	v_cmp_eq_u32_e64 s[24:25], 0, v43
	v_cndmask_b32_e64 v44, 0, v40, s[24:25]
	v_cndmask_b32_e64 v42, 0, v41, s[24:25]
	s_waitcnt lgkmcnt(0)
	v_add_co_u32_e64 v36, s[24:25], v44, v36
	v_addc_co_u32_e64 v37, s[24:25], v42, v37, s[24:25]
.LBB692_151:
	s_or_b64 exec, exec, s[26:27]
	v_cmp_eq_u32_e64 s[24:25], 0, v39
	v_cndmask_b32_e64 v44, 0, v36, s[24:25]
	v_add_u32_e32 v42, v43, v39
	v_cndmask_b32_e64 v39, 0, v37, s[24:25]
	v_add_co_u32_e64 v34, s[24:25], v44, v34
	v_addc_co_u32_e64 v35, s[24:25], v39, v35, s[24:25]
	v_add_u32_e32 v39, -1, v38
	v_and_b32_e32 v44, 64, v38
	v_cmp_lt_i32_e64 s[24:25], v39, v44
	v_cndmask_b32_e64 v39, v39, v38, s[24:25]
	v_lshlrev_b32_e32 v39, 2, v39
	ds_bpermute_b32 v42, v39, v42
	ds_bpermute_b32 v35, v39, v35
	;; [unrolled: 1-line block ×3, first 2 shown]
	v_cmp_eq_u32_e64 s[24:25], 0, v38
	v_cmp_eq_u32_e64 s[26:27], 0, v96
	s_waitcnt lgkmcnt(2)
	v_cndmask_b32_e64 v97, v42, v43, s[24:25]
	s_waitcnt lgkmcnt(1)
	v_cndmask_b32_e64 v67, v35, v37, s[24:25]
	;; [unrolled: 2-line block ×3, first 2 shown]
	v_cmp_eq_u32_e64 s[24:25], 0, v0
	v_cndmask_b32_e64 v34, v66, v40, s[24:25]
	v_cndmask_b32_e64 v35, v67, v41, s[24:25]
	v_cndmask_b32_e64 v34, 0, v34, s[26:27]
	v_cndmask_b32_e64 v35, 0, v35, s[26:27]
	v_add_co_u32_e64 v42, s[26:27], v34, v32
	v_addc_co_u32_e64 v43, s[26:27], v35, v33, s[26:27]
	v_cndmask_b32_e64 v33, 0, v42, s[22:23]
	v_cndmask_b32_e64 v32, 0, v43, s[22:23]
	v_add_co_u32_e64 v44, s[22:23], v33, v30
	v_addc_co_u32_e64 v45, s[22:23], v32, v31, s[22:23]
	v_cndmask_b32_e64 v31, 0, v44, s[20:21]
	v_cndmask_b32_e64 v30, 0, v45, s[20:21]
	v_add_co_u32_e64 v46, s[20:21], v31, v28
	v_addc_co_u32_e64 v47, s[20:21], v30, v29, s[20:21]
	v_cndmask_b32_e64 v29, 0, v46, s[18:19]
	v_cndmask_b32_e64 v28, 0, v47, s[18:19]
	v_add_co_u32_e64 v48, s[18:19], v29, v24
	v_addc_co_u32_e64 v49, s[18:19], v28, v25, s[18:19]
	v_cndmask_b32_e64 v25, 0, v48, s[16:17]
	v_cndmask_b32_e64 v24, 0, v49, s[16:17]
	v_add_co_u32_e64 v50, s[16:17], v25, v26
	v_addc_co_u32_e64 v51, s[16:17], v24, v27, s[16:17]
	v_cndmask_b32_e64 v25, 0, v50, s[12:13]
	v_cndmask_b32_e64 v24, 0, v51, s[12:13]
	v_add_co_u32_e64 v52, s[12:13], v25, v22
	v_addc_co_u32_e64 v53, s[12:13], v24, v23, s[12:13]
	v_cndmask_b32_e64 v23, 0, v52, s[14:15]
	v_cndmask_b32_e64 v22, 0, v53, s[14:15]
	v_add_co_u32_e64 v54, s[12:13], v23, v20
	v_addc_co_u32_e64 v55, s[12:13], v22, v21, s[12:13]
	v_cndmask_b32_e64 v21, 0, v54, s[8:9]
	v_cndmask_b32_e64 v20, 0, v55, s[8:9]
	v_add_co_u32_e64 v56, s[8:9], v21, v14
	v_addc_co_u32_e64 v57, s[8:9], v20, v15, s[8:9]
	v_cndmask_b32_e64 v15, 0, v56, s[10:11]
	v_cndmask_b32_e64 v14, 0, v57, s[10:11]
	v_add_co_u32_e64 v58, s[8:9], v15, v18
	v_addc_co_u32_e64 v59, s[8:9], v14, v19, s[8:9]
	v_cndmask_b32_e64 v15, 0, v58, s[4:5]
	v_cndmask_b32_e64 v14, 0, v59, s[4:5]
	v_add_co_u32_e64 v60, s[4:5], v15, v12
	v_addc_co_u32_e64 v61, s[4:5], v14, v13, s[4:5]
	v_cndmask_b32_e64 v13, 0, v60, s[6:7]
	v_cndmask_b32_e64 v12, 0, v61, s[6:7]
	v_add_co_u32_e64 v62, s[4:5], v13, v10
	v_addc_co_u32_e64 v63, s[4:5], v12, v11, s[4:5]
	v_cndmask_b32_e64 v11, 0, v62, s[0:1]
	v_cndmask_b32_e64 v10, 0, v63, s[0:1]
	v_add_co_u32_e64 v64, s[0:1], v11, v8
	v_addc_co_u32_e64 v65, s[0:1], v10, v9, s[0:1]
	v_cndmask_b32_e64 v9, 0, v64, s[2:3]
	ds_read_b32 v36, v98 offset:592
	v_cndmask_b32_e64 v8, 0, v65, s[2:3]
	v_add_co_u32_e64 v68, s[0:1], v9, v6
	v_addc_co_u32_e64 v69, s[0:1], v8, v7, s[0:1]
	ds_read_b64 v[6:7], v98 offset:600
	v_cndmask_b32_e32 v71, 0, v69, vcc
	v_cndmask_b32_e32 v70, 0, v68, vcc
	s_waitcnt lgkmcnt(1)
	v_cmp_eq_u32_e32 vcc, 0, v36
	v_cndmask_b32_e32 v9, 0, v40, vcc
	v_cndmask_b32_e32 v8, 0, v41, vcc
	s_waitcnt lgkmcnt(0)
	v_add_co_u32_e32 v38, vcc, v9, v6
	v_addc_co_u32_e32 v39, vcc, v8, v7, vcc
	s_and_saveexec_b64 s[0:1], s[24:25]
	s_cbranch_execz .LBB692_153
; %bb.152:
	v_mov_b32_e32 v97, 0
	v_mov_b32_e32 v6, 2
	v_pk_mov_b32 v[66:67], v[40:41], v[40:41] op_sel:[0,1]
	global_store_dword v97, v36, s[38:39] offset:1024
	global_store_dwordx2 v97, v[38:39], s[38:39] offset:1032
	s_waitcnt vmcnt(0)
	buffer_wbinvl1_vol
	global_store_byte v97, v6, s[40:41] offset:64
.LBB692_153:
	s_or_b64 exec, exec, s[0:1]
	v_mov_b32_e32 v40, 0
.LBB692_154:
	s_and_b64 s[0:1], s[42:43], exec
	s_cselect_b32 s1, 0, s51
	s_cselect_b32 s0, 0, s50
	s_cmp_eq_u64 s[0:1], 0
	v_pk_mov_b32 v[18:19], 0, 0
	s_barrier
	s_cbranch_scc1 .LBB692_156
; %bb.155:
	v_mov_b32_e32 v6, 0
	global_load_dwordx2 v[18:19], v6, s[0:1]
.LBB692_156:
	v_mov_b32_e32 v6, s53
	s_waitcnt vmcnt(0)
	v_add_co_u32_e32 v7, vcc, s52, v18
	v_addc_co_u32_e32 v6, vcc, v6, v19, vcc
	v_add_co_u32_e32 v20, vcc, v7, v40
	v_addc_co_u32_e32 v21, vcc, 0, v6, vcc
	v_cmp_eq_u32_e32 vcc, 0, v96
	v_cndmask_b32_e64 v6, 1, 2, vcc
	v_cmp_eq_u32_e32 vcc, 0, v95
	v_cndmask_b32_e64 v7, 1, 2, vcc
	v_cmp_eq_u32_e32 vcc, 0, v94
	v_and_b32_e32 v6, v7, v6
	v_cndmask_b32_e64 v7, 1, 2, vcc
	v_cmp_eq_u32_e32 vcc, 0, v93
	v_add_u32_e32 v35, v97, v96
	v_and_b32_e32 v6, v6, v7
	v_cndmask_b32_e64 v7, 1, 2, vcc
	v_cmp_eq_u32_e32 vcc, 0, v92
	v_add_u32_e32 v34, v35, v95
	;; [unrolled: 4-line block ×12, first 2 shown]
	v_and_b32_e32 v6, v6, v7
	v_cndmask_b32_e64 v7, 1, 2, vcc
	s_movk_i32 s30, 0x100
	v_add_u32_e32 v23, v24, v75
	v_and_b32_e32 v6, v6, v7
	v_cmp_gt_u32_e32 vcc, s30, v36
	v_add_u32_e32 v22, v23, v74
	v_mov_b32_e32 v41, 0
	v_cmp_ne_u32_e64 s[28:29], 0, v96
	v_cmp_ne_u32_e64 s[26:27], 0, v95
	;; [unrolled: 1-line block ×15, first 2 shown]
	s_mov_b64 s[36:37], -1
	v_cmp_gt_i16_e64 s[30:31], 2, v6
	s_cbranch_vccz .LBB692_163
; %bb.157:
	s_and_saveexec_b64 s[36:37], s[30:31]
	s_cbranch_execz .LBB692_162
; %bb.158:
	v_cmp_ne_u16_e32 vcc, 1, v6
	s_mov_b64 s[38:39], 0
	s_and_saveexec_b64 s[30:31], vcc
	s_xor_b64 s[30:31], exec, s[30:31]
	s_cbranch_execnz .LBB692_206
; %bb.159:
	s_andn2_saveexec_b64 s[30:31], s[30:31]
	s_cbranch_execnz .LBB692_222
.LBB692_160:
	s_or_b64 exec, exec, s[30:31]
	s_and_b64 exec, exec, s[38:39]
	s_cbranch_execz .LBB692_162
.LBB692_161:
	v_sub_u32_e32 v7, v22, v40
	v_readfirstlane_b32 s30, v20
	v_readfirstlane_b32 s31, v21
	s_nop 4
	global_store_byte v7, v1, s[30:31]
.LBB692_162:
	s_or_b64 exec, exec, s[36:37]
	s_mov_b64 s[36:37], 0
.LBB692_163:
	s_and_b64 vcc, exec, s[36:37]
	s_cbranch_vccz .LBB692_184
; %bb.164:
	v_cmp_gt_i16_e32 vcc, 2, v6
	s_and_saveexec_b64 s[30:31], vcc
	s_cbranch_execz .LBB692_169
; %bb.165:
	v_cmp_ne_u16_e32 vcc, 1, v6
	s_mov_b64 s[38:39], 0
	s_and_saveexec_b64 s[36:37], vcc
	s_xor_b64 s[36:37], exec, s[36:37]
	s_cbranch_execnz .LBB692_223
; %bb.166:
	s_andn2_saveexec_b64 s[0:1], s[36:37]
	s_cbranch_execnz .LBB692_239
.LBB692_167:
	s_or_b64 exec, exec, s[0:1]
	s_and_b64 exec, exec, s[38:39]
	s_cbranch_execz .LBB692_169
.LBB692_168:
	v_sub_u32_e32 v2, v22, v40
	ds_write_b8 v2, v1
.LBB692_169:
	s_or_b64 exec, exec, s[30:31]
	v_cmp_lt_u32_e32 vcc, v0, v36
	s_waitcnt lgkmcnt(0)
	s_barrier
	s_and_saveexec_b64 s[0:1], vcc
	s_cbranch_execz .LBB692_183
; %bb.170:
	v_xad_u32 v2, v0, -1, v36
	s_movk_i32 s2, 0x1700
	s_movk_i32 s4, 0x16ff
	v_cmp_gt_u32_e64 s[2:3], s2, v2
	v_cmp_lt_u32_e32 vcc, s4, v2
	v_mov_b32_e32 v1, v0
	s_and_saveexec_b64 s[4:5], vcc
	s_cbranch_execz .LBB692_180
; %bb.171:
	v_sub_u32_e32 v1, v0, v36
	v_or_b32_e32 v1, 0xff, v1
	v_cmp_ge_u32_e32 vcc, v1, v0
	s_mov_b64 s[8:9], -1
	v_mov_b32_e32 v1, v0
	s_and_saveexec_b64 s[6:7], vcc
	s_cbranch_execz .LBB692_179
; %bb.172:
	v_lshrrev_b32_e32 v37, 8, v2
	v_or_b32_e32 v7, 0x700, v0
	v_or_b32_e32 v6, 0x600, v0
	;; [unrolled: 1-line block ×7, first 2 shown]
	v_add_u32_e32 v72, -7, v37
	v_pk_mov_b32 v[14:15], v[6:7], v[6:7] op_sel:[0,1]
	v_cmp_lt_u32_e32 vcc, 7, v72
	v_mov_b32_e32 v79, 0
	v_pk_mov_b32 v[12:13], v[4:5], v[4:5] op_sel:[0,1]
	v_pk_mov_b32 v[10:11], v[2:3], v[2:3] op_sel:[0,1]
	;; [unrolled: 1-line block ×3, first 2 shown]
	s_and_saveexec_b64 s[8:9], vcc
	s_cbranch_execz .LBB692_176
; %bb.173:
	v_lshrrev_b32_e32 v8, 3, v72
	v_add_u32_e32 v8, 1, v8
	v_and_b32_e32 v76, 0x3ffffffe, v8
	v_pk_mov_b32 v[14:15], v[6:7], v[6:7] op_sel:[0,1]
	s_mov_b32 s12, 0
	s_mov_b64 s[10:11], 0
	v_mov_b32_e32 v78, v0
	v_pk_mov_b32 v[12:13], v[4:5], v[4:5] op_sel:[0,1]
	v_pk_mov_b32 v[10:11], v[2:3], v[2:3] op_sel:[0,1]
	;; [unrolled: 1-line block ×3, first 2 shown]
.LBB692_174:                            ; =>This Inner Loop Header: Depth=1
	v_add_co_u32_e32 v2, vcc, v20, v8
	v_addc_co_u32_e32 v3, vcc, 0, v21, vcc
	v_add_co_u32_e32 v4, vcc, v20, v9
	v_addc_co_u32_e32 v5, vcc, 0, v21, vcc
	;; [unrolled: 2-line block ×8, first 2 shown]
	v_add_u32_e32 v108, 0x800, v8
	v_add_co_u32_e32 v108, vcc, v20, v108
	v_add_u32_e32 v110, 0x800, v9
	v_addc_co_u32_e32 v109, vcc, 0, v21, vcc
	v_add_co_u32_e32 v110, vcc, v20, v110
	v_add_u32_e32 v112, 0x800, v10
	v_addc_co_u32_e32 v111, vcc, 0, v21, vcc
	v_add_co_u32_e32 v112, vcc, v20, v112
	v_add_u32_e32 v114, 0x800, v11
	v_addc_co_u32_e32 v113, vcc, 0, v21, vcc
	v_add_co_u32_e32 v114, vcc, v20, v114
	v_add_u32_e32 v116, 0x800, v12
	v_addc_co_u32_e32 v115, vcc, 0, v21, vcc
	v_add_co_u32_e32 v116, vcc, v20, v116
	v_add_u32_e32 v118, 0x800, v13
	v_addc_co_u32_e32 v117, vcc, 0, v21, vcc
	v_add_co_u32_e32 v118, vcc, v20, v118
	v_add_u32_e32 v120, 0x800, v14
	v_addc_co_u32_e32 v119, vcc, 0, v21, vcc
	v_add_co_u32_e32 v120, vcc, v20, v120
	ds_read_u8 v1, v78
	ds_read_u8 v81, v78 offset:256
	ds_read_u8 v83, v78 offset:512
	;; [unrolled: 1-line block ×7, first 2 shown]
	v_add_u32_e32 v79, 0x800, v15
	ds_read_u8 v125, v78 offset:2048
	ds_read_u8 v126, v78 offset:2304
	;; [unrolled: 1-line block ×8, first 2 shown]
	v_addc_co_u32_e32 v121, vcc, 0, v21, vcc
	v_add_co_u32_e32 v122, vcc, v20, v79
	v_add_u32_e32 v76, -2, v76
	v_addc_co_u32_e32 v123, vcc, 0, v21, vcc
	s_add_i32 s12, s12, 16
	v_cmp_eq_u32_e32 vcc, 0, v76
	v_add_u32_e32 v15, 0x1000, v15
	v_add_u32_e32 v14, 0x1000, v14
	;; [unrolled: 1-line block ×9, first 2 shown]
	v_mov_b32_e32 v79, s12
	s_or_b64 s[10:11], vcc, s[10:11]
	s_waitcnt lgkmcnt(14)
	global_store_byte v[2:3], v1, off
	global_store_byte v[4:5], v81, off
	s_waitcnt lgkmcnt(13)
	global_store_byte v[6:7], v83, off
	s_waitcnt lgkmcnt(12)
	;; [unrolled: 2-line block ×14, first 2 shown]
	global_store_byte v[122:123], v132, off
	s_andn2_b64 exec, exec, s[10:11]
	s_cbranch_execnz .LBB692_174
; %bb.175:
	s_or_b64 exec, exec, s[10:11]
.LBB692_176:
	s_or_b64 exec, exec, s[8:9]
	v_and_b32_e32 v1, 8, v72
	v_cmp_eq_u32_e32 vcc, 0, v1
	s_and_saveexec_b64 s[8:9], vcc
	s_cbranch_execz .LBB692_178
; %bb.177:
	v_add_co_u32_e32 v2, vcc, v20, v8
	v_addc_co_u32_e32 v3, vcc, 0, v21, vcc
	v_add_co_u32_e32 v4, vcc, v20, v9
	v_addc_co_u32_e32 v5, vcc, 0, v21, vcc
	;; [unrolled: 2-line block ×4, first 2 shown]
	v_add_co_u32_e32 v10, vcc, v20, v12
	v_lshl_or_b32 v1, v79, 8, v0
	v_addc_co_u32_e32 v11, vcc, 0, v21, vcc
	v_add_co_u32_e32 v12, vcc, v20, v13
	ds_read_u8 v72, v1
	ds_read_u8 v76, v1 offset:256
	ds_read_u8 v81, v1 offset:512
	;; [unrolled: 1-line block ×7, first 2 shown]
	v_addc_co_u32_e32 v13, vcc, 0, v21, vcc
	v_add_co_u32_e32 v78, vcc, v20, v14
	v_addc_co_u32_e32 v79, vcc, 0, v21, vcc
	v_add_co_u32_e32 v14, vcc, v20, v15
	v_addc_co_u32_e32 v15, vcc, 0, v21, vcc
	s_waitcnt lgkmcnt(7)
	global_store_byte v[2:3], v72, off
	s_waitcnt lgkmcnt(6)
	global_store_byte v[4:5], v76, off
	s_waitcnt lgkmcnt(5)
	global_store_byte v[6:7], v81, off
	s_waitcnt lgkmcnt(4)
	global_store_byte v[8:9], v83, off
	s_waitcnt lgkmcnt(3)
	global_store_byte v[10:11], v85, off
	s_waitcnt lgkmcnt(2)
	global_store_byte v[12:13], v87, off
	s_waitcnt lgkmcnt(1)
	global_store_byte v[78:79], v88, off
	s_waitcnt lgkmcnt(0)
	global_store_byte v[14:15], v1, off
.LBB692_178:
	s_or_b64 exec, exec, s[8:9]
	v_add_u32_e32 v2, 1, v37
	v_and_b32_e32 v3, 0x1fffff8, v2
	v_cmp_ne_u32_e32 vcc, v2, v3
	v_lshl_or_b32 v1, v3, 8, v0
	s_orn2_b64 s[8:9], vcc, exec
.LBB692_179:
	s_or_b64 exec, exec, s[6:7]
	s_andn2_b64 s[2:3], s[2:3], exec
	s_and_b64 s[6:7], s[8:9], exec
	s_or_b64 s[2:3], s[2:3], s[6:7]
.LBB692_180:
	s_or_b64 exec, exec, s[4:5]
	s_and_b64 exec, exec, s[2:3]
	s_cbranch_execz .LBB692_183
; %bb.181:
	s_mov_b64 s[2:3], 0
.LBB692_182:                            ; =>This Inner Loop Header: Depth=1
	ds_read_u8 v2, v1
	v_readfirstlane_b32 s4, v20
	v_readfirstlane_b32 s5, v21
	s_waitcnt lgkmcnt(0)
	s_nop 3
	global_store_byte v1, v2, s[4:5]
	v_add_u32_e32 v1, 0x100, v1
	v_cmp_ge_u32_e32 vcc, v1, v36
	s_or_b64 s[2:3], vcc, s[2:3]
	s_andn2_b64 exec, exec, s[2:3]
	s_cbranch_execnz .LBB692_182
.LBB692_183:
	s_or_b64 exec, exec, s[0:1]
.LBB692_184:
	v_add_co_u32_e32 v2, vcc, v70, v16
	s_cmpk_lg_i32 s33, 0xf00
	v_addc_co_u32_e32 v3, vcc, v71, v17, vcc
	s_cselect_b64 s[0:1], -1, 0
	v_cndmask_b32_e64 v8, 0, 1, s[46:47]
	s_and_b64 s[0:1], s[44:45], s[0:1]
	v_cmp_eq_u32_e32 vcc, 0, v0
	v_sub_u32_e32 v1, v36, v8
	v_cndmask_b32_e64 v4, 0, 1, s[0:1]
	s_and_b64 s[0:1], vcc, s[46:47]
	v_add_u32_e32 v1, v1, v4
	v_cndmask_b32_e64 v4, v96, 0, s[0:1]
	s_mul_hi_u32 s0, s33, 0x88888889
	s_lshr_b32 s0, s0, 3
	v_mad_i32_i24 v5, v0, -15, s33
	v_cmp_eq_u32_e32 vcc, s0, v0
	v_cmp_ne_u32_e64 s[0:1], 0, v5
	v_cndmask_b32_e64 v6, 1, v4, s[0:1]
	v_cmp_ne_u32_e64 s[0:1], 1, v5
	v_cndmask_b32_e64 v7, 1, v95, s[0:1]
	;; [unrolled: 2-line block ×15, first 2 shown]
	s_and_b64 vcc, s[44:45], vcc
	v_cndmask_b32_e32 v70, v73, v5, vcc
	v_cndmask_b32_e32 v72, v4, v6, vcc
	v_lshlrev_b64 v[4:5], 3, v[18:19]
	v_cndmask_b32_e32 v37, v74, v37, vcc
	v_cndmask_b32_e32 v21, v75, v21, vcc
	;; [unrolled: 1-line block ×13, first 2 shown]
	v_mov_b32_e32 v6, s55
	v_add_co_u32_e32 v7, vcc, s54, v4
	v_addc_co_u32_e32 v6, vcc, v6, v5, vcc
	v_lshlrev_b64 v[4:5], 3, v[40:41]
	v_add_co_u32_e32 v4, vcc, v7, v4
	v_addc_co_u32_e32 v5, vcc, v6, v5, vcc
	v_lshlrev_b32_e32 v6, 3, v8
	v_add_co_u32_e32 v6, vcc, v6, v4
	v_addc_co_u32_e32 v7, vcc, 0, v5, vcc
	v_add_co_u32_e32 v6, vcc, -8, v6
	v_addc_co_u32_e32 v7, vcc, -1, v7, vcc
	v_cmp_eq_u32_e32 vcc, 0, v72
	v_cndmask_b32_e64 v41, 1, 2, vcc
	v_cmp_eq_u32_e32 vcc, 0, v71
	v_cmp_ne_u32_e64 s[26:27], 0, v71
	v_cndmask_b32_e64 v71, 1, 2, vcc
	v_cmp_eq_u32_e32 vcc, 0, v9
	v_and_b32_e32 v41, v71, v41
	v_cmp_ne_u32_e64 s[24:25], 0, v9
	v_cndmask_b32_e64 v9, 1, 2, vcc
	v_cmp_eq_u32_e32 vcc, 0, v10
	v_and_b32_e32 v9, v41, v9
	v_cmp_ne_u32_e64 s[22:23], 0, v10
	v_cndmask_b32_e64 v10, 1, 2, vcc
	v_cmp_eq_u32_e32 vcc, 0, v11
	v_and_b32_e32 v9, v9, v10
	v_cndmask_b32_e64 v10, 1, 2, vcc
	v_cmp_eq_u32_e32 vcc, 0, v12
	v_and_b32_e32 v9, v9, v10
	v_cndmask_b32_e64 v10, 1, 2, vcc
	v_cmp_eq_u32_e32 vcc, 0, v13
	v_and_b32_e32 v9, v9, v10
	;; [unrolled: 3-line block ×10, first 2 shown]
	v_cndmask_b32_e64 v10, 1, 2, vcc
	s_movk_i32 s30, 0x100
	v_and_b32_e32 v9, v9, v10
	v_cmp_gt_u32_e32 vcc, s30, v1
	v_add_u32_e32 v8, v40, v8
	v_cmp_ne_u32_e64 s[28:29], 0, v72
	v_cmp_ne_u32_e64 s[20:21], 0, v11
	;; [unrolled: 1-line block ×12, first 2 shown]
	s_mov_b64 s[36:37], -1
	v_cmp_gt_i16_e64 s[30:31], 2, v9
	s_barrier
	s_cbranch_vccz .LBB692_191
; %bb.185:
	s_and_saveexec_b64 s[36:37], s[30:31]
	s_cbranch_execz .LBB692_190
; %bb.186:
	v_cmp_ne_u16_e32 vcc, 1, v9
	s_mov_b64 s[38:39], 0
	s_and_saveexec_b64 s[30:31], vcc
	s_xor_b64 s[30:31], exec, s[30:31]
	s_cbranch_execnz .LBB692_240
; %bb.187:
	s_andn2_saveexec_b64 s[30:31], s[30:31]
	s_cbranch_execnz .LBB692_256
.LBB692_188:
	s_or_b64 exec, exec, s[30:31]
	s_and_b64 exec, exec, s[38:39]
	s_cbranch_execz .LBB692_190
.LBB692_189:
	v_sub_u32_e32 v10, v22, v8
	v_mov_b32_e32 v11, 0
	v_lshlrev_b64 v[10:11], 3, v[10:11]
	v_add_co_u32_e32 v10, vcc, v6, v10
	v_addc_co_u32_e32 v11, vcc, v7, v11, vcc
	global_store_dwordx2 v[10:11], v[2:3], off
.LBB692_190:
	s_or_b64 exec, exec, s[36:37]
	s_mov_b64 s[36:37], 0
.LBB692_191:
	s_and_b64 vcc, exec, s[36:37]
	s_cbranch_vccz .LBB692_201
; %bb.192:
	v_cmp_gt_i16_e32 vcc, 2, v9
	s_and_saveexec_b64 s[30:31], vcc
	s_cbranch_execz .LBB692_197
; %bb.193:
	v_cmp_ne_u16_e32 vcc, 1, v9
	s_mov_b64 s[38:39], 0
	s_and_saveexec_b64 s[36:37], vcc
	s_xor_b64 s[36:37], exec, s[36:37]
	s_cbranch_execnz .LBB692_257
; %bb.194:
	s_andn2_saveexec_b64 s[0:1], s[36:37]
	s_cbranch_execnz .LBB692_273
.LBB692_195:
	s_or_b64 exec, exec, s[0:1]
	s_and_b64 exec, exec, s[38:39]
	s_cbranch_execz .LBB692_197
.LBB692_196:
	v_sub_u32_e32 v8, v22, v8
	v_lshlrev_b32_e32 v8, 3, v8
	ds_write_b64 v8, v[2:3]
.LBB692_197:
	s_or_b64 exec, exec, s[30:31]
	v_cmp_lt_u32_e32 vcc, v0, v1
	s_waitcnt lgkmcnt(0)
	s_barrier
	s_and_saveexec_b64 s[0:1], vcc
	s_cbranch_execz .LBB692_200
; %bb.198:
	v_lshlrev_b32_e32 v8, 3, v0
	s_mov_b64 s[2:3], 0
	v_mov_b32_e32 v3, 0
	v_mov_b32_e32 v2, v0
.LBB692_199:                            ; =>This Inner Loop Header: Depth=1
	v_lshlrev_b64 v[10:11], 3, v[2:3]
	ds_read_b64 v[12:13], v8
	v_add_co_u32_e32 v10, vcc, v6, v10
	v_add_u32_e32 v2, 0x100, v2
	v_addc_co_u32_e32 v11, vcc, v7, v11, vcc
	v_cmp_ge_u32_e32 vcc, v2, v1
	v_add_u32_e32 v8, 0x800, v8
	s_or_b64 s[2:3], vcc, s[2:3]
	s_waitcnt lgkmcnt(0)
	global_store_dwordx2 v[10:11], v[12:13], off
	s_andn2_b64 exec, exec, s[2:3]
	s_cbranch_execnz .LBB692_199
.LBB692_200:
	s_or_b64 exec, exec, s[0:1]
.LBB692_201:
	s_movk_i32 s0, 0xff
	v_cmp_eq_u32_e32 vcc, s0, v0
	s_and_b64 s[0:1], vcc, s[44:45]
	s_and_saveexec_b64 s[2:3], s[0:1]
	s_cbranch_execz .LBB692_204
; %bb.202:
	v_add_co_u32_e32 v0, vcc, v36, v40
	v_addc_co_u32_e64 v1, s[0:1], 0, 0, vcc
	v_add_co_u32_e32 v0, vcc, v0, v18
	v_mov_b32_e32 v37, 0
	v_addc_co_u32_e32 v1, vcc, v1, v19, vcc
	s_cmpk_lg_i32 s33, 0xf00
	global_store_dwordx2 v37, v[0:1], s[34:35]
	s_cbranch_scc1 .LBB692_204
; %bb.203:
	v_lshlrev_b64 v[0:1], 3, v[36:37]
	v_add_co_u32_e32 v0, vcc, v4, v0
	v_addc_co_u32_e32 v1, vcc, v5, v1, vcc
	global_store_dwordx2 v[0:1], v[38:39], off offset:-8
.LBB692_204:
	s_endpgm
.LBB692_205:
	s_or_b64 exec, exec, s[0:1]
	v_mov_b32_e32 v96, s7
	s_and_saveexec_b64 s[0:1], s[4:5]
	s_cbranch_execnz .LBB692_54
	s_branch .LBB692_55
.LBB692_206:
	s_and_saveexec_b64 s[38:39], s[28:29]
	s_cbranch_execnz .LBB692_274
; %bb.207:
	s_or_b64 exec, exec, s[38:39]
	s_and_saveexec_b64 s[38:39], s[26:27]
	s_cbranch_execnz .LBB692_275
.LBB692_208:
	s_or_b64 exec, exec, s[38:39]
	s_and_saveexec_b64 s[38:39], s[24:25]
	s_cbranch_execnz .LBB692_276
.LBB692_209:
	s_or_b64 exec, exec, s[38:39]
	s_and_saveexec_b64 s[38:39], s[22:23]
	s_cbranch_execnz .LBB692_277
.LBB692_210:
	s_or_b64 exec, exec, s[38:39]
	s_and_saveexec_b64 s[38:39], s[20:21]
	s_cbranch_execnz .LBB692_278
.LBB692_211:
	s_or_b64 exec, exec, s[38:39]
	s_and_saveexec_b64 s[38:39], s[18:19]
	s_cbranch_execnz .LBB692_279
.LBB692_212:
	s_or_b64 exec, exec, s[38:39]
	s_and_saveexec_b64 s[38:39], s[16:17]
	s_cbranch_execnz .LBB692_280
.LBB692_213:
	s_or_b64 exec, exec, s[38:39]
	s_and_saveexec_b64 s[38:39], s[14:15]
	s_cbranch_execnz .LBB692_281
.LBB692_214:
	s_or_b64 exec, exec, s[38:39]
	s_and_saveexec_b64 s[38:39], s[12:13]
	s_cbranch_execnz .LBB692_282
.LBB692_215:
	s_or_b64 exec, exec, s[38:39]
	s_and_saveexec_b64 s[38:39], s[10:11]
	s_cbranch_execnz .LBB692_283
.LBB692_216:
	s_or_b64 exec, exec, s[38:39]
	s_and_saveexec_b64 s[38:39], s[8:9]
	s_cbranch_execnz .LBB692_284
.LBB692_217:
	s_or_b64 exec, exec, s[38:39]
	s_and_saveexec_b64 s[38:39], s[6:7]
	s_cbranch_execnz .LBB692_285
.LBB692_218:
	s_or_b64 exec, exec, s[38:39]
	s_and_saveexec_b64 s[38:39], s[4:5]
	s_cbranch_execnz .LBB692_286
.LBB692_219:
	s_or_b64 exec, exec, s[38:39]
	s_and_saveexec_b64 s[38:39], s[2:3]
	s_cbranch_execz .LBB692_221
.LBB692_220:
	v_sub_u32_e32 v7, v23, v40
	v_readfirstlane_b32 s40, v20
	v_readfirstlane_b32 s41, v21
	s_nop 4
	global_store_byte v7, v5, s[40:41]
.LBB692_221:
	s_or_b64 exec, exec, s[38:39]
	s_and_b64 s[38:39], s[0:1], exec
	s_andn2_saveexec_b64 s[30:31], s[30:31]
	s_cbranch_execz .LBB692_160
.LBB692_222:
	v_sub_u32_e32 v7, v97, v40
	v_readfirstlane_b32 s40, v20
	v_readfirstlane_b32 s41, v21
	s_or_b64 s[38:39], s[38:39], exec
	s_nop 3
	global_store_byte v7, v2, s[40:41]
	v_sub_u32_e32 v7, v35, v40
	global_store_byte v7, v90, s[40:41]
	v_sub_u32_e32 v7, v34, v40
	;; [unrolled: 2-line block ×13, first 2 shown]
	global_store_byte v7, v5, s[40:41]
	s_or_b64 exec, exec, s[30:31]
	s_and_b64 exec, exec, s[38:39]
	s_cbranch_execnz .LBB692_161
	s_branch .LBB692_162
.LBB692_223:
	s_and_saveexec_b64 s[38:39], s[28:29]
	s_cbranch_execnz .LBB692_287
; %bb.224:
	s_or_b64 exec, exec, s[38:39]
	s_and_saveexec_b64 s[28:29], s[26:27]
	s_cbranch_execnz .LBB692_288
.LBB692_225:
	s_or_b64 exec, exec, s[28:29]
	s_and_saveexec_b64 s[26:27], s[24:25]
	s_cbranch_execnz .LBB692_289
.LBB692_226:
	s_or_b64 exec, exec, s[26:27]
	s_and_saveexec_b64 s[24:25], s[22:23]
	s_cbranch_execnz .LBB692_290
.LBB692_227:
	s_or_b64 exec, exec, s[24:25]
	s_and_saveexec_b64 s[22:23], s[20:21]
	s_cbranch_execnz .LBB692_291
.LBB692_228:
	s_or_b64 exec, exec, s[22:23]
	s_and_saveexec_b64 s[20:21], s[18:19]
	s_cbranch_execnz .LBB692_292
.LBB692_229:
	s_or_b64 exec, exec, s[20:21]
	s_and_saveexec_b64 s[18:19], s[16:17]
	s_cbranch_execnz .LBB692_293
.LBB692_230:
	s_or_b64 exec, exec, s[18:19]
	s_and_saveexec_b64 s[16:17], s[14:15]
	s_cbranch_execnz .LBB692_294
.LBB692_231:
	s_or_b64 exec, exec, s[16:17]
	s_and_saveexec_b64 s[14:15], s[12:13]
	s_cbranch_execnz .LBB692_295
.LBB692_232:
	s_or_b64 exec, exec, s[14:15]
	s_and_saveexec_b64 s[12:13], s[10:11]
	s_cbranch_execnz .LBB692_296
.LBB692_233:
	s_or_b64 exec, exec, s[12:13]
	s_and_saveexec_b64 s[10:11], s[8:9]
	s_cbranch_execnz .LBB692_297
.LBB692_234:
	s_or_b64 exec, exec, s[10:11]
	s_and_saveexec_b64 s[8:9], s[6:7]
	s_cbranch_execnz .LBB692_298
.LBB692_235:
	s_or_b64 exec, exec, s[8:9]
	s_and_saveexec_b64 s[6:7], s[4:5]
	s_cbranch_execnz .LBB692_299
.LBB692_236:
	s_or_b64 exec, exec, s[6:7]
	s_and_saveexec_b64 s[4:5], s[2:3]
	s_cbranch_execz .LBB692_238
.LBB692_237:
	v_sub_u32_e32 v2, v23, v40
	ds_write_b8 v2, v5
.LBB692_238:
	s_or_b64 exec, exec, s[4:5]
	s_and_b64 s[38:39], s[0:1], exec
                                        ; implicit-def: $vgpr2
                                        ; implicit-def: $vgpr90
                                        ; implicit-def: $vgpr88
                                        ; implicit-def: $vgpr87
                                        ; implicit-def: $vgpr85
                                        ; implicit-def: $vgpr83
                                        ; implicit-def: $vgpr81
                                        ; implicit-def: $vgpr79
                                        ; implicit-def: $vgpr78
                                        ; implicit-def: $vgpr76
                                        ; implicit-def: $vgpr72
                                        ; implicit-def: $vgpr5
	s_andn2_saveexec_b64 s[0:1], s[36:37]
	s_cbranch_execz .LBB692_167
.LBB692_239:
	v_sub_u32_e32 v6, v97, v40
	ds_write_b8 v6, v2
	v_sub_u32_e32 v2, v35, v40
	ds_write_b8 v2, v90
	;; [unrolled: 2-line block ×13, first 2 shown]
	v_sub_u32_e32 v2, v23, v40
	s_or_b64 s[38:39], s[38:39], exec
	ds_write_b8 v2, v5
	s_or_b64 exec, exec, s[0:1]
	s_and_b64 exec, exec, s[38:39]
	s_cbranch_execnz .LBB692_168
	s_branch .LBB692_169
.LBB692_240:
	s_and_saveexec_b64 s[38:39], s[28:29]
	s_cbranch_execnz .LBB692_300
; %bb.241:
	s_or_b64 exec, exec, s[38:39]
	s_and_saveexec_b64 s[38:39], s[26:27]
	s_cbranch_execnz .LBB692_301
.LBB692_242:
	s_or_b64 exec, exec, s[38:39]
	s_and_saveexec_b64 s[38:39], s[24:25]
	s_cbranch_execnz .LBB692_302
.LBB692_243:
	s_or_b64 exec, exec, s[38:39]
	s_and_saveexec_b64 s[38:39], s[22:23]
	s_cbranch_execnz .LBB692_303
.LBB692_244:
	s_or_b64 exec, exec, s[38:39]
	s_and_saveexec_b64 s[38:39], s[20:21]
	s_cbranch_execnz .LBB692_304
.LBB692_245:
	s_or_b64 exec, exec, s[38:39]
	s_and_saveexec_b64 s[38:39], s[18:19]
	s_cbranch_execnz .LBB692_305
.LBB692_246:
	s_or_b64 exec, exec, s[38:39]
	s_and_saveexec_b64 s[38:39], s[16:17]
	s_cbranch_execnz .LBB692_306
.LBB692_247:
	s_or_b64 exec, exec, s[38:39]
	s_and_saveexec_b64 s[38:39], s[14:15]
	s_cbranch_execnz .LBB692_307
.LBB692_248:
	s_or_b64 exec, exec, s[38:39]
	s_and_saveexec_b64 s[38:39], s[12:13]
	s_cbranch_execnz .LBB692_308
.LBB692_249:
	s_or_b64 exec, exec, s[38:39]
	s_and_saveexec_b64 s[38:39], s[10:11]
	s_cbranch_execnz .LBB692_309
.LBB692_250:
	s_or_b64 exec, exec, s[38:39]
	s_and_saveexec_b64 s[38:39], s[8:9]
	s_cbranch_execnz .LBB692_310
.LBB692_251:
	s_or_b64 exec, exec, s[38:39]
	s_and_saveexec_b64 s[38:39], s[6:7]
	s_cbranch_execnz .LBB692_311
.LBB692_252:
	s_or_b64 exec, exec, s[38:39]
	s_and_saveexec_b64 s[38:39], s[4:5]
	s_cbranch_execnz .LBB692_312
.LBB692_253:
	s_or_b64 exec, exec, s[38:39]
	s_and_saveexec_b64 s[38:39], s[2:3]
	s_cbranch_execz .LBB692_255
.LBB692_254:
	v_sub_u32_e32 v10, v23, v8
	v_mov_b32_e32 v11, 0
	v_lshlrev_b64 v[10:11], 3, v[10:11]
	v_add_co_u32_e32 v10, vcc, v6, v10
	v_addc_co_u32_e32 v11, vcc, v7, v11, vcc
	global_store_dwordx2 v[10:11], v[68:69], off
.LBB692_255:
	s_or_b64 exec, exec, s[38:39]
	s_and_b64 s[38:39], s[0:1], exec
	s_andn2_saveexec_b64 s[30:31], s[30:31]
	s_cbranch_execz .LBB692_188
.LBB692_256:
	v_sub_u32_e32 v10, v97, v8
	v_mov_b32_e32 v11, 0
	v_lshlrev_b64 v[12:13], 3, v[10:11]
	v_add_co_u32_e32 v12, vcc, v6, v12
	v_addc_co_u32_e32 v13, vcc, v7, v13, vcc
	v_sub_u32_e32 v10, v35, v8
	global_store_dwordx2 v[12:13], v[66:67], off
	v_lshlrev_b64 v[12:13], 3, v[10:11]
	v_add_co_u32_e32 v12, vcc, v6, v12
	v_addc_co_u32_e32 v13, vcc, v7, v13, vcc
	v_sub_u32_e32 v10, v34, v8
	global_store_dwordx2 v[12:13], v[42:43], off
	;; [unrolled: 5-line block ×12, first 2 shown]
	v_lshlrev_b64 v[12:13], 3, v[10:11]
	v_add_co_u32_e32 v12, vcc, v6, v12
	v_sub_u32_e32 v10, v23, v8
	v_addc_co_u32_e32 v13, vcc, v7, v13, vcc
	v_lshlrev_b64 v[10:11], 3, v[10:11]
	v_add_co_u32_e32 v10, vcc, v6, v10
	v_addc_co_u32_e32 v11, vcc, v7, v11, vcc
	s_or_b64 s[38:39], s[38:39], exec
	global_store_dwordx2 v[12:13], v[64:65], off
	global_store_dwordx2 v[10:11], v[68:69], off
	s_or_b64 exec, exec, s[30:31]
	s_and_b64 exec, exec, s[38:39]
	s_cbranch_execnz .LBB692_189
	s_branch .LBB692_190
.LBB692_257:
	s_and_saveexec_b64 s[38:39], s[28:29]
	s_cbranch_execnz .LBB692_313
; %bb.258:
	s_or_b64 exec, exec, s[38:39]
	s_and_saveexec_b64 s[28:29], s[26:27]
	s_cbranch_execnz .LBB692_314
.LBB692_259:
	s_or_b64 exec, exec, s[28:29]
	s_and_saveexec_b64 s[26:27], s[24:25]
	s_cbranch_execnz .LBB692_315
.LBB692_260:
	s_or_b64 exec, exec, s[26:27]
	s_and_saveexec_b64 s[24:25], s[22:23]
	s_cbranch_execnz .LBB692_316
.LBB692_261:
	s_or_b64 exec, exec, s[24:25]
	s_and_saveexec_b64 s[22:23], s[20:21]
	s_cbranch_execnz .LBB692_317
.LBB692_262:
	s_or_b64 exec, exec, s[22:23]
	s_and_saveexec_b64 s[20:21], s[18:19]
	s_cbranch_execnz .LBB692_318
.LBB692_263:
	s_or_b64 exec, exec, s[20:21]
	s_and_saveexec_b64 s[18:19], s[16:17]
	s_cbranch_execnz .LBB692_319
.LBB692_264:
	s_or_b64 exec, exec, s[18:19]
	s_and_saveexec_b64 s[16:17], s[14:15]
	s_cbranch_execnz .LBB692_320
.LBB692_265:
	s_or_b64 exec, exec, s[16:17]
	s_and_saveexec_b64 s[14:15], s[12:13]
	s_cbranch_execnz .LBB692_321
.LBB692_266:
	s_or_b64 exec, exec, s[14:15]
	s_and_saveexec_b64 s[12:13], s[10:11]
	s_cbranch_execnz .LBB692_322
.LBB692_267:
	s_or_b64 exec, exec, s[12:13]
	s_and_saveexec_b64 s[10:11], s[8:9]
	s_cbranch_execnz .LBB692_323
.LBB692_268:
	s_or_b64 exec, exec, s[10:11]
	s_and_saveexec_b64 s[8:9], s[6:7]
	s_cbranch_execnz .LBB692_324
.LBB692_269:
	s_or_b64 exec, exec, s[8:9]
	s_and_saveexec_b64 s[6:7], s[4:5]
	s_cbranch_execnz .LBB692_325
.LBB692_270:
	s_or_b64 exec, exec, s[6:7]
	s_and_saveexec_b64 s[4:5], s[2:3]
	s_cbranch_execz .LBB692_272
.LBB692_271:
	v_sub_u32_e32 v9, v23, v8
	v_lshlrev_b32_e32 v9, 3, v9
	ds_write_b64 v9, v[68:69]
.LBB692_272:
	s_or_b64 exec, exec, s[4:5]
	s_and_b64 s[38:39], s[0:1], exec
                                        ; implicit-def: $vgpr66_vgpr67
                                        ; implicit-def: $vgpr42_vgpr43
                                        ; implicit-def: $vgpr44_vgpr45
                                        ; implicit-def: $vgpr46_vgpr47
                                        ; implicit-def: $vgpr48_vgpr49
                                        ; implicit-def: $vgpr50_vgpr51
                                        ; implicit-def: $vgpr52_vgpr53
                                        ; implicit-def: $vgpr54_vgpr55
                                        ; implicit-def: $vgpr56_vgpr57
                                        ; implicit-def: $vgpr58_vgpr59
                                        ; implicit-def: $vgpr60_vgpr61
                                        ; implicit-def: $vgpr62_vgpr63
                                        ; implicit-def: $vgpr64_vgpr65
                                        ; implicit-def: $vgpr68_vgpr69
                                        ; implicit-def: $vgpr97
                                        ; implicit-def: $vgpr35
                                        ; implicit-def: $vgpr34
                                        ; implicit-def: $vgpr33
                                        ; implicit-def: $vgpr32
                                        ; implicit-def: $vgpr31
                                        ; implicit-def: $vgpr30
                                        ; implicit-def: $vgpr29
                                        ; implicit-def: $vgpr28
                                        ; implicit-def: $vgpr27
                                        ; implicit-def: $vgpr26
                                        ; implicit-def: $vgpr25
                                        ; implicit-def: $vgpr24
                                        ; implicit-def: $vgpr23
	s_andn2_saveexec_b64 s[0:1], s[36:37]
	s_cbranch_execz .LBB692_195
.LBB692_273:
	v_sub_u32_e32 v9, v97, v8
	v_lshlrev_b32_e32 v9, 3, v9
	ds_write_b64 v9, v[66:67]
	v_sub_u32_e32 v9, v35, v8
	v_lshlrev_b32_e32 v9, 3, v9
	ds_write_b64 v9, v[42:43]
	;; [unrolled: 3-line block ×13, first 2 shown]
	v_sub_u32_e32 v9, v23, v8
	v_lshlrev_b32_e32 v9, 3, v9
	s_or_b64 s[38:39], s[38:39], exec
	ds_write_b64 v9, v[68:69]
	s_or_b64 exec, exec, s[0:1]
	s_and_b64 exec, exec, s[38:39]
	s_cbranch_execnz .LBB692_196
	s_branch .LBB692_197
.LBB692_274:
	v_sub_u32_e32 v7, v97, v40
	v_readfirstlane_b32 s40, v20
	v_readfirstlane_b32 s41, v21
	s_nop 4
	global_store_byte v7, v2, s[40:41]
	s_or_b64 exec, exec, s[38:39]
	s_and_saveexec_b64 s[38:39], s[26:27]
	s_cbranch_execz .LBB692_208
.LBB692_275:
	v_sub_u32_e32 v7, v35, v40
	v_readfirstlane_b32 s40, v20
	v_readfirstlane_b32 s41, v21
	s_nop 4
	global_store_byte v7, v90, s[40:41]
	s_or_b64 exec, exec, s[38:39]
	s_and_saveexec_b64 s[38:39], s[24:25]
	s_cbranch_execz .LBB692_209
.LBB692_276:
	v_sub_u32_e32 v7, v34, v40
	v_readfirstlane_b32 s40, v20
	v_readfirstlane_b32 s41, v21
	s_nop 4
	global_store_byte v7, v88, s[40:41]
	s_or_b64 exec, exec, s[38:39]
	s_and_saveexec_b64 s[38:39], s[22:23]
	s_cbranch_execz .LBB692_210
.LBB692_277:
	v_sub_u32_e32 v7, v33, v40
	v_readfirstlane_b32 s40, v20
	v_readfirstlane_b32 s41, v21
	s_nop 4
	global_store_byte v7, v87, s[40:41]
	s_or_b64 exec, exec, s[38:39]
	s_and_saveexec_b64 s[38:39], s[20:21]
	s_cbranch_execz .LBB692_211
.LBB692_278:
	v_sub_u32_e32 v7, v32, v40
	v_readfirstlane_b32 s40, v20
	v_readfirstlane_b32 s41, v21
	s_nop 4
	global_store_byte v7, v3, s[40:41]
	s_or_b64 exec, exec, s[38:39]
	s_and_saveexec_b64 s[38:39], s[18:19]
	s_cbranch_execz .LBB692_212
.LBB692_279:
	v_sub_u32_e32 v7, v31, v40
	v_readfirstlane_b32 s40, v20
	v_readfirstlane_b32 s41, v21
	s_nop 4
	global_store_byte v7, v85, s[40:41]
	s_or_b64 exec, exec, s[38:39]
	s_and_saveexec_b64 s[38:39], s[16:17]
	s_cbranch_execz .LBB692_213
.LBB692_280:
	v_sub_u32_e32 v7, v30, v40
	v_readfirstlane_b32 s40, v20
	v_readfirstlane_b32 s41, v21
	s_nop 4
	global_store_byte v7, v83, s[40:41]
	s_or_b64 exec, exec, s[38:39]
	s_and_saveexec_b64 s[38:39], s[14:15]
	s_cbranch_execz .LBB692_214
.LBB692_281:
	v_sub_u32_e32 v7, v29, v40
	v_readfirstlane_b32 s40, v20
	v_readfirstlane_b32 s41, v21
	s_nop 4
	global_store_byte v7, v81, s[40:41]
	s_or_b64 exec, exec, s[38:39]
	s_and_saveexec_b64 s[38:39], s[12:13]
	s_cbranch_execz .LBB692_215
.LBB692_282:
	v_sub_u32_e32 v7, v28, v40
	v_readfirstlane_b32 s40, v20
	v_readfirstlane_b32 s41, v21
	s_nop 4
	global_store_byte v7, v4, s[40:41]
	s_or_b64 exec, exec, s[38:39]
	s_and_saveexec_b64 s[38:39], s[10:11]
	s_cbranch_execz .LBB692_216
.LBB692_283:
	v_sub_u32_e32 v7, v27, v40
	v_readfirstlane_b32 s40, v20
	v_readfirstlane_b32 s41, v21
	s_nop 4
	global_store_byte v7, v79, s[40:41]
	s_or_b64 exec, exec, s[38:39]
	s_and_saveexec_b64 s[38:39], s[8:9]
	s_cbranch_execz .LBB692_217
.LBB692_284:
	v_sub_u32_e32 v7, v26, v40
	v_readfirstlane_b32 s40, v20
	v_readfirstlane_b32 s41, v21
	s_nop 4
	global_store_byte v7, v78, s[40:41]
	s_or_b64 exec, exec, s[38:39]
	s_and_saveexec_b64 s[38:39], s[6:7]
	s_cbranch_execz .LBB692_218
.LBB692_285:
	v_sub_u32_e32 v7, v25, v40
	v_readfirstlane_b32 s40, v20
	v_readfirstlane_b32 s41, v21
	s_nop 4
	global_store_byte v7, v76, s[40:41]
	s_or_b64 exec, exec, s[38:39]
	s_and_saveexec_b64 s[38:39], s[4:5]
	s_cbranch_execz .LBB692_219
.LBB692_286:
	v_sub_u32_e32 v7, v24, v40
	v_readfirstlane_b32 s40, v20
	v_readfirstlane_b32 s41, v21
	s_nop 4
	global_store_byte v7, v72, s[40:41]
	s_or_b64 exec, exec, s[38:39]
	s_and_saveexec_b64 s[38:39], s[2:3]
	s_cbranch_execnz .LBB692_220
	s_branch .LBB692_221
.LBB692_287:
	v_sub_u32_e32 v6, v97, v40
	ds_write_b8 v6, v2
	s_or_b64 exec, exec, s[38:39]
	s_and_saveexec_b64 s[28:29], s[26:27]
	s_cbranch_execz .LBB692_225
.LBB692_288:
	v_sub_u32_e32 v2, v35, v40
	ds_write_b8 v2, v90
	s_or_b64 exec, exec, s[28:29]
	s_and_saveexec_b64 s[26:27], s[24:25]
	s_cbranch_execz .LBB692_226
.LBB692_289:
	v_sub_u32_e32 v2, v34, v40
	ds_write_b8 v2, v88
	s_or_b64 exec, exec, s[26:27]
	s_and_saveexec_b64 s[24:25], s[22:23]
	s_cbranch_execz .LBB692_227
.LBB692_290:
	v_sub_u32_e32 v2, v33, v40
	ds_write_b8 v2, v87
	s_or_b64 exec, exec, s[24:25]
	s_and_saveexec_b64 s[22:23], s[20:21]
	s_cbranch_execz .LBB692_228
.LBB692_291:
	v_sub_u32_e32 v2, v32, v40
	ds_write_b8 v2, v3
	s_or_b64 exec, exec, s[22:23]
	s_and_saveexec_b64 s[20:21], s[18:19]
	s_cbranch_execz .LBB692_229
.LBB692_292:
	v_sub_u32_e32 v2, v31, v40
	ds_write_b8 v2, v85
	s_or_b64 exec, exec, s[20:21]
	s_and_saveexec_b64 s[18:19], s[16:17]
	s_cbranch_execz .LBB692_230
.LBB692_293:
	v_sub_u32_e32 v2, v30, v40
	ds_write_b8 v2, v83
	s_or_b64 exec, exec, s[18:19]
	s_and_saveexec_b64 s[16:17], s[14:15]
	s_cbranch_execz .LBB692_231
.LBB692_294:
	v_sub_u32_e32 v2, v29, v40
	ds_write_b8 v2, v81
	s_or_b64 exec, exec, s[16:17]
	s_and_saveexec_b64 s[14:15], s[12:13]
	s_cbranch_execz .LBB692_232
.LBB692_295:
	v_sub_u32_e32 v2, v28, v40
	ds_write_b8 v2, v4
	s_or_b64 exec, exec, s[14:15]
	s_and_saveexec_b64 s[12:13], s[10:11]
	s_cbranch_execz .LBB692_233
.LBB692_296:
	v_sub_u32_e32 v2, v27, v40
	ds_write_b8 v2, v79
	s_or_b64 exec, exec, s[12:13]
	s_and_saveexec_b64 s[10:11], s[8:9]
	s_cbranch_execz .LBB692_234
.LBB692_297:
	v_sub_u32_e32 v2, v26, v40
	ds_write_b8 v2, v78
	s_or_b64 exec, exec, s[10:11]
	s_and_saveexec_b64 s[8:9], s[6:7]
	s_cbranch_execz .LBB692_235
.LBB692_298:
	v_sub_u32_e32 v2, v25, v40
	ds_write_b8 v2, v76
	s_or_b64 exec, exec, s[8:9]
	s_and_saveexec_b64 s[6:7], s[4:5]
	s_cbranch_execz .LBB692_236
.LBB692_299:
	v_sub_u32_e32 v2, v24, v40
	ds_write_b8 v2, v72
	s_or_b64 exec, exec, s[6:7]
	s_and_saveexec_b64 s[4:5], s[2:3]
	s_cbranch_execnz .LBB692_237
	s_branch .LBB692_238
.LBB692_300:
	v_sub_u32_e32 v10, v97, v8
	v_mov_b32_e32 v11, 0
	v_lshlrev_b64 v[10:11], 3, v[10:11]
	v_add_co_u32_e32 v10, vcc, v6, v10
	v_addc_co_u32_e32 v11, vcc, v7, v11, vcc
	global_store_dwordx2 v[10:11], v[66:67], off
	s_or_b64 exec, exec, s[38:39]
	s_and_saveexec_b64 s[38:39], s[26:27]
	s_cbranch_execz .LBB692_242
.LBB692_301:
	v_sub_u32_e32 v10, v35, v8
	v_mov_b32_e32 v11, 0
	v_lshlrev_b64 v[10:11], 3, v[10:11]
	v_add_co_u32_e32 v10, vcc, v6, v10
	v_addc_co_u32_e32 v11, vcc, v7, v11, vcc
	global_store_dwordx2 v[10:11], v[42:43], off
	s_or_b64 exec, exec, s[38:39]
	s_and_saveexec_b64 s[38:39], s[24:25]
	s_cbranch_execz .LBB692_243
.LBB692_302:
	v_sub_u32_e32 v10, v34, v8
	v_mov_b32_e32 v11, 0
	v_lshlrev_b64 v[10:11], 3, v[10:11]
	v_add_co_u32_e32 v10, vcc, v6, v10
	v_addc_co_u32_e32 v11, vcc, v7, v11, vcc
	global_store_dwordx2 v[10:11], v[44:45], off
	s_or_b64 exec, exec, s[38:39]
	s_and_saveexec_b64 s[38:39], s[22:23]
	s_cbranch_execz .LBB692_244
.LBB692_303:
	v_sub_u32_e32 v10, v33, v8
	v_mov_b32_e32 v11, 0
	v_lshlrev_b64 v[10:11], 3, v[10:11]
	v_add_co_u32_e32 v10, vcc, v6, v10
	v_addc_co_u32_e32 v11, vcc, v7, v11, vcc
	global_store_dwordx2 v[10:11], v[46:47], off
	s_or_b64 exec, exec, s[38:39]
	s_and_saveexec_b64 s[38:39], s[20:21]
	s_cbranch_execz .LBB692_245
.LBB692_304:
	v_sub_u32_e32 v10, v32, v8
	v_mov_b32_e32 v11, 0
	v_lshlrev_b64 v[10:11], 3, v[10:11]
	v_add_co_u32_e32 v10, vcc, v6, v10
	v_addc_co_u32_e32 v11, vcc, v7, v11, vcc
	global_store_dwordx2 v[10:11], v[48:49], off
	s_or_b64 exec, exec, s[38:39]
	s_and_saveexec_b64 s[38:39], s[18:19]
	s_cbranch_execz .LBB692_246
.LBB692_305:
	v_sub_u32_e32 v10, v31, v8
	v_mov_b32_e32 v11, 0
	v_lshlrev_b64 v[10:11], 3, v[10:11]
	v_add_co_u32_e32 v10, vcc, v6, v10
	v_addc_co_u32_e32 v11, vcc, v7, v11, vcc
	global_store_dwordx2 v[10:11], v[50:51], off
	s_or_b64 exec, exec, s[38:39]
	s_and_saveexec_b64 s[38:39], s[16:17]
	s_cbranch_execz .LBB692_247
.LBB692_306:
	v_sub_u32_e32 v10, v30, v8
	v_mov_b32_e32 v11, 0
	v_lshlrev_b64 v[10:11], 3, v[10:11]
	v_add_co_u32_e32 v10, vcc, v6, v10
	v_addc_co_u32_e32 v11, vcc, v7, v11, vcc
	global_store_dwordx2 v[10:11], v[52:53], off
	s_or_b64 exec, exec, s[38:39]
	s_and_saveexec_b64 s[38:39], s[14:15]
	s_cbranch_execz .LBB692_248
.LBB692_307:
	v_sub_u32_e32 v10, v29, v8
	v_mov_b32_e32 v11, 0
	v_lshlrev_b64 v[10:11], 3, v[10:11]
	v_add_co_u32_e32 v10, vcc, v6, v10
	v_addc_co_u32_e32 v11, vcc, v7, v11, vcc
	global_store_dwordx2 v[10:11], v[54:55], off
	s_or_b64 exec, exec, s[38:39]
	s_and_saveexec_b64 s[38:39], s[12:13]
	s_cbranch_execz .LBB692_249
.LBB692_308:
	v_sub_u32_e32 v10, v28, v8
	v_mov_b32_e32 v11, 0
	v_lshlrev_b64 v[10:11], 3, v[10:11]
	v_add_co_u32_e32 v10, vcc, v6, v10
	v_addc_co_u32_e32 v11, vcc, v7, v11, vcc
	global_store_dwordx2 v[10:11], v[56:57], off
	s_or_b64 exec, exec, s[38:39]
	s_and_saveexec_b64 s[38:39], s[10:11]
	s_cbranch_execz .LBB692_250
.LBB692_309:
	v_sub_u32_e32 v10, v27, v8
	v_mov_b32_e32 v11, 0
	v_lshlrev_b64 v[10:11], 3, v[10:11]
	v_add_co_u32_e32 v10, vcc, v6, v10
	v_addc_co_u32_e32 v11, vcc, v7, v11, vcc
	global_store_dwordx2 v[10:11], v[58:59], off
	s_or_b64 exec, exec, s[38:39]
	s_and_saveexec_b64 s[38:39], s[8:9]
	s_cbranch_execz .LBB692_251
.LBB692_310:
	v_sub_u32_e32 v10, v26, v8
	v_mov_b32_e32 v11, 0
	v_lshlrev_b64 v[10:11], 3, v[10:11]
	v_add_co_u32_e32 v10, vcc, v6, v10
	v_addc_co_u32_e32 v11, vcc, v7, v11, vcc
	global_store_dwordx2 v[10:11], v[60:61], off
	s_or_b64 exec, exec, s[38:39]
	s_and_saveexec_b64 s[38:39], s[6:7]
	s_cbranch_execz .LBB692_252
.LBB692_311:
	v_sub_u32_e32 v10, v25, v8
	v_mov_b32_e32 v11, 0
	v_lshlrev_b64 v[10:11], 3, v[10:11]
	v_add_co_u32_e32 v10, vcc, v6, v10
	v_addc_co_u32_e32 v11, vcc, v7, v11, vcc
	global_store_dwordx2 v[10:11], v[62:63], off
	s_or_b64 exec, exec, s[38:39]
	s_and_saveexec_b64 s[38:39], s[4:5]
	s_cbranch_execz .LBB692_253
.LBB692_312:
	v_sub_u32_e32 v10, v24, v8
	v_mov_b32_e32 v11, 0
	v_lshlrev_b64 v[10:11], 3, v[10:11]
	v_add_co_u32_e32 v10, vcc, v6, v10
	v_addc_co_u32_e32 v11, vcc, v7, v11, vcc
	global_store_dwordx2 v[10:11], v[64:65], off
	s_or_b64 exec, exec, s[38:39]
	s_and_saveexec_b64 s[38:39], s[2:3]
	s_cbranch_execnz .LBB692_254
	s_branch .LBB692_255
.LBB692_313:
	v_sub_u32_e32 v9, v97, v8
	v_lshlrev_b32_e32 v9, 3, v9
	ds_write_b64 v9, v[66:67]
	s_or_b64 exec, exec, s[38:39]
	s_and_saveexec_b64 s[28:29], s[26:27]
	s_cbranch_execz .LBB692_259
.LBB692_314:
	v_sub_u32_e32 v9, v35, v8
	v_lshlrev_b32_e32 v9, 3, v9
	ds_write_b64 v9, v[42:43]
	s_or_b64 exec, exec, s[28:29]
	s_and_saveexec_b64 s[26:27], s[24:25]
	s_cbranch_execz .LBB692_260
.LBB692_315:
	v_sub_u32_e32 v9, v34, v8
	v_lshlrev_b32_e32 v9, 3, v9
	ds_write_b64 v9, v[44:45]
	s_or_b64 exec, exec, s[26:27]
	s_and_saveexec_b64 s[24:25], s[22:23]
	s_cbranch_execz .LBB692_261
.LBB692_316:
	v_sub_u32_e32 v9, v33, v8
	v_lshlrev_b32_e32 v9, 3, v9
	ds_write_b64 v9, v[46:47]
	s_or_b64 exec, exec, s[24:25]
	s_and_saveexec_b64 s[22:23], s[20:21]
	s_cbranch_execz .LBB692_262
.LBB692_317:
	v_sub_u32_e32 v9, v32, v8
	v_lshlrev_b32_e32 v9, 3, v9
	ds_write_b64 v9, v[48:49]
	s_or_b64 exec, exec, s[22:23]
	s_and_saveexec_b64 s[20:21], s[18:19]
	s_cbranch_execz .LBB692_263
.LBB692_318:
	v_sub_u32_e32 v9, v31, v8
	v_lshlrev_b32_e32 v9, 3, v9
	ds_write_b64 v9, v[50:51]
	s_or_b64 exec, exec, s[20:21]
	s_and_saveexec_b64 s[18:19], s[16:17]
	s_cbranch_execz .LBB692_264
.LBB692_319:
	v_sub_u32_e32 v9, v30, v8
	v_lshlrev_b32_e32 v9, 3, v9
	ds_write_b64 v9, v[52:53]
	s_or_b64 exec, exec, s[18:19]
	s_and_saveexec_b64 s[16:17], s[14:15]
	s_cbranch_execz .LBB692_265
.LBB692_320:
	v_sub_u32_e32 v9, v29, v8
	v_lshlrev_b32_e32 v9, 3, v9
	ds_write_b64 v9, v[54:55]
	s_or_b64 exec, exec, s[16:17]
	s_and_saveexec_b64 s[14:15], s[12:13]
	s_cbranch_execz .LBB692_266
.LBB692_321:
	v_sub_u32_e32 v9, v28, v8
	v_lshlrev_b32_e32 v9, 3, v9
	ds_write_b64 v9, v[56:57]
	s_or_b64 exec, exec, s[14:15]
	s_and_saveexec_b64 s[12:13], s[10:11]
	s_cbranch_execz .LBB692_267
.LBB692_322:
	v_sub_u32_e32 v9, v27, v8
	v_lshlrev_b32_e32 v9, 3, v9
	ds_write_b64 v9, v[58:59]
	s_or_b64 exec, exec, s[12:13]
	s_and_saveexec_b64 s[10:11], s[8:9]
	s_cbranch_execz .LBB692_268
.LBB692_323:
	v_sub_u32_e32 v9, v26, v8
	v_lshlrev_b32_e32 v9, 3, v9
	ds_write_b64 v9, v[60:61]
	s_or_b64 exec, exec, s[10:11]
	s_and_saveexec_b64 s[8:9], s[6:7]
	s_cbranch_execz .LBB692_269
.LBB692_324:
	v_sub_u32_e32 v9, v25, v8
	v_lshlrev_b32_e32 v9, 3, v9
	ds_write_b64 v9, v[62:63]
	s_or_b64 exec, exec, s[8:9]
	s_and_saveexec_b64 s[6:7], s[4:5]
	s_cbranch_execz .LBB692_270
.LBB692_325:
	v_sub_u32_e32 v9, v24, v8
	v_lshlrev_b32_e32 v9, 3, v9
	ds_write_b64 v9, v[64:65]
	s_or_b64 exec, exec, s[6:7]
	s_and_saveexec_b64 s[4:5], s[2:3]
	s_cbranch_execnz .LBB692_271
	s_branch .LBB692_272
	.section	.rodata,"a",@progbits
	.p2align	6, 0x0
	.amdhsa_kernel _ZN7rocprim17ROCPRIM_400000_NS6detail17trampoline_kernelINS0_14default_configENS1_29reduce_by_key_config_selectorIalN6thrust23THRUST_200600_302600_NS4plusIlEEEEZZNS1_33reduce_by_key_impl_wrapped_configILNS1_25lookback_scan_determinismE0ES3_S9_PaNS6_17constant_iteratorIiNS6_11use_defaultESE_EENS6_10device_ptrIaEENSG_IlEEPmS8_NS6_8equal_toIaEEEE10hipError_tPvRmT2_T3_mT4_T5_T6_T7_T8_P12ihipStream_tbENKUlT_T0_E_clISt17integral_constantIbLb1EES12_IbLb0EEEEDaSY_SZ_EUlSY_E_NS1_11comp_targetILNS1_3genE4ELNS1_11target_archE910ELNS1_3gpuE8ELNS1_3repE0EEENS1_30default_config_static_selectorELNS0_4arch9wavefront6targetE1EEEvT1_
		.amdhsa_group_segment_fixed_size 30720
		.amdhsa_private_segment_fixed_size 0
		.amdhsa_kernarg_size 144
		.amdhsa_user_sgpr_count 6
		.amdhsa_user_sgpr_private_segment_buffer 1
		.amdhsa_user_sgpr_dispatch_ptr 0
		.amdhsa_user_sgpr_queue_ptr 0
		.amdhsa_user_sgpr_kernarg_segment_ptr 1
		.amdhsa_user_sgpr_dispatch_id 0
		.amdhsa_user_sgpr_flat_scratch_init 0
		.amdhsa_user_sgpr_kernarg_preload_length 0
		.amdhsa_user_sgpr_kernarg_preload_offset 0
		.amdhsa_user_sgpr_private_segment_size 0
		.amdhsa_uses_dynamic_stack 0
		.amdhsa_system_sgpr_private_segment_wavefront_offset 0
		.amdhsa_system_sgpr_workgroup_id_x 1
		.amdhsa_system_sgpr_workgroup_id_y 0
		.amdhsa_system_sgpr_workgroup_id_z 0
		.amdhsa_system_sgpr_workgroup_info 0
		.amdhsa_system_vgpr_workitem_id 0
		.amdhsa_next_free_vgpr 133
		.amdhsa_next_free_sgpr 64
		.amdhsa_accum_offset 136
		.amdhsa_reserve_vcc 1
		.amdhsa_reserve_flat_scratch 0
		.amdhsa_float_round_mode_32 0
		.amdhsa_float_round_mode_16_64 0
		.amdhsa_float_denorm_mode_32 3
		.amdhsa_float_denorm_mode_16_64 3
		.amdhsa_dx10_clamp 1
		.amdhsa_ieee_mode 1
		.amdhsa_fp16_overflow 0
		.amdhsa_tg_split 0
		.amdhsa_exception_fp_ieee_invalid_op 0
		.amdhsa_exception_fp_denorm_src 0
		.amdhsa_exception_fp_ieee_div_zero 0
		.amdhsa_exception_fp_ieee_overflow 0
		.amdhsa_exception_fp_ieee_underflow 0
		.amdhsa_exception_fp_ieee_inexact 0
		.amdhsa_exception_int_div_zero 0
	.end_amdhsa_kernel
	.section	.text._ZN7rocprim17ROCPRIM_400000_NS6detail17trampoline_kernelINS0_14default_configENS1_29reduce_by_key_config_selectorIalN6thrust23THRUST_200600_302600_NS4plusIlEEEEZZNS1_33reduce_by_key_impl_wrapped_configILNS1_25lookback_scan_determinismE0ES3_S9_PaNS6_17constant_iteratorIiNS6_11use_defaultESE_EENS6_10device_ptrIaEENSG_IlEEPmS8_NS6_8equal_toIaEEEE10hipError_tPvRmT2_T3_mT4_T5_T6_T7_T8_P12ihipStream_tbENKUlT_T0_E_clISt17integral_constantIbLb1EES12_IbLb0EEEEDaSY_SZ_EUlSY_E_NS1_11comp_targetILNS1_3genE4ELNS1_11target_archE910ELNS1_3gpuE8ELNS1_3repE0EEENS1_30default_config_static_selectorELNS0_4arch9wavefront6targetE1EEEvT1_,"axG",@progbits,_ZN7rocprim17ROCPRIM_400000_NS6detail17trampoline_kernelINS0_14default_configENS1_29reduce_by_key_config_selectorIalN6thrust23THRUST_200600_302600_NS4plusIlEEEEZZNS1_33reduce_by_key_impl_wrapped_configILNS1_25lookback_scan_determinismE0ES3_S9_PaNS6_17constant_iteratorIiNS6_11use_defaultESE_EENS6_10device_ptrIaEENSG_IlEEPmS8_NS6_8equal_toIaEEEE10hipError_tPvRmT2_T3_mT4_T5_T6_T7_T8_P12ihipStream_tbENKUlT_T0_E_clISt17integral_constantIbLb1EES12_IbLb0EEEEDaSY_SZ_EUlSY_E_NS1_11comp_targetILNS1_3genE4ELNS1_11target_archE910ELNS1_3gpuE8ELNS1_3repE0EEENS1_30default_config_static_selectorELNS0_4arch9wavefront6targetE1EEEvT1_,comdat
.Lfunc_end692:
	.size	_ZN7rocprim17ROCPRIM_400000_NS6detail17trampoline_kernelINS0_14default_configENS1_29reduce_by_key_config_selectorIalN6thrust23THRUST_200600_302600_NS4plusIlEEEEZZNS1_33reduce_by_key_impl_wrapped_configILNS1_25lookback_scan_determinismE0ES3_S9_PaNS6_17constant_iteratorIiNS6_11use_defaultESE_EENS6_10device_ptrIaEENSG_IlEEPmS8_NS6_8equal_toIaEEEE10hipError_tPvRmT2_T3_mT4_T5_T6_T7_T8_P12ihipStream_tbENKUlT_T0_E_clISt17integral_constantIbLb1EES12_IbLb0EEEEDaSY_SZ_EUlSY_E_NS1_11comp_targetILNS1_3genE4ELNS1_11target_archE910ELNS1_3gpuE8ELNS1_3repE0EEENS1_30default_config_static_selectorELNS0_4arch9wavefront6targetE1EEEvT1_, .Lfunc_end692-_ZN7rocprim17ROCPRIM_400000_NS6detail17trampoline_kernelINS0_14default_configENS1_29reduce_by_key_config_selectorIalN6thrust23THRUST_200600_302600_NS4plusIlEEEEZZNS1_33reduce_by_key_impl_wrapped_configILNS1_25lookback_scan_determinismE0ES3_S9_PaNS6_17constant_iteratorIiNS6_11use_defaultESE_EENS6_10device_ptrIaEENSG_IlEEPmS8_NS6_8equal_toIaEEEE10hipError_tPvRmT2_T3_mT4_T5_T6_T7_T8_P12ihipStream_tbENKUlT_T0_E_clISt17integral_constantIbLb1EES12_IbLb0EEEEDaSY_SZ_EUlSY_E_NS1_11comp_targetILNS1_3genE4ELNS1_11target_archE910ELNS1_3gpuE8ELNS1_3repE0EEENS1_30default_config_static_selectorELNS0_4arch9wavefront6targetE1EEEvT1_
                                        ; -- End function
	.section	.AMDGPU.csdata,"",@progbits
; Kernel info:
; codeLenInByte = 16628
; NumSgprs: 68
; NumVgprs: 133
; NumAgprs: 0
; TotalNumVgprs: 133
; ScratchSize: 0
; MemoryBound: 0
; FloatMode: 240
; IeeeMode: 1
; LDSByteSize: 30720 bytes/workgroup (compile time only)
; SGPRBlocks: 8
; VGPRBlocks: 16
; NumSGPRsForWavesPerEU: 68
; NumVGPRsForWavesPerEU: 133
; AccumOffset: 136
; Occupancy: 2
; WaveLimiterHint : 1
; COMPUTE_PGM_RSRC2:SCRATCH_EN: 0
; COMPUTE_PGM_RSRC2:USER_SGPR: 6
; COMPUTE_PGM_RSRC2:TRAP_HANDLER: 0
; COMPUTE_PGM_RSRC2:TGID_X_EN: 1
; COMPUTE_PGM_RSRC2:TGID_Y_EN: 0
; COMPUTE_PGM_RSRC2:TGID_Z_EN: 0
; COMPUTE_PGM_RSRC2:TIDIG_COMP_CNT: 0
; COMPUTE_PGM_RSRC3_GFX90A:ACCUM_OFFSET: 33
; COMPUTE_PGM_RSRC3_GFX90A:TG_SPLIT: 0
	.section	.text._ZN7rocprim17ROCPRIM_400000_NS6detail17trampoline_kernelINS0_14default_configENS1_29reduce_by_key_config_selectorIalN6thrust23THRUST_200600_302600_NS4plusIlEEEEZZNS1_33reduce_by_key_impl_wrapped_configILNS1_25lookback_scan_determinismE0ES3_S9_PaNS6_17constant_iteratorIiNS6_11use_defaultESE_EENS6_10device_ptrIaEENSG_IlEEPmS8_NS6_8equal_toIaEEEE10hipError_tPvRmT2_T3_mT4_T5_T6_T7_T8_P12ihipStream_tbENKUlT_T0_E_clISt17integral_constantIbLb1EES12_IbLb0EEEEDaSY_SZ_EUlSY_E_NS1_11comp_targetILNS1_3genE3ELNS1_11target_archE908ELNS1_3gpuE7ELNS1_3repE0EEENS1_30default_config_static_selectorELNS0_4arch9wavefront6targetE1EEEvT1_,"axG",@progbits,_ZN7rocprim17ROCPRIM_400000_NS6detail17trampoline_kernelINS0_14default_configENS1_29reduce_by_key_config_selectorIalN6thrust23THRUST_200600_302600_NS4plusIlEEEEZZNS1_33reduce_by_key_impl_wrapped_configILNS1_25lookback_scan_determinismE0ES3_S9_PaNS6_17constant_iteratorIiNS6_11use_defaultESE_EENS6_10device_ptrIaEENSG_IlEEPmS8_NS6_8equal_toIaEEEE10hipError_tPvRmT2_T3_mT4_T5_T6_T7_T8_P12ihipStream_tbENKUlT_T0_E_clISt17integral_constantIbLb1EES12_IbLb0EEEEDaSY_SZ_EUlSY_E_NS1_11comp_targetILNS1_3genE3ELNS1_11target_archE908ELNS1_3gpuE7ELNS1_3repE0EEENS1_30default_config_static_selectorELNS0_4arch9wavefront6targetE1EEEvT1_,comdat
	.protected	_ZN7rocprim17ROCPRIM_400000_NS6detail17trampoline_kernelINS0_14default_configENS1_29reduce_by_key_config_selectorIalN6thrust23THRUST_200600_302600_NS4plusIlEEEEZZNS1_33reduce_by_key_impl_wrapped_configILNS1_25lookback_scan_determinismE0ES3_S9_PaNS6_17constant_iteratorIiNS6_11use_defaultESE_EENS6_10device_ptrIaEENSG_IlEEPmS8_NS6_8equal_toIaEEEE10hipError_tPvRmT2_T3_mT4_T5_T6_T7_T8_P12ihipStream_tbENKUlT_T0_E_clISt17integral_constantIbLb1EES12_IbLb0EEEEDaSY_SZ_EUlSY_E_NS1_11comp_targetILNS1_3genE3ELNS1_11target_archE908ELNS1_3gpuE7ELNS1_3repE0EEENS1_30default_config_static_selectorELNS0_4arch9wavefront6targetE1EEEvT1_ ; -- Begin function _ZN7rocprim17ROCPRIM_400000_NS6detail17trampoline_kernelINS0_14default_configENS1_29reduce_by_key_config_selectorIalN6thrust23THRUST_200600_302600_NS4plusIlEEEEZZNS1_33reduce_by_key_impl_wrapped_configILNS1_25lookback_scan_determinismE0ES3_S9_PaNS6_17constant_iteratorIiNS6_11use_defaultESE_EENS6_10device_ptrIaEENSG_IlEEPmS8_NS6_8equal_toIaEEEE10hipError_tPvRmT2_T3_mT4_T5_T6_T7_T8_P12ihipStream_tbENKUlT_T0_E_clISt17integral_constantIbLb1EES12_IbLb0EEEEDaSY_SZ_EUlSY_E_NS1_11comp_targetILNS1_3genE3ELNS1_11target_archE908ELNS1_3gpuE7ELNS1_3repE0EEENS1_30default_config_static_selectorELNS0_4arch9wavefront6targetE1EEEvT1_
	.globl	_ZN7rocprim17ROCPRIM_400000_NS6detail17trampoline_kernelINS0_14default_configENS1_29reduce_by_key_config_selectorIalN6thrust23THRUST_200600_302600_NS4plusIlEEEEZZNS1_33reduce_by_key_impl_wrapped_configILNS1_25lookback_scan_determinismE0ES3_S9_PaNS6_17constant_iteratorIiNS6_11use_defaultESE_EENS6_10device_ptrIaEENSG_IlEEPmS8_NS6_8equal_toIaEEEE10hipError_tPvRmT2_T3_mT4_T5_T6_T7_T8_P12ihipStream_tbENKUlT_T0_E_clISt17integral_constantIbLb1EES12_IbLb0EEEEDaSY_SZ_EUlSY_E_NS1_11comp_targetILNS1_3genE3ELNS1_11target_archE908ELNS1_3gpuE7ELNS1_3repE0EEENS1_30default_config_static_selectorELNS0_4arch9wavefront6targetE1EEEvT1_
	.p2align	8
	.type	_ZN7rocprim17ROCPRIM_400000_NS6detail17trampoline_kernelINS0_14default_configENS1_29reduce_by_key_config_selectorIalN6thrust23THRUST_200600_302600_NS4plusIlEEEEZZNS1_33reduce_by_key_impl_wrapped_configILNS1_25lookback_scan_determinismE0ES3_S9_PaNS6_17constant_iteratorIiNS6_11use_defaultESE_EENS6_10device_ptrIaEENSG_IlEEPmS8_NS6_8equal_toIaEEEE10hipError_tPvRmT2_T3_mT4_T5_T6_T7_T8_P12ihipStream_tbENKUlT_T0_E_clISt17integral_constantIbLb1EES12_IbLb0EEEEDaSY_SZ_EUlSY_E_NS1_11comp_targetILNS1_3genE3ELNS1_11target_archE908ELNS1_3gpuE7ELNS1_3repE0EEENS1_30default_config_static_selectorELNS0_4arch9wavefront6targetE1EEEvT1_,@function
_ZN7rocprim17ROCPRIM_400000_NS6detail17trampoline_kernelINS0_14default_configENS1_29reduce_by_key_config_selectorIalN6thrust23THRUST_200600_302600_NS4plusIlEEEEZZNS1_33reduce_by_key_impl_wrapped_configILNS1_25lookback_scan_determinismE0ES3_S9_PaNS6_17constant_iteratorIiNS6_11use_defaultESE_EENS6_10device_ptrIaEENSG_IlEEPmS8_NS6_8equal_toIaEEEE10hipError_tPvRmT2_T3_mT4_T5_T6_T7_T8_P12ihipStream_tbENKUlT_T0_E_clISt17integral_constantIbLb1EES12_IbLb0EEEEDaSY_SZ_EUlSY_E_NS1_11comp_targetILNS1_3genE3ELNS1_11target_archE908ELNS1_3gpuE7ELNS1_3repE0EEENS1_30default_config_static_selectorELNS0_4arch9wavefront6targetE1EEEvT1_: ; @_ZN7rocprim17ROCPRIM_400000_NS6detail17trampoline_kernelINS0_14default_configENS1_29reduce_by_key_config_selectorIalN6thrust23THRUST_200600_302600_NS4plusIlEEEEZZNS1_33reduce_by_key_impl_wrapped_configILNS1_25lookback_scan_determinismE0ES3_S9_PaNS6_17constant_iteratorIiNS6_11use_defaultESE_EENS6_10device_ptrIaEENSG_IlEEPmS8_NS6_8equal_toIaEEEE10hipError_tPvRmT2_T3_mT4_T5_T6_T7_T8_P12ihipStream_tbENKUlT_T0_E_clISt17integral_constantIbLb1EES12_IbLb0EEEEDaSY_SZ_EUlSY_E_NS1_11comp_targetILNS1_3genE3ELNS1_11target_archE908ELNS1_3gpuE7ELNS1_3repE0EEENS1_30default_config_static_selectorELNS0_4arch9wavefront6targetE1EEEvT1_
; %bb.0:
	.section	.rodata,"a",@progbits
	.p2align	6, 0x0
	.amdhsa_kernel _ZN7rocprim17ROCPRIM_400000_NS6detail17trampoline_kernelINS0_14default_configENS1_29reduce_by_key_config_selectorIalN6thrust23THRUST_200600_302600_NS4plusIlEEEEZZNS1_33reduce_by_key_impl_wrapped_configILNS1_25lookback_scan_determinismE0ES3_S9_PaNS6_17constant_iteratorIiNS6_11use_defaultESE_EENS6_10device_ptrIaEENSG_IlEEPmS8_NS6_8equal_toIaEEEE10hipError_tPvRmT2_T3_mT4_T5_T6_T7_T8_P12ihipStream_tbENKUlT_T0_E_clISt17integral_constantIbLb1EES12_IbLb0EEEEDaSY_SZ_EUlSY_E_NS1_11comp_targetILNS1_3genE3ELNS1_11target_archE908ELNS1_3gpuE7ELNS1_3repE0EEENS1_30default_config_static_selectorELNS0_4arch9wavefront6targetE1EEEvT1_
		.amdhsa_group_segment_fixed_size 0
		.amdhsa_private_segment_fixed_size 0
		.amdhsa_kernarg_size 144
		.amdhsa_user_sgpr_count 6
		.amdhsa_user_sgpr_private_segment_buffer 1
		.amdhsa_user_sgpr_dispatch_ptr 0
		.amdhsa_user_sgpr_queue_ptr 0
		.amdhsa_user_sgpr_kernarg_segment_ptr 1
		.amdhsa_user_sgpr_dispatch_id 0
		.amdhsa_user_sgpr_flat_scratch_init 0
		.amdhsa_user_sgpr_kernarg_preload_length 0
		.amdhsa_user_sgpr_kernarg_preload_offset 0
		.amdhsa_user_sgpr_private_segment_size 0
		.amdhsa_uses_dynamic_stack 0
		.amdhsa_system_sgpr_private_segment_wavefront_offset 0
		.amdhsa_system_sgpr_workgroup_id_x 1
		.amdhsa_system_sgpr_workgroup_id_y 0
		.amdhsa_system_sgpr_workgroup_id_z 0
		.amdhsa_system_sgpr_workgroup_info 0
		.amdhsa_system_vgpr_workitem_id 0
		.amdhsa_next_free_vgpr 1
		.amdhsa_next_free_sgpr 0
		.amdhsa_accum_offset 4
		.amdhsa_reserve_vcc 0
		.amdhsa_reserve_flat_scratch 0
		.amdhsa_float_round_mode_32 0
		.amdhsa_float_round_mode_16_64 0
		.amdhsa_float_denorm_mode_32 3
		.amdhsa_float_denorm_mode_16_64 3
		.amdhsa_dx10_clamp 1
		.amdhsa_ieee_mode 1
		.amdhsa_fp16_overflow 0
		.amdhsa_tg_split 0
		.amdhsa_exception_fp_ieee_invalid_op 0
		.amdhsa_exception_fp_denorm_src 0
		.amdhsa_exception_fp_ieee_div_zero 0
		.amdhsa_exception_fp_ieee_overflow 0
		.amdhsa_exception_fp_ieee_underflow 0
		.amdhsa_exception_fp_ieee_inexact 0
		.amdhsa_exception_int_div_zero 0
	.end_amdhsa_kernel
	.section	.text._ZN7rocprim17ROCPRIM_400000_NS6detail17trampoline_kernelINS0_14default_configENS1_29reduce_by_key_config_selectorIalN6thrust23THRUST_200600_302600_NS4plusIlEEEEZZNS1_33reduce_by_key_impl_wrapped_configILNS1_25lookback_scan_determinismE0ES3_S9_PaNS6_17constant_iteratorIiNS6_11use_defaultESE_EENS6_10device_ptrIaEENSG_IlEEPmS8_NS6_8equal_toIaEEEE10hipError_tPvRmT2_T3_mT4_T5_T6_T7_T8_P12ihipStream_tbENKUlT_T0_E_clISt17integral_constantIbLb1EES12_IbLb0EEEEDaSY_SZ_EUlSY_E_NS1_11comp_targetILNS1_3genE3ELNS1_11target_archE908ELNS1_3gpuE7ELNS1_3repE0EEENS1_30default_config_static_selectorELNS0_4arch9wavefront6targetE1EEEvT1_,"axG",@progbits,_ZN7rocprim17ROCPRIM_400000_NS6detail17trampoline_kernelINS0_14default_configENS1_29reduce_by_key_config_selectorIalN6thrust23THRUST_200600_302600_NS4plusIlEEEEZZNS1_33reduce_by_key_impl_wrapped_configILNS1_25lookback_scan_determinismE0ES3_S9_PaNS6_17constant_iteratorIiNS6_11use_defaultESE_EENS6_10device_ptrIaEENSG_IlEEPmS8_NS6_8equal_toIaEEEE10hipError_tPvRmT2_T3_mT4_T5_T6_T7_T8_P12ihipStream_tbENKUlT_T0_E_clISt17integral_constantIbLb1EES12_IbLb0EEEEDaSY_SZ_EUlSY_E_NS1_11comp_targetILNS1_3genE3ELNS1_11target_archE908ELNS1_3gpuE7ELNS1_3repE0EEENS1_30default_config_static_selectorELNS0_4arch9wavefront6targetE1EEEvT1_,comdat
.Lfunc_end693:
	.size	_ZN7rocprim17ROCPRIM_400000_NS6detail17trampoline_kernelINS0_14default_configENS1_29reduce_by_key_config_selectorIalN6thrust23THRUST_200600_302600_NS4plusIlEEEEZZNS1_33reduce_by_key_impl_wrapped_configILNS1_25lookback_scan_determinismE0ES3_S9_PaNS6_17constant_iteratorIiNS6_11use_defaultESE_EENS6_10device_ptrIaEENSG_IlEEPmS8_NS6_8equal_toIaEEEE10hipError_tPvRmT2_T3_mT4_T5_T6_T7_T8_P12ihipStream_tbENKUlT_T0_E_clISt17integral_constantIbLb1EES12_IbLb0EEEEDaSY_SZ_EUlSY_E_NS1_11comp_targetILNS1_3genE3ELNS1_11target_archE908ELNS1_3gpuE7ELNS1_3repE0EEENS1_30default_config_static_selectorELNS0_4arch9wavefront6targetE1EEEvT1_, .Lfunc_end693-_ZN7rocprim17ROCPRIM_400000_NS6detail17trampoline_kernelINS0_14default_configENS1_29reduce_by_key_config_selectorIalN6thrust23THRUST_200600_302600_NS4plusIlEEEEZZNS1_33reduce_by_key_impl_wrapped_configILNS1_25lookback_scan_determinismE0ES3_S9_PaNS6_17constant_iteratorIiNS6_11use_defaultESE_EENS6_10device_ptrIaEENSG_IlEEPmS8_NS6_8equal_toIaEEEE10hipError_tPvRmT2_T3_mT4_T5_T6_T7_T8_P12ihipStream_tbENKUlT_T0_E_clISt17integral_constantIbLb1EES12_IbLb0EEEEDaSY_SZ_EUlSY_E_NS1_11comp_targetILNS1_3genE3ELNS1_11target_archE908ELNS1_3gpuE7ELNS1_3repE0EEENS1_30default_config_static_selectorELNS0_4arch9wavefront6targetE1EEEvT1_
                                        ; -- End function
	.section	.AMDGPU.csdata,"",@progbits
; Kernel info:
; codeLenInByte = 0
; NumSgprs: 4
; NumVgprs: 0
; NumAgprs: 0
; TotalNumVgprs: 0
; ScratchSize: 0
; MemoryBound: 0
; FloatMode: 240
; IeeeMode: 1
; LDSByteSize: 0 bytes/workgroup (compile time only)
; SGPRBlocks: 0
; VGPRBlocks: 0
; NumSGPRsForWavesPerEU: 4
; NumVGPRsForWavesPerEU: 1
; AccumOffset: 4
; Occupancy: 8
; WaveLimiterHint : 0
; COMPUTE_PGM_RSRC2:SCRATCH_EN: 0
; COMPUTE_PGM_RSRC2:USER_SGPR: 6
; COMPUTE_PGM_RSRC2:TRAP_HANDLER: 0
; COMPUTE_PGM_RSRC2:TGID_X_EN: 1
; COMPUTE_PGM_RSRC2:TGID_Y_EN: 0
; COMPUTE_PGM_RSRC2:TGID_Z_EN: 0
; COMPUTE_PGM_RSRC2:TIDIG_COMP_CNT: 0
; COMPUTE_PGM_RSRC3_GFX90A:ACCUM_OFFSET: 0
; COMPUTE_PGM_RSRC3_GFX90A:TG_SPLIT: 0
	.section	.text._ZN7rocprim17ROCPRIM_400000_NS6detail17trampoline_kernelINS0_14default_configENS1_29reduce_by_key_config_selectorIalN6thrust23THRUST_200600_302600_NS4plusIlEEEEZZNS1_33reduce_by_key_impl_wrapped_configILNS1_25lookback_scan_determinismE0ES3_S9_PaNS6_17constant_iteratorIiNS6_11use_defaultESE_EENS6_10device_ptrIaEENSG_IlEEPmS8_NS6_8equal_toIaEEEE10hipError_tPvRmT2_T3_mT4_T5_T6_T7_T8_P12ihipStream_tbENKUlT_T0_E_clISt17integral_constantIbLb1EES12_IbLb0EEEEDaSY_SZ_EUlSY_E_NS1_11comp_targetILNS1_3genE2ELNS1_11target_archE906ELNS1_3gpuE6ELNS1_3repE0EEENS1_30default_config_static_selectorELNS0_4arch9wavefront6targetE1EEEvT1_,"axG",@progbits,_ZN7rocprim17ROCPRIM_400000_NS6detail17trampoline_kernelINS0_14default_configENS1_29reduce_by_key_config_selectorIalN6thrust23THRUST_200600_302600_NS4plusIlEEEEZZNS1_33reduce_by_key_impl_wrapped_configILNS1_25lookback_scan_determinismE0ES3_S9_PaNS6_17constant_iteratorIiNS6_11use_defaultESE_EENS6_10device_ptrIaEENSG_IlEEPmS8_NS6_8equal_toIaEEEE10hipError_tPvRmT2_T3_mT4_T5_T6_T7_T8_P12ihipStream_tbENKUlT_T0_E_clISt17integral_constantIbLb1EES12_IbLb0EEEEDaSY_SZ_EUlSY_E_NS1_11comp_targetILNS1_3genE2ELNS1_11target_archE906ELNS1_3gpuE6ELNS1_3repE0EEENS1_30default_config_static_selectorELNS0_4arch9wavefront6targetE1EEEvT1_,comdat
	.protected	_ZN7rocprim17ROCPRIM_400000_NS6detail17trampoline_kernelINS0_14default_configENS1_29reduce_by_key_config_selectorIalN6thrust23THRUST_200600_302600_NS4plusIlEEEEZZNS1_33reduce_by_key_impl_wrapped_configILNS1_25lookback_scan_determinismE0ES3_S9_PaNS6_17constant_iteratorIiNS6_11use_defaultESE_EENS6_10device_ptrIaEENSG_IlEEPmS8_NS6_8equal_toIaEEEE10hipError_tPvRmT2_T3_mT4_T5_T6_T7_T8_P12ihipStream_tbENKUlT_T0_E_clISt17integral_constantIbLb1EES12_IbLb0EEEEDaSY_SZ_EUlSY_E_NS1_11comp_targetILNS1_3genE2ELNS1_11target_archE906ELNS1_3gpuE6ELNS1_3repE0EEENS1_30default_config_static_selectorELNS0_4arch9wavefront6targetE1EEEvT1_ ; -- Begin function _ZN7rocprim17ROCPRIM_400000_NS6detail17trampoline_kernelINS0_14default_configENS1_29reduce_by_key_config_selectorIalN6thrust23THRUST_200600_302600_NS4plusIlEEEEZZNS1_33reduce_by_key_impl_wrapped_configILNS1_25lookback_scan_determinismE0ES3_S9_PaNS6_17constant_iteratorIiNS6_11use_defaultESE_EENS6_10device_ptrIaEENSG_IlEEPmS8_NS6_8equal_toIaEEEE10hipError_tPvRmT2_T3_mT4_T5_T6_T7_T8_P12ihipStream_tbENKUlT_T0_E_clISt17integral_constantIbLb1EES12_IbLb0EEEEDaSY_SZ_EUlSY_E_NS1_11comp_targetILNS1_3genE2ELNS1_11target_archE906ELNS1_3gpuE6ELNS1_3repE0EEENS1_30default_config_static_selectorELNS0_4arch9wavefront6targetE1EEEvT1_
	.globl	_ZN7rocprim17ROCPRIM_400000_NS6detail17trampoline_kernelINS0_14default_configENS1_29reduce_by_key_config_selectorIalN6thrust23THRUST_200600_302600_NS4plusIlEEEEZZNS1_33reduce_by_key_impl_wrapped_configILNS1_25lookback_scan_determinismE0ES3_S9_PaNS6_17constant_iteratorIiNS6_11use_defaultESE_EENS6_10device_ptrIaEENSG_IlEEPmS8_NS6_8equal_toIaEEEE10hipError_tPvRmT2_T3_mT4_T5_T6_T7_T8_P12ihipStream_tbENKUlT_T0_E_clISt17integral_constantIbLb1EES12_IbLb0EEEEDaSY_SZ_EUlSY_E_NS1_11comp_targetILNS1_3genE2ELNS1_11target_archE906ELNS1_3gpuE6ELNS1_3repE0EEENS1_30default_config_static_selectorELNS0_4arch9wavefront6targetE1EEEvT1_
	.p2align	8
	.type	_ZN7rocprim17ROCPRIM_400000_NS6detail17trampoline_kernelINS0_14default_configENS1_29reduce_by_key_config_selectorIalN6thrust23THRUST_200600_302600_NS4plusIlEEEEZZNS1_33reduce_by_key_impl_wrapped_configILNS1_25lookback_scan_determinismE0ES3_S9_PaNS6_17constant_iteratorIiNS6_11use_defaultESE_EENS6_10device_ptrIaEENSG_IlEEPmS8_NS6_8equal_toIaEEEE10hipError_tPvRmT2_T3_mT4_T5_T6_T7_T8_P12ihipStream_tbENKUlT_T0_E_clISt17integral_constantIbLb1EES12_IbLb0EEEEDaSY_SZ_EUlSY_E_NS1_11comp_targetILNS1_3genE2ELNS1_11target_archE906ELNS1_3gpuE6ELNS1_3repE0EEENS1_30default_config_static_selectorELNS0_4arch9wavefront6targetE1EEEvT1_,@function
_ZN7rocprim17ROCPRIM_400000_NS6detail17trampoline_kernelINS0_14default_configENS1_29reduce_by_key_config_selectorIalN6thrust23THRUST_200600_302600_NS4plusIlEEEEZZNS1_33reduce_by_key_impl_wrapped_configILNS1_25lookback_scan_determinismE0ES3_S9_PaNS6_17constant_iteratorIiNS6_11use_defaultESE_EENS6_10device_ptrIaEENSG_IlEEPmS8_NS6_8equal_toIaEEEE10hipError_tPvRmT2_T3_mT4_T5_T6_T7_T8_P12ihipStream_tbENKUlT_T0_E_clISt17integral_constantIbLb1EES12_IbLb0EEEEDaSY_SZ_EUlSY_E_NS1_11comp_targetILNS1_3genE2ELNS1_11target_archE906ELNS1_3gpuE6ELNS1_3repE0EEENS1_30default_config_static_selectorELNS0_4arch9wavefront6targetE1EEEvT1_: ; @_ZN7rocprim17ROCPRIM_400000_NS6detail17trampoline_kernelINS0_14default_configENS1_29reduce_by_key_config_selectorIalN6thrust23THRUST_200600_302600_NS4plusIlEEEEZZNS1_33reduce_by_key_impl_wrapped_configILNS1_25lookback_scan_determinismE0ES3_S9_PaNS6_17constant_iteratorIiNS6_11use_defaultESE_EENS6_10device_ptrIaEENSG_IlEEPmS8_NS6_8equal_toIaEEEE10hipError_tPvRmT2_T3_mT4_T5_T6_T7_T8_P12ihipStream_tbENKUlT_T0_E_clISt17integral_constantIbLb1EES12_IbLb0EEEEDaSY_SZ_EUlSY_E_NS1_11comp_targetILNS1_3genE2ELNS1_11target_archE906ELNS1_3gpuE6ELNS1_3repE0EEENS1_30default_config_static_selectorELNS0_4arch9wavefront6targetE1EEEvT1_
; %bb.0:
	.section	.rodata,"a",@progbits
	.p2align	6, 0x0
	.amdhsa_kernel _ZN7rocprim17ROCPRIM_400000_NS6detail17trampoline_kernelINS0_14default_configENS1_29reduce_by_key_config_selectorIalN6thrust23THRUST_200600_302600_NS4plusIlEEEEZZNS1_33reduce_by_key_impl_wrapped_configILNS1_25lookback_scan_determinismE0ES3_S9_PaNS6_17constant_iteratorIiNS6_11use_defaultESE_EENS6_10device_ptrIaEENSG_IlEEPmS8_NS6_8equal_toIaEEEE10hipError_tPvRmT2_T3_mT4_T5_T6_T7_T8_P12ihipStream_tbENKUlT_T0_E_clISt17integral_constantIbLb1EES12_IbLb0EEEEDaSY_SZ_EUlSY_E_NS1_11comp_targetILNS1_3genE2ELNS1_11target_archE906ELNS1_3gpuE6ELNS1_3repE0EEENS1_30default_config_static_selectorELNS0_4arch9wavefront6targetE1EEEvT1_
		.amdhsa_group_segment_fixed_size 0
		.amdhsa_private_segment_fixed_size 0
		.amdhsa_kernarg_size 144
		.amdhsa_user_sgpr_count 6
		.amdhsa_user_sgpr_private_segment_buffer 1
		.amdhsa_user_sgpr_dispatch_ptr 0
		.amdhsa_user_sgpr_queue_ptr 0
		.amdhsa_user_sgpr_kernarg_segment_ptr 1
		.amdhsa_user_sgpr_dispatch_id 0
		.amdhsa_user_sgpr_flat_scratch_init 0
		.amdhsa_user_sgpr_kernarg_preload_length 0
		.amdhsa_user_sgpr_kernarg_preload_offset 0
		.amdhsa_user_sgpr_private_segment_size 0
		.amdhsa_uses_dynamic_stack 0
		.amdhsa_system_sgpr_private_segment_wavefront_offset 0
		.amdhsa_system_sgpr_workgroup_id_x 1
		.amdhsa_system_sgpr_workgroup_id_y 0
		.amdhsa_system_sgpr_workgroup_id_z 0
		.amdhsa_system_sgpr_workgroup_info 0
		.amdhsa_system_vgpr_workitem_id 0
		.amdhsa_next_free_vgpr 1
		.amdhsa_next_free_sgpr 0
		.amdhsa_accum_offset 4
		.amdhsa_reserve_vcc 0
		.amdhsa_reserve_flat_scratch 0
		.amdhsa_float_round_mode_32 0
		.amdhsa_float_round_mode_16_64 0
		.amdhsa_float_denorm_mode_32 3
		.amdhsa_float_denorm_mode_16_64 3
		.amdhsa_dx10_clamp 1
		.amdhsa_ieee_mode 1
		.amdhsa_fp16_overflow 0
		.amdhsa_tg_split 0
		.amdhsa_exception_fp_ieee_invalid_op 0
		.amdhsa_exception_fp_denorm_src 0
		.amdhsa_exception_fp_ieee_div_zero 0
		.amdhsa_exception_fp_ieee_overflow 0
		.amdhsa_exception_fp_ieee_underflow 0
		.amdhsa_exception_fp_ieee_inexact 0
		.amdhsa_exception_int_div_zero 0
	.end_amdhsa_kernel
	.section	.text._ZN7rocprim17ROCPRIM_400000_NS6detail17trampoline_kernelINS0_14default_configENS1_29reduce_by_key_config_selectorIalN6thrust23THRUST_200600_302600_NS4plusIlEEEEZZNS1_33reduce_by_key_impl_wrapped_configILNS1_25lookback_scan_determinismE0ES3_S9_PaNS6_17constant_iteratorIiNS6_11use_defaultESE_EENS6_10device_ptrIaEENSG_IlEEPmS8_NS6_8equal_toIaEEEE10hipError_tPvRmT2_T3_mT4_T5_T6_T7_T8_P12ihipStream_tbENKUlT_T0_E_clISt17integral_constantIbLb1EES12_IbLb0EEEEDaSY_SZ_EUlSY_E_NS1_11comp_targetILNS1_3genE2ELNS1_11target_archE906ELNS1_3gpuE6ELNS1_3repE0EEENS1_30default_config_static_selectorELNS0_4arch9wavefront6targetE1EEEvT1_,"axG",@progbits,_ZN7rocprim17ROCPRIM_400000_NS6detail17trampoline_kernelINS0_14default_configENS1_29reduce_by_key_config_selectorIalN6thrust23THRUST_200600_302600_NS4plusIlEEEEZZNS1_33reduce_by_key_impl_wrapped_configILNS1_25lookback_scan_determinismE0ES3_S9_PaNS6_17constant_iteratorIiNS6_11use_defaultESE_EENS6_10device_ptrIaEENSG_IlEEPmS8_NS6_8equal_toIaEEEE10hipError_tPvRmT2_T3_mT4_T5_T6_T7_T8_P12ihipStream_tbENKUlT_T0_E_clISt17integral_constantIbLb1EES12_IbLb0EEEEDaSY_SZ_EUlSY_E_NS1_11comp_targetILNS1_3genE2ELNS1_11target_archE906ELNS1_3gpuE6ELNS1_3repE0EEENS1_30default_config_static_selectorELNS0_4arch9wavefront6targetE1EEEvT1_,comdat
.Lfunc_end694:
	.size	_ZN7rocprim17ROCPRIM_400000_NS6detail17trampoline_kernelINS0_14default_configENS1_29reduce_by_key_config_selectorIalN6thrust23THRUST_200600_302600_NS4plusIlEEEEZZNS1_33reduce_by_key_impl_wrapped_configILNS1_25lookback_scan_determinismE0ES3_S9_PaNS6_17constant_iteratorIiNS6_11use_defaultESE_EENS6_10device_ptrIaEENSG_IlEEPmS8_NS6_8equal_toIaEEEE10hipError_tPvRmT2_T3_mT4_T5_T6_T7_T8_P12ihipStream_tbENKUlT_T0_E_clISt17integral_constantIbLb1EES12_IbLb0EEEEDaSY_SZ_EUlSY_E_NS1_11comp_targetILNS1_3genE2ELNS1_11target_archE906ELNS1_3gpuE6ELNS1_3repE0EEENS1_30default_config_static_selectorELNS0_4arch9wavefront6targetE1EEEvT1_, .Lfunc_end694-_ZN7rocprim17ROCPRIM_400000_NS6detail17trampoline_kernelINS0_14default_configENS1_29reduce_by_key_config_selectorIalN6thrust23THRUST_200600_302600_NS4plusIlEEEEZZNS1_33reduce_by_key_impl_wrapped_configILNS1_25lookback_scan_determinismE0ES3_S9_PaNS6_17constant_iteratorIiNS6_11use_defaultESE_EENS6_10device_ptrIaEENSG_IlEEPmS8_NS6_8equal_toIaEEEE10hipError_tPvRmT2_T3_mT4_T5_T6_T7_T8_P12ihipStream_tbENKUlT_T0_E_clISt17integral_constantIbLb1EES12_IbLb0EEEEDaSY_SZ_EUlSY_E_NS1_11comp_targetILNS1_3genE2ELNS1_11target_archE906ELNS1_3gpuE6ELNS1_3repE0EEENS1_30default_config_static_selectorELNS0_4arch9wavefront6targetE1EEEvT1_
                                        ; -- End function
	.section	.AMDGPU.csdata,"",@progbits
; Kernel info:
; codeLenInByte = 0
; NumSgprs: 4
; NumVgprs: 0
; NumAgprs: 0
; TotalNumVgprs: 0
; ScratchSize: 0
; MemoryBound: 0
; FloatMode: 240
; IeeeMode: 1
; LDSByteSize: 0 bytes/workgroup (compile time only)
; SGPRBlocks: 0
; VGPRBlocks: 0
; NumSGPRsForWavesPerEU: 4
; NumVGPRsForWavesPerEU: 1
; AccumOffset: 4
; Occupancy: 8
; WaveLimiterHint : 0
; COMPUTE_PGM_RSRC2:SCRATCH_EN: 0
; COMPUTE_PGM_RSRC2:USER_SGPR: 6
; COMPUTE_PGM_RSRC2:TRAP_HANDLER: 0
; COMPUTE_PGM_RSRC2:TGID_X_EN: 1
; COMPUTE_PGM_RSRC2:TGID_Y_EN: 0
; COMPUTE_PGM_RSRC2:TGID_Z_EN: 0
; COMPUTE_PGM_RSRC2:TIDIG_COMP_CNT: 0
; COMPUTE_PGM_RSRC3_GFX90A:ACCUM_OFFSET: 0
; COMPUTE_PGM_RSRC3_GFX90A:TG_SPLIT: 0
	.section	.text._ZN7rocprim17ROCPRIM_400000_NS6detail17trampoline_kernelINS0_14default_configENS1_29reduce_by_key_config_selectorIalN6thrust23THRUST_200600_302600_NS4plusIlEEEEZZNS1_33reduce_by_key_impl_wrapped_configILNS1_25lookback_scan_determinismE0ES3_S9_PaNS6_17constant_iteratorIiNS6_11use_defaultESE_EENS6_10device_ptrIaEENSG_IlEEPmS8_NS6_8equal_toIaEEEE10hipError_tPvRmT2_T3_mT4_T5_T6_T7_T8_P12ihipStream_tbENKUlT_T0_E_clISt17integral_constantIbLb1EES12_IbLb0EEEEDaSY_SZ_EUlSY_E_NS1_11comp_targetILNS1_3genE10ELNS1_11target_archE1201ELNS1_3gpuE5ELNS1_3repE0EEENS1_30default_config_static_selectorELNS0_4arch9wavefront6targetE1EEEvT1_,"axG",@progbits,_ZN7rocprim17ROCPRIM_400000_NS6detail17trampoline_kernelINS0_14default_configENS1_29reduce_by_key_config_selectorIalN6thrust23THRUST_200600_302600_NS4plusIlEEEEZZNS1_33reduce_by_key_impl_wrapped_configILNS1_25lookback_scan_determinismE0ES3_S9_PaNS6_17constant_iteratorIiNS6_11use_defaultESE_EENS6_10device_ptrIaEENSG_IlEEPmS8_NS6_8equal_toIaEEEE10hipError_tPvRmT2_T3_mT4_T5_T6_T7_T8_P12ihipStream_tbENKUlT_T0_E_clISt17integral_constantIbLb1EES12_IbLb0EEEEDaSY_SZ_EUlSY_E_NS1_11comp_targetILNS1_3genE10ELNS1_11target_archE1201ELNS1_3gpuE5ELNS1_3repE0EEENS1_30default_config_static_selectorELNS0_4arch9wavefront6targetE1EEEvT1_,comdat
	.protected	_ZN7rocprim17ROCPRIM_400000_NS6detail17trampoline_kernelINS0_14default_configENS1_29reduce_by_key_config_selectorIalN6thrust23THRUST_200600_302600_NS4plusIlEEEEZZNS1_33reduce_by_key_impl_wrapped_configILNS1_25lookback_scan_determinismE0ES3_S9_PaNS6_17constant_iteratorIiNS6_11use_defaultESE_EENS6_10device_ptrIaEENSG_IlEEPmS8_NS6_8equal_toIaEEEE10hipError_tPvRmT2_T3_mT4_T5_T6_T7_T8_P12ihipStream_tbENKUlT_T0_E_clISt17integral_constantIbLb1EES12_IbLb0EEEEDaSY_SZ_EUlSY_E_NS1_11comp_targetILNS1_3genE10ELNS1_11target_archE1201ELNS1_3gpuE5ELNS1_3repE0EEENS1_30default_config_static_selectorELNS0_4arch9wavefront6targetE1EEEvT1_ ; -- Begin function _ZN7rocprim17ROCPRIM_400000_NS6detail17trampoline_kernelINS0_14default_configENS1_29reduce_by_key_config_selectorIalN6thrust23THRUST_200600_302600_NS4plusIlEEEEZZNS1_33reduce_by_key_impl_wrapped_configILNS1_25lookback_scan_determinismE0ES3_S9_PaNS6_17constant_iteratorIiNS6_11use_defaultESE_EENS6_10device_ptrIaEENSG_IlEEPmS8_NS6_8equal_toIaEEEE10hipError_tPvRmT2_T3_mT4_T5_T6_T7_T8_P12ihipStream_tbENKUlT_T0_E_clISt17integral_constantIbLb1EES12_IbLb0EEEEDaSY_SZ_EUlSY_E_NS1_11comp_targetILNS1_3genE10ELNS1_11target_archE1201ELNS1_3gpuE5ELNS1_3repE0EEENS1_30default_config_static_selectorELNS0_4arch9wavefront6targetE1EEEvT1_
	.globl	_ZN7rocprim17ROCPRIM_400000_NS6detail17trampoline_kernelINS0_14default_configENS1_29reduce_by_key_config_selectorIalN6thrust23THRUST_200600_302600_NS4plusIlEEEEZZNS1_33reduce_by_key_impl_wrapped_configILNS1_25lookback_scan_determinismE0ES3_S9_PaNS6_17constant_iteratorIiNS6_11use_defaultESE_EENS6_10device_ptrIaEENSG_IlEEPmS8_NS6_8equal_toIaEEEE10hipError_tPvRmT2_T3_mT4_T5_T6_T7_T8_P12ihipStream_tbENKUlT_T0_E_clISt17integral_constantIbLb1EES12_IbLb0EEEEDaSY_SZ_EUlSY_E_NS1_11comp_targetILNS1_3genE10ELNS1_11target_archE1201ELNS1_3gpuE5ELNS1_3repE0EEENS1_30default_config_static_selectorELNS0_4arch9wavefront6targetE1EEEvT1_
	.p2align	8
	.type	_ZN7rocprim17ROCPRIM_400000_NS6detail17trampoline_kernelINS0_14default_configENS1_29reduce_by_key_config_selectorIalN6thrust23THRUST_200600_302600_NS4plusIlEEEEZZNS1_33reduce_by_key_impl_wrapped_configILNS1_25lookback_scan_determinismE0ES3_S9_PaNS6_17constant_iteratorIiNS6_11use_defaultESE_EENS6_10device_ptrIaEENSG_IlEEPmS8_NS6_8equal_toIaEEEE10hipError_tPvRmT2_T3_mT4_T5_T6_T7_T8_P12ihipStream_tbENKUlT_T0_E_clISt17integral_constantIbLb1EES12_IbLb0EEEEDaSY_SZ_EUlSY_E_NS1_11comp_targetILNS1_3genE10ELNS1_11target_archE1201ELNS1_3gpuE5ELNS1_3repE0EEENS1_30default_config_static_selectorELNS0_4arch9wavefront6targetE1EEEvT1_,@function
_ZN7rocprim17ROCPRIM_400000_NS6detail17trampoline_kernelINS0_14default_configENS1_29reduce_by_key_config_selectorIalN6thrust23THRUST_200600_302600_NS4plusIlEEEEZZNS1_33reduce_by_key_impl_wrapped_configILNS1_25lookback_scan_determinismE0ES3_S9_PaNS6_17constant_iteratorIiNS6_11use_defaultESE_EENS6_10device_ptrIaEENSG_IlEEPmS8_NS6_8equal_toIaEEEE10hipError_tPvRmT2_T3_mT4_T5_T6_T7_T8_P12ihipStream_tbENKUlT_T0_E_clISt17integral_constantIbLb1EES12_IbLb0EEEEDaSY_SZ_EUlSY_E_NS1_11comp_targetILNS1_3genE10ELNS1_11target_archE1201ELNS1_3gpuE5ELNS1_3repE0EEENS1_30default_config_static_selectorELNS0_4arch9wavefront6targetE1EEEvT1_: ; @_ZN7rocprim17ROCPRIM_400000_NS6detail17trampoline_kernelINS0_14default_configENS1_29reduce_by_key_config_selectorIalN6thrust23THRUST_200600_302600_NS4plusIlEEEEZZNS1_33reduce_by_key_impl_wrapped_configILNS1_25lookback_scan_determinismE0ES3_S9_PaNS6_17constant_iteratorIiNS6_11use_defaultESE_EENS6_10device_ptrIaEENSG_IlEEPmS8_NS6_8equal_toIaEEEE10hipError_tPvRmT2_T3_mT4_T5_T6_T7_T8_P12ihipStream_tbENKUlT_T0_E_clISt17integral_constantIbLb1EES12_IbLb0EEEEDaSY_SZ_EUlSY_E_NS1_11comp_targetILNS1_3genE10ELNS1_11target_archE1201ELNS1_3gpuE5ELNS1_3repE0EEENS1_30default_config_static_selectorELNS0_4arch9wavefront6targetE1EEEvT1_
; %bb.0:
	.section	.rodata,"a",@progbits
	.p2align	6, 0x0
	.amdhsa_kernel _ZN7rocprim17ROCPRIM_400000_NS6detail17trampoline_kernelINS0_14default_configENS1_29reduce_by_key_config_selectorIalN6thrust23THRUST_200600_302600_NS4plusIlEEEEZZNS1_33reduce_by_key_impl_wrapped_configILNS1_25lookback_scan_determinismE0ES3_S9_PaNS6_17constant_iteratorIiNS6_11use_defaultESE_EENS6_10device_ptrIaEENSG_IlEEPmS8_NS6_8equal_toIaEEEE10hipError_tPvRmT2_T3_mT4_T5_T6_T7_T8_P12ihipStream_tbENKUlT_T0_E_clISt17integral_constantIbLb1EES12_IbLb0EEEEDaSY_SZ_EUlSY_E_NS1_11comp_targetILNS1_3genE10ELNS1_11target_archE1201ELNS1_3gpuE5ELNS1_3repE0EEENS1_30default_config_static_selectorELNS0_4arch9wavefront6targetE1EEEvT1_
		.amdhsa_group_segment_fixed_size 0
		.amdhsa_private_segment_fixed_size 0
		.amdhsa_kernarg_size 144
		.amdhsa_user_sgpr_count 6
		.amdhsa_user_sgpr_private_segment_buffer 1
		.amdhsa_user_sgpr_dispatch_ptr 0
		.amdhsa_user_sgpr_queue_ptr 0
		.amdhsa_user_sgpr_kernarg_segment_ptr 1
		.amdhsa_user_sgpr_dispatch_id 0
		.amdhsa_user_sgpr_flat_scratch_init 0
		.amdhsa_user_sgpr_kernarg_preload_length 0
		.amdhsa_user_sgpr_kernarg_preload_offset 0
		.amdhsa_user_sgpr_private_segment_size 0
		.amdhsa_uses_dynamic_stack 0
		.amdhsa_system_sgpr_private_segment_wavefront_offset 0
		.amdhsa_system_sgpr_workgroup_id_x 1
		.amdhsa_system_sgpr_workgroup_id_y 0
		.amdhsa_system_sgpr_workgroup_id_z 0
		.amdhsa_system_sgpr_workgroup_info 0
		.amdhsa_system_vgpr_workitem_id 0
		.amdhsa_next_free_vgpr 1
		.amdhsa_next_free_sgpr 0
		.amdhsa_accum_offset 4
		.amdhsa_reserve_vcc 0
		.amdhsa_reserve_flat_scratch 0
		.amdhsa_float_round_mode_32 0
		.amdhsa_float_round_mode_16_64 0
		.amdhsa_float_denorm_mode_32 3
		.amdhsa_float_denorm_mode_16_64 3
		.amdhsa_dx10_clamp 1
		.amdhsa_ieee_mode 1
		.amdhsa_fp16_overflow 0
		.amdhsa_tg_split 0
		.amdhsa_exception_fp_ieee_invalid_op 0
		.amdhsa_exception_fp_denorm_src 0
		.amdhsa_exception_fp_ieee_div_zero 0
		.amdhsa_exception_fp_ieee_overflow 0
		.amdhsa_exception_fp_ieee_underflow 0
		.amdhsa_exception_fp_ieee_inexact 0
		.amdhsa_exception_int_div_zero 0
	.end_amdhsa_kernel
	.section	.text._ZN7rocprim17ROCPRIM_400000_NS6detail17trampoline_kernelINS0_14default_configENS1_29reduce_by_key_config_selectorIalN6thrust23THRUST_200600_302600_NS4plusIlEEEEZZNS1_33reduce_by_key_impl_wrapped_configILNS1_25lookback_scan_determinismE0ES3_S9_PaNS6_17constant_iteratorIiNS6_11use_defaultESE_EENS6_10device_ptrIaEENSG_IlEEPmS8_NS6_8equal_toIaEEEE10hipError_tPvRmT2_T3_mT4_T5_T6_T7_T8_P12ihipStream_tbENKUlT_T0_E_clISt17integral_constantIbLb1EES12_IbLb0EEEEDaSY_SZ_EUlSY_E_NS1_11comp_targetILNS1_3genE10ELNS1_11target_archE1201ELNS1_3gpuE5ELNS1_3repE0EEENS1_30default_config_static_selectorELNS0_4arch9wavefront6targetE1EEEvT1_,"axG",@progbits,_ZN7rocprim17ROCPRIM_400000_NS6detail17trampoline_kernelINS0_14default_configENS1_29reduce_by_key_config_selectorIalN6thrust23THRUST_200600_302600_NS4plusIlEEEEZZNS1_33reduce_by_key_impl_wrapped_configILNS1_25lookback_scan_determinismE0ES3_S9_PaNS6_17constant_iteratorIiNS6_11use_defaultESE_EENS6_10device_ptrIaEENSG_IlEEPmS8_NS6_8equal_toIaEEEE10hipError_tPvRmT2_T3_mT4_T5_T6_T7_T8_P12ihipStream_tbENKUlT_T0_E_clISt17integral_constantIbLb1EES12_IbLb0EEEEDaSY_SZ_EUlSY_E_NS1_11comp_targetILNS1_3genE10ELNS1_11target_archE1201ELNS1_3gpuE5ELNS1_3repE0EEENS1_30default_config_static_selectorELNS0_4arch9wavefront6targetE1EEEvT1_,comdat
.Lfunc_end695:
	.size	_ZN7rocprim17ROCPRIM_400000_NS6detail17trampoline_kernelINS0_14default_configENS1_29reduce_by_key_config_selectorIalN6thrust23THRUST_200600_302600_NS4plusIlEEEEZZNS1_33reduce_by_key_impl_wrapped_configILNS1_25lookback_scan_determinismE0ES3_S9_PaNS6_17constant_iteratorIiNS6_11use_defaultESE_EENS6_10device_ptrIaEENSG_IlEEPmS8_NS6_8equal_toIaEEEE10hipError_tPvRmT2_T3_mT4_T5_T6_T7_T8_P12ihipStream_tbENKUlT_T0_E_clISt17integral_constantIbLb1EES12_IbLb0EEEEDaSY_SZ_EUlSY_E_NS1_11comp_targetILNS1_3genE10ELNS1_11target_archE1201ELNS1_3gpuE5ELNS1_3repE0EEENS1_30default_config_static_selectorELNS0_4arch9wavefront6targetE1EEEvT1_, .Lfunc_end695-_ZN7rocprim17ROCPRIM_400000_NS6detail17trampoline_kernelINS0_14default_configENS1_29reduce_by_key_config_selectorIalN6thrust23THRUST_200600_302600_NS4plusIlEEEEZZNS1_33reduce_by_key_impl_wrapped_configILNS1_25lookback_scan_determinismE0ES3_S9_PaNS6_17constant_iteratorIiNS6_11use_defaultESE_EENS6_10device_ptrIaEENSG_IlEEPmS8_NS6_8equal_toIaEEEE10hipError_tPvRmT2_T3_mT4_T5_T6_T7_T8_P12ihipStream_tbENKUlT_T0_E_clISt17integral_constantIbLb1EES12_IbLb0EEEEDaSY_SZ_EUlSY_E_NS1_11comp_targetILNS1_3genE10ELNS1_11target_archE1201ELNS1_3gpuE5ELNS1_3repE0EEENS1_30default_config_static_selectorELNS0_4arch9wavefront6targetE1EEEvT1_
                                        ; -- End function
	.section	.AMDGPU.csdata,"",@progbits
; Kernel info:
; codeLenInByte = 0
; NumSgprs: 4
; NumVgprs: 0
; NumAgprs: 0
; TotalNumVgprs: 0
; ScratchSize: 0
; MemoryBound: 0
; FloatMode: 240
; IeeeMode: 1
; LDSByteSize: 0 bytes/workgroup (compile time only)
; SGPRBlocks: 0
; VGPRBlocks: 0
; NumSGPRsForWavesPerEU: 4
; NumVGPRsForWavesPerEU: 1
; AccumOffset: 4
; Occupancy: 8
; WaveLimiterHint : 0
; COMPUTE_PGM_RSRC2:SCRATCH_EN: 0
; COMPUTE_PGM_RSRC2:USER_SGPR: 6
; COMPUTE_PGM_RSRC2:TRAP_HANDLER: 0
; COMPUTE_PGM_RSRC2:TGID_X_EN: 1
; COMPUTE_PGM_RSRC2:TGID_Y_EN: 0
; COMPUTE_PGM_RSRC2:TGID_Z_EN: 0
; COMPUTE_PGM_RSRC2:TIDIG_COMP_CNT: 0
; COMPUTE_PGM_RSRC3_GFX90A:ACCUM_OFFSET: 0
; COMPUTE_PGM_RSRC3_GFX90A:TG_SPLIT: 0
	.section	.text._ZN7rocprim17ROCPRIM_400000_NS6detail17trampoline_kernelINS0_14default_configENS1_29reduce_by_key_config_selectorIalN6thrust23THRUST_200600_302600_NS4plusIlEEEEZZNS1_33reduce_by_key_impl_wrapped_configILNS1_25lookback_scan_determinismE0ES3_S9_PaNS6_17constant_iteratorIiNS6_11use_defaultESE_EENS6_10device_ptrIaEENSG_IlEEPmS8_NS6_8equal_toIaEEEE10hipError_tPvRmT2_T3_mT4_T5_T6_T7_T8_P12ihipStream_tbENKUlT_T0_E_clISt17integral_constantIbLb1EES12_IbLb0EEEEDaSY_SZ_EUlSY_E_NS1_11comp_targetILNS1_3genE10ELNS1_11target_archE1200ELNS1_3gpuE4ELNS1_3repE0EEENS1_30default_config_static_selectorELNS0_4arch9wavefront6targetE1EEEvT1_,"axG",@progbits,_ZN7rocprim17ROCPRIM_400000_NS6detail17trampoline_kernelINS0_14default_configENS1_29reduce_by_key_config_selectorIalN6thrust23THRUST_200600_302600_NS4plusIlEEEEZZNS1_33reduce_by_key_impl_wrapped_configILNS1_25lookback_scan_determinismE0ES3_S9_PaNS6_17constant_iteratorIiNS6_11use_defaultESE_EENS6_10device_ptrIaEENSG_IlEEPmS8_NS6_8equal_toIaEEEE10hipError_tPvRmT2_T3_mT4_T5_T6_T7_T8_P12ihipStream_tbENKUlT_T0_E_clISt17integral_constantIbLb1EES12_IbLb0EEEEDaSY_SZ_EUlSY_E_NS1_11comp_targetILNS1_3genE10ELNS1_11target_archE1200ELNS1_3gpuE4ELNS1_3repE0EEENS1_30default_config_static_selectorELNS0_4arch9wavefront6targetE1EEEvT1_,comdat
	.protected	_ZN7rocprim17ROCPRIM_400000_NS6detail17trampoline_kernelINS0_14default_configENS1_29reduce_by_key_config_selectorIalN6thrust23THRUST_200600_302600_NS4plusIlEEEEZZNS1_33reduce_by_key_impl_wrapped_configILNS1_25lookback_scan_determinismE0ES3_S9_PaNS6_17constant_iteratorIiNS6_11use_defaultESE_EENS6_10device_ptrIaEENSG_IlEEPmS8_NS6_8equal_toIaEEEE10hipError_tPvRmT2_T3_mT4_T5_T6_T7_T8_P12ihipStream_tbENKUlT_T0_E_clISt17integral_constantIbLb1EES12_IbLb0EEEEDaSY_SZ_EUlSY_E_NS1_11comp_targetILNS1_3genE10ELNS1_11target_archE1200ELNS1_3gpuE4ELNS1_3repE0EEENS1_30default_config_static_selectorELNS0_4arch9wavefront6targetE1EEEvT1_ ; -- Begin function _ZN7rocprim17ROCPRIM_400000_NS6detail17trampoline_kernelINS0_14default_configENS1_29reduce_by_key_config_selectorIalN6thrust23THRUST_200600_302600_NS4plusIlEEEEZZNS1_33reduce_by_key_impl_wrapped_configILNS1_25lookback_scan_determinismE0ES3_S9_PaNS6_17constant_iteratorIiNS6_11use_defaultESE_EENS6_10device_ptrIaEENSG_IlEEPmS8_NS6_8equal_toIaEEEE10hipError_tPvRmT2_T3_mT4_T5_T6_T7_T8_P12ihipStream_tbENKUlT_T0_E_clISt17integral_constantIbLb1EES12_IbLb0EEEEDaSY_SZ_EUlSY_E_NS1_11comp_targetILNS1_3genE10ELNS1_11target_archE1200ELNS1_3gpuE4ELNS1_3repE0EEENS1_30default_config_static_selectorELNS0_4arch9wavefront6targetE1EEEvT1_
	.globl	_ZN7rocprim17ROCPRIM_400000_NS6detail17trampoline_kernelINS0_14default_configENS1_29reduce_by_key_config_selectorIalN6thrust23THRUST_200600_302600_NS4plusIlEEEEZZNS1_33reduce_by_key_impl_wrapped_configILNS1_25lookback_scan_determinismE0ES3_S9_PaNS6_17constant_iteratorIiNS6_11use_defaultESE_EENS6_10device_ptrIaEENSG_IlEEPmS8_NS6_8equal_toIaEEEE10hipError_tPvRmT2_T3_mT4_T5_T6_T7_T8_P12ihipStream_tbENKUlT_T0_E_clISt17integral_constantIbLb1EES12_IbLb0EEEEDaSY_SZ_EUlSY_E_NS1_11comp_targetILNS1_3genE10ELNS1_11target_archE1200ELNS1_3gpuE4ELNS1_3repE0EEENS1_30default_config_static_selectorELNS0_4arch9wavefront6targetE1EEEvT1_
	.p2align	8
	.type	_ZN7rocprim17ROCPRIM_400000_NS6detail17trampoline_kernelINS0_14default_configENS1_29reduce_by_key_config_selectorIalN6thrust23THRUST_200600_302600_NS4plusIlEEEEZZNS1_33reduce_by_key_impl_wrapped_configILNS1_25lookback_scan_determinismE0ES3_S9_PaNS6_17constant_iteratorIiNS6_11use_defaultESE_EENS6_10device_ptrIaEENSG_IlEEPmS8_NS6_8equal_toIaEEEE10hipError_tPvRmT2_T3_mT4_T5_T6_T7_T8_P12ihipStream_tbENKUlT_T0_E_clISt17integral_constantIbLb1EES12_IbLb0EEEEDaSY_SZ_EUlSY_E_NS1_11comp_targetILNS1_3genE10ELNS1_11target_archE1200ELNS1_3gpuE4ELNS1_3repE0EEENS1_30default_config_static_selectorELNS0_4arch9wavefront6targetE1EEEvT1_,@function
_ZN7rocprim17ROCPRIM_400000_NS6detail17trampoline_kernelINS0_14default_configENS1_29reduce_by_key_config_selectorIalN6thrust23THRUST_200600_302600_NS4plusIlEEEEZZNS1_33reduce_by_key_impl_wrapped_configILNS1_25lookback_scan_determinismE0ES3_S9_PaNS6_17constant_iteratorIiNS6_11use_defaultESE_EENS6_10device_ptrIaEENSG_IlEEPmS8_NS6_8equal_toIaEEEE10hipError_tPvRmT2_T3_mT4_T5_T6_T7_T8_P12ihipStream_tbENKUlT_T0_E_clISt17integral_constantIbLb1EES12_IbLb0EEEEDaSY_SZ_EUlSY_E_NS1_11comp_targetILNS1_3genE10ELNS1_11target_archE1200ELNS1_3gpuE4ELNS1_3repE0EEENS1_30default_config_static_selectorELNS0_4arch9wavefront6targetE1EEEvT1_: ; @_ZN7rocprim17ROCPRIM_400000_NS6detail17trampoline_kernelINS0_14default_configENS1_29reduce_by_key_config_selectorIalN6thrust23THRUST_200600_302600_NS4plusIlEEEEZZNS1_33reduce_by_key_impl_wrapped_configILNS1_25lookback_scan_determinismE0ES3_S9_PaNS6_17constant_iteratorIiNS6_11use_defaultESE_EENS6_10device_ptrIaEENSG_IlEEPmS8_NS6_8equal_toIaEEEE10hipError_tPvRmT2_T3_mT4_T5_T6_T7_T8_P12ihipStream_tbENKUlT_T0_E_clISt17integral_constantIbLb1EES12_IbLb0EEEEDaSY_SZ_EUlSY_E_NS1_11comp_targetILNS1_3genE10ELNS1_11target_archE1200ELNS1_3gpuE4ELNS1_3repE0EEENS1_30default_config_static_selectorELNS0_4arch9wavefront6targetE1EEEvT1_
; %bb.0:
	.section	.rodata,"a",@progbits
	.p2align	6, 0x0
	.amdhsa_kernel _ZN7rocprim17ROCPRIM_400000_NS6detail17trampoline_kernelINS0_14default_configENS1_29reduce_by_key_config_selectorIalN6thrust23THRUST_200600_302600_NS4plusIlEEEEZZNS1_33reduce_by_key_impl_wrapped_configILNS1_25lookback_scan_determinismE0ES3_S9_PaNS6_17constant_iteratorIiNS6_11use_defaultESE_EENS6_10device_ptrIaEENSG_IlEEPmS8_NS6_8equal_toIaEEEE10hipError_tPvRmT2_T3_mT4_T5_T6_T7_T8_P12ihipStream_tbENKUlT_T0_E_clISt17integral_constantIbLb1EES12_IbLb0EEEEDaSY_SZ_EUlSY_E_NS1_11comp_targetILNS1_3genE10ELNS1_11target_archE1200ELNS1_3gpuE4ELNS1_3repE0EEENS1_30default_config_static_selectorELNS0_4arch9wavefront6targetE1EEEvT1_
		.amdhsa_group_segment_fixed_size 0
		.amdhsa_private_segment_fixed_size 0
		.amdhsa_kernarg_size 144
		.amdhsa_user_sgpr_count 6
		.amdhsa_user_sgpr_private_segment_buffer 1
		.amdhsa_user_sgpr_dispatch_ptr 0
		.amdhsa_user_sgpr_queue_ptr 0
		.amdhsa_user_sgpr_kernarg_segment_ptr 1
		.amdhsa_user_sgpr_dispatch_id 0
		.amdhsa_user_sgpr_flat_scratch_init 0
		.amdhsa_user_sgpr_kernarg_preload_length 0
		.amdhsa_user_sgpr_kernarg_preload_offset 0
		.amdhsa_user_sgpr_private_segment_size 0
		.amdhsa_uses_dynamic_stack 0
		.amdhsa_system_sgpr_private_segment_wavefront_offset 0
		.amdhsa_system_sgpr_workgroup_id_x 1
		.amdhsa_system_sgpr_workgroup_id_y 0
		.amdhsa_system_sgpr_workgroup_id_z 0
		.amdhsa_system_sgpr_workgroup_info 0
		.amdhsa_system_vgpr_workitem_id 0
		.amdhsa_next_free_vgpr 1
		.amdhsa_next_free_sgpr 0
		.amdhsa_accum_offset 4
		.amdhsa_reserve_vcc 0
		.amdhsa_reserve_flat_scratch 0
		.amdhsa_float_round_mode_32 0
		.amdhsa_float_round_mode_16_64 0
		.amdhsa_float_denorm_mode_32 3
		.amdhsa_float_denorm_mode_16_64 3
		.amdhsa_dx10_clamp 1
		.amdhsa_ieee_mode 1
		.amdhsa_fp16_overflow 0
		.amdhsa_tg_split 0
		.amdhsa_exception_fp_ieee_invalid_op 0
		.amdhsa_exception_fp_denorm_src 0
		.amdhsa_exception_fp_ieee_div_zero 0
		.amdhsa_exception_fp_ieee_overflow 0
		.amdhsa_exception_fp_ieee_underflow 0
		.amdhsa_exception_fp_ieee_inexact 0
		.amdhsa_exception_int_div_zero 0
	.end_amdhsa_kernel
	.section	.text._ZN7rocprim17ROCPRIM_400000_NS6detail17trampoline_kernelINS0_14default_configENS1_29reduce_by_key_config_selectorIalN6thrust23THRUST_200600_302600_NS4plusIlEEEEZZNS1_33reduce_by_key_impl_wrapped_configILNS1_25lookback_scan_determinismE0ES3_S9_PaNS6_17constant_iteratorIiNS6_11use_defaultESE_EENS6_10device_ptrIaEENSG_IlEEPmS8_NS6_8equal_toIaEEEE10hipError_tPvRmT2_T3_mT4_T5_T6_T7_T8_P12ihipStream_tbENKUlT_T0_E_clISt17integral_constantIbLb1EES12_IbLb0EEEEDaSY_SZ_EUlSY_E_NS1_11comp_targetILNS1_3genE10ELNS1_11target_archE1200ELNS1_3gpuE4ELNS1_3repE0EEENS1_30default_config_static_selectorELNS0_4arch9wavefront6targetE1EEEvT1_,"axG",@progbits,_ZN7rocprim17ROCPRIM_400000_NS6detail17trampoline_kernelINS0_14default_configENS1_29reduce_by_key_config_selectorIalN6thrust23THRUST_200600_302600_NS4plusIlEEEEZZNS1_33reduce_by_key_impl_wrapped_configILNS1_25lookback_scan_determinismE0ES3_S9_PaNS6_17constant_iteratorIiNS6_11use_defaultESE_EENS6_10device_ptrIaEENSG_IlEEPmS8_NS6_8equal_toIaEEEE10hipError_tPvRmT2_T3_mT4_T5_T6_T7_T8_P12ihipStream_tbENKUlT_T0_E_clISt17integral_constantIbLb1EES12_IbLb0EEEEDaSY_SZ_EUlSY_E_NS1_11comp_targetILNS1_3genE10ELNS1_11target_archE1200ELNS1_3gpuE4ELNS1_3repE0EEENS1_30default_config_static_selectorELNS0_4arch9wavefront6targetE1EEEvT1_,comdat
.Lfunc_end696:
	.size	_ZN7rocprim17ROCPRIM_400000_NS6detail17trampoline_kernelINS0_14default_configENS1_29reduce_by_key_config_selectorIalN6thrust23THRUST_200600_302600_NS4plusIlEEEEZZNS1_33reduce_by_key_impl_wrapped_configILNS1_25lookback_scan_determinismE0ES3_S9_PaNS6_17constant_iteratorIiNS6_11use_defaultESE_EENS6_10device_ptrIaEENSG_IlEEPmS8_NS6_8equal_toIaEEEE10hipError_tPvRmT2_T3_mT4_T5_T6_T7_T8_P12ihipStream_tbENKUlT_T0_E_clISt17integral_constantIbLb1EES12_IbLb0EEEEDaSY_SZ_EUlSY_E_NS1_11comp_targetILNS1_3genE10ELNS1_11target_archE1200ELNS1_3gpuE4ELNS1_3repE0EEENS1_30default_config_static_selectorELNS0_4arch9wavefront6targetE1EEEvT1_, .Lfunc_end696-_ZN7rocprim17ROCPRIM_400000_NS6detail17trampoline_kernelINS0_14default_configENS1_29reduce_by_key_config_selectorIalN6thrust23THRUST_200600_302600_NS4plusIlEEEEZZNS1_33reduce_by_key_impl_wrapped_configILNS1_25lookback_scan_determinismE0ES3_S9_PaNS6_17constant_iteratorIiNS6_11use_defaultESE_EENS6_10device_ptrIaEENSG_IlEEPmS8_NS6_8equal_toIaEEEE10hipError_tPvRmT2_T3_mT4_T5_T6_T7_T8_P12ihipStream_tbENKUlT_T0_E_clISt17integral_constantIbLb1EES12_IbLb0EEEEDaSY_SZ_EUlSY_E_NS1_11comp_targetILNS1_3genE10ELNS1_11target_archE1200ELNS1_3gpuE4ELNS1_3repE0EEENS1_30default_config_static_selectorELNS0_4arch9wavefront6targetE1EEEvT1_
                                        ; -- End function
	.section	.AMDGPU.csdata,"",@progbits
; Kernel info:
; codeLenInByte = 0
; NumSgprs: 4
; NumVgprs: 0
; NumAgprs: 0
; TotalNumVgprs: 0
; ScratchSize: 0
; MemoryBound: 0
; FloatMode: 240
; IeeeMode: 1
; LDSByteSize: 0 bytes/workgroup (compile time only)
; SGPRBlocks: 0
; VGPRBlocks: 0
; NumSGPRsForWavesPerEU: 4
; NumVGPRsForWavesPerEU: 1
; AccumOffset: 4
; Occupancy: 8
; WaveLimiterHint : 0
; COMPUTE_PGM_RSRC2:SCRATCH_EN: 0
; COMPUTE_PGM_RSRC2:USER_SGPR: 6
; COMPUTE_PGM_RSRC2:TRAP_HANDLER: 0
; COMPUTE_PGM_RSRC2:TGID_X_EN: 1
; COMPUTE_PGM_RSRC2:TGID_Y_EN: 0
; COMPUTE_PGM_RSRC2:TGID_Z_EN: 0
; COMPUTE_PGM_RSRC2:TIDIG_COMP_CNT: 0
; COMPUTE_PGM_RSRC3_GFX90A:ACCUM_OFFSET: 0
; COMPUTE_PGM_RSRC3_GFX90A:TG_SPLIT: 0
	.section	.text._ZN7rocprim17ROCPRIM_400000_NS6detail17trampoline_kernelINS0_14default_configENS1_29reduce_by_key_config_selectorIalN6thrust23THRUST_200600_302600_NS4plusIlEEEEZZNS1_33reduce_by_key_impl_wrapped_configILNS1_25lookback_scan_determinismE0ES3_S9_PaNS6_17constant_iteratorIiNS6_11use_defaultESE_EENS6_10device_ptrIaEENSG_IlEEPmS8_NS6_8equal_toIaEEEE10hipError_tPvRmT2_T3_mT4_T5_T6_T7_T8_P12ihipStream_tbENKUlT_T0_E_clISt17integral_constantIbLb1EES12_IbLb0EEEEDaSY_SZ_EUlSY_E_NS1_11comp_targetILNS1_3genE9ELNS1_11target_archE1100ELNS1_3gpuE3ELNS1_3repE0EEENS1_30default_config_static_selectorELNS0_4arch9wavefront6targetE1EEEvT1_,"axG",@progbits,_ZN7rocprim17ROCPRIM_400000_NS6detail17trampoline_kernelINS0_14default_configENS1_29reduce_by_key_config_selectorIalN6thrust23THRUST_200600_302600_NS4plusIlEEEEZZNS1_33reduce_by_key_impl_wrapped_configILNS1_25lookback_scan_determinismE0ES3_S9_PaNS6_17constant_iteratorIiNS6_11use_defaultESE_EENS6_10device_ptrIaEENSG_IlEEPmS8_NS6_8equal_toIaEEEE10hipError_tPvRmT2_T3_mT4_T5_T6_T7_T8_P12ihipStream_tbENKUlT_T0_E_clISt17integral_constantIbLb1EES12_IbLb0EEEEDaSY_SZ_EUlSY_E_NS1_11comp_targetILNS1_3genE9ELNS1_11target_archE1100ELNS1_3gpuE3ELNS1_3repE0EEENS1_30default_config_static_selectorELNS0_4arch9wavefront6targetE1EEEvT1_,comdat
	.protected	_ZN7rocprim17ROCPRIM_400000_NS6detail17trampoline_kernelINS0_14default_configENS1_29reduce_by_key_config_selectorIalN6thrust23THRUST_200600_302600_NS4plusIlEEEEZZNS1_33reduce_by_key_impl_wrapped_configILNS1_25lookback_scan_determinismE0ES3_S9_PaNS6_17constant_iteratorIiNS6_11use_defaultESE_EENS6_10device_ptrIaEENSG_IlEEPmS8_NS6_8equal_toIaEEEE10hipError_tPvRmT2_T3_mT4_T5_T6_T7_T8_P12ihipStream_tbENKUlT_T0_E_clISt17integral_constantIbLb1EES12_IbLb0EEEEDaSY_SZ_EUlSY_E_NS1_11comp_targetILNS1_3genE9ELNS1_11target_archE1100ELNS1_3gpuE3ELNS1_3repE0EEENS1_30default_config_static_selectorELNS0_4arch9wavefront6targetE1EEEvT1_ ; -- Begin function _ZN7rocprim17ROCPRIM_400000_NS6detail17trampoline_kernelINS0_14default_configENS1_29reduce_by_key_config_selectorIalN6thrust23THRUST_200600_302600_NS4plusIlEEEEZZNS1_33reduce_by_key_impl_wrapped_configILNS1_25lookback_scan_determinismE0ES3_S9_PaNS6_17constant_iteratorIiNS6_11use_defaultESE_EENS6_10device_ptrIaEENSG_IlEEPmS8_NS6_8equal_toIaEEEE10hipError_tPvRmT2_T3_mT4_T5_T6_T7_T8_P12ihipStream_tbENKUlT_T0_E_clISt17integral_constantIbLb1EES12_IbLb0EEEEDaSY_SZ_EUlSY_E_NS1_11comp_targetILNS1_3genE9ELNS1_11target_archE1100ELNS1_3gpuE3ELNS1_3repE0EEENS1_30default_config_static_selectorELNS0_4arch9wavefront6targetE1EEEvT1_
	.globl	_ZN7rocprim17ROCPRIM_400000_NS6detail17trampoline_kernelINS0_14default_configENS1_29reduce_by_key_config_selectorIalN6thrust23THRUST_200600_302600_NS4plusIlEEEEZZNS1_33reduce_by_key_impl_wrapped_configILNS1_25lookback_scan_determinismE0ES3_S9_PaNS6_17constant_iteratorIiNS6_11use_defaultESE_EENS6_10device_ptrIaEENSG_IlEEPmS8_NS6_8equal_toIaEEEE10hipError_tPvRmT2_T3_mT4_T5_T6_T7_T8_P12ihipStream_tbENKUlT_T0_E_clISt17integral_constantIbLb1EES12_IbLb0EEEEDaSY_SZ_EUlSY_E_NS1_11comp_targetILNS1_3genE9ELNS1_11target_archE1100ELNS1_3gpuE3ELNS1_3repE0EEENS1_30default_config_static_selectorELNS0_4arch9wavefront6targetE1EEEvT1_
	.p2align	8
	.type	_ZN7rocprim17ROCPRIM_400000_NS6detail17trampoline_kernelINS0_14default_configENS1_29reduce_by_key_config_selectorIalN6thrust23THRUST_200600_302600_NS4plusIlEEEEZZNS1_33reduce_by_key_impl_wrapped_configILNS1_25lookback_scan_determinismE0ES3_S9_PaNS6_17constant_iteratorIiNS6_11use_defaultESE_EENS6_10device_ptrIaEENSG_IlEEPmS8_NS6_8equal_toIaEEEE10hipError_tPvRmT2_T3_mT4_T5_T6_T7_T8_P12ihipStream_tbENKUlT_T0_E_clISt17integral_constantIbLb1EES12_IbLb0EEEEDaSY_SZ_EUlSY_E_NS1_11comp_targetILNS1_3genE9ELNS1_11target_archE1100ELNS1_3gpuE3ELNS1_3repE0EEENS1_30default_config_static_selectorELNS0_4arch9wavefront6targetE1EEEvT1_,@function
_ZN7rocprim17ROCPRIM_400000_NS6detail17trampoline_kernelINS0_14default_configENS1_29reduce_by_key_config_selectorIalN6thrust23THRUST_200600_302600_NS4plusIlEEEEZZNS1_33reduce_by_key_impl_wrapped_configILNS1_25lookback_scan_determinismE0ES3_S9_PaNS6_17constant_iteratorIiNS6_11use_defaultESE_EENS6_10device_ptrIaEENSG_IlEEPmS8_NS6_8equal_toIaEEEE10hipError_tPvRmT2_T3_mT4_T5_T6_T7_T8_P12ihipStream_tbENKUlT_T0_E_clISt17integral_constantIbLb1EES12_IbLb0EEEEDaSY_SZ_EUlSY_E_NS1_11comp_targetILNS1_3genE9ELNS1_11target_archE1100ELNS1_3gpuE3ELNS1_3repE0EEENS1_30default_config_static_selectorELNS0_4arch9wavefront6targetE1EEEvT1_: ; @_ZN7rocprim17ROCPRIM_400000_NS6detail17trampoline_kernelINS0_14default_configENS1_29reduce_by_key_config_selectorIalN6thrust23THRUST_200600_302600_NS4plusIlEEEEZZNS1_33reduce_by_key_impl_wrapped_configILNS1_25lookback_scan_determinismE0ES3_S9_PaNS6_17constant_iteratorIiNS6_11use_defaultESE_EENS6_10device_ptrIaEENSG_IlEEPmS8_NS6_8equal_toIaEEEE10hipError_tPvRmT2_T3_mT4_T5_T6_T7_T8_P12ihipStream_tbENKUlT_T0_E_clISt17integral_constantIbLb1EES12_IbLb0EEEEDaSY_SZ_EUlSY_E_NS1_11comp_targetILNS1_3genE9ELNS1_11target_archE1100ELNS1_3gpuE3ELNS1_3repE0EEENS1_30default_config_static_selectorELNS0_4arch9wavefront6targetE1EEEvT1_
; %bb.0:
	.section	.rodata,"a",@progbits
	.p2align	6, 0x0
	.amdhsa_kernel _ZN7rocprim17ROCPRIM_400000_NS6detail17trampoline_kernelINS0_14default_configENS1_29reduce_by_key_config_selectorIalN6thrust23THRUST_200600_302600_NS4plusIlEEEEZZNS1_33reduce_by_key_impl_wrapped_configILNS1_25lookback_scan_determinismE0ES3_S9_PaNS6_17constant_iteratorIiNS6_11use_defaultESE_EENS6_10device_ptrIaEENSG_IlEEPmS8_NS6_8equal_toIaEEEE10hipError_tPvRmT2_T3_mT4_T5_T6_T7_T8_P12ihipStream_tbENKUlT_T0_E_clISt17integral_constantIbLb1EES12_IbLb0EEEEDaSY_SZ_EUlSY_E_NS1_11comp_targetILNS1_3genE9ELNS1_11target_archE1100ELNS1_3gpuE3ELNS1_3repE0EEENS1_30default_config_static_selectorELNS0_4arch9wavefront6targetE1EEEvT1_
		.amdhsa_group_segment_fixed_size 0
		.amdhsa_private_segment_fixed_size 0
		.amdhsa_kernarg_size 144
		.amdhsa_user_sgpr_count 6
		.amdhsa_user_sgpr_private_segment_buffer 1
		.amdhsa_user_sgpr_dispatch_ptr 0
		.amdhsa_user_sgpr_queue_ptr 0
		.amdhsa_user_sgpr_kernarg_segment_ptr 1
		.amdhsa_user_sgpr_dispatch_id 0
		.amdhsa_user_sgpr_flat_scratch_init 0
		.amdhsa_user_sgpr_kernarg_preload_length 0
		.amdhsa_user_sgpr_kernarg_preload_offset 0
		.amdhsa_user_sgpr_private_segment_size 0
		.amdhsa_uses_dynamic_stack 0
		.amdhsa_system_sgpr_private_segment_wavefront_offset 0
		.amdhsa_system_sgpr_workgroup_id_x 1
		.amdhsa_system_sgpr_workgroup_id_y 0
		.amdhsa_system_sgpr_workgroup_id_z 0
		.amdhsa_system_sgpr_workgroup_info 0
		.amdhsa_system_vgpr_workitem_id 0
		.amdhsa_next_free_vgpr 1
		.amdhsa_next_free_sgpr 0
		.amdhsa_accum_offset 4
		.amdhsa_reserve_vcc 0
		.amdhsa_reserve_flat_scratch 0
		.amdhsa_float_round_mode_32 0
		.amdhsa_float_round_mode_16_64 0
		.amdhsa_float_denorm_mode_32 3
		.amdhsa_float_denorm_mode_16_64 3
		.amdhsa_dx10_clamp 1
		.amdhsa_ieee_mode 1
		.amdhsa_fp16_overflow 0
		.amdhsa_tg_split 0
		.amdhsa_exception_fp_ieee_invalid_op 0
		.amdhsa_exception_fp_denorm_src 0
		.amdhsa_exception_fp_ieee_div_zero 0
		.amdhsa_exception_fp_ieee_overflow 0
		.amdhsa_exception_fp_ieee_underflow 0
		.amdhsa_exception_fp_ieee_inexact 0
		.amdhsa_exception_int_div_zero 0
	.end_amdhsa_kernel
	.section	.text._ZN7rocprim17ROCPRIM_400000_NS6detail17trampoline_kernelINS0_14default_configENS1_29reduce_by_key_config_selectorIalN6thrust23THRUST_200600_302600_NS4plusIlEEEEZZNS1_33reduce_by_key_impl_wrapped_configILNS1_25lookback_scan_determinismE0ES3_S9_PaNS6_17constant_iteratorIiNS6_11use_defaultESE_EENS6_10device_ptrIaEENSG_IlEEPmS8_NS6_8equal_toIaEEEE10hipError_tPvRmT2_T3_mT4_T5_T6_T7_T8_P12ihipStream_tbENKUlT_T0_E_clISt17integral_constantIbLb1EES12_IbLb0EEEEDaSY_SZ_EUlSY_E_NS1_11comp_targetILNS1_3genE9ELNS1_11target_archE1100ELNS1_3gpuE3ELNS1_3repE0EEENS1_30default_config_static_selectorELNS0_4arch9wavefront6targetE1EEEvT1_,"axG",@progbits,_ZN7rocprim17ROCPRIM_400000_NS6detail17trampoline_kernelINS0_14default_configENS1_29reduce_by_key_config_selectorIalN6thrust23THRUST_200600_302600_NS4plusIlEEEEZZNS1_33reduce_by_key_impl_wrapped_configILNS1_25lookback_scan_determinismE0ES3_S9_PaNS6_17constant_iteratorIiNS6_11use_defaultESE_EENS6_10device_ptrIaEENSG_IlEEPmS8_NS6_8equal_toIaEEEE10hipError_tPvRmT2_T3_mT4_T5_T6_T7_T8_P12ihipStream_tbENKUlT_T0_E_clISt17integral_constantIbLb1EES12_IbLb0EEEEDaSY_SZ_EUlSY_E_NS1_11comp_targetILNS1_3genE9ELNS1_11target_archE1100ELNS1_3gpuE3ELNS1_3repE0EEENS1_30default_config_static_selectorELNS0_4arch9wavefront6targetE1EEEvT1_,comdat
.Lfunc_end697:
	.size	_ZN7rocprim17ROCPRIM_400000_NS6detail17trampoline_kernelINS0_14default_configENS1_29reduce_by_key_config_selectorIalN6thrust23THRUST_200600_302600_NS4plusIlEEEEZZNS1_33reduce_by_key_impl_wrapped_configILNS1_25lookback_scan_determinismE0ES3_S9_PaNS6_17constant_iteratorIiNS6_11use_defaultESE_EENS6_10device_ptrIaEENSG_IlEEPmS8_NS6_8equal_toIaEEEE10hipError_tPvRmT2_T3_mT4_T5_T6_T7_T8_P12ihipStream_tbENKUlT_T0_E_clISt17integral_constantIbLb1EES12_IbLb0EEEEDaSY_SZ_EUlSY_E_NS1_11comp_targetILNS1_3genE9ELNS1_11target_archE1100ELNS1_3gpuE3ELNS1_3repE0EEENS1_30default_config_static_selectorELNS0_4arch9wavefront6targetE1EEEvT1_, .Lfunc_end697-_ZN7rocprim17ROCPRIM_400000_NS6detail17trampoline_kernelINS0_14default_configENS1_29reduce_by_key_config_selectorIalN6thrust23THRUST_200600_302600_NS4plusIlEEEEZZNS1_33reduce_by_key_impl_wrapped_configILNS1_25lookback_scan_determinismE0ES3_S9_PaNS6_17constant_iteratorIiNS6_11use_defaultESE_EENS6_10device_ptrIaEENSG_IlEEPmS8_NS6_8equal_toIaEEEE10hipError_tPvRmT2_T3_mT4_T5_T6_T7_T8_P12ihipStream_tbENKUlT_T0_E_clISt17integral_constantIbLb1EES12_IbLb0EEEEDaSY_SZ_EUlSY_E_NS1_11comp_targetILNS1_3genE9ELNS1_11target_archE1100ELNS1_3gpuE3ELNS1_3repE0EEENS1_30default_config_static_selectorELNS0_4arch9wavefront6targetE1EEEvT1_
                                        ; -- End function
	.section	.AMDGPU.csdata,"",@progbits
; Kernel info:
; codeLenInByte = 0
; NumSgprs: 4
; NumVgprs: 0
; NumAgprs: 0
; TotalNumVgprs: 0
; ScratchSize: 0
; MemoryBound: 0
; FloatMode: 240
; IeeeMode: 1
; LDSByteSize: 0 bytes/workgroup (compile time only)
; SGPRBlocks: 0
; VGPRBlocks: 0
; NumSGPRsForWavesPerEU: 4
; NumVGPRsForWavesPerEU: 1
; AccumOffset: 4
; Occupancy: 8
; WaveLimiterHint : 0
; COMPUTE_PGM_RSRC2:SCRATCH_EN: 0
; COMPUTE_PGM_RSRC2:USER_SGPR: 6
; COMPUTE_PGM_RSRC2:TRAP_HANDLER: 0
; COMPUTE_PGM_RSRC2:TGID_X_EN: 1
; COMPUTE_PGM_RSRC2:TGID_Y_EN: 0
; COMPUTE_PGM_RSRC2:TGID_Z_EN: 0
; COMPUTE_PGM_RSRC2:TIDIG_COMP_CNT: 0
; COMPUTE_PGM_RSRC3_GFX90A:ACCUM_OFFSET: 0
; COMPUTE_PGM_RSRC3_GFX90A:TG_SPLIT: 0
	.section	.text._ZN7rocprim17ROCPRIM_400000_NS6detail17trampoline_kernelINS0_14default_configENS1_29reduce_by_key_config_selectorIalN6thrust23THRUST_200600_302600_NS4plusIlEEEEZZNS1_33reduce_by_key_impl_wrapped_configILNS1_25lookback_scan_determinismE0ES3_S9_PaNS6_17constant_iteratorIiNS6_11use_defaultESE_EENS6_10device_ptrIaEENSG_IlEEPmS8_NS6_8equal_toIaEEEE10hipError_tPvRmT2_T3_mT4_T5_T6_T7_T8_P12ihipStream_tbENKUlT_T0_E_clISt17integral_constantIbLb1EES12_IbLb0EEEEDaSY_SZ_EUlSY_E_NS1_11comp_targetILNS1_3genE8ELNS1_11target_archE1030ELNS1_3gpuE2ELNS1_3repE0EEENS1_30default_config_static_selectorELNS0_4arch9wavefront6targetE1EEEvT1_,"axG",@progbits,_ZN7rocprim17ROCPRIM_400000_NS6detail17trampoline_kernelINS0_14default_configENS1_29reduce_by_key_config_selectorIalN6thrust23THRUST_200600_302600_NS4plusIlEEEEZZNS1_33reduce_by_key_impl_wrapped_configILNS1_25lookback_scan_determinismE0ES3_S9_PaNS6_17constant_iteratorIiNS6_11use_defaultESE_EENS6_10device_ptrIaEENSG_IlEEPmS8_NS6_8equal_toIaEEEE10hipError_tPvRmT2_T3_mT4_T5_T6_T7_T8_P12ihipStream_tbENKUlT_T0_E_clISt17integral_constantIbLb1EES12_IbLb0EEEEDaSY_SZ_EUlSY_E_NS1_11comp_targetILNS1_3genE8ELNS1_11target_archE1030ELNS1_3gpuE2ELNS1_3repE0EEENS1_30default_config_static_selectorELNS0_4arch9wavefront6targetE1EEEvT1_,comdat
	.protected	_ZN7rocprim17ROCPRIM_400000_NS6detail17trampoline_kernelINS0_14default_configENS1_29reduce_by_key_config_selectorIalN6thrust23THRUST_200600_302600_NS4plusIlEEEEZZNS1_33reduce_by_key_impl_wrapped_configILNS1_25lookback_scan_determinismE0ES3_S9_PaNS6_17constant_iteratorIiNS6_11use_defaultESE_EENS6_10device_ptrIaEENSG_IlEEPmS8_NS6_8equal_toIaEEEE10hipError_tPvRmT2_T3_mT4_T5_T6_T7_T8_P12ihipStream_tbENKUlT_T0_E_clISt17integral_constantIbLb1EES12_IbLb0EEEEDaSY_SZ_EUlSY_E_NS1_11comp_targetILNS1_3genE8ELNS1_11target_archE1030ELNS1_3gpuE2ELNS1_3repE0EEENS1_30default_config_static_selectorELNS0_4arch9wavefront6targetE1EEEvT1_ ; -- Begin function _ZN7rocprim17ROCPRIM_400000_NS6detail17trampoline_kernelINS0_14default_configENS1_29reduce_by_key_config_selectorIalN6thrust23THRUST_200600_302600_NS4plusIlEEEEZZNS1_33reduce_by_key_impl_wrapped_configILNS1_25lookback_scan_determinismE0ES3_S9_PaNS6_17constant_iteratorIiNS6_11use_defaultESE_EENS6_10device_ptrIaEENSG_IlEEPmS8_NS6_8equal_toIaEEEE10hipError_tPvRmT2_T3_mT4_T5_T6_T7_T8_P12ihipStream_tbENKUlT_T0_E_clISt17integral_constantIbLb1EES12_IbLb0EEEEDaSY_SZ_EUlSY_E_NS1_11comp_targetILNS1_3genE8ELNS1_11target_archE1030ELNS1_3gpuE2ELNS1_3repE0EEENS1_30default_config_static_selectorELNS0_4arch9wavefront6targetE1EEEvT1_
	.globl	_ZN7rocprim17ROCPRIM_400000_NS6detail17trampoline_kernelINS0_14default_configENS1_29reduce_by_key_config_selectorIalN6thrust23THRUST_200600_302600_NS4plusIlEEEEZZNS1_33reduce_by_key_impl_wrapped_configILNS1_25lookback_scan_determinismE0ES3_S9_PaNS6_17constant_iteratorIiNS6_11use_defaultESE_EENS6_10device_ptrIaEENSG_IlEEPmS8_NS6_8equal_toIaEEEE10hipError_tPvRmT2_T3_mT4_T5_T6_T7_T8_P12ihipStream_tbENKUlT_T0_E_clISt17integral_constantIbLb1EES12_IbLb0EEEEDaSY_SZ_EUlSY_E_NS1_11comp_targetILNS1_3genE8ELNS1_11target_archE1030ELNS1_3gpuE2ELNS1_3repE0EEENS1_30default_config_static_selectorELNS0_4arch9wavefront6targetE1EEEvT1_
	.p2align	8
	.type	_ZN7rocprim17ROCPRIM_400000_NS6detail17trampoline_kernelINS0_14default_configENS1_29reduce_by_key_config_selectorIalN6thrust23THRUST_200600_302600_NS4plusIlEEEEZZNS1_33reduce_by_key_impl_wrapped_configILNS1_25lookback_scan_determinismE0ES3_S9_PaNS6_17constant_iteratorIiNS6_11use_defaultESE_EENS6_10device_ptrIaEENSG_IlEEPmS8_NS6_8equal_toIaEEEE10hipError_tPvRmT2_T3_mT4_T5_T6_T7_T8_P12ihipStream_tbENKUlT_T0_E_clISt17integral_constantIbLb1EES12_IbLb0EEEEDaSY_SZ_EUlSY_E_NS1_11comp_targetILNS1_3genE8ELNS1_11target_archE1030ELNS1_3gpuE2ELNS1_3repE0EEENS1_30default_config_static_selectorELNS0_4arch9wavefront6targetE1EEEvT1_,@function
_ZN7rocprim17ROCPRIM_400000_NS6detail17trampoline_kernelINS0_14default_configENS1_29reduce_by_key_config_selectorIalN6thrust23THRUST_200600_302600_NS4plusIlEEEEZZNS1_33reduce_by_key_impl_wrapped_configILNS1_25lookback_scan_determinismE0ES3_S9_PaNS6_17constant_iteratorIiNS6_11use_defaultESE_EENS6_10device_ptrIaEENSG_IlEEPmS8_NS6_8equal_toIaEEEE10hipError_tPvRmT2_T3_mT4_T5_T6_T7_T8_P12ihipStream_tbENKUlT_T0_E_clISt17integral_constantIbLb1EES12_IbLb0EEEEDaSY_SZ_EUlSY_E_NS1_11comp_targetILNS1_3genE8ELNS1_11target_archE1030ELNS1_3gpuE2ELNS1_3repE0EEENS1_30default_config_static_selectorELNS0_4arch9wavefront6targetE1EEEvT1_: ; @_ZN7rocprim17ROCPRIM_400000_NS6detail17trampoline_kernelINS0_14default_configENS1_29reduce_by_key_config_selectorIalN6thrust23THRUST_200600_302600_NS4plusIlEEEEZZNS1_33reduce_by_key_impl_wrapped_configILNS1_25lookback_scan_determinismE0ES3_S9_PaNS6_17constant_iteratorIiNS6_11use_defaultESE_EENS6_10device_ptrIaEENSG_IlEEPmS8_NS6_8equal_toIaEEEE10hipError_tPvRmT2_T3_mT4_T5_T6_T7_T8_P12ihipStream_tbENKUlT_T0_E_clISt17integral_constantIbLb1EES12_IbLb0EEEEDaSY_SZ_EUlSY_E_NS1_11comp_targetILNS1_3genE8ELNS1_11target_archE1030ELNS1_3gpuE2ELNS1_3repE0EEENS1_30default_config_static_selectorELNS0_4arch9wavefront6targetE1EEEvT1_
; %bb.0:
	.section	.rodata,"a",@progbits
	.p2align	6, 0x0
	.amdhsa_kernel _ZN7rocprim17ROCPRIM_400000_NS6detail17trampoline_kernelINS0_14default_configENS1_29reduce_by_key_config_selectorIalN6thrust23THRUST_200600_302600_NS4plusIlEEEEZZNS1_33reduce_by_key_impl_wrapped_configILNS1_25lookback_scan_determinismE0ES3_S9_PaNS6_17constant_iteratorIiNS6_11use_defaultESE_EENS6_10device_ptrIaEENSG_IlEEPmS8_NS6_8equal_toIaEEEE10hipError_tPvRmT2_T3_mT4_T5_T6_T7_T8_P12ihipStream_tbENKUlT_T0_E_clISt17integral_constantIbLb1EES12_IbLb0EEEEDaSY_SZ_EUlSY_E_NS1_11comp_targetILNS1_3genE8ELNS1_11target_archE1030ELNS1_3gpuE2ELNS1_3repE0EEENS1_30default_config_static_selectorELNS0_4arch9wavefront6targetE1EEEvT1_
		.amdhsa_group_segment_fixed_size 0
		.amdhsa_private_segment_fixed_size 0
		.amdhsa_kernarg_size 144
		.amdhsa_user_sgpr_count 6
		.amdhsa_user_sgpr_private_segment_buffer 1
		.amdhsa_user_sgpr_dispatch_ptr 0
		.amdhsa_user_sgpr_queue_ptr 0
		.amdhsa_user_sgpr_kernarg_segment_ptr 1
		.amdhsa_user_sgpr_dispatch_id 0
		.amdhsa_user_sgpr_flat_scratch_init 0
		.amdhsa_user_sgpr_kernarg_preload_length 0
		.amdhsa_user_sgpr_kernarg_preload_offset 0
		.amdhsa_user_sgpr_private_segment_size 0
		.amdhsa_uses_dynamic_stack 0
		.amdhsa_system_sgpr_private_segment_wavefront_offset 0
		.amdhsa_system_sgpr_workgroup_id_x 1
		.amdhsa_system_sgpr_workgroup_id_y 0
		.amdhsa_system_sgpr_workgroup_id_z 0
		.amdhsa_system_sgpr_workgroup_info 0
		.amdhsa_system_vgpr_workitem_id 0
		.amdhsa_next_free_vgpr 1
		.amdhsa_next_free_sgpr 0
		.amdhsa_accum_offset 4
		.amdhsa_reserve_vcc 0
		.amdhsa_reserve_flat_scratch 0
		.amdhsa_float_round_mode_32 0
		.amdhsa_float_round_mode_16_64 0
		.amdhsa_float_denorm_mode_32 3
		.amdhsa_float_denorm_mode_16_64 3
		.amdhsa_dx10_clamp 1
		.amdhsa_ieee_mode 1
		.amdhsa_fp16_overflow 0
		.amdhsa_tg_split 0
		.amdhsa_exception_fp_ieee_invalid_op 0
		.amdhsa_exception_fp_denorm_src 0
		.amdhsa_exception_fp_ieee_div_zero 0
		.amdhsa_exception_fp_ieee_overflow 0
		.amdhsa_exception_fp_ieee_underflow 0
		.amdhsa_exception_fp_ieee_inexact 0
		.amdhsa_exception_int_div_zero 0
	.end_amdhsa_kernel
	.section	.text._ZN7rocprim17ROCPRIM_400000_NS6detail17trampoline_kernelINS0_14default_configENS1_29reduce_by_key_config_selectorIalN6thrust23THRUST_200600_302600_NS4plusIlEEEEZZNS1_33reduce_by_key_impl_wrapped_configILNS1_25lookback_scan_determinismE0ES3_S9_PaNS6_17constant_iteratorIiNS6_11use_defaultESE_EENS6_10device_ptrIaEENSG_IlEEPmS8_NS6_8equal_toIaEEEE10hipError_tPvRmT2_T3_mT4_T5_T6_T7_T8_P12ihipStream_tbENKUlT_T0_E_clISt17integral_constantIbLb1EES12_IbLb0EEEEDaSY_SZ_EUlSY_E_NS1_11comp_targetILNS1_3genE8ELNS1_11target_archE1030ELNS1_3gpuE2ELNS1_3repE0EEENS1_30default_config_static_selectorELNS0_4arch9wavefront6targetE1EEEvT1_,"axG",@progbits,_ZN7rocprim17ROCPRIM_400000_NS6detail17trampoline_kernelINS0_14default_configENS1_29reduce_by_key_config_selectorIalN6thrust23THRUST_200600_302600_NS4plusIlEEEEZZNS1_33reduce_by_key_impl_wrapped_configILNS1_25lookback_scan_determinismE0ES3_S9_PaNS6_17constant_iteratorIiNS6_11use_defaultESE_EENS6_10device_ptrIaEENSG_IlEEPmS8_NS6_8equal_toIaEEEE10hipError_tPvRmT2_T3_mT4_T5_T6_T7_T8_P12ihipStream_tbENKUlT_T0_E_clISt17integral_constantIbLb1EES12_IbLb0EEEEDaSY_SZ_EUlSY_E_NS1_11comp_targetILNS1_3genE8ELNS1_11target_archE1030ELNS1_3gpuE2ELNS1_3repE0EEENS1_30default_config_static_selectorELNS0_4arch9wavefront6targetE1EEEvT1_,comdat
.Lfunc_end698:
	.size	_ZN7rocprim17ROCPRIM_400000_NS6detail17trampoline_kernelINS0_14default_configENS1_29reduce_by_key_config_selectorIalN6thrust23THRUST_200600_302600_NS4plusIlEEEEZZNS1_33reduce_by_key_impl_wrapped_configILNS1_25lookback_scan_determinismE0ES3_S9_PaNS6_17constant_iteratorIiNS6_11use_defaultESE_EENS6_10device_ptrIaEENSG_IlEEPmS8_NS6_8equal_toIaEEEE10hipError_tPvRmT2_T3_mT4_T5_T6_T7_T8_P12ihipStream_tbENKUlT_T0_E_clISt17integral_constantIbLb1EES12_IbLb0EEEEDaSY_SZ_EUlSY_E_NS1_11comp_targetILNS1_3genE8ELNS1_11target_archE1030ELNS1_3gpuE2ELNS1_3repE0EEENS1_30default_config_static_selectorELNS0_4arch9wavefront6targetE1EEEvT1_, .Lfunc_end698-_ZN7rocprim17ROCPRIM_400000_NS6detail17trampoline_kernelINS0_14default_configENS1_29reduce_by_key_config_selectorIalN6thrust23THRUST_200600_302600_NS4plusIlEEEEZZNS1_33reduce_by_key_impl_wrapped_configILNS1_25lookback_scan_determinismE0ES3_S9_PaNS6_17constant_iteratorIiNS6_11use_defaultESE_EENS6_10device_ptrIaEENSG_IlEEPmS8_NS6_8equal_toIaEEEE10hipError_tPvRmT2_T3_mT4_T5_T6_T7_T8_P12ihipStream_tbENKUlT_T0_E_clISt17integral_constantIbLb1EES12_IbLb0EEEEDaSY_SZ_EUlSY_E_NS1_11comp_targetILNS1_3genE8ELNS1_11target_archE1030ELNS1_3gpuE2ELNS1_3repE0EEENS1_30default_config_static_selectorELNS0_4arch9wavefront6targetE1EEEvT1_
                                        ; -- End function
	.section	.AMDGPU.csdata,"",@progbits
; Kernel info:
; codeLenInByte = 0
; NumSgprs: 4
; NumVgprs: 0
; NumAgprs: 0
; TotalNumVgprs: 0
; ScratchSize: 0
; MemoryBound: 0
; FloatMode: 240
; IeeeMode: 1
; LDSByteSize: 0 bytes/workgroup (compile time only)
; SGPRBlocks: 0
; VGPRBlocks: 0
; NumSGPRsForWavesPerEU: 4
; NumVGPRsForWavesPerEU: 1
; AccumOffset: 4
; Occupancy: 8
; WaveLimiterHint : 0
; COMPUTE_PGM_RSRC2:SCRATCH_EN: 0
; COMPUTE_PGM_RSRC2:USER_SGPR: 6
; COMPUTE_PGM_RSRC2:TRAP_HANDLER: 0
; COMPUTE_PGM_RSRC2:TGID_X_EN: 1
; COMPUTE_PGM_RSRC2:TGID_Y_EN: 0
; COMPUTE_PGM_RSRC2:TGID_Z_EN: 0
; COMPUTE_PGM_RSRC2:TIDIG_COMP_CNT: 0
; COMPUTE_PGM_RSRC3_GFX90A:ACCUM_OFFSET: 0
; COMPUTE_PGM_RSRC3_GFX90A:TG_SPLIT: 0
	.section	.text._ZN7rocprim17ROCPRIM_400000_NS6detail17trampoline_kernelINS0_14default_configENS1_29reduce_by_key_config_selectorIalN6thrust23THRUST_200600_302600_NS4plusIlEEEEZZNS1_33reduce_by_key_impl_wrapped_configILNS1_25lookback_scan_determinismE0ES3_S9_PaNS6_17constant_iteratorIiNS6_11use_defaultESE_EENS6_10device_ptrIaEENSG_IlEEPmS8_NS6_8equal_toIaEEEE10hipError_tPvRmT2_T3_mT4_T5_T6_T7_T8_P12ihipStream_tbENKUlT_T0_E_clISt17integral_constantIbLb0EES12_IbLb1EEEEDaSY_SZ_EUlSY_E_NS1_11comp_targetILNS1_3genE0ELNS1_11target_archE4294967295ELNS1_3gpuE0ELNS1_3repE0EEENS1_30default_config_static_selectorELNS0_4arch9wavefront6targetE1EEEvT1_,"axG",@progbits,_ZN7rocprim17ROCPRIM_400000_NS6detail17trampoline_kernelINS0_14default_configENS1_29reduce_by_key_config_selectorIalN6thrust23THRUST_200600_302600_NS4plusIlEEEEZZNS1_33reduce_by_key_impl_wrapped_configILNS1_25lookback_scan_determinismE0ES3_S9_PaNS6_17constant_iteratorIiNS6_11use_defaultESE_EENS6_10device_ptrIaEENSG_IlEEPmS8_NS6_8equal_toIaEEEE10hipError_tPvRmT2_T3_mT4_T5_T6_T7_T8_P12ihipStream_tbENKUlT_T0_E_clISt17integral_constantIbLb0EES12_IbLb1EEEEDaSY_SZ_EUlSY_E_NS1_11comp_targetILNS1_3genE0ELNS1_11target_archE4294967295ELNS1_3gpuE0ELNS1_3repE0EEENS1_30default_config_static_selectorELNS0_4arch9wavefront6targetE1EEEvT1_,comdat
	.protected	_ZN7rocprim17ROCPRIM_400000_NS6detail17trampoline_kernelINS0_14default_configENS1_29reduce_by_key_config_selectorIalN6thrust23THRUST_200600_302600_NS4plusIlEEEEZZNS1_33reduce_by_key_impl_wrapped_configILNS1_25lookback_scan_determinismE0ES3_S9_PaNS6_17constant_iteratorIiNS6_11use_defaultESE_EENS6_10device_ptrIaEENSG_IlEEPmS8_NS6_8equal_toIaEEEE10hipError_tPvRmT2_T3_mT4_T5_T6_T7_T8_P12ihipStream_tbENKUlT_T0_E_clISt17integral_constantIbLb0EES12_IbLb1EEEEDaSY_SZ_EUlSY_E_NS1_11comp_targetILNS1_3genE0ELNS1_11target_archE4294967295ELNS1_3gpuE0ELNS1_3repE0EEENS1_30default_config_static_selectorELNS0_4arch9wavefront6targetE1EEEvT1_ ; -- Begin function _ZN7rocprim17ROCPRIM_400000_NS6detail17trampoline_kernelINS0_14default_configENS1_29reduce_by_key_config_selectorIalN6thrust23THRUST_200600_302600_NS4plusIlEEEEZZNS1_33reduce_by_key_impl_wrapped_configILNS1_25lookback_scan_determinismE0ES3_S9_PaNS6_17constant_iteratorIiNS6_11use_defaultESE_EENS6_10device_ptrIaEENSG_IlEEPmS8_NS6_8equal_toIaEEEE10hipError_tPvRmT2_T3_mT4_T5_T6_T7_T8_P12ihipStream_tbENKUlT_T0_E_clISt17integral_constantIbLb0EES12_IbLb1EEEEDaSY_SZ_EUlSY_E_NS1_11comp_targetILNS1_3genE0ELNS1_11target_archE4294967295ELNS1_3gpuE0ELNS1_3repE0EEENS1_30default_config_static_selectorELNS0_4arch9wavefront6targetE1EEEvT1_
	.globl	_ZN7rocprim17ROCPRIM_400000_NS6detail17trampoline_kernelINS0_14default_configENS1_29reduce_by_key_config_selectorIalN6thrust23THRUST_200600_302600_NS4plusIlEEEEZZNS1_33reduce_by_key_impl_wrapped_configILNS1_25lookback_scan_determinismE0ES3_S9_PaNS6_17constant_iteratorIiNS6_11use_defaultESE_EENS6_10device_ptrIaEENSG_IlEEPmS8_NS6_8equal_toIaEEEE10hipError_tPvRmT2_T3_mT4_T5_T6_T7_T8_P12ihipStream_tbENKUlT_T0_E_clISt17integral_constantIbLb0EES12_IbLb1EEEEDaSY_SZ_EUlSY_E_NS1_11comp_targetILNS1_3genE0ELNS1_11target_archE4294967295ELNS1_3gpuE0ELNS1_3repE0EEENS1_30default_config_static_selectorELNS0_4arch9wavefront6targetE1EEEvT1_
	.p2align	8
	.type	_ZN7rocprim17ROCPRIM_400000_NS6detail17trampoline_kernelINS0_14default_configENS1_29reduce_by_key_config_selectorIalN6thrust23THRUST_200600_302600_NS4plusIlEEEEZZNS1_33reduce_by_key_impl_wrapped_configILNS1_25lookback_scan_determinismE0ES3_S9_PaNS6_17constant_iteratorIiNS6_11use_defaultESE_EENS6_10device_ptrIaEENSG_IlEEPmS8_NS6_8equal_toIaEEEE10hipError_tPvRmT2_T3_mT4_T5_T6_T7_T8_P12ihipStream_tbENKUlT_T0_E_clISt17integral_constantIbLb0EES12_IbLb1EEEEDaSY_SZ_EUlSY_E_NS1_11comp_targetILNS1_3genE0ELNS1_11target_archE4294967295ELNS1_3gpuE0ELNS1_3repE0EEENS1_30default_config_static_selectorELNS0_4arch9wavefront6targetE1EEEvT1_,@function
_ZN7rocprim17ROCPRIM_400000_NS6detail17trampoline_kernelINS0_14default_configENS1_29reduce_by_key_config_selectorIalN6thrust23THRUST_200600_302600_NS4plusIlEEEEZZNS1_33reduce_by_key_impl_wrapped_configILNS1_25lookback_scan_determinismE0ES3_S9_PaNS6_17constant_iteratorIiNS6_11use_defaultESE_EENS6_10device_ptrIaEENSG_IlEEPmS8_NS6_8equal_toIaEEEE10hipError_tPvRmT2_T3_mT4_T5_T6_T7_T8_P12ihipStream_tbENKUlT_T0_E_clISt17integral_constantIbLb0EES12_IbLb1EEEEDaSY_SZ_EUlSY_E_NS1_11comp_targetILNS1_3genE0ELNS1_11target_archE4294967295ELNS1_3gpuE0ELNS1_3repE0EEENS1_30default_config_static_selectorELNS0_4arch9wavefront6targetE1EEEvT1_: ; @_ZN7rocprim17ROCPRIM_400000_NS6detail17trampoline_kernelINS0_14default_configENS1_29reduce_by_key_config_selectorIalN6thrust23THRUST_200600_302600_NS4plusIlEEEEZZNS1_33reduce_by_key_impl_wrapped_configILNS1_25lookback_scan_determinismE0ES3_S9_PaNS6_17constant_iteratorIiNS6_11use_defaultESE_EENS6_10device_ptrIaEENSG_IlEEPmS8_NS6_8equal_toIaEEEE10hipError_tPvRmT2_T3_mT4_T5_T6_T7_T8_P12ihipStream_tbENKUlT_T0_E_clISt17integral_constantIbLb0EES12_IbLb1EEEEDaSY_SZ_EUlSY_E_NS1_11comp_targetILNS1_3genE0ELNS1_11target_archE4294967295ELNS1_3gpuE0ELNS1_3repE0EEENS1_30default_config_static_selectorELNS0_4arch9wavefront6targetE1EEEvT1_
; %bb.0:
	.section	.rodata,"a",@progbits
	.p2align	6, 0x0
	.amdhsa_kernel _ZN7rocprim17ROCPRIM_400000_NS6detail17trampoline_kernelINS0_14default_configENS1_29reduce_by_key_config_selectorIalN6thrust23THRUST_200600_302600_NS4plusIlEEEEZZNS1_33reduce_by_key_impl_wrapped_configILNS1_25lookback_scan_determinismE0ES3_S9_PaNS6_17constant_iteratorIiNS6_11use_defaultESE_EENS6_10device_ptrIaEENSG_IlEEPmS8_NS6_8equal_toIaEEEE10hipError_tPvRmT2_T3_mT4_T5_T6_T7_T8_P12ihipStream_tbENKUlT_T0_E_clISt17integral_constantIbLb0EES12_IbLb1EEEEDaSY_SZ_EUlSY_E_NS1_11comp_targetILNS1_3genE0ELNS1_11target_archE4294967295ELNS1_3gpuE0ELNS1_3repE0EEENS1_30default_config_static_selectorELNS0_4arch9wavefront6targetE1EEEvT1_
		.amdhsa_group_segment_fixed_size 0
		.amdhsa_private_segment_fixed_size 0
		.amdhsa_kernarg_size 144
		.amdhsa_user_sgpr_count 6
		.amdhsa_user_sgpr_private_segment_buffer 1
		.amdhsa_user_sgpr_dispatch_ptr 0
		.amdhsa_user_sgpr_queue_ptr 0
		.amdhsa_user_sgpr_kernarg_segment_ptr 1
		.amdhsa_user_sgpr_dispatch_id 0
		.amdhsa_user_sgpr_flat_scratch_init 0
		.amdhsa_user_sgpr_kernarg_preload_length 0
		.amdhsa_user_sgpr_kernarg_preload_offset 0
		.amdhsa_user_sgpr_private_segment_size 0
		.amdhsa_uses_dynamic_stack 0
		.amdhsa_system_sgpr_private_segment_wavefront_offset 0
		.amdhsa_system_sgpr_workgroup_id_x 1
		.amdhsa_system_sgpr_workgroup_id_y 0
		.amdhsa_system_sgpr_workgroup_id_z 0
		.amdhsa_system_sgpr_workgroup_info 0
		.amdhsa_system_vgpr_workitem_id 0
		.amdhsa_next_free_vgpr 1
		.amdhsa_next_free_sgpr 0
		.amdhsa_accum_offset 4
		.amdhsa_reserve_vcc 0
		.amdhsa_reserve_flat_scratch 0
		.amdhsa_float_round_mode_32 0
		.amdhsa_float_round_mode_16_64 0
		.amdhsa_float_denorm_mode_32 3
		.amdhsa_float_denorm_mode_16_64 3
		.amdhsa_dx10_clamp 1
		.amdhsa_ieee_mode 1
		.amdhsa_fp16_overflow 0
		.amdhsa_tg_split 0
		.amdhsa_exception_fp_ieee_invalid_op 0
		.amdhsa_exception_fp_denorm_src 0
		.amdhsa_exception_fp_ieee_div_zero 0
		.amdhsa_exception_fp_ieee_overflow 0
		.amdhsa_exception_fp_ieee_underflow 0
		.amdhsa_exception_fp_ieee_inexact 0
		.amdhsa_exception_int_div_zero 0
	.end_amdhsa_kernel
	.section	.text._ZN7rocprim17ROCPRIM_400000_NS6detail17trampoline_kernelINS0_14default_configENS1_29reduce_by_key_config_selectorIalN6thrust23THRUST_200600_302600_NS4plusIlEEEEZZNS1_33reduce_by_key_impl_wrapped_configILNS1_25lookback_scan_determinismE0ES3_S9_PaNS6_17constant_iteratorIiNS6_11use_defaultESE_EENS6_10device_ptrIaEENSG_IlEEPmS8_NS6_8equal_toIaEEEE10hipError_tPvRmT2_T3_mT4_T5_T6_T7_T8_P12ihipStream_tbENKUlT_T0_E_clISt17integral_constantIbLb0EES12_IbLb1EEEEDaSY_SZ_EUlSY_E_NS1_11comp_targetILNS1_3genE0ELNS1_11target_archE4294967295ELNS1_3gpuE0ELNS1_3repE0EEENS1_30default_config_static_selectorELNS0_4arch9wavefront6targetE1EEEvT1_,"axG",@progbits,_ZN7rocprim17ROCPRIM_400000_NS6detail17trampoline_kernelINS0_14default_configENS1_29reduce_by_key_config_selectorIalN6thrust23THRUST_200600_302600_NS4plusIlEEEEZZNS1_33reduce_by_key_impl_wrapped_configILNS1_25lookback_scan_determinismE0ES3_S9_PaNS6_17constant_iteratorIiNS6_11use_defaultESE_EENS6_10device_ptrIaEENSG_IlEEPmS8_NS6_8equal_toIaEEEE10hipError_tPvRmT2_T3_mT4_T5_T6_T7_T8_P12ihipStream_tbENKUlT_T0_E_clISt17integral_constantIbLb0EES12_IbLb1EEEEDaSY_SZ_EUlSY_E_NS1_11comp_targetILNS1_3genE0ELNS1_11target_archE4294967295ELNS1_3gpuE0ELNS1_3repE0EEENS1_30default_config_static_selectorELNS0_4arch9wavefront6targetE1EEEvT1_,comdat
.Lfunc_end699:
	.size	_ZN7rocprim17ROCPRIM_400000_NS6detail17trampoline_kernelINS0_14default_configENS1_29reduce_by_key_config_selectorIalN6thrust23THRUST_200600_302600_NS4plusIlEEEEZZNS1_33reduce_by_key_impl_wrapped_configILNS1_25lookback_scan_determinismE0ES3_S9_PaNS6_17constant_iteratorIiNS6_11use_defaultESE_EENS6_10device_ptrIaEENSG_IlEEPmS8_NS6_8equal_toIaEEEE10hipError_tPvRmT2_T3_mT4_T5_T6_T7_T8_P12ihipStream_tbENKUlT_T0_E_clISt17integral_constantIbLb0EES12_IbLb1EEEEDaSY_SZ_EUlSY_E_NS1_11comp_targetILNS1_3genE0ELNS1_11target_archE4294967295ELNS1_3gpuE0ELNS1_3repE0EEENS1_30default_config_static_selectorELNS0_4arch9wavefront6targetE1EEEvT1_, .Lfunc_end699-_ZN7rocprim17ROCPRIM_400000_NS6detail17trampoline_kernelINS0_14default_configENS1_29reduce_by_key_config_selectorIalN6thrust23THRUST_200600_302600_NS4plusIlEEEEZZNS1_33reduce_by_key_impl_wrapped_configILNS1_25lookback_scan_determinismE0ES3_S9_PaNS6_17constant_iteratorIiNS6_11use_defaultESE_EENS6_10device_ptrIaEENSG_IlEEPmS8_NS6_8equal_toIaEEEE10hipError_tPvRmT2_T3_mT4_T5_T6_T7_T8_P12ihipStream_tbENKUlT_T0_E_clISt17integral_constantIbLb0EES12_IbLb1EEEEDaSY_SZ_EUlSY_E_NS1_11comp_targetILNS1_3genE0ELNS1_11target_archE4294967295ELNS1_3gpuE0ELNS1_3repE0EEENS1_30default_config_static_selectorELNS0_4arch9wavefront6targetE1EEEvT1_
                                        ; -- End function
	.section	.AMDGPU.csdata,"",@progbits
; Kernel info:
; codeLenInByte = 0
; NumSgprs: 4
; NumVgprs: 0
; NumAgprs: 0
; TotalNumVgprs: 0
; ScratchSize: 0
; MemoryBound: 0
; FloatMode: 240
; IeeeMode: 1
; LDSByteSize: 0 bytes/workgroup (compile time only)
; SGPRBlocks: 0
; VGPRBlocks: 0
; NumSGPRsForWavesPerEU: 4
; NumVGPRsForWavesPerEU: 1
; AccumOffset: 4
; Occupancy: 8
; WaveLimiterHint : 0
; COMPUTE_PGM_RSRC2:SCRATCH_EN: 0
; COMPUTE_PGM_RSRC2:USER_SGPR: 6
; COMPUTE_PGM_RSRC2:TRAP_HANDLER: 0
; COMPUTE_PGM_RSRC2:TGID_X_EN: 1
; COMPUTE_PGM_RSRC2:TGID_Y_EN: 0
; COMPUTE_PGM_RSRC2:TGID_Z_EN: 0
; COMPUTE_PGM_RSRC2:TIDIG_COMP_CNT: 0
; COMPUTE_PGM_RSRC3_GFX90A:ACCUM_OFFSET: 0
; COMPUTE_PGM_RSRC3_GFX90A:TG_SPLIT: 0
	.section	.text._ZN7rocprim17ROCPRIM_400000_NS6detail17trampoline_kernelINS0_14default_configENS1_29reduce_by_key_config_selectorIalN6thrust23THRUST_200600_302600_NS4plusIlEEEEZZNS1_33reduce_by_key_impl_wrapped_configILNS1_25lookback_scan_determinismE0ES3_S9_PaNS6_17constant_iteratorIiNS6_11use_defaultESE_EENS6_10device_ptrIaEENSG_IlEEPmS8_NS6_8equal_toIaEEEE10hipError_tPvRmT2_T3_mT4_T5_T6_T7_T8_P12ihipStream_tbENKUlT_T0_E_clISt17integral_constantIbLb0EES12_IbLb1EEEEDaSY_SZ_EUlSY_E_NS1_11comp_targetILNS1_3genE5ELNS1_11target_archE942ELNS1_3gpuE9ELNS1_3repE0EEENS1_30default_config_static_selectorELNS0_4arch9wavefront6targetE1EEEvT1_,"axG",@progbits,_ZN7rocprim17ROCPRIM_400000_NS6detail17trampoline_kernelINS0_14default_configENS1_29reduce_by_key_config_selectorIalN6thrust23THRUST_200600_302600_NS4plusIlEEEEZZNS1_33reduce_by_key_impl_wrapped_configILNS1_25lookback_scan_determinismE0ES3_S9_PaNS6_17constant_iteratorIiNS6_11use_defaultESE_EENS6_10device_ptrIaEENSG_IlEEPmS8_NS6_8equal_toIaEEEE10hipError_tPvRmT2_T3_mT4_T5_T6_T7_T8_P12ihipStream_tbENKUlT_T0_E_clISt17integral_constantIbLb0EES12_IbLb1EEEEDaSY_SZ_EUlSY_E_NS1_11comp_targetILNS1_3genE5ELNS1_11target_archE942ELNS1_3gpuE9ELNS1_3repE0EEENS1_30default_config_static_selectorELNS0_4arch9wavefront6targetE1EEEvT1_,comdat
	.protected	_ZN7rocprim17ROCPRIM_400000_NS6detail17trampoline_kernelINS0_14default_configENS1_29reduce_by_key_config_selectorIalN6thrust23THRUST_200600_302600_NS4plusIlEEEEZZNS1_33reduce_by_key_impl_wrapped_configILNS1_25lookback_scan_determinismE0ES3_S9_PaNS6_17constant_iteratorIiNS6_11use_defaultESE_EENS6_10device_ptrIaEENSG_IlEEPmS8_NS6_8equal_toIaEEEE10hipError_tPvRmT2_T3_mT4_T5_T6_T7_T8_P12ihipStream_tbENKUlT_T0_E_clISt17integral_constantIbLb0EES12_IbLb1EEEEDaSY_SZ_EUlSY_E_NS1_11comp_targetILNS1_3genE5ELNS1_11target_archE942ELNS1_3gpuE9ELNS1_3repE0EEENS1_30default_config_static_selectorELNS0_4arch9wavefront6targetE1EEEvT1_ ; -- Begin function _ZN7rocprim17ROCPRIM_400000_NS6detail17trampoline_kernelINS0_14default_configENS1_29reduce_by_key_config_selectorIalN6thrust23THRUST_200600_302600_NS4plusIlEEEEZZNS1_33reduce_by_key_impl_wrapped_configILNS1_25lookback_scan_determinismE0ES3_S9_PaNS6_17constant_iteratorIiNS6_11use_defaultESE_EENS6_10device_ptrIaEENSG_IlEEPmS8_NS6_8equal_toIaEEEE10hipError_tPvRmT2_T3_mT4_T5_T6_T7_T8_P12ihipStream_tbENKUlT_T0_E_clISt17integral_constantIbLb0EES12_IbLb1EEEEDaSY_SZ_EUlSY_E_NS1_11comp_targetILNS1_3genE5ELNS1_11target_archE942ELNS1_3gpuE9ELNS1_3repE0EEENS1_30default_config_static_selectorELNS0_4arch9wavefront6targetE1EEEvT1_
	.globl	_ZN7rocprim17ROCPRIM_400000_NS6detail17trampoline_kernelINS0_14default_configENS1_29reduce_by_key_config_selectorIalN6thrust23THRUST_200600_302600_NS4plusIlEEEEZZNS1_33reduce_by_key_impl_wrapped_configILNS1_25lookback_scan_determinismE0ES3_S9_PaNS6_17constant_iteratorIiNS6_11use_defaultESE_EENS6_10device_ptrIaEENSG_IlEEPmS8_NS6_8equal_toIaEEEE10hipError_tPvRmT2_T3_mT4_T5_T6_T7_T8_P12ihipStream_tbENKUlT_T0_E_clISt17integral_constantIbLb0EES12_IbLb1EEEEDaSY_SZ_EUlSY_E_NS1_11comp_targetILNS1_3genE5ELNS1_11target_archE942ELNS1_3gpuE9ELNS1_3repE0EEENS1_30default_config_static_selectorELNS0_4arch9wavefront6targetE1EEEvT1_
	.p2align	8
	.type	_ZN7rocprim17ROCPRIM_400000_NS6detail17trampoline_kernelINS0_14default_configENS1_29reduce_by_key_config_selectorIalN6thrust23THRUST_200600_302600_NS4plusIlEEEEZZNS1_33reduce_by_key_impl_wrapped_configILNS1_25lookback_scan_determinismE0ES3_S9_PaNS6_17constant_iteratorIiNS6_11use_defaultESE_EENS6_10device_ptrIaEENSG_IlEEPmS8_NS6_8equal_toIaEEEE10hipError_tPvRmT2_T3_mT4_T5_T6_T7_T8_P12ihipStream_tbENKUlT_T0_E_clISt17integral_constantIbLb0EES12_IbLb1EEEEDaSY_SZ_EUlSY_E_NS1_11comp_targetILNS1_3genE5ELNS1_11target_archE942ELNS1_3gpuE9ELNS1_3repE0EEENS1_30default_config_static_selectorELNS0_4arch9wavefront6targetE1EEEvT1_,@function
_ZN7rocprim17ROCPRIM_400000_NS6detail17trampoline_kernelINS0_14default_configENS1_29reduce_by_key_config_selectorIalN6thrust23THRUST_200600_302600_NS4plusIlEEEEZZNS1_33reduce_by_key_impl_wrapped_configILNS1_25lookback_scan_determinismE0ES3_S9_PaNS6_17constant_iteratorIiNS6_11use_defaultESE_EENS6_10device_ptrIaEENSG_IlEEPmS8_NS6_8equal_toIaEEEE10hipError_tPvRmT2_T3_mT4_T5_T6_T7_T8_P12ihipStream_tbENKUlT_T0_E_clISt17integral_constantIbLb0EES12_IbLb1EEEEDaSY_SZ_EUlSY_E_NS1_11comp_targetILNS1_3genE5ELNS1_11target_archE942ELNS1_3gpuE9ELNS1_3repE0EEENS1_30default_config_static_selectorELNS0_4arch9wavefront6targetE1EEEvT1_: ; @_ZN7rocprim17ROCPRIM_400000_NS6detail17trampoline_kernelINS0_14default_configENS1_29reduce_by_key_config_selectorIalN6thrust23THRUST_200600_302600_NS4plusIlEEEEZZNS1_33reduce_by_key_impl_wrapped_configILNS1_25lookback_scan_determinismE0ES3_S9_PaNS6_17constant_iteratorIiNS6_11use_defaultESE_EENS6_10device_ptrIaEENSG_IlEEPmS8_NS6_8equal_toIaEEEE10hipError_tPvRmT2_T3_mT4_T5_T6_T7_T8_P12ihipStream_tbENKUlT_T0_E_clISt17integral_constantIbLb0EES12_IbLb1EEEEDaSY_SZ_EUlSY_E_NS1_11comp_targetILNS1_3genE5ELNS1_11target_archE942ELNS1_3gpuE9ELNS1_3repE0EEENS1_30default_config_static_selectorELNS0_4arch9wavefront6targetE1EEEvT1_
; %bb.0:
	.section	.rodata,"a",@progbits
	.p2align	6, 0x0
	.amdhsa_kernel _ZN7rocprim17ROCPRIM_400000_NS6detail17trampoline_kernelINS0_14default_configENS1_29reduce_by_key_config_selectorIalN6thrust23THRUST_200600_302600_NS4plusIlEEEEZZNS1_33reduce_by_key_impl_wrapped_configILNS1_25lookback_scan_determinismE0ES3_S9_PaNS6_17constant_iteratorIiNS6_11use_defaultESE_EENS6_10device_ptrIaEENSG_IlEEPmS8_NS6_8equal_toIaEEEE10hipError_tPvRmT2_T3_mT4_T5_T6_T7_T8_P12ihipStream_tbENKUlT_T0_E_clISt17integral_constantIbLb0EES12_IbLb1EEEEDaSY_SZ_EUlSY_E_NS1_11comp_targetILNS1_3genE5ELNS1_11target_archE942ELNS1_3gpuE9ELNS1_3repE0EEENS1_30default_config_static_selectorELNS0_4arch9wavefront6targetE1EEEvT1_
		.amdhsa_group_segment_fixed_size 0
		.amdhsa_private_segment_fixed_size 0
		.amdhsa_kernarg_size 144
		.amdhsa_user_sgpr_count 6
		.amdhsa_user_sgpr_private_segment_buffer 1
		.amdhsa_user_sgpr_dispatch_ptr 0
		.amdhsa_user_sgpr_queue_ptr 0
		.amdhsa_user_sgpr_kernarg_segment_ptr 1
		.amdhsa_user_sgpr_dispatch_id 0
		.amdhsa_user_sgpr_flat_scratch_init 0
		.amdhsa_user_sgpr_kernarg_preload_length 0
		.amdhsa_user_sgpr_kernarg_preload_offset 0
		.amdhsa_user_sgpr_private_segment_size 0
		.amdhsa_uses_dynamic_stack 0
		.amdhsa_system_sgpr_private_segment_wavefront_offset 0
		.amdhsa_system_sgpr_workgroup_id_x 1
		.amdhsa_system_sgpr_workgroup_id_y 0
		.amdhsa_system_sgpr_workgroup_id_z 0
		.amdhsa_system_sgpr_workgroup_info 0
		.amdhsa_system_vgpr_workitem_id 0
		.amdhsa_next_free_vgpr 1
		.amdhsa_next_free_sgpr 0
		.amdhsa_accum_offset 4
		.amdhsa_reserve_vcc 0
		.amdhsa_reserve_flat_scratch 0
		.amdhsa_float_round_mode_32 0
		.amdhsa_float_round_mode_16_64 0
		.amdhsa_float_denorm_mode_32 3
		.amdhsa_float_denorm_mode_16_64 3
		.amdhsa_dx10_clamp 1
		.amdhsa_ieee_mode 1
		.amdhsa_fp16_overflow 0
		.amdhsa_tg_split 0
		.amdhsa_exception_fp_ieee_invalid_op 0
		.amdhsa_exception_fp_denorm_src 0
		.amdhsa_exception_fp_ieee_div_zero 0
		.amdhsa_exception_fp_ieee_overflow 0
		.amdhsa_exception_fp_ieee_underflow 0
		.amdhsa_exception_fp_ieee_inexact 0
		.amdhsa_exception_int_div_zero 0
	.end_amdhsa_kernel
	.section	.text._ZN7rocprim17ROCPRIM_400000_NS6detail17trampoline_kernelINS0_14default_configENS1_29reduce_by_key_config_selectorIalN6thrust23THRUST_200600_302600_NS4plusIlEEEEZZNS1_33reduce_by_key_impl_wrapped_configILNS1_25lookback_scan_determinismE0ES3_S9_PaNS6_17constant_iteratorIiNS6_11use_defaultESE_EENS6_10device_ptrIaEENSG_IlEEPmS8_NS6_8equal_toIaEEEE10hipError_tPvRmT2_T3_mT4_T5_T6_T7_T8_P12ihipStream_tbENKUlT_T0_E_clISt17integral_constantIbLb0EES12_IbLb1EEEEDaSY_SZ_EUlSY_E_NS1_11comp_targetILNS1_3genE5ELNS1_11target_archE942ELNS1_3gpuE9ELNS1_3repE0EEENS1_30default_config_static_selectorELNS0_4arch9wavefront6targetE1EEEvT1_,"axG",@progbits,_ZN7rocprim17ROCPRIM_400000_NS6detail17trampoline_kernelINS0_14default_configENS1_29reduce_by_key_config_selectorIalN6thrust23THRUST_200600_302600_NS4plusIlEEEEZZNS1_33reduce_by_key_impl_wrapped_configILNS1_25lookback_scan_determinismE0ES3_S9_PaNS6_17constant_iteratorIiNS6_11use_defaultESE_EENS6_10device_ptrIaEENSG_IlEEPmS8_NS6_8equal_toIaEEEE10hipError_tPvRmT2_T3_mT4_T5_T6_T7_T8_P12ihipStream_tbENKUlT_T0_E_clISt17integral_constantIbLb0EES12_IbLb1EEEEDaSY_SZ_EUlSY_E_NS1_11comp_targetILNS1_3genE5ELNS1_11target_archE942ELNS1_3gpuE9ELNS1_3repE0EEENS1_30default_config_static_selectorELNS0_4arch9wavefront6targetE1EEEvT1_,comdat
.Lfunc_end700:
	.size	_ZN7rocprim17ROCPRIM_400000_NS6detail17trampoline_kernelINS0_14default_configENS1_29reduce_by_key_config_selectorIalN6thrust23THRUST_200600_302600_NS4plusIlEEEEZZNS1_33reduce_by_key_impl_wrapped_configILNS1_25lookback_scan_determinismE0ES3_S9_PaNS6_17constant_iteratorIiNS6_11use_defaultESE_EENS6_10device_ptrIaEENSG_IlEEPmS8_NS6_8equal_toIaEEEE10hipError_tPvRmT2_T3_mT4_T5_T6_T7_T8_P12ihipStream_tbENKUlT_T0_E_clISt17integral_constantIbLb0EES12_IbLb1EEEEDaSY_SZ_EUlSY_E_NS1_11comp_targetILNS1_3genE5ELNS1_11target_archE942ELNS1_3gpuE9ELNS1_3repE0EEENS1_30default_config_static_selectorELNS0_4arch9wavefront6targetE1EEEvT1_, .Lfunc_end700-_ZN7rocprim17ROCPRIM_400000_NS6detail17trampoline_kernelINS0_14default_configENS1_29reduce_by_key_config_selectorIalN6thrust23THRUST_200600_302600_NS4plusIlEEEEZZNS1_33reduce_by_key_impl_wrapped_configILNS1_25lookback_scan_determinismE0ES3_S9_PaNS6_17constant_iteratorIiNS6_11use_defaultESE_EENS6_10device_ptrIaEENSG_IlEEPmS8_NS6_8equal_toIaEEEE10hipError_tPvRmT2_T3_mT4_T5_T6_T7_T8_P12ihipStream_tbENKUlT_T0_E_clISt17integral_constantIbLb0EES12_IbLb1EEEEDaSY_SZ_EUlSY_E_NS1_11comp_targetILNS1_3genE5ELNS1_11target_archE942ELNS1_3gpuE9ELNS1_3repE0EEENS1_30default_config_static_selectorELNS0_4arch9wavefront6targetE1EEEvT1_
                                        ; -- End function
	.section	.AMDGPU.csdata,"",@progbits
; Kernel info:
; codeLenInByte = 0
; NumSgprs: 4
; NumVgprs: 0
; NumAgprs: 0
; TotalNumVgprs: 0
; ScratchSize: 0
; MemoryBound: 0
; FloatMode: 240
; IeeeMode: 1
; LDSByteSize: 0 bytes/workgroup (compile time only)
; SGPRBlocks: 0
; VGPRBlocks: 0
; NumSGPRsForWavesPerEU: 4
; NumVGPRsForWavesPerEU: 1
; AccumOffset: 4
; Occupancy: 8
; WaveLimiterHint : 0
; COMPUTE_PGM_RSRC2:SCRATCH_EN: 0
; COMPUTE_PGM_RSRC2:USER_SGPR: 6
; COMPUTE_PGM_RSRC2:TRAP_HANDLER: 0
; COMPUTE_PGM_RSRC2:TGID_X_EN: 1
; COMPUTE_PGM_RSRC2:TGID_Y_EN: 0
; COMPUTE_PGM_RSRC2:TGID_Z_EN: 0
; COMPUTE_PGM_RSRC2:TIDIG_COMP_CNT: 0
; COMPUTE_PGM_RSRC3_GFX90A:ACCUM_OFFSET: 0
; COMPUTE_PGM_RSRC3_GFX90A:TG_SPLIT: 0
	.section	.text._ZN7rocprim17ROCPRIM_400000_NS6detail17trampoline_kernelINS0_14default_configENS1_29reduce_by_key_config_selectorIalN6thrust23THRUST_200600_302600_NS4plusIlEEEEZZNS1_33reduce_by_key_impl_wrapped_configILNS1_25lookback_scan_determinismE0ES3_S9_PaNS6_17constant_iteratorIiNS6_11use_defaultESE_EENS6_10device_ptrIaEENSG_IlEEPmS8_NS6_8equal_toIaEEEE10hipError_tPvRmT2_T3_mT4_T5_T6_T7_T8_P12ihipStream_tbENKUlT_T0_E_clISt17integral_constantIbLb0EES12_IbLb1EEEEDaSY_SZ_EUlSY_E_NS1_11comp_targetILNS1_3genE4ELNS1_11target_archE910ELNS1_3gpuE8ELNS1_3repE0EEENS1_30default_config_static_selectorELNS0_4arch9wavefront6targetE1EEEvT1_,"axG",@progbits,_ZN7rocprim17ROCPRIM_400000_NS6detail17trampoline_kernelINS0_14default_configENS1_29reduce_by_key_config_selectorIalN6thrust23THRUST_200600_302600_NS4plusIlEEEEZZNS1_33reduce_by_key_impl_wrapped_configILNS1_25lookback_scan_determinismE0ES3_S9_PaNS6_17constant_iteratorIiNS6_11use_defaultESE_EENS6_10device_ptrIaEENSG_IlEEPmS8_NS6_8equal_toIaEEEE10hipError_tPvRmT2_T3_mT4_T5_T6_T7_T8_P12ihipStream_tbENKUlT_T0_E_clISt17integral_constantIbLb0EES12_IbLb1EEEEDaSY_SZ_EUlSY_E_NS1_11comp_targetILNS1_3genE4ELNS1_11target_archE910ELNS1_3gpuE8ELNS1_3repE0EEENS1_30default_config_static_selectorELNS0_4arch9wavefront6targetE1EEEvT1_,comdat
	.protected	_ZN7rocprim17ROCPRIM_400000_NS6detail17trampoline_kernelINS0_14default_configENS1_29reduce_by_key_config_selectorIalN6thrust23THRUST_200600_302600_NS4plusIlEEEEZZNS1_33reduce_by_key_impl_wrapped_configILNS1_25lookback_scan_determinismE0ES3_S9_PaNS6_17constant_iteratorIiNS6_11use_defaultESE_EENS6_10device_ptrIaEENSG_IlEEPmS8_NS6_8equal_toIaEEEE10hipError_tPvRmT2_T3_mT4_T5_T6_T7_T8_P12ihipStream_tbENKUlT_T0_E_clISt17integral_constantIbLb0EES12_IbLb1EEEEDaSY_SZ_EUlSY_E_NS1_11comp_targetILNS1_3genE4ELNS1_11target_archE910ELNS1_3gpuE8ELNS1_3repE0EEENS1_30default_config_static_selectorELNS0_4arch9wavefront6targetE1EEEvT1_ ; -- Begin function _ZN7rocprim17ROCPRIM_400000_NS6detail17trampoline_kernelINS0_14default_configENS1_29reduce_by_key_config_selectorIalN6thrust23THRUST_200600_302600_NS4plusIlEEEEZZNS1_33reduce_by_key_impl_wrapped_configILNS1_25lookback_scan_determinismE0ES3_S9_PaNS6_17constant_iteratorIiNS6_11use_defaultESE_EENS6_10device_ptrIaEENSG_IlEEPmS8_NS6_8equal_toIaEEEE10hipError_tPvRmT2_T3_mT4_T5_T6_T7_T8_P12ihipStream_tbENKUlT_T0_E_clISt17integral_constantIbLb0EES12_IbLb1EEEEDaSY_SZ_EUlSY_E_NS1_11comp_targetILNS1_3genE4ELNS1_11target_archE910ELNS1_3gpuE8ELNS1_3repE0EEENS1_30default_config_static_selectorELNS0_4arch9wavefront6targetE1EEEvT1_
	.globl	_ZN7rocprim17ROCPRIM_400000_NS6detail17trampoline_kernelINS0_14default_configENS1_29reduce_by_key_config_selectorIalN6thrust23THRUST_200600_302600_NS4plusIlEEEEZZNS1_33reduce_by_key_impl_wrapped_configILNS1_25lookback_scan_determinismE0ES3_S9_PaNS6_17constant_iteratorIiNS6_11use_defaultESE_EENS6_10device_ptrIaEENSG_IlEEPmS8_NS6_8equal_toIaEEEE10hipError_tPvRmT2_T3_mT4_T5_T6_T7_T8_P12ihipStream_tbENKUlT_T0_E_clISt17integral_constantIbLb0EES12_IbLb1EEEEDaSY_SZ_EUlSY_E_NS1_11comp_targetILNS1_3genE4ELNS1_11target_archE910ELNS1_3gpuE8ELNS1_3repE0EEENS1_30default_config_static_selectorELNS0_4arch9wavefront6targetE1EEEvT1_
	.p2align	8
	.type	_ZN7rocprim17ROCPRIM_400000_NS6detail17trampoline_kernelINS0_14default_configENS1_29reduce_by_key_config_selectorIalN6thrust23THRUST_200600_302600_NS4plusIlEEEEZZNS1_33reduce_by_key_impl_wrapped_configILNS1_25lookback_scan_determinismE0ES3_S9_PaNS6_17constant_iteratorIiNS6_11use_defaultESE_EENS6_10device_ptrIaEENSG_IlEEPmS8_NS6_8equal_toIaEEEE10hipError_tPvRmT2_T3_mT4_T5_T6_T7_T8_P12ihipStream_tbENKUlT_T0_E_clISt17integral_constantIbLb0EES12_IbLb1EEEEDaSY_SZ_EUlSY_E_NS1_11comp_targetILNS1_3genE4ELNS1_11target_archE910ELNS1_3gpuE8ELNS1_3repE0EEENS1_30default_config_static_selectorELNS0_4arch9wavefront6targetE1EEEvT1_,@function
_ZN7rocprim17ROCPRIM_400000_NS6detail17trampoline_kernelINS0_14default_configENS1_29reduce_by_key_config_selectorIalN6thrust23THRUST_200600_302600_NS4plusIlEEEEZZNS1_33reduce_by_key_impl_wrapped_configILNS1_25lookback_scan_determinismE0ES3_S9_PaNS6_17constant_iteratorIiNS6_11use_defaultESE_EENS6_10device_ptrIaEENSG_IlEEPmS8_NS6_8equal_toIaEEEE10hipError_tPvRmT2_T3_mT4_T5_T6_T7_T8_P12ihipStream_tbENKUlT_T0_E_clISt17integral_constantIbLb0EES12_IbLb1EEEEDaSY_SZ_EUlSY_E_NS1_11comp_targetILNS1_3genE4ELNS1_11target_archE910ELNS1_3gpuE8ELNS1_3repE0EEENS1_30default_config_static_selectorELNS0_4arch9wavefront6targetE1EEEvT1_: ; @_ZN7rocprim17ROCPRIM_400000_NS6detail17trampoline_kernelINS0_14default_configENS1_29reduce_by_key_config_selectorIalN6thrust23THRUST_200600_302600_NS4plusIlEEEEZZNS1_33reduce_by_key_impl_wrapped_configILNS1_25lookback_scan_determinismE0ES3_S9_PaNS6_17constant_iteratorIiNS6_11use_defaultESE_EENS6_10device_ptrIaEENSG_IlEEPmS8_NS6_8equal_toIaEEEE10hipError_tPvRmT2_T3_mT4_T5_T6_T7_T8_P12ihipStream_tbENKUlT_T0_E_clISt17integral_constantIbLb0EES12_IbLb1EEEEDaSY_SZ_EUlSY_E_NS1_11comp_targetILNS1_3genE4ELNS1_11target_archE910ELNS1_3gpuE8ELNS1_3repE0EEENS1_30default_config_static_selectorELNS0_4arch9wavefront6targetE1EEEvT1_
; %bb.0:
	s_load_dwordx4 s[52:55], s[4:5], 0x20
	s_load_dwordx2 s[56:57], s[4:5], 0x30
	s_load_dwordx2 s[30:31], s[4:5], 0x80
	v_cmp_ne_u32_e64 s[2:3], 0, v0
	v_cmp_eq_u32_e64 s[0:1], 0, v0
	s_and_saveexec_b64 s[6:7], s[0:1]
	s_cbranch_execz .LBB701_4
; %bb.1:
	s_mov_b64 s[10:11], exec
	v_mbcnt_lo_u32_b32 v1, s10, 0
	v_mbcnt_hi_u32_b32 v1, s11, v1
	v_cmp_eq_u32_e32 vcc, 0, v1
                                        ; implicit-def: $vgpr2
	s_and_saveexec_b64 s[8:9], vcc
	s_cbranch_execz .LBB701_3
; %bb.2:
	s_load_dwordx2 s[12:13], s[4:5], 0x88
	s_bcnt1_i32_b64 s10, s[10:11]
	v_mov_b32_e32 v2, 0
	v_mov_b32_e32 v3, s10
	s_waitcnt lgkmcnt(0)
	global_atomic_add v2, v2, v3, s[12:13] glc
.LBB701_3:
	s_or_b64 exec, exec, s[8:9]
	s_waitcnt vmcnt(0)
	v_readfirstlane_b32 s8, v2
	v_add_u32_e32 v1, s8, v1
	v_mov_b32_e32 v2, 0
	ds_write_b32 v2, v1
.LBB701_4:
	s_or_b64 exec, exec, s[6:7]
	s_load_dwordx4 s[8:11], s[4:5], 0x0
	s_load_dword s6, s[4:5], 0x18
	s_load_dwordx16 s[36:51], s[4:5], 0x40
	v_mov_b32_e32 v1, 0
	s_waitcnt lgkmcnt(0)
	s_barrier
	ds_read_b32 v1, v1
	s_mul_i32 s4, s44, s43
	s_mul_hi_u32 s5, s44, s42
	s_add_i32 s4, s5, s4
	s_mul_i32 s5, s45, s42
	s_add_i32 s5, s4, s5
	s_add_u32 s7, s8, s10
	s_mul_i32 s4, s44, s42
	s_addc_u32 s8, s9, s11
	s_waitcnt lgkmcnt(0)
	v_readfirstlane_b32 s64, v1
	s_add_u32 s4, s4, s64
	s_addc_u32 s5, s5, 0
	s_movk_i32 s9, 0xf00
	s_add_u32 s12, s46, -1
	v_mul_lo_u32 v1, v1, s9
	s_addc_u32 s13, s47, -1
	v_mov_b32_e32 v2, s8
	v_add_co_u32_e32 v64, vcc, s7, v1
	s_cmp_eq_u64 s[4:5], s[12:13]
	v_addc_co_u32_e32 v65, vcc, 0, v2, vcc
	s_cselect_b64 s[44:45], -1, 0
	s_cmp_lg_u64 s[4:5], s[12:13]
	s_mov_b64 s[10:11], -1
	s_cselect_b64 s[8:9], -1, 0
	s_mul_i32 s33, s12, 0xfffff100
	s_and_b64 vcc, exec, s[44:45]
	v_mad_u32_u24 v6, v0, 14, v0
	v_mad_u32_u24 v38, v0, 15, 1
	;; [unrolled: 1-line block ×15, first 2 shown]
	s_barrier
	s_cbranch_vccnz .LBB701_6
; %bb.5:
	v_readfirstlane_b32 s10, v64
	v_readfirstlane_b32 s11, v65
	s_nop 4
	global_load_ubyte v1, v0, s[10:11]
	global_load_ubyte v2, v0, s[10:11] offset:256
	global_load_ubyte v3, v0, s[10:11] offset:512
	;; [unrolled: 1-line block ×14, first 2 shown]
	s_ashr_i32 s7, s6, 31
	v_mul_u32_u24_e32 v7, 15, v0
	v_mad_u32_u24 v20, v0, 15, 1
	v_mad_u32_u24 v19, v0, 15, 2
	v_mad_u32_u24 v18, v0, 15, 3
	v_mad_u32_u24 v15, v0, 15, 4
	v_mad_u32_u24 v14, v0, 15, 5
	v_mad_u32_u24 v13, v0, 15, 6
	v_mad_u32_u24 v12, v0, 15, 7
	v_mad_u32_u24 v11, v0, 15, 8
	v_mad_u32_u24 v10, v0, 15, 9
	v_mad_u32_u24 v9, v0, 15, 10
	v_mad_u32_u24 v8, v0, 15, 11
	v_mad_u32_u24 v34, v0, 15, 12
	v_mad_u32_u24 v17, v0, 15, 13
	v_mad_u32_u24 v16, v0, 15, 14
	v_mad_i32_i24 v33, v0, -7, v6
	v_pk_mov_b32 v[22:23], s[6:7], s[6:7] op_sel:[0,1]
	s_waitcnt vmcnt(14)
	ds_write_b8 v0, v1
	s_waitcnt vmcnt(13)
	ds_write_b8 v0, v2 offset:256
	s_waitcnt vmcnt(12)
	ds_write_b8 v0, v3 offset:512
	s_waitcnt vmcnt(11)
	ds_write_b8 v0, v4 offset:768
	s_waitcnt vmcnt(10)
	ds_write_b8 v0, v5 offset:1024
	s_waitcnt vmcnt(9)
	ds_write_b8 v0, v21 offset:1280
	s_waitcnt vmcnt(8)
	ds_write_b8 v0, v24 offset:1536
	s_waitcnt vmcnt(7)
	ds_write_b8 v0, v25 offset:1792
	s_waitcnt vmcnt(6)
	ds_write_b8 v0, v26 offset:2048
	s_waitcnt vmcnt(5)
	ds_write_b8 v0, v27 offset:2304
	s_waitcnt vmcnt(4)
	ds_write_b8 v0, v28 offset:2560
	s_waitcnt vmcnt(3)
	ds_write_b8 v0, v29 offset:2816
	s_waitcnt vmcnt(2)
	ds_write_b8 v0, v30 offset:3072
	s_waitcnt vmcnt(1)
	ds_write_b8 v0, v31 offset:3328
	s_waitcnt vmcnt(0)
	ds_write_b8 v0, v32 offset:3584
	s_waitcnt lgkmcnt(0)
	s_barrier
	ds_read_b96 v[2:4], v6
	ds_read_u8 v73, v6 offset:12
	ds_read_u8 v5, v6 offset:13
	;; [unrolled: 1-line block ×3, first 2 shown]
	s_waitcnt lgkmcnt(0)
	v_lshrrev_b32_e32 v93, 8, v2
	v_lshrrev_b32_e32 v92, 16, v2
	;; [unrolled: 1-line block ×9, first 2 shown]
	s_barrier
	ds_write2st64_b64 v33, v[22:23], v[22:23] offset1:4
	ds_write2st64_b64 v33, v[22:23], v[22:23] offset0:8 offset1:12
	ds_write2st64_b64 v33, v[22:23], v[22:23] offset0:16 offset1:20
	;; [unrolled: 1-line block ×6, first 2 shown]
	ds_write_b64 v33, v[22:23] offset:28672
	s_waitcnt lgkmcnt(0)
	s_barrier
	s_add_i32 s33, s33, s48
	s_cbranch_execz .LBB701_7
	s_branch .LBB701_38
.LBB701_6:
                                        ; implicit-def: $vgpr16
                                        ; implicit-def: $vgpr17
                                        ; implicit-def: $vgpr34
                                        ; implicit-def: $vgpr8
                                        ; implicit-def: $vgpr9
                                        ; implicit-def: $vgpr10
                                        ; implicit-def: $vgpr11
                                        ; implicit-def: $vgpr12
                                        ; implicit-def: $vgpr13
                                        ; implicit-def: $vgpr14
                                        ; implicit-def: $vgpr15
                                        ; implicit-def: $vgpr18
                                        ; implicit-def: $vgpr19
                                        ; implicit-def: $vgpr20
                                        ; implicit-def: $vgpr7
                                        ; implicit-def: $vgpr2
                                        ; implicit-def: $vgpr93
                                        ; implicit-def: $vgpr92
                                        ; implicit-def: $vgpr90
                                        ; implicit-def: $vgpr88
                                        ; implicit-def: $vgpr86
                                        ; implicit-def: $vgpr84
                                        ; implicit-def: $vgpr82
                                        ; implicit-def: $vgpr81
                                        ; implicit-def: $vgpr79
                                        ; implicit-def: $vgpr73
                                        ; implicit-def: $vgpr5
                                        ; implicit-def: $vgpr1
	s_andn2_b64 vcc, exec, s[10:11]
	s_add_i32 s33, s33, s48
	s_cbranch_vccnz .LBB701_38
.LBB701_7:
	v_cmp_gt_u32_e32 vcc, s33, v0
                                        ; implicit-def: $vgpr1
	s_and_saveexec_b64 s[10:11], vcc
	s_cbranch_execz .LBB701_9
; %bb.8:
	v_readfirstlane_b32 s12, v64
	v_readfirstlane_b32 s13, v65
	s_nop 4
	global_load_ubyte v1, v0, s[12:13]
.LBB701_9:
	s_or_b64 exec, exec, s[10:11]
	v_or_b32_e32 v2, 0x100, v0
	v_cmp_gt_u32_e32 vcc, s33, v2
                                        ; implicit-def: $vgpr2
	s_and_saveexec_b64 s[10:11], vcc
	s_cbranch_execz .LBB701_11
; %bb.10:
	v_readfirstlane_b32 s12, v64
	v_readfirstlane_b32 s13, v65
	s_nop 4
	global_load_ubyte v2, v0, s[12:13] offset:256
.LBB701_11:
	s_or_b64 exec, exec, s[10:11]
	v_or_b32_e32 v3, 0x200, v0
	v_cmp_gt_u32_e32 vcc, s33, v3
                                        ; implicit-def: $vgpr3
	s_and_saveexec_b64 s[10:11], vcc
	s_cbranch_execz .LBB701_13
; %bb.12:
	v_readfirstlane_b32 s12, v64
	v_readfirstlane_b32 s13, v65
	s_nop 4
	global_load_ubyte v3, v0, s[12:13] offset:512
.LBB701_13:
	s_or_b64 exec, exec, s[10:11]
	v_or_b32_e32 v4, 0x300, v0
	v_cmp_gt_u32_e32 vcc, s33, v4
                                        ; implicit-def: $vgpr4
	s_and_saveexec_b64 s[10:11], vcc
	s_cbranch_execz .LBB701_15
; %bb.14:
	v_readfirstlane_b32 s12, v64
	v_readfirstlane_b32 s13, v65
	s_nop 4
	global_load_ubyte v4, v0, s[12:13] offset:768
.LBB701_15:
	s_or_b64 exec, exec, s[10:11]
	v_or_b32_e32 v5, 0x400, v0
	v_cmp_gt_u32_e32 vcc, s33, v5
                                        ; implicit-def: $vgpr5
	s_and_saveexec_b64 s[10:11], vcc
	s_cbranch_execz .LBB701_17
; %bb.16:
	v_readfirstlane_b32 s12, v64
	v_readfirstlane_b32 s13, v65
	s_nop 4
	global_load_ubyte v5, v0, s[12:13] offset:1024
.LBB701_17:
	s_or_b64 exec, exec, s[10:11]
	v_or_b32_e32 v7, 0x500, v0
	v_cmp_gt_u32_e32 vcc, s33, v7
                                        ; implicit-def: $vgpr7
	s_and_saveexec_b64 s[10:11], vcc
	s_cbranch_execz .LBB701_19
; %bb.18:
	v_readfirstlane_b32 s12, v64
	v_readfirstlane_b32 s13, v65
	s_nop 4
	global_load_ubyte v7, v0, s[12:13] offset:1280
.LBB701_19:
	s_or_b64 exec, exec, s[10:11]
	v_or_b32_e32 v8, 0x600, v0
	v_cmp_gt_u32_e32 vcc, s33, v8
                                        ; implicit-def: $vgpr8
	s_and_saveexec_b64 s[10:11], vcc
	s_cbranch_execz .LBB701_21
; %bb.20:
	v_readfirstlane_b32 s12, v64
	v_readfirstlane_b32 s13, v65
	s_nop 4
	global_load_ubyte v8, v0, s[12:13] offset:1536
.LBB701_21:
	s_or_b64 exec, exec, s[10:11]
	v_or_b32_e32 v9, 0x700, v0
	v_cmp_gt_u32_e32 vcc, s33, v9
                                        ; implicit-def: $vgpr9
	s_and_saveexec_b64 s[10:11], vcc
	s_cbranch_execz .LBB701_23
; %bb.22:
	v_readfirstlane_b32 s12, v64
	v_readfirstlane_b32 s13, v65
	s_nop 4
	global_load_ubyte v9, v0, s[12:13] offset:1792
.LBB701_23:
	s_or_b64 exec, exec, s[10:11]
	v_or_b32_e32 v10, 0x800, v0
	v_cmp_gt_u32_e32 vcc, s33, v10
                                        ; implicit-def: $vgpr10
	s_and_saveexec_b64 s[10:11], vcc
	s_cbranch_execz .LBB701_25
; %bb.24:
	v_readfirstlane_b32 s12, v64
	v_readfirstlane_b32 s13, v65
	s_nop 4
	global_load_ubyte v10, v0, s[12:13] offset:2048
.LBB701_25:
	s_or_b64 exec, exec, s[10:11]
	v_or_b32_e32 v11, 0x900, v0
	v_cmp_gt_u32_e32 vcc, s33, v11
                                        ; implicit-def: $vgpr11
	s_and_saveexec_b64 s[10:11], vcc
	s_cbranch_execz .LBB701_27
; %bb.26:
	v_readfirstlane_b32 s12, v64
	v_readfirstlane_b32 s13, v65
	s_nop 4
	global_load_ubyte v11, v0, s[12:13] offset:2304
.LBB701_27:
	s_or_b64 exec, exec, s[10:11]
	v_or_b32_e32 v12, 0xa00, v0
	v_cmp_gt_u32_e32 vcc, s33, v12
                                        ; implicit-def: $vgpr12
	s_and_saveexec_b64 s[10:11], vcc
	s_cbranch_execz .LBB701_29
; %bb.28:
	v_readfirstlane_b32 s12, v64
	v_readfirstlane_b32 s13, v65
	s_nop 4
	global_load_ubyte v12, v0, s[12:13] offset:2560
.LBB701_29:
	s_or_b64 exec, exec, s[10:11]
	v_or_b32_e32 v13, 0xb00, v0
	v_cmp_gt_u32_e32 vcc, s33, v13
                                        ; implicit-def: $vgpr13
	s_and_saveexec_b64 s[10:11], vcc
	s_cbranch_execz .LBB701_31
; %bb.30:
	v_readfirstlane_b32 s12, v64
	v_readfirstlane_b32 s13, v65
	s_nop 4
	global_load_ubyte v13, v0, s[12:13] offset:2816
.LBB701_31:
	s_or_b64 exec, exec, s[10:11]
	v_or_b32_e32 v14, 0xc00, v0
	v_cmp_gt_u32_e32 vcc, s33, v14
                                        ; implicit-def: $vgpr14
	s_and_saveexec_b64 s[10:11], vcc
	s_cbranch_execz .LBB701_33
; %bb.32:
	v_readfirstlane_b32 s12, v64
	v_readfirstlane_b32 s13, v65
	s_nop 4
	global_load_ubyte v14, v0, s[12:13] offset:3072
.LBB701_33:
	s_or_b64 exec, exec, s[10:11]
	v_or_b32_e32 v15, 0xd00, v0
	v_cmp_gt_u32_e32 vcc, s33, v15
                                        ; implicit-def: $vgpr15
	s_and_saveexec_b64 s[10:11], vcc
	s_cbranch_execz .LBB701_35
; %bb.34:
	v_readfirstlane_b32 s12, v64
	v_readfirstlane_b32 s13, v65
	s_nop 4
	global_load_ubyte v15, v0, s[12:13] offset:3328
.LBB701_35:
	s_or_b64 exec, exec, s[10:11]
	v_or_b32_e32 v16, 0xe00, v0
	v_cmp_gt_u32_e32 vcc, s33, v16
                                        ; implicit-def: $vgpr16
	s_and_saveexec_b64 s[10:11], vcc
	s_cbranch_execz .LBB701_37
; %bb.36:
	v_readfirstlane_b32 s12, v64
	v_readfirstlane_b32 s13, v65
	s_nop 4
	global_load_ubyte v16, v0, s[12:13] offset:3584
.LBB701_37:
	s_or_b64 exec, exec, s[10:11]
	s_waitcnt vmcnt(0)
	ds_write_b8 v0, v1
	ds_write_b8 v0, v2 offset:256
	ds_write_b8 v0, v3 offset:512
	;; [unrolled: 1-line block ×14, first 2 shown]
	s_waitcnt lgkmcnt(0)
	s_barrier
	ds_read_b96 v[2:4], v6
	ds_read_u8 v73, v6 offset:12
	ds_read_u8 v5, v6 offset:13
	;; [unrolled: 1-line block ×3, first 2 shown]
	s_ashr_i32 s7, s6, 31
	v_mad_i32_i24 v6, v0, -7, v6
	v_pk_mov_b32 v[8:9], s[6:7], s[6:7] op_sel:[0,1]
	v_mul_u32_u24_e32 v7, 15, v0
	s_waitcnt lgkmcnt(3)
	v_lshrrev_b32_e32 v93, 8, v2
	v_lshrrev_b32_e32 v92, 16, v2
	;; [unrolled: 1-line block ×9, first 2 shown]
	s_waitcnt lgkmcnt(0)
	s_barrier
	ds_write2st64_b64 v6, v[8:9], v[8:9] offset1:4
	ds_write2st64_b64 v6, v[8:9], v[8:9] offset0:8 offset1:12
	ds_write2st64_b64 v6, v[8:9], v[8:9] offset0:16 offset1:20
	;; [unrolled: 1-line block ×6, first 2 shown]
	ds_write_b64 v6, v[8:9] offset:28672
	v_mov_b32_e32 v16, v36
	v_mov_b32_e32 v17, v62
	;; [unrolled: 1-line block ×14, first 2 shown]
	s_waitcnt lgkmcnt(0)
	s_barrier
.LBB701_38:
	v_lshlrev_b32_e32 v6, 3, v7
	v_lshlrev_b32_e32 v7, 3, v20
	v_lshlrev_b32_e32 v19, 3, v19
	v_lshlrev_b32_e32 v18, 3, v18
	ds_read_b64 v[32:33], v6
	ds_read_b64 v[30:31], v7
	ds_read_b64 v[28:29], v19
	ds_read_b64 v[24:25], v18
	v_lshlrev_b32_e32 v6, 3, v15
	v_lshlrev_b32_e32 v7, 3, v14
	v_lshlrev_b32_e32 v13, 3, v13
	v_lshlrev_b32_e32 v12, 3, v12
	ds_read_b64 v[26:27], v6
	ds_read_b64 v[22:23], v7
	ds_read_b64 v[20:21], v13
	ds_read_b64 v[14:15], v12
	;; [unrolled: 8-line block ×3, first 2 shown]
	v_lshlrev_b32_e32 v6, 3, v34
	v_lshlrev_b32_e32 v17, 3, v17
	;; [unrolled: 1-line block ×3, first 2 shown]
	ds_read_b64 v[6:7], v6
	ds_read_b64 v[16:17], v17
	ds_read_b64 v[34:35], v34
	s_cmp_eq_u64 s[4:5], 0
	s_cselect_b64 s[46:47], -1, 0
	s_cmp_lg_u64 s[4:5], 0
	s_mov_b64 s[6:7], 0
	s_cselect_b64 s[10:11], -1, 0
	s_and_b64 vcc, exec, s[8:9]
	s_waitcnt lgkmcnt(0)
	s_barrier
	s_cbranch_vccz .LBB701_44
; %bb.39:
	s_and_b64 vcc, exec, s[10:11]
	s_cbranch_vccz .LBB701_45
; %bb.40:
	global_load_ubyte v37, v[64:65], off offset:-1
	v_cmp_ne_u16_sdwa s[6:7], v5, v1 src0_sel:BYTE_0 src1_sel:BYTE_0
	v_cmp_ne_u16_sdwa s[8:9], v73, v5 src0_sel:BYTE_0 src1_sel:BYTE_0
	;; [unrolled: 1-line block ×14, first 2 shown]
	ds_write_b8 v0, v1
	s_waitcnt lgkmcnt(0)
	s_barrier
	s_and_saveexec_b64 s[62:63], s[2:3]
	s_cbranch_execz .LBB701_42
; %bb.41:
	s_waitcnt vmcnt(0)
	v_add_u32_e32 v37, -1, v0
	ds_read_u8 v37, v37
.LBB701_42:
	s_or_b64 exec, exec, s[62:63]
	s_waitcnt vmcnt(0) lgkmcnt(0)
	v_and_b32_e32 v37, 0xff, v37
	v_cndmask_b32_e64 v72, 0, 1, s[6:7]
	v_cndmask_b32_e64 v74, 0, 1, s[8:9]
	;; [unrolled: 1-line block ×14, first 2 shown]
	v_cmp_ne_u16_sdwa s[8:9], v37, v2 src0_sel:DWORD src1_sel:BYTE_0
	s_mov_b64 s[6:7], -1
.LBB701_43:
                                        ; implicit-def: $sgpr14
	s_branch .LBB701_57
.LBB701_44:
                                        ; implicit-def: $sgpr8_sgpr9
                                        ; implicit-def: $vgpr72
                                        ; implicit-def: $vgpr74
                                        ; implicit-def: $vgpr75
                                        ; implicit-def: $vgpr76
                                        ; implicit-def: $vgpr77
                                        ; implicit-def: $vgpr78
                                        ; implicit-def: $vgpr80
                                        ; implicit-def: $vgpr83
                                        ; implicit-def: $vgpr85
                                        ; implicit-def: $vgpr87
                                        ; implicit-def: $vgpr89
                                        ; implicit-def: $vgpr91
                                        ; implicit-def: $vgpr94
                                        ; implicit-def: $vgpr95
                                        ; implicit-def: $sgpr14
	s_cbranch_execnz .LBB701_49
	s_branch .LBB701_57
.LBB701_45:
                                        ; implicit-def: $sgpr8_sgpr9
                                        ; implicit-def: $vgpr72
                                        ; implicit-def: $vgpr74
                                        ; implicit-def: $vgpr75
                                        ; implicit-def: $vgpr76
                                        ; implicit-def: $vgpr77
                                        ; implicit-def: $vgpr78
                                        ; implicit-def: $vgpr80
                                        ; implicit-def: $vgpr83
                                        ; implicit-def: $vgpr85
                                        ; implicit-def: $vgpr87
                                        ; implicit-def: $vgpr89
                                        ; implicit-def: $vgpr91
                                        ; implicit-def: $vgpr94
                                        ; implicit-def: $vgpr95
	s_cbranch_execz .LBB701_43
; %bb.46:
	v_cmp_ne_u16_sdwa s[8:9], v5, v1 src0_sel:BYTE_0 src1_sel:BYTE_0
	v_cndmask_b32_e64 v72, 0, 1, s[8:9]
	v_cmp_ne_u16_sdwa s[8:9], v73, v5 src0_sel:BYTE_0 src1_sel:BYTE_0
	v_cndmask_b32_e64 v74, 0, 1, s[8:9]
	;; [unrolled: 2-line block ×14, first 2 shown]
	ds_write_b8 v0, v1
	s_waitcnt lgkmcnt(0)
	s_barrier
	s_waitcnt lgkmcnt(0)
                                        ; implicit-def: $sgpr8_sgpr9
	s_and_saveexec_b64 s[12:13], s[2:3]
	s_xor_b64 s[12:13], exec, s[12:13]
	s_cbranch_execz .LBB701_48
; %bb.47:
	v_add_u32_e32 v37, -1, v0
	ds_read_u8 v37, v37
	s_or_b64 s[6:7], s[6:7], exec
	s_waitcnt lgkmcnt(0)
	v_cmp_ne_u16_sdwa s[8:9], v37, v2 src0_sel:DWORD src1_sel:BYTE_0
	s_and_b64 s[8:9], s[8:9], exec
.LBB701_48:
	s_or_b64 exec, exec, s[12:13]
	s_mov_b32 s14, 1
	s_branch .LBB701_57
.LBB701_49:
	s_mul_hi_u32 s8, s4, 0xfffff100
	s_mulk_i32 s5, 0xf100
	s_sub_i32 s8, s8, s4
	s_add_i32 s8, s8, s5
	s_mulk_i32 s4, 0xf100
	s_add_u32 s4, s4, s48
	s_addc_u32 s5, s8, s49
	s_and_b64 vcc, exec, s[10:11]
	v_cmp_ne_u16_sdwa s[58:59], v5, v1 src0_sel:BYTE_0 src1_sel:BYTE_0
	v_cmp_ne_u16_sdwa s[8:9], v73, v5 src0_sel:BYTE_0 src1_sel:BYTE_0
	;; [unrolled: 1-line block ×14, first 2 shown]
	s_cbranch_vccz .LBB701_54
; %bb.50:
	global_load_ubyte v66, v[64:65], off offset:-1
	v_mov_b32_e32 v37, 0
	v_cmp_gt_u64_e32 vcc, s[4:5], v[36:37]
	v_mov_b32_e32 v63, v37
	s_and_b64 s[6:7], vcc, s[58:59]
	v_cmp_gt_u64_e32 vcc, s[4:5], v[62:63]
	v_mov_b32_e32 v61, v37
	s_and_b64 s[8:9], vcc, s[8:9]
	;; [unrolled: 3-line block ×13, first 2 shown]
	v_cmp_gt_u64_e32 vcc, s[4:5], v[38:39]
	v_mul_u32_u24_e32 v64, 15, v0
	s_and_b64 s[12:13], vcc, s[12:13]
	ds_write_b8 v0, v1
	s_waitcnt lgkmcnt(0)
	s_barrier
	s_and_saveexec_b64 s[58:59], s[2:3]
	s_cbranch_execz .LBB701_52
; %bb.51:
	v_add_u32_e32 v39, -1, v0
	s_waitcnt vmcnt(0)
	ds_read_u8 v66, v39
.LBB701_52:
	s_or_b64 exec, exec, s[58:59]
	v_mov_b32_e32 v65, v37
	s_waitcnt vmcnt(0) lgkmcnt(0)
	v_and_b32_e32 v37, 0xff, v66
	v_cndmask_b32_e64 v72, 0, 1, s[6:7]
	v_cmp_gt_u64_e32 vcc, s[4:5], v[64:65]
	v_cmp_ne_u16_sdwa s[6:7], v37, v2 src0_sel:DWORD src1_sel:BYTE_0
	v_cndmask_b32_e64 v74, 0, 1, s[8:9]
	v_cndmask_b32_e64 v75, 0, 1, s[10:11]
	;; [unrolled: 1-line block ×13, first 2 shown]
	s_and_b64 s[8:9], vcc, s[6:7]
	s_mov_b64 s[6:7], -1
.LBB701_53:
                                        ; implicit-def: $sgpr14
	v_mov_b32_e32 v96, s14
	s_and_saveexec_b64 s[2:3], s[6:7]
	s_cbranch_execnz .LBB701_58
	s_branch .LBB701_59
.LBB701_54:
                                        ; implicit-def: $sgpr8_sgpr9
                                        ; implicit-def: $vgpr72
                                        ; implicit-def: $vgpr74
                                        ; implicit-def: $vgpr75
                                        ; implicit-def: $vgpr76
                                        ; implicit-def: $vgpr77
                                        ; implicit-def: $vgpr78
                                        ; implicit-def: $vgpr80
                                        ; implicit-def: $vgpr83
                                        ; implicit-def: $vgpr85
                                        ; implicit-def: $vgpr87
                                        ; implicit-def: $vgpr89
                                        ; implicit-def: $vgpr91
                                        ; implicit-def: $vgpr94
                                        ; implicit-def: $vgpr95
	s_cbranch_execz .LBB701_53
; %bb.55:
	v_mov_b32_e32 v37, 0
	v_cmp_gt_u64_e32 vcc, s[4:5], v[36:37]
	v_cmp_ne_u16_sdwa s[8:9], v5, v1 src0_sel:BYTE_0 src1_sel:BYTE_0
	s_and_b64 s[8:9], vcc, s[8:9]
	v_mov_b32_e32 v63, v37
	v_cndmask_b32_e64 v72, 0, 1, s[8:9]
	v_cmp_gt_u64_e32 vcc, s[4:5], v[62:63]
	v_cmp_ne_u16_sdwa s[8:9], v73, v5 src0_sel:BYTE_0 src1_sel:BYTE_0
	s_and_b64 s[8:9], vcc, s[8:9]
	v_mov_b32_e32 v61, v37
	v_cndmask_b32_e64 v74, 0, 1, s[8:9]
	;; [unrolled: 5-line block ×13, first 2 shown]
	v_cmp_gt_u64_e32 vcc, s[4:5], v[38:39]
	v_cmp_ne_u16_sdwa s[8:9], v2, v93 src0_sel:BYTE_0 src1_sel:BYTE_0
	s_and_b64 s[8:9], vcc, s[8:9]
	s_mov_b32 s14, 1
	v_cndmask_b32_e64 v95, 0, 1, s[8:9]
	ds_write_b8 v0, v1
	s_waitcnt lgkmcnt(0)
	s_barrier
	s_waitcnt lgkmcnt(0)
                                        ; implicit-def: $sgpr8_sgpr9
	s_and_saveexec_b64 s[10:11], s[2:3]
	s_cbranch_execz .LBB701_205
; %bb.56:
	v_add_u32_e32 v36, -1, v0
	ds_read_u8 v38, v36
	v_mul_u32_u24_e32 v36, 15, v0
	v_cmp_gt_u64_e32 vcc, s[4:5], v[36:37]
	s_or_b64 s[6:7], s[6:7], exec
	s_waitcnt lgkmcnt(0)
	v_and_b32_e32 v36, 0xff, v38
	v_cmp_ne_u16_sdwa s[2:3], v36, v2 src0_sel:DWORD src1_sel:BYTE_0
	s_and_b64 s[2:3], vcc, s[2:3]
	s_and_b64 s[8:9], s[2:3], exec
	s_or_b64 exec, exec, s[10:11]
.LBB701_57:
	v_mov_b32_e32 v96, s14
	s_and_saveexec_b64 s[2:3], s[6:7]
.LBB701_58:
	v_cndmask_b32_e64 v96, 0, 1, s[8:9]
.LBB701_59:
	s_or_b64 exec, exec, s[2:3]
	s_cmp_eq_u64 s[42:43], 0
	v_add3_u32 v36, v95, v96, v94
	s_cselect_b64 s[34:35], -1, 0
	s_cmp_lg_u32 s64, 0
	v_cmp_eq_u32_e64 s[26:27], 0, v95
	v_cmp_eq_u32_e64 s[24:25], 0, v94
	;; [unrolled: 1-line block ×3, first 2 shown]
	v_add3_u32 v99, v36, v91, v89
	v_cmp_eq_u32_e64 s[20:21], 0, v89
	v_cmp_eq_u32_e64 s[18:19], 0, v87
	;; [unrolled: 1-line block ×10, first 2 shown]
	v_cmp_eq_u32_e32 vcc, 0, v72
	v_mbcnt_lo_u32_b32 v98, -1, 0
	s_cbranch_scc0 .LBB701_126
; %bb.60:
	v_cndmask_b32_e64 v37, 0, v32, s[26:27]
	v_cndmask_b32_e64 v36, 0, v33, s[26:27]
	v_add_co_u32_e64 v37, s[28:29], v37, v30
	v_addc_co_u32_e64 v36, s[28:29], v36, v31, s[28:29]
	v_cndmask_b32_e64 v37, 0, v37, s[24:25]
	v_cndmask_b32_e64 v36, 0, v36, s[24:25]
	v_add_co_u32_e64 v37, s[28:29], v37, v28
	v_addc_co_u32_e64 v36, s[28:29], v36, v29, s[28:29]
	;; [unrolled: 4-line block ×11, first 2 shown]
	v_cndmask_b32_e64 v37, 0, v37, s[4:5]
	v_add3_u32 v38, v99, v87, v85
	v_cndmask_b32_e64 v36, 0, v36, s[4:5]
	v_add_co_u32_e64 v37, s[28:29], v37, v6
	v_add3_u32 v38, v38, v83, v80
	v_addc_co_u32_e64 v36, s[28:29], v36, v7, s[28:29]
	v_cndmask_b32_e64 v37, 0, v37, s[2:3]
	v_add3_u32 v38, v38, v78, v77
	v_cndmask_b32_e64 v36, 0, v36, s[2:3]
	v_add_co_u32_e64 v37, s[28:29], v37, v16
	v_add3_u32 v38, v38, v76, v75
	v_addc_co_u32_e64 v36, s[28:29], v36, v17, s[28:29]
	v_cndmask_b32_e32 v37, 0, v37, vcc
	v_add3_u32 v40, v38, v74, v72
	v_cndmask_b32_e32 v36, 0, v36, vcc
	v_add_co_u32_e32 v38, vcc, v37, v34
	v_mbcnt_hi_u32_b32 v41, -1, v98
	v_addc_co_u32_e32 v39, vcc, v36, v35, vcc
	v_and_b32_e32 v36, 15, v41
	v_mov_b32_dpp v42, v40 row_shr:1 row_mask:0xf bank_mask:0xf
	v_mov_b32_dpp v37, v38 row_shr:1 row_mask:0xf bank_mask:0xf
	;; [unrolled: 1-line block ×3, first 2 shown]
	v_cmp_ne_u32_e32 vcc, 0, v36
	s_and_saveexec_b64 s[28:29], vcc
; %bb.61:
	v_cmp_eq_u32_e32 vcc, 0, v40
	v_cndmask_b32_e32 v37, 0, v37, vcc
	v_add_u32_e32 v42, v42, v40
	v_cndmask_b32_e32 v40, 0, v43, vcc
	v_add_co_u32_e32 v38, vcc, v37, v38
	v_addc_co_u32_e32 v39, vcc, v40, v39, vcc
	v_mov_b32_e32 v40, v42
; %bb.62:
	s_or_b64 exec, exec, s[28:29]
	s_nop 0
	v_mov_b32_dpp v42, v40 row_shr:2 row_mask:0xf bank_mask:0xf
	v_mov_b32_dpp v37, v38 row_shr:2 row_mask:0xf bank_mask:0xf
	v_mov_b32_dpp v43, v39 row_shr:2 row_mask:0xf bank_mask:0xf
	v_cmp_lt_u32_e32 vcc, 1, v36
	s_and_saveexec_b64 s[28:29], vcc
; %bb.63:
	v_cmp_eq_u32_e32 vcc, 0, v40
	v_cndmask_b32_e32 v37, 0, v37, vcc
	v_add_u32_e32 v42, v42, v40
	v_cndmask_b32_e32 v40, 0, v43, vcc
	v_add_co_u32_e32 v38, vcc, v37, v38
	v_addc_co_u32_e32 v39, vcc, v40, v39, vcc
	v_mov_b32_e32 v40, v42
; %bb.64:
	s_or_b64 exec, exec, s[28:29]
	s_nop 0
	v_mov_b32_dpp v42, v40 row_shr:4 row_mask:0xf bank_mask:0xf
	v_mov_b32_dpp v37, v38 row_shr:4 row_mask:0xf bank_mask:0xf
	v_mov_b32_dpp v43, v39 row_shr:4 row_mask:0xf bank_mask:0xf
	v_cmp_lt_u32_e32 vcc, 3, v36
	;; [unrolled: 16-line block ×3, first 2 shown]
	s_and_saveexec_b64 s[28:29], vcc
; %bb.67:
	v_cmp_eq_u32_e32 vcc, 0, v40
	v_cndmask_b32_e32 v37, 0, v37, vcc
	v_add_u32_e32 v36, v42, v40
	v_cndmask_b32_e32 v40, 0, v43, vcc
	v_add_co_u32_e32 v38, vcc, v37, v38
	v_addc_co_u32_e32 v39, vcc, v40, v39, vcc
	v_mov_b32_e32 v40, v36
; %bb.68:
	s_or_b64 exec, exec, s[28:29]
	v_and_b32_e32 v43, 16, v41
	v_mov_b32_dpp v37, v40 row_bcast:15 row_mask:0xf bank_mask:0xf
	v_mov_b32_dpp v36, v38 row_bcast:15 row_mask:0xf bank_mask:0xf
	;; [unrolled: 1-line block ×3, first 2 shown]
	v_cmp_ne_u32_e32 vcc, 0, v43
	s_and_saveexec_b64 s[28:29], vcc
; %bb.69:
	v_cmp_eq_u32_e32 vcc, 0, v40
	v_cndmask_b32_e32 v36, 0, v36, vcc
	v_add_u32_e32 v37, v37, v40
	v_cndmask_b32_e32 v40, 0, v42, vcc
	v_add_co_u32_e32 v38, vcc, v36, v38
	v_addc_co_u32_e32 v39, vcc, v40, v39, vcc
	v_mov_b32_e32 v40, v37
; %bb.70:
	s_or_b64 exec, exec, s[28:29]
	s_nop 0
	v_mov_b32_dpp v37, v40 row_bcast:31 row_mask:0xf bank_mask:0xf
	v_mov_b32_dpp v36, v38 row_bcast:31 row_mask:0xf bank_mask:0xf
	;; [unrolled: 1-line block ×3, first 2 shown]
	v_cmp_lt_u32_e32 vcc, 31, v41
	s_and_saveexec_b64 s[28:29], vcc
; %bb.71:
	v_cmp_eq_u32_e32 vcc, 0, v40
	v_cndmask_b32_e32 v36, 0, v36, vcc
	v_add_u32_e32 v37, v37, v40
	v_cndmask_b32_e32 v40, 0, v42, vcc
	v_add_co_u32_e32 v38, vcc, v36, v38
	v_addc_co_u32_e32 v39, vcc, v40, v39, vcc
	v_mov_b32_e32 v40, v37
; %bb.72:
	s_or_b64 exec, exec, s[28:29]
	v_lshrrev_b32_e32 v36, 6, v0
	v_or_b32_e32 v37, 63, v0
	v_cmp_eq_u32_e32 vcc, v37, v0
	v_lshlrev_b32_e32 v42, 4, v36
	s_and_saveexec_b64 s[28:29], vcc
	s_cbranch_execz .LBB701_74
; %bb.73:
	ds_write_b32 v42, v40 offset:544
	ds_write_b64 v42, v[38:39] offset:552
.LBB701_74:
	s_or_b64 exec, exec, s[28:29]
	v_cmp_gt_u32_e32 vcc, 4, v0
	s_waitcnt lgkmcnt(0)
	s_barrier
	s_and_saveexec_b64 s[28:29], vcc
	s_cbranch_execz .LBB701_80
; %bb.75:
	v_lshlrev_b32_e32 v43, 4, v0
	ds_read_b32 v44, v43 offset:544
	ds_read_b64 v[36:37], v43 offset:552
	v_and_b32_e32 v45, 3, v41
	v_cmp_ne_u32_e32 vcc, 0, v45
	s_waitcnt lgkmcnt(1)
	v_mov_b32_dpp v47, v44 row_shr:1 row_mask:0xf bank_mask:0xf
	s_waitcnt lgkmcnt(0)
	v_mov_b32_dpp v46, v36 row_shr:1 row_mask:0xf bank_mask:0xf
	v_mov_b32_dpp v48, v37 row_shr:1 row_mask:0xf bank_mask:0xf
	s_and_saveexec_b64 s[42:43], vcc
; %bb.76:
	v_cmp_eq_u32_e32 vcc, 0, v44
	v_cndmask_b32_e32 v46, 0, v46, vcc
	v_add_u32_e32 v47, v47, v44
	v_cndmask_b32_e32 v44, 0, v48, vcc
	v_add_co_u32_e32 v36, vcc, v46, v36
	v_addc_co_u32_e32 v37, vcc, v44, v37, vcc
	v_mov_b32_e32 v44, v47
; %bb.77:
	s_or_b64 exec, exec, s[42:43]
	s_nop 0
	v_mov_b32_dpp v47, v44 row_shr:2 row_mask:0xf bank_mask:0xf
	v_mov_b32_dpp v46, v36 row_shr:2 row_mask:0xf bank_mask:0xf
	;; [unrolled: 1-line block ×3, first 2 shown]
	v_cmp_lt_u32_e32 vcc, 1, v45
	s_and_saveexec_b64 s[42:43], vcc
; %bb.78:
	v_cmp_eq_u32_e32 vcc, 0, v44
	v_cndmask_b32_e32 v46, 0, v46, vcc
	v_add_u32_e32 v45, v47, v44
	v_cndmask_b32_e32 v44, 0, v48, vcc
	v_add_co_u32_e32 v36, vcc, v46, v36
	v_addc_co_u32_e32 v37, vcc, v44, v37, vcc
	v_mov_b32_e32 v44, v45
; %bb.79:
	s_or_b64 exec, exec, s[42:43]
	ds_write_b32 v43, v44 offset:544
	ds_write_b64 v43, v[36:37] offset:552
.LBB701_80:
	s_or_b64 exec, exec, s[28:29]
	v_cmp_gt_u32_e32 vcc, 64, v0
	v_cmp_lt_u32_e64 s[28:29], 63, v0
	v_pk_mov_b32 v[36:37], 0, 0
	v_mov_b32_e32 v48, 0
	s_waitcnt lgkmcnt(0)
	s_barrier
	s_and_saveexec_b64 s[42:43], s[28:29]
	s_cbranch_execz .LBB701_82
; %bb.81:
	ds_read_b32 v48, v42 offset:528
	ds_read_b64 v[36:37], v42 offset:536
	v_cmp_eq_u32_e64 s[28:29], 0, v40
	s_waitcnt lgkmcnt(1)
	v_add_u32_e32 v42, v48, v40
	s_waitcnt lgkmcnt(0)
	v_cndmask_b32_e64 v43, 0, v36, s[28:29]
	v_cndmask_b32_e64 v40, 0, v37, s[28:29]
	v_add_co_u32_e64 v38, s[28:29], v43, v38
	v_addc_co_u32_e64 v39, s[28:29], v40, v39, s[28:29]
	v_mov_b32_e32 v40, v42
.LBB701_82:
	s_or_b64 exec, exec, s[42:43]
	v_add_u32_e32 v42, -1, v41
	v_and_b32_e32 v43, 64, v41
	v_cmp_lt_i32_e64 s[28:29], v42, v43
	v_cndmask_b32_e64 v42, v42, v41, s[28:29]
	v_lshlrev_b32_e32 v42, 2, v42
	ds_bpermute_b32 v49, v42, v40
	ds_bpermute_b32 v50, v42, v38
	;; [unrolled: 1-line block ×3, first 2 shown]
	v_cmp_eq_u32_e64 s[28:29], 0, v41
	s_and_saveexec_b64 s[42:43], vcc
	s_cbranch_execz .LBB701_125
; %bb.83:
	v_mov_b32_e32 v43, 0
	ds_read_b32 v52, v43 offset:592
	ds_read_b64 v[38:39], v43 offset:600
	s_and_saveexec_b64 s[48:49], s[28:29]
	s_cbranch_execz .LBB701_85
; %bb.84:
	s_add_i32 s58, s64, 64
	s_mov_b32 s59, 0
	s_lshl_b64 s[60:61], s[58:59], 4
	s_add_u32 s60, s36, s60
	s_addc_u32 s61, s37, s61
	v_mov_b32_e32 v40, s58
	v_mov_b32_e32 v42, 1
	s_waitcnt lgkmcnt(1)
	global_store_dword v43, v52, s[60:61]
	s_waitcnt lgkmcnt(0)
	global_store_dwordx2 v43, v[38:39], s[60:61] offset:8
	s_waitcnt vmcnt(0)
	buffer_wbinvl1_vol
	global_store_byte v40, v42, s[40:41]
.LBB701_85:
	s_or_b64 exec, exec, s[48:49]
	v_xad_u32 v40, v41, -1, s64
	v_add_u32_e32 v42, 64, v40
	global_load_ubyte v53, v42, s[40:41] glc
	s_waitcnt vmcnt(0)
	v_cmp_eq_u16_e32 vcc, 0, v53
	s_and_saveexec_b64 s[48:49], vcc
	s_cbranch_execz .LBB701_89
; %bb.86:
	v_mov_b32_e32 v45, s41
	v_add_co_u32_e32 v44, vcc, s40, v42
	v_addc_co_u32_e32 v45, vcc, 0, v45, vcc
	s_mov_b64 s[58:59], 0
.LBB701_87:                             ; =>This Inner Loop Header: Depth=1
	global_load_ubyte v53, v[44:45], off glc
	s_waitcnt vmcnt(0)
	v_cmp_ne_u16_e32 vcc, 0, v53
	s_or_b64 s[58:59], vcc, s[58:59]
	s_andn2_b64 exec, exec, s[58:59]
	s_cbranch_execnz .LBB701_87
; %bb.88:
	s_or_b64 exec, exec, s[58:59]
.LBB701_89:
	s_or_b64 exec, exec, s[48:49]
	v_mov_b32_e32 v44, s39
	v_mov_b32_e32 v45, s37
	v_cmp_eq_u16_e32 vcc, 1, v53
	v_cndmask_b32_e32 v44, v44, v45, vcc
	v_mov_b32_e32 v45, s38
	v_mov_b32_e32 v46, s36
	v_cndmask_b32_e32 v45, v45, v46, vcc
	v_lshlrev_b64 v[42:43], 4, v[42:43]
	v_add_co_u32_e32 v42, vcc, v45, v42
	v_addc_co_u32_e32 v43, vcc, v44, v43, vcc
	s_waitcnt lgkmcnt(0)
	buffer_wbinvl1_vol
	global_load_dword v68, v[42:43], off
	global_load_dwordx2 v[46:47], v[42:43], off offset:8
	v_cmp_eq_u16_e32 vcc, 2, v53
	v_lshlrev_b64 v[42:43], v41, -1
	v_and_b32_e32 v54, 63, v41
	v_and_b32_e32 v44, vcc_hi, v43
	v_and_b32_e32 v58, vcc_lo, v42
	v_cmp_ne_u32_e32 vcc, 63, v54
	v_addc_co_u32_e32 v45, vcc, 0, v41, vcc
	v_lshlrev_b32_e32 v55, 2, v45
	v_or_b32_e32 v44, 0x80000000, v44
	v_ffbl_b32_e32 v44, v44
	v_add_u32_e32 v44, 32, v44
	v_ffbl_b32_e32 v58, v58
	v_min_u32_e32 v44, v58, v44
	v_cmp_lt_u32_e32 vcc, v54, v44
	s_waitcnt vmcnt(1)
	ds_bpermute_b32 v56, v55, v68
	s_waitcnt vmcnt(0)
	ds_bpermute_b32 v45, v55, v46
	ds_bpermute_b32 v57, v55, v47
	s_and_saveexec_b64 s[48:49], vcc
	s_cbranch_execz .LBB701_91
; %bb.90:
	v_cmp_eq_u32_e32 vcc, 0, v68
	s_waitcnt lgkmcnt(1)
	v_cndmask_b32_e32 v45, 0, v45, vcc
	v_add_u32_e32 v56, v56, v68
	s_waitcnt lgkmcnt(0)
	v_cndmask_b32_e32 v57, 0, v57, vcc
	v_add_co_u32_e32 v46, vcc, v45, v46
	v_addc_co_u32_e32 v47, vcc, v57, v47, vcc
	v_mov_b32_e32 v68, v56
.LBB701_91:
	s_or_b64 exec, exec, s[48:49]
	v_cmp_gt_u32_e32 vcc, 62, v54
	s_waitcnt lgkmcnt(1)
	v_cndmask_b32_e64 v45, 0, 1, vcc
	v_lshlrev_b32_e32 v45, 1, v45
	v_add_lshl_u32 v56, v45, v41, 2
	ds_bpermute_b32 v58, v56, v68
	ds_bpermute_b32 v45, v56, v46
	ds_bpermute_b32 v59, v56, v47
	s_waitcnt lgkmcnt(3)
	v_add_u32_e32 v57, 2, v54
	v_cmp_le_u32_e32 vcc, v57, v44
	s_and_saveexec_b64 s[48:49], vcc
	s_cbranch_execz .LBB701_93
; %bb.92:
	v_cmp_eq_u32_e32 vcc, 0, v68
	s_waitcnt lgkmcnt(1)
	v_cndmask_b32_e32 v45, 0, v45, vcc
	v_add_u32_e32 v58, v58, v68
	s_waitcnt lgkmcnt(0)
	v_cndmask_b32_e32 v59, 0, v59, vcc
	v_add_co_u32_e32 v46, vcc, v45, v46
	v_addc_co_u32_e32 v47, vcc, v59, v47, vcc
	v_mov_b32_e32 v68, v58
.LBB701_93:
	s_or_b64 exec, exec, s[48:49]
	v_cmp_gt_u32_e32 vcc, 60, v54
	s_waitcnt lgkmcnt(1)
	v_cndmask_b32_e64 v45, 0, 1, vcc
	v_lshlrev_b32_e32 v45, 2, v45
	v_add_lshl_u32 v58, v45, v41, 2
	ds_bpermute_b32 v60, v58, v68
	ds_bpermute_b32 v45, v58, v46
	ds_bpermute_b32 v61, v58, v47
	s_waitcnt lgkmcnt(3)
	v_add_u32_e32 v59, 4, v54
	v_cmp_le_u32_e32 vcc, v59, v44
	;; [unrolled: 25-line block ×4, first 2 shown]
	s_and_saveexec_b64 s[48:49], vcc
	s_cbranch_execz .LBB701_99
; %bb.98:
	v_cmp_eq_u32_e32 vcc, 0, v68
	s_waitcnt lgkmcnt(1)
	v_cndmask_b32_e32 v45, 0, v45, vcc
	v_add_u32_e32 v64, v64, v68
	s_waitcnt lgkmcnt(0)
	v_cndmask_b32_e32 v65, 0, v65, vcc
	v_add_co_u32_e32 v46, vcc, v45, v46
	v_addc_co_u32_e32 v47, vcc, v65, v47, vcc
	v_mov_b32_e32 v68, v64
.LBB701_99:
	s_or_b64 exec, exec, s[48:49]
	v_cmp_gt_u32_e32 vcc, 32, v54
	s_waitcnt lgkmcnt(1)
	v_cndmask_b32_e64 v45, 0, 1, vcc
	v_lshlrev_b32_e32 v45, 5, v45
	v_add_lshl_u32 v64, v45, v41, 2
	ds_bpermute_b32 v45, v64, v68
	ds_bpermute_b32 v41, v64, v46
	s_waitcnt lgkmcnt(2)
	ds_bpermute_b32 v65, v64, v47
	v_add_u32_e32 v66, 32, v54
	v_cmp_le_u32_e32 vcc, v66, v44
	s_and_saveexec_b64 s[48:49], vcc
	s_cbranch_execz .LBB701_101
; %bb.100:
	v_cmp_eq_u32_e32 vcc, 0, v68
	s_waitcnt lgkmcnt(1)
	v_cndmask_b32_e32 v41, 0, v41, vcc
	v_add_u32_e32 v44, v45, v68
	s_waitcnt lgkmcnt(0)
	v_cndmask_b32_e32 v45, 0, v65, vcc
	v_add_co_u32_e32 v46, vcc, v41, v46
	v_addc_co_u32_e32 v47, vcc, v45, v47, vcc
	v_mov_b32_e32 v68, v44
.LBB701_101:
	s_or_b64 exec, exec, s[48:49]
	s_waitcnt lgkmcnt(1)
	v_mov_b32_e32 v41, 0
	v_mov_b32_e32 v67, 2
	s_branch .LBB701_103
.LBB701_102:                            ;   in Loop: Header=BB701_103 Depth=1
	s_or_b64 exec, exec, s[48:49]
	v_cmp_eq_u32_e32 vcc, 0, v65
	v_cndmask_b32_e32 v46, 0, v46, vcc
	v_cndmask_b32_e32 v47, 0, v47, vcc
	v_add_co_u32_e32 v46, vcc, v46, v44
	v_subrev_u32_e32 v40, 64, v40
	v_add_u32_e32 v68, v69, v65
	v_addc_co_u32_e32 v47, vcc, v47, v45, vcc
.LBB701_103:                            ; =>This Loop Header: Depth=1
                                        ;     Child Loop BB701_106 Depth 2
	v_cmp_ne_u16_sdwa s[48:49], v53, v67 src0_sel:BYTE_0 src1_sel:DWORD
	v_pk_mov_b32 v[44:45], v[46:47], v[46:47] op_sel:[0,1]
	v_cndmask_b32_e64 v46, 0, 1, s[48:49]
	;;#ASMSTART
	;;#ASMEND
	v_cmp_ne_u32_e32 vcc, 0, v46
	s_cmp_lg_u64 vcc, exec
	s_waitcnt lgkmcnt(0)
	v_mov_b32_e32 v65, v68
	s_cbranch_scc1 .LBB701_120
; %bb.104:                              ;   in Loop: Header=BB701_103 Depth=1
	global_load_ubyte v53, v40, s[40:41] glc
	s_waitcnt vmcnt(0)
	v_cmp_eq_u16_e32 vcc, 0, v53
	s_and_saveexec_b64 s[48:49], vcc
	s_cbranch_execz .LBB701_108
; %bb.105:                              ;   in Loop: Header=BB701_103 Depth=1
	v_mov_b32_e32 v47, s41
	v_add_co_u32_e32 v46, vcc, s40, v40
	v_addc_co_u32_e32 v47, vcc, 0, v47, vcc
	s_mov_b64 s[58:59], 0
.LBB701_106:                            ;   Parent Loop BB701_103 Depth=1
                                        ; =>  This Inner Loop Header: Depth=2
	global_load_ubyte v53, v[46:47], off glc
	s_waitcnt vmcnt(0)
	v_cmp_ne_u16_e32 vcc, 0, v53
	s_or_b64 s[58:59], vcc, s[58:59]
	s_andn2_b64 exec, exec, s[58:59]
	s_cbranch_execnz .LBB701_106
; %bb.107:                              ;   in Loop: Header=BB701_103 Depth=1
	s_or_b64 exec, exec, s[58:59]
.LBB701_108:                            ;   in Loop: Header=BB701_103 Depth=1
	s_or_b64 exec, exec, s[48:49]
	v_mov_b32_e32 v46, s39
	v_mov_b32_e32 v47, s37
	v_cmp_eq_u16_e32 vcc, 1, v53
	v_cndmask_b32_e32 v68, v46, v47, vcc
	v_mov_b32_e32 v46, s38
	v_mov_b32_e32 v47, s36
	v_cndmask_b32_e32 v69, v46, v47, vcc
	v_lshlrev_b64 v[46:47], 4, v[40:41]
	v_add_co_u32_e32 v46, vcc, v69, v46
	v_addc_co_u32_e32 v47, vcc, v68, v47, vcc
	buffer_wbinvl1_vol
	global_load_dword v69, v[46:47], off
	s_nop 0
	global_load_dwordx2 v[46:47], v[46:47], off offset:8
	v_cmp_eq_u16_e32 vcc, 2, v53
	v_and_b32_e32 v68, vcc_hi, v43
	v_or_b32_e32 v68, 0x80000000, v68
	v_and_b32_e32 v100, vcc_lo, v42
	v_ffbl_b32_e32 v68, v68
	v_add_u32_e32 v68, 32, v68
	v_ffbl_b32_e32 v100, v100
	v_min_u32_e32 v68, v100, v68
	v_cmp_lt_u32_e32 vcc, v54, v68
	s_waitcnt vmcnt(1)
	ds_bpermute_b32 v71, v55, v69
	s_waitcnt vmcnt(0)
	ds_bpermute_b32 v70, v55, v46
	ds_bpermute_b32 v97, v55, v47
	s_and_saveexec_b64 s[48:49], vcc
	s_cbranch_execz .LBB701_110
; %bb.109:                              ;   in Loop: Header=BB701_103 Depth=1
	v_cmp_eq_u32_e32 vcc, 0, v69
	s_waitcnt lgkmcnt(1)
	v_cndmask_b32_e32 v70, 0, v70, vcc
	v_add_u32_e32 v71, v71, v69
	s_waitcnt lgkmcnt(0)
	v_cndmask_b32_e32 v69, 0, v97, vcc
	v_add_co_u32_e32 v46, vcc, v70, v46
	v_addc_co_u32_e32 v47, vcc, v69, v47, vcc
	v_mov_b32_e32 v69, v71
.LBB701_110:                            ;   in Loop: Header=BB701_103 Depth=1
	s_or_b64 exec, exec, s[48:49]
	s_waitcnt lgkmcnt(2)
	ds_bpermute_b32 v71, v56, v69
	s_waitcnt lgkmcnt(2)
	ds_bpermute_b32 v70, v56, v46
	s_waitcnt lgkmcnt(2)
	ds_bpermute_b32 v97, v56, v47
	v_cmp_le_u32_e32 vcc, v57, v68
	s_and_saveexec_b64 s[48:49], vcc
	s_cbranch_execz .LBB701_112
; %bb.111:                              ;   in Loop: Header=BB701_103 Depth=1
	v_cmp_eq_u32_e32 vcc, 0, v69
	s_waitcnt lgkmcnt(1)
	v_cndmask_b32_e32 v70, 0, v70, vcc
	v_add_u32_e32 v71, v71, v69
	s_waitcnt lgkmcnt(0)
	v_cndmask_b32_e32 v69, 0, v97, vcc
	v_add_co_u32_e32 v46, vcc, v70, v46
	v_addc_co_u32_e32 v47, vcc, v69, v47, vcc
	v_mov_b32_e32 v69, v71
.LBB701_112:                            ;   in Loop: Header=BB701_103 Depth=1
	s_or_b64 exec, exec, s[48:49]
	s_waitcnt lgkmcnt(2)
	ds_bpermute_b32 v71, v58, v69
	s_waitcnt lgkmcnt(2)
	ds_bpermute_b32 v70, v58, v46
	s_waitcnt lgkmcnt(2)
	ds_bpermute_b32 v97, v58, v47
	v_cmp_le_u32_e32 vcc, v59, v68
	s_and_saveexec_b64 s[48:49], vcc
	s_cbranch_execz .LBB701_114
; %bb.113:                              ;   in Loop: Header=BB701_103 Depth=1
	v_cmp_eq_u32_e32 vcc, 0, v69
	s_waitcnt lgkmcnt(1)
	v_cndmask_b32_e32 v70, 0, v70, vcc
	v_add_u32_e32 v71, v71, v69
	s_waitcnt lgkmcnt(0)
	v_cndmask_b32_e32 v69, 0, v97, vcc
	v_add_co_u32_e32 v46, vcc, v70, v46
	v_addc_co_u32_e32 v47, vcc, v69, v47, vcc
	v_mov_b32_e32 v69, v71
.LBB701_114:                            ;   in Loop: Header=BB701_103 Depth=1
	s_or_b64 exec, exec, s[48:49]
	s_waitcnt lgkmcnt(2)
	ds_bpermute_b32 v71, v60, v69
	s_waitcnt lgkmcnt(2)
	ds_bpermute_b32 v70, v60, v46
	s_waitcnt lgkmcnt(2)
	ds_bpermute_b32 v97, v60, v47
	v_cmp_le_u32_e32 vcc, v61, v68
	s_and_saveexec_b64 s[48:49], vcc
	s_cbranch_execz .LBB701_116
; %bb.115:                              ;   in Loop: Header=BB701_103 Depth=1
	v_cmp_eq_u32_e32 vcc, 0, v69
	s_waitcnt lgkmcnt(1)
	v_cndmask_b32_e32 v70, 0, v70, vcc
	v_add_u32_e32 v71, v71, v69
	s_waitcnt lgkmcnt(0)
	v_cndmask_b32_e32 v69, 0, v97, vcc
	v_add_co_u32_e32 v46, vcc, v70, v46
	v_addc_co_u32_e32 v47, vcc, v69, v47, vcc
	v_mov_b32_e32 v69, v71
.LBB701_116:                            ;   in Loop: Header=BB701_103 Depth=1
	s_or_b64 exec, exec, s[48:49]
	s_waitcnt lgkmcnt(2)
	ds_bpermute_b32 v71, v62, v69
	s_waitcnt lgkmcnt(2)
	ds_bpermute_b32 v70, v62, v46
	s_waitcnt lgkmcnt(2)
	ds_bpermute_b32 v97, v62, v47
	v_cmp_le_u32_e32 vcc, v63, v68
	s_and_saveexec_b64 s[48:49], vcc
	s_cbranch_execz .LBB701_118
; %bb.117:                              ;   in Loop: Header=BB701_103 Depth=1
	v_cmp_eq_u32_e32 vcc, 0, v69
	s_waitcnt lgkmcnt(1)
	v_cndmask_b32_e32 v70, 0, v70, vcc
	v_add_u32_e32 v71, v71, v69
	s_waitcnt lgkmcnt(0)
	v_cndmask_b32_e32 v69, 0, v97, vcc
	v_add_co_u32_e32 v46, vcc, v70, v46
	v_addc_co_u32_e32 v47, vcc, v69, v47, vcc
	v_mov_b32_e32 v69, v71
.LBB701_118:                            ;   in Loop: Header=BB701_103 Depth=1
	s_or_b64 exec, exec, s[48:49]
	s_waitcnt lgkmcnt(2)
	ds_bpermute_b32 v71, v64, v69
	s_waitcnt lgkmcnt(2)
	ds_bpermute_b32 v70, v64, v46
	s_waitcnt lgkmcnt(2)
	ds_bpermute_b32 v97, v64, v47
	v_cmp_le_u32_e32 vcc, v66, v68
	s_and_saveexec_b64 s[48:49], vcc
	s_cbranch_execz .LBB701_102
; %bb.119:                              ;   in Loop: Header=BB701_103 Depth=1
	v_cmp_eq_u32_e32 vcc, 0, v69
	s_waitcnt lgkmcnt(1)
	v_cndmask_b32_e32 v70, 0, v70, vcc
	v_add_u32_e32 v68, v71, v69
	s_waitcnt lgkmcnt(0)
	v_cndmask_b32_e32 v69, 0, v97, vcc
	v_add_co_u32_e32 v46, vcc, v70, v46
	v_addc_co_u32_e32 v47, vcc, v69, v47, vcc
	v_mov_b32_e32 v69, v68
	s_branch .LBB701_102
.LBB701_120:                            ;   in Loop: Header=BB701_103 Depth=1
                                        ; implicit-def: $vgpr46_vgpr47
                                        ; implicit-def: $vgpr68
                                        ; implicit-def: $vgpr53
	s_cbranch_execz .LBB701_103
; %bb.121:
	s_and_saveexec_b64 s[36:37], s[28:29]
	s_cbranch_execz .LBB701_123
; %bb.122:
	s_mov_b32 s49, 0
	v_cmp_eq_u32_e32 vcc, 0, v52
	s_add_i32 s48, s64, 64
	v_cndmask_b32_e32 v40, 0, v44, vcc
	s_lshl_b64 s[58:59], s[48:49], 4
	v_cndmask_b32_e32 v41, 0, v45, vcc
	v_add_co_u32_e32 v40, vcc, v40, v38
	s_add_u32 s58, s38, s58
	v_add_u32_e32 v42, v65, v52
	v_addc_co_u32_e32 v41, vcc, v41, v39, vcc
	s_addc_u32 s59, s39, s59
	v_mov_b32_e32 v43, 0
	global_store_dword v43, v42, s[58:59]
	global_store_dwordx2 v43, v[40:41], s[58:59] offset:8
	v_mov_b32_e32 v40, s48
	v_mov_b32_e32 v41, 2
	s_waitcnt vmcnt(0) lgkmcnt(0)
	buffer_wbinvl1_vol
	global_store_byte v40, v41, s[40:41]
	ds_write_b32 v43, v52 offset:512
	ds_write_b64 v43, v[38:39] offset:520
	ds_write_b32 v43, v65 offset:528
	ds_write_b64 v43, v[44:45] offset:536
.LBB701_123:
	s_or_b64 exec, exec, s[36:37]
	s_and_b64 exec, exec, s[0:1]
	s_cbranch_execz .LBB701_125
; %bb.124:
	v_mov_b32_e32 v38, 0
	ds_write_b32 v38, v65 offset:592
	ds_write_b64 v38, v[44:45] offset:600
.LBB701_125:
	s_or_b64 exec, exec, s[42:43]
	v_mov_b32_e32 v41, 0
	s_waitcnt lgkmcnt(0)
	s_barrier
	ds_read_b32 v40, v41 offset:592
	ds_read_b64 v[38:39], v41 offset:600
	v_cndmask_b32_e64 v42, v49, v48, s[28:29]
	v_cmp_eq_u32_e32 vcc, 0, v42
	v_cndmask_b32_e64 v36, v50, v36, s[28:29]
	v_cndmask_b32_e64 v37, v51, v37, s[28:29]
	s_waitcnt lgkmcnt(0)
	v_cndmask_b32_e32 v44, 0, v38, vcc
	v_cndmask_b32_e32 v43, 0, v39, vcc
	v_add_co_u32_e32 v36, vcc, v44, v36
	v_addc_co_u32_e32 v37, vcc, v43, v37, vcc
	v_cndmask_b32_e64 v66, v36, v38, s[0:1]
	v_cmp_eq_u32_e32 vcc, 0, v96
	v_cndmask_b32_e64 v42, v42, 0, s[0:1]
	v_cndmask_b32_e64 v67, v37, v39, s[0:1]
	v_cndmask_b32_e32 v37, 0, v66, vcc
	v_add_u32_e32 v97, v40, v42
	v_cndmask_b32_e32 v36, 0, v67, vcc
	v_add_co_u32_e32 v42, vcc, v37, v32
	v_addc_co_u32_e32 v43, vcc, v36, v33, vcc
	v_cndmask_b32_e64 v37, 0, v42, s[26:27]
	v_cndmask_b32_e64 v36, 0, v43, s[26:27]
	v_add_co_u32_e32 v44, vcc, v37, v30
	v_addc_co_u32_e32 v45, vcc, v36, v31, vcc
	v_cndmask_b32_e64 v37, 0, v44, s[24:25]
	v_cndmask_b32_e64 v36, 0, v45, s[24:25]
	v_add_co_u32_e32 v46, vcc, v37, v28
	v_addc_co_u32_e32 v47, vcc, v36, v29, vcc
	v_cndmask_b32_e64 v37, 0, v46, s[22:23]
	v_cndmask_b32_e64 v36, 0, v47, s[22:23]
	v_add_co_u32_e32 v48, vcc, v37, v24
	v_addc_co_u32_e32 v49, vcc, v36, v25, vcc
	v_cndmask_b32_e64 v37, 0, v48, s[20:21]
	v_cndmask_b32_e64 v36, 0, v49, s[20:21]
	v_add_co_u32_e32 v50, vcc, v37, v26
	v_addc_co_u32_e32 v51, vcc, v36, v27, vcc
	v_cndmask_b32_e64 v37, 0, v50, s[18:19]
	v_cndmask_b32_e64 v36, 0, v51, s[18:19]
	v_add_co_u32_e32 v52, vcc, v37, v22
	v_addc_co_u32_e32 v53, vcc, v36, v23, vcc
	v_cndmask_b32_e64 v37, 0, v52, s[16:17]
	v_cndmask_b32_e64 v36, 0, v53, s[16:17]
	v_add_co_u32_e32 v54, vcc, v37, v20
	v_addc_co_u32_e32 v55, vcc, v36, v21, vcc
	v_cndmask_b32_e64 v37, 0, v54, s[14:15]
	v_cndmask_b32_e64 v36, 0, v55, s[14:15]
	v_add_co_u32_e32 v56, vcc, v37, v14
	v_addc_co_u32_e32 v57, vcc, v36, v15, vcc
	v_cndmask_b32_e64 v37, 0, v56, s[12:13]
	v_cndmask_b32_e64 v36, 0, v57, s[12:13]
	v_add_co_u32_e32 v58, vcc, v37, v18
	v_addc_co_u32_e32 v59, vcc, v36, v19, vcc
	v_cndmask_b32_e64 v37, 0, v58, s[10:11]
	v_cndmask_b32_e64 v36, 0, v59, s[10:11]
	v_add_co_u32_e32 v60, vcc, v37, v12
	v_addc_co_u32_e32 v61, vcc, v36, v13, vcc
	v_cndmask_b32_e64 v37, 0, v60, s[8:9]
	v_cndmask_b32_e64 v36, 0, v61, s[8:9]
	v_add_co_u32_e32 v62, vcc, v37, v10
	v_addc_co_u32_e32 v63, vcc, v36, v11, vcc
	v_cndmask_b32_e64 v37, 0, v62, s[6:7]
	v_cndmask_b32_e64 v36, 0, v63, s[6:7]
	v_add_co_u32_e32 v64, vcc, v37, v8
	v_addc_co_u32_e32 v65, vcc, v36, v9, vcc
	s_barrier
	ds_read_b32 v36, v41 offset:512
	ds_read_b64 v[38:39], v41 offset:520
	ds_read_b32 v40, v41 offset:528
	ds_read_b64 v[100:101], v41 offset:536
	v_cndmask_b32_e64 v68, 0, v64, s[4:5]
	v_cndmask_b32_e64 v37, 0, v65, s[4:5]
	v_add_co_u32_e32 v68, vcc, v68, v6
	v_addc_co_u32_e32 v69, vcc, v37, v7, vcc
	s_waitcnt lgkmcnt(3)
	v_cmp_eq_u32_e32 vcc, 0, v36
	s_waitcnt lgkmcnt(0)
	v_cndmask_b32_e32 v41, 0, v100, vcc
	v_cndmask_b32_e32 v37, 0, v101, vcc
	v_add_co_u32_e32 v38, vcc, v41, v38
	v_cndmask_b32_e64 v71, 0, v69, s[2:3]
	v_cndmask_b32_e64 v70, 0, v68, s[2:3]
	v_addc_co_u32_e32 v39, vcc, v37, v39, vcc
	s_branch .LBB701_154
.LBB701_126:
                                        ; implicit-def: $vgpr36
                                        ; implicit-def: $vgpr38_vgpr39
                                        ; implicit-def: $vgpr40
                                        ; implicit-def: $vgpr66_vgpr67
                                        ; implicit-def: $vgpr42_vgpr43
                                        ; implicit-def: $vgpr44_vgpr45
                                        ; implicit-def: $vgpr46_vgpr47
                                        ; implicit-def: $vgpr48_vgpr49
                                        ; implicit-def: $vgpr50_vgpr51
                                        ; implicit-def: $vgpr52_vgpr53
                                        ; implicit-def: $vgpr54_vgpr55
                                        ; implicit-def: $vgpr56_vgpr57
                                        ; implicit-def: $vgpr58_vgpr59
                                        ; implicit-def: $vgpr60_vgpr61
                                        ; implicit-def: $vgpr62_vgpr63
                                        ; implicit-def: $vgpr64_vgpr65
                                        ; implicit-def: $vgpr68_vgpr69
                                        ; implicit-def: $vgpr70_vgpr71
                                        ; implicit-def: $vgpr97
	s_cbranch_execz .LBB701_154
; %bb.127:
	s_and_b64 s[2:3], s[34:35], exec
	s_cselect_b32 s3, 0, s31
	s_cselect_b32 s2, 0, s30
	s_cmp_eq_u64 s[2:3], 0
	v_pk_mov_b32 v[40:41], v[32:33], v[32:33] op_sel:[0,1]
	s_cbranch_scc1 .LBB701_129
; %bb.128:
	v_mov_b32_e32 v36, 0
	global_load_dwordx2 v[40:41], v36, s[2:3]
.LBB701_129:
	v_cmp_eq_u32_e64 s[24:25], 0, v95
	v_cndmask_b32_e64 v37, 0, v32, s[24:25]
	v_cndmask_b32_e64 v36, 0, v33, s[24:25]
	v_add_co_u32_e32 v37, vcc, v37, v30
	v_cmp_eq_u32_e64 s[22:23], 0, v94
	v_addc_co_u32_e32 v36, vcc, v36, v31, vcc
	v_cndmask_b32_e64 v37, 0, v37, s[22:23]
	v_cndmask_b32_e64 v36, 0, v36, s[22:23]
	v_add_co_u32_e32 v37, vcc, v37, v28
	v_cmp_eq_u32_e64 s[20:21], 0, v91
	v_addc_co_u32_e32 v36, vcc, v36, v29, vcc
	;; [unrolled: 5-line block ×11, first 2 shown]
	v_cndmask_b32_e64 v37, 0, v37, s[4:5]
	v_cndmask_b32_e64 v36, 0, v36, s[4:5]
	v_add_co_u32_e32 v37, vcc, v37, v6
	v_addc_co_u32_e32 v36, vcc, v36, v7, vcc
	v_cmp_eq_u32_e32 vcc, 0, v74
	v_cndmask_b32_e32 v37, 0, v37, vcc
	v_add3_u32 v38, v99, v87, v85
	v_cndmask_b32_e32 v36, 0, v36, vcc
	v_add_co_u32_e64 v37, s[26:27], v37, v16
	v_add3_u32 v38, v38, v83, v80
	v_addc_co_u32_e64 v36, s[26:27], v36, v17, s[26:27]
	v_add3_u32 v38, v38, v78, v77
	v_cmp_eq_u32_e64 s[26:27], 0, v72
	v_add3_u32 v38, v38, v76, v75
	v_cndmask_b32_e64 v37, 0, v37, s[26:27]
	v_add3_u32 v39, v38, v74, v72
	v_cndmask_b32_e64 v36, 0, v36, s[26:27]
	v_add_co_u32_e64 v34, s[26:27], v37, v34
	v_mbcnt_hi_u32_b32 v38, -1, v98
	v_addc_co_u32_e64 v35, s[26:27], v36, v35, s[26:27]
	v_and_b32_e32 v36, 15, v38
	v_mov_b32_dpp v42, v39 row_shr:1 row_mask:0xf bank_mask:0xf
	v_mov_b32_dpp v37, v34 row_shr:1 row_mask:0xf bank_mask:0xf
	;; [unrolled: 1-line block ×3, first 2 shown]
	v_cmp_ne_u32_e64 s[26:27], 0, v36
	s_and_saveexec_b64 s[28:29], s[26:27]
; %bb.130:
	v_cmp_eq_u32_e64 s[26:27], 0, v39
	v_cndmask_b32_e64 v37, 0, v37, s[26:27]
	v_add_u32_e32 v42, v42, v39
	v_cndmask_b32_e64 v39, 0, v43, s[26:27]
	v_add_co_u32_e64 v34, s[26:27], v37, v34
	v_addc_co_u32_e64 v35, s[26:27], v39, v35, s[26:27]
	v_mov_b32_e32 v39, v42
; %bb.131:
	s_or_b64 exec, exec, s[28:29]
	s_nop 0
	v_mov_b32_dpp v42, v39 row_shr:2 row_mask:0xf bank_mask:0xf
	v_mov_b32_dpp v37, v34 row_shr:2 row_mask:0xf bank_mask:0xf
	v_mov_b32_dpp v43, v35 row_shr:2 row_mask:0xf bank_mask:0xf
	v_cmp_lt_u32_e64 s[26:27], 1, v36
	s_and_saveexec_b64 s[28:29], s[26:27]
; %bb.132:
	v_cmp_eq_u32_e64 s[26:27], 0, v39
	v_cndmask_b32_e64 v37, 0, v37, s[26:27]
	v_add_u32_e32 v42, v42, v39
	v_cndmask_b32_e64 v39, 0, v43, s[26:27]
	v_add_co_u32_e64 v34, s[26:27], v37, v34
	v_addc_co_u32_e64 v35, s[26:27], v39, v35, s[26:27]
	v_mov_b32_e32 v39, v42
; %bb.133:
	s_or_b64 exec, exec, s[28:29]
	s_nop 0
	v_mov_b32_dpp v42, v39 row_shr:4 row_mask:0xf bank_mask:0xf
	v_mov_b32_dpp v37, v34 row_shr:4 row_mask:0xf bank_mask:0xf
	v_mov_b32_dpp v43, v35 row_shr:4 row_mask:0xf bank_mask:0xf
	v_cmp_lt_u32_e64 s[26:27], 3, v36
	;; [unrolled: 16-line block ×3, first 2 shown]
	s_and_saveexec_b64 s[28:29], s[26:27]
; %bb.136:
	v_cmp_eq_u32_e64 s[26:27], 0, v39
	v_cndmask_b32_e64 v37, 0, v37, s[26:27]
	v_add_u32_e32 v36, v42, v39
	v_cndmask_b32_e64 v39, 0, v43, s[26:27]
	v_add_co_u32_e64 v34, s[26:27], v37, v34
	v_addc_co_u32_e64 v35, s[26:27], v39, v35, s[26:27]
	v_mov_b32_e32 v39, v36
; %bb.137:
	s_or_b64 exec, exec, s[28:29]
	v_and_b32_e32 v43, 16, v38
	v_mov_b32_dpp v37, v39 row_bcast:15 row_mask:0xf bank_mask:0xf
	v_mov_b32_dpp v36, v34 row_bcast:15 row_mask:0xf bank_mask:0xf
	;; [unrolled: 1-line block ×3, first 2 shown]
	v_cmp_ne_u32_e64 s[26:27], 0, v43
	s_and_saveexec_b64 s[28:29], s[26:27]
; %bb.138:
	v_cmp_eq_u32_e64 s[26:27], 0, v39
	v_cndmask_b32_e64 v36, 0, v36, s[26:27]
	v_add_u32_e32 v37, v37, v39
	v_cndmask_b32_e64 v39, 0, v42, s[26:27]
	v_add_co_u32_e64 v34, s[26:27], v36, v34
	v_addc_co_u32_e64 v35, s[26:27], v39, v35, s[26:27]
	v_mov_b32_e32 v39, v37
; %bb.139:
	s_or_b64 exec, exec, s[28:29]
	s_nop 0
	v_mov_b32_dpp v37, v39 row_bcast:31 row_mask:0xf bank_mask:0xf
	v_mov_b32_dpp v36, v34 row_bcast:31 row_mask:0xf bank_mask:0xf
	;; [unrolled: 1-line block ×3, first 2 shown]
	v_cmp_lt_u32_e64 s[26:27], 31, v38
	s_and_saveexec_b64 s[28:29], s[26:27]
; %bb.140:
	v_cmp_eq_u32_e64 s[26:27], 0, v39
	v_cndmask_b32_e64 v36, 0, v36, s[26:27]
	v_add_u32_e32 v37, v37, v39
	v_cndmask_b32_e64 v39, 0, v42, s[26:27]
	v_add_co_u32_e64 v34, s[26:27], v36, v34
	v_addc_co_u32_e64 v35, s[26:27], v39, v35, s[26:27]
	v_mov_b32_e32 v39, v37
; %bb.141:
	s_or_b64 exec, exec, s[28:29]
	v_lshrrev_b32_e32 v36, 6, v0
	v_or_b32_e32 v37, 63, v0
	v_cmp_eq_u32_e64 s[26:27], v37, v0
	v_lshlrev_b32_e32 v42, 4, v36
	s_and_saveexec_b64 s[28:29], s[26:27]
	s_cbranch_execz .LBB701_143
; %bb.142:
	ds_write_b32 v42, v39 offset:544
	ds_write_b64 v42, v[34:35] offset:552
.LBB701_143:
	s_or_b64 exec, exec, s[28:29]
	v_cmp_gt_u32_e64 s[26:27], 4, v0
	s_waitcnt lgkmcnt(0)
	s_barrier
	s_and_saveexec_b64 s[28:29], s[26:27]
	s_cbranch_execz .LBB701_149
; %bb.144:
	v_lshlrev_b32_e32 v43, 4, v0
	ds_read_b32 v44, v43 offset:544
	ds_read_b64 v[36:37], v43 offset:552
	v_and_b32_e32 v45, 3, v38
	v_cmp_ne_u32_e64 s[26:27], 0, v45
	s_waitcnt lgkmcnt(1)
	v_mov_b32_dpp v47, v44 row_shr:1 row_mask:0xf bank_mask:0xf
	s_waitcnt lgkmcnt(0)
	v_mov_b32_dpp v46, v36 row_shr:1 row_mask:0xf bank_mask:0xf
	v_mov_b32_dpp v48, v37 row_shr:1 row_mask:0xf bank_mask:0xf
	s_and_saveexec_b64 s[30:31], s[26:27]
; %bb.145:
	v_cmp_eq_u32_e64 s[26:27], 0, v44
	v_cndmask_b32_e64 v46, 0, v46, s[26:27]
	v_add_u32_e32 v47, v47, v44
	v_cndmask_b32_e64 v44, 0, v48, s[26:27]
	v_add_co_u32_e64 v36, s[26:27], v46, v36
	v_addc_co_u32_e64 v37, s[26:27], v44, v37, s[26:27]
	v_mov_b32_e32 v44, v47
; %bb.146:
	s_or_b64 exec, exec, s[30:31]
	s_nop 0
	v_mov_b32_dpp v47, v44 row_shr:2 row_mask:0xf bank_mask:0xf
	v_mov_b32_dpp v46, v36 row_shr:2 row_mask:0xf bank_mask:0xf
	;; [unrolled: 1-line block ×3, first 2 shown]
	v_cmp_lt_u32_e64 s[26:27], 1, v45
	s_and_saveexec_b64 s[30:31], s[26:27]
; %bb.147:
	v_cmp_eq_u32_e64 s[26:27], 0, v44
	v_cndmask_b32_e64 v46, 0, v46, s[26:27]
	v_add_u32_e32 v45, v47, v44
	v_cndmask_b32_e64 v44, 0, v48, s[26:27]
	v_add_co_u32_e64 v36, s[26:27], v46, v36
	v_addc_co_u32_e64 v37, s[26:27], v44, v37, s[26:27]
	v_mov_b32_e32 v44, v45
; %bb.148:
	s_or_b64 exec, exec, s[30:31]
	ds_write_b32 v43, v44 offset:544
	ds_write_b64 v43, v[36:37] offset:552
.LBB701_149:
	s_or_b64 exec, exec, s[28:29]
	v_cmp_lt_u32_e64 s[26:27], 63, v0
	v_mov_b32_e32 v98, 0
	v_mov_b32_e32 v43, 0
	s_waitcnt vmcnt(0)
	v_pk_mov_b32 v[36:37], v[40:41], v[40:41] op_sel:[0,1]
	s_waitcnt lgkmcnt(0)
	s_barrier
	s_and_saveexec_b64 s[28:29], s[26:27]
	s_cbranch_execz .LBB701_151
; %bb.150:
	ds_read_b32 v43, v42 offset:528
	ds_read_b64 v[36:37], v42 offset:536
	s_waitcnt lgkmcnt(1)
	v_cmp_eq_u32_e64 s[26:27], 0, v43
	v_cndmask_b32_e64 v44, 0, v40, s[26:27]
	v_cndmask_b32_e64 v42, 0, v41, s[26:27]
	s_waitcnt lgkmcnt(0)
	v_add_co_u32_e64 v36, s[26:27], v44, v36
	v_addc_co_u32_e64 v37, s[26:27], v42, v37, s[26:27]
.LBB701_151:
	s_or_b64 exec, exec, s[28:29]
	v_cmp_eq_u32_e64 s[26:27], 0, v39
	v_cndmask_b32_e64 v44, 0, v36, s[26:27]
	v_add_u32_e32 v42, v43, v39
	v_cndmask_b32_e64 v39, 0, v37, s[26:27]
	v_add_co_u32_e64 v34, s[26:27], v44, v34
	v_addc_co_u32_e64 v35, s[26:27], v39, v35, s[26:27]
	v_add_u32_e32 v39, -1, v38
	v_and_b32_e32 v44, 64, v38
	v_cmp_lt_i32_e64 s[26:27], v39, v44
	v_cndmask_b32_e64 v39, v39, v38, s[26:27]
	v_lshlrev_b32_e32 v39, 2, v39
	ds_bpermute_b32 v34, v39, v34
	ds_bpermute_b32 v42, v39, v42
	;; [unrolled: 1-line block ×3, first 2 shown]
	v_cmp_eq_u32_e64 s[26:27], 0, v38
	s_waitcnt lgkmcnt(2)
	v_cndmask_b32_e64 v66, v34, v36, s[26:27]
	s_waitcnt lgkmcnt(1)
	v_cndmask_b32_e64 v97, v42, v43, s[26:27]
	;; [unrolled: 2-line block ×3, first 2 shown]
	v_cndmask_b32_e64 v34, v66, v40, s[0:1]
	v_cmp_eq_u32_e64 s[26:27], 0, v96
	v_cndmask_b32_e64 v35, v67, v41, s[0:1]
	v_cndmask_b32_e64 v34, 0, v34, s[26:27]
	v_cndmask_b32_e64 v35, 0, v35, s[26:27]
	v_add_co_u32_e64 v42, s[26:27], v34, v32
	v_addc_co_u32_e64 v43, s[26:27], v35, v33, s[26:27]
	v_cndmask_b32_e64 v33, 0, v42, s[24:25]
	v_cndmask_b32_e64 v32, 0, v43, s[24:25]
	v_add_co_u32_e64 v44, s[24:25], v33, v30
	v_addc_co_u32_e64 v45, s[24:25], v32, v31, s[24:25]
	v_cndmask_b32_e64 v31, 0, v44, s[22:23]
	v_cndmask_b32_e64 v30, 0, v45, s[22:23]
	v_add_co_u32_e64 v46, s[22:23], v31, v28
	v_addc_co_u32_e64 v47, s[22:23], v30, v29, s[22:23]
	v_cndmask_b32_e64 v29, 0, v46, s[20:21]
	v_cndmask_b32_e64 v28, 0, v47, s[20:21]
	v_add_co_u32_e64 v48, s[20:21], v29, v24
	v_addc_co_u32_e64 v49, s[20:21], v28, v25, s[20:21]
	v_cndmask_b32_e64 v25, 0, v48, s[18:19]
	v_cndmask_b32_e64 v24, 0, v49, s[18:19]
	v_add_co_u32_e64 v50, s[18:19], v25, v26
	v_addc_co_u32_e64 v51, s[18:19], v24, v27, s[18:19]
	v_cndmask_b32_e64 v25, 0, v50, s[14:15]
	v_cndmask_b32_e64 v24, 0, v51, s[14:15]
	v_add_co_u32_e64 v52, s[14:15], v25, v22
	v_addc_co_u32_e64 v53, s[14:15], v24, v23, s[14:15]
	v_cndmask_b32_e64 v23, 0, v52, s[16:17]
	v_cndmask_b32_e64 v22, 0, v53, s[16:17]
	v_add_co_u32_e64 v54, s[14:15], v23, v20
	v_addc_co_u32_e64 v55, s[14:15], v22, v21, s[14:15]
	v_cndmask_b32_e64 v21, 0, v54, s[10:11]
	v_cndmask_b32_e64 v20, 0, v55, s[10:11]
	v_add_co_u32_e64 v56, s[10:11], v21, v14
	v_addc_co_u32_e64 v57, s[10:11], v20, v15, s[10:11]
	v_cndmask_b32_e64 v15, 0, v56, s[12:13]
	v_cndmask_b32_e64 v14, 0, v57, s[12:13]
	v_add_co_u32_e64 v58, s[10:11], v15, v18
	v_addc_co_u32_e64 v59, s[10:11], v14, v19, s[10:11]
	v_cndmask_b32_e64 v15, 0, v58, s[6:7]
	v_cndmask_b32_e64 v14, 0, v59, s[6:7]
	v_add_co_u32_e64 v60, s[6:7], v15, v12
	v_addc_co_u32_e64 v61, s[6:7], v14, v13, s[6:7]
	v_cndmask_b32_e64 v13, 0, v60, s[8:9]
	v_cndmask_b32_e64 v12, 0, v61, s[8:9]
	v_add_co_u32_e64 v62, s[6:7], v13, v10
	v_addc_co_u32_e64 v63, s[6:7], v12, v11, s[6:7]
	v_cndmask_b32_e64 v11, 0, v62, s[2:3]
	v_cndmask_b32_e64 v10, 0, v63, s[2:3]
	v_add_co_u32_e64 v64, s[2:3], v11, v8
	v_addc_co_u32_e64 v65, s[2:3], v10, v9, s[2:3]
	v_cndmask_b32_e64 v9, 0, v64, s[4:5]
	ds_read_b32 v36, v98 offset:592
	v_cndmask_b32_e64 v8, 0, v65, s[4:5]
	v_add_co_u32_e64 v68, s[2:3], v9, v6
	v_addc_co_u32_e64 v69, s[2:3], v8, v7, s[2:3]
	ds_read_b64 v[6:7], v98 offset:600
	v_cndmask_b32_e32 v71, 0, v69, vcc
	v_cndmask_b32_e32 v70, 0, v68, vcc
	s_waitcnt lgkmcnt(1)
	v_cmp_eq_u32_e32 vcc, 0, v36
	v_cndmask_b32_e32 v9, 0, v40, vcc
	v_cndmask_b32_e32 v8, 0, v41, vcc
	s_waitcnt lgkmcnt(0)
	v_add_co_u32_e32 v38, vcc, v9, v6
	v_addc_co_u32_e32 v39, vcc, v8, v7, vcc
	s_and_saveexec_b64 s[2:3], s[0:1]
	s_cbranch_execz .LBB701_153
; %bb.152:
	v_mov_b32_e32 v97, 0
	v_mov_b32_e32 v6, 2
	v_pk_mov_b32 v[66:67], v[40:41], v[40:41] op_sel:[0,1]
	global_store_dword v97, v36, s[38:39] offset:1024
	global_store_dwordx2 v97, v[38:39], s[38:39] offset:1032
	s_waitcnt vmcnt(0)
	buffer_wbinvl1_vol
	global_store_byte v97, v6, s[40:41] offset:64
.LBB701_153:
	s_or_b64 exec, exec, s[2:3]
	v_mov_b32_e32 v40, 0
.LBB701_154:
	s_and_b64 s[2:3], s[34:35], exec
	s_cselect_b32 s3, 0, s51
	s_cselect_b32 s2, 0, s50
	s_cmp_eq_u64 s[2:3], 0
	v_pk_mov_b32 v[18:19], 0, 0
	s_barrier
	s_cbranch_scc1 .LBB701_156
; %bb.155:
	v_mov_b32_e32 v6, 0
	global_load_dwordx2 v[18:19], v6, s[2:3]
.LBB701_156:
	v_mov_b32_e32 v6, s53
	s_waitcnt vmcnt(0)
	v_add_co_u32_e32 v7, vcc, s52, v18
	v_addc_co_u32_e32 v6, vcc, v6, v19, vcc
	v_add_co_u32_e32 v20, vcc, v7, v40
	v_addc_co_u32_e32 v21, vcc, 0, v6, vcc
	v_cmp_eq_u32_e32 vcc, 0, v96
	v_cndmask_b32_e64 v6, 1, 2, vcc
	v_cmp_eq_u32_e32 vcc, 0, v95
	v_cndmask_b32_e64 v7, 1, 2, vcc
	v_cmp_eq_u32_e32 vcc, 0, v94
	v_and_b32_e32 v6, v7, v6
	v_cndmask_b32_e64 v7, 1, 2, vcc
	v_cmp_eq_u32_e32 vcc, 0, v91
	v_add_u32_e32 v35, v97, v96
	v_and_b32_e32 v6, v6, v7
	v_cndmask_b32_e64 v7, 1, 2, vcc
	v_cmp_eq_u32_e32 vcc, 0, v89
	v_add_u32_e32 v34, v35, v95
	;; [unrolled: 4-line block ×12, first 2 shown]
	v_and_b32_e32 v6, v6, v7
	v_cndmask_b32_e64 v7, 1, 2, vcc
	s_movk_i32 s34, 0x100
	v_add_u32_e32 v23, v24, v75
	v_and_b32_e32 v6, v6, v7
	v_cmp_gt_u32_e32 vcc, s34, v36
	v_add_u32_e32 v22, v23, v74
	v_mov_b32_e32 v41, 0
	v_cmp_ne_u32_e64 s[30:31], 0, v96
	v_cmp_ne_u32_e64 s[28:29], 0, v95
	;; [unrolled: 1-line block ×15, first 2 shown]
	s_mov_b64 s[36:37], -1
	v_cmp_gt_i16_e64 s[34:35], 2, v6
	s_cbranch_vccz .LBB701_163
; %bb.157:
	s_and_saveexec_b64 s[36:37], s[34:35]
	s_cbranch_execz .LBB701_162
; %bb.158:
	v_cmp_ne_u16_e32 vcc, 1, v6
	s_mov_b64 s[38:39], 0
	s_and_saveexec_b64 s[34:35], vcc
	s_xor_b64 s[34:35], exec, s[34:35]
	s_cbranch_execnz .LBB701_206
; %bb.159:
	s_andn2_saveexec_b64 s[34:35], s[34:35]
	s_cbranch_execnz .LBB701_222
.LBB701_160:
	s_or_b64 exec, exec, s[34:35]
	s_and_b64 exec, exec, s[38:39]
	s_cbranch_execz .LBB701_162
.LBB701_161:
	v_sub_u32_e32 v7, v22, v40
	v_readfirstlane_b32 s34, v20
	v_readfirstlane_b32 s35, v21
	s_nop 4
	global_store_byte v7, v1, s[34:35]
.LBB701_162:
	s_or_b64 exec, exec, s[36:37]
	s_mov_b64 s[36:37], 0
.LBB701_163:
	s_and_b64 vcc, exec, s[36:37]
	s_cbranch_vccz .LBB701_184
; %bb.164:
	v_cmp_gt_i16_e32 vcc, 2, v6
	s_and_saveexec_b64 s[34:35], vcc
	s_cbranch_execz .LBB701_169
; %bb.165:
	v_cmp_ne_u16_e32 vcc, 1, v6
	s_mov_b64 s[38:39], 0
	s_and_saveexec_b64 s[36:37], vcc
	s_xor_b64 s[36:37], exec, s[36:37]
	s_cbranch_execnz .LBB701_223
; %bb.166:
	s_andn2_saveexec_b64 s[2:3], s[36:37]
	s_cbranch_execnz .LBB701_239
.LBB701_167:
	s_or_b64 exec, exec, s[2:3]
	s_and_b64 exec, exec, s[38:39]
	s_cbranch_execz .LBB701_169
.LBB701_168:
	v_sub_u32_e32 v2, v22, v40
	ds_write_b8 v2, v1
.LBB701_169:
	s_or_b64 exec, exec, s[34:35]
	v_cmp_lt_u32_e32 vcc, v0, v36
	s_waitcnt lgkmcnt(0)
	s_barrier
	s_and_saveexec_b64 s[2:3], vcc
	s_cbranch_execz .LBB701_183
; %bb.170:
	v_xad_u32 v2, v0, -1, v36
	s_movk_i32 s4, 0x1700
	s_movk_i32 s6, 0x16ff
	v_cmp_gt_u32_e64 s[4:5], s4, v2
	v_cmp_lt_u32_e32 vcc, s6, v2
	v_mov_b32_e32 v1, v0
	s_and_saveexec_b64 s[6:7], vcc
	s_cbranch_execz .LBB701_180
; %bb.171:
	v_sub_u32_e32 v1, v0, v36
	v_or_b32_e32 v1, 0xff, v1
	v_cmp_ge_u32_e32 vcc, v1, v0
	s_mov_b64 s[10:11], -1
	v_mov_b32_e32 v1, v0
	s_and_saveexec_b64 s[8:9], vcc
	s_cbranch_execz .LBB701_179
; %bb.172:
	v_lshrrev_b32_e32 v37, 8, v2
	v_or_b32_e32 v7, 0x700, v0
	v_or_b32_e32 v6, 0x600, v0
	;; [unrolled: 1-line block ×7, first 2 shown]
	v_add_u32_e32 v73, -7, v37
	v_pk_mov_b32 v[14:15], v[6:7], v[6:7] op_sel:[0,1]
	v_cmp_lt_u32_e32 vcc, 7, v73
	v_mov_b32_e32 v82, 0
	v_pk_mov_b32 v[12:13], v[4:5], v[4:5] op_sel:[0,1]
	v_pk_mov_b32 v[10:11], v[2:3], v[2:3] op_sel:[0,1]
	;; [unrolled: 1-line block ×3, first 2 shown]
	s_and_saveexec_b64 s[10:11], vcc
	s_cbranch_execz .LBB701_176
; %bb.173:
	v_lshrrev_b32_e32 v8, 3, v73
	v_add_u32_e32 v8, 1, v8
	v_and_b32_e32 v79, 0x3ffffffe, v8
	v_pk_mov_b32 v[14:15], v[6:7], v[6:7] op_sel:[0,1]
	s_mov_b32 s14, 0
	s_mov_b64 s[12:13], 0
	v_mov_b32_e32 v81, v0
	v_pk_mov_b32 v[12:13], v[4:5], v[4:5] op_sel:[0,1]
	v_pk_mov_b32 v[10:11], v[2:3], v[2:3] op_sel:[0,1]
	;; [unrolled: 1-line block ×3, first 2 shown]
.LBB701_174:                            ; =>This Inner Loop Header: Depth=1
	v_add_co_u32_e32 v2, vcc, v20, v8
	v_addc_co_u32_e32 v3, vcc, 0, v21, vcc
	v_add_co_u32_e32 v4, vcc, v20, v9
	v_addc_co_u32_e32 v5, vcc, 0, v21, vcc
	;; [unrolled: 2-line block ×8, first 2 shown]
	v_add_u32_e32 v106, 0x800, v8
	v_add_co_u32_e32 v106, vcc, v20, v106
	v_add_u32_e32 v108, 0x800, v9
	v_addc_co_u32_e32 v107, vcc, 0, v21, vcc
	v_add_co_u32_e32 v108, vcc, v20, v108
	v_add_u32_e32 v110, 0x800, v10
	v_addc_co_u32_e32 v109, vcc, 0, v21, vcc
	;; [unrolled: 3-line block ×6, first 2 shown]
	v_add_co_u32_e32 v118, vcc, v20, v118
	ds_read_u8 v1, v81
	ds_read_u8 v84, v81 offset:256
	ds_read_u8 v86, v81 offset:512
	;; [unrolled: 1-line block ×7, first 2 shown]
	v_add_u32_e32 v82, 0x800, v15
	ds_read_u8 v125, v81 offset:2048
	ds_read_u8 v126, v81 offset:2304
	;; [unrolled: 1-line block ×8, first 2 shown]
	v_addc_co_u32_e32 v119, vcc, 0, v21, vcc
	v_add_co_u32_e32 v120, vcc, v20, v82
	v_add_u32_e32 v79, -2, v79
	v_addc_co_u32_e32 v121, vcc, 0, v21, vcc
	s_add_i32 s14, s14, 16
	v_cmp_eq_u32_e32 vcc, 0, v79
	v_add_u32_e32 v15, 0x1000, v15
	v_add_u32_e32 v14, 0x1000, v14
	;; [unrolled: 1-line block ×9, first 2 shown]
	v_mov_b32_e32 v82, s14
	s_or_b64 s[12:13], vcc, s[12:13]
	s_waitcnt lgkmcnt(14)
	global_store_byte v[2:3], v1, off
	global_store_byte v[4:5], v84, off
	s_waitcnt lgkmcnt(13)
	global_store_byte v[6:7], v86, off
	s_waitcnt lgkmcnt(12)
	;; [unrolled: 2-line block ×14, first 2 shown]
	global_store_byte v[120:121], v132, off
	s_andn2_b64 exec, exec, s[12:13]
	s_cbranch_execnz .LBB701_174
; %bb.175:
	s_or_b64 exec, exec, s[12:13]
.LBB701_176:
	s_or_b64 exec, exec, s[10:11]
	v_and_b32_e32 v1, 8, v73
	v_cmp_eq_u32_e32 vcc, 0, v1
	s_and_saveexec_b64 s[10:11], vcc
	s_cbranch_execz .LBB701_178
; %bb.177:
	v_add_co_u32_e32 v2, vcc, v20, v8
	v_addc_co_u32_e32 v3, vcc, 0, v21, vcc
	v_add_co_u32_e32 v4, vcc, v20, v9
	v_addc_co_u32_e32 v5, vcc, 0, v21, vcc
	;; [unrolled: 2-line block ×4, first 2 shown]
	v_add_co_u32_e32 v10, vcc, v20, v12
	v_lshl_or_b32 v1, v82, 8, v0
	v_addc_co_u32_e32 v11, vcc, 0, v21, vcc
	v_add_co_u32_e32 v12, vcc, v20, v13
	ds_read_u8 v73, v1
	ds_read_u8 v79, v1 offset:256
	ds_read_u8 v81, v1 offset:512
	;; [unrolled: 1-line block ×7, first 2 shown]
	v_addc_co_u32_e32 v13, vcc, 0, v21, vcc
	v_add_co_u32_e32 v92, vcc, v20, v14
	v_addc_co_u32_e32 v93, vcc, 0, v21, vcc
	v_add_co_u32_e32 v14, vcc, v20, v15
	v_addc_co_u32_e32 v15, vcc, 0, v21, vcc
	s_waitcnt lgkmcnt(7)
	global_store_byte v[2:3], v73, off
	s_waitcnt lgkmcnt(6)
	global_store_byte v[4:5], v79, off
	s_waitcnt lgkmcnt(5)
	global_store_byte v[6:7], v81, off
	s_waitcnt lgkmcnt(4)
	global_store_byte v[8:9], v82, off
	s_waitcnt lgkmcnt(3)
	global_store_byte v[10:11], v84, off
	s_waitcnt lgkmcnt(2)
	global_store_byte v[12:13], v86, off
	s_waitcnt lgkmcnt(1)
	global_store_byte v[92:93], v88, off
	s_waitcnt lgkmcnt(0)
	global_store_byte v[14:15], v1, off
.LBB701_178:
	s_or_b64 exec, exec, s[10:11]
	v_add_u32_e32 v2, 1, v37
	v_and_b32_e32 v3, 0x1fffff8, v2
	v_cmp_ne_u32_e32 vcc, v2, v3
	v_lshl_or_b32 v1, v3, 8, v0
	s_orn2_b64 s[10:11], vcc, exec
.LBB701_179:
	s_or_b64 exec, exec, s[8:9]
	s_andn2_b64 s[4:5], s[4:5], exec
	s_and_b64 s[8:9], s[10:11], exec
	s_or_b64 s[4:5], s[4:5], s[8:9]
.LBB701_180:
	s_or_b64 exec, exec, s[6:7]
	s_and_b64 exec, exec, s[4:5]
	s_cbranch_execz .LBB701_183
; %bb.181:
	s_mov_b64 s[4:5], 0
.LBB701_182:                            ; =>This Inner Loop Header: Depth=1
	ds_read_u8 v2, v1
	v_readfirstlane_b32 s6, v20
	v_readfirstlane_b32 s7, v21
	s_waitcnt lgkmcnt(0)
	s_nop 3
	global_store_byte v1, v2, s[6:7]
	v_add_u32_e32 v1, 0x100, v1
	v_cmp_ge_u32_e32 vcc, v1, v36
	s_or_b64 s[4:5], vcc, s[4:5]
	s_andn2_b64 exec, exec, s[4:5]
	s_cbranch_execnz .LBB701_182
.LBB701_183:
	s_or_b64 exec, exec, s[2:3]
.LBB701_184:
	s_cmpk_lg_i32 s33, 0xf00
	s_cselect_b64 s[2:3], -1, 0
	v_cndmask_b32_e64 v8, 0, 1, s[46:47]
	s_and_b64 s[2:3], s[2:3], s[44:45]
	v_sub_u32_e32 v1, v36, v8
	v_cndmask_b32_e64 v4, 0, 1, s[2:3]
	s_and_b64 s[0:1], s[0:1], s[46:47]
	v_add_co_u32_e32 v2, vcc, v70, v16
	v_add_u32_e32 v1, v1, v4
	v_cndmask_b32_e64 v4, v96, 0, s[0:1]
	s_mul_hi_u32 s0, s33, 0x88888889
	v_addc_co_u32_e32 v3, vcc, v71, v17, vcc
	s_lshr_b32 s0, s0, 3
	v_mad_i32_i24 v5, v0, -15, s33
	v_cmp_eq_u32_e32 vcc, s0, v0
	v_cmp_ne_u32_e64 s[0:1], 0, v5
	v_cndmask_b32_e64 v6, 1, v4, s[0:1]
	v_cmp_ne_u32_e64 s[0:1], 1, v5
	v_cndmask_b32_e64 v7, 1, v95, s[0:1]
	;; [unrolled: 2-line block ×15, first 2 shown]
	s_and_b64 vcc, vcc, s[44:45]
	v_cndmask_b32_e32 v70, v72, v5, vcc
	v_cndmask_b32_e32 v72, v4, v6, vcc
	v_lshlrev_b64 v[4:5], 3, v[18:19]
	v_cndmask_b32_e32 v37, v74, v37, vcc
	v_cndmask_b32_e32 v21, v75, v21, vcc
	;; [unrolled: 1-line block ×13, first 2 shown]
	v_mov_b32_e32 v6, s55
	v_add_co_u32_e32 v7, vcc, s54, v4
	v_addc_co_u32_e32 v6, vcc, v6, v5, vcc
	v_lshlrev_b64 v[4:5], 3, v[40:41]
	v_add_co_u32_e32 v4, vcc, v7, v4
	v_addc_co_u32_e32 v5, vcc, v6, v5, vcc
	v_lshlrev_b32_e32 v6, 3, v8
	v_add_co_u32_e32 v6, vcc, v6, v4
	v_addc_co_u32_e32 v7, vcc, 0, v5, vcc
	v_add_co_u32_e32 v6, vcc, -8, v6
	v_addc_co_u32_e32 v7, vcc, -1, v7, vcc
	v_cmp_eq_u32_e32 vcc, 0, v72
	v_cndmask_b32_e64 v41, 1, 2, vcc
	v_cmp_eq_u32_e32 vcc, 0, v71
	v_cmp_ne_u32_e64 s[26:27], 0, v71
	v_cndmask_b32_e64 v71, 1, 2, vcc
	v_cmp_eq_u32_e32 vcc, 0, v9
	v_and_b32_e32 v41, v71, v41
	v_cmp_ne_u32_e64 s[24:25], 0, v9
	v_cndmask_b32_e64 v9, 1, 2, vcc
	v_cmp_eq_u32_e32 vcc, 0, v10
	v_and_b32_e32 v9, v41, v9
	;; [unrolled: 4-line block ×3, first 2 shown]
	v_cndmask_b32_e64 v10, 1, 2, vcc
	v_cmp_eq_u32_e32 vcc, 0, v12
	v_and_b32_e32 v9, v9, v10
	v_cndmask_b32_e64 v10, 1, 2, vcc
	v_cmp_eq_u32_e32 vcc, 0, v13
	v_and_b32_e32 v9, v9, v10
	;; [unrolled: 3-line block ×10, first 2 shown]
	v_cndmask_b32_e64 v10, 1, 2, vcc
	s_movk_i32 s30, 0x100
	v_and_b32_e32 v9, v9, v10
	v_cmp_gt_u32_e32 vcc, s30, v1
	v_add_u32_e32 v8, v40, v8
	v_cmp_ne_u32_e64 s[28:29], 0, v72
	v_cmp_ne_u32_e64 s[20:21], 0, v11
	;; [unrolled: 1-line block ×12, first 2 shown]
	s_mov_b64 s[34:35], -1
	v_cmp_gt_i16_e64 s[30:31], 2, v9
	s_barrier
	s_cbranch_vccz .LBB701_191
; %bb.185:
	s_and_saveexec_b64 s[34:35], s[30:31]
	s_cbranch_execz .LBB701_190
; %bb.186:
	v_cmp_ne_u16_e32 vcc, 1, v9
	s_mov_b64 s[36:37], 0
	s_and_saveexec_b64 s[30:31], vcc
	s_xor_b64 s[30:31], exec, s[30:31]
	s_cbranch_execnz .LBB701_240
; %bb.187:
	s_andn2_saveexec_b64 s[30:31], s[30:31]
	s_cbranch_execnz .LBB701_256
.LBB701_188:
	s_or_b64 exec, exec, s[30:31]
	s_and_b64 exec, exec, s[36:37]
	s_cbranch_execz .LBB701_190
.LBB701_189:
	v_sub_u32_e32 v10, v22, v8
	v_mov_b32_e32 v11, 0
	v_lshlrev_b64 v[10:11], 3, v[10:11]
	v_add_co_u32_e32 v10, vcc, v6, v10
	v_addc_co_u32_e32 v11, vcc, v7, v11, vcc
	global_store_dwordx2 v[10:11], v[2:3], off
.LBB701_190:
	s_or_b64 exec, exec, s[34:35]
	s_mov_b64 s[34:35], 0
.LBB701_191:
	s_and_b64 vcc, exec, s[34:35]
	s_cbranch_vccz .LBB701_201
; %bb.192:
	v_cmp_gt_i16_e32 vcc, 2, v9
	s_and_saveexec_b64 s[30:31], vcc
	s_cbranch_execz .LBB701_197
; %bb.193:
	v_cmp_ne_u16_e32 vcc, 1, v9
	s_mov_b64 s[36:37], 0
	s_and_saveexec_b64 s[34:35], vcc
	s_xor_b64 s[34:35], exec, s[34:35]
	s_cbranch_execnz .LBB701_257
; %bb.194:
	s_andn2_saveexec_b64 s[0:1], s[34:35]
	s_cbranch_execnz .LBB701_273
.LBB701_195:
	s_or_b64 exec, exec, s[0:1]
	s_and_b64 exec, exec, s[36:37]
	s_cbranch_execz .LBB701_197
.LBB701_196:
	v_sub_u32_e32 v8, v22, v8
	v_lshlrev_b32_e32 v8, 3, v8
	ds_write_b64 v8, v[2:3]
.LBB701_197:
	s_or_b64 exec, exec, s[30:31]
	v_cmp_lt_u32_e32 vcc, v0, v1
	s_waitcnt lgkmcnt(0)
	s_barrier
	s_and_saveexec_b64 s[0:1], vcc
	s_cbranch_execz .LBB701_200
; %bb.198:
	v_lshlrev_b32_e32 v8, 3, v0
	s_mov_b64 s[2:3], 0
	v_mov_b32_e32 v3, 0
	v_mov_b32_e32 v2, v0
.LBB701_199:                            ; =>This Inner Loop Header: Depth=1
	v_lshlrev_b64 v[10:11], 3, v[2:3]
	ds_read_b64 v[12:13], v8
	v_add_co_u32_e32 v10, vcc, v6, v10
	v_add_u32_e32 v2, 0x100, v2
	v_addc_co_u32_e32 v11, vcc, v7, v11, vcc
	v_cmp_ge_u32_e32 vcc, v2, v1
	v_add_u32_e32 v8, 0x800, v8
	s_or_b64 s[2:3], vcc, s[2:3]
	s_waitcnt lgkmcnt(0)
	global_store_dwordx2 v[10:11], v[12:13], off
	s_andn2_b64 exec, exec, s[2:3]
	s_cbranch_execnz .LBB701_199
.LBB701_200:
	s_or_b64 exec, exec, s[0:1]
.LBB701_201:
	s_movk_i32 s0, 0xff
	v_cmp_eq_u32_e32 vcc, s0, v0
	s_and_b64 s[0:1], vcc, s[44:45]
	s_and_saveexec_b64 s[2:3], s[0:1]
	s_cbranch_execz .LBB701_204
; %bb.202:
	v_add_co_u32_e32 v0, vcc, v36, v40
	v_addc_co_u32_e64 v1, s[0:1], 0, 0, vcc
	v_add_co_u32_e32 v0, vcc, v0, v18
	v_mov_b32_e32 v37, 0
	v_addc_co_u32_e32 v1, vcc, v1, v19, vcc
	s_cmpk_lg_i32 s33, 0xf00
	global_store_dwordx2 v37, v[0:1], s[56:57]
	s_cbranch_scc1 .LBB701_204
; %bb.203:
	v_lshlrev_b64 v[0:1], 3, v[36:37]
	v_add_co_u32_e32 v0, vcc, v4, v0
	v_addc_co_u32_e32 v1, vcc, v5, v1, vcc
	global_store_dwordx2 v[0:1], v[38:39], off offset:-8
.LBB701_204:
	s_endpgm
.LBB701_205:
	s_or_b64 exec, exec, s[10:11]
	v_mov_b32_e32 v96, s14
	s_and_saveexec_b64 s[2:3], s[6:7]
	s_cbranch_execnz .LBB701_58
	s_branch .LBB701_59
.LBB701_206:
	s_and_saveexec_b64 s[38:39], s[30:31]
	s_cbranch_execnz .LBB701_274
; %bb.207:
	s_or_b64 exec, exec, s[38:39]
	s_and_saveexec_b64 s[38:39], s[28:29]
	s_cbranch_execnz .LBB701_275
.LBB701_208:
	s_or_b64 exec, exec, s[38:39]
	s_and_saveexec_b64 s[38:39], s[26:27]
	s_cbranch_execnz .LBB701_276
.LBB701_209:
	s_or_b64 exec, exec, s[38:39]
	s_and_saveexec_b64 s[38:39], s[24:25]
	s_cbranch_execnz .LBB701_277
.LBB701_210:
	s_or_b64 exec, exec, s[38:39]
	s_and_saveexec_b64 s[38:39], s[22:23]
	s_cbranch_execnz .LBB701_278
.LBB701_211:
	s_or_b64 exec, exec, s[38:39]
	s_and_saveexec_b64 s[38:39], s[20:21]
	s_cbranch_execnz .LBB701_279
.LBB701_212:
	s_or_b64 exec, exec, s[38:39]
	s_and_saveexec_b64 s[38:39], s[18:19]
	s_cbranch_execnz .LBB701_280
.LBB701_213:
	s_or_b64 exec, exec, s[38:39]
	s_and_saveexec_b64 s[38:39], s[16:17]
	s_cbranch_execnz .LBB701_281
.LBB701_214:
	s_or_b64 exec, exec, s[38:39]
	s_and_saveexec_b64 s[38:39], s[14:15]
	s_cbranch_execnz .LBB701_282
.LBB701_215:
	s_or_b64 exec, exec, s[38:39]
	s_and_saveexec_b64 s[38:39], s[12:13]
	s_cbranch_execnz .LBB701_283
.LBB701_216:
	s_or_b64 exec, exec, s[38:39]
	s_and_saveexec_b64 s[38:39], s[10:11]
	s_cbranch_execnz .LBB701_284
.LBB701_217:
	s_or_b64 exec, exec, s[38:39]
	s_and_saveexec_b64 s[38:39], s[8:9]
	s_cbranch_execnz .LBB701_285
.LBB701_218:
	s_or_b64 exec, exec, s[38:39]
	s_and_saveexec_b64 s[38:39], s[6:7]
	s_cbranch_execnz .LBB701_286
.LBB701_219:
	s_or_b64 exec, exec, s[38:39]
	s_and_saveexec_b64 s[38:39], s[4:5]
	s_cbranch_execz .LBB701_221
.LBB701_220:
	v_sub_u32_e32 v7, v23, v40
	v_readfirstlane_b32 s40, v20
	v_readfirstlane_b32 s41, v21
	s_nop 4
	global_store_byte v7, v5, s[40:41]
.LBB701_221:
	s_or_b64 exec, exec, s[38:39]
	s_and_b64 s[38:39], s[2:3], exec
	s_andn2_saveexec_b64 s[34:35], s[34:35]
	s_cbranch_execz .LBB701_160
.LBB701_222:
	v_sub_u32_e32 v7, v97, v40
	v_readfirstlane_b32 s40, v20
	v_readfirstlane_b32 s41, v21
	s_or_b64 s[38:39], s[38:39], exec
	s_nop 3
	global_store_byte v7, v2, s[40:41]
	v_sub_u32_e32 v7, v35, v40
	global_store_byte v7, v93, s[40:41]
	v_sub_u32_e32 v7, v34, v40
	;; [unrolled: 2-line block ×13, first 2 shown]
	global_store_byte v7, v5, s[40:41]
	s_or_b64 exec, exec, s[34:35]
	s_and_b64 exec, exec, s[38:39]
	s_cbranch_execnz .LBB701_161
	s_branch .LBB701_162
.LBB701_223:
	s_and_saveexec_b64 s[38:39], s[30:31]
	s_cbranch_execnz .LBB701_287
; %bb.224:
	s_or_b64 exec, exec, s[38:39]
	s_and_saveexec_b64 s[30:31], s[28:29]
	s_cbranch_execnz .LBB701_288
.LBB701_225:
	s_or_b64 exec, exec, s[30:31]
	s_and_saveexec_b64 s[28:29], s[26:27]
	s_cbranch_execnz .LBB701_289
.LBB701_226:
	s_or_b64 exec, exec, s[28:29]
	s_and_saveexec_b64 s[26:27], s[24:25]
	s_cbranch_execnz .LBB701_290
.LBB701_227:
	s_or_b64 exec, exec, s[26:27]
	s_and_saveexec_b64 s[24:25], s[22:23]
	s_cbranch_execnz .LBB701_291
.LBB701_228:
	s_or_b64 exec, exec, s[24:25]
	s_and_saveexec_b64 s[22:23], s[20:21]
	s_cbranch_execnz .LBB701_292
.LBB701_229:
	s_or_b64 exec, exec, s[22:23]
	s_and_saveexec_b64 s[20:21], s[18:19]
	s_cbranch_execnz .LBB701_293
.LBB701_230:
	s_or_b64 exec, exec, s[20:21]
	s_and_saveexec_b64 s[18:19], s[16:17]
	s_cbranch_execnz .LBB701_294
.LBB701_231:
	s_or_b64 exec, exec, s[18:19]
	s_and_saveexec_b64 s[16:17], s[14:15]
	s_cbranch_execnz .LBB701_295
.LBB701_232:
	s_or_b64 exec, exec, s[16:17]
	s_and_saveexec_b64 s[14:15], s[12:13]
	s_cbranch_execnz .LBB701_296
.LBB701_233:
	s_or_b64 exec, exec, s[14:15]
	s_and_saveexec_b64 s[12:13], s[10:11]
	s_cbranch_execnz .LBB701_297
.LBB701_234:
	s_or_b64 exec, exec, s[12:13]
	s_and_saveexec_b64 s[10:11], s[8:9]
	s_cbranch_execnz .LBB701_298
.LBB701_235:
	s_or_b64 exec, exec, s[10:11]
	s_and_saveexec_b64 s[8:9], s[6:7]
	s_cbranch_execnz .LBB701_299
.LBB701_236:
	s_or_b64 exec, exec, s[8:9]
	s_and_saveexec_b64 s[6:7], s[4:5]
	s_cbranch_execz .LBB701_238
.LBB701_237:
	v_sub_u32_e32 v2, v23, v40
	ds_write_b8 v2, v5
.LBB701_238:
	s_or_b64 exec, exec, s[6:7]
	s_and_b64 s[38:39], s[2:3], exec
                                        ; implicit-def: $vgpr2
                                        ; implicit-def: $vgpr93
                                        ; implicit-def: $vgpr92
                                        ; implicit-def: $vgpr90
                                        ; implicit-def: $vgpr88
                                        ; implicit-def: $vgpr86
                                        ; implicit-def: $vgpr84
                                        ; implicit-def: $vgpr82
                                        ; implicit-def: $vgpr81
                                        ; implicit-def: $vgpr79
                                        ; implicit-def: $vgpr73
                                        ; implicit-def: $vgpr5
	s_andn2_saveexec_b64 s[2:3], s[36:37]
	s_cbranch_execz .LBB701_167
.LBB701_239:
	v_sub_u32_e32 v6, v97, v40
	ds_write_b8 v6, v2
	v_sub_u32_e32 v2, v35, v40
	ds_write_b8 v2, v93
	;; [unrolled: 2-line block ×13, first 2 shown]
	v_sub_u32_e32 v2, v23, v40
	s_or_b64 s[38:39], s[38:39], exec
	ds_write_b8 v2, v5
	s_or_b64 exec, exec, s[2:3]
	s_and_b64 exec, exec, s[38:39]
	s_cbranch_execnz .LBB701_168
	s_branch .LBB701_169
.LBB701_240:
	s_and_saveexec_b64 s[36:37], s[28:29]
	s_cbranch_execnz .LBB701_300
; %bb.241:
	s_or_b64 exec, exec, s[36:37]
	s_and_saveexec_b64 s[36:37], s[26:27]
	s_cbranch_execnz .LBB701_301
.LBB701_242:
	s_or_b64 exec, exec, s[36:37]
	s_and_saveexec_b64 s[36:37], s[24:25]
	s_cbranch_execnz .LBB701_302
.LBB701_243:
	s_or_b64 exec, exec, s[36:37]
	s_and_saveexec_b64 s[36:37], s[22:23]
	s_cbranch_execnz .LBB701_303
.LBB701_244:
	s_or_b64 exec, exec, s[36:37]
	s_and_saveexec_b64 s[36:37], s[20:21]
	s_cbranch_execnz .LBB701_304
.LBB701_245:
	s_or_b64 exec, exec, s[36:37]
	s_and_saveexec_b64 s[36:37], s[18:19]
	s_cbranch_execnz .LBB701_305
.LBB701_246:
	s_or_b64 exec, exec, s[36:37]
	s_and_saveexec_b64 s[36:37], s[16:17]
	s_cbranch_execnz .LBB701_306
.LBB701_247:
	s_or_b64 exec, exec, s[36:37]
	s_and_saveexec_b64 s[36:37], s[14:15]
	s_cbranch_execnz .LBB701_307
.LBB701_248:
	s_or_b64 exec, exec, s[36:37]
	s_and_saveexec_b64 s[36:37], s[12:13]
	s_cbranch_execnz .LBB701_308
.LBB701_249:
	s_or_b64 exec, exec, s[36:37]
	s_and_saveexec_b64 s[36:37], s[10:11]
	s_cbranch_execnz .LBB701_309
.LBB701_250:
	s_or_b64 exec, exec, s[36:37]
	s_and_saveexec_b64 s[36:37], s[8:9]
	s_cbranch_execnz .LBB701_310
.LBB701_251:
	s_or_b64 exec, exec, s[36:37]
	s_and_saveexec_b64 s[36:37], s[6:7]
	s_cbranch_execnz .LBB701_311
.LBB701_252:
	s_or_b64 exec, exec, s[36:37]
	s_and_saveexec_b64 s[36:37], s[4:5]
	s_cbranch_execnz .LBB701_312
.LBB701_253:
	s_or_b64 exec, exec, s[36:37]
	s_and_saveexec_b64 s[36:37], s[2:3]
	s_cbranch_execz .LBB701_255
.LBB701_254:
	v_sub_u32_e32 v10, v23, v8
	v_mov_b32_e32 v11, 0
	v_lshlrev_b64 v[10:11], 3, v[10:11]
	v_add_co_u32_e32 v10, vcc, v6, v10
	v_addc_co_u32_e32 v11, vcc, v7, v11, vcc
	global_store_dwordx2 v[10:11], v[68:69], off
.LBB701_255:
	s_or_b64 exec, exec, s[36:37]
	s_and_b64 s[36:37], s[0:1], exec
	s_andn2_saveexec_b64 s[30:31], s[30:31]
	s_cbranch_execz .LBB701_188
.LBB701_256:
	v_sub_u32_e32 v10, v97, v8
	v_mov_b32_e32 v11, 0
	v_lshlrev_b64 v[12:13], 3, v[10:11]
	v_add_co_u32_e32 v12, vcc, v6, v12
	v_addc_co_u32_e32 v13, vcc, v7, v13, vcc
	v_sub_u32_e32 v10, v35, v8
	global_store_dwordx2 v[12:13], v[66:67], off
	v_lshlrev_b64 v[12:13], 3, v[10:11]
	v_add_co_u32_e32 v12, vcc, v6, v12
	v_addc_co_u32_e32 v13, vcc, v7, v13, vcc
	v_sub_u32_e32 v10, v34, v8
	global_store_dwordx2 v[12:13], v[42:43], off
	v_lshlrev_b64 v[12:13], 3, v[10:11]
	v_add_co_u32_e32 v12, vcc, v6, v12
	v_addc_co_u32_e32 v13, vcc, v7, v13, vcc
	v_sub_u32_e32 v10, v33, v8
	global_store_dwordx2 v[12:13], v[44:45], off
	v_lshlrev_b64 v[12:13], 3, v[10:11]
	v_add_co_u32_e32 v12, vcc, v6, v12
	v_addc_co_u32_e32 v13, vcc, v7, v13, vcc
	v_sub_u32_e32 v10, v32, v8
	global_store_dwordx2 v[12:13], v[46:47], off
	v_lshlrev_b64 v[12:13], 3, v[10:11]
	v_add_co_u32_e32 v12, vcc, v6, v12
	v_addc_co_u32_e32 v13, vcc, v7, v13, vcc
	v_sub_u32_e32 v10, v31, v8
	global_store_dwordx2 v[12:13], v[48:49], off
	v_lshlrev_b64 v[12:13], 3, v[10:11]
	v_add_co_u32_e32 v12, vcc, v6, v12
	v_addc_co_u32_e32 v13, vcc, v7, v13, vcc
	v_sub_u32_e32 v10, v30, v8
	global_store_dwordx2 v[12:13], v[50:51], off
	v_lshlrev_b64 v[12:13], 3, v[10:11]
	v_add_co_u32_e32 v12, vcc, v6, v12
	v_addc_co_u32_e32 v13, vcc, v7, v13, vcc
	v_sub_u32_e32 v10, v29, v8
	global_store_dwordx2 v[12:13], v[52:53], off
	v_lshlrev_b64 v[12:13], 3, v[10:11]
	v_add_co_u32_e32 v12, vcc, v6, v12
	v_addc_co_u32_e32 v13, vcc, v7, v13, vcc
	v_sub_u32_e32 v10, v28, v8
	global_store_dwordx2 v[12:13], v[54:55], off
	v_lshlrev_b64 v[12:13], 3, v[10:11]
	v_add_co_u32_e32 v12, vcc, v6, v12
	v_addc_co_u32_e32 v13, vcc, v7, v13, vcc
	v_sub_u32_e32 v10, v27, v8
	global_store_dwordx2 v[12:13], v[56:57], off
	v_lshlrev_b64 v[12:13], 3, v[10:11]
	v_add_co_u32_e32 v12, vcc, v6, v12
	v_addc_co_u32_e32 v13, vcc, v7, v13, vcc
	v_sub_u32_e32 v10, v26, v8
	global_store_dwordx2 v[12:13], v[58:59], off
	v_lshlrev_b64 v[12:13], 3, v[10:11]
	v_add_co_u32_e32 v12, vcc, v6, v12
	v_addc_co_u32_e32 v13, vcc, v7, v13, vcc
	v_sub_u32_e32 v10, v25, v8
	global_store_dwordx2 v[12:13], v[60:61], off
	v_lshlrev_b64 v[12:13], 3, v[10:11]
	v_add_co_u32_e32 v12, vcc, v6, v12
	v_addc_co_u32_e32 v13, vcc, v7, v13, vcc
	v_sub_u32_e32 v10, v24, v8
	global_store_dwordx2 v[12:13], v[62:63], off
	v_lshlrev_b64 v[12:13], 3, v[10:11]
	v_add_co_u32_e32 v12, vcc, v6, v12
	v_sub_u32_e32 v10, v23, v8
	v_addc_co_u32_e32 v13, vcc, v7, v13, vcc
	v_lshlrev_b64 v[10:11], 3, v[10:11]
	v_add_co_u32_e32 v10, vcc, v6, v10
	v_addc_co_u32_e32 v11, vcc, v7, v11, vcc
	s_or_b64 s[36:37], s[36:37], exec
	global_store_dwordx2 v[12:13], v[64:65], off
	global_store_dwordx2 v[10:11], v[68:69], off
	s_or_b64 exec, exec, s[30:31]
	s_and_b64 exec, exec, s[36:37]
	s_cbranch_execnz .LBB701_189
	s_branch .LBB701_190
.LBB701_257:
	s_and_saveexec_b64 s[36:37], s[28:29]
	s_cbranch_execnz .LBB701_313
; %bb.258:
	s_or_b64 exec, exec, s[36:37]
	s_and_saveexec_b64 s[28:29], s[26:27]
	s_cbranch_execnz .LBB701_314
.LBB701_259:
	s_or_b64 exec, exec, s[28:29]
	s_and_saveexec_b64 s[26:27], s[24:25]
	s_cbranch_execnz .LBB701_315
.LBB701_260:
	s_or_b64 exec, exec, s[26:27]
	s_and_saveexec_b64 s[24:25], s[22:23]
	s_cbranch_execnz .LBB701_316
.LBB701_261:
	s_or_b64 exec, exec, s[24:25]
	s_and_saveexec_b64 s[22:23], s[20:21]
	s_cbranch_execnz .LBB701_317
.LBB701_262:
	s_or_b64 exec, exec, s[22:23]
	s_and_saveexec_b64 s[20:21], s[18:19]
	s_cbranch_execnz .LBB701_318
.LBB701_263:
	s_or_b64 exec, exec, s[20:21]
	s_and_saveexec_b64 s[18:19], s[16:17]
	s_cbranch_execnz .LBB701_319
.LBB701_264:
	s_or_b64 exec, exec, s[18:19]
	s_and_saveexec_b64 s[16:17], s[14:15]
	s_cbranch_execnz .LBB701_320
.LBB701_265:
	s_or_b64 exec, exec, s[16:17]
	s_and_saveexec_b64 s[14:15], s[12:13]
	s_cbranch_execnz .LBB701_321
.LBB701_266:
	s_or_b64 exec, exec, s[14:15]
	s_and_saveexec_b64 s[12:13], s[10:11]
	s_cbranch_execnz .LBB701_322
.LBB701_267:
	s_or_b64 exec, exec, s[12:13]
	s_and_saveexec_b64 s[10:11], s[8:9]
	s_cbranch_execnz .LBB701_323
.LBB701_268:
	s_or_b64 exec, exec, s[10:11]
	s_and_saveexec_b64 s[8:9], s[6:7]
	s_cbranch_execnz .LBB701_324
.LBB701_269:
	s_or_b64 exec, exec, s[8:9]
	s_and_saveexec_b64 s[6:7], s[4:5]
	s_cbranch_execnz .LBB701_325
.LBB701_270:
	s_or_b64 exec, exec, s[6:7]
	s_and_saveexec_b64 s[4:5], s[2:3]
	s_cbranch_execz .LBB701_272
.LBB701_271:
	v_sub_u32_e32 v9, v23, v8
	v_lshlrev_b32_e32 v9, 3, v9
	ds_write_b64 v9, v[68:69]
.LBB701_272:
	s_or_b64 exec, exec, s[4:5]
	s_and_b64 s[36:37], s[0:1], exec
                                        ; implicit-def: $vgpr66_vgpr67
                                        ; implicit-def: $vgpr42_vgpr43
                                        ; implicit-def: $vgpr44_vgpr45
                                        ; implicit-def: $vgpr46_vgpr47
                                        ; implicit-def: $vgpr48_vgpr49
                                        ; implicit-def: $vgpr50_vgpr51
                                        ; implicit-def: $vgpr52_vgpr53
                                        ; implicit-def: $vgpr54_vgpr55
                                        ; implicit-def: $vgpr56_vgpr57
                                        ; implicit-def: $vgpr58_vgpr59
                                        ; implicit-def: $vgpr60_vgpr61
                                        ; implicit-def: $vgpr62_vgpr63
                                        ; implicit-def: $vgpr64_vgpr65
                                        ; implicit-def: $vgpr68_vgpr69
                                        ; implicit-def: $vgpr97
                                        ; implicit-def: $vgpr35
                                        ; implicit-def: $vgpr34
                                        ; implicit-def: $vgpr33
                                        ; implicit-def: $vgpr32
                                        ; implicit-def: $vgpr31
                                        ; implicit-def: $vgpr30
                                        ; implicit-def: $vgpr29
                                        ; implicit-def: $vgpr28
                                        ; implicit-def: $vgpr27
                                        ; implicit-def: $vgpr26
                                        ; implicit-def: $vgpr25
                                        ; implicit-def: $vgpr24
                                        ; implicit-def: $vgpr23
	s_andn2_saveexec_b64 s[0:1], s[34:35]
	s_cbranch_execz .LBB701_195
.LBB701_273:
	v_sub_u32_e32 v9, v97, v8
	v_lshlrev_b32_e32 v9, 3, v9
	ds_write_b64 v9, v[66:67]
	v_sub_u32_e32 v9, v35, v8
	v_lshlrev_b32_e32 v9, 3, v9
	ds_write_b64 v9, v[42:43]
	;; [unrolled: 3-line block ×13, first 2 shown]
	v_sub_u32_e32 v9, v23, v8
	v_lshlrev_b32_e32 v9, 3, v9
	s_or_b64 s[36:37], s[36:37], exec
	ds_write_b64 v9, v[68:69]
	s_or_b64 exec, exec, s[0:1]
	s_and_b64 exec, exec, s[36:37]
	s_cbranch_execnz .LBB701_196
	s_branch .LBB701_197
.LBB701_274:
	v_sub_u32_e32 v7, v97, v40
	v_readfirstlane_b32 s40, v20
	v_readfirstlane_b32 s41, v21
	s_nop 4
	global_store_byte v7, v2, s[40:41]
	s_or_b64 exec, exec, s[38:39]
	s_and_saveexec_b64 s[38:39], s[28:29]
	s_cbranch_execz .LBB701_208
.LBB701_275:
	v_sub_u32_e32 v7, v35, v40
	v_readfirstlane_b32 s40, v20
	v_readfirstlane_b32 s41, v21
	s_nop 4
	global_store_byte v7, v93, s[40:41]
	s_or_b64 exec, exec, s[38:39]
	s_and_saveexec_b64 s[38:39], s[26:27]
	s_cbranch_execz .LBB701_209
.LBB701_276:
	v_sub_u32_e32 v7, v34, v40
	v_readfirstlane_b32 s40, v20
	v_readfirstlane_b32 s41, v21
	s_nop 4
	global_store_byte v7, v92, s[40:41]
	s_or_b64 exec, exec, s[38:39]
	s_and_saveexec_b64 s[38:39], s[24:25]
	s_cbranch_execz .LBB701_210
.LBB701_277:
	v_sub_u32_e32 v7, v33, v40
	v_readfirstlane_b32 s40, v20
	v_readfirstlane_b32 s41, v21
	s_nop 4
	global_store_byte v7, v90, s[40:41]
	s_or_b64 exec, exec, s[38:39]
	s_and_saveexec_b64 s[38:39], s[22:23]
	s_cbranch_execz .LBB701_211
.LBB701_278:
	v_sub_u32_e32 v7, v32, v40
	v_readfirstlane_b32 s40, v20
	v_readfirstlane_b32 s41, v21
	s_nop 4
	global_store_byte v7, v3, s[40:41]
	s_or_b64 exec, exec, s[38:39]
	s_and_saveexec_b64 s[38:39], s[20:21]
	s_cbranch_execz .LBB701_212
.LBB701_279:
	v_sub_u32_e32 v7, v31, v40
	v_readfirstlane_b32 s40, v20
	v_readfirstlane_b32 s41, v21
	s_nop 4
	global_store_byte v7, v88, s[40:41]
	s_or_b64 exec, exec, s[38:39]
	s_and_saveexec_b64 s[38:39], s[18:19]
	s_cbranch_execz .LBB701_213
.LBB701_280:
	v_sub_u32_e32 v7, v30, v40
	v_readfirstlane_b32 s40, v20
	v_readfirstlane_b32 s41, v21
	s_nop 4
	global_store_byte v7, v86, s[40:41]
	s_or_b64 exec, exec, s[38:39]
	s_and_saveexec_b64 s[38:39], s[16:17]
	s_cbranch_execz .LBB701_214
.LBB701_281:
	v_sub_u32_e32 v7, v29, v40
	v_readfirstlane_b32 s40, v20
	v_readfirstlane_b32 s41, v21
	s_nop 4
	global_store_byte v7, v84, s[40:41]
	s_or_b64 exec, exec, s[38:39]
	s_and_saveexec_b64 s[38:39], s[14:15]
	s_cbranch_execz .LBB701_215
.LBB701_282:
	v_sub_u32_e32 v7, v28, v40
	v_readfirstlane_b32 s40, v20
	v_readfirstlane_b32 s41, v21
	s_nop 4
	global_store_byte v7, v4, s[40:41]
	s_or_b64 exec, exec, s[38:39]
	s_and_saveexec_b64 s[38:39], s[12:13]
	s_cbranch_execz .LBB701_216
.LBB701_283:
	v_sub_u32_e32 v7, v27, v40
	v_readfirstlane_b32 s40, v20
	v_readfirstlane_b32 s41, v21
	s_nop 4
	global_store_byte v7, v82, s[40:41]
	s_or_b64 exec, exec, s[38:39]
	s_and_saveexec_b64 s[38:39], s[10:11]
	s_cbranch_execz .LBB701_217
.LBB701_284:
	v_sub_u32_e32 v7, v26, v40
	v_readfirstlane_b32 s40, v20
	v_readfirstlane_b32 s41, v21
	s_nop 4
	global_store_byte v7, v81, s[40:41]
	s_or_b64 exec, exec, s[38:39]
	s_and_saveexec_b64 s[38:39], s[8:9]
	s_cbranch_execz .LBB701_218
.LBB701_285:
	v_sub_u32_e32 v7, v25, v40
	v_readfirstlane_b32 s40, v20
	v_readfirstlane_b32 s41, v21
	s_nop 4
	global_store_byte v7, v79, s[40:41]
	s_or_b64 exec, exec, s[38:39]
	s_and_saveexec_b64 s[38:39], s[6:7]
	s_cbranch_execz .LBB701_219
.LBB701_286:
	v_sub_u32_e32 v7, v24, v40
	v_readfirstlane_b32 s40, v20
	v_readfirstlane_b32 s41, v21
	s_nop 4
	global_store_byte v7, v73, s[40:41]
	s_or_b64 exec, exec, s[38:39]
	s_and_saveexec_b64 s[38:39], s[4:5]
	s_cbranch_execnz .LBB701_220
	s_branch .LBB701_221
.LBB701_287:
	v_sub_u32_e32 v6, v97, v40
	ds_write_b8 v6, v2
	s_or_b64 exec, exec, s[38:39]
	s_and_saveexec_b64 s[30:31], s[28:29]
	s_cbranch_execz .LBB701_225
.LBB701_288:
	v_sub_u32_e32 v2, v35, v40
	ds_write_b8 v2, v93
	s_or_b64 exec, exec, s[30:31]
	s_and_saveexec_b64 s[28:29], s[26:27]
	s_cbranch_execz .LBB701_226
.LBB701_289:
	v_sub_u32_e32 v2, v34, v40
	ds_write_b8 v2, v92
	s_or_b64 exec, exec, s[28:29]
	s_and_saveexec_b64 s[26:27], s[24:25]
	s_cbranch_execz .LBB701_227
.LBB701_290:
	v_sub_u32_e32 v2, v33, v40
	ds_write_b8 v2, v90
	s_or_b64 exec, exec, s[26:27]
	s_and_saveexec_b64 s[24:25], s[22:23]
	s_cbranch_execz .LBB701_228
.LBB701_291:
	v_sub_u32_e32 v2, v32, v40
	ds_write_b8 v2, v3
	s_or_b64 exec, exec, s[24:25]
	s_and_saveexec_b64 s[22:23], s[20:21]
	s_cbranch_execz .LBB701_229
.LBB701_292:
	v_sub_u32_e32 v2, v31, v40
	ds_write_b8 v2, v88
	s_or_b64 exec, exec, s[22:23]
	s_and_saveexec_b64 s[20:21], s[18:19]
	s_cbranch_execz .LBB701_230
.LBB701_293:
	v_sub_u32_e32 v2, v30, v40
	ds_write_b8 v2, v86
	s_or_b64 exec, exec, s[20:21]
	s_and_saveexec_b64 s[18:19], s[16:17]
	s_cbranch_execz .LBB701_231
.LBB701_294:
	v_sub_u32_e32 v2, v29, v40
	ds_write_b8 v2, v84
	s_or_b64 exec, exec, s[18:19]
	s_and_saveexec_b64 s[16:17], s[14:15]
	s_cbranch_execz .LBB701_232
.LBB701_295:
	v_sub_u32_e32 v2, v28, v40
	ds_write_b8 v2, v4
	s_or_b64 exec, exec, s[16:17]
	s_and_saveexec_b64 s[14:15], s[12:13]
	s_cbranch_execz .LBB701_233
.LBB701_296:
	v_sub_u32_e32 v2, v27, v40
	ds_write_b8 v2, v82
	s_or_b64 exec, exec, s[14:15]
	s_and_saveexec_b64 s[12:13], s[10:11]
	s_cbranch_execz .LBB701_234
.LBB701_297:
	v_sub_u32_e32 v2, v26, v40
	ds_write_b8 v2, v81
	s_or_b64 exec, exec, s[12:13]
	s_and_saveexec_b64 s[10:11], s[8:9]
	s_cbranch_execz .LBB701_235
.LBB701_298:
	v_sub_u32_e32 v2, v25, v40
	ds_write_b8 v2, v79
	s_or_b64 exec, exec, s[10:11]
	s_and_saveexec_b64 s[8:9], s[6:7]
	s_cbranch_execz .LBB701_236
.LBB701_299:
	v_sub_u32_e32 v2, v24, v40
	ds_write_b8 v2, v73
	s_or_b64 exec, exec, s[8:9]
	s_and_saveexec_b64 s[6:7], s[4:5]
	s_cbranch_execnz .LBB701_237
	s_branch .LBB701_238
.LBB701_300:
	v_sub_u32_e32 v10, v97, v8
	v_mov_b32_e32 v11, 0
	v_lshlrev_b64 v[10:11], 3, v[10:11]
	v_add_co_u32_e32 v10, vcc, v6, v10
	v_addc_co_u32_e32 v11, vcc, v7, v11, vcc
	global_store_dwordx2 v[10:11], v[66:67], off
	s_or_b64 exec, exec, s[36:37]
	s_and_saveexec_b64 s[36:37], s[26:27]
	s_cbranch_execz .LBB701_242
.LBB701_301:
	v_sub_u32_e32 v10, v35, v8
	v_mov_b32_e32 v11, 0
	v_lshlrev_b64 v[10:11], 3, v[10:11]
	v_add_co_u32_e32 v10, vcc, v6, v10
	v_addc_co_u32_e32 v11, vcc, v7, v11, vcc
	global_store_dwordx2 v[10:11], v[42:43], off
	s_or_b64 exec, exec, s[36:37]
	s_and_saveexec_b64 s[36:37], s[24:25]
	s_cbranch_execz .LBB701_243
.LBB701_302:
	v_sub_u32_e32 v10, v34, v8
	v_mov_b32_e32 v11, 0
	v_lshlrev_b64 v[10:11], 3, v[10:11]
	v_add_co_u32_e32 v10, vcc, v6, v10
	v_addc_co_u32_e32 v11, vcc, v7, v11, vcc
	global_store_dwordx2 v[10:11], v[44:45], off
	s_or_b64 exec, exec, s[36:37]
	s_and_saveexec_b64 s[36:37], s[22:23]
	s_cbranch_execz .LBB701_244
.LBB701_303:
	v_sub_u32_e32 v10, v33, v8
	v_mov_b32_e32 v11, 0
	v_lshlrev_b64 v[10:11], 3, v[10:11]
	v_add_co_u32_e32 v10, vcc, v6, v10
	v_addc_co_u32_e32 v11, vcc, v7, v11, vcc
	global_store_dwordx2 v[10:11], v[46:47], off
	s_or_b64 exec, exec, s[36:37]
	s_and_saveexec_b64 s[36:37], s[20:21]
	s_cbranch_execz .LBB701_245
.LBB701_304:
	v_sub_u32_e32 v10, v32, v8
	v_mov_b32_e32 v11, 0
	v_lshlrev_b64 v[10:11], 3, v[10:11]
	v_add_co_u32_e32 v10, vcc, v6, v10
	v_addc_co_u32_e32 v11, vcc, v7, v11, vcc
	global_store_dwordx2 v[10:11], v[48:49], off
	s_or_b64 exec, exec, s[36:37]
	s_and_saveexec_b64 s[36:37], s[18:19]
	s_cbranch_execz .LBB701_246
.LBB701_305:
	v_sub_u32_e32 v10, v31, v8
	v_mov_b32_e32 v11, 0
	v_lshlrev_b64 v[10:11], 3, v[10:11]
	v_add_co_u32_e32 v10, vcc, v6, v10
	v_addc_co_u32_e32 v11, vcc, v7, v11, vcc
	global_store_dwordx2 v[10:11], v[50:51], off
	s_or_b64 exec, exec, s[36:37]
	s_and_saveexec_b64 s[36:37], s[16:17]
	s_cbranch_execz .LBB701_247
.LBB701_306:
	v_sub_u32_e32 v10, v30, v8
	v_mov_b32_e32 v11, 0
	v_lshlrev_b64 v[10:11], 3, v[10:11]
	v_add_co_u32_e32 v10, vcc, v6, v10
	v_addc_co_u32_e32 v11, vcc, v7, v11, vcc
	global_store_dwordx2 v[10:11], v[52:53], off
	s_or_b64 exec, exec, s[36:37]
	s_and_saveexec_b64 s[36:37], s[14:15]
	s_cbranch_execz .LBB701_248
.LBB701_307:
	v_sub_u32_e32 v10, v29, v8
	v_mov_b32_e32 v11, 0
	v_lshlrev_b64 v[10:11], 3, v[10:11]
	v_add_co_u32_e32 v10, vcc, v6, v10
	v_addc_co_u32_e32 v11, vcc, v7, v11, vcc
	global_store_dwordx2 v[10:11], v[54:55], off
	s_or_b64 exec, exec, s[36:37]
	s_and_saveexec_b64 s[36:37], s[12:13]
	s_cbranch_execz .LBB701_249
.LBB701_308:
	v_sub_u32_e32 v10, v28, v8
	v_mov_b32_e32 v11, 0
	v_lshlrev_b64 v[10:11], 3, v[10:11]
	v_add_co_u32_e32 v10, vcc, v6, v10
	v_addc_co_u32_e32 v11, vcc, v7, v11, vcc
	global_store_dwordx2 v[10:11], v[56:57], off
	s_or_b64 exec, exec, s[36:37]
	s_and_saveexec_b64 s[36:37], s[10:11]
	s_cbranch_execz .LBB701_250
.LBB701_309:
	v_sub_u32_e32 v10, v27, v8
	v_mov_b32_e32 v11, 0
	v_lshlrev_b64 v[10:11], 3, v[10:11]
	v_add_co_u32_e32 v10, vcc, v6, v10
	v_addc_co_u32_e32 v11, vcc, v7, v11, vcc
	global_store_dwordx2 v[10:11], v[58:59], off
	s_or_b64 exec, exec, s[36:37]
	s_and_saveexec_b64 s[36:37], s[8:9]
	s_cbranch_execz .LBB701_251
.LBB701_310:
	v_sub_u32_e32 v10, v26, v8
	v_mov_b32_e32 v11, 0
	v_lshlrev_b64 v[10:11], 3, v[10:11]
	v_add_co_u32_e32 v10, vcc, v6, v10
	v_addc_co_u32_e32 v11, vcc, v7, v11, vcc
	global_store_dwordx2 v[10:11], v[60:61], off
	s_or_b64 exec, exec, s[36:37]
	s_and_saveexec_b64 s[36:37], s[6:7]
	s_cbranch_execz .LBB701_252
.LBB701_311:
	v_sub_u32_e32 v10, v25, v8
	v_mov_b32_e32 v11, 0
	v_lshlrev_b64 v[10:11], 3, v[10:11]
	v_add_co_u32_e32 v10, vcc, v6, v10
	v_addc_co_u32_e32 v11, vcc, v7, v11, vcc
	global_store_dwordx2 v[10:11], v[62:63], off
	s_or_b64 exec, exec, s[36:37]
	s_and_saveexec_b64 s[36:37], s[4:5]
	s_cbranch_execz .LBB701_253
.LBB701_312:
	v_sub_u32_e32 v10, v24, v8
	v_mov_b32_e32 v11, 0
	v_lshlrev_b64 v[10:11], 3, v[10:11]
	v_add_co_u32_e32 v10, vcc, v6, v10
	v_addc_co_u32_e32 v11, vcc, v7, v11, vcc
	global_store_dwordx2 v[10:11], v[64:65], off
	s_or_b64 exec, exec, s[36:37]
	s_and_saveexec_b64 s[36:37], s[2:3]
	s_cbranch_execnz .LBB701_254
	s_branch .LBB701_255
.LBB701_313:
	v_sub_u32_e32 v9, v97, v8
	v_lshlrev_b32_e32 v9, 3, v9
	ds_write_b64 v9, v[66:67]
	s_or_b64 exec, exec, s[36:37]
	s_and_saveexec_b64 s[28:29], s[26:27]
	s_cbranch_execz .LBB701_259
.LBB701_314:
	v_sub_u32_e32 v9, v35, v8
	v_lshlrev_b32_e32 v9, 3, v9
	ds_write_b64 v9, v[42:43]
	s_or_b64 exec, exec, s[28:29]
	s_and_saveexec_b64 s[26:27], s[24:25]
	s_cbranch_execz .LBB701_260
.LBB701_315:
	v_sub_u32_e32 v9, v34, v8
	v_lshlrev_b32_e32 v9, 3, v9
	ds_write_b64 v9, v[44:45]
	s_or_b64 exec, exec, s[26:27]
	s_and_saveexec_b64 s[24:25], s[22:23]
	s_cbranch_execz .LBB701_261
.LBB701_316:
	v_sub_u32_e32 v9, v33, v8
	v_lshlrev_b32_e32 v9, 3, v9
	ds_write_b64 v9, v[46:47]
	s_or_b64 exec, exec, s[24:25]
	s_and_saveexec_b64 s[22:23], s[20:21]
	s_cbranch_execz .LBB701_262
.LBB701_317:
	v_sub_u32_e32 v9, v32, v8
	v_lshlrev_b32_e32 v9, 3, v9
	ds_write_b64 v9, v[48:49]
	s_or_b64 exec, exec, s[22:23]
	s_and_saveexec_b64 s[20:21], s[18:19]
	s_cbranch_execz .LBB701_263
.LBB701_318:
	v_sub_u32_e32 v9, v31, v8
	v_lshlrev_b32_e32 v9, 3, v9
	ds_write_b64 v9, v[50:51]
	s_or_b64 exec, exec, s[20:21]
	s_and_saveexec_b64 s[18:19], s[16:17]
	s_cbranch_execz .LBB701_264
.LBB701_319:
	v_sub_u32_e32 v9, v30, v8
	v_lshlrev_b32_e32 v9, 3, v9
	ds_write_b64 v9, v[52:53]
	s_or_b64 exec, exec, s[18:19]
	s_and_saveexec_b64 s[16:17], s[14:15]
	s_cbranch_execz .LBB701_265
.LBB701_320:
	v_sub_u32_e32 v9, v29, v8
	v_lshlrev_b32_e32 v9, 3, v9
	ds_write_b64 v9, v[54:55]
	s_or_b64 exec, exec, s[16:17]
	s_and_saveexec_b64 s[14:15], s[12:13]
	s_cbranch_execz .LBB701_266
.LBB701_321:
	v_sub_u32_e32 v9, v28, v8
	v_lshlrev_b32_e32 v9, 3, v9
	ds_write_b64 v9, v[56:57]
	s_or_b64 exec, exec, s[14:15]
	s_and_saveexec_b64 s[12:13], s[10:11]
	s_cbranch_execz .LBB701_267
.LBB701_322:
	v_sub_u32_e32 v9, v27, v8
	v_lshlrev_b32_e32 v9, 3, v9
	ds_write_b64 v9, v[58:59]
	s_or_b64 exec, exec, s[12:13]
	s_and_saveexec_b64 s[10:11], s[8:9]
	s_cbranch_execz .LBB701_268
.LBB701_323:
	v_sub_u32_e32 v9, v26, v8
	v_lshlrev_b32_e32 v9, 3, v9
	ds_write_b64 v9, v[60:61]
	s_or_b64 exec, exec, s[10:11]
	s_and_saveexec_b64 s[8:9], s[6:7]
	s_cbranch_execz .LBB701_269
.LBB701_324:
	v_sub_u32_e32 v9, v25, v8
	v_lshlrev_b32_e32 v9, 3, v9
	ds_write_b64 v9, v[62:63]
	s_or_b64 exec, exec, s[8:9]
	s_and_saveexec_b64 s[6:7], s[4:5]
	s_cbranch_execz .LBB701_270
.LBB701_325:
	v_sub_u32_e32 v9, v24, v8
	v_lshlrev_b32_e32 v9, 3, v9
	ds_write_b64 v9, v[64:65]
	s_or_b64 exec, exec, s[6:7]
	s_and_saveexec_b64 s[4:5], s[2:3]
	s_cbranch_execnz .LBB701_271
	s_branch .LBB701_272
	.section	.rodata,"a",@progbits
	.p2align	6, 0x0
	.amdhsa_kernel _ZN7rocprim17ROCPRIM_400000_NS6detail17trampoline_kernelINS0_14default_configENS1_29reduce_by_key_config_selectorIalN6thrust23THRUST_200600_302600_NS4plusIlEEEEZZNS1_33reduce_by_key_impl_wrapped_configILNS1_25lookback_scan_determinismE0ES3_S9_PaNS6_17constant_iteratorIiNS6_11use_defaultESE_EENS6_10device_ptrIaEENSG_IlEEPmS8_NS6_8equal_toIaEEEE10hipError_tPvRmT2_T3_mT4_T5_T6_T7_T8_P12ihipStream_tbENKUlT_T0_E_clISt17integral_constantIbLb0EES12_IbLb1EEEEDaSY_SZ_EUlSY_E_NS1_11comp_targetILNS1_3genE4ELNS1_11target_archE910ELNS1_3gpuE8ELNS1_3repE0EEENS1_30default_config_static_selectorELNS0_4arch9wavefront6targetE1EEEvT1_
		.amdhsa_group_segment_fixed_size 30720
		.amdhsa_private_segment_fixed_size 0
		.amdhsa_kernarg_size 144
		.amdhsa_user_sgpr_count 6
		.amdhsa_user_sgpr_private_segment_buffer 1
		.amdhsa_user_sgpr_dispatch_ptr 0
		.amdhsa_user_sgpr_queue_ptr 0
		.amdhsa_user_sgpr_kernarg_segment_ptr 1
		.amdhsa_user_sgpr_dispatch_id 0
		.amdhsa_user_sgpr_flat_scratch_init 0
		.amdhsa_user_sgpr_kernarg_preload_length 0
		.amdhsa_user_sgpr_kernarg_preload_offset 0
		.amdhsa_user_sgpr_private_segment_size 0
		.amdhsa_uses_dynamic_stack 0
		.amdhsa_system_sgpr_private_segment_wavefront_offset 0
		.amdhsa_system_sgpr_workgroup_id_x 1
		.amdhsa_system_sgpr_workgroup_id_y 0
		.amdhsa_system_sgpr_workgroup_id_z 0
		.amdhsa_system_sgpr_workgroup_info 0
		.amdhsa_system_vgpr_workitem_id 0
		.amdhsa_next_free_vgpr 133
		.amdhsa_next_free_sgpr 65
		.amdhsa_accum_offset 136
		.amdhsa_reserve_vcc 1
		.amdhsa_reserve_flat_scratch 0
		.amdhsa_float_round_mode_32 0
		.amdhsa_float_round_mode_16_64 0
		.amdhsa_float_denorm_mode_32 3
		.amdhsa_float_denorm_mode_16_64 3
		.amdhsa_dx10_clamp 1
		.amdhsa_ieee_mode 1
		.amdhsa_fp16_overflow 0
		.amdhsa_tg_split 0
		.amdhsa_exception_fp_ieee_invalid_op 0
		.amdhsa_exception_fp_denorm_src 0
		.amdhsa_exception_fp_ieee_div_zero 0
		.amdhsa_exception_fp_ieee_overflow 0
		.amdhsa_exception_fp_ieee_underflow 0
		.amdhsa_exception_fp_ieee_inexact 0
		.amdhsa_exception_int_div_zero 0
	.end_amdhsa_kernel
	.section	.text._ZN7rocprim17ROCPRIM_400000_NS6detail17trampoline_kernelINS0_14default_configENS1_29reduce_by_key_config_selectorIalN6thrust23THRUST_200600_302600_NS4plusIlEEEEZZNS1_33reduce_by_key_impl_wrapped_configILNS1_25lookback_scan_determinismE0ES3_S9_PaNS6_17constant_iteratorIiNS6_11use_defaultESE_EENS6_10device_ptrIaEENSG_IlEEPmS8_NS6_8equal_toIaEEEE10hipError_tPvRmT2_T3_mT4_T5_T6_T7_T8_P12ihipStream_tbENKUlT_T0_E_clISt17integral_constantIbLb0EES12_IbLb1EEEEDaSY_SZ_EUlSY_E_NS1_11comp_targetILNS1_3genE4ELNS1_11target_archE910ELNS1_3gpuE8ELNS1_3repE0EEENS1_30default_config_static_selectorELNS0_4arch9wavefront6targetE1EEEvT1_,"axG",@progbits,_ZN7rocprim17ROCPRIM_400000_NS6detail17trampoline_kernelINS0_14default_configENS1_29reduce_by_key_config_selectorIalN6thrust23THRUST_200600_302600_NS4plusIlEEEEZZNS1_33reduce_by_key_impl_wrapped_configILNS1_25lookback_scan_determinismE0ES3_S9_PaNS6_17constant_iteratorIiNS6_11use_defaultESE_EENS6_10device_ptrIaEENSG_IlEEPmS8_NS6_8equal_toIaEEEE10hipError_tPvRmT2_T3_mT4_T5_T6_T7_T8_P12ihipStream_tbENKUlT_T0_E_clISt17integral_constantIbLb0EES12_IbLb1EEEEDaSY_SZ_EUlSY_E_NS1_11comp_targetILNS1_3genE4ELNS1_11target_archE910ELNS1_3gpuE8ELNS1_3repE0EEENS1_30default_config_static_selectorELNS0_4arch9wavefront6targetE1EEEvT1_,comdat
.Lfunc_end701:
	.size	_ZN7rocprim17ROCPRIM_400000_NS6detail17trampoline_kernelINS0_14default_configENS1_29reduce_by_key_config_selectorIalN6thrust23THRUST_200600_302600_NS4plusIlEEEEZZNS1_33reduce_by_key_impl_wrapped_configILNS1_25lookback_scan_determinismE0ES3_S9_PaNS6_17constant_iteratorIiNS6_11use_defaultESE_EENS6_10device_ptrIaEENSG_IlEEPmS8_NS6_8equal_toIaEEEE10hipError_tPvRmT2_T3_mT4_T5_T6_T7_T8_P12ihipStream_tbENKUlT_T0_E_clISt17integral_constantIbLb0EES12_IbLb1EEEEDaSY_SZ_EUlSY_E_NS1_11comp_targetILNS1_3genE4ELNS1_11target_archE910ELNS1_3gpuE8ELNS1_3repE0EEENS1_30default_config_static_selectorELNS0_4arch9wavefront6targetE1EEEvT1_, .Lfunc_end701-_ZN7rocprim17ROCPRIM_400000_NS6detail17trampoline_kernelINS0_14default_configENS1_29reduce_by_key_config_selectorIalN6thrust23THRUST_200600_302600_NS4plusIlEEEEZZNS1_33reduce_by_key_impl_wrapped_configILNS1_25lookback_scan_determinismE0ES3_S9_PaNS6_17constant_iteratorIiNS6_11use_defaultESE_EENS6_10device_ptrIaEENSG_IlEEPmS8_NS6_8equal_toIaEEEE10hipError_tPvRmT2_T3_mT4_T5_T6_T7_T8_P12ihipStream_tbENKUlT_T0_E_clISt17integral_constantIbLb0EES12_IbLb1EEEEDaSY_SZ_EUlSY_E_NS1_11comp_targetILNS1_3genE4ELNS1_11target_archE910ELNS1_3gpuE8ELNS1_3repE0EEENS1_30default_config_static_selectorELNS0_4arch9wavefront6targetE1EEEvT1_
                                        ; -- End function
	.section	.AMDGPU.csdata,"",@progbits
; Kernel info:
; codeLenInByte = 16784
; NumSgprs: 69
; NumVgprs: 133
; NumAgprs: 0
; TotalNumVgprs: 133
; ScratchSize: 0
; MemoryBound: 0
; FloatMode: 240
; IeeeMode: 1
; LDSByteSize: 30720 bytes/workgroup (compile time only)
; SGPRBlocks: 8
; VGPRBlocks: 16
; NumSGPRsForWavesPerEU: 69
; NumVGPRsForWavesPerEU: 133
; AccumOffset: 136
; Occupancy: 2
; WaveLimiterHint : 1
; COMPUTE_PGM_RSRC2:SCRATCH_EN: 0
; COMPUTE_PGM_RSRC2:USER_SGPR: 6
; COMPUTE_PGM_RSRC2:TRAP_HANDLER: 0
; COMPUTE_PGM_RSRC2:TGID_X_EN: 1
; COMPUTE_PGM_RSRC2:TGID_Y_EN: 0
; COMPUTE_PGM_RSRC2:TGID_Z_EN: 0
; COMPUTE_PGM_RSRC2:TIDIG_COMP_CNT: 0
; COMPUTE_PGM_RSRC3_GFX90A:ACCUM_OFFSET: 33
; COMPUTE_PGM_RSRC3_GFX90A:TG_SPLIT: 0
	.section	.text._ZN7rocprim17ROCPRIM_400000_NS6detail17trampoline_kernelINS0_14default_configENS1_29reduce_by_key_config_selectorIalN6thrust23THRUST_200600_302600_NS4plusIlEEEEZZNS1_33reduce_by_key_impl_wrapped_configILNS1_25lookback_scan_determinismE0ES3_S9_PaNS6_17constant_iteratorIiNS6_11use_defaultESE_EENS6_10device_ptrIaEENSG_IlEEPmS8_NS6_8equal_toIaEEEE10hipError_tPvRmT2_T3_mT4_T5_T6_T7_T8_P12ihipStream_tbENKUlT_T0_E_clISt17integral_constantIbLb0EES12_IbLb1EEEEDaSY_SZ_EUlSY_E_NS1_11comp_targetILNS1_3genE3ELNS1_11target_archE908ELNS1_3gpuE7ELNS1_3repE0EEENS1_30default_config_static_selectorELNS0_4arch9wavefront6targetE1EEEvT1_,"axG",@progbits,_ZN7rocprim17ROCPRIM_400000_NS6detail17trampoline_kernelINS0_14default_configENS1_29reduce_by_key_config_selectorIalN6thrust23THRUST_200600_302600_NS4plusIlEEEEZZNS1_33reduce_by_key_impl_wrapped_configILNS1_25lookback_scan_determinismE0ES3_S9_PaNS6_17constant_iteratorIiNS6_11use_defaultESE_EENS6_10device_ptrIaEENSG_IlEEPmS8_NS6_8equal_toIaEEEE10hipError_tPvRmT2_T3_mT4_T5_T6_T7_T8_P12ihipStream_tbENKUlT_T0_E_clISt17integral_constantIbLb0EES12_IbLb1EEEEDaSY_SZ_EUlSY_E_NS1_11comp_targetILNS1_3genE3ELNS1_11target_archE908ELNS1_3gpuE7ELNS1_3repE0EEENS1_30default_config_static_selectorELNS0_4arch9wavefront6targetE1EEEvT1_,comdat
	.protected	_ZN7rocprim17ROCPRIM_400000_NS6detail17trampoline_kernelINS0_14default_configENS1_29reduce_by_key_config_selectorIalN6thrust23THRUST_200600_302600_NS4plusIlEEEEZZNS1_33reduce_by_key_impl_wrapped_configILNS1_25lookback_scan_determinismE0ES3_S9_PaNS6_17constant_iteratorIiNS6_11use_defaultESE_EENS6_10device_ptrIaEENSG_IlEEPmS8_NS6_8equal_toIaEEEE10hipError_tPvRmT2_T3_mT4_T5_T6_T7_T8_P12ihipStream_tbENKUlT_T0_E_clISt17integral_constantIbLb0EES12_IbLb1EEEEDaSY_SZ_EUlSY_E_NS1_11comp_targetILNS1_3genE3ELNS1_11target_archE908ELNS1_3gpuE7ELNS1_3repE0EEENS1_30default_config_static_selectorELNS0_4arch9wavefront6targetE1EEEvT1_ ; -- Begin function _ZN7rocprim17ROCPRIM_400000_NS6detail17trampoline_kernelINS0_14default_configENS1_29reduce_by_key_config_selectorIalN6thrust23THRUST_200600_302600_NS4plusIlEEEEZZNS1_33reduce_by_key_impl_wrapped_configILNS1_25lookback_scan_determinismE0ES3_S9_PaNS6_17constant_iteratorIiNS6_11use_defaultESE_EENS6_10device_ptrIaEENSG_IlEEPmS8_NS6_8equal_toIaEEEE10hipError_tPvRmT2_T3_mT4_T5_T6_T7_T8_P12ihipStream_tbENKUlT_T0_E_clISt17integral_constantIbLb0EES12_IbLb1EEEEDaSY_SZ_EUlSY_E_NS1_11comp_targetILNS1_3genE3ELNS1_11target_archE908ELNS1_3gpuE7ELNS1_3repE0EEENS1_30default_config_static_selectorELNS0_4arch9wavefront6targetE1EEEvT1_
	.globl	_ZN7rocprim17ROCPRIM_400000_NS6detail17trampoline_kernelINS0_14default_configENS1_29reduce_by_key_config_selectorIalN6thrust23THRUST_200600_302600_NS4plusIlEEEEZZNS1_33reduce_by_key_impl_wrapped_configILNS1_25lookback_scan_determinismE0ES3_S9_PaNS6_17constant_iteratorIiNS6_11use_defaultESE_EENS6_10device_ptrIaEENSG_IlEEPmS8_NS6_8equal_toIaEEEE10hipError_tPvRmT2_T3_mT4_T5_T6_T7_T8_P12ihipStream_tbENKUlT_T0_E_clISt17integral_constantIbLb0EES12_IbLb1EEEEDaSY_SZ_EUlSY_E_NS1_11comp_targetILNS1_3genE3ELNS1_11target_archE908ELNS1_3gpuE7ELNS1_3repE0EEENS1_30default_config_static_selectorELNS0_4arch9wavefront6targetE1EEEvT1_
	.p2align	8
	.type	_ZN7rocprim17ROCPRIM_400000_NS6detail17trampoline_kernelINS0_14default_configENS1_29reduce_by_key_config_selectorIalN6thrust23THRUST_200600_302600_NS4plusIlEEEEZZNS1_33reduce_by_key_impl_wrapped_configILNS1_25lookback_scan_determinismE0ES3_S9_PaNS6_17constant_iteratorIiNS6_11use_defaultESE_EENS6_10device_ptrIaEENSG_IlEEPmS8_NS6_8equal_toIaEEEE10hipError_tPvRmT2_T3_mT4_T5_T6_T7_T8_P12ihipStream_tbENKUlT_T0_E_clISt17integral_constantIbLb0EES12_IbLb1EEEEDaSY_SZ_EUlSY_E_NS1_11comp_targetILNS1_3genE3ELNS1_11target_archE908ELNS1_3gpuE7ELNS1_3repE0EEENS1_30default_config_static_selectorELNS0_4arch9wavefront6targetE1EEEvT1_,@function
_ZN7rocprim17ROCPRIM_400000_NS6detail17trampoline_kernelINS0_14default_configENS1_29reduce_by_key_config_selectorIalN6thrust23THRUST_200600_302600_NS4plusIlEEEEZZNS1_33reduce_by_key_impl_wrapped_configILNS1_25lookback_scan_determinismE0ES3_S9_PaNS6_17constant_iteratorIiNS6_11use_defaultESE_EENS6_10device_ptrIaEENSG_IlEEPmS8_NS6_8equal_toIaEEEE10hipError_tPvRmT2_T3_mT4_T5_T6_T7_T8_P12ihipStream_tbENKUlT_T0_E_clISt17integral_constantIbLb0EES12_IbLb1EEEEDaSY_SZ_EUlSY_E_NS1_11comp_targetILNS1_3genE3ELNS1_11target_archE908ELNS1_3gpuE7ELNS1_3repE0EEENS1_30default_config_static_selectorELNS0_4arch9wavefront6targetE1EEEvT1_: ; @_ZN7rocprim17ROCPRIM_400000_NS6detail17trampoline_kernelINS0_14default_configENS1_29reduce_by_key_config_selectorIalN6thrust23THRUST_200600_302600_NS4plusIlEEEEZZNS1_33reduce_by_key_impl_wrapped_configILNS1_25lookback_scan_determinismE0ES3_S9_PaNS6_17constant_iteratorIiNS6_11use_defaultESE_EENS6_10device_ptrIaEENSG_IlEEPmS8_NS6_8equal_toIaEEEE10hipError_tPvRmT2_T3_mT4_T5_T6_T7_T8_P12ihipStream_tbENKUlT_T0_E_clISt17integral_constantIbLb0EES12_IbLb1EEEEDaSY_SZ_EUlSY_E_NS1_11comp_targetILNS1_3genE3ELNS1_11target_archE908ELNS1_3gpuE7ELNS1_3repE0EEENS1_30default_config_static_selectorELNS0_4arch9wavefront6targetE1EEEvT1_
; %bb.0:
	.section	.rodata,"a",@progbits
	.p2align	6, 0x0
	.amdhsa_kernel _ZN7rocprim17ROCPRIM_400000_NS6detail17trampoline_kernelINS0_14default_configENS1_29reduce_by_key_config_selectorIalN6thrust23THRUST_200600_302600_NS4plusIlEEEEZZNS1_33reduce_by_key_impl_wrapped_configILNS1_25lookback_scan_determinismE0ES3_S9_PaNS6_17constant_iteratorIiNS6_11use_defaultESE_EENS6_10device_ptrIaEENSG_IlEEPmS8_NS6_8equal_toIaEEEE10hipError_tPvRmT2_T3_mT4_T5_T6_T7_T8_P12ihipStream_tbENKUlT_T0_E_clISt17integral_constantIbLb0EES12_IbLb1EEEEDaSY_SZ_EUlSY_E_NS1_11comp_targetILNS1_3genE3ELNS1_11target_archE908ELNS1_3gpuE7ELNS1_3repE0EEENS1_30default_config_static_selectorELNS0_4arch9wavefront6targetE1EEEvT1_
		.amdhsa_group_segment_fixed_size 0
		.amdhsa_private_segment_fixed_size 0
		.amdhsa_kernarg_size 144
		.amdhsa_user_sgpr_count 6
		.amdhsa_user_sgpr_private_segment_buffer 1
		.amdhsa_user_sgpr_dispatch_ptr 0
		.amdhsa_user_sgpr_queue_ptr 0
		.amdhsa_user_sgpr_kernarg_segment_ptr 1
		.amdhsa_user_sgpr_dispatch_id 0
		.amdhsa_user_sgpr_flat_scratch_init 0
		.amdhsa_user_sgpr_kernarg_preload_length 0
		.amdhsa_user_sgpr_kernarg_preload_offset 0
		.amdhsa_user_sgpr_private_segment_size 0
		.amdhsa_uses_dynamic_stack 0
		.amdhsa_system_sgpr_private_segment_wavefront_offset 0
		.amdhsa_system_sgpr_workgroup_id_x 1
		.amdhsa_system_sgpr_workgroup_id_y 0
		.amdhsa_system_sgpr_workgroup_id_z 0
		.amdhsa_system_sgpr_workgroup_info 0
		.amdhsa_system_vgpr_workitem_id 0
		.amdhsa_next_free_vgpr 1
		.amdhsa_next_free_sgpr 0
		.amdhsa_accum_offset 4
		.amdhsa_reserve_vcc 0
		.amdhsa_reserve_flat_scratch 0
		.amdhsa_float_round_mode_32 0
		.amdhsa_float_round_mode_16_64 0
		.amdhsa_float_denorm_mode_32 3
		.amdhsa_float_denorm_mode_16_64 3
		.amdhsa_dx10_clamp 1
		.amdhsa_ieee_mode 1
		.amdhsa_fp16_overflow 0
		.amdhsa_tg_split 0
		.amdhsa_exception_fp_ieee_invalid_op 0
		.amdhsa_exception_fp_denorm_src 0
		.amdhsa_exception_fp_ieee_div_zero 0
		.amdhsa_exception_fp_ieee_overflow 0
		.amdhsa_exception_fp_ieee_underflow 0
		.amdhsa_exception_fp_ieee_inexact 0
		.amdhsa_exception_int_div_zero 0
	.end_amdhsa_kernel
	.section	.text._ZN7rocprim17ROCPRIM_400000_NS6detail17trampoline_kernelINS0_14default_configENS1_29reduce_by_key_config_selectorIalN6thrust23THRUST_200600_302600_NS4plusIlEEEEZZNS1_33reduce_by_key_impl_wrapped_configILNS1_25lookback_scan_determinismE0ES3_S9_PaNS6_17constant_iteratorIiNS6_11use_defaultESE_EENS6_10device_ptrIaEENSG_IlEEPmS8_NS6_8equal_toIaEEEE10hipError_tPvRmT2_T3_mT4_T5_T6_T7_T8_P12ihipStream_tbENKUlT_T0_E_clISt17integral_constantIbLb0EES12_IbLb1EEEEDaSY_SZ_EUlSY_E_NS1_11comp_targetILNS1_3genE3ELNS1_11target_archE908ELNS1_3gpuE7ELNS1_3repE0EEENS1_30default_config_static_selectorELNS0_4arch9wavefront6targetE1EEEvT1_,"axG",@progbits,_ZN7rocprim17ROCPRIM_400000_NS6detail17trampoline_kernelINS0_14default_configENS1_29reduce_by_key_config_selectorIalN6thrust23THRUST_200600_302600_NS4plusIlEEEEZZNS1_33reduce_by_key_impl_wrapped_configILNS1_25lookback_scan_determinismE0ES3_S9_PaNS6_17constant_iteratorIiNS6_11use_defaultESE_EENS6_10device_ptrIaEENSG_IlEEPmS8_NS6_8equal_toIaEEEE10hipError_tPvRmT2_T3_mT4_T5_T6_T7_T8_P12ihipStream_tbENKUlT_T0_E_clISt17integral_constantIbLb0EES12_IbLb1EEEEDaSY_SZ_EUlSY_E_NS1_11comp_targetILNS1_3genE3ELNS1_11target_archE908ELNS1_3gpuE7ELNS1_3repE0EEENS1_30default_config_static_selectorELNS0_4arch9wavefront6targetE1EEEvT1_,comdat
.Lfunc_end702:
	.size	_ZN7rocprim17ROCPRIM_400000_NS6detail17trampoline_kernelINS0_14default_configENS1_29reduce_by_key_config_selectorIalN6thrust23THRUST_200600_302600_NS4plusIlEEEEZZNS1_33reduce_by_key_impl_wrapped_configILNS1_25lookback_scan_determinismE0ES3_S9_PaNS6_17constant_iteratorIiNS6_11use_defaultESE_EENS6_10device_ptrIaEENSG_IlEEPmS8_NS6_8equal_toIaEEEE10hipError_tPvRmT2_T3_mT4_T5_T6_T7_T8_P12ihipStream_tbENKUlT_T0_E_clISt17integral_constantIbLb0EES12_IbLb1EEEEDaSY_SZ_EUlSY_E_NS1_11comp_targetILNS1_3genE3ELNS1_11target_archE908ELNS1_3gpuE7ELNS1_3repE0EEENS1_30default_config_static_selectorELNS0_4arch9wavefront6targetE1EEEvT1_, .Lfunc_end702-_ZN7rocprim17ROCPRIM_400000_NS6detail17trampoline_kernelINS0_14default_configENS1_29reduce_by_key_config_selectorIalN6thrust23THRUST_200600_302600_NS4plusIlEEEEZZNS1_33reduce_by_key_impl_wrapped_configILNS1_25lookback_scan_determinismE0ES3_S9_PaNS6_17constant_iteratorIiNS6_11use_defaultESE_EENS6_10device_ptrIaEENSG_IlEEPmS8_NS6_8equal_toIaEEEE10hipError_tPvRmT2_T3_mT4_T5_T6_T7_T8_P12ihipStream_tbENKUlT_T0_E_clISt17integral_constantIbLb0EES12_IbLb1EEEEDaSY_SZ_EUlSY_E_NS1_11comp_targetILNS1_3genE3ELNS1_11target_archE908ELNS1_3gpuE7ELNS1_3repE0EEENS1_30default_config_static_selectorELNS0_4arch9wavefront6targetE1EEEvT1_
                                        ; -- End function
	.section	.AMDGPU.csdata,"",@progbits
; Kernel info:
; codeLenInByte = 0
; NumSgprs: 4
; NumVgprs: 0
; NumAgprs: 0
; TotalNumVgprs: 0
; ScratchSize: 0
; MemoryBound: 0
; FloatMode: 240
; IeeeMode: 1
; LDSByteSize: 0 bytes/workgroup (compile time only)
; SGPRBlocks: 0
; VGPRBlocks: 0
; NumSGPRsForWavesPerEU: 4
; NumVGPRsForWavesPerEU: 1
; AccumOffset: 4
; Occupancy: 8
; WaveLimiterHint : 0
; COMPUTE_PGM_RSRC2:SCRATCH_EN: 0
; COMPUTE_PGM_RSRC2:USER_SGPR: 6
; COMPUTE_PGM_RSRC2:TRAP_HANDLER: 0
; COMPUTE_PGM_RSRC2:TGID_X_EN: 1
; COMPUTE_PGM_RSRC2:TGID_Y_EN: 0
; COMPUTE_PGM_RSRC2:TGID_Z_EN: 0
; COMPUTE_PGM_RSRC2:TIDIG_COMP_CNT: 0
; COMPUTE_PGM_RSRC3_GFX90A:ACCUM_OFFSET: 0
; COMPUTE_PGM_RSRC3_GFX90A:TG_SPLIT: 0
	.section	.text._ZN7rocprim17ROCPRIM_400000_NS6detail17trampoline_kernelINS0_14default_configENS1_29reduce_by_key_config_selectorIalN6thrust23THRUST_200600_302600_NS4plusIlEEEEZZNS1_33reduce_by_key_impl_wrapped_configILNS1_25lookback_scan_determinismE0ES3_S9_PaNS6_17constant_iteratorIiNS6_11use_defaultESE_EENS6_10device_ptrIaEENSG_IlEEPmS8_NS6_8equal_toIaEEEE10hipError_tPvRmT2_T3_mT4_T5_T6_T7_T8_P12ihipStream_tbENKUlT_T0_E_clISt17integral_constantIbLb0EES12_IbLb1EEEEDaSY_SZ_EUlSY_E_NS1_11comp_targetILNS1_3genE2ELNS1_11target_archE906ELNS1_3gpuE6ELNS1_3repE0EEENS1_30default_config_static_selectorELNS0_4arch9wavefront6targetE1EEEvT1_,"axG",@progbits,_ZN7rocprim17ROCPRIM_400000_NS6detail17trampoline_kernelINS0_14default_configENS1_29reduce_by_key_config_selectorIalN6thrust23THRUST_200600_302600_NS4plusIlEEEEZZNS1_33reduce_by_key_impl_wrapped_configILNS1_25lookback_scan_determinismE0ES3_S9_PaNS6_17constant_iteratorIiNS6_11use_defaultESE_EENS6_10device_ptrIaEENSG_IlEEPmS8_NS6_8equal_toIaEEEE10hipError_tPvRmT2_T3_mT4_T5_T6_T7_T8_P12ihipStream_tbENKUlT_T0_E_clISt17integral_constantIbLb0EES12_IbLb1EEEEDaSY_SZ_EUlSY_E_NS1_11comp_targetILNS1_3genE2ELNS1_11target_archE906ELNS1_3gpuE6ELNS1_3repE0EEENS1_30default_config_static_selectorELNS0_4arch9wavefront6targetE1EEEvT1_,comdat
	.protected	_ZN7rocprim17ROCPRIM_400000_NS6detail17trampoline_kernelINS0_14default_configENS1_29reduce_by_key_config_selectorIalN6thrust23THRUST_200600_302600_NS4plusIlEEEEZZNS1_33reduce_by_key_impl_wrapped_configILNS1_25lookback_scan_determinismE0ES3_S9_PaNS6_17constant_iteratorIiNS6_11use_defaultESE_EENS6_10device_ptrIaEENSG_IlEEPmS8_NS6_8equal_toIaEEEE10hipError_tPvRmT2_T3_mT4_T5_T6_T7_T8_P12ihipStream_tbENKUlT_T0_E_clISt17integral_constantIbLb0EES12_IbLb1EEEEDaSY_SZ_EUlSY_E_NS1_11comp_targetILNS1_3genE2ELNS1_11target_archE906ELNS1_3gpuE6ELNS1_3repE0EEENS1_30default_config_static_selectorELNS0_4arch9wavefront6targetE1EEEvT1_ ; -- Begin function _ZN7rocprim17ROCPRIM_400000_NS6detail17trampoline_kernelINS0_14default_configENS1_29reduce_by_key_config_selectorIalN6thrust23THRUST_200600_302600_NS4plusIlEEEEZZNS1_33reduce_by_key_impl_wrapped_configILNS1_25lookback_scan_determinismE0ES3_S9_PaNS6_17constant_iteratorIiNS6_11use_defaultESE_EENS6_10device_ptrIaEENSG_IlEEPmS8_NS6_8equal_toIaEEEE10hipError_tPvRmT2_T3_mT4_T5_T6_T7_T8_P12ihipStream_tbENKUlT_T0_E_clISt17integral_constantIbLb0EES12_IbLb1EEEEDaSY_SZ_EUlSY_E_NS1_11comp_targetILNS1_3genE2ELNS1_11target_archE906ELNS1_3gpuE6ELNS1_3repE0EEENS1_30default_config_static_selectorELNS0_4arch9wavefront6targetE1EEEvT1_
	.globl	_ZN7rocprim17ROCPRIM_400000_NS6detail17trampoline_kernelINS0_14default_configENS1_29reduce_by_key_config_selectorIalN6thrust23THRUST_200600_302600_NS4plusIlEEEEZZNS1_33reduce_by_key_impl_wrapped_configILNS1_25lookback_scan_determinismE0ES3_S9_PaNS6_17constant_iteratorIiNS6_11use_defaultESE_EENS6_10device_ptrIaEENSG_IlEEPmS8_NS6_8equal_toIaEEEE10hipError_tPvRmT2_T3_mT4_T5_T6_T7_T8_P12ihipStream_tbENKUlT_T0_E_clISt17integral_constantIbLb0EES12_IbLb1EEEEDaSY_SZ_EUlSY_E_NS1_11comp_targetILNS1_3genE2ELNS1_11target_archE906ELNS1_3gpuE6ELNS1_3repE0EEENS1_30default_config_static_selectorELNS0_4arch9wavefront6targetE1EEEvT1_
	.p2align	8
	.type	_ZN7rocprim17ROCPRIM_400000_NS6detail17trampoline_kernelINS0_14default_configENS1_29reduce_by_key_config_selectorIalN6thrust23THRUST_200600_302600_NS4plusIlEEEEZZNS1_33reduce_by_key_impl_wrapped_configILNS1_25lookback_scan_determinismE0ES3_S9_PaNS6_17constant_iteratorIiNS6_11use_defaultESE_EENS6_10device_ptrIaEENSG_IlEEPmS8_NS6_8equal_toIaEEEE10hipError_tPvRmT2_T3_mT4_T5_T6_T7_T8_P12ihipStream_tbENKUlT_T0_E_clISt17integral_constantIbLb0EES12_IbLb1EEEEDaSY_SZ_EUlSY_E_NS1_11comp_targetILNS1_3genE2ELNS1_11target_archE906ELNS1_3gpuE6ELNS1_3repE0EEENS1_30default_config_static_selectorELNS0_4arch9wavefront6targetE1EEEvT1_,@function
_ZN7rocprim17ROCPRIM_400000_NS6detail17trampoline_kernelINS0_14default_configENS1_29reduce_by_key_config_selectorIalN6thrust23THRUST_200600_302600_NS4plusIlEEEEZZNS1_33reduce_by_key_impl_wrapped_configILNS1_25lookback_scan_determinismE0ES3_S9_PaNS6_17constant_iteratorIiNS6_11use_defaultESE_EENS6_10device_ptrIaEENSG_IlEEPmS8_NS6_8equal_toIaEEEE10hipError_tPvRmT2_T3_mT4_T5_T6_T7_T8_P12ihipStream_tbENKUlT_T0_E_clISt17integral_constantIbLb0EES12_IbLb1EEEEDaSY_SZ_EUlSY_E_NS1_11comp_targetILNS1_3genE2ELNS1_11target_archE906ELNS1_3gpuE6ELNS1_3repE0EEENS1_30default_config_static_selectorELNS0_4arch9wavefront6targetE1EEEvT1_: ; @_ZN7rocprim17ROCPRIM_400000_NS6detail17trampoline_kernelINS0_14default_configENS1_29reduce_by_key_config_selectorIalN6thrust23THRUST_200600_302600_NS4plusIlEEEEZZNS1_33reduce_by_key_impl_wrapped_configILNS1_25lookback_scan_determinismE0ES3_S9_PaNS6_17constant_iteratorIiNS6_11use_defaultESE_EENS6_10device_ptrIaEENSG_IlEEPmS8_NS6_8equal_toIaEEEE10hipError_tPvRmT2_T3_mT4_T5_T6_T7_T8_P12ihipStream_tbENKUlT_T0_E_clISt17integral_constantIbLb0EES12_IbLb1EEEEDaSY_SZ_EUlSY_E_NS1_11comp_targetILNS1_3genE2ELNS1_11target_archE906ELNS1_3gpuE6ELNS1_3repE0EEENS1_30default_config_static_selectorELNS0_4arch9wavefront6targetE1EEEvT1_
; %bb.0:
	.section	.rodata,"a",@progbits
	.p2align	6, 0x0
	.amdhsa_kernel _ZN7rocprim17ROCPRIM_400000_NS6detail17trampoline_kernelINS0_14default_configENS1_29reduce_by_key_config_selectorIalN6thrust23THRUST_200600_302600_NS4plusIlEEEEZZNS1_33reduce_by_key_impl_wrapped_configILNS1_25lookback_scan_determinismE0ES3_S9_PaNS6_17constant_iteratorIiNS6_11use_defaultESE_EENS6_10device_ptrIaEENSG_IlEEPmS8_NS6_8equal_toIaEEEE10hipError_tPvRmT2_T3_mT4_T5_T6_T7_T8_P12ihipStream_tbENKUlT_T0_E_clISt17integral_constantIbLb0EES12_IbLb1EEEEDaSY_SZ_EUlSY_E_NS1_11comp_targetILNS1_3genE2ELNS1_11target_archE906ELNS1_3gpuE6ELNS1_3repE0EEENS1_30default_config_static_selectorELNS0_4arch9wavefront6targetE1EEEvT1_
		.amdhsa_group_segment_fixed_size 0
		.amdhsa_private_segment_fixed_size 0
		.amdhsa_kernarg_size 144
		.amdhsa_user_sgpr_count 6
		.amdhsa_user_sgpr_private_segment_buffer 1
		.amdhsa_user_sgpr_dispatch_ptr 0
		.amdhsa_user_sgpr_queue_ptr 0
		.amdhsa_user_sgpr_kernarg_segment_ptr 1
		.amdhsa_user_sgpr_dispatch_id 0
		.amdhsa_user_sgpr_flat_scratch_init 0
		.amdhsa_user_sgpr_kernarg_preload_length 0
		.amdhsa_user_sgpr_kernarg_preload_offset 0
		.amdhsa_user_sgpr_private_segment_size 0
		.amdhsa_uses_dynamic_stack 0
		.amdhsa_system_sgpr_private_segment_wavefront_offset 0
		.amdhsa_system_sgpr_workgroup_id_x 1
		.amdhsa_system_sgpr_workgroup_id_y 0
		.amdhsa_system_sgpr_workgroup_id_z 0
		.amdhsa_system_sgpr_workgroup_info 0
		.amdhsa_system_vgpr_workitem_id 0
		.amdhsa_next_free_vgpr 1
		.amdhsa_next_free_sgpr 0
		.amdhsa_accum_offset 4
		.amdhsa_reserve_vcc 0
		.amdhsa_reserve_flat_scratch 0
		.amdhsa_float_round_mode_32 0
		.amdhsa_float_round_mode_16_64 0
		.amdhsa_float_denorm_mode_32 3
		.amdhsa_float_denorm_mode_16_64 3
		.amdhsa_dx10_clamp 1
		.amdhsa_ieee_mode 1
		.amdhsa_fp16_overflow 0
		.amdhsa_tg_split 0
		.amdhsa_exception_fp_ieee_invalid_op 0
		.amdhsa_exception_fp_denorm_src 0
		.amdhsa_exception_fp_ieee_div_zero 0
		.amdhsa_exception_fp_ieee_overflow 0
		.amdhsa_exception_fp_ieee_underflow 0
		.amdhsa_exception_fp_ieee_inexact 0
		.amdhsa_exception_int_div_zero 0
	.end_amdhsa_kernel
	.section	.text._ZN7rocprim17ROCPRIM_400000_NS6detail17trampoline_kernelINS0_14default_configENS1_29reduce_by_key_config_selectorIalN6thrust23THRUST_200600_302600_NS4plusIlEEEEZZNS1_33reduce_by_key_impl_wrapped_configILNS1_25lookback_scan_determinismE0ES3_S9_PaNS6_17constant_iteratorIiNS6_11use_defaultESE_EENS6_10device_ptrIaEENSG_IlEEPmS8_NS6_8equal_toIaEEEE10hipError_tPvRmT2_T3_mT4_T5_T6_T7_T8_P12ihipStream_tbENKUlT_T0_E_clISt17integral_constantIbLb0EES12_IbLb1EEEEDaSY_SZ_EUlSY_E_NS1_11comp_targetILNS1_3genE2ELNS1_11target_archE906ELNS1_3gpuE6ELNS1_3repE0EEENS1_30default_config_static_selectorELNS0_4arch9wavefront6targetE1EEEvT1_,"axG",@progbits,_ZN7rocprim17ROCPRIM_400000_NS6detail17trampoline_kernelINS0_14default_configENS1_29reduce_by_key_config_selectorIalN6thrust23THRUST_200600_302600_NS4plusIlEEEEZZNS1_33reduce_by_key_impl_wrapped_configILNS1_25lookback_scan_determinismE0ES3_S9_PaNS6_17constant_iteratorIiNS6_11use_defaultESE_EENS6_10device_ptrIaEENSG_IlEEPmS8_NS6_8equal_toIaEEEE10hipError_tPvRmT2_T3_mT4_T5_T6_T7_T8_P12ihipStream_tbENKUlT_T0_E_clISt17integral_constantIbLb0EES12_IbLb1EEEEDaSY_SZ_EUlSY_E_NS1_11comp_targetILNS1_3genE2ELNS1_11target_archE906ELNS1_3gpuE6ELNS1_3repE0EEENS1_30default_config_static_selectorELNS0_4arch9wavefront6targetE1EEEvT1_,comdat
.Lfunc_end703:
	.size	_ZN7rocprim17ROCPRIM_400000_NS6detail17trampoline_kernelINS0_14default_configENS1_29reduce_by_key_config_selectorIalN6thrust23THRUST_200600_302600_NS4plusIlEEEEZZNS1_33reduce_by_key_impl_wrapped_configILNS1_25lookback_scan_determinismE0ES3_S9_PaNS6_17constant_iteratorIiNS6_11use_defaultESE_EENS6_10device_ptrIaEENSG_IlEEPmS8_NS6_8equal_toIaEEEE10hipError_tPvRmT2_T3_mT4_T5_T6_T7_T8_P12ihipStream_tbENKUlT_T0_E_clISt17integral_constantIbLb0EES12_IbLb1EEEEDaSY_SZ_EUlSY_E_NS1_11comp_targetILNS1_3genE2ELNS1_11target_archE906ELNS1_3gpuE6ELNS1_3repE0EEENS1_30default_config_static_selectorELNS0_4arch9wavefront6targetE1EEEvT1_, .Lfunc_end703-_ZN7rocprim17ROCPRIM_400000_NS6detail17trampoline_kernelINS0_14default_configENS1_29reduce_by_key_config_selectorIalN6thrust23THRUST_200600_302600_NS4plusIlEEEEZZNS1_33reduce_by_key_impl_wrapped_configILNS1_25lookback_scan_determinismE0ES3_S9_PaNS6_17constant_iteratorIiNS6_11use_defaultESE_EENS6_10device_ptrIaEENSG_IlEEPmS8_NS6_8equal_toIaEEEE10hipError_tPvRmT2_T3_mT4_T5_T6_T7_T8_P12ihipStream_tbENKUlT_T0_E_clISt17integral_constantIbLb0EES12_IbLb1EEEEDaSY_SZ_EUlSY_E_NS1_11comp_targetILNS1_3genE2ELNS1_11target_archE906ELNS1_3gpuE6ELNS1_3repE0EEENS1_30default_config_static_selectorELNS0_4arch9wavefront6targetE1EEEvT1_
                                        ; -- End function
	.section	.AMDGPU.csdata,"",@progbits
; Kernel info:
; codeLenInByte = 0
; NumSgprs: 4
; NumVgprs: 0
; NumAgprs: 0
; TotalNumVgprs: 0
; ScratchSize: 0
; MemoryBound: 0
; FloatMode: 240
; IeeeMode: 1
; LDSByteSize: 0 bytes/workgroup (compile time only)
; SGPRBlocks: 0
; VGPRBlocks: 0
; NumSGPRsForWavesPerEU: 4
; NumVGPRsForWavesPerEU: 1
; AccumOffset: 4
; Occupancy: 8
; WaveLimiterHint : 0
; COMPUTE_PGM_RSRC2:SCRATCH_EN: 0
; COMPUTE_PGM_RSRC2:USER_SGPR: 6
; COMPUTE_PGM_RSRC2:TRAP_HANDLER: 0
; COMPUTE_PGM_RSRC2:TGID_X_EN: 1
; COMPUTE_PGM_RSRC2:TGID_Y_EN: 0
; COMPUTE_PGM_RSRC2:TGID_Z_EN: 0
; COMPUTE_PGM_RSRC2:TIDIG_COMP_CNT: 0
; COMPUTE_PGM_RSRC3_GFX90A:ACCUM_OFFSET: 0
; COMPUTE_PGM_RSRC3_GFX90A:TG_SPLIT: 0
	.section	.text._ZN7rocprim17ROCPRIM_400000_NS6detail17trampoline_kernelINS0_14default_configENS1_29reduce_by_key_config_selectorIalN6thrust23THRUST_200600_302600_NS4plusIlEEEEZZNS1_33reduce_by_key_impl_wrapped_configILNS1_25lookback_scan_determinismE0ES3_S9_PaNS6_17constant_iteratorIiNS6_11use_defaultESE_EENS6_10device_ptrIaEENSG_IlEEPmS8_NS6_8equal_toIaEEEE10hipError_tPvRmT2_T3_mT4_T5_T6_T7_T8_P12ihipStream_tbENKUlT_T0_E_clISt17integral_constantIbLb0EES12_IbLb1EEEEDaSY_SZ_EUlSY_E_NS1_11comp_targetILNS1_3genE10ELNS1_11target_archE1201ELNS1_3gpuE5ELNS1_3repE0EEENS1_30default_config_static_selectorELNS0_4arch9wavefront6targetE1EEEvT1_,"axG",@progbits,_ZN7rocprim17ROCPRIM_400000_NS6detail17trampoline_kernelINS0_14default_configENS1_29reduce_by_key_config_selectorIalN6thrust23THRUST_200600_302600_NS4plusIlEEEEZZNS1_33reduce_by_key_impl_wrapped_configILNS1_25lookback_scan_determinismE0ES3_S9_PaNS6_17constant_iteratorIiNS6_11use_defaultESE_EENS6_10device_ptrIaEENSG_IlEEPmS8_NS6_8equal_toIaEEEE10hipError_tPvRmT2_T3_mT4_T5_T6_T7_T8_P12ihipStream_tbENKUlT_T0_E_clISt17integral_constantIbLb0EES12_IbLb1EEEEDaSY_SZ_EUlSY_E_NS1_11comp_targetILNS1_3genE10ELNS1_11target_archE1201ELNS1_3gpuE5ELNS1_3repE0EEENS1_30default_config_static_selectorELNS0_4arch9wavefront6targetE1EEEvT1_,comdat
	.protected	_ZN7rocprim17ROCPRIM_400000_NS6detail17trampoline_kernelINS0_14default_configENS1_29reduce_by_key_config_selectorIalN6thrust23THRUST_200600_302600_NS4plusIlEEEEZZNS1_33reduce_by_key_impl_wrapped_configILNS1_25lookback_scan_determinismE0ES3_S9_PaNS6_17constant_iteratorIiNS6_11use_defaultESE_EENS6_10device_ptrIaEENSG_IlEEPmS8_NS6_8equal_toIaEEEE10hipError_tPvRmT2_T3_mT4_T5_T6_T7_T8_P12ihipStream_tbENKUlT_T0_E_clISt17integral_constantIbLb0EES12_IbLb1EEEEDaSY_SZ_EUlSY_E_NS1_11comp_targetILNS1_3genE10ELNS1_11target_archE1201ELNS1_3gpuE5ELNS1_3repE0EEENS1_30default_config_static_selectorELNS0_4arch9wavefront6targetE1EEEvT1_ ; -- Begin function _ZN7rocprim17ROCPRIM_400000_NS6detail17trampoline_kernelINS0_14default_configENS1_29reduce_by_key_config_selectorIalN6thrust23THRUST_200600_302600_NS4plusIlEEEEZZNS1_33reduce_by_key_impl_wrapped_configILNS1_25lookback_scan_determinismE0ES3_S9_PaNS6_17constant_iteratorIiNS6_11use_defaultESE_EENS6_10device_ptrIaEENSG_IlEEPmS8_NS6_8equal_toIaEEEE10hipError_tPvRmT2_T3_mT4_T5_T6_T7_T8_P12ihipStream_tbENKUlT_T0_E_clISt17integral_constantIbLb0EES12_IbLb1EEEEDaSY_SZ_EUlSY_E_NS1_11comp_targetILNS1_3genE10ELNS1_11target_archE1201ELNS1_3gpuE5ELNS1_3repE0EEENS1_30default_config_static_selectorELNS0_4arch9wavefront6targetE1EEEvT1_
	.globl	_ZN7rocprim17ROCPRIM_400000_NS6detail17trampoline_kernelINS0_14default_configENS1_29reduce_by_key_config_selectorIalN6thrust23THRUST_200600_302600_NS4plusIlEEEEZZNS1_33reduce_by_key_impl_wrapped_configILNS1_25lookback_scan_determinismE0ES3_S9_PaNS6_17constant_iteratorIiNS6_11use_defaultESE_EENS6_10device_ptrIaEENSG_IlEEPmS8_NS6_8equal_toIaEEEE10hipError_tPvRmT2_T3_mT4_T5_T6_T7_T8_P12ihipStream_tbENKUlT_T0_E_clISt17integral_constantIbLb0EES12_IbLb1EEEEDaSY_SZ_EUlSY_E_NS1_11comp_targetILNS1_3genE10ELNS1_11target_archE1201ELNS1_3gpuE5ELNS1_3repE0EEENS1_30default_config_static_selectorELNS0_4arch9wavefront6targetE1EEEvT1_
	.p2align	8
	.type	_ZN7rocprim17ROCPRIM_400000_NS6detail17trampoline_kernelINS0_14default_configENS1_29reduce_by_key_config_selectorIalN6thrust23THRUST_200600_302600_NS4plusIlEEEEZZNS1_33reduce_by_key_impl_wrapped_configILNS1_25lookback_scan_determinismE0ES3_S9_PaNS6_17constant_iteratorIiNS6_11use_defaultESE_EENS6_10device_ptrIaEENSG_IlEEPmS8_NS6_8equal_toIaEEEE10hipError_tPvRmT2_T3_mT4_T5_T6_T7_T8_P12ihipStream_tbENKUlT_T0_E_clISt17integral_constantIbLb0EES12_IbLb1EEEEDaSY_SZ_EUlSY_E_NS1_11comp_targetILNS1_3genE10ELNS1_11target_archE1201ELNS1_3gpuE5ELNS1_3repE0EEENS1_30default_config_static_selectorELNS0_4arch9wavefront6targetE1EEEvT1_,@function
_ZN7rocprim17ROCPRIM_400000_NS6detail17trampoline_kernelINS0_14default_configENS1_29reduce_by_key_config_selectorIalN6thrust23THRUST_200600_302600_NS4plusIlEEEEZZNS1_33reduce_by_key_impl_wrapped_configILNS1_25lookback_scan_determinismE0ES3_S9_PaNS6_17constant_iteratorIiNS6_11use_defaultESE_EENS6_10device_ptrIaEENSG_IlEEPmS8_NS6_8equal_toIaEEEE10hipError_tPvRmT2_T3_mT4_T5_T6_T7_T8_P12ihipStream_tbENKUlT_T0_E_clISt17integral_constantIbLb0EES12_IbLb1EEEEDaSY_SZ_EUlSY_E_NS1_11comp_targetILNS1_3genE10ELNS1_11target_archE1201ELNS1_3gpuE5ELNS1_3repE0EEENS1_30default_config_static_selectorELNS0_4arch9wavefront6targetE1EEEvT1_: ; @_ZN7rocprim17ROCPRIM_400000_NS6detail17trampoline_kernelINS0_14default_configENS1_29reduce_by_key_config_selectorIalN6thrust23THRUST_200600_302600_NS4plusIlEEEEZZNS1_33reduce_by_key_impl_wrapped_configILNS1_25lookback_scan_determinismE0ES3_S9_PaNS6_17constant_iteratorIiNS6_11use_defaultESE_EENS6_10device_ptrIaEENSG_IlEEPmS8_NS6_8equal_toIaEEEE10hipError_tPvRmT2_T3_mT4_T5_T6_T7_T8_P12ihipStream_tbENKUlT_T0_E_clISt17integral_constantIbLb0EES12_IbLb1EEEEDaSY_SZ_EUlSY_E_NS1_11comp_targetILNS1_3genE10ELNS1_11target_archE1201ELNS1_3gpuE5ELNS1_3repE0EEENS1_30default_config_static_selectorELNS0_4arch9wavefront6targetE1EEEvT1_
; %bb.0:
	.section	.rodata,"a",@progbits
	.p2align	6, 0x0
	.amdhsa_kernel _ZN7rocprim17ROCPRIM_400000_NS6detail17trampoline_kernelINS0_14default_configENS1_29reduce_by_key_config_selectorIalN6thrust23THRUST_200600_302600_NS4plusIlEEEEZZNS1_33reduce_by_key_impl_wrapped_configILNS1_25lookback_scan_determinismE0ES3_S9_PaNS6_17constant_iteratorIiNS6_11use_defaultESE_EENS6_10device_ptrIaEENSG_IlEEPmS8_NS6_8equal_toIaEEEE10hipError_tPvRmT2_T3_mT4_T5_T6_T7_T8_P12ihipStream_tbENKUlT_T0_E_clISt17integral_constantIbLb0EES12_IbLb1EEEEDaSY_SZ_EUlSY_E_NS1_11comp_targetILNS1_3genE10ELNS1_11target_archE1201ELNS1_3gpuE5ELNS1_3repE0EEENS1_30default_config_static_selectorELNS0_4arch9wavefront6targetE1EEEvT1_
		.amdhsa_group_segment_fixed_size 0
		.amdhsa_private_segment_fixed_size 0
		.amdhsa_kernarg_size 144
		.amdhsa_user_sgpr_count 6
		.amdhsa_user_sgpr_private_segment_buffer 1
		.amdhsa_user_sgpr_dispatch_ptr 0
		.amdhsa_user_sgpr_queue_ptr 0
		.amdhsa_user_sgpr_kernarg_segment_ptr 1
		.amdhsa_user_sgpr_dispatch_id 0
		.amdhsa_user_sgpr_flat_scratch_init 0
		.amdhsa_user_sgpr_kernarg_preload_length 0
		.amdhsa_user_sgpr_kernarg_preload_offset 0
		.amdhsa_user_sgpr_private_segment_size 0
		.amdhsa_uses_dynamic_stack 0
		.amdhsa_system_sgpr_private_segment_wavefront_offset 0
		.amdhsa_system_sgpr_workgroup_id_x 1
		.amdhsa_system_sgpr_workgroup_id_y 0
		.amdhsa_system_sgpr_workgroup_id_z 0
		.amdhsa_system_sgpr_workgroup_info 0
		.amdhsa_system_vgpr_workitem_id 0
		.amdhsa_next_free_vgpr 1
		.amdhsa_next_free_sgpr 0
		.amdhsa_accum_offset 4
		.amdhsa_reserve_vcc 0
		.amdhsa_reserve_flat_scratch 0
		.amdhsa_float_round_mode_32 0
		.amdhsa_float_round_mode_16_64 0
		.amdhsa_float_denorm_mode_32 3
		.amdhsa_float_denorm_mode_16_64 3
		.amdhsa_dx10_clamp 1
		.amdhsa_ieee_mode 1
		.amdhsa_fp16_overflow 0
		.amdhsa_tg_split 0
		.amdhsa_exception_fp_ieee_invalid_op 0
		.amdhsa_exception_fp_denorm_src 0
		.amdhsa_exception_fp_ieee_div_zero 0
		.amdhsa_exception_fp_ieee_overflow 0
		.amdhsa_exception_fp_ieee_underflow 0
		.amdhsa_exception_fp_ieee_inexact 0
		.amdhsa_exception_int_div_zero 0
	.end_amdhsa_kernel
	.section	.text._ZN7rocprim17ROCPRIM_400000_NS6detail17trampoline_kernelINS0_14default_configENS1_29reduce_by_key_config_selectorIalN6thrust23THRUST_200600_302600_NS4plusIlEEEEZZNS1_33reduce_by_key_impl_wrapped_configILNS1_25lookback_scan_determinismE0ES3_S9_PaNS6_17constant_iteratorIiNS6_11use_defaultESE_EENS6_10device_ptrIaEENSG_IlEEPmS8_NS6_8equal_toIaEEEE10hipError_tPvRmT2_T3_mT4_T5_T6_T7_T8_P12ihipStream_tbENKUlT_T0_E_clISt17integral_constantIbLb0EES12_IbLb1EEEEDaSY_SZ_EUlSY_E_NS1_11comp_targetILNS1_3genE10ELNS1_11target_archE1201ELNS1_3gpuE5ELNS1_3repE0EEENS1_30default_config_static_selectorELNS0_4arch9wavefront6targetE1EEEvT1_,"axG",@progbits,_ZN7rocprim17ROCPRIM_400000_NS6detail17trampoline_kernelINS0_14default_configENS1_29reduce_by_key_config_selectorIalN6thrust23THRUST_200600_302600_NS4plusIlEEEEZZNS1_33reduce_by_key_impl_wrapped_configILNS1_25lookback_scan_determinismE0ES3_S9_PaNS6_17constant_iteratorIiNS6_11use_defaultESE_EENS6_10device_ptrIaEENSG_IlEEPmS8_NS6_8equal_toIaEEEE10hipError_tPvRmT2_T3_mT4_T5_T6_T7_T8_P12ihipStream_tbENKUlT_T0_E_clISt17integral_constantIbLb0EES12_IbLb1EEEEDaSY_SZ_EUlSY_E_NS1_11comp_targetILNS1_3genE10ELNS1_11target_archE1201ELNS1_3gpuE5ELNS1_3repE0EEENS1_30default_config_static_selectorELNS0_4arch9wavefront6targetE1EEEvT1_,comdat
.Lfunc_end704:
	.size	_ZN7rocprim17ROCPRIM_400000_NS6detail17trampoline_kernelINS0_14default_configENS1_29reduce_by_key_config_selectorIalN6thrust23THRUST_200600_302600_NS4plusIlEEEEZZNS1_33reduce_by_key_impl_wrapped_configILNS1_25lookback_scan_determinismE0ES3_S9_PaNS6_17constant_iteratorIiNS6_11use_defaultESE_EENS6_10device_ptrIaEENSG_IlEEPmS8_NS6_8equal_toIaEEEE10hipError_tPvRmT2_T3_mT4_T5_T6_T7_T8_P12ihipStream_tbENKUlT_T0_E_clISt17integral_constantIbLb0EES12_IbLb1EEEEDaSY_SZ_EUlSY_E_NS1_11comp_targetILNS1_3genE10ELNS1_11target_archE1201ELNS1_3gpuE5ELNS1_3repE0EEENS1_30default_config_static_selectorELNS0_4arch9wavefront6targetE1EEEvT1_, .Lfunc_end704-_ZN7rocprim17ROCPRIM_400000_NS6detail17trampoline_kernelINS0_14default_configENS1_29reduce_by_key_config_selectorIalN6thrust23THRUST_200600_302600_NS4plusIlEEEEZZNS1_33reduce_by_key_impl_wrapped_configILNS1_25lookback_scan_determinismE0ES3_S9_PaNS6_17constant_iteratorIiNS6_11use_defaultESE_EENS6_10device_ptrIaEENSG_IlEEPmS8_NS6_8equal_toIaEEEE10hipError_tPvRmT2_T3_mT4_T5_T6_T7_T8_P12ihipStream_tbENKUlT_T0_E_clISt17integral_constantIbLb0EES12_IbLb1EEEEDaSY_SZ_EUlSY_E_NS1_11comp_targetILNS1_3genE10ELNS1_11target_archE1201ELNS1_3gpuE5ELNS1_3repE0EEENS1_30default_config_static_selectorELNS0_4arch9wavefront6targetE1EEEvT1_
                                        ; -- End function
	.section	.AMDGPU.csdata,"",@progbits
; Kernel info:
; codeLenInByte = 0
; NumSgprs: 4
; NumVgprs: 0
; NumAgprs: 0
; TotalNumVgprs: 0
; ScratchSize: 0
; MemoryBound: 0
; FloatMode: 240
; IeeeMode: 1
; LDSByteSize: 0 bytes/workgroup (compile time only)
; SGPRBlocks: 0
; VGPRBlocks: 0
; NumSGPRsForWavesPerEU: 4
; NumVGPRsForWavesPerEU: 1
; AccumOffset: 4
; Occupancy: 8
; WaveLimiterHint : 0
; COMPUTE_PGM_RSRC2:SCRATCH_EN: 0
; COMPUTE_PGM_RSRC2:USER_SGPR: 6
; COMPUTE_PGM_RSRC2:TRAP_HANDLER: 0
; COMPUTE_PGM_RSRC2:TGID_X_EN: 1
; COMPUTE_PGM_RSRC2:TGID_Y_EN: 0
; COMPUTE_PGM_RSRC2:TGID_Z_EN: 0
; COMPUTE_PGM_RSRC2:TIDIG_COMP_CNT: 0
; COMPUTE_PGM_RSRC3_GFX90A:ACCUM_OFFSET: 0
; COMPUTE_PGM_RSRC3_GFX90A:TG_SPLIT: 0
	.section	.text._ZN7rocprim17ROCPRIM_400000_NS6detail17trampoline_kernelINS0_14default_configENS1_29reduce_by_key_config_selectorIalN6thrust23THRUST_200600_302600_NS4plusIlEEEEZZNS1_33reduce_by_key_impl_wrapped_configILNS1_25lookback_scan_determinismE0ES3_S9_PaNS6_17constant_iteratorIiNS6_11use_defaultESE_EENS6_10device_ptrIaEENSG_IlEEPmS8_NS6_8equal_toIaEEEE10hipError_tPvRmT2_T3_mT4_T5_T6_T7_T8_P12ihipStream_tbENKUlT_T0_E_clISt17integral_constantIbLb0EES12_IbLb1EEEEDaSY_SZ_EUlSY_E_NS1_11comp_targetILNS1_3genE10ELNS1_11target_archE1200ELNS1_3gpuE4ELNS1_3repE0EEENS1_30default_config_static_selectorELNS0_4arch9wavefront6targetE1EEEvT1_,"axG",@progbits,_ZN7rocprim17ROCPRIM_400000_NS6detail17trampoline_kernelINS0_14default_configENS1_29reduce_by_key_config_selectorIalN6thrust23THRUST_200600_302600_NS4plusIlEEEEZZNS1_33reduce_by_key_impl_wrapped_configILNS1_25lookback_scan_determinismE0ES3_S9_PaNS6_17constant_iteratorIiNS6_11use_defaultESE_EENS6_10device_ptrIaEENSG_IlEEPmS8_NS6_8equal_toIaEEEE10hipError_tPvRmT2_T3_mT4_T5_T6_T7_T8_P12ihipStream_tbENKUlT_T0_E_clISt17integral_constantIbLb0EES12_IbLb1EEEEDaSY_SZ_EUlSY_E_NS1_11comp_targetILNS1_3genE10ELNS1_11target_archE1200ELNS1_3gpuE4ELNS1_3repE0EEENS1_30default_config_static_selectorELNS0_4arch9wavefront6targetE1EEEvT1_,comdat
	.protected	_ZN7rocprim17ROCPRIM_400000_NS6detail17trampoline_kernelINS0_14default_configENS1_29reduce_by_key_config_selectorIalN6thrust23THRUST_200600_302600_NS4plusIlEEEEZZNS1_33reduce_by_key_impl_wrapped_configILNS1_25lookback_scan_determinismE0ES3_S9_PaNS6_17constant_iteratorIiNS6_11use_defaultESE_EENS6_10device_ptrIaEENSG_IlEEPmS8_NS6_8equal_toIaEEEE10hipError_tPvRmT2_T3_mT4_T5_T6_T7_T8_P12ihipStream_tbENKUlT_T0_E_clISt17integral_constantIbLb0EES12_IbLb1EEEEDaSY_SZ_EUlSY_E_NS1_11comp_targetILNS1_3genE10ELNS1_11target_archE1200ELNS1_3gpuE4ELNS1_3repE0EEENS1_30default_config_static_selectorELNS0_4arch9wavefront6targetE1EEEvT1_ ; -- Begin function _ZN7rocprim17ROCPRIM_400000_NS6detail17trampoline_kernelINS0_14default_configENS1_29reduce_by_key_config_selectorIalN6thrust23THRUST_200600_302600_NS4plusIlEEEEZZNS1_33reduce_by_key_impl_wrapped_configILNS1_25lookback_scan_determinismE0ES3_S9_PaNS6_17constant_iteratorIiNS6_11use_defaultESE_EENS6_10device_ptrIaEENSG_IlEEPmS8_NS6_8equal_toIaEEEE10hipError_tPvRmT2_T3_mT4_T5_T6_T7_T8_P12ihipStream_tbENKUlT_T0_E_clISt17integral_constantIbLb0EES12_IbLb1EEEEDaSY_SZ_EUlSY_E_NS1_11comp_targetILNS1_3genE10ELNS1_11target_archE1200ELNS1_3gpuE4ELNS1_3repE0EEENS1_30default_config_static_selectorELNS0_4arch9wavefront6targetE1EEEvT1_
	.globl	_ZN7rocprim17ROCPRIM_400000_NS6detail17trampoline_kernelINS0_14default_configENS1_29reduce_by_key_config_selectorIalN6thrust23THRUST_200600_302600_NS4plusIlEEEEZZNS1_33reduce_by_key_impl_wrapped_configILNS1_25lookback_scan_determinismE0ES3_S9_PaNS6_17constant_iteratorIiNS6_11use_defaultESE_EENS6_10device_ptrIaEENSG_IlEEPmS8_NS6_8equal_toIaEEEE10hipError_tPvRmT2_T3_mT4_T5_T6_T7_T8_P12ihipStream_tbENKUlT_T0_E_clISt17integral_constantIbLb0EES12_IbLb1EEEEDaSY_SZ_EUlSY_E_NS1_11comp_targetILNS1_3genE10ELNS1_11target_archE1200ELNS1_3gpuE4ELNS1_3repE0EEENS1_30default_config_static_selectorELNS0_4arch9wavefront6targetE1EEEvT1_
	.p2align	8
	.type	_ZN7rocprim17ROCPRIM_400000_NS6detail17trampoline_kernelINS0_14default_configENS1_29reduce_by_key_config_selectorIalN6thrust23THRUST_200600_302600_NS4plusIlEEEEZZNS1_33reduce_by_key_impl_wrapped_configILNS1_25lookback_scan_determinismE0ES3_S9_PaNS6_17constant_iteratorIiNS6_11use_defaultESE_EENS6_10device_ptrIaEENSG_IlEEPmS8_NS6_8equal_toIaEEEE10hipError_tPvRmT2_T3_mT4_T5_T6_T7_T8_P12ihipStream_tbENKUlT_T0_E_clISt17integral_constantIbLb0EES12_IbLb1EEEEDaSY_SZ_EUlSY_E_NS1_11comp_targetILNS1_3genE10ELNS1_11target_archE1200ELNS1_3gpuE4ELNS1_3repE0EEENS1_30default_config_static_selectorELNS0_4arch9wavefront6targetE1EEEvT1_,@function
_ZN7rocprim17ROCPRIM_400000_NS6detail17trampoline_kernelINS0_14default_configENS1_29reduce_by_key_config_selectorIalN6thrust23THRUST_200600_302600_NS4plusIlEEEEZZNS1_33reduce_by_key_impl_wrapped_configILNS1_25lookback_scan_determinismE0ES3_S9_PaNS6_17constant_iteratorIiNS6_11use_defaultESE_EENS6_10device_ptrIaEENSG_IlEEPmS8_NS6_8equal_toIaEEEE10hipError_tPvRmT2_T3_mT4_T5_T6_T7_T8_P12ihipStream_tbENKUlT_T0_E_clISt17integral_constantIbLb0EES12_IbLb1EEEEDaSY_SZ_EUlSY_E_NS1_11comp_targetILNS1_3genE10ELNS1_11target_archE1200ELNS1_3gpuE4ELNS1_3repE0EEENS1_30default_config_static_selectorELNS0_4arch9wavefront6targetE1EEEvT1_: ; @_ZN7rocprim17ROCPRIM_400000_NS6detail17trampoline_kernelINS0_14default_configENS1_29reduce_by_key_config_selectorIalN6thrust23THRUST_200600_302600_NS4plusIlEEEEZZNS1_33reduce_by_key_impl_wrapped_configILNS1_25lookback_scan_determinismE0ES3_S9_PaNS6_17constant_iteratorIiNS6_11use_defaultESE_EENS6_10device_ptrIaEENSG_IlEEPmS8_NS6_8equal_toIaEEEE10hipError_tPvRmT2_T3_mT4_T5_T6_T7_T8_P12ihipStream_tbENKUlT_T0_E_clISt17integral_constantIbLb0EES12_IbLb1EEEEDaSY_SZ_EUlSY_E_NS1_11comp_targetILNS1_3genE10ELNS1_11target_archE1200ELNS1_3gpuE4ELNS1_3repE0EEENS1_30default_config_static_selectorELNS0_4arch9wavefront6targetE1EEEvT1_
; %bb.0:
	.section	.rodata,"a",@progbits
	.p2align	6, 0x0
	.amdhsa_kernel _ZN7rocprim17ROCPRIM_400000_NS6detail17trampoline_kernelINS0_14default_configENS1_29reduce_by_key_config_selectorIalN6thrust23THRUST_200600_302600_NS4plusIlEEEEZZNS1_33reduce_by_key_impl_wrapped_configILNS1_25lookback_scan_determinismE0ES3_S9_PaNS6_17constant_iteratorIiNS6_11use_defaultESE_EENS6_10device_ptrIaEENSG_IlEEPmS8_NS6_8equal_toIaEEEE10hipError_tPvRmT2_T3_mT4_T5_T6_T7_T8_P12ihipStream_tbENKUlT_T0_E_clISt17integral_constantIbLb0EES12_IbLb1EEEEDaSY_SZ_EUlSY_E_NS1_11comp_targetILNS1_3genE10ELNS1_11target_archE1200ELNS1_3gpuE4ELNS1_3repE0EEENS1_30default_config_static_selectorELNS0_4arch9wavefront6targetE1EEEvT1_
		.amdhsa_group_segment_fixed_size 0
		.amdhsa_private_segment_fixed_size 0
		.amdhsa_kernarg_size 144
		.amdhsa_user_sgpr_count 6
		.amdhsa_user_sgpr_private_segment_buffer 1
		.amdhsa_user_sgpr_dispatch_ptr 0
		.amdhsa_user_sgpr_queue_ptr 0
		.amdhsa_user_sgpr_kernarg_segment_ptr 1
		.amdhsa_user_sgpr_dispatch_id 0
		.amdhsa_user_sgpr_flat_scratch_init 0
		.amdhsa_user_sgpr_kernarg_preload_length 0
		.amdhsa_user_sgpr_kernarg_preload_offset 0
		.amdhsa_user_sgpr_private_segment_size 0
		.amdhsa_uses_dynamic_stack 0
		.amdhsa_system_sgpr_private_segment_wavefront_offset 0
		.amdhsa_system_sgpr_workgroup_id_x 1
		.amdhsa_system_sgpr_workgroup_id_y 0
		.amdhsa_system_sgpr_workgroup_id_z 0
		.amdhsa_system_sgpr_workgroup_info 0
		.amdhsa_system_vgpr_workitem_id 0
		.amdhsa_next_free_vgpr 1
		.amdhsa_next_free_sgpr 0
		.amdhsa_accum_offset 4
		.amdhsa_reserve_vcc 0
		.amdhsa_reserve_flat_scratch 0
		.amdhsa_float_round_mode_32 0
		.amdhsa_float_round_mode_16_64 0
		.amdhsa_float_denorm_mode_32 3
		.amdhsa_float_denorm_mode_16_64 3
		.amdhsa_dx10_clamp 1
		.amdhsa_ieee_mode 1
		.amdhsa_fp16_overflow 0
		.amdhsa_tg_split 0
		.amdhsa_exception_fp_ieee_invalid_op 0
		.amdhsa_exception_fp_denorm_src 0
		.amdhsa_exception_fp_ieee_div_zero 0
		.amdhsa_exception_fp_ieee_overflow 0
		.amdhsa_exception_fp_ieee_underflow 0
		.amdhsa_exception_fp_ieee_inexact 0
		.amdhsa_exception_int_div_zero 0
	.end_amdhsa_kernel
	.section	.text._ZN7rocprim17ROCPRIM_400000_NS6detail17trampoline_kernelINS0_14default_configENS1_29reduce_by_key_config_selectorIalN6thrust23THRUST_200600_302600_NS4plusIlEEEEZZNS1_33reduce_by_key_impl_wrapped_configILNS1_25lookback_scan_determinismE0ES3_S9_PaNS6_17constant_iteratorIiNS6_11use_defaultESE_EENS6_10device_ptrIaEENSG_IlEEPmS8_NS6_8equal_toIaEEEE10hipError_tPvRmT2_T3_mT4_T5_T6_T7_T8_P12ihipStream_tbENKUlT_T0_E_clISt17integral_constantIbLb0EES12_IbLb1EEEEDaSY_SZ_EUlSY_E_NS1_11comp_targetILNS1_3genE10ELNS1_11target_archE1200ELNS1_3gpuE4ELNS1_3repE0EEENS1_30default_config_static_selectorELNS0_4arch9wavefront6targetE1EEEvT1_,"axG",@progbits,_ZN7rocprim17ROCPRIM_400000_NS6detail17trampoline_kernelINS0_14default_configENS1_29reduce_by_key_config_selectorIalN6thrust23THRUST_200600_302600_NS4plusIlEEEEZZNS1_33reduce_by_key_impl_wrapped_configILNS1_25lookback_scan_determinismE0ES3_S9_PaNS6_17constant_iteratorIiNS6_11use_defaultESE_EENS6_10device_ptrIaEENSG_IlEEPmS8_NS6_8equal_toIaEEEE10hipError_tPvRmT2_T3_mT4_T5_T6_T7_T8_P12ihipStream_tbENKUlT_T0_E_clISt17integral_constantIbLb0EES12_IbLb1EEEEDaSY_SZ_EUlSY_E_NS1_11comp_targetILNS1_3genE10ELNS1_11target_archE1200ELNS1_3gpuE4ELNS1_3repE0EEENS1_30default_config_static_selectorELNS0_4arch9wavefront6targetE1EEEvT1_,comdat
.Lfunc_end705:
	.size	_ZN7rocprim17ROCPRIM_400000_NS6detail17trampoline_kernelINS0_14default_configENS1_29reduce_by_key_config_selectorIalN6thrust23THRUST_200600_302600_NS4plusIlEEEEZZNS1_33reduce_by_key_impl_wrapped_configILNS1_25lookback_scan_determinismE0ES3_S9_PaNS6_17constant_iteratorIiNS6_11use_defaultESE_EENS6_10device_ptrIaEENSG_IlEEPmS8_NS6_8equal_toIaEEEE10hipError_tPvRmT2_T3_mT4_T5_T6_T7_T8_P12ihipStream_tbENKUlT_T0_E_clISt17integral_constantIbLb0EES12_IbLb1EEEEDaSY_SZ_EUlSY_E_NS1_11comp_targetILNS1_3genE10ELNS1_11target_archE1200ELNS1_3gpuE4ELNS1_3repE0EEENS1_30default_config_static_selectorELNS0_4arch9wavefront6targetE1EEEvT1_, .Lfunc_end705-_ZN7rocprim17ROCPRIM_400000_NS6detail17trampoline_kernelINS0_14default_configENS1_29reduce_by_key_config_selectorIalN6thrust23THRUST_200600_302600_NS4plusIlEEEEZZNS1_33reduce_by_key_impl_wrapped_configILNS1_25lookback_scan_determinismE0ES3_S9_PaNS6_17constant_iteratorIiNS6_11use_defaultESE_EENS6_10device_ptrIaEENSG_IlEEPmS8_NS6_8equal_toIaEEEE10hipError_tPvRmT2_T3_mT4_T5_T6_T7_T8_P12ihipStream_tbENKUlT_T0_E_clISt17integral_constantIbLb0EES12_IbLb1EEEEDaSY_SZ_EUlSY_E_NS1_11comp_targetILNS1_3genE10ELNS1_11target_archE1200ELNS1_3gpuE4ELNS1_3repE0EEENS1_30default_config_static_selectorELNS0_4arch9wavefront6targetE1EEEvT1_
                                        ; -- End function
	.section	.AMDGPU.csdata,"",@progbits
; Kernel info:
; codeLenInByte = 0
; NumSgprs: 4
; NumVgprs: 0
; NumAgprs: 0
; TotalNumVgprs: 0
; ScratchSize: 0
; MemoryBound: 0
; FloatMode: 240
; IeeeMode: 1
; LDSByteSize: 0 bytes/workgroup (compile time only)
; SGPRBlocks: 0
; VGPRBlocks: 0
; NumSGPRsForWavesPerEU: 4
; NumVGPRsForWavesPerEU: 1
; AccumOffset: 4
; Occupancy: 8
; WaveLimiterHint : 0
; COMPUTE_PGM_RSRC2:SCRATCH_EN: 0
; COMPUTE_PGM_RSRC2:USER_SGPR: 6
; COMPUTE_PGM_RSRC2:TRAP_HANDLER: 0
; COMPUTE_PGM_RSRC2:TGID_X_EN: 1
; COMPUTE_PGM_RSRC2:TGID_Y_EN: 0
; COMPUTE_PGM_RSRC2:TGID_Z_EN: 0
; COMPUTE_PGM_RSRC2:TIDIG_COMP_CNT: 0
; COMPUTE_PGM_RSRC3_GFX90A:ACCUM_OFFSET: 0
; COMPUTE_PGM_RSRC3_GFX90A:TG_SPLIT: 0
	.section	.text._ZN7rocprim17ROCPRIM_400000_NS6detail17trampoline_kernelINS0_14default_configENS1_29reduce_by_key_config_selectorIalN6thrust23THRUST_200600_302600_NS4plusIlEEEEZZNS1_33reduce_by_key_impl_wrapped_configILNS1_25lookback_scan_determinismE0ES3_S9_PaNS6_17constant_iteratorIiNS6_11use_defaultESE_EENS6_10device_ptrIaEENSG_IlEEPmS8_NS6_8equal_toIaEEEE10hipError_tPvRmT2_T3_mT4_T5_T6_T7_T8_P12ihipStream_tbENKUlT_T0_E_clISt17integral_constantIbLb0EES12_IbLb1EEEEDaSY_SZ_EUlSY_E_NS1_11comp_targetILNS1_3genE9ELNS1_11target_archE1100ELNS1_3gpuE3ELNS1_3repE0EEENS1_30default_config_static_selectorELNS0_4arch9wavefront6targetE1EEEvT1_,"axG",@progbits,_ZN7rocprim17ROCPRIM_400000_NS6detail17trampoline_kernelINS0_14default_configENS1_29reduce_by_key_config_selectorIalN6thrust23THRUST_200600_302600_NS4plusIlEEEEZZNS1_33reduce_by_key_impl_wrapped_configILNS1_25lookback_scan_determinismE0ES3_S9_PaNS6_17constant_iteratorIiNS6_11use_defaultESE_EENS6_10device_ptrIaEENSG_IlEEPmS8_NS6_8equal_toIaEEEE10hipError_tPvRmT2_T3_mT4_T5_T6_T7_T8_P12ihipStream_tbENKUlT_T0_E_clISt17integral_constantIbLb0EES12_IbLb1EEEEDaSY_SZ_EUlSY_E_NS1_11comp_targetILNS1_3genE9ELNS1_11target_archE1100ELNS1_3gpuE3ELNS1_3repE0EEENS1_30default_config_static_selectorELNS0_4arch9wavefront6targetE1EEEvT1_,comdat
	.protected	_ZN7rocprim17ROCPRIM_400000_NS6detail17trampoline_kernelINS0_14default_configENS1_29reduce_by_key_config_selectorIalN6thrust23THRUST_200600_302600_NS4plusIlEEEEZZNS1_33reduce_by_key_impl_wrapped_configILNS1_25lookback_scan_determinismE0ES3_S9_PaNS6_17constant_iteratorIiNS6_11use_defaultESE_EENS6_10device_ptrIaEENSG_IlEEPmS8_NS6_8equal_toIaEEEE10hipError_tPvRmT2_T3_mT4_T5_T6_T7_T8_P12ihipStream_tbENKUlT_T0_E_clISt17integral_constantIbLb0EES12_IbLb1EEEEDaSY_SZ_EUlSY_E_NS1_11comp_targetILNS1_3genE9ELNS1_11target_archE1100ELNS1_3gpuE3ELNS1_3repE0EEENS1_30default_config_static_selectorELNS0_4arch9wavefront6targetE1EEEvT1_ ; -- Begin function _ZN7rocprim17ROCPRIM_400000_NS6detail17trampoline_kernelINS0_14default_configENS1_29reduce_by_key_config_selectorIalN6thrust23THRUST_200600_302600_NS4plusIlEEEEZZNS1_33reduce_by_key_impl_wrapped_configILNS1_25lookback_scan_determinismE0ES3_S9_PaNS6_17constant_iteratorIiNS6_11use_defaultESE_EENS6_10device_ptrIaEENSG_IlEEPmS8_NS6_8equal_toIaEEEE10hipError_tPvRmT2_T3_mT4_T5_T6_T7_T8_P12ihipStream_tbENKUlT_T0_E_clISt17integral_constantIbLb0EES12_IbLb1EEEEDaSY_SZ_EUlSY_E_NS1_11comp_targetILNS1_3genE9ELNS1_11target_archE1100ELNS1_3gpuE3ELNS1_3repE0EEENS1_30default_config_static_selectorELNS0_4arch9wavefront6targetE1EEEvT1_
	.globl	_ZN7rocprim17ROCPRIM_400000_NS6detail17trampoline_kernelINS0_14default_configENS1_29reduce_by_key_config_selectorIalN6thrust23THRUST_200600_302600_NS4plusIlEEEEZZNS1_33reduce_by_key_impl_wrapped_configILNS1_25lookback_scan_determinismE0ES3_S9_PaNS6_17constant_iteratorIiNS6_11use_defaultESE_EENS6_10device_ptrIaEENSG_IlEEPmS8_NS6_8equal_toIaEEEE10hipError_tPvRmT2_T3_mT4_T5_T6_T7_T8_P12ihipStream_tbENKUlT_T0_E_clISt17integral_constantIbLb0EES12_IbLb1EEEEDaSY_SZ_EUlSY_E_NS1_11comp_targetILNS1_3genE9ELNS1_11target_archE1100ELNS1_3gpuE3ELNS1_3repE0EEENS1_30default_config_static_selectorELNS0_4arch9wavefront6targetE1EEEvT1_
	.p2align	8
	.type	_ZN7rocprim17ROCPRIM_400000_NS6detail17trampoline_kernelINS0_14default_configENS1_29reduce_by_key_config_selectorIalN6thrust23THRUST_200600_302600_NS4plusIlEEEEZZNS1_33reduce_by_key_impl_wrapped_configILNS1_25lookback_scan_determinismE0ES3_S9_PaNS6_17constant_iteratorIiNS6_11use_defaultESE_EENS6_10device_ptrIaEENSG_IlEEPmS8_NS6_8equal_toIaEEEE10hipError_tPvRmT2_T3_mT4_T5_T6_T7_T8_P12ihipStream_tbENKUlT_T0_E_clISt17integral_constantIbLb0EES12_IbLb1EEEEDaSY_SZ_EUlSY_E_NS1_11comp_targetILNS1_3genE9ELNS1_11target_archE1100ELNS1_3gpuE3ELNS1_3repE0EEENS1_30default_config_static_selectorELNS0_4arch9wavefront6targetE1EEEvT1_,@function
_ZN7rocprim17ROCPRIM_400000_NS6detail17trampoline_kernelINS0_14default_configENS1_29reduce_by_key_config_selectorIalN6thrust23THRUST_200600_302600_NS4plusIlEEEEZZNS1_33reduce_by_key_impl_wrapped_configILNS1_25lookback_scan_determinismE0ES3_S9_PaNS6_17constant_iteratorIiNS6_11use_defaultESE_EENS6_10device_ptrIaEENSG_IlEEPmS8_NS6_8equal_toIaEEEE10hipError_tPvRmT2_T3_mT4_T5_T6_T7_T8_P12ihipStream_tbENKUlT_T0_E_clISt17integral_constantIbLb0EES12_IbLb1EEEEDaSY_SZ_EUlSY_E_NS1_11comp_targetILNS1_3genE9ELNS1_11target_archE1100ELNS1_3gpuE3ELNS1_3repE0EEENS1_30default_config_static_selectorELNS0_4arch9wavefront6targetE1EEEvT1_: ; @_ZN7rocprim17ROCPRIM_400000_NS6detail17trampoline_kernelINS0_14default_configENS1_29reduce_by_key_config_selectorIalN6thrust23THRUST_200600_302600_NS4plusIlEEEEZZNS1_33reduce_by_key_impl_wrapped_configILNS1_25lookback_scan_determinismE0ES3_S9_PaNS6_17constant_iteratorIiNS6_11use_defaultESE_EENS6_10device_ptrIaEENSG_IlEEPmS8_NS6_8equal_toIaEEEE10hipError_tPvRmT2_T3_mT4_T5_T6_T7_T8_P12ihipStream_tbENKUlT_T0_E_clISt17integral_constantIbLb0EES12_IbLb1EEEEDaSY_SZ_EUlSY_E_NS1_11comp_targetILNS1_3genE9ELNS1_11target_archE1100ELNS1_3gpuE3ELNS1_3repE0EEENS1_30default_config_static_selectorELNS0_4arch9wavefront6targetE1EEEvT1_
; %bb.0:
	.section	.rodata,"a",@progbits
	.p2align	6, 0x0
	.amdhsa_kernel _ZN7rocprim17ROCPRIM_400000_NS6detail17trampoline_kernelINS0_14default_configENS1_29reduce_by_key_config_selectorIalN6thrust23THRUST_200600_302600_NS4plusIlEEEEZZNS1_33reduce_by_key_impl_wrapped_configILNS1_25lookback_scan_determinismE0ES3_S9_PaNS6_17constant_iteratorIiNS6_11use_defaultESE_EENS6_10device_ptrIaEENSG_IlEEPmS8_NS6_8equal_toIaEEEE10hipError_tPvRmT2_T3_mT4_T5_T6_T7_T8_P12ihipStream_tbENKUlT_T0_E_clISt17integral_constantIbLb0EES12_IbLb1EEEEDaSY_SZ_EUlSY_E_NS1_11comp_targetILNS1_3genE9ELNS1_11target_archE1100ELNS1_3gpuE3ELNS1_3repE0EEENS1_30default_config_static_selectorELNS0_4arch9wavefront6targetE1EEEvT1_
		.amdhsa_group_segment_fixed_size 0
		.amdhsa_private_segment_fixed_size 0
		.amdhsa_kernarg_size 144
		.amdhsa_user_sgpr_count 6
		.amdhsa_user_sgpr_private_segment_buffer 1
		.amdhsa_user_sgpr_dispatch_ptr 0
		.amdhsa_user_sgpr_queue_ptr 0
		.amdhsa_user_sgpr_kernarg_segment_ptr 1
		.amdhsa_user_sgpr_dispatch_id 0
		.amdhsa_user_sgpr_flat_scratch_init 0
		.amdhsa_user_sgpr_kernarg_preload_length 0
		.amdhsa_user_sgpr_kernarg_preload_offset 0
		.amdhsa_user_sgpr_private_segment_size 0
		.amdhsa_uses_dynamic_stack 0
		.amdhsa_system_sgpr_private_segment_wavefront_offset 0
		.amdhsa_system_sgpr_workgroup_id_x 1
		.amdhsa_system_sgpr_workgroup_id_y 0
		.amdhsa_system_sgpr_workgroup_id_z 0
		.amdhsa_system_sgpr_workgroup_info 0
		.amdhsa_system_vgpr_workitem_id 0
		.amdhsa_next_free_vgpr 1
		.amdhsa_next_free_sgpr 0
		.amdhsa_accum_offset 4
		.amdhsa_reserve_vcc 0
		.amdhsa_reserve_flat_scratch 0
		.amdhsa_float_round_mode_32 0
		.amdhsa_float_round_mode_16_64 0
		.amdhsa_float_denorm_mode_32 3
		.amdhsa_float_denorm_mode_16_64 3
		.amdhsa_dx10_clamp 1
		.amdhsa_ieee_mode 1
		.amdhsa_fp16_overflow 0
		.amdhsa_tg_split 0
		.amdhsa_exception_fp_ieee_invalid_op 0
		.amdhsa_exception_fp_denorm_src 0
		.amdhsa_exception_fp_ieee_div_zero 0
		.amdhsa_exception_fp_ieee_overflow 0
		.amdhsa_exception_fp_ieee_underflow 0
		.amdhsa_exception_fp_ieee_inexact 0
		.amdhsa_exception_int_div_zero 0
	.end_amdhsa_kernel
	.section	.text._ZN7rocprim17ROCPRIM_400000_NS6detail17trampoline_kernelINS0_14default_configENS1_29reduce_by_key_config_selectorIalN6thrust23THRUST_200600_302600_NS4plusIlEEEEZZNS1_33reduce_by_key_impl_wrapped_configILNS1_25lookback_scan_determinismE0ES3_S9_PaNS6_17constant_iteratorIiNS6_11use_defaultESE_EENS6_10device_ptrIaEENSG_IlEEPmS8_NS6_8equal_toIaEEEE10hipError_tPvRmT2_T3_mT4_T5_T6_T7_T8_P12ihipStream_tbENKUlT_T0_E_clISt17integral_constantIbLb0EES12_IbLb1EEEEDaSY_SZ_EUlSY_E_NS1_11comp_targetILNS1_3genE9ELNS1_11target_archE1100ELNS1_3gpuE3ELNS1_3repE0EEENS1_30default_config_static_selectorELNS0_4arch9wavefront6targetE1EEEvT1_,"axG",@progbits,_ZN7rocprim17ROCPRIM_400000_NS6detail17trampoline_kernelINS0_14default_configENS1_29reduce_by_key_config_selectorIalN6thrust23THRUST_200600_302600_NS4plusIlEEEEZZNS1_33reduce_by_key_impl_wrapped_configILNS1_25lookback_scan_determinismE0ES3_S9_PaNS6_17constant_iteratorIiNS6_11use_defaultESE_EENS6_10device_ptrIaEENSG_IlEEPmS8_NS6_8equal_toIaEEEE10hipError_tPvRmT2_T3_mT4_T5_T6_T7_T8_P12ihipStream_tbENKUlT_T0_E_clISt17integral_constantIbLb0EES12_IbLb1EEEEDaSY_SZ_EUlSY_E_NS1_11comp_targetILNS1_3genE9ELNS1_11target_archE1100ELNS1_3gpuE3ELNS1_3repE0EEENS1_30default_config_static_selectorELNS0_4arch9wavefront6targetE1EEEvT1_,comdat
.Lfunc_end706:
	.size	_ZN7rocprim17ROCPRIM_400000_NS6detail17trampoline_kernelINS0_14default_configENS1_29reduce_by_key_config_selectorIalN6thrust23THRUST_200600_302600_NS4plusIlEEEEZZNS1_33reduce_by_key_impl_wrapped_configILNS1_25lookback_scan_determinismE0ES3_S9_PaNS6_17constant_iteratorIiNS6_11use_defaultESE_EENS6_10device_ptrIaEENSG_IlEEPmS8_NS6_8equal_toIaEEEE10hipError_tPvRmT2_T3_mT4_T5_T6_T7_T8_P12ihipStream_tbENKUlT_T0_E_clISt17integral_constantIbLb0EES12_IbLb1EEEEDaSY_SZ_EUlSY_E_NS1_11comp_targetILNS1_3genE9ELNS1_11target_archE1100ELNS1_3gpuE3ELNS1_3repE0EEENS1_30default_config_static_selectorELNS0_4arch9wavefront6targetE1EEEvT1_, .Lfunc_end706-_ZN7rocprim17ROCPRIM_400000_NS6detail17trampoline_kernelINS0_14default_configENS1_29reduce_by_key_config_selectorIalN6thrust23THRUST_200600_302600_NS4plusIlEEEEZZNS1_33reduce_by_key_impl_wrapped_configILNS1_25lookback_scan_determinismE0ES3_S9_PaNS6_17constant_iteratorIiNS6_11use_defaultESE_EENS6_10device_ptrIaEENSG_IlEEPmS8_NS6_8equal_toIaEEEE10hipError_tPvRmT2_T3_mT4_T5_T6_T7_T8_P12ihipStream_tbENKUlT_T0_E_clISt17integral_constantIbLb0EES12_IbLb1EEEEDaSY_SZ_EUlSY_E_NS1_11comp_targetILNS1_3genE9ELNS1_11target_archE1100ELNS1_3gpuE3ELNS1_3repE0EEENS1_30default_config_static_selectorELNS0_4arch9wavefront6targetE1EEEvT1_
                                        ; -- End function
	.section	.AMDGPU.csdata,"",@progbits
; Kernel info:
; codeLenInByte = 0
; NumSgprs: 4
; NumVgprs: 0
; NumAgprs: 0
; TotalNumVgprs: 0
; ScratchSize: 0
; MemoryBound: 0
; FloatMode: 240
; IeeeMode: 1
; LDSByteSize: 0 bytes/workgroup (compile time only)
; SGPRBlocks: 0
; VGPRBlocks: 0
; NumSGPRsForWavesPerEU: 4
; NumVGPRsForWavesPerEU: 1
; AccumOffset: 4
; Occupancy: 8
; WaveLimiterHint : 0
; COMPUTE_PGM_RSRC2:SCRATCH_EN: 0
; COMPUTE_PGM_RSRC2:USER_SGPR: 6
; COMPUTE_PGM_RSRC2:TRAP_HANDLER: 0
; COMPUTE_PGM_RSRC2:TGID_X_EN: 1
; COMPUTE_PGM_RSRC2:TGID_Y_EN: 0
; COMPUTE_PGM_RSRC2:TGID_Z_EN: 0
; COMPUTE_PGM_RSRC2:TIDIG_COMP_CNT: 0
; COMPUTE_PGM_RSRC3_GFX90A:ACCUM_OFFSET: 0
; COMPUTE_PGM_RSRC3_GFX90A:TG_SPLIT: 0
	.section	.text._ZN7rocprim17ROCPRIM_400000_NS6detail17trampoline_kernelINS0_14default_configENS1_29reduce_by_key_config_selectorIalN6thrust23THRUST_200600_302600_NS4plusIlEEEEZZNS1_33reduce_by_key_impl_wrapped_configILNS1_25lookback_scan_determinismE0ES3_S9_PaNS6_17constant_iteratorIiNS6_11use_defaultESE_EENS6_10device_ptrIaEENSG_IlEEPmS8_NS6_8equal_toIaEEEE10hipError_tPvRmT2_T3_mT4_T5_T6_T7_T8_P12ihipStream_tbENKUlT_T0_E_clISt17integral_constantIbLb0EES12_IbLb1EEEEDaSY_SZ_EUlSY_E_NS1_11comp_targetILNS1_3genE8ELNS1_11target_archE1030ELNS1_3gpuE2ELNS1_3repE0EEENS1_30default_config_static_selectorELNS0_4arch9wavefront6targetE1EEEvT1_,"axG",@progbits,_ZN7rocprim17ROCPRIM_400000_NS6detail17trampoline_kernelINS0_14default_configENS1_29reduce_by_key_config_selectorIalN6thrust23THRUST_200600_302600_NS4plusIlEEEEZZNS1_33reduce_by_key_impl_wrapped_configILNS1_25lookback_scan_determinismE0ES3_S9_PaNS6_17constant_iteratorIiNS6_11use_defaultESE_EENS6_10device_ptrIaEENSG_IlEEPmS8_NS6_8equal_toIaEEEE10hipError_tPvRmT2_T3_mT4_T5_T6_T7_T8_P12ihipStream_tbENKUlT_T0_E_clISt17integral_constantIbLb0EES12_IbLb1EEEEDaSY_SZ_EUlSY_E_NS1_11comp_targetILNS1_3genE8ELNS1_11target_archE1030ELNS1_3gpuE2ELNS1_3repE0EEENS1_30default_config_static_selectorELNS0_4arch9wavefront6targetE1EEEvT1_,comdat
	.protected	_ZN7rocprim17ROCPRIM_400000_NS6detail17trampoline_kernelINS0_14default_configENS1_29reduce_by_key_config_selectorIalN6thrust23THRUST_200600_302600_NS4plusIlEEEEZZNS1_33reduce_by_key_impl_wrapped_configILNS1_25lookback_scan_determinismE0ES3_S9_PaNS6_17constant_iteratorIiNS6_11use_defaultESE_EENS6_10device_ptrIaEENSG_IlEEPmS8_NS6_8equal_toIaEEEE10hipError_tPvRmT2_T3_mT4_T5_T6_T7_T8_P12ihipStream_tbENKUlT_T0_E_clISt17integral_constantIbLb0EES12_IbLb1EEEEDaSY_SZ_EUlSY_E_NS1_11comp_targetILNS1_3genE8ELNS1_11target_archE1030ELNS1_3gpuE2ELNS1_3repE0EEENS1_30default_config_static_selectorELNS0_4arch9wavefront6targetE1EEEvT1_ ; -- Begin function _ZN7rocprim17ROCPRIM_400000_NS6detail17trampoline_kernelINS0_14default_configENS1_29reduce_by_key_config_selectorIalN6thrust23THRUST_200600_302600_NS4plusIlEEEEZZNS1_33reduce_by_key_impl_wrapped_configILNS1_25lookback_scan_determinismE0ES3_S9_PaNS6_17constant_iteratorIiNS6_11use_defaultESE_EENS6_10device_ptrIaEENSG_IlEEPmS8_NS6_8equal_toIaEEEE10hipError_tPvRmT2_T3_mT4_T5_T6_T7_T8_P12ihipStream_tbENKUlT_T0_E_clISt17integral_constantIbLb0EES12_IbLb1EEEEDaSY_SZ_EUlSY_E_NS1_11comp_targetILNS1_3genE8ELNS1_11target_archE1030ELNS1_3gpuE2ELNS1_3repE0EEENS1_30default_config_static_selectorELNS0_4arch9wavefront6targetE1EEEvT1_
	.globl	_ZN7rocprim17ROCPRIM_400000_NS6detail17trampoline_kernelINS0_14default_configENS1_29reduce_by_key_config_selectorIalN6thrust23THRUST_200600_302600_NS4plusIlEEEEZZNS1_33reduce_by_key_impl_wrapped_configILNS1_25lookback_scan_determinismE0ES3_S9_PaNS6_17constant_iteratorIiNS6_11use_defaultESE_EENS6_10device_ptrIaEENSG_IlEEPmS8_NS6_8equal_toIaEEEE10hipError_tPvRmT2_T3_mT4_T5_T6_T7_T8_P12ihipStream_tbENKUlT_T0_E_clISt17integral_constantIbLb0EES12_IbLb1EEEEDaSY_SZ_EUlSY_E_NS1_11comp_targetILNS1_3genE8ELNS1_11target_archE1030ELNS1_3gpuE2ELNS1_3repE0EEENS1_30default_config_static_selectorELNS0_4arch9wavefront6targetE1EEEvT1_
	.p2align	8
	.type	_ZN7rocprim17ROCPRIM_400000_NS6detail17trampoline_kernelINS0_14default_configENS1_29reduce_by_key_config_selectorIalN6thrust23THRUST_200600_302600_NS4plusIlEEEEZZNS1_33reduce_by_key_impl_wrapped_configILNS1_25lookback_scan_determinismE0ES3_S9_PaNS6_17constant_iteratorIiNS6_11use_defaultESE_EENS6_10device_ptrIaEENSG_IlEEPmS8_NS6_8equal_toIaEEEE10hipError_tPvRmT2_T3_mT4_T5_T6_T7_T8_P12ihipStream_tbENKUlT_T0_E_clISt17integral_constantIbLb0EES12_IbLb1EEEEDaSY_SZ_EUlSY_E_NS1_11comp_targetILNS1_3genE8ELNS1_11target_archE1030ELNS1_3gpuE2ELNS1_3repE0EEENS1_30default_config_static_selectorELNS0_4arch9wavefront6targetE1EEEvT1_,@function
_ZN7rocprim17ROCPRIM_400000_NS6detail17trampoline_kernelINS0_14default_configENS1_29reduce_by_key_config_selectorIalN6thrust23THRUST_200600_302600_NS4plusIlEEEEZZNS1_33reduce_by_key_impl_wrapped_configILNS1_25lookback_scan_determinismE0ES3_S9_PaNS6_17constant_iteratorIiNS6_11use_defaultESE_EENS6_10device_ptrIaEENSG_IlEEPmS8_NS6_8equal_toIaEEEE10hipError_tPvRmT2_T3_mT4_T5_T6_T7_T8_P12ihipStream_tbENKUlT_T0_E_clISt17integral_constantIbLb0EES12_IbLb1EEEEDaSY_SZ_EUlSY_E_NS1_11comp_targetILNS1_3genE8ELNS1_11target_archE1030ELNS1_3gpuE2ELNS1_3repE0EEENS1_30default_config_static_selectorELNS0_4arch9wavefront6targetE1EEEvT1_: ; @_ZN7rocprim17ROCPRIM_400000_NS6detail17trampoline_kernelINS0_14default_configENS1_29reduce_by_key_config_selectorIalN6thrust23THRUST_200600_302600_NS4plusIlEEEEZZNS1_33reduce_by_key_impl_wrapped_configILNS1_25lookback_scan_determinismE0ES3_S9_PaNS6_17constant_iteratorIiNS6_11use_defaultESE_EENS6_10device_ptrIaEENSG_IlEEPmS8_NS6_8equal_toIaEEEE10hipError_tPvRmT2_T3_mT4_T5_T6_T7_T8_P12ihipStream_tbENKUlT_T0_E_clISt17integral_constantIbLb0EES12_IbLb1EEEEDaSY_SZ_EUlSY_E_NS1_11comp_targetILNS1_3genE8ELNS1_11target_archE1030ELNS1_3gpuE2ELNS1_3repE0EEENS1_30default_config_static_selectorELNS0_4arch9wavefront6targetE1EEEvT1_
; %bb.0:
	.section	.rodata,"a",@progbits
	.p2align	6, 0x0
	.amdhsa_kernel _ZN7rocprim17ROCPRIM_400000_NS6detail17trampoline_kernelINS0_14default_configENS1_29reduce_by_key_config_selectorIalN6thrust23THRUST_200600_302600_NS4plusIlEEEEZZNS1_33reduce_by_key_impl_wrapped_configILNS1_25lookback_scan_determinismE0ES3_S9_PaNS6_17constant_iteratorIiNS6_11use_defaultESE_EENS6_10device_ptrIaEENSG_IlEEPmS8_NS6_8equal_toIaEEEE10hipError_tPvRmT2_T3_mT4_T5_T6_T7_T8_P12ihipStream_tbENKUlT_T0_E_clISt17integral_constantIbLb0EES12_IbLb1EEEEDaSY_SZ_EUlSY_E_NS1_11comp_targetILNS1_3genE8ELNS1_11target_archE1030ELNS1_3gpuE2ELNS1_3repE0EEENS1_30default_config_static_selectorELNS0_4arch9wavefront6targetE1EEEvT1_
		.amdhsa_group_segment_fixed_size 0
		.amdhsa_private_segment_fixed_size 0
		.amdhsa_kernarg_size 144
		.amdhsa_user_sgpr_count 6
		.amdhsa_user_sgpr_private_segment_buffer 1
		.amdhsa_user_sgpr_dispatch_ptr 0
		.amdhsa_user_sgpr_queue_ptr 0
		.amdhsa_user_sgpr_kernarg_segment_ptr 1
		.amdhsa_user_sgpr_dispatch_id 0
		.amdhsa_user_sgpr_flat_scratch_init 0
		.amdhsa_user_sgpr_kernarg_preload_length 0
		.amdhsa_user_sgpr_kernarg_preload_offset 0
		.amdhsa_user_sgpr_private_segment_size 0
		.amdhsa_uses_dynamic_stack 0
		.amdhsa_system_sgpr_private_segment_wavefront_offset 0
		.amdhsa_system_sgpr_workgroup_id_x 1
		.amdhsa_system_sgpr_workgroup_id_y 0
		.amdhsa_system_sgpr_workgroup_id_z 0
		.amdhsa_system_sgpr_workgroup_info 0
		.amdhsa_system_vgpr_workitem_id 0
		.amdhsa_next_free_vgpr 1
		.amdhsa_next_free_sgpr 0
		.amdhsa_accum_offset 4
		.amdhsa_reserve_vcc 0
		.amdhsa_reserve_flat_scratch 0
		.amdhsa_float_round_mode_32 0
		.amdhsa_float_round_mode_16_64 0
		.amdhsa_float_denorm_mode_32 3
		.amdhsa_float_denorm_mode_16_64 3
		.amdhsa_dx10_clamp 1
		.amdhsa_ieee_mode 1
		.amdhsa_fp16_overflow 0
		.amdhsa_tg_split 0
		.amdhsa_exception_fp_ieee_invalid_op 0
		.amdhsa_exception_fp_denorm_src 0
		.amdhsa_exception_fp_ieee_div_zero 0
		.amdhsa_exception_fp_ieee_overflow 0
		.amdhsa_exception_fp_ieee_underflow 0
		.amdhsa_exception_fp_ieee_inexact 0
		.amdhsa_exception_int_div_zero 0
	.end_amdhsa_kernel
	.section	.text._ZN7rocprim17ROCPRIM_400000_NS6detail17trampoline_kernelINS0_14default_configENS1_29reduce_by_key_config_selectorIalN6thrust23THRUST_200600_302600_NS4plusIlEEEEZZNS1_33reduce_by_key_impl_wrapped_configILNS1_25lookback_scan_determinismE0ES3_S9_PaNS6_17constant_iteratorIiNS6_11use_defaultESE_EENS6_10device_ptrIaEENSG_IlEEPmS8_NS6_8equal_toIaEEEE10hipError_tPvRmT2_T3_mT4_T5_T6_T7_T8_P12ihipStream_tbENKUlT_T0_E_clISt17integral_constantIbLb0EES12_IbLb1EEEEDaSY_SZ_EUlSY_E_NS1_11comp_targetILNS1_3genE8ELNS1_11target_archE1030ELNS1_3gpuE2ELNS1_3repE0EEENS1_30default_config_static_selectorELNS0_4arch9wavefront6targetE1EEEvT1_,"axG",@progbits,_ZN7rocprim17ROCPRIM_400000_NS6detail17trampoline_kernelINS0_14default_configENS1_29reduce_by_key_config_selectorIalN6thrust23THRUST_200600_302600_NS4plusIlEEEEZZNS1_33reduce_by_key_impl_wrapped_configILNS1_25lookback_scan_determinismE0ES3_S9_PaNS6_17constant_iteratorIiNS6_11use_defaultESE_EENS6_10device_ptrIaEENSG_IlEEPmS8_NS6_8equal_toIaEEEE10hipError_tPvRmT2_T3_mT4_T5_T6_T7_T8_P12ihipStream_tbENKUlT_T0_E_clISt17integral_constantIbLb0EES12_IbLb1EEEEDaSY_SZ_EUlSY_E_NS1_11comp_targetILNS1_3genE8ELNS1_11target_archE1030ELNS1_3gpuE2ELNS1_3repE0EEENS1_30default_config_static_selectorELNS0_4arch9wavefront6targetE1EEEvT1_,comdat
.Lfunc_end707:
	.size	_ZN7rocprim17ROCPRIM_400000_NS6detail17trampoline_kernelINS0_14default_configENS1_29reduce_by_key_config_selectorIalN6thrust23THRUST_200600_302600_NS4plusIlEEEEZZNS1_33reduce_by_key_impl_wrapped_configILNS1_25lookback_scan_determinismE0ES3_S9_PaNS6_17constant_iteratorIiNS6_11use_defaultESE_EENS6_10device_ptrIaEENSG_IlEEPmS8_NS6_8equal_toIaEEEE10hipError_tPvRmT2_T3_mT4_T5_T6_T7_T8_P12ihipStream_tbENKUlT_T0_E_clISt17integral_constantIbLb0EES12_IbLb1EEEEDaSY_SZ_EUlSY_E_NS1_11comp_targetILNS1_3genE8ELNS1_11target_archE1030ELNS1_3gpuE2ELNS1_3repE0EEENS1_30default_config_static_selectorELNS0_4arch9wavefront6targetE1EEEvT1_, .Lfunc_end707-_ZN7rocprim17ROCPRIM_400000_NS6detail17trampoline_kernelINS0_14default_configENS1_29reduce_by_key_config_selectorIalN6thrust23THRUST_200600_302600_NS4plusIlEEEEZZNS1_33reduce_by_key_impl_wrapped_configILNS1_25lookback_scan_determinismE0ES3_S9_PaNS6_17constant_iteratorIiNS6_11use_defaultESE_EENS6_10device_ptrIaEENSG_IlEEPmS8_NS6_8equal_toIaEEEE10hipError_tPvRmT2_T3_mT4_T5_T6_T7_T8_P12ihipStream_tbENKUlT_T0_E_clISt17integral_constantIbLb0EES12_IbLb1EEEEDaSY_SZ_EUlSY_E_NS1_11comp_targetILNS1_3genE8ELNS1_11target_archE1030ELNS1_3gpuE2ELNS1_3repE0EEENS1_30default_config_static_selectorELNS0_4arch9wavefront6targetE1EEEvT1_
                                        ; -- End function
	.section	.AMDGPU.csdata,"",@progbits
; Kernel info:
; codeLenInByte = 0
; NumSgprs: 4
; NumVgprs: 0
; NumAgprs: 0
; TotalNumVgprs: 0
; ScratchSize: 0
; MemoryBound: 0
; FloatMode: 240
; IeeeMode: 1
; LDSByteSize: 0 bytes/workgroup (compile time only)
; SGPRBlocks: 0
; VGPRBlocks: 0
; NumSGPRsForWavesPerEU: 4
; NumVGPRsForWavesPerEU: 1
; AccumOffset: 4
; Occupancy: 8
; WaveLimiterHint : 0
; COMPUTE_PGM_RSRC2:SCRATCH_EN: 0
; COMPUTE_PGM_RSRC2:USER_SGPR: 6
; COMPUTE_PGM_RSRC2:TRAP_HANDLER: 0
; COMPUTE_PGM_RSRC2:TGID_X_EN: 1
; COMPUTE_PGM_RSRC2:TGID_Y_EN: 0
; COMPUTE_PGM_RSRC2:TGID_Z_EN: 0
; COMPUTE_PGM_RSRC2:TIDIG_COMP_CNT: 0
; COMPUTE_PGM_RSRC3_GFX90A:ACCUM_OFFSET: 0
; COMPUTE_PGM_RSRC3_GFX90A:TG_SPLIT: 0
	.section	.text._ZN7rocprim17ROCPRIM_400000_NS6detail17trampoline_kernelINS0_14default_configENS1_22reduce_config_selectorIN6thrust23THRUST_200600_302600_NS5tupleIblNS6_9null_typeES8_S8_S8_S8_S8_S8_S8_EEEEZNS1_11reduce_implILb1ES3_NS6_12zip_iteratorINS7_INS6_11hip_rocprim26transform_input_iterator_tIbPaNS6_6detail10functional5actorINSH_9compositeIJNSH_27transparent_binary_operatorINS6_8equal_toIvEEEENSI_INSH_8argumentILj0EEEEENSH_5valueIaEEEEEEEEENSD_19counting_iterator_tIlEES8_S8_S8_S8_S8_S8_S8_S8_EEEEPS9_S9_NSD_9__find_if7functorIS9_EEEE10hipError_tPvRmT1_T2_T3_mT4_P12ihipStream_tbEUlT_E0_NS1_11comp_targetILNS1_3genE0ELNS1_11target_archE4294967295ELNS1_3gpuE0ELNS1_3repE0EEENS1_30default_config_static_selectorELNS0_4arch9wavefront6targetE1EEEvS17_,"axG",@progbits,_ZN7rocprim17ROCPRIM_400000_NS6detail17trampoline_kernelINS0_14default_configENS1_22reduce_config_selectorIN6thrust23THRUST_200600_302600_NS5tupleIblNS6_9null_typeES8_S8_S8_S8_S8_S8_S8_EEEEZNS1_11reduce_implILb1ES3_NS6_12zip_iteratorINS7_INS6_11hip_rocprim26transform_input_iterator_tIbPaNS6_6detail10functional5actorINSH_9compositeIJNSH_27transparent_binary_operatorINS6_8equal_toIvEEEENSI_INSH_8argumentILj0EEEEENSH_5valueIaEEEEEEEEENSD_19counting_iterator_tIlEES8_S8_S8_S8_S8_S8_S8_S8_EEEEPS9_S9_NSD_9__find_if7functorIS9_EEEE10hipError_tPvRmT1_T2_T3_mT4_P12ihipStream_tbEUlT_E0_NS1_11comp_targetILNS1_3genE0ELNS1_11target_archE4294967295ELNS1_3gpuE0ELNS1_3repE0EEENS1_30default_config_static_selectorELNS0_4arch9wavefront6targetE1EEEvS17_,comdat
	.protected	_ZN7rocprim17ROCPRIM_400000_NS6detail17trampoline_kernelINS0_14default_configENS1_22reduce_config_selectorIN6thrust23THRUST_200600_302600_NS5tupleIblNS6_9null_typeES8_S8_S8_S8_S8_S8_S8_EEEEZNS1_11reduce_implILb1ES3_NS6_12zip_iteratorINS7_INS6_11hip_rocprim26transform_input_iterator_tIbPaNS6_6detail10functional5actorINSH_9compositeIJNSH_27transparent_binary_operatorINS6_8equal_toIvEEEENSI_INSH_8argumentILj0EEEEENSH_5valueIaEEEEEEEEENSD_19counting_iterator_tIlEES8_S8_S8_S8_S8_S8_S8_S8_EEEEPS9_S9_NSD_9__find_if7functorIS9_EEEE10hipError_tPvRmT1_T2_T3_mT4_P12ihipStream_tbEUlT_E0_NS1_11comp_targetILNS1_3genE0ELNS1_11target_archE4294967295ELNS1_3gpuE0ELNS1_3repE0EEENS1_30default_config_static_selectorELNS0_4arch9wavefront6targetE1EEEvS17_ ; -- Begin function _ZN7rocprim17ROCPRIM_400000_NS6detail17trampoline_kernelINS0_14default_configENS1_22reduce_config_selectorIN6thrust23THRUST_200600_302600_NS5tupleIblNS6_9null_typeES8_S8_S8_S8_S8_S8_S8_EEEEZNS1_11reduce_implILb1ES3_NS6_12zip_iteratorINS7_INS6_11hip_rocprim26transform_input_iterator_tIbPaNS6_6detail10functional5actorINSH_9compositeIJNSH_27transparent_binary_operatorINS6_8equal_toIvEEEENSI_INSH_8argumentILj0EEEEENSH_5valueIaEEEEEEEEENSD_19counting_iterator_tIlEES8_S8_S8_S8_S8_S8_S8_S8_EEEEPS9_S9_NSD_9__find_if7functorIS9_EEEE10hipError_tPvRmT1_T2_T3_mT4_P12ihipStream_tbEUlT_E0_NS1_11comp_targetILNS1_3genE0ELNS1_11target_archE4294967295ELNS1_3gpuE0ELNS1_3repE0EEENS1_30default_config_static_selectorELNS0_4arch9wavefront6targetE1EEEvS17_
	.globl	_ZN7rocprim17ROCPRIM_400000_NS6detail17trampoline_kernelINS0_14default_configENS1_22reduce_config_selectorIN6thrust23THRUST_200600_302600_NS5tupleIblNS6_9null_typeES8_S8_S8_S8_S8_S8_S8_EEEEZNS1_11reduce_implILb1ES3_NS6_12zip_iteratorINS7_INS6_11hip_rocprim26transform_input_iterator_tIbPaNS6_6detail10functional5actorINSH_9compositeIJNSH_27transparent_binary_operatorINS6_8equal_toIvEEEENSI_INSH_8argumentILj0EEEEENSH_5valueIaEEEEEEEEENSD_19counting_iterator_tIlEES8_S8_S8_S8_S8_S8_S8_S8_EEEEPS9_S9_NSD_9__find_if7functorIS9_EEEE10hipError_tPvRmT1_T2_T3_mT4_P12ihipStream_tbEUlT_E0_NS1_11comp_targetILNS1_3genE0ELNS1_11target_archE4294967295ELNS1_3gpuE0ELNS1_3repE0EEENS1_30default_config_static_selectorELNS0_4arch9wavefront6targetE1EEEvS17_
	.p2align	8
	.type	_ZN7rocprim17ROCPRIM_400000_NS6detail17trampoline_kernelINS0_14default_configENS1_22reduce_config_selectorIN6thrust23THRUST_200600_302600_NS5tupleIblNS6_9null_typeES8_S8_S8_S8_S8_S8_S8_EEEEZNS1_11reduce_implILb1ES3_NS6_12zip_iteratorINS7_INS6_11hip_rocprim26transform_input_iterator_tIbPaNS6_6detail10functional5actorINSH_9compositeIJNSH_27transparent_binary_operatorINS6_8equal_toIvEEEENSI_INSH_8argumentILj0EEEEENSH_5valueIaEEEEEEEEENSD_19counting_iterator_tIlEES8_S8_S8_S8_S8_S8_S8_S8_EEEEPS9_S9_NSD_9__find_if7functorIS9_EEEE10hipError_tPvRmT1_T2_T3_mT4_P12ihipStream_tbEUlT_E0_NS1_11comp_targetILNS1_3genE0ELNS1_11target_archE4294967295ELNS1_3gpuE0ELNS1_3repE0EEENS1_30default_config_static_selectorELNS0_4arch9wavefront6targetE1EEEvS17_,@function
_ZN7rocprim17ROCPRIM_400000_NS6detail17trampoline_kernelINS0_14default_configENS1_22reduce_config_selectorIN6thrust23THRUST_200600_302600_NS5tupleIblNS6_9null_typeES8_S8_S8_S8_S8_S8_S8_EEEEZNS1_11reduce_implILb1ES3_NS6_12zip_iteratorINS7_INS6_11hip_rocprim26transform_input_iterator_tIbPaNS6_6detail10functional5actorINSH_9compositeIJNSH_27transparent_binary_operatorINS6_8equal_toIvEEEENSI_INSH_8argumentILj0EEEEENSH_5valueIaEEEEEEEEENSD_19counting_iterator_tIlEES8_S8_S8_S8_S8_S8_S8_S8_EEEEPS9_S9_NSD_9__find_if7functorIS9_EEEE10hipError_tPvRmT1_T2_T3_mT4_P12ihipStream_tbEUlT_E0_NS1_11comp_targetILNS1_3genE0ELNS1_11target_archE4294967295ELNS1_3gpuE0ELNS1_3repE0EEENS1_30default_config_static_selectorELNS0_4arch9wavefront6targetE1EEEvS17_: ; @_ZN7rocprim17ROCPRIM_400000_NS6detail17trampoline_kernelINS0_14default_configENS1_22reduce_config_selectorIN6thrust23THRUST_200600_302600_NS5tupleIblNS6_9null_typeES8_S8_S8_S8_S8_S8_S8_EEEEZNS1_11reduce_implILb1ES3_NS6_12zip_iteratorINS7_INS6_11hip_rocprim26transform_input_iterator_tIbPaNS6_6detail10functional5actorINSH_9compositeIJNSH_27transparent_binary_operatorINS6_8equal_toIvEEEENSI_INSH_8argumentILj0EEEEENSH_5valueIaEEEEEEEEENSD_19counting_iterator_tIlEES8_S8_S8_S8_S8_S8_S8_S8_EEEEPS9_S9_NSD_9__find_if7functorIS9_EEEE10hipError_tPvRmT1_T2_T3_mT4_P12ihipStream_tbEUlT_E0_NS1_11comp_targetILNS1_3genE0ELNS1_11target_archE4294967295ELNS1_3gpuE0ELNS1_3repE0EEENS1_30default_config_static_selectorELNS0_4arch9wavefront6targetE1EEEvS17_
; %bb.0:
	.section	.rodata,"a",@progbits
	.p2align	6, 0x0
	.amdhsa_kernel _ZN7rocprim17ROCPRIM_400000_NS6detail17trampoline_kernelINS0_14default_configENS1_22reduce_config_selectorIN6thrust23THRUST_200600_302600_NS5tupleIblNS6_9null_typeES8_S8_S8_S8_S8_S8_S8_EEEEZNS1_11reduce_implILb1ES3_NS6_12zip_iteratorINS7_INS6_11hip_rocprim26transform_input_iterator_tIbPaNS6_6detail10functional5actorINSH_9compositeIJNSH_27transparent_binary_operatorINS6_8equal_toIvEEEENSI_INSH_8argumentILj0EEEEENSH_5valueIaEEEEEEEEENSD_19counting_iterator_tIlEES8_S8_S8_S8_S8_S8_S8_S8_EEEEPS9_S9_NSD_9__find_if7functorIS9_EEEE10hipError_tPvRmT1_T2_T3_mT4_P12ihipStream_tbEUlT_E0_NS1_11comp_targetILNS1_3genE0ELNS1_11target_archE4294967295ELNS1_3gpuE0ELNS1_3repE0EEENS1_30default_config_static_selectorELNS0_4arch9wavefront6targetE1EEEvS17_
		.amdhsa_group_segment_fixed_size 0
		.amdhsa_private_segment_fixed_size 0
		.amdhsa_kernarg_size 88
		.amdhsa_user_sgpr_count 6
		.amdhsa_user_sgpr_private_segment_buffer 1
		.amdhsa_user_sgpr_dispatch_ptr 0
		.amdhsa_user_sgpr_queue_ptr 0
		.amdhsa_user_sgpr_kernarg_segment_ptr 1
		.amdhsa_user_sgpr_dispatch_id 0
		.amdhsa_user_sgpr_flat_scratch_init 0
		.amdhsa_user_sgpr_kernarg_preload_length 0
		.amdhsa_user_sgpr_kernarg_preload_offset 0
		.amdhsa_user_sgpr_private_segment_size 0
		.amdhsa_uses_dynamic_stack 0
		.amdhsa_system_sgpr_private_segment_wavefront_offset 0
		.amdhsa_system_sgpr_workgroup_id_x 1
		.amdhsa_system_sgpr_workgroup_id_y 0
		.amdhsa_system_sgpr_workgroup_id_z 0
		.amdhsa_system_sgpr_workgroup_info 0
		.amdhsa_system_vgpr_workitem_id 0
		.amdhsa_next_free_vgpr 1
		.amdhsa_next_free_sgpr 0
		.amdhsa_accum_offset 4
		.amdhsa_reserve_vcc 0
		.amdhsa_reserve_flat_scratch 0
		.amdhsa_float_round_mode_32 0
		.amdhsa_float_round_mode_16_64 0
		.amdhsa_float_denorm_mode_32 3
		.amdhsa_float_denorm_mode_16_64 3
		.amdhsa_dx10_clamp 1
		.amdhsa_ieee_mode 1
		.amdhsa_fp16_overflow 0
		.amdhsa_tg_split 0
		.amdhsa_exception_fp_ieee_invalid_op 0
		.amdhsa_exception_fp_denorm_src 0
		.amdhsa_exception_fp_ieee_div_zero 0
		.amdhsa_exception_fp_ieee_overflow 0
		.amdhsa_exception_fp_ieee_underflow 0
		.amdhsa_exception_fp_ieee_inexact 0
		.amdhsa_exception_int_div_zero 0
	.end_amdhsa_kernel
	.section	.text._ZN7rocprim17ROCPRIM_400000_NS6detail17trampoline_kernelINS0_14default_configENS1_22reduce_config_selectorIN6thrust23THRUST_200600_302600_NS5tupleIblNS6_9null_typeES8_S8_S8_S8_S8_S8_S8_EEEEZNS1_11reduce_implILb1ES3_NS6_12zip_iteratorINS7_INS6_11hip_rocprim26transform_input_iterator_tIbPaNS6_6detail10functional5actorINSH_9compositeIJNSH_27transparent_binary_operatorINS6_8equal_toIvEEEENSI_INSH_8argumentILj0EEEEENSH_5valueIaEEEEEEEEENSD_19counting_iterator_tIlEES8_S8_S8_S8_S8_S8_S8_S8_EEEEPS9_S9_NSD_9__find_if7functorIS9_EEEE10hipError_tPvRmT1_T2_T3_mT4_P12ihipStream_tbEUlT_E0_NS1_11comp_targetILNS1_3genE0ELNS1_11target_archE4294967295ELNS1_3gpuE0ELNS1_3repE0EEENS1_30default_config_static_selectorELNS0_4arch9wavefront6targetE1EEEvS17_,"axG",@progbits,_ZN7rocprim17ROCPRIM_400000_NS6detail17trampoline_kernelINS0_14default_configENS1_22reduce_config_selectorIN6thrust23THRUST_200600_302600_NS5tupleIblNS6_9null_typeES8_S8_S8_S8_S8_S8_S8_EEEEZNS1_11reduce_implILb1ES3_NS6_12zip_iteratorINS7_INS6_11hip_rocprim26transform_input_iterator_tIbPaNS6_6detail10functional5actorINSH_9compositeIJNSH_27transparent_binary_operatorINS6_8equal_toIvEEEENSI_INSH_8argumentILj0EEEEENSH_5valueIaEEEEEEEEENSD_19counting_iterator_tIlEES8_S8_S8_S8_S8_S8_S8_S8_EEEEPS9_S9_NSD_9__find_if7functorIS9_EEEE10hipError_tPvRmT1_T2_T3_mT4_P12ihipStream_tbEUlT_E0_NS1_11comp_targetILNS1_3genE0ELNS1_11target_archE4294967295ELNS1_3gpuE0ELNS1_3repE0EEENS1_30default_config_static_selectorELNS0_4arch9wavefront6targetE1EEEvS17_,comdat
.Lfunc_end708:
	.size	_ZN7rocprim17ROCPRIM_400000_NS6detail17trampoline_kernelINS0_14default_configENS1_22reduce_config_selectorIN6thrust23THRUST_200600_302600_NS5tupleIblNS6_9null_typeES8_S8_S8_S8_S8_S8_S8_EEEEZNS1_11reduce_implILb1ES3_NS6_12zip_iteratorINS7_INS6_11hip_rocprim26transform_input_iterator_tIbPaNS6_6detail10functional5actorINSH_9compositeIJNSH_27transparent_binary_operatorINS6_8equal_toIvEEEENSI_INSH_8argumentILj0EEEEENSH_5valueIaEEEEEEEEENSD_19counting_iterator_tIlEES8_S8_S8_S8_S8_S8_S8_S8_EEEEPS9_S9_NSD_9__find_if7functorIS9_EEEE10hipError_tPvRmT1_T2_T3_mT4_P12ihipStream_tbEUlT_E0_NS1_11comp_targetILNS1_3genE0ELNS1_11target_archE4294967295ELNS1_3gpuE0ELNS1_3repE0EEENS1_30default_config_static_selectorELNS0_4arch9wavefront6targetE1EEEvS17_, .Lfunc_end708-_ZN7rocprim17ROCPRIM_400000_NS6detail17trampoline_kernelINS0_14default_configENS1_22reduce_config_selectorIN6thrust23THRUST_200600_302600_NS5tupleIblNS6_9null_typeES8_S8_S8_S8_S8_S8_S8_EEEEZNS1_11reduce_implILb1ES3_NS6_12zip_iteratorINS7_INS6_11hip_rocprim26transform_input_iterator_tIbPaNS6_6detail10functional5actorINSH_9compositeIJNSH_27transparent_binary_operatorINS6_8equal_toIvEEEENSI_INSH_8argumentILj0EEEEENSH_5valueIaEEEEEEEEENSD_19counting_iterator_tIlEES8_S8_S8_S8_S8_S8_S8_S8_EEEEPS9_S9_NSD_9__find_if7functorIS9_EEEE10hipError_tPvRmT1_T2_T3_mT4_P12ihipStream_tbEUlT_E0_NS1_11comp_targetILNS1_3genE0ELNS1_11target_archE4294967295ELNS1_3gpuE0ELNS1_3repE0EEENS1_30default_config_static_selectorELNS0_4arch9wavefront6targetE1EEEvS17_
                                        ; -- End function
	.section	.AMDGPU.csdata,"",@progbits
; Kernel info:
; codeLenInByte = 0
; NumSgprs: 4
; NumVgprs: 0
; NumAgprs: 0
; TotalNumVgprs: 0
; ScratchSize: 0
; MemoryBound: 0
; FloatMode: 240
; IeeeMode: 1
; LDSByteSize: 0 bytes/workgroup (compile time only)
; SGPRBlocks: 0
; VGPRBlocks: 0
; NumSGPRsForWavesPerEU: 4
; NumVGPRsForWavesPerEU: 1
; AccumOffset: 4
; Occupancy: 8
; WaveLimiterHint : 0
; COMPUTE_PGM_RSRC2:SCRATCH_EN: 0
; COMPUTE_PGM_RSRC2:USER_SGPR: 6
; COMPUTE_PGM_RSRC2:TRAP_HANDLER: 0
; COMPUTE_PGM_RSRC2:TGID_X_EN: 1
; COMPUTE_PGM_RSRC2:TGID_Y_EN: 0
; COMPUTE_PGM_RSRC2:TGID_Z_EN: 0
; COMPUTE_PGM_RSRC2:TIDIG_COMP_CNT: 0
; COMPUTE_PGM_RSRC3_GFX90A:ACCUM_OFFSET: 0
; COMPUTE_PGM_RSRC3_GFX90A:TG_SPLIT: 0
	.section	.text._ZN7rocprim17ROCPRIM_400000_NS6detail17trampoline_kernelINS0_14default_configENS1_22reduce_config_selectorIN6thrust23THRUST_200600_302600_NS5tupleIblNS6_9null_typeES8_S8_S8_S8_S8_S8_S8_EEEEZNS1_11reduce_implILb1ES3_NS6_12zip_iteratorINS7_INS6_11hip_rocprim26transform_input_iterator_tIbPaNS6_6detail10functional5actorINSH_9compositeIJNSH_27transparent_binary_operatorINS6_8equal_toIvEEEENSI_INSH_8argumentILj0EEEEENSH_5valueIaEEEEEEEEENSD_19counting_iterator_tIlEES8_S8_S8_S8_S8_S8_S8_S8_EEEEPS9_S9_NSD_9__find_if7functorIS9_EEEE10hipError_tPvRmT1_T2_T3_mT4_P12ihipStream_tbEUlT_E0_NS1_11comp_targetILNS1_3genE5ELNS1_11target_archE942ELNS1_3gpuE9ELNS1_3repE0EEENS1_30default_config_static_selectorELNS0_4arch9wavefront6targetE1EEEvS17_,"axG",@progbits,_ZN7rocprim17ROCPRIM_400000_NS6detail17trampoline_kernelINS0_14default_configENS1_22reduce_config_selectorIN6thrust23THRUST_200600_302600_NS5tupleIblNS6_9null_typeES8_S8_S8_S8_S8_S8_S8_EEEEZNS1_11reduce_implILb1ES3_NS6_12zip_iteratorINS7_INS6_11hip_rocprim26transform_input_iterator_tIbPaNS6_6detail10functional5actorINSH_9compositeIJNSH_27transparent_binary_operatorINS6_8equal_toIvEEEENSI_INSH_8argumentILj0EEEEENSH_5valueIaEEEEEEEEENSD_19counting_iterator_tIlEES8_S8_S8_S8_S8_S8_S8_S8_EEEEPS9_S9_NSD_9__find_if7functorIS9_EEEE10hipError_tPvRmT1_T2_T3_mT4_P12ihipStream_tbEUlT_E0_NS1_11comp_targetILNS1_3genE5ELNS1_11target_archE942ELNS1_3gpuE9ELNS1_3repE0EEENS1_30default_config_static_selectorELNS0_4arch9wavefront6targetE1EEEvS17_,comdat
	.protected	_ZN7rocprim17ROCPRIM_400000_NS6detail17trampoline_kernelINS0_14default_configENS1_22reduce_config_selectorIN6thrust23THRUST_200600_302600_NS5tupleIblNS6_9null_typeES8_S8_S8_S8_S8_S8_S8_EEEEZNS1_11reduce_implILb1ES3_NS6_12zip_iteratorINS7_INS6_11hip_rocprim26transform_input_iterator_tIbPaNS6_6detail10functional5actorINSH_9compositeIJNSH_27transparent_binary_operatorINS6_8equal_toIvEEEENSI_INSH_8argumentILj0EEEEENSH_5valueIaEEEEEEEEENSD_19counting_iterator_tIlEES8_S8_S8_S8_S8_S8_S8_S8_EEEEPS9_S9_NSD_9__find_if7functorIS9_EEEE10hipError_tPvRmT1_T2_T3_mT4_P12ihipStream_tbEUlT_E0_NS1_11comp_targetILNS1_3genE5ELNS1_11target_archE942ELNS1_3gpuE9ELNS1_3repE0EEENS1_30default_config_static_selectorELNS0_4arch9wavefront6targetE1EEEvS17_ ; -- Begin function _ZN7rocprim17ROCPRIM_400000_NS6detail17trampoline_kernelINS0_14default_configENS1_22reduce_config_selectorIN6thrust23THRUST_200600_302600_NS5tupleIblNS6_9null_typeES8_S8_S8_S8_S8_S8_S8_EEEEZNS1_11reduce_implILb1ES3_NS6_12zip_iteratorINS7_INS6_11hip_rocprim26transform_input_iterator_tIbPaNS6_6detail10functional5actorINSH_9compositeIJNSH_27transparent_binary_operatorINS6_8equal_toIvEEEENSI_INSH_8argumentILj0EEEEENSH_5valueIaEEEEEEEEENSD_19counting_iterator_tIlEES8_S8_S8_S8_S8_S8_S8_S8_EEEEPS9_S9_NSD_9__find_if7functorIS9_EEEE10hipError_tPvRmT1_T2_T3_mT4_P12ihipStream_tbEUlT_E0_NS1_11comp_targetILNS1_3genE5ELNS1_11target_archE942ELNS1_3gpuE9ELNS1_3repE0EEENS1_30default_config_static_selectorELNS0_4arch9wavefront6targetE1EEEvS17_
	.globl	_ZN7rocprim17ROCPRIM_400000_NS6detail17trampoline_kernelINS0_14default_configENS1_22reduce_config_selectorIN6thrust23THRUST_200600_302600_NS5tupleIblNS6_9null_typeES8_S8_S8_S8_S8_S8_S8_EEEEZNS1_11reduce_implILb1ES3_NS6_12zip_iteratorINS7_INS6_11hip_rocprim26transform_input_iterator_tIbPaNS6_6detail10functional5actorINSH_9compositeIJNSH_27transparent_binary_operatorINS6_8equal_toIvEEEENSI_INSH_8argumentILj0EEEEENSH_5valueIaEEEEEEEEENSD_19counting_iterator_tIlEES8_S8_S8_S8_S8_S8_S8_S8_EEEEPS9_S9_NSD_9__find_if7functorIS9_EEEE10hipError_tPvRmT1_T2_T3_mT4_P12ihipStream_tbEUlT_E0_NS1_11comp_targetILNS1_3genE5ELNS1_11target_archE942ELNS1_3gpuE9ELNS1_3repE0EEENS1_30default_config_static_selectorELNS0_4arch9wavefront6targetE1EEEvS17_
	.p2align	8
	.type	_ZN7rocprim17ROCPRIM_400000_NS6detail17trampoline_kernelINS0_14default_configENS1_22reduce_config_selectorIN6thrust23THRUST_200600_302600_NS5tupleIblNS6_9null_typeES8_S8_S8_S8_S8_S8_S8_EEEEZNS1_11reduce_implILb1ES3_NS6_12zip_iteratorINS7_INS6_11hip_rocprim26transform_input_iterator_tIbPaNS6_6detail10functional5actorINSH_9compositeIJNSH_27transparent_binary_operatorINS6_8equal_toIvEEEENSI_INSH_8argumentILj0EEEEENSH_5valueIaEEEEEEEEENSD_19counting_iterator_tIlEES8_S8_S8_S8_S8_S8_S8_S8_EEEEPS9_S9_NSD_9__find_if7functorIS9_EEEE10hipError_tPvRmT1_T2_T3_mT4_P12ihipStream_tbEUlT_E0_NS1_11comp_targetILNS1_3genE5ELNS1_11target_archE942ELNS1_3gpuE9ELNS1_3repE0EEENS1_30default_config_static_selectorELNS0_4arch9wavefront6targetE1EEEvS17_,@function
_ZN7rocprim17ROCPRIM_400000_NS6detail17trampoline_kernelINS0_14default_configENS1_22reduce_config_selectorIN6thrust23THRUST_200600_302600_NS5tupleIblNS6_9null_typeES8_S8_S8_S8_S8_S8_S8_EEEEZNS1_11reduce_implILb1ES3_NS6_12zip_iteratorINS7_INS6_11hip_rocprim26transform_input_iterator_tIbPaNS6_6detail10functional5actorINSH_9compositeIJNSH_27transparent_binary_operatorINS6_8equal_toIvEEEENSI_INSH_8argumentILj0EEEEENSH_5valueIaEEEEEEEEENSD_19counting_iterator_tIlEES8_S8_S8_S8_S8_S8_S8_S8_EEEEPS9_S9_NSD_9__find_if7functorIS9_EEEE10hipError_tPvRmT1_T2_T3_mT4_P12ihipStream_tbEUlT_E0_NS1_11comp_targetILNS1_3genE5ELNS1_11target_archE942ELNS1_3gpuE9ELNS1_3repE0EEENS1_30default_config_static_selectorELNS0_4arch9wavefront6targetE1EEEvS17_: ; @_ZN7rocprim17ROCPRIM_400000_NS6detail17trampoline_kernelINS0_14default_configENS1_22reduce_config_selectorIN6thrust23THRUST_200600_302600_NS5tupleIblNS6_9null_typeES8_S8_S8_S8_S8_S8_S8_EEEEZNS1_11reduce_implILb1ES3_NS6_12zip_iteratorINS7_INS6_11hip_rocprim26transform_input_iterator_tIbPaNS6_6detail10functional5actorINSH_9compositeIJNSH_27transparent_binary_operatorINS6_8equal_toIvEEEENSI_INSH_8argumentILj0EEEEENSH_5valueIaEEEEEEEEENSD_19counting_iterator_tIlEES8_S8_S8_S8_S8_S8_S8_S8_EEEEPS9_S9_NSD_9__find_if7functorIS9_EEEE10hipError_tPvRmT1_T2_T3_mT4_P12ihipStream_tbEUlT_E0_NS1_11comp_targetILNS1_3genE5ELNS1_11target_archE942ELNS1_3gpuE9ELNS1_3repE0EEENS1_30default_config_static_selectorELNS0_4arch9wavefront6targetE1EEEvS17_
; %bb.0:
	.section	.rodata,"a",@progbits
	.p2align	6, 0x0
	.amdhsa_kernel _ZN7rocprim17ROCPRIM_400000_NS6detail17trampoline_kernelINS0_14default_configENS1_22reduce_config_selectorIN6thrust23THRUST_200600_302600_NS5tupleIblNS6_9null_typeES8_S8_S8_S8_S8_S8_S8_EEEEZNS1_11reduce_implILb1ES3_NS6_12zip_iteratorINS7_INS6_11hip_rocprim26transform_input_iterator_tIbPaNS6_6detail10functional5actorINSH_9compositeIJNSH_27transparent_binary_operatorINS6_8equal_toIvEEEENSI_INSH_8argumentILj0EEEEENSH_5valueIaEEEEEEEEENSD_19counting_iterator_tIlEES8_S8_S8_S8_S8_S8_S8_S8_EEEEPS9_S9_NSD_9__find_if7functorIS9_EEEE10hipError_tPvRmT1_T2_T3_mT4_P12ihipStream_tbEUlT_E0_NS1_11comp_targetILNS1_3genE5ELNS1_11target_archE942ELNS1_3gpuE9ELNS1_3repE0EEENS1_30default_config_static_selectorELNS0_4arch9wavefront6targetE1EEEvS17_
		.amdhsa_group_segment_fixed_size 0
		.amdhsa_private_segment_fixed_size 0
		.amdhsa_kernarg_size 88
		.amdhsa_user_sgpr_count 6
		.amdhsa_user_sgpr_private_segment_buffer 1
		.amdhsa_user_sgpr_dispatch_ptr 0
		.amdhsa_user_sgpr_queue_ptr 0
		.amdhsa_user_sgpr_kernarg_segment_ptr 1
		.amdhsa_user_sgpr_dispatch_id 0
		.amdhsa_user_sgpr_flat_scratch_init 0
		.amdhsa_user_sgpr_kernarg_preload_length 0
		.amdhsa_user_sgpr_kernarg_preload_offset 0
		.amdhsa_user_sgpr_private_segment_size 0
		.amdhsa_uses_dynamic_stack 0
		.amdhsa_system_sgpr_private_segment_wavefront_offset 0
		.amdhsa_system_sgpr_workgroup_id_x 1
		.amdhsa_system_sgpr_workgroup_id_y 0
		.amdhsa_system_sgpr_workgroup_id_z 0
		.amdhsa_system_sgpr_workgroup_info 0
		.amdhsa_system_vgpr_workitem_id 0
		.amdhsa_next_free_vgpr 1
		.amdhsa_next_free_sgpr 0
		.amdhsa_accum_offset 4
		.amdhsa_reserve_vcc 0
		.amdhsa_reserve_flat_scratch 0
		.amdhsa_float_round_mode_32 0
		.amdhsa_float_round_mode_16_64 0
		.amdhsa_float_denorm_mode_32 3
		.amdhsa_float_denorm_mode_16_64 3
		.amdhsa_dx10_clamp 1
		.amdhsa_ieee_mode 1
		.amdhsa_fp16_overflow 0
		.amdhsa_tg_split 0
		.amdhsa_exception_fp_ieee_invalid_op 0
		.amdhsa_exception_fp_denorm_src 0
		.amdhsa_exception_fp_ieee_div_zero 0
		.amdhsa_exception_fp_ieee_overflow 0
		.amdhsa_exception_fp_ieee_underflow 0
		.amdhsa_exception_fp_ieee_inexact 0
		.amdhsa_exception_int_div_zero 0
	.end_amdhsa_kernel
	.section	.text._ZN7rocprim17ROCPRIM_400000_NS6detail17trampoline_kernelINS0_14default_configENS1_22reduce_config_selectorIN6thrust23THRUST_200600_302600_NS5tupleIblNS6_9null_typeES8_S8_S8_S8_S8_S8_S8_EEEEZNS1_11reduce_implILb1ES3_NS6_12zip_iteratorINS7_INS6_11hip_rocprim26transform_input_iterator_tIbPaNS6_6detail10functional5actorINSH_9compositeIJNSH_27transparent_binary_operatorINS6_8equal_toIvEEEENSI_INSH_8argumentILj0EEEEENSH_5valueIaEEEEEEEEENSD_19counting_iterator_tIlEES8_S8_S8_S8_S8_S8_S8_S8_EEEEPS9_S9_NSD_9__find_if7functorIS9_EEEE10hipError_tPvRmT1_T2_T3_mT4_P12ihipStream_tbEUlT_E0_NS1_11comp_targetILNS1_3genE5ELNS1_11target_archE942ELNS1_3gpuE9ELNS1_3repE0EEENS1_30default_config_static_selectorELNS0_4arch9wavefront6targetE1EEEvS17_,"axG",@progbits,_ZN7rocprim17ROCPRIM_400000_NS6detail17trampoline_kernelINS0_14default_configENS1_22reduce_config_selectorIN6thrust23THRUST_200600_302600_NS5tupleIblNS6_9null_typeES8_S8_S8_S8_S8_S8_S8_EEEEZNS1_11reduce_implILb1ES3_NS6_12zip_iteratorINS7_INS6_11hip_rocprim26transform_input_iterator_tIbPaNS6_6detail10functional5actorINSH_9compositeIJNSH_27transparent_binary_operatorINS6_8equal_toIvEEEENSI_INSH_8argumentILj0EEEEENSH_5valueIaEEEEEEEEENSD_19counting_iterator_tIlEES8_S8_S8_S8_S8_S8_S8_S8_EEEEPS9_S9_NSD_9__find_if7functorIS9_EEEE10hipError_tPvRmT1_T2_T3_mT4_P12ihipStream_tbEUlT_E0_NS1_11comp_targetILNS1_3genE5ELNS1_11target_archE942ELNS1_3gpuE9ELNS1_3repE0EEENS1_30default_config_static_selectorELNS0_4arch9wavefront6targetE1EEEvS17_,comdat
.Lfunc_end709:
	.size	_ZN7rocprim17ROCPRIM_400000_NS6detail17trampoline_kernelINS0_14default_configENS1_22reduce_config_selectorIN6thrust23THRUST_200600_302600_NS5tupleIblNS6_9null_typeES8_S8_S8_S8_S8_S8_S8_EEEEZNS1_11reduce_implILb1ES3_NS6_12zip_iteratorINS7_INS6_11hip_rocprim26transform_input_iterator_tIbPaNS6_6detail10functional5actorINSH_9compositeIJNSH_27transparent_binary_operatorINS6_8equal_toIvEEEENSI_INSH_8argumentILj0EEEEENSH_5valueIaEEEEEEEEENSD_19counting_iterator_tIlEES8_S8_S8_S8_S8_S8_S8_S8_EEEEPS9_S9_NSD_9__find_if7functorIS9_EEEE10hipError_tPvRmT1_T2_T3_mT4_P12ihipStream_tbEUlT_E0_NS1_11comp_targetILNS1_3genE5ELNS1_11target_archE942ELNS1_3gpuE9ELNS1_3repE0EEENS1_30default_config_static_selectorELNS0_4arch9wavefront6targetE1EEEvS17_, .Lfunc_end709-_ZN7rocprim17ROCPRIM_400000_NS6detail17trampoline_kernelINS0_14default_configENS1_22reduce_config_selectorIN6thrust23THRUST_200600_302600_NS5tupleIblNS6_9null_typeES8_S8_S8_S8_S8_S8_S8_EEEEZNS1_11reduce_implILb1ES3_NS6_12zip_iteratorINS7_INS6_11hip_rocprim26transform_input_iterator_tIbPaNS6_6detail10functional5actorINSH_9compositeIJNSH_27transparent_binary_operatorINS6_8equal_toIvEEEENSI_INSH_8argumentILj0EEEEENSH_5valueIaEEEEEEEEENSD_19counting_iterator_tIlEES8_S8_S8_S8_S8_S8_S8_S8_EEEEPS9_S9_NSD_9__find_if7functorIS9_EEEE10hipError_tPvRmT1_T2_T3_mT4_P12ihipStream_tbEUlT_E0_NS1_11comp_targetILNS1_3genE5ELNS1_11target_archE942ELNS1_3gpuE9ELNS1_3repE0EEENS1_30default_config_static_selectorELNS0_4arch9wavefront6targetE1EEEvS17_
                                        ; -- End function
	.section	.AMDGPU.csdata,"",@progbits
; Kernel info:
; codeLenInByte = 0
; NumSgprs: 4
; NumVgprs: 0
; NumAgprs: 0
; TotalNumVgprs: 0
; ScratchSize: 0
; MemoryBound: 0
; FloatMode: 240
; IeeeMode: 1
; LDSByteSize: 0 bytes/workgroup (compile time only)
; SGPRBlocks: 0
; VGPRBlocks: 0
; NumSGPRsForWavesPerEU: 4
; NumVGPRsForWavesPerEU: 1
; AccumOffset: 4
; Occupancy: 8
; WaveLimiterHint : 0
; COMPUTE_PGM_RSRC2:SCRATCH_EN: 0
; COMPUTE_PGM_RSRC2:USER_SGPR: 6
; COMPUTE_PGM_RSRC2:TRAP_HANDLER: 0
; COMPUTE_PGM_RSRC2:TGID_X_EN: 1
; COMPUTE_PGM_RSRC2:TGID_Y_EN: 0
; COMPUTE_PGM_RSRC2:TGID_Z_EN: 0
; COMPUTE_PGM_RSRC2:TIDIG_COMP_CNT: 0
; COMPUTE_PGM_RSRC3_GFX90A:ACCUM_OFFSET: 0
; COMPUTE_PGM_RSRC3_GFX90A:TG_SPLIT: 0
	.section	.text._ZN7rocprim17ROCPRIM_400000_NS6detail17trampoline_kernelINS0_14default_configENS1_22reduce_config_selectorIN6thrust23THRUST_200600_302600_NS5tupleIblNS6_9null_typeES8_S8_S8_S8_S8_S8_S8_EEEEZNS1_11reduce_implILb1ES3_NS6_12zip_iteratorINS7_INS6_11hip_rocprim26transform_input_iterator_tIbPaNS6_6detail10functional5actorINSH_9compositeIJNSH_27transparent_binary_operatorINS6_8equal_toIvEEEENSI_INSH_8argumentILj0EEEEENSH_5valueIaEEEEEEEEENSD_19counting_iterator_tIlEES8_S8_S8_S8_S8_S8_S8_S8_EEEEPS9_S9_NSD_9__find_if7functorIS9_EEEE10hipError_tPvRmT1_T2_T3_mT4_P12ihipStream_tbEUlT_E0_NS1_11comp_targetILNS1_3genE4ELNS1_11target_archE910ELNS1_3gpuE8ELNS1_3repE0EEENS1_30default_config_static_selectorELNS0_4arch9wavefront6targetE1EEEvS17_,"axG",@progbits,_ZN7rocprim17ROCPRIM_400000_NS6detail17trampoline_kernelINS0_14default_configENS1_22reduce_config_selectorIN6thrust23THRUST_200600_302600_NS5tupleIblNS6_9null_typeES8_S8_S8_S8_S8_S8_S8_EEEEZNS1_11reduce_implILb1ES3_NS6_12zip_iteratorINS7_INS6_11hip_rocprim26transform_input_iterator_tIbPaNS6_6detail10functional5actorINSH_9compositeIJNSH_27transparent_binary_operatorINS6_8equal_toIvEEEENSI_INSH_8argumentILj0EEEEENSH_5valueIaEEEEEEEEENSD_19counting_iterator_tIlEES8_S8_S8_S8_S8_S8_S8_S8_EEEEPS9_S9_NSD_9__find_if7functorIS9_EEEE10hipError_tPvRmT1_T2_T3_mT4_P12ihipStream_tbEUlT_E0_NS1_11comp_targetILNS1_3genE4ELNS1_11target_archE910ELNS1_3gpuE8ELNS1_3repE0EEENS1_30default_config_static_selectorELNS0_4arch9wavefront6targetE1EEEvS17_,comdat
	.protected	_ZN7rocprim17ROCPRIM_400000_NS6detail17trampoline_kernelINS0_14default_configENS1_22reduce_config_selectorIN6thrust23THRUST_200600_302600_NS5tupleIblNS6_9null_typeES8_S8_S8_S8_S8_S8_S8_EEEEZNS1_11reduce_implILb1ES3_NS6_12zip_iteratorINS7_INS6_11hip_rocprim26transform_input_iterator_tIbPaNS6_6detail10functional5actorINSH_9compositeIJNSH_27transparent_binary_operatorINS6_8equal_toIvEEEENSI_INSH_8argumentILj0EEEEENSH_5valueIaEEEEEEEEENSD_19counting_iterator_tIlEES8_S8_S8_S8_S8_S8_S8_S8_EEEEPS9_S9_NSD_9__find_if7functorIS9_EEEE10hipError_tPvRmT1_T2_T3_mT4_P12ihipStream_tbEUlT_E0_NS1_11comp_targetILNS1_3genE4ELNS1_11target_archE910ELNS1_3gpuE8ELNS1_3repE0EEENS1_30default_config_static_selectorELNS0_4arch9wavefront6targetE1EEEvS17_ ; -- Begin function _ZN7rocprim17ROCPRIM_400000_NS6detail17trampoline_kernelINS0_14default_configENS1_22reduce_config_selectorIN6thrust23THRUST_200600_302600_NS5tupleIblNS6_9null_typeES8_S8_S8_S8_S8_S8_S8_EEEEZNS1_11reduce_implILb1ES3_NS6_12zip_iteratorINS7_INS6_11hip_rocprim26transform_input_iterator_tIbPaNS6_6detail10functional5actorINSH_9compositeIJNSH_27transparent_binary_operatorINS6_8equal_toIvEEEENSI_INSH_8argumentILj0EEEEENSH_5valueIaEEEEEEEEENSD_19counting_iterator_tIlEES8_S8_S8_S8_S8_S8_S8_S8_EEEEPS9_S9_NSD_9__find_if7functorIS9_EEEE10hipError_tPvRmT1_T2_T3_mT4_P12ihipStream_tbEUlT_E0_NS1_11comp_targetILNS1_3genE4ELNS1_11target_archE910ELNS1_3gpuE8ELNS1_3repE0EEENS1_30default_config_static_selectorELNS0_4arch9wavefront6targetE1EEEvS17_
	.globl	_ZN7rocprim17ROCPRIM_400000_NS6detail17trampoline_kernelINS0_14default_configENS1_22reduce_config_selectorIN6thrust23THRUST_200600_302600_NS5tupleIblNS6_9null_typeES8_S8_S8_S8_S8_S8_S8_EEEEZNS1_11reduce_implILb1ES3_NS6_12zip_iteratorINS7_INS6_11hip_rocprim26transform_input_iterator_tIbPaNS6_6detail10functional5actorINSH_9compositeIJNSH_27transparent_binary_operatorINS6_8equal_toIvEEEENSI_INSH_8argumentILj0EEEEENSH_5valueIaEEEEEEEEENSD_19counting_iterator_tIlEES8_S8_S8_S8_S8_S8_S8_S8_EEEEPS9_S9_NSD_9__find_if7functorIS9_EEEE10hipError_tPvRmT1_T2_T3_mT4_P12ihipStream_tbEUlT_E0_NS1_11comp_targetILNS1_3genE4ELNS1_11target_archE910ELNS1_3gpuE8ELNS1_3repE0EEENS1_30default_config_static_selectorELNS0_4arch9wavefront6targetE1EEEvS17_
	.p2align	8
	.type	_ZN7rocprim17ROCPRIM_400000_NS6detail17trampoline_kernelINS0_14default_configENS1_22reduce_config_selectorIN6thrust23THRUST_200600_302600_NS5tupleIblNS6_9null_typeES8_S8_S8_S8_S8_S8_S8_EEEEZNS1_11reduce_implILb1ES3_NS6_12zip_iteratorINS7_INS6_11hip_rocprim26transform_input_iterator_tIbPaNS6_6detail10functional5actorINSH_9compositeIJNSH_27transparent_binary_operatorINS6_8equal_toIvEEEENSI_INSH_8argumentILj0EEEEENSH_5valueIaEEEEEEEEENSD_19counting_iterator_tIlEES8_S8_S8_S8_S8_S8_S8_S8_EEEEPS9_S9_NSD_9__find_if7functorIS9_EEEE10hipError_tPvRmT1_T2_T3_mT4_P12ihipStream_tbEUlT_E0_NS1_11comp_targetILNS1_3genE4ELNS1_11target_archE910ELNS1_3gpuE8ELNS1_3repE0EEENS1_30default_config_static_selectorELNS0_4arch9wavefront6targetE1EEEvS17_,@function
_ZN7rocprim17ROCPRIM_400000_NS6detail17trampoline_kernelINS0_14default_configENS1_22reduce_config_selectorIN6thrust23THRUST_200600_302600_NS5tupleIblNS6_9null_typeES8_S8_S8_S8_S8_S8_S8_EEEEZNS1_11reduce_implILb1ES3_NS6_12zip_iteratorINS7_INS6_11hip_rocprim26transform_input_iterator_tIbPaNS6_6detail10functional5actorINSH_9compositeIJNSH_27transparent_binary_operatorINS6_8equal_toIvEEEENSI_INSH_8argumentILj0EEEEENSH_5valueIaEEEEEEEEENSD_19counting_iterator_tIlEES8_S8_S8_S8_S8_S8_S8_S8_EEEEPS9_S9_NSD_9__find_if7functorIS9_EEEE10hipError_tPvRmT1_T2_T3_mT4_P12ihipStream_tbEUlT_E0_NS1_11comp_targetILNS1_3genE4ELNS1_11target_archE910ELNS1_3gpuE8ELNS1_3repE0EEENS1_30default_config_static_selectorELNS0_4arch9wavefront6targetE1EEEvS17_: ; @_ZN7rocprim17ROCPRIM_400000_NS6detail17trampoline_kernelINS0_14default_configENS1_22reduce_config_selectorIN6thrust23THRUST_200600_302600_NS5tupleIblNS6_9null_typeES8_S8_S8_S8_S8_S8_S8_EEEEZNS1_11reduce_implILb1ES3_NS6_12zip_iteratorINS7_INS6_11hip_rocprim26transform_input_iterator_tIbPaNS6_6detail10functional5actorINSH_9compositeIJNSH_27transparent_binary_operatorINS6_8equal_toIvEEEENSI_INSH_8argumentILj0EEEEENSH_5valueIaEEEEEEEEENSD_19counting_iterator_tIlEES8_S8_S8_S8_S8_S8_S8_S8_EEEEPS9_S9_NSD_9__find_if7functorIS9_EEEE10hipError_tPvRmT1_T2_T3_mT4_P12ihipStream_tbEUlT_E0_NS1_11comp_targetILNS1_3genE4ELNS1_11target_archE910ELNS1_3gpuE8ELNS1_3repE0EEENS1_30default_config_static_selectorELNS0_4arch9wavefront6targetE1EEEvS17_
; %bb.0:
	s_load_dwordx2 s[0:1], s[4:5], 0x0
	s_load_dword s2, s[4:5], 0x8
	s_load_dwordx8 s[8:15], s[4:5], 0x10
	s_load_dwordx4 s[16:19], s[4:5], 0x30
	s_mov_b32 s7, 0
	s_waitcnt lgkmcnt(0)
	s_lshr_b32 s22, s2, 16
	s_add_u32 s2, s0, s10
	s_addc_u32 s3, s1, s11
	s_lshl_b32 s23, s6, 9
	s_lshr_b64 s[0:1], s[12:13], 9
	s_add_u32 s20, s2, s23
	s_addc_u32 s21, s3, 0
	s_add_u32 s2, s8, s23
	s_addc_u32 s3, s9, 0
	;; [unrolled: 2-line block ×3, first 2 shown]
	s_cmp_lg_u64 s[0:1], s[6:7]
	s_cbranch_scc0 .LBB710_18
; %bb.1:
	global_load_ubyte v1, v0, s[20:21] offset:256
	global_load_ubyte v2, v0, s[20:21]
	v_mov_b32_e32 v3, s9
	v_add_co_u32_e32 v4, vcc, s8, v0
	v_addc_co_u32_e32 v3, vcc, 0, v3, vcc
	v_add_co_u32_e32 v5, vcc, 0x100, v4
	v_addc_co_u32_e32 v6, vcc, 0, v3, vcc
	s_waitcnt vmcnt(1)
	v_cmp_eq_u16_sdwa s[0:1], v1, s22 src0_sel:BYTE_0 src1_sel:BYTE_0
	s_waitcnt vmcnt(0)
	v_cmp_eq_u16_sdwa vcc, v2, s22 src0_sel:DWORD src1_sel:BYTE_0
	s_or_b64 s[0:1], vcc, s[0:1]
	v_cndmask_b32_e64 v1, 0, 1, s[0:1]
	v_cndmask_b32_e32 v3, v6, v3, vcc
	v_cndmask_b32_e32 v2, v5, v4, vcc
	v_mov_b32_dpp v6, v1 quad_perm:[1,0,3,2] row_mask:0xf bank_mask:0xf bound_ctrl:1
	v_and_b32_e32 v7, 1, v6
	v_mov_b32_dpp v4, v2 quad_perm:[1,0,3,2] row_mask:0xf bank_mask:0xf bound_ctrl:1
	v_mov_b32_dpp v5, v3 quad_perm:[1,0,3,2] row_mask:0xf bank_mask:0xf bound_ctrl:1
	v_cmp_eq_u32_e32 vcc, 1, v7
	s_and_saveexec_b64 s[2:3], vcc
; %bb.2:
	v_cmp_lt_i64_e32 vcc, v[2:3], v[4:5]
	v_cndmask_b32_e64 v6, v6, 1, s[0:1]
	s_and_b64 vcc, s[0:1], vcc
	v_cndmask_b32_e32 v2, v4, v2, vcc
	v_and_b32_e32 v4, 1, v6
	v_cndmask_b32_e32 v3, v5, v3, vcc
	v_cmp_eq_u32_e32 vcc, 1, v4
	s_andn2_b64 s[0:1], s[0:1], exec
	s_and_b64 s[10:11], vcc, exec
	v_and_b32_e32 v1, 0xff, v6
	s_or_b64 s[0:1], s[0:1], s[10:11]
; %bb.3:
	s_or_b64 exec, exec, s[2:3]
	v_mov_b32_dpp v6, v1 quad_perm:[2,3,0,1] row_mask:0xf bank_mask:0xf bound_ctrl:1
	v_and_b32_e32 v7, 1, v6
	v_mov_b32_dpp v4, v2 quad_perm:[2,3,0,1] row_mask:0xf bank_mask:0xf bound_ctrl:1
	v_mov_b32_dpp v5, v3 quad_perm:[2,3,0,1] row_mask:0xf bank_mask:0xf bound_ctrl:1
	v_cmp_eq_u32_e32 vcc, 1, v7
	s_and_saveexec_b64 s[2:3], vcc
; %bb.4:
	v_cmp_lt_i64_e32 vcc, v[2:3], v[4:5]
	v_cndmask_b32_e64 v6, v6, 1, s[0:1]
	s_and_b64 vcc, s[0:1], vcc
	v_cndmask_b32_e32 v2, v4, v2, vcc
	v_and_b32_e32 v4, 1, v6
	v_cndmask_b32_e32 v3, v5, v3, vcc
	v_cmp_eq_u32_e32 vcc, 1, v4
	s_andn2_b64 s[0:1], s[0:1], exec
	s_and_b64 s[10:11], vcc, exec
	v_and_b32_e32 v1, 0xff, v6
	s_or_b64 s[0:1], s[0:1], s[10:11]
; %bb.5:
	s_or_b64 exec, exec, s[2:3]
	v_mov_b32_dpp v6, v1 row_ror:4 row_mask:0xf bank_mask:0xf bound_ctrl:1
	v_and_b32_e32 v7, 1, v6
	v_mov_b32_dpp v4, v2 row_ror:4 row_mask:0xf bank_mask:0xf bound_ctrl:1
	v_mov_b32_dpp v5, v3 row_ror:4 row_mask:0xf bank_mask:0xf bound_ctrl:1
	v_cmp_eq_u32_e32 vcc, 1, v7
	s_and_saveexec_b64 s[2:3], vcc
; %bb.6:
	v_cmp_lt_i64_e32 vcc, v[2:3], v[4:5]
	v_cndmask_b32_e64 v6, v6, 1, s[0:1]
	s_and_b64 vcc, s[0:1], vcc
	v_cndmask_b32_e32 v2, v4, v2, vcc
	v_and_b32_e32 v4, 1, v6
	v_cndmask_b32_e32 v3, v5, v3, vcc
	v_cmp_eq_u32_e32 vcc, 1, v4
	s_andn2_b64 s[0:1], s[0:1], exec
	s_and_b64 s[10:11], vcc, exec
	v_and_b32_e32 v1, 0xff, v6
	s_or_b64 s[0:1], s[0:1], s[10:11]
; %bb.7:
	s_or_b64 exec, exec, s[2:3]
	v_mov_b32_dpp v6, v1 row_ror:8 row_mask:0xf bank_mask:0xf bound_ctrl:1
	v_and_b32_e32 v7, 1, v6
	v_mov_b32_dpp v4, v2 row_ror:8 row_mask:0xf bank_mask:0xf bound_ctrl:1
	v_mov_b32_dpp v5, v3 row_ror:8 row_mask:0xf bank_mask:0xf bound_ctrl:1
	v_cmp_eq_u32_e32 vcc, 1, v7
	s_and_saveexec_b64 s[2:3], vcc
; %bb.8:
	v_cmp_lt_i64_e32 vcc, v[2:3], v[4:5]
	v_cndmask_b32_e64 v6, v6, 1, s[0:1]
	s_and_b64 vcc, s[0:1], vcc
	v_cndmask_b32_e32 v2, v4, v2, vcc
	v_and_b32_e32 v4, 1, v6
	v_cndmask_b32_e32 v3, v5, v3, vcc
	v_cmp_eq_u32_e32 vcc, 1, v4
	s_andn2_b64 s[0:1], s[0:1], exec
	s_and_b64 s[10:11], vcc, exec
	v_and_b32_e32 v1, 0xff, v6
	s_or_b64 s[0:1], s[0:1], s[10:11]
; %bb.9:
	s_or_b64 exec, exec, s[2:3]
	v_mov_b32_dpp v6, v1 row_bcast:15 row_mask:0xf bank_mask:0xf bound_ctrl:1
	v_and_b32_e32 v7, 1, v6
	v_mov_b32_dpp v4, v2 row_bcast:15 row_mask:0xf bank_mask:0xf bound_ctrl:1
	v_mov_b32_dpp v5, v3 row_bcast:15 row_mask:0xf bank_mask:0xf bound_ctrl:1
	v_cmp_eq_u32_e32 vcc, 1, v7
	s_and_saveexec_b64 s[2:3], vcc
; %bb.10:
	v_cmp_lt_i64_e32 vcc, v[2:3], v[4:5]
	v_cndmask_b32_e64 v6, v6, 1, s[0:1]
	s_and_b64 vcc, s[0:1], vcc
	v_cndmask_b32_e32 v2, v4, v2, vcc
	v_and_b32_e32 v4, 1, v6
	v_cndmask_b32_e32 v3, v5, v3, vcc
	v_cmp_eq_u32_e32 vcc, 1, v4
	s_andn2_b64 s[0:1], s[0:1], exec
	s_and_b64 s[10:11], vcc, exec
	v_and_b32_e32 v1, 0xff, v6
	s_or_b64 s[0:1], s[0:1], s[10:11]
; %bb.11:
	s_or_b64 exec, exec, s[2:3]
	v_mov_b32_dpp v6, v1 row_bcast:31 row_mask:0xf bank_mask:0xf bound_ctrl:1
	v_and_b32_e32 v7, 1, v6
	v_mov_b32_dpp v4, v2 row_bcast:31 row_mask:0xf bank_mask:0xf bound_ctrl:1
	v_mov_b32_dpp v5, v3 row_bcast:31 row_mask:0xf bank_mask:0xf bound_ctrl:1
	v_cmp_eq_u32_e32 vcc, 1, v7
	s_and_saveexec_b64 s[2:3], vcc
; %bb.12:
	v_cmp_lt_i64_e32 vcc, v[2:3], v[4:5]
	v_and_b32_e32 v1, 0xff, v6
	s_and_b64 vcc, s[0:1], vcc
	v_cndmask_b32_e32 v2, v4, v2, vcc
	v_cndmask_b32_e32 v3, v5, v3, vcc
	v_cndmask_b32_e64 v1, v1, 1, s[0:1]
; %bb.13:
	s_or_b64 exec, exec, s[2:3]
	v_mbcnt_lo_u32_b32 v4, -1, 0
	v_mbcnt_hi_u32_b32 v4, -1, v4
	v_bfrev_b32_e32 v5, 0.5
	v_lshl_or_b32 v5, v4, 2, v5
	ds_bpermute_b32 v6, v5, v1
	ds_bpermute_b32 v2, v5, v2
	ds_bpermute_b32 v3, v5, v3
	v_cmp_eq_u32_e32 vcc, 0, v4
	s_and_saveexec_b64 s[0:1], vcc
	s_cbranch_execz .LBB710_15
; %bb.14:
	v_lshrrev_b32_e32 v1, 2, v0
	v_and_b32_e32 v1, 48, v1
	s_waitcnt lgkmcnt(2)
	ds_write_b8 v1, v6
	s_waitcnt lgkmcnt(1)
	ds_write_b64 v1, v[2:3] offset:8
.LBB710_15:
	s_or_b64 exec, exec, s[0:1]
	v_cmp_gt_u32_e32 vcc, 64, v0
	s_waitcnt lgkmcnt(0)
	s_barrier
	s_and_saveexec_b64 s[2:3], vcc
	s_cbranch_execz .LBB710_17
; %bb.16:
	v_and_b32_e32 v1, 3, v4
	v_lshlrev_b32_e32 v2, 4, v1
	ds_read_u8 v5, v2
	ds_read_b64 v[2:3], v2 offset:8
	v_cmp_ne_u32_e32 vcc, 3, v1
	v_addc_co_u32_e32 v6, vcc, 0, v4, vcc
	s_waitcnt lgkmcnt(1)
	v_and_b32_e32 v7, 0xff, v5
	v_lshlrev_b32_e32 v8, 2, v6
	ds_bpermute_b32 v9, v8, v7
	s_waitcnt lgkmcnt(1)
	ds_bpermute_b32 v6, v8, v2
	ds_bpermute_b32 v7, v8, v3
	v_and_b32_e32 v8, 1, v5
	s_waitcnt lgkmcnt(2)
	v_and_b32_e32 v10, 1, v9
	v_cmp_eq_u32_e64 s[0:1], 1, v10
	s_waitcnt lgkmcnt(0)
	v_cmp_lt_i64_e32 vcc, v[6:7], v[2:3]
	s_and_b64 vcc, s[0:1], vcc
	v_cndmask_b32_e64 v5, v5, 1, s[0:1]
	v_cndmask_b32_e32 v2, v2, v6, vcc
	v_cndmask_b32_e32 v3, v3, v7, vcc
	v_cmp_eq_u32_e32 vcc, 1, v8
	v_cndmask_b32_e32 v8, v9, v5, vcc
	v_cndmask_b32_e32 v3, v7, v3, vcc
	;; [unrolled: 1-line block ×3, first 2 shown]
	v_cmp_gt_u32_e32 vcc, 2, v1
	v_cndmask_b32_e64 v1, 0, 1, vcc
	v_lshlrev_b32_e32 v1, 1, v1
	v_and_b32_e32 v5, 0xff, v8
	v_add_lshl_u32 v1, v1, v4, 2
	ds_bpermute_b32 v6, v1, v5
	ds_bpermute_b32 v4, v1, v2
	ds_bpermute_b32 v5, v1, v3
	v_and_b32_e32 v1, 1, v8
	s_waitcnt lgkmcnt(2)
	v_and_b32_e32 v7, 1, v6
	v_cmp_eq_u32_e64 s[0:1], 1, v7
	s_waitcnt lgkmcnt(0)
	v_cmp_lt_i64_e32 vcc, v[4:5], v[2:3]
	s_and_b64 vcc, s[0:1], vcc
	v_cndmask_b32_e64 v7, v8, 1, s[0:1]
	v_cndmask_b32_e32 v2, v2, v4, vcc
	v_cndmask_b32_e32 v3, v3, v5, vcc
	v_cmp_eq_u32_e32 vcc, 1, v1
	v_cndmask_b32_e32 v1, v6, v7, vcc
	v_cndmask_b32_e32 v3, v5, v3, vcc
	v_cndmask_b32_e32 v2, v4, v2, vcc
	v_and_b32_e32 v6, 0xff, v1
.LBB710_17:
	s_or_b64 exec, exec, s[2:3]
	s_load_dword s10, s[4:5], 0x40
	s_load_dwordx2 s[2:3], s[4:5], 0x48
	s_branch .LBB710_46
.LBB710_18:
                                        ; implicit-def: $vgpr2_vgpr3
                                        ; implicit-def: $vgpr6
	s_load_dword s10, s[4:5], 0x40
	s_load_dwordx2 s[2:3], s[4:5], 0x48
	s_cbranch_execz .LBB710_46
; %bb.19:
	s_sub_i32 s11, s12, s23
	v_pk_mov_b32 v[4:5], 0, 0
	v_cmp_gt_u32_e32 vcc, s11, v0
	v_mov_b32_e32 v1, 0
	v_pk_mov_b32 v[2:3], v[4:5], v[4:5] op_sel:[0,1]
	v_mov_b32_e32 v7, 0
	s_and_saveexec_b64 s[0:1], vcc
	s_cbranch_execz .LBB710_21
; %bb.20:
	global_load_ubyte v6, v0, s[20:21]
	v_mov_b32_e32 v3, s9
	v_add_co_u32_e32 v2, vcc, s8, v0
	v_addc_co_u32_e32 v3, vcc, 0, v3, vcc
	s_waitcnt vmcnt(0)
	v_cmp_eq_u16_sdwa s[4:5], v6, s22 src0_sel:DWORD src1_sel:BYTE_0
	v_cndmask_b32_e64 v7, 0, 1, s[4:5]
.LBB710_21:
	s_or_b64 exec, exec, s[0:1]
	v_or_b32_e32 v6, 0x100, v0
	v_cmp_gt_u32_e32 vcc, s11, v6
	s_and_saveexec_b64 s[4:5], vcc
	s_cbranch_execz .LBB710_23
; %bb.22:
	global_load_ubyte v1, v0, s[20:21] offset:256
	v_mov_b32_e32 v5, s9
	v_add_co_u32_e64 v4, s[0:1], s8, v6
	v_addc_co_u32_e64 v5, s[0:1], 0, v5, s[0:1]
	s_waitcnt vmcnt(0)
	v_cmp_eq_u16_sdwa s[0:1], v1, s22 src0_sel:DWORD src1_sel:BYTE_0
	v_cndmask_b32_e64 v1, 0, 1, s[0:1]
.LBB710_23:
	s_or_b64 exec, exec, s[4:5]
	s_and_saveexec_b64 s[4:5], vcc
	s_cbranch_execz .LBB710_25
; %bb.24:
	v_and_b32_e32 v8, 1, v1
	v_cmp_lt_i64_e32 vcc, v[4:5], v[2:3]
	v_cmp_eq_u32_e64 s[0:1], 1, v8
	v_and_b32_e32 v6, 1, v7
	s_and_b64 vcc, s[0:1], vcc
	v_cndmask_b32_e64 v7, v7, 1, s[0:1]
	v_cndmask_b32_e32 v2, v2, v4, vcc
	v_cndmask_b32_e32 v3, v3, v5, vcc
	v_cmp_eq_u32_e32 vcc, 1, v6
	v_cndmask_b32_e32 v7, v1, v7, vcc
	v_cndmask_b32_e32 v3, v5, v3, vcc
	v_cndmask_b32_e32 v2, v4, v2, vcc
.LBB710_25:
	s_or_b64 exec, exec, s[4:5]
	v_mbcnt_lo_u32_b32 v1, -1, 0
	v_mbcnt_hi_u32_b32 v1, -1, v1
	v_and_b32_e32 v8, 63, v1
	v_cmp_ne_u32_e32 vcc, 63, v8
	v_addc_co_u32_e32 v4, vcc, 0, v1, vcc
	v_and_b32_e32 v6, 0xffff, v7
	v_lshlrev_b32_e32 v5, 2, v4
	ds_bpermute_b32 v10, v5, v6
	ds_bpermute_b32 v4, v5, v2
	;; [unrolled: 1-line block ×3, first 2 shown]
	s_min_u32 s8, s11, 0x100
	v_and_b32_e32 v9, 0xc0, v0
	v_sub_u32_e64 v9, s8, v9 clamp
	v_add_u32_e32 v11, 1, v8
	v_cmp_lt_u32_e32 vcc, v11, v9
	s_and_saveexec_b64 s[4:5], vcc
	s_cbranch_execz .LBB710_27
; %bb.26:
	s_waitcnt lgkmcnt(0)
	v_and_b32_e32 v11, 1, v10
	v_cmp_lt_i64_e32 vcc, v[4:5], v[2:3]
	v_cmp_eq_u32_e64 s[0:1], 1, v11
	v_and_b32_e32 v6, 1, v7
	s_and_b64 vcc, s[0:1], vcc
	v_cndmask_b32_e64 v7, v7, 1, s[0:1]
	v_cndmask_b32_e32 v2, v2, v4, vcc
	v_cndmask_b32_e32 v3, v3, v5, vcc
	v_cmp_eq_u32_e32 vcc, 1, v6
	v_cndmask_b32_e32 v7, v10, v7, vcc
	v_cndmask_b32_e32 v3, v5, v3, vcc
	;; [unrolled: 1-line block ×3, first 2 shown]
	v_and_b32_e32 v6, 0xff, v7
.LBB710_27:
	s_or_b64 exec, exec, s[4:5]
	v_cmp_gt_u32_e32 vcc, 62, v8
	s_waitcnt lgkmcnt(0)
	v_cndmask_b32_e64 v4, 0, 1, vcc
	v_lshlrev_b32_e32 v4, 1, v4
	v_add_lshl_u32 v5, v4, v1, 2
	ds_bpermute_b32 v10, v5, v6
	ds_bpermute_b32 v4, v5, v2
	ds_bpermute_b32 v5, v5, v3
	v_add_u32_e32 v11, 2, v8
	v_cmp_lt_u32_e32 vcc, v11, v9
	s_and_saveexec_b64 s[4:5], vcc
	s_cbranch_execz .LBB710_29
; %bb.28:
	s_waitcnt lgkmcnt(2)
	v_and_b32_e32 v11, 1, v10
	s_waitcnt lgkmcnt(0)
	v_cmp_lt_i64_e32 vcc, v[4:5], v[2:3]
	v_cmp_eq_u32_e64 s[0:1], 1, v11
	v_and_b32_e32 v6, 1, v7
	s_and_b64 vcc, s[0:1], vcc
	v_cndmask_b32_e64 v7, v7, 1, s[0:1]
	v_cndmask_b32_e32 v2, v2, v4, vcc
	v_cndmask_b32_e32 v3, v3, v5, vcc
	v_cmp_eq_u32_e32 vcc, 1, v6
	v_cndmask_b32_e32 v7, v10, v7, vcc
	v_cndmask_b32_e32 v3, v5, v3, vcc
	v_cndmask_b32_e32 v2, v4, v2, vcc
	v_and_b32_e32 v6, 0xff, v7
.LBB710_29:
	s_or_b64 exec, exec, s[4:5]
	v_cmp_gt_u32_e32 vcc, 60, v8
	s_waitcnt lgkmcnt(1)
	v_cndmask_b32_e64 v4, 0, 1, vcc
	v_lshlrev_b32_e32 v4, 2, v4
	s_waitcnt lgkmcnt(0)
	v_add_lshl_u32 v5, v4, v1, 2
	ds_bpermute_b32 v10, v5, v6
	ds_bpermute_b32 v4, v5, v2
	ds_bpermute_b32 v5, v5, v3
	v_add_u32_e32 v11, 4, v8
	v_cmp_lt_u32_e32 vcc, v11, v9
	s_and_saveexec_b64 s[4:5], vcc
	s_cbranch_execz .LBB710_31
; %bb.30:
	s_waitcnt lgkmcnt(2)
	v_and_b32_e32 v11, 1, v10
	s_waitcnt lgkmcnt(0)
	v_cmp_lt_i64_e32 vcc, v[4:5], v[2:3]
	v_cmp_eq_u32_e64 s[0:1], 1, v11
	v_and_b32_e32 v6, 1, v7
	s_and_b64 vcc, s[0:1], vcc
	v_cndmask_b32_e64 v7, v7, 1, s[0:1]
	v_cndmask_b32_e32 v2, v2, v4, vcc
	v_cndmask_b32_e32 v3, v3, v5, vcc
	v_cmp_eq_u32_e32 vcc, 1, v6
	v_cndmask_b32_e32 v7, v10, v7, vcc
	v_cndmask_b32_e32 v3, v5, v3, vcc
	v_cndmask_b32_e32 v2, v4, v2, vcc
	v_and_b32_e32 v6, 0xff, v7
.LBB710_31:
	s_or_b64 exec, exec, s[4:5]
	v_cmp_gt_u32_e32 vcc, 56, v8
	s_waitcnt lgkmcnt(1)
	v_cndmask_b32_e64 v4, 0, 1, vcc
	v_lshlrev_b32_e32 v4, 3, v4
	s_waitcnt lgkmcnt(0)
	;; [unrolled: 31-line block ×4, first 2 shown]
	v_add_lshl_u32 v5, v4, v1, 2
	ds_bpermute_b32 v10, v5, v6
	ds_bpermute_b32 v4, v5, v2
	;; [unrolled: 1-line block ×3, first 2 shown]
	v_add_u32_e32 v8, 32, v8
	v_cmp_lt_u32_e32 vcc, v8, v9
	s_and_saveexec_b64 s[4:5], vcc
	s_cbranch_execz .LBB710_37
; %bb.36:
	s_waitcnt lgkmcnt(2)
	v_and_b32_e32 v8, 1, v10
	s_waitcnt lgkmcnt(0)
	v_cmp_lt_i64_e32 vcc, v[4:5], v[2:3]
	v_cmp_eq_u32_e64 s[0:1], 1, v8
	v_and_b32_e32 v6, 1, v7
	s_and_b64 vcc, s[0:1], vcc
	v_cndmask_b32_e64 v7, v7, 1, s[0:1]
	v_cndmask_b32_e32 v2, v2, v4, vcc
	v_cndmask_b32_e32 v3, v3, v5, vcc
	v_cmp_eq_u32_e32 vcc, 1, v6
	v_cndmask_b32_e32 v7, v10, v7, vcc
	v_cndmask_b32_e32 v3, v5, v3, vcc
	v_cndmask_b32_e32 v2, v4, v2, vcc
	v_and_b32_e32 v6, 0xff, v7
.LBB710_37:
	s_or_b64 exec, exec, s[4:5]
	v_cmp_eq_u32_e32 vcc, 0, v1
	s_and_saveexec_b64 s[0:1], vcc
	s_cbranch_execz .LBB710_39
; %bb.38:
	s_waitcnt lgkmcnt(1)
	v_lshrrev_b32_e32 v4, 2, v0
	v_and_b32_e32 v4, 48, v4
	ds_write_b8 v4, v7 offset:64
	ds_write_b64 v4, v[2:3] offset:72
.LBB710_39:
	s_or_b64 exec, exec, s[0:1]
	v_cmp_gt_u32_e32 vcc, 4, v0
	s_waitcnt lgkmcnt(0)
	s_barrier
	s_and_saveexec_b64 s[4:5], vcc
	s_cbranch_execz .LBB710_45
; %bb.40:
	v_lshlrev_b32_e32 v2, 4, v1
	ds_read_u8 v7, v2 offset:64
	ds_read_b64 v[2:3], v2 offset:72
	v_and_b32_e32 v8, 3, v1
	v_cmp_ne_u32_e32 vcc, 3, v8
	v_addc_co_u32_e32 v4, vcc, 0, v1, vcc
	s_waitcnt lgkmcnt(1)
	v_and_b32_e32 v6, 0xff, v7
	v_lshlrev_b32_e32 v5, 2, v4
	ds_bpermute_b32 v9, v5, v6
	s_waitcnt lgkmcnt(1)
	ds_bpermute_b32 v4, v5, v2
	ds_bpermute_b32 v5, v5, v3
	s_add_i32 s8, s8, 63
	s_lshr_b32 s11, s8, 6
	v_add_u32_e32 v10, 1, v8
	v_cmp_gt_u32_e32 vcc, s11, v10
	s_and_saveexec_b64 s[8:9], vcc
	s_cbranch_execz .LBB710_42
; %bb.41:
	s_waitcnt lgkmcnt(2)
	v_and_b32_e32 v10, 1, v9
	s_waitcnt lgkmcnt(0)
	v_cmp_lt_i64_e32 vcc, v[4:5], v[2:3]
	v_cmp_eq_u32_e64 s[0:1], 1, v10
	v_and_b32_e32 v6, 1, v7
	s_and_b64 vcc, s[0:1], vcc
	v_cndmask_b32_e64 v7, v7, 1, s[0:1]
	v_cndmask_b32_e32 v2, v2, v4, vcc
	v_cndmask_b32_e32 v3, v3, v5, vcc
	v_cmp_eq_u32_e32 vcc, 1, v6
	v_cndmask_b32_e32 v7, v9, v7, vcc
	v_cndmask_b32_e32 v3, v5, v3, vcc
	;; [unrolled: 1-line block ×3, first 2 shown]
	v_and_b32_e32 v6, 0xff, v7
.LBB710_42:
	s_or_b64 exec, exec, s[8:9]
	v_cmp_gt_u32_e32 vcc, 2, v8
	s_waitcnt lgkmcnt(1)
	v_cndmask_b32_e64 v4, 0, 1, vcc
	v_lshlrev_b32_e32 v4, 1, v4
	s_waitcnt lgkmcnt(0)
	v_add_lshl_u32 v5, v4, v1, 2
	ds_bpermute_b32 v1, v5, v6
	ds_bpermute_b32 v4, v5, v2
	;; [unrolled: 1-line block ×3, first 2 shown]
	v_add_u32_e32 v8, 2, v8
	v_cmp_gt_u32_e32 vcc, s11, v8
	s_and_saveexec_b64 s[8:9], vcc
	s_cbranch_execz .LBB710_44
; %bb.43:
	s_waitcnt lgkmcnt(2)
	v_and_b32_e32 v8, 1, v1
	s_waitcnt lgkmcnt(0)
	v_cmp_lt_i64_e32 vcc, v[4:5], v[2:3]
	v_cmp_eq_u32_e64 s[0:1], 1, v8
	v_and_b32_e32 v6, 1, v7
	s_and_b64 vcc, s[0:1], vcc
	v_cndmask_b32_e64 v7, v7, 1, s[0:1]
	v_cndmask_b32_e32 v2, v2, v4, vcc
	v_cndmask_b32_e32 v3, v3, v5, vcc
	v_cmp_eq_u32_e32 vcc, 1, v6
	v_cndmask_b32_e32 v1, v1, v7, vcc
	v_cndmask_b32_e32 v3, v5, v3, vcc
	;; [unrolled: 1-line block ×3, first 2 shown]
	v_and_b32_e32 v6, 0xff, v1
.LBB710_44:
	s_or_b64 exec, exec, s[8:9]
.LBB710_45:
	s_or_b64 exec, exec, s[4:5]
.LBB710_46:
	v_cmp_eq_u32_e32 vcc, 0, v0
	s_and_saveexec_b64 s[0:1], vcc
	s_cbranch_execnz .LBB710_48
; %bb.47:
	s_endpgm
.LBB710_48:
	s_mul_i32 s0, s18, s17
	s_mul_hi_u32 s1, s18, s16
	s_add_i32 s0, s1, s0
	s_mul_i32 s1, s19, s16
	s_add_i32 s1, s0, s1
	s_mul_i32 s0, s18, s16
	s_lshl_b64 s[0:1], s[0:1], 4
	s_add_u32 s4, s14, s0
	s_addc_u32 s5, s15, s1
	s_cmp_eq_u64 s[12:13], 0
	s_waitcnt lgkmcnt(0)
	v_mov_b32_e32 v0, s3
	s_cselect_b64 vcc, -1, 0
	v_cndmask_b32_e32 v1, v3, v0, vcc
	v_mov_b32_e32 v0, s2
	s_lshl_b64 s[0:1], s[6:7], 4
	v_cndmask_b32_e32 v0, v2, v0, vcc
	v_mov_b32_e32 v2, s10
	s_add_u32 s0, s4, s0
	v_cndmask_b32_e32 v2, v6, v2, vcc
	s_addc_u32 s1, s5, s1
	v_mov_b32_e32 v3, 0
	global_store_byte v3, v2, s[0:1]
	global_store_dwordx2 v3, v[0:1], s[0:1] offset:8
	s_endpgm
	.section	.rodata,"a",@progbits
	.p2align	6, 0x0
	.amdhsa_kernel _ZN7rocprim17ROCPRIM_400000_NS6detail17trampoline_kernelINS0_14default_configENS1_22reduce_config_selectorIN6thrust23THRUST_200600_302600_NS5tupleIblNS6_9null_typeES8_S8_S8_S8_S8_S8_S8_EEEEZNS1_11reduce_implILb1ES3_NS6_12zip_iteratorINS7_INS6_11hip_rocprim26transform_input_iterator_tIbPaNS6_6detail10functional5actorINSH_9compositeIJNSH_27transparent_binary_operatorINS6_8equal_toIvEEEENSI_INSH_8argumentILj0EEEEENSH_5valueIaEEEEEEEEENSD_19counting_iterator_tIlEES8_S8_S8_S8_S8_S8_S8_S8_EEEEPS9_S9_NSD_9__find_if7functorIS9_EEEE10hipError_tPvRmT1_T2_T3_mT4_P12ihipStream_tbEUlT_E0_NS1_11comp_targetILNS1_3genE4ELNS1_11target_archE910ELNS1_3gpuE8ELNS1_3repE0EEENS1_30default_config_static_selectorELNS0_4arch9wavefront6targetE1EEEvS17_
		.amdhsa_group_segment_fixed_size 128
		.amdhsa_private_segment_fixed_size 0
		.amdhsa_kernarg_size 88
		.amdhsa_user_sgpr_count 6
		.amdhsa_user_sgpr_private_segment_buffer 1
		.amdhsa_user_sgpr_dispatch_ptr 0
		.amdhsa_user_sgpr_queue_ptr 0
		.amdhsa_user_sgpr_kernarg_segment_ptr 1
		.amdhsa_user_sgpr_dispatch_id 0
		.amdhsa_user_sgpr_flat_scratch_init 0
		.amdhsa_user_sgpr_kernarg_preload_length 0
		.amdhsa_user_sgpr_kernarg_preload_offset 0
		.amdhsa_user_sgpr_private_segment_size 0
		.amdhsa_uses_dynamic_stack 0
		.amdhsa_system_sgpr_private_segment_wavefront_offset 0
		.amdhsa_system_sgpr_workgroup_id_x 1
		.amdhsa_system_sgpr_workgroup_id_y 0
		.amdhsa_system_sgpr_workgroup_id_z 0
		.amdhsa_system_sgpr_workgroup_info 0
		.amdhsa_system_vgpr_workitem_id 0
		.amdhsa_next_free_vgpr 12
		.amdhsa_next_free_sgpr 24
		.amdhsa_accum_offset 12
		.amdhsa_reserve_vcc 1
		.amdhsa_reserve_flat_scratch 0
		.amdhsa_float_round_mode_32 0
		.amdhsa_float_round_mode_16_64 0
		.amdhsa_float_denorm_mode_32 3
		.amdhsa_float_denorm_mode_16_64 3
		.amdhsa_dx10_clamp 1
		.amdhsa_ieee_mode 1
		.amdhsa_fp16_overflow 0
		.amdhsa_tg_split 0
		.amdhsa_exception_fp_ieee_invalid_op 0
		.amdhsa_exception_fp_denorm_src 0
		.amdhsa_exception_fp_ieee_div_zero 0
		.amdhsa_exception_fp_ieee_overflow 0
		.amdhsa_exception_fp_ieee_underflow 0
		.amdhsa_exception_fp_ieee_inexact 0
		.amdhsa_exception_int_div_zero 0
	.end_amdhsa_kernel
	.section	.text._ZN7rocprim17ROCPRIM_400000_NS6detail17trampoline_kernelINS0_14default_configENS1_22reduce_config_selectorIN6thrust23THRUST_200600_302600_NS5tupleIblNS6_9null_typeES8_S8_S8_S8_S8_S8_S8_EEEEZNS1_11reduce_implILb1ES3_NS6_12zip_iteratorINS7_INS6_11hip_rocprim26transform_input_iterator_tIbPaNS6_6detail10functional5actorINSH_9compositeIJNSH_27transparent_binary_operatorINS6_8equal_toIvEEEENSI_INSH_8argumentILj0EEEEENSH_5valueIaEEEEEEEEENSD_19counting_iterator_tIlEES8_S8_S8_S8_S8_S8_S8_S8_EEEEPS9_S9_NSD_9__find_if7functorIS9_EEEE10hipError_tPvRmT1_T2_T3_mT4_P12ihipStream_tbEUlT_E0_NS1_11comp_targetILNS1_3genE4ELNS1_11target_archE910ELNS1_3gpuE8ELNS1_3repE0EEENS1_30default_config_static_selectorELNS0_4arch9wavefront6targetE1EEEvS17_,"axG",@progbits,_ZN7rocprim17ROCPRIM_400000_NS6detail17trampoline_kernelINS0_14default_configENS1_22reduce_config_selectorIN6thrust23THRUST_200600_302600_NS5tupleIblNS6_9null_typeES8_S8_S8_S8_S8_S8_S8_EEEEZNS1_11reduce_implILb1ES3_NS6_12zip_iteratorINS7_INS6_11hip_rocprim26transform_input_iterator_tIbPaNS6_6detail10functional5actorINSH_9compositeIJNSH_27transparent_binary_operatorINS6_8equal_toIvEEEENSI_INSH_8argumentILj0EEEEENSH_5valueIaEEEEEEEEENSD_19counting_iterator_tIlEES8_S8_S8_S8_S8_S8_S8_S8_EEEEPS9_S9_NSD_9__find_if7functorIS9_EEEE10hipError_tPvRmT1_T2_T3_mT4_P12ihipStream_tbEUlT_E0_NS1_11comp_targetILNS1_3genE4ELNS1_11target_archE910ELNS1_3gpuE8ELNS1_3repE0EEENS1_30default_config_static_selectorELNS0_4arch9wavefront6targetE1EEEvS17_,comdat
.Lfunc_end710:
	.size	_ZN7rocprim17ROCPRIM_400000_NS6detail17trampoline_kernelINS0_14default_configENS1_22reduce_config_selectorIN6thrust23THRUST_200600_302600_NS5tupleIblNS6_9null_typeES8_S8_S8_S8_S8_S8_S8_EEEEZNS1_11reduce_implILb1ES3_NS6_12zip_iteratorINS7_INS6_11hip_rocprim26transform_input_iterator_tIbPaNS6_6detail10functional5actorINSH_9compositeIJNSH_27transparent_binary_operatorINS6_8equal_toIvEEEENSI_INSH_8argumentILj0EEEEENSH_5valueIaEEEEEEEEENSD_19counting_iterator_tIlEES8_S8_S8_S8_S8_S8_S8_S8_EEEEPS9_S9_NSD_9__find_if7functorIS9_EEEE10hipError_tPvRmT1_T2_T3_mT4_P12ihipStream_tbEUlT_E0_NS1_11comp_targetILNS1_3genE4ELNS1_11target_archE910ELNS1_3gpuE8ELNS1_3repE0EEENS1_30default_config_static_selectorELNS0_4arch9wavefront6targetE1EEEvS17_, .Lfunc_end710-_ZN7rocprim17ROCPRIM_400000_NS6detail17trampoline_kernelINS0_14default_configENS1_22reduce_config_selectorIN6thrust23THRUST_200600_302600_NS5tupleIblNS6_9null_typeES8_S8_S8_S8_S8_S8_S8_EEEEZNS1_11reduce_implILb1ES3_NS6_12zip_iteratorINS7_INS6_11hip_rocprim26transform_input_iterator_tIbPaNS6_6detail10functional5actorINSH_9compositeIJNSH_27transparent_binary_operatorINS6_8equal_toIvEEEENSI_INSH_8argumentILj0EEEEENSH_5valueIaEEEEEEEEENSD_19counting_iterator_tIlEES8_S8_S8_S8_S8_S8_S8_S8_EEEEPS9_S9_NSD_9__find_if7functorIS9_EEEE10hipError_tPvRmT1_T2_T3_mT4_P12ihipStream_tbEUlT_E0_NS1_11comp_targetILNS1_3genE4ELNS1_11target_archE910ELNS1_3gpuE8ELNS1_3repE0EEENS1_30default_config_static_selectorELNS0_4arch9wavefront6targetE1EEEvS17_
                                        ; -- End function
	.section	.AMDGPU.csdata,"",@progbits
; Kernel info:
; codeLenInByte = 2792
; NumSgprs: 28
; NumVgprs: 12
; NumAgprs: 0
; TotalNumVgprs: 12
; ScratchSize: 0
; MemoryBound: 0
; FloatMode: 240
; IeeeMode: 1
; LDSByteSize: 128 bytes/workgroup (compile time only)
; SGPRBlocks: 3
; VGPRBlocks: 1
; NumSGPRsForWavesPerEU: 28
; NumVGPRsForWavesPerEU: 12
; AccumOffset: 12
; Occupancy: 8
; WaveLimiterHint : 1
; COMPUTE_PGM_RSRC2:SCRATCH_EN: 0
; COMPUTE_PGM_RSRC2:USER_SGPR: 6
; COMPUTE_PGM_RSRC2:TRAP_HANDLER: 0
; COMPUTE_PGM_RSRC2:TGID_X_EN: 1
; COMPUTE_PGM_RSRC2:TGID_Y_EN: 0
; COMPUTE_PGM_RSRC2:TGID_Z_EN: 0
; COMPUTE_PGM_RSRC2:TIDIG_COMP_CNT: 0
; COMPUTE_PGM_RSRC3_GFX90A:ACCUM_OFFSET: 2
; COMPUTE_PGM_RSRC3_GFX90A:TG_SPLIT: 0
	.section	.text._ZN7rocprim17ROCPRIM_400000_NS6detail17trampoline_kernelINS0_14default_configENS1_22reduce_config_selectorIN6thrust23THRUST_200600_302600_NS5tupleIblNS6_9null_typeES8_S8_S8_S8_S8_S8_S8_EEEEZNS1_11reduce_implILb1ES3_NS6_12zip_iteratorINS7_INS6_11hip_rocprim26transform_input_iterator_tIbPaNS6_6detail10functional5actorINSH_9compositeIJNSH_27transparent_binary_operatorINS6_8equal_toIvEEEENSI_INSH_8argumentILj0EEEEENSH_5valueIaEEEEEEEEENSD_19counting_iterator_tIlEES8_S8_S8_S8_S8_S8_S8_S8_EEEEPS9_S9_NSD_9__find_if7functorIS9_EEEE10hipError_tPvRmT1_T2_T3_mT4_P12ihipStream_tbEUlT_E0_NS1_11comp_targetILNS1_3genE3ELNS1_11target_archE908ELNS1_3gpuE7ELNS1_3repE0EEENS1_30default_config_static_selectorELNS0_4arch9wavefront6targetE1EEEvS17_,"axG",@progbits,_ZN7rocprim17ROCPRIM_400000_NS6detail17trampoline_kernelINS0_14default_configENS1_22reduce_config_selectorIN6thrust23THRUST_200600_302600_NS5tupleIblNS6_9null_typeES8_S8_S8_S8_S8_S8_S8_EEEEZNS1_11reduce_implILb1ES3_NS6_12zip_iteratorINS7_INS6_11hip_rocprim26transform_input_iterator_tIbPaNS6_6detail10functional5actorINSH_9compositeIJNSH_27transparent_binary_operatorINS6_8equal_toIvEEEENSI_INSH_8argumentILj0EEEEENSH_5valueIaEEEEEEEEENSD_19counting_iterator_tIlEES8_S8_S8_S8_S8_S8_S8_S8_EEEEPS9_S9_NSD_9__find_if7functorIS9_EEEE10hipError_tPvRmT1_T2_T3_mT4_P12ihipStream_tbEUlT_E0_NS1_11comp_targetILNS1_3genE3ELNS1_11target_archE908ELNS1_3gpuE7ELNS1_3repE0EEENS1_30default_config_static_selectorELNS0_4arch9wavefront6targetE1EEEvS17_,comdat
	.protected	_ZN7rocprim17ROCPRIM_400000_NS6detail17trampoline_kernelINS0_14default_configENS1_22reduce_config_selectorIN6thrust23THRUST_200600_302600_NS5tupleIblNS6_9null_typeES8_S8_S8_S8_S8_S8_S8_EEEEZNS1_11reduce_implILb1ES3_NS6_12zip_iteratorINS7_INS6_11hip_rocprim26transform_input_iterator_tIbPaNS6_6detail10functional5actorINSH_9compositeIJNSH_27transparent_binary_operatorINS6_8equal_toIvEEEENSI_INSH_8argumentILj0EEEEENSH_5valueIaEEEEEEEEENSD_19counting_iterator_tIlEES8_S8_S8_S8_S8_S8_S8_S8_EEEEPS9_S9_NSD_9__find_if7functorIS9_EEEE10hipError_tPvRmT1_T2_T3_mT4_P12ihipStream_tbEUlT_E0_NS1_11comp_targetILNS1_3genE3ELNS1_11target_archE908ELNS1_3gpuE7ELNS1_3repE0EEENS1_30default_config_static_selectorELNS0_4arch9wavefront6targetE1EEEvS17_ ; -- Begin function _ZN7rocprim17ROCPRIM_400000_NS6detail17trampoline_kernelINS0_14default_configENS1_22reduce_config_selectorIN6thrust23THRUST_200600_302600_NS5tupleIblNS6_9null_typeES8_S8_S8_S8_S8_S8_S8_EEEEZNS1_11reduce_implILb1ES3_NS6_12zip_iteratorINS7_INS6_11hip_rocprim26transform_input_iterator_tIbPaNS6_6detail10functional5actorINSH_9compositeIJNSH_27transparent_binary_operatorINS6_8equal_toIvEEEENSI_INSH_8argumentILj0EEEEENSH_5valueIaEEEEEEEEENSD_19counting_iterator_tIlEES8_S8_S8_S8_S8_S8_S8_S8_EEEEPS9_S9_NSD_9__find_if7functorIS9_EEEE10hipError_tPvRmT1_T2_T3_mT4_P12ihipStream_tbEUlT_E0_NS1_11comp_targetILNS1_3genE3ELNS1_11target_archE908ELNS1_3gpuE7ELNS1_3repE0EEENS1_30default_config_static_selectorELNS0_4arch9wavefront6targetE1EEEvS17_
	.globl	_ZN7rocprim17ROCPRIM_400000_NS6detail17trampoline_kernelINS0_14default_configENS1_22reduce_config_selectorIN6thrust23THRUST_200600_302600_NS5tupleIblNS6_9null_typeES8_S8_S8_S8_S8_S8_S8_EEEEZNS1_11reduce_implILb1ES3_NS6_12zip_iteratorINS7_INS6_11hip_rocprim26transform_input_iterator_tIbPaNS6_6detail10functional5actorINSH_9compositeIJNSH_27transparent_binary_operatorINS6_8equal_toIvEEEENSI_INSH_8argumentILj0EEEEENSH_5valueIaEEEEEEEEENSD_19counting_iterator_tIlEES8_S8_S8_S8_S8_S8_S8_S8_EEEEPS9_S9_NSD_9__find_if7functorIS9_EEEE10hipError_tPvRmT1_T2_T3_mT4_P12ihipStream_tbEUlT_E0_NS1_11comp_targetILNS1_3genE3ELNS1_11target_archE908ELNS1_3gpuE7ELNS1_3repE0EEENS1_30default_config_static_selectorELNS0_4arch9wavefront6targetE1EEEvS17_
	.p2align	8
	.type	_ZN7rocprim17ROCPRIM_400000_NS6detail17trampoline_kernelINS0_14default_configENS1_22reduce_config_selectorIN6thrust23THRUST_200600_302600_NS5tupleIblNS6_9null_typeES8_S8_S8_S8_S8_S8_S8_EEEEZNS1_11reduce_implILb1ES3_NS6_12zip_iteratorINS7_INS6_11hip_rocprim26transform_input_iterator_tIbPaNS6_6detail10functional5actorINSH_9compositeIJNSH_27transparent_binary_operatorINS6_8equal_toIvEEEENSI_INSH_8argumentILj0EEEEENSH_5valueIaEEEEEEEEENSD_19counting_iterator_tIlEES8_S8_S8_S8_S8_S8_S8_S8_EEEEPS9_S9_NSD_9__find_if7functorIS9_EEEE10hipError_tPvRmT1_T2_T3_mT4_P12ihipStream_tbEUlT_E0_NS1_11comp_targetILNS1_3genE3ELNS1_11target_archE908ELNS1_3gpuE7ELNS1_3repE0EEENS1_30default_config_static_selectorELNS0_4arch9wavefront6targetE1EEEvS17_,@function
_ZN7rocprim17ROCPRIM_400000_NS6detail17trampoline_kernelINS0_14default_configENS1_22reduce_config_selectorIN6thrust23THRUST_200600_302600_NS5tupleIblNS6_9null_typeES8_S8_S8_S8_S8_S8_S8_EEEEZNS1_11reduce_implILb1ES3_NS6_12zip_iteratorINS7_INS6_11hip_rocprim26transform_input_iterator_tIbPaNS6_6detail10functional5actorINSH_9compositeIJNSH_27transparent_binary_operatorINS6_8equal_toIvEEEENSI_INSH_8argumentILj0EEEEENSH_5valueIaEEEEEEEEENSD_19counting_iterator_tIlEES8_S8_S8_S8_S8_S8_S8_S8_EEEEPS9_S9_NSD_9__find_if7functorIS9_EEEE10hipError_tPvRmT1_T2_T3_mT4_P12ihipStream_tbEUlT_E0_NS1_11comp_targetILNS1_3genE3ELNS1_11target_archE908ELNS1_3gpuE7ELNS1_3repE0EEENS1_30default_config_static_selectorELNS0_4arch9wavefront6targetE1EEEvS17_: ; @_ZN7rocprim17ROCPRIM_400000_NS6detail17trampoline_kernelINS0_14default_configENS1_22reduce_config_selectorIN6thrust23THRUST_200600_302600_NS5tupleIblNS6_9null_typeES8_S8_S8_S8_S8_S8_S8_EEEEZNS1_11reduce_implILb1ES3_NS6_12zip_iteratorINS7_INS6_11hip_rocprim26transform_input_iterator_tIbPaNS6_6detail10functional5actorINSH_9compositeIJNSH_27transparent_binary_operatorINS6_8equal_toIvEEEENSI_INSH_8argumentILj0EEEEENSH_5valueIaEEEEEEEEENSD_19counting_iterator_tIlEES8_S8_S8_S8_S8_S8_S8_S8_EEEEPS9_S9_NSD_9__find_if7functorIS9_EEEE10hipError_tPvRmT1_T2_T3_mT4_P12ihipStream_tbEUlT_E0_NS1_11comp_targetILNS1_3genE3ELNS1_11target_archE908ELNS1_3gpuE7ELNS1_3repE0EEENS1_30default_config_static_selectorELNS0_4arch9wavefront6targetE1EEEvS17_
; %bb.0:
	.section	.rodata,"a",@progbits
	.p2align	6, 0x0
	.amdhsa_kernel _ZN7rocprim17ROCPRIM_400000_NS6detail17trampoline_kernelINS0_14default_configENS1_22reduce_config_selectorIN6thrust23THRUST_200600_302600_NS5tupleIblNS6_9null_typeES8_S8_S8_S8_S8_S8_S8_EEEEZNS1_11reduce_implILb1ES3_NS6_12zip_iteratorINS7_INS6_11hip_rocprim26transform_input_iterator_tIbPaNS6_6detail10functional5actorINSH_9compositeIJNSH_27transparent_binary_operatorINS6_8equal_toIvEEEENSI_INSH_8argumentILj0EEEEENSH_5valueIaEEEEEEEEENSD_19counting_iterator_tIlEES8_S8_S8_S8_S8_S8_S8_S8_EEEEPS9_S9_NSD_9__find_if7functorIS9_EEEE10hipError_tPvRmT1_T2_T3_mT4_P12ihipStream_tbEUlT_E0_NS1_11comp_targetILNS1_3genE3ELNS1_11target_archE908ELNS1_3gpuE7ELNS1_3repE0EEENS1_30default_config_static_selectorELNS0_4arch9wavefront6targetE1EEEvS17_
		.amdhsa_group_segment_fixed_size 0
		.amdhsa_private_segment_fixed_size 0
		.amdhsa_kernarg_size 88
		.amdhsa_user_sgpr_count 6
		.amdhsa_user_sgpr_private_segment_buffer 1
		.amdhsa_user_sgpr_dispatch_ptr 0
		.amdhsa_user_sgpr_queue_ptr 0
		.amdhsa_user_sgpr_kernarg_segment_ptr 1
		.amdhsa_user_sgpr_dispatch_id 0
		.amdhsa_user_sgpr_flat_scratch_init 0
		.amdhsa_user_sgpr_kernarg_preload_length 0
		.amdhsa_user_sgpr_kernarg_preload_offset 0
		.amdhsa_user_sgpr_private_segment_size 0
		.amdhsa_uses_dynamic_stack 0
		.amdhsa_system_sgpr_private_segment_wavefront_offset 0
		.amdhsa_system_sgpr_workgroup_id_x 1
		.amdhsa_system_sgpr_workgroup_id_y 0
		.amdhsa_system_sgpr_workgroup_id_z 0
		.amdhsa_system_sgpr_workgroup_info 0
		.amdhsa_system_vgpr_workitem_id 0
		.amdhsa_next_free_vgpr 1
		.amdhsa_next_free_sgpr 0
		.amdhsa_accum_offset 4
		.amdhsa_reserve_vcc 0
		.amdhsa_reserve_flat_scratch 0
		.amdhsa_float_round_mode_32 0
		.amdhsa_float_round_mode_16_64 0
		.amdhsa_float_denorm_mode_32 3
		.amdhsa_float_denorm_mode_16_64 3
		.amdhsa_dx10_clamp 1
		.amdhsa_ieee_mode 1
		.amdhsa_fp16_overflow 0
		.amdhsa_tg_split 0
		.amdhsa_exception_fp_ieee_invalid_op 0
		.amdhsa_exception_fp_denorm_src 0
		.amdhsa_exception_fp_ieee_div_zero 0
		.amdhsa_exception_fp_ieee_overflow 0
		.amdhsa_exception_fp_ieee_underflow 0
		.amdhsa_exception_fp_ieee_inexact 0
		.amdhsa_exception_int_div_zero 0
	.end_amdhsa_kernel
	.section	.text._ZN7rocprim17ROCPRIM_400000_NS6detail17trampoline_kernelINS0_14default_configENS1_22reduce_config_selectorIN6thrust23THRUST_200600_302600_NS5tupleIblNS6_9null_typeES8_S8_S8_S8_S8_S8_S8_EEEEZNS1_11reduce_implILb1ES3_NS6_12zip_iteratorINS7_INS6_11hip_rocprim26transform_input_iterator_tIbPaNS6_6detail10functional5actorINSH_9compositeIJNSH_27transparent_binary_operatorINS6_8equal_toIvEEEENSI_INSH_8argumentILj0EEEEENSH_5valueIaEEEEEEEEENSD_19counting_iterator_tIlEES8_S8_S8_S8_S8_S8_S8_S8_EEEEPS9_S9_NSD_9__find_if7functorIS9_EEEE10hipError_tPvRmT1_T2_T3_mT4_P12ihipStream_tbEUlT_E0_NS1_11comp_targetILNS1_3genE3ELNS1_11target_archE908ELNS1_3gpuE7ELNS1_3repE0EEENS1_30default_config_static_selectorELNS0_4arch9wavefront6targetE1EEEvS17_,"axG",@progbits,_ZN7rocprim17ROCPRIM_400000_NS6detail17trampoline_kernelINS0_14default_configENS1_22reduce_config_selectorIN6thrust23THRUST_200600_302600_NS5tupleIblNS6_9null_typeES8_S8_S8_S8_S8_S8_S8_EEEEZNS1_11reduce_implILb1ES3_NS6_12zip_iteratorINS7_INS6_11hip_rocprim26transform_input_iterator_tIbPaNS6_6detail10functional5actorINSH_9compositeIJNSH_27transparent_binary_operatorINS6_8equal_toIvEEEENSI_INSH_8argumentILj0EEEEENSH_5valueIaEEEEEEEEENSD_19counting_iterator_tIlEES8_S8_S8_S8_S8_S8_S8_S8_EEEEPS9_S9_NSD_9__find_if7functorIS9_EEEE10hipError_tPvRmT1_T2_T3_mT4_P12ihipStream_tbEUlT_E0_NS1_11comp_targetILNS1_3genE3ELNS1_11target_archE908ELNS1_3gpuE7ELNS1_3repE0EEENS1_30default_config_static_selectorELNS0_4arch9wavefront6targetE1EEEvS17_,comdat
.Lfunc_end711:
	.size	_ZN7rocprim17ROCPRIM_400000_NS6detail17trampoline_kernelINS0_14default_configENS1_22reduce_config_selectorIN6thrust23THRUST_200600_302600_NS5tupleIblNS6_9null_typeES8_S8_S8_S8_S8_S8_S8_EEEEZNS1_11reduce_implILb1ES3_NS6_12zip_iteratorINS7_INS6_11hip_rocprim26transform_input_iterator_tIbPaNS6_6detail10functional5actorINSH_9compositeIJNSH_27transparent_binary_operatorINS6_8equal_toIvEEEENSI_INSH_8argumentILj0EEEEENSH_5valueIaEEEEEEEEENSD_19counting_iterator_tIlEES8_S8_S8_S8_S8_S8_S8_S8_EEEEPS9_S9_NSD_9__find_if7functorIS9_EEEE10hipError_tPvRmT1_T2_T3_mT4_P12ihipStream_tbEUlT_E0_NS1_11comp_targetILNS1_3genE3ELNS1_11target_archE908ELNS1_3gpuE7ELNS1_3repE0EEENS1_30default_config_static_selectorELNS0_4arch9wavefront6targetE1EEEvS17_, .Lfunc_end711-_ZN7rocprim17ROCPRIM_400000_NS6detail17trampoline_kernelINS0_14default_configENS1_22reduce_config_selectorIN6thrust23THRUST_200600_302600_NS5tupleIblNS6_9null_typeES8_S8_S8_S8_S8_S8_S8_EEEEZNS1_11reduce_implILb1ES3_NS6_12zip_iteratorINS7_INS6_11hip_rocprim26transform_input_iterator_tIbPaNS6_6detail10functional5actorINSH_9compositeIJNSH_27transparent_binary_operatorINS6_8equal_toIvEEEENSI_INSH_8argumentILj0EEEEENSH_5valueIaEEEEEEEEENSD_19counting_iterator_tIlEES8_S8_S8_S8_S8_S8_S8_S8_EEEEPS9_S9_NSD_9__find_if7functorIS9_EEEE10hipError_tPvRmT1_T2_T3_mT4_P12ihipStream_tbEUlT_E0_NS1_11comp_targetILNS1_3genE3ELNS1_11target_archE908ELNS1_3gpuE7ELNS1_3repE0EEENS1_30default_config_static_selectorELNS0_4arch9wavefront6targetE1EEEvS17_
                                        ; -- End function
	.section	.AMDGPU.csdata,"",@progbits
; Kernel info:
; codeLenInByte = 0
; NumSgprs: 4
; NumVgprs: 0
; NumAgprs: 0
; TotalNumVgprs: 0
; ScratchSize: 0
; MemoryBound: 0
; FloatMode: 240
; IeeeMode: 1
; LDSByteSize: 0 bytes/workgroup (compile time only)
; SGPRBlocks: 0
; VGPRBlocks: 0
; NumSGPRsForWavesPerEU: 4
; NumVGPRsForWavesPerEU: 1
; AccumOffset: 4
; Occupancy: 8
; WaveLimiterHint : 0
; COMPUTE_PGM_RSRC2:SCRATCH_EN: 0
; COMPUTE_PGM_RSRC2:USER_SGPR: 6
; COMPUTE_PGM_RSRC2:TRAP_HANDLER: 0
; COMPUTE_PGM_RSRC2:TGID_X_EN: 1
; COMPUTE_PGM_RSRC2:TGID_Y_EN: 0
; COMPUTE_PGM_RSRC2:TGID_Z_EN: 0
; COMPUTE_PGM_RSRC2:TIDIG_COMP_CNT: 0
; COMPUTE_PGM_RSRC3_GFX90A:ACCUM_OFFSET: 0
; COMPUTE_PGM_RSRC3_GFX90A:TG_SPLIT: 0
	.section	.text._ZN7rocprim17ROCPRIM_400000_NS6detail17trampoline_kernelINS0_14default_configENS1_22reduce_config_selectorIN6thrust23THRUST_200600_302600_NS5tupleIblNS6_9null_typeES8_S8_S8_S8_S8_S8_S8_EEEEZNS1_11reduce_implILb1ES3_NS6_12zip_iteratorINS7_INS6_11hip_rocprim26transform_input_iterator_tIbPaNS6_6detail10functional5actorINSH_9compositeIJNSH_27transparent_binary_operatorINS6_8equal_toIvEEEENSI_INSH_8argumentILj0EEEEENSH_5valueIaEEEEEEEEENSD_19counting_iterator_tIlEES8_S8_S8_S8_S8_S8_S8_S8_EEEEPS9_S9_NSD_9__find_if7functorIS9_EEEE10hipError_tPvRmT1_T2_T3_mT4_P12ihipStream_tbEUlT_E0_NS1_11comp_targetILNS1_3genE2ELNS1_11target_archE906ELNS1_3gpuE6ELNS1_3repE0EEENS1_30default_config_static_selectorELNS0_4arch9wavefront6targetE1EEEvS17_,"axG",@progbits,_ZN7rocprim17ROCPRIM_400000_NS6detail17trampoline_kernelINS0_14default_configENS1_22reduce_config_selectorIN6thrust23THRUST_200600_302600_NS5tupleIblNS6_9null_typeES8_S8_S8_S8_S8_S8_S8_EEEEZNS1_11reduce_implILb1ES3_NS6_12zip_iteratorINS7_INS6_11hip_rocprim26transform_input_iterator_tIbPaNS6_6detail10functional5actorINSH_9compositeIJNSH_27transparent_binary_operatorINS6_8equal_toIvEEEENSI_INSH_8argumentILj0EEEEENSH_5valueIaEEEEEEEEENSD_19counting_iterator_tIlEES8_S8_S8_S8_S8_S8_S8_S8_EEEEPS9_S9_NSD_9__find_if7functorIS9_EEEE10hipError_tPvRmT1_T2_T3_mT4_P12ihipStream_tbEUlT_E0_NS1_11comp_targetILNS1_3genE2ELNS1_11target_archE906ELNS1_3gpuE6ELNS1_3repE0EEENS1_30default_config_static_selectorELNS0_4arch9wavefront6targetE1EEEvS17_,comdat
	.protected	_ZN7rocprim17ROCPRIM_400000_NS6detail17trampoline_kernelINS0_14default_configENS1_22reduce_config_selectorIN6thrust23THRUST_200600_302600_NS5tupleIblNS6_9null_typeES8_S8_S8_S8_S8_S8_S8_EEEEZNS1_11reduce_implILb1ES3_NS6_12zip_iteratorINS7_INS6_11hip_rocprim26transform_input_iterator_tIbPaNS6_6detail10functional5actorINSH_9compositeIJNSH_27transparent_binary_operatorINS6_8equal_toIvEEEENSI_INSH_8argumentILj0EEEEENSH_5valueIaEEEEEEEEENSD_19counting_iterator_tIlEES8_S8_S8_S8_S8_S8_S8_S8_EEEEPS9_S9_NSD_9__find_if7functorIS9_EEEE10hipError_tPvRmT1_T2_T3_mT4_P12ihipStream_tbEUlT_E0_NS1_11comp_targetILNS1_3genE2ELNS1_11target_archE906ELNS1_3gpuE6ELNS1_3repE0EEENS1_30default_config_static_selectorELNS0_4arch9wavefront6targetE1EEEvS17_ ; -- Begin function _ZN7rocprim17ROCPRIM_400000_NS6detail17trampoline_kernelINS0_14default_configENS1_22reduce_config_selectorIN6thrust23THRUST_200600_302600_NS5tupleIblNS6_9null_typeES8_S8_S8_S8_S8_S8_S8_EEEEZNS1_11reduce_implILb1ES3_NS6_12zip_iteratorINS7_INS6_11hip_rocprim26transform_input_iterator_tIbPaNS6_6detail10functional5actorINSH_9compositeIJNSH_27transparent_binary_operatorINS6_8equal_toIvEEEENSI_INSH_8argumentILj0EEEEENSH_5valueIaEEEEEEEEENSD_19counting_iterator_tIlEES8_S8_S8_S8_S8_S8_S8_S8_EEEEPS9_S9_NSD_9__find_if7functorIS9_EEEE10hipError_tPvRmT1_T2_T3_mT4_P12ihipStream_tbEUlT_E0_NS1_11comp_targetILNS1_3genE2ELNS1_11target_archE906ELNS1_3gpuE6ELNS1_3repE0EEENS1_30default_config_static_selectorELNS0_4arch9wavefront6targetE1EEEvS17_
	.globl	_ZN7rocprim17ROCPRIM_400000_NS6detail17trampoline_kernelINS0_14default_configENS1_22reduce_config_selectorIN6thrust23THRUST_200600_302600_NS5tupleIblNS6_9null_typeES8_S8_S8_S8_S8_S8_S8_EEEEZNS1_11reduce_implILb1ES3_NS6_12zip_iteratorINS7_INS6_11hip_rocprim26transform_input_iterator_tIbPaNS6_6detail10functional5actorINSH_9compositeIJNSH_27transparent_binary_operatorINS6_8equal_toIvEEEENSI_INSH_8argumentILj0EEEEENSH_5valueIaEEEEEEEEENSD_19counting_iterator_tIlEES8_S8_S8_S8_S8_S8_S8_S8_EEEEPS9_S9_NSD_9__find_if7functorIS9_EEEE10hipError_tPvRmT1_T2_T3_mT4_P12ihipStream_tbEUlT_E0_NS1_11comp_targetILNS1_3genE2ELNS1_11target_archE906ELNS1_3gpuE6ELNS1_3repE0EEENS1_30default_config_static_selectorELNS0_4arch9wavefront6targetE1EEEvS17_
	.p2align	8
	.type	_ZN7rocprim17ROCPRIM_400000_NS6detail17trampoline_kernelINS0_14default_configENS1_22reduce_config_selectorIN6thrust23THRUST_200600_302600_NS5tupleIblNS6_9null_typeES8_S8_S8_S8_S8_S8_S8_EEEEZNS1_11reduce_implILb1ES3_NS6_12zip_iteratorINS7_INS6_11hip_rocprim26transform_input_iterator_tIbPaNS6_6detail10functional5actorINSH_9compositeIJNSH_27transparent_binary_operatorINS6_8equal_toIvEEEENSI_INSH_8argumentILj0EEEEENSH_5valueIaEEEEEEEEENSD_19counting_iterator_tIlEES8_S8_S8_S8_S8_S8_S8_S8_EEEEPS9_S9_NSD_9__find_if7functorIS9_EEEE10hipError_tPvRmT1_T2_T3_mT4_P12ihipStream_tbEUlT_E0_NS1_11comp_targetILNS1_3genE2ELNS1_11target_archE906ELNS1_3gpuE6ELNS1_3repE0EEENS1_30default_config_static_selectorELNS0_4arch9wavefront6targetE1EEEvS17_,@function
_ZN7rocprim17ROCPRIM_400000_NS6detail17trampoline_kernelINS0_14default_configENS1_22reduce_config_selectorIN6thrust23THRUST_200600_302600_NS5tupleIblNS6_9null_typeES8_S8_S8_S8_S8_S8_S8_EEEEZNS1_11reduce_implILb1ES3_NS6_12zip_iteratorINS7_INS6_11hip_rocprim26transform_input_iterator_tIbPaNS6_6detail10functional5actorINSH_9compositeIJNSH_27transparent_binary_operatorINS6_8equal_toIvEEEENSI_INSH_8argumentILj0EEEEENSH_5valueIaEEEEEEEEENSD_19counting_iterator_tIlEES8_S8_S8_S8_S8_S8_S8_S8_EEEEPS9_S9_NSD_9__find_if7functorIS9_EEEE10hipError_tPvRmT1_T2_T3_mT4_P12ihipStream_tbEUlT_E0_NS1_11comp_targetILNS1_3genE2ELNS1_11target_archE906ELNS1_3gpuE6ELNS1_3repE0EEENS1_30default_config_static_selectorELNS0_4arch9wavefront6targetE1EEEvS17_: ; @_ZN7rocprim17ROCPRIM_400000_NS6detail17trampoline_kernelINS0_14default_configENS1_22reduce_config_selectorIN6thrust23THRUST_200600_302600_NS5tupleIblNS6_9null_typeES8_S8_S8_S8_S8_S8_S8_EEEEZNS1_11reduce_implILb1ES3_NS6_12zip_iteratorINS7_INS6_11hip_rocprim26transform_input_iterator_tIbPaNS6_6detail10functional5actorINSH_9compositeIJNSH_27transparent_binary_operatorINS6_8equal_toIvEEEENSI_INSH_8argumentILj0EEEEENSH_5valueIaEEEEEEEEENSD_19counting_iterator_tIlEES8_S8_S8_S8_S8_S8_S8_S8_EEEEPS9_S9_NSD_9__find_if7functorIS9_EEEE10hipError_tPvRmT1_T2_T3_mT4_P12ihipStream_tbEUlT_E0_NS1_11comp_targetILNS1_3genE2ELNS1_11target_archE906ELNS1_3gpuE6ELNS1_3repE0EEENS1_30default_config_static_selectorELNS0_4arch9wavefront6targetE1EEEvS17_
; %bb.0:
	.section	.rodata,"a",@progbits
	.p2align	6, 0x0
	.amdhsa_kernel _ZN7rocprim17ROCPRIM_400000_NS6detail17trampoline_kernelINS0_14default_configENS1_22reduce_config_selectorIN6thrust23THRUST_200600_302600_NS5tupleIblNS6_9null_typeES8_S8_S8_S8_S8_S8_S8_EEEEZNS1_11reduce_implILb1ES3_NS6_12zip_iteratorINS7_INS6_11hip_rocprim26transform_input_iterator_tIbPaNS6_6detail10functional5actorINSH_9compositeIJNSH_27transparent_binary_operatorINS6_8equal_toIvEEEENSI_INSH_8argumentILj0EEEEENSH_5valueIaEEEEEEEEENSD_19counting_iterator_tIlEES8_S8_S8_S8_S8_S8_S8_S8_EEEEPS9_S9_NSD_9__find_if7functorIS9_EEEE10hipError_tPvRmT1_T2_T3_mT4_P12ihipStream_tbEUlT_E0_NS1_11comp_targetILNS1_3genE2ELNS1_11target_archE906ELNS1_3gpuE6ELNS1_3repE0EEENS1_30default_config_static_selectorELNS0_4arch9wavefront6targetE1EEEvS17_
		.amdhsa_group_segment_fixed_size 0
		.amdhsa_private_segment_fixed_size 0
		.amdhsa_kernarg_size 88
		.amdhsa_user_sgpr_count 6
		.amdhsa_user_sgpr_private_segment_buffer 1
		.amdhsa_user_sgpr_dispatch_ptr 0
		.amdhsa_user_sgpr_queue_ptr 0
		.amdhsa_user_sgpr_kernarg_segment_ptr 1
		.amdhsa_user_sgpr_dispatch_id 0
		.amdhsa_user_sgpr_flat_scratch_init 0
		.amdhsa_user_sgpr_kernarg_preload_length 0
		.amdhsa_user_sgpr_kernarg_preload_offset 0
		.amdhsa_user_sgpr_private_segment_size 0
		.amdhsa_uses_dynamic_stack 0
		.amdhsa_system_sgpr_private_segment_wavefront_offset 0
		.amdhsa_system_sgpr_workgroup_id_x 1
		.amdhsa_system_sgpr_workgroup_id_y 0
		.amdhsa_system_sgpr_workgroup_id_z 0
		.amdhsa_system_sgpr_workgroup_info 0
		.amdhsa_system_vgpr_workitem_id 0
		.amdhsa_next_free_vgpr 1
		.amdhsa_next_free_sgpr 0
		.amdhsa_accum_offset 4
		.amdhsa_reserve_vcc 0
		.amdhsa_reserve_flat_scratch 0
		.amdhsa_float_round_mode_32 0
		.amdhsa_float_round_mode_16_64 0
		.amdhsa_float_denorm_mode_32 3
		.amdhsa_float_denorm_mode_16_64 3
		.amdhsa_dx10_clamp 1
		.amdhsa_ieee_mode 1
		.amdhsa_fp16_overflow 0
		.amdhsa_tg_split 0
		.amdhsa_exception_fp_ieee_invalid_op 0
		.amdhsa_exception_fp_denorm_src 0
		.amdhsa_exception_fp_ieee_div_zero 0
		.amdhsa_exception_fp_ieee_overflow 0
		.amdhsa_exception_fp_ieee_underflow 0
		.amdhsa_exception_fp_ieee_inexact 0
		.amdhsa_exception_int_div_zero 0
	.end_amdhsa_kernel
	.section	.text._ZN7rocprim17ROCPRIM_400000_NS6detail17trampoline_kernelINS0_14default_configENS1_22reduce_config_selectorIN6thrust23THRUST_200600_302600_NS5tupleIblNS6_9null_typeES8_S8_S8_S8_S8_S8_S8_EEEEZNS1_11reduce_implILb1ES3_NS6_12zip_iteratorINS7_INS6_11hip_rocprim26transform_input_iterator_tIbPaNS6_6detail10functional5actorINSH_9compositeIJNSH_27transparent_binary_operatorINS6_8equal_toIvEEEENSI_INSH_8argumentILj0EEEEENSH_5valueIaEEEEEEEEENSD_19counting_iterator_tIlEES8_S8_S8_S8_S8_S8_S8_S8_EEEEPS9_S9_NSD_9__find_if7functorIS9_EEEE10hipError_tPvRmT1_T2_T3_mT4_P12ihipStream_tbEUlT_E0_NS1_11comp_targetILNS1_3genE2ELNS1_11target_archE906ELNS1_3gpuE6ELNS1_3repE0EEENS1_30default_config_static_selectorELNS0_4arch9wavefront6targetE1EEEvS17_,"axG",@progbits,_ZN7rocprim17ROCPRIM_400000_NS6detail17trampoline_kernelINS0_14default_configENS1_22reduce_config_selectorIN6thrust23THRUST_200600_302600_NS5tupleIblNS6_9null_typeES8_S8_S8_S8_S8_S8_S8_EEEEZNS1_11reduce_implILb1ES3_NS6_12zip_iteratorINS7_INS6_11hip_rocprim26transform_input_iterator_tIbPaNS6_6detail10functional5actorINSH_9compositeIJNSH_27transparent_binary_operatorINS6_8equal_toIvEEEENSI_INSH_8argumentILj0EEEEENSH_5valueIaEEEEEEEEENSD_19counting_iterator_tIlEES8_S8_S8_S8_S8_S8_S8_S8_EEEEPS9_S9_NSD_9__find_if7functorIS9_EEEE10hipError_tPvRmT1_T2_T3_mT4_P12ihipStream_tbEUlT_E0_NS1_11comp_targetILNS1_3genE2ELNS1_11target_archE906ELNS1_3gpuE6ELNS1_3repE0EEENS1_30default_config_static_selectorELNS0_4arch9wavefront6targetE1EEEvS17_,comdat
.Lfunc_end712:
	.size	_ZN7rocprim17ROCPRIM_400000_NS6detail17trampoline_kernelINS0_14default_configENS1_22reduce_config_selectorIN6thrust23THRUST_200600_302600_NS5tupleIblNS6_9null_typeES8_S8_S8_S8_S8_S8_S8_EEEEZNS1_11reduce_implILb1ES3_NS6_12zip_iteratorINS7_INS6_11hip_rocprim26transform_input_iterator_tIbPaNS6_6detail10functional5actorINSH_9compositeIJNSH_27transparent_binary_operatorINS6_8equal_toIvEEEENSI_INSH_8argumentILj0EEEEENSH_5valueIaEEEEEEEEENSD_19counting_iterator_tIlEES8_S8_S8_S8_S8_S8_S8_S8_EEEEPS9_S9_NSD_9__find_if7functorIS9_EEEE10hipError_tPvRmT1_T2_T3_mT4_P12ihipStream_tbEUlT_E0_NS1_11comp_targetILNS1_3genE2ELNS1_11target_archE906ELNS1_3gpuE6ELNS1_3repE0EEENS1_30default_config_static_selectorELNS0_4arch9wavefront6targetE1EEEvS17_, .Lfunc_end712-_ZN7rocprim17ROCPRIM_400000_NS6detail17trampoline_kernelINS0_14default_configENS1_22reduce_config_selectorIN6thrust23THRUST_200600_302600_NS5tupleIblNS6_9null_typeES8_S8_S8_S8_S8_S8_S8_EEEEZNS1_11reduce_implILb1ES3_NS6_12zip_iteratorINS7_INS6_11hip_rocprim26transform_input_iterator_tIbPaNS6_6detail10functional5actorINSH_9compositeIJNSH_27transparent_binary_operatorINS6_8equal_toIvEEEENSI_INSH_8argumentILj0EEEEENSH_5valueIaEEEEEEEEENSD_19counting_iterator_tIlEES8_S8_S8_S8_S8_S8_S8_S8_EEEEPS9_S9_NSD_9__find_if7functorIS9_EEEE10hipError_tPvRmT1_T2_T3_mT4_P12ihipStream_tbEUlT_E0_NS1_11comp_targetILNS1_3genE2ELNS1_11target_archE906ELNS1_3gpuE6ELNS1_3repE0EEENS1_30default_config_static_selectorELNS0_4arch9wavefront6targetE1EEEvS17_
                                        ; -- End function
	.section	.AMDGPU.csdata,"",@progbits
; Kernel info:
; codeLenInByte = 0
; NumSgprs: 4
; NumVgprs: 0
; NumAgprs: 0
; TotalNumVgprs: 0
; ScratchSize: 0
; MemoryBound: 0
; FloatMode: 240
; IeeeMode: 1
; LDSByteSize: 0 bytes/workgroup (compile time only)
; SGPRBlocks: 0
; VGPRBlocks: 0
; NumSGPRsForWavesPerEU: 4
; NumVGPRsForWavesPerEU: 1
; AccumOffset: 4
; Occupancy: 8
; WaveLimiterHint : 0
; COMPUTE_PGM_RSRC2:SCRATCH_EN: 0
; COMPUTE_PGM_RSRC2:USER_SGPR: 6
; COMPUTE_PGM_RSRC2:TRAP_HANDLER: 0
; COMPUTE_PGM_RSRC2:TGID_X_EN: 1
; COMPUTE_PGM_RSRC2:TGID_Y_EN: 0
; COMPUTE_PGM_RSRC2:TGID_Z_EN: 0
; COMPUTE_PGM_RSRC2:TIDIG_COMP_CNT: 0
; COMPUTE_PGM_RSRC3_GFX90A:ACCUM_OFFSET: 0
; COMPUTE_PGM_RSRC3_GFX90A:TG_SPLIT: 0
	.section	.text._ZN7rocprim17ROCPRIM_400000_NS6detail17trampoline_kernelINS0_14default_configENS1_22reduce_config_selectorIN6thrust23THRUST_200600_302600_NS5tupleIblNS6_9null_typeES8_S8_S8_S8_S8_S8_S8_EEEEZNS1_11reduce_implILb1ES3_NS6_12zip_iteratorINS7_INS6_11hip_rocprim26transform_input_iterator_tIbPaNS6_6detail10functional5actorINSH_9compositeIJNSH_27transparent_binary_operatorINS6_8equal_toIvEEEENSI_INSH_8argumentILj0EEEEENSH_5valueIaEEEEEEEEENSD_19counting_iterator_tIlEES8_S8_S8_S8_S8_S8_S8_S8_EEEEPS9_S9_NSD_9__find_if7functorIS9_EEEE10hipError_tPvRmT1_T2_T3_mT4_P12ihipStream_tbEUlT_E0_NS1_11comp_targetILNS1_3genE10ELNS1_11target_archE1201ELNS1_3gpuE5ELNS1_3repE0EEENS1_30default_config_static_selectorELNS0_4arch9wavefront6targetE1EEEvS17_,"axG",@progbits,_ZN7rocprim17ROCPRIM_400000_NS6detail17trampoline_kernelINS0_14default_configENS1_22reduce_config_selectorIN6thrust23THRUST_200600_302600_NS5tupleIblNS6_9null_typeES8_S8_S8_S8_S8_S8_S8_EEEEZNS1_11reduce_implILb1ES3_NS6_12zip_iteratorINS7_INS6_11hip_rocprim26transform_input_iterator_tIbPaNS6_6detail10functional5actorINSH_9compositeIJNSH_27transparent_binary_operatorINS6_8equal_toIvEEEENSI_INSH_8argumentILj0EEEEENSH_5valueIaEEEEEEEEENSD_19counting_iterator_tIlEES8_S8_S8_S8_S8_S8_S8_S8_EEEEPS9_S9_NSD_9__find_if7functorIS9_EEEE10hipError_tPvRmT1_T2_T3_mT4_P12ihipStream_tbEUlT_E0_NS1_11comp_targetILNS1_3genE10ELNS1_11target_archE1201ELNS1_3gpuE5ELNS1_3repE0EEENS1_30default_config_static_selectorELNS0_4arch9wavefront6targetE1EEEvS17_,comdat
	.protected	_ZN7rocprim17ROCPRIM_400000_NS6detail17trampoline_kernelINS0_14default_configENS1_22reduce_config_selectorIN6thrust23THRUST_200600_302600_NS5tupleIblNS6_9null_typeES8_S8_S8_S8_S8_S8_S8_EEEEZNS1_11reduce_implILb1ES3_NS6_12zip_iteratorINS7_INS6_11hip_rocprim26transform_input_iterator_tIbPaNS6_6detail10functional5actorINSH_9compositeIJNSH_27transparent_binary_operatorINS6_8equal_toIvEEEENSI_INSH_8argumentILj0EEEEENSH_5valueIaEEEEEEEEENSD_19counting_iterator_tIlEES8_S8_S8_S8_S8_S8_S8_S8_EEEEPS9_S9_NSD_9__find_if7functorIS9_EEEE10hipError_tPvRmT1_T2_T3_mT4_P12ihipStream_tbEUlT_E0_NS1_11comp_targetILNS1_3genE10ELNS1_11target_archE1201ELNS1_3gpuE5ELNS1_3repE0EEENS1_30default_config_static_selectorELNS0_4arch9wavefront6targetE1EEEvS17_ ; -- Begin function _ZN7rocprim17ROCPRIM_400000_NS6detail17trampoline_kernelINS0_14default_configENS1_22reduce_config_selectorIN6thrust23THRUST_200600_302600_NS5tupleIblNS6_9null_typeES8_S8_S8_S8_S8_S8_S8_EEEEZNS1_11reduce_implILb1ES3_NS6_12zip_iteratorINS7_INS6_11hip_rocprim26transform_input_iterator_tIbPaNS6_6detail10functional5actorINSH_9compositeIJNSH_27transparent_binary_operatorINS6_8equal_toIvEEEENSI_INSH_8argumentILj0EEEEENSH_5valueIaEEEEEEEEENSD_19counting_iterator_tIlEES8_S8_S8_S8_S8_S8_S8_S8_EEEEPS9_S9_NSD_9__find_if7functorIS9_EEEE10hipError_tPvRmT1_T2_T3_mT4_P12ihipStream_tbEUlT_E0_NS1_11comp_targetILNS1_3genE10ELNS1_11target_archE1201ELNS1_3gpuE5ELNS1_3repE0EEENS1_30default_config_static_selectorELNS0_4arch9wavefront6targetE1EEEvS17_
	.globl	_ZN7rocprim17ROCPRIM_400000_NS6detail17trampoline_kernelINS0_14default_configENS1_22reduce_config_selectorIN6thrust23THRUST_200600_302600_NS5tupleIblNS6_9null_typeES8_S8_S8_S8_S8_S8_S8_EEEEZNS1_11reduce_implILb1ES3_NS6_12zip_iteratorINS7_INS6_11hip_rocprim26transform_input_iterator_tIbPaNS6_6detail10functional5actorINSH_9compositeIJNSH_27transparent_binary_operatorINS6_8equal_toIvEEEENSI_INSH_8argumentILj0EEEEENSH_5valueIaEEEEEEEEENSD_19counting_iterator_tIlEES8_S8_S8_S8_S8_S8_S8_S8_EEEEPS9_S9_NSD_9__find_if7functorIS9_EEEE10hipError_tPvRmT1_T2_T3_mT4_P12ihipStream_tbEUlT_E0_NS1_11comp_targetILNS1_3genE10ELNS1_11target_archE1201ELNS1_3gpuE5ELNS1_3repE0EEENS1_30default_config_static_selectorELNS0_4arch9wavefront6targetE1EEEvS17_
	.p2align	8
	.type	_ZN7rocprim17ROCPRIM_400000_NS6detail17trampoline_kernelINS0_14default_configENS1_22reduce_config_selectorIN6thrust23THRUST_200600_302600_NS5tupleIblNS6_9null_typeES8_S8_S8_S8_S8_S8_S8_EEEEZNS1_11reduce_implILb1ES3_NS6_12zip_iteratorINS7_INS6_11hip_rocprim26transform_input_iterator_tIbPaNS6_6detail10functional5actorINSH_9compositeIJNSH_27transparent_binary_operatorINS6_8equal_toIvEEEENSI_INSH_8argumentILj0EEEEENSH_5valueIaEEEEEEEEENSD_19counting_iterator_tIlEES8_S8_S8_S8_S8_S8_S8_S8_EEEEPS9_S9_NSD_9__find_if7functorIS9_EEEE10hipError_tPvRmT1_T2_T3_mT4_P12ihipStream_tbEUlT_E0_NS1_11comp_targetILNS1_3genE10ELNS1_11target_archE1201ELNS1_3gpuE5ELNS1_3repE0EEENS1_30default_config_static_selectorELNS0_4arch9wavefront6targetE1EEEvS17_,@function
_ZN7rocprim17ROCPRIM_400000_NS6detail17trampoline_kernelINS0_14default_configENS1_22reduce_config_selectorIN6thrust23THRUST_200600_302600_NS5tupleIblNS6_9null_typeES8_S8_S8_S8_S8_S8_S8_EEEEZNS1_11reduce_implILb1ES3_NS6_12zip_iteratorINS7_INS6_11hip_rocprim26transform_input_iterator_tIbPaNS6_6detail10functional5actorINSH_9compositeIJNSH_27transparent_binary_operatorINS6_8equal_toIvEEEENSI_INSH_8argumentILj0EEEEENSH_5valueIaEEEEEEEEENSD_19counting_iterator_tIlEES8_S8_S8_S8_S8_S8_S8_S8_EEEEPS9_S9_NSD_9__find_if7functorIS9_EEEE10hipError_tPvRmT1_T2_T3_mT4_P12ihipStream_tbEUlT_E0_NS1_11comp_targetILNS1_3genE10ELNS1_11target_archE1201ELNS1_3gpuE5ELNS1_3repE0EEENS1_30default_config_static_selectorELNS0_4arch9wavefront6targetE1EEEvS17_: ; @_ZN7rocprim17ROCPRIM_400000_NS6detail17trampoline_kernelINS0_14default_configENS1_22reduce_config_selectorIN6thrust23THRUST_200600_302600_NS5tupleIblNS6_9null_typeES8_S8_S8_S8_S8_S8_S8_EEEEZNS1_11reduce_implILb1ES3_NS6_12zip_iteratorINS7_INS6_11hip_rocprim26transform_input_iterator_tIbPaNS6_6detail10functional5actorINSH_9compositeIJNSH_27transparent_binary_operatorINS6_8equal_toIvEEEENSI_INSH_8argumentILj0EEEEENSH_5valueIaEEEEEEEEENSD_19counting_iterator_tIlEES8_S8_S8_S8_S8_S8_S8_S8_EEEEPS9_S9_NSD_9__find_if7functorIS9_EEEE10hipError_tPvRmT1_T2_T3_mT4_P12ihipStream_tbEUlT_E0_NS1_11comp_targetILNS1_3genE10ELNS1_11target_archE1201ELNS1_3gpuE5ELNS1_3repE0EEENS1_30default_config_static_selectorELNS0_4arch9wavefront6targetE1EEEvS17_
; %bb.0:
	.section	.rodata,"a",@progbits
	.p2align	6, 0x0
	.amdhsa_kernel _ZN7rocprim17ROCPRIM_400000_NS6detail17trampoline_kernelINS0_14default_configENS1_22reduce_config_selectorIN6thrust23THRUST_200600_302600_NS5tupleIblNS6_9null_typeES8_S8_S8_S8_S8_S8_S8_EEEEZNS1_11reduce_implILb1ES3_NS6_12zip_iteratorINS7_INS6_11hip_rocprim26transform_input_iterator_tIbPaNS6_6detail10functional5actorINSH_9compositeIJNSH_27transparent_binary_operatorINS6_8equal_toIvEEEENSI_INSH_8argumentILj0EEEEENSH_5valueIaEEEEEEEEENSD_19counting_iterator_tIlEES8_S8_S8_S8_S8_S8_S8_S8_EEEEPS9_S9_NSD_9__find_if7functorIS9_EEEE10hipError_tPvRmT1_T2_T3_mT4_P12ihipStream_tbEUlT_E0_NS1_11comp_targetILNS1_3genE10ELNS1_11target_archE1201ELNS1_3gpuE5ELNS1_3repE0EEENS1_30default_config_static_selectorELNS0_4arch9wavefront6targetE1EEEvS17_
		.amdhsa_group_segment_fixed_size 0
		.amdhsa_private_segment_fixed_size 0
		.amdhsa_kernarg_size 88
		.amdhsa_user_sgpr_count 6
		.amdhsa_user_sgpr_private_segment_buffer 1
		.amdhsa_user_sgpr_dispatch_ptr 0
		.amdhsa_user_sgpr_queue_ptr 0
		.amdhsa_user_sgpr_kernarg_segment_ptr 1
		.amdhsa_user_sgpr_dispatch_id 0
		.amdhsa_user_sgpr_flat_scratch_init 0
		.amdhsa_user_sgpr_kernarg_preload_length 0
		.amdhsa_user_sgpr_kernarg_preload_offset 0
		.amdhsa_user_sgpr_private_segment_size 0
		.amdhsa_uses_dynamic_stack 0
		.amdhsa_system_sgpr_private_segment_wavefront_offset 0
		.amdhsa_system_sgpr_workgroup_id_x 1
		.amdhsa_system_sgpr_workgroup_id_y 0
		.amdhsa_system_sgpr_workgroup_id_z 0
		.amdhsa_system_sgpr_workgroup_info 0
		.amdhsa_system_vgpr_workitem_id 0
		.amdhsa_next_free_vgpr 1
		.amdhsa_next_free_sgpr 0
		.amdhsa_accum_offset 4
		.amdhsa_reserve_vcc 0
		.amdhsa_reserve_flat_scratch 0
		.amdhsa_float_round_mode_32 0
		.amdhsa_float_round_mode_16_64 0
		.amdhsa_float_denorm_mode_32 3
		.amdhsa_float_denorm_mode_16_64 3
		.amdhsa_dx10_clamp 1
		.amdhsa_ieee_mode 1
		.amdhsa_fp16_overflow 0
		.amdhsa_tg_split 0
		.amdhsa_exception_fp_ieee_invalid_op 0
		.amdhsa_exception_fp_denorm_src 0
		.amdhsa_exception_fp_ieee_div_zero 0
		.amdhsa_exception_fp_ieee_overflow 0
		.amdhsa_exception_fp_ieee_underflow 0
		.amdhsa_exception_fp_ieee_inexact 0
		.amdhsa_exception_int_div_zero 0
	.end_amdhsa_kernel
	.section	.text._ZN7rocprim17ROCPRIM_400000_NS6detail17trampoline_kernelINS0_14default_configENS1_22reduce_config_selectorIN6thrust23THRUST_200600_302600_NS5tupleIblNS6_9null_typeES8_S8_S8_S8_S8_S8_S8_EEEEZNS1_11reduce_implILb1ES3_NS6_12zip_iteratorINS7_INS6_11hip_rocprim26transform_input_iterator_tIbPaNS6_6detail10functional5actorINSH_9compositeIJNSH_27transparent_binary_operatorINS6_8equal_toIvEEEENSI_INSH_8argumentILj0EEEEENSH_5valueIaEEEEEEEEENSD_19counting_iterator_tIlEES8_S8_S8_S8_S8_S8_S8_S8_EEEEPS9_S9_NSD_9__find_if7functorIS9_EEEE10hipError_tPvRmT1_T2_T3_mT4_P12ihipStream_tbEUlT_E0_NS1_11comp_targetILNS1_3genE10ELNS1_11target_archE1201ELNS1_3gpuE5ELNS1_3repE0EEENS1_30default_config_static_selectorELNS0_4arch9wavefront6targetE1EEEvS17_,"axG",@progbits,_ZN7rocprim17ROCPRIM_400000_NS6detail17trampoline_kernelINS0_14default_configENS1_22reduce_config_selectorIN6thrust23THRUST_200600_302600_NS5tupleIblNS6_9null_typeES8_S8_S8_S8_S8_S8_S8_EEEEZNS1_11reduce_implILb1ES3_NS6_12zip_iteratorINS7_INS6_11hip_rocprim26transform_input_iterator_tIbPaNS6_6detail10functional5actorINSH_9compositeIJNSH_27transparent_binary_operatorINS6_8equal_toIvEEEENSI_INSH_8argumentILj0EEEEENSH_5valueIaEEEEEEEEENSD_19counting_iterator_tIlEES8_S8_S8_S8_S8_S8_S8_S8_EEEEPS9_S9_NSD_9__find_if7functorIS9_EEEE10hipError_tPvRmT1_T2_T3_mT4_P12ihipStream_tbEUlT_E0_NS1_11comp_targetILNS1_3genE10ELNS1_11target_archE1201ELNS1_3gpuE5ELNS1_3repE0EEENS1_30default_config_static_selectorELNS0_4arch9wavefront6targetE1EEEvS17_,comdat
.Lfunc_end713:
	.size	_ZN7rocprim17ROCPRIM_400000_NS6detail17trampoline_kernelINS0_14default_configENS1_22reduce_config_selectorIN6thrust23THRUST_200600_302600_NS5tupleIblNS6_9null_typeES8_S8_S8_S8_S8_S8_S8_EEEEZNS1_11reduce_implILb1ES3_NS6_12zip_iteratorINS7_INS6_11hip_rocprim26transform_input_iterator_tIbPaNS6_6detail10functional5actorINSH_9compositeIJNSH_27transparent_binary_operatorINS6_8equal_toIvEEEENSI_INSH_8argumentILj0EEEEENSH_5valueIaEEEEEEEEENSD_19counting_iterator_tIlEES8_S8_S8_S8_S8_S8_S8_S8_EEEEPS9_S9_NSD_9__find_if7functorIS9_EEEE10hipError_tPvRmT1_T2_T3_mT4_P12ihipStream_tbEUlT_E0_NS1_11comp_targetILNS1_3genE10ELNS1_11target_archE1201ELNS1_3gpuE5ELNS1_3repE0EEENS1_30default_config_static_selectorELNS0_4arch9wavefront6targetE1EEEvS17_, .Lfunc_end713-_ZN7rocprim17ROCPRIM_400000_NS6detail17trampoline_kernelINS0_14default_configENS1_22reduce_config_selectorIN6thrust23THRUST_200600_302600_NS5tupleIblNS6_9null_typeES8_S8_S8_S8_S8_S8_S8_EEEEZNS1_11reduce_implILb1ES3_NS6_12zip_iteratorINS7_INS6_11hip_rocprim26transform_input_iterator_tIbPaNS6_6detail10functional5actorINSH_9compositeIJNSH_27transparent_binary_operatorINS6_8equal_toIvEEEENSI_INSH_8argumentILj0EEEEENSH_5valueIaEEEEEEEEENSD_19counting_iterator_tIlEES8_S8_S8_S8_S8_S8_S8_S8_EEEEPS9_S9_NSD_9__find_if7functorIS9_EEEE10hipError_tPvRmT1_T2_T3_mT4_P12ihipStream_tbEUlT_E0_NS1_11comp_targetILNS1_3genE10ELNS1_11target_archE1201ELNS1_3gpuE5ELNS1_3repE0EEENS1_30default_config_static_selectorELNS0_4arch9wavefront6targetE1EEEvS17_
                                        ; -- End function
	.section	.AMDGPU.csdata,"",@progbits
; Kernel info:
; codeLenInByte = 0
; NumSgprs: 4
; NumVgprs: 0
; NumAgprs: 0
; TotalNumVgprs: 0
; ScratchSize: 0
; MemoryBound: 0
; FloatMode: 240
; IeeeMode: 1
; LDSByteSize: 0 bytes/workgroup (compile time only)
; SGPRBlocks: 0
; VGPRBlocks: 0
; NumSGPRsForWavesPerEU: 4
; NumVGPRsForWavesPerEU: 1
; AccumOffset: 4
; Occupancy: 8
; WaveLimiterHint : 0
; COMPUTE_PGM_RSRC2:SCRATCH_EN: 0
; COMPUTE_PGM_RSRC2:USER_SGPR: 6
; COMPUTE_PGM_RSRC2:TRAP_HANDLER: 0
; COMPUTE_PGM_RSRC2:TGID_X_EN: 1
; COMPUTE_PGM_RSRC2:TGID_Y_EN: 0
; COMPUTE_PGM_RSRC2:TGID_Z_EN: 0
; COMPUTE_PGM_RSRC2:TIDIG_COMP_CNT: 0
; COMPUTE_PGM_RSRC3_GFX90A:ACCUM_OFFSET: 0
; COMPUTE_PGM_RSRC3_GFX90A:TG_SPLIT: 0
	.section	.text._ZN7rocprim17ROCPRIM_400000_NS6detail17trampoline_kernelINS0_14default_configENS1_22reduce_config_selectorIN6thrust23THRUST_200600_302600_NS5tupleIblNS6_9null_typeES8_S8_S8_S8_S8_S8_S8_EEEEZNS1_11reduce_implILb1ES3_NS6_12zip_iteratorINS7_INS6_11hip_rocprim26transform_input_iterator_tIbPaNS6_6detail10functional5actorINSH_9compositeIJNSH_27transparent_binary_operatorINS6_8equal_toIvEEEENSI_INSH_8argumentILj0EEEEENSH_5valueIaEEEEEEEEENSD_19counting_iterator_tIlEES8_S8_S8_S8_S8_S8_S8_S8_EEEEPS9_S9_NSD_9__find_if7functorIS9_EEEE10hipError_tPvRmT1_T2_T3_mT4_P12ihipStream_tbEUlT_E0_NS1_11comp_targetILNS1_3genE10ELNS1_11target_archE1200ELNS1_3gpuE4ELNS1_3repE0EEENS1_30default_config_static_selectorELNS0_4arch9wavefront6targetE1EEEvS17_,"axG",@progbits,_ZN7rocprim17ROCPRIM_400000_NS6detail17trampoline_kernelINS0_14default_configENS1_22reduce_config_selectorIN6thrust23THRUST_200600_302600_NS5tupleIblNS6_9null_typeES8_S8_S8_S8_S8_S8_S8_EEEEZNS1_11reduce_implILb1ES3_NS6_12zip_iteratorINS7_INS6_11hip_rocprim26transform_input_iterator_tIbPaNS6_6detail10functional5actorINSH_9compositeIJNSH_27transparent_binary_operatorINS6_8equal_toIvEEEENSI_INSH_8argumentILj0EEEEENSH_5valueIaEEEEEEEEENSD_19counting_iterator_tIlEES8_S8_S8_S8_S8_S8_S8_S8_EEEEPS9_S9_NSD_9__find_if7functorIS9_EEEE10hipError_tPvRmT1_T2_T3_mT4_P12ihipStream_tbEUlT_E0_NS1_11comp_targetILNS1_3genE10ELNS1_11target_archE1200ELNS1_3gpuE4ELNS1_3repE0EEENS1_30default_config_static_selectorELNS0_4arch9wavefront6targetE1EEEvS17_,comdat
	.protected	_ZN7rocprim17ROCPRIM_400000_NS6detail17trampoline_kernelINS0_14default_configENS1_22reduce_config_selectorIN6thrust23THRUST_200600_302600_NS5tupleIblNS6_9null_typeES8_S8_S8_S8_S8_S8_S8_EEEEZNS1_11reduce_implILb1ES3_NS6_12zip_iteratorINS7_INS6_11hip_rocprim26transform_input_iterator_tIbPaNS6_6detail10functional5actorINSH_9compositeIJNSH_27transparent_binary_operatorINS6_8equal_toIvEEEENSI_INSH_8argumentILj0EEEEENSH_5valueIaEEEEEEEEENSD_19counting_iterator_tIlEES8_S8_S8_S8_S8_S8_S8_S8_EEEEPS9_S9_NSD_9__find_if7functorIS9_EEEE10hipError_tPvRmT1_T2_T3_mT4_P12ihipStream_tbEUlT_E0_NS1_11comp_targetILNS1_3genE10ELNS1_11target_archE1200ELNS1_3gpuE4ELNS1_3repE0EEENS1_30default_config_static_selectorELNS0_4arch9wavefront6targetE1EEEvS17_ ; -- Begin function _ZN7rocprim17ROCPRIM_400000_NS6detail17trampoline_kernelINS0_14default_configENS1_22reduce_config_selectorIN6thrust23THRUST_200600_302600_NS5tupleIblNS6_9null_typeES8_S8_S8_S8_S8_S8_S8_EEEEZNS1_11reduce_implILb1ES3_NS6_12zip_iteratorINS7_INS6_11hip_rocprim26transform_input_iterator_tIbPaNS6_6detail10functional5actorINSH_9compositeIJNSH_27transparent_binary_operatorINS6_8equal_toIvEEEENSI_INSH_8argumentILj0EEEEENSH_5valueIaEEEEEEEEENSD_19counting_iterator_tIlEES8_S8_S8_S8_S8_S8_S8_S8_EEEEPS9_S9_NSD_9__find_if7functorIS9_EEEE10hipError_tPvRmT1_T2_T3_mT4_P12ihipStream_tbEUlT_E0_NS1_11comp_targetILNS1_3genE10ELNS1_11target_archE1200ELNS1_3gpuE4ELNS1_3repE0EEENS1_30default_config_static_selectorELNS0_4arch9wavefront6targetE1EEEvS17_
	.globl	_ZN7rocprim17ROCPRIM_400000_NS6detail17trampoline_kernelINS0_14default_configENS1_22reduce_config_selectorIN6thrust23THRUST_200600_302600_NS5tupleIblNS6_9null_typeES8_S8_S8_S8_S8_S8_S8_EEEEZNS1_11reduce_implILb1ES3_NS6_12zip_iteratorINS7_INS6_11hip_rocprim26transform_input_iterator_tIbPaNS6_6detail10functional5actorINSH_9compositeIJNSH_27transparent_binary_operatorINS6_8equal_toIvEEEENSI_INSH_8argumentILj0EEEEENSH_5valueIaEEEEEEEEENSD_19counting_iterator_tIlEES8_S8_S8_S8_S8_S8_S8_S8_EEEEPS9_S9_NSD_9__find_if7functorIS9_EEEE10hipError_tPvRmT1_T2_T3_mT4_P12ihipStream_tbEUlT_E0_NS1_11comp_targetILNS1_3genE10ELNS1_11target_archE1200ELNS1_3gpuE4ELNS1_3repE0EEENS1_30default_config_static_selectorELNS0_4arch9wavefront6targetE1EEEvS17_
	.p2align	8
	.type	_ZN7rocprim17ROCPRIM_400000_NS6detail17trampoline_kernelINS0_14default_configENS1_22reduce_config_selectorIN6thrust23THRUST_200600_302600_NS5tupleIblNS6_9null_typeES8_S8_S8_S8_S8_S8_S8_EEEEZNS1_11reduce_implILb1ES3_NS6_12zip_iteratorINS7_INS6_11hip_rocprim26transform_input_iterator_tIbPaNS6_6detail10functional5actorINSH_9compositeIJNSH_27transparent_binary_operatorINS6_8equal_toIvEEEENSI_INSH_8argumentILj0EEEEENSH_5valueIaEEEEEEEEENSD_19counting_iterator_tIlEES8_S8_S8_S8_S8_S8_S8_S8_EEEEPS9_S9_NSD_9__find_if7functorIS9_EEEE10hipError_tPvRmT1_T2_T3_mT4_P12ihipStream_tbEUlT_E0_NS1_11comp_targetILNS1_3genE10ELNS1_11target_archE1200ELNS1_3gpuE4ELNS1_3repE0EEENS1_30default_config_static_selectorELNS0_4arch9wavefront6targetE1EEEvS17_,@function
_ZN7rocprim17ROCPRIM_400000_NS6detail17trampoline_kernelINS0_14default_configENS1_22reduce_config_selectorIN6thrust23THRUST_200600_302600_NS5tupleIblNS6_9null_typeES8_S8_S8_S8_S8_S8_S8_EEEEZNS1_11reduce_implILb1ES3_NS6_12zip_iteratorINS7_INS6_11hip_rocprim26transform_input_iterator_tIbPaNS6_6detail10functional5actorINSH_9compositeIJNSH_27transparent_binary_operatorINS6_8equal_toIvEEEENSI_INSH_8argumentILj0EEEEENSH_5valueIaEEEEEEEEENSD_19counting_iterator_tIlEES8_S8_S8_S8_S8_S8_S8_S8_EEEEPS9_S9_NSD_9__find_if7functorIS9_EEEE10hipError_tPvRmT1_T2_T3_mT4_P12ihipStream_tbEUlT_E0_NS1_11comp_targetILNS1_3genE10ELNS1_11target_archE1200ELNS1_3gpuE4ELNS1_3repE0EEENS1_30default_config_static_selectorELNS0_4arch9wavefront6targetE1EEEvS17_: ; @_ZN7rocprim17ROCPRIM_400000_NS6detail17trampoline_kernelINS0_14default_configENS1_22reduce_config_selectorIN6thrust23THRUST_200600_302600_NS5tupleIblNS6_9null_typeES8_S8_S8_S8_S8_S8_S8_EEEEZNS1_11reduce_implILb1ES3_NS6_12zip_iteratorINS7_INS6_11hip_rocprim26transform_input_iterator_tIbPaNS6_6detail10functional5actorINSH_9compositeIJNSH_27transparent_binary_operatorINS6_8equal_toIvEEEENSI_INSH_8argumentILj0EEEEENSH_5valueIaEEEEEEEEENSD_19counting_iterator_tIlEES8_S8_S8_S8_S8_S8_S8_S8_EEEEPS9_S9_NSD_9__find_if7functorIS9_EEEE10hipError_tPvRmT1_T2_T3_mT4_P12ihipStream_tbEUlT_E0_NS1_11comp_targetILNS1_3genE10ELNS1_11target_archE1200ELNS1_3gpuE4ELNS1_3repE0EEENS1_30default_config_static_selectorELNS0_4arch9wavefront6targetE1EEEvS17_
; %bb.0:
	.section	.rodata,"a",@progbits
	.p2align	6, 0x0
	.amdhsa_kernel _ZN7rocprim17ROCPRIM_400000_NS6detail17trampoline_kernelINS0_14default_configENS1_22reduce_config_selectorIN6thrust23THRUST_200600_302600_NS5tupleIblNS6_9null_typeES8_S8_S8_S8_S8_S8_S8_EEEEZNS1_11reduce_implILb1ES3_NS6_12zip_iteratorINS7_INS6_11hip_rocprim26transform_input_iterator_tIbPaNS6_6detail10functional5actorINSH_9compositeIJNSH_27transparent_binary_operatorINS6_8equal_toIvEEEENSI_INSH_8argumentILj0EEEEENSH_5valueIaEEEEEEEEENSD_19counting_iterator_tIlEES8_S8_S8_S8_S8_S8_S8_S8_EEEEPS9_S9_NSD_9__find_if7functorIS9_EEEE10hipError_tPvRmT1_T2_T3_mT4_P12ihipStream_tbEUlT_E0_NS1_11comp_targetILNS1_3genE10ELNS1_11target_archE1200ELNS1_3gpuE4ELNS1_3repE0EEENS1_30default_config_static_selectorELNS0_4arch9wavefront6targetE1EEEvS17_
		.amdhsa_group_segment_fixed_size 0
		.amdhsa_private_segment_fixed_size 0
		.amdhsa_kernarg_size 88
		.amdhsa_user_sgpr_count 6
		.amdhsa_user_sgpr_private_segment_buffer 1
		.amdhsa_user_sgpr_dispatch_ptr 0
		.amdhsa_user_sgpr_queue_ptr 0
		.amdhsa_user_sgpr_kernarg_segment_ptr 1
		.amdhsa_user_sgpr_dispatch_id 0
		.amdhsa_user_sgpr_flat_scratch_init 0
		.amdhsa_user_sgpr_kernarg_preload_length 0
		.amdhsa_user_sgpr_kernarg_preload_offset 0
		.amdhsa_user_sgpr_private_segment_size 0
		.amdhsa_uses_dynamic_stack 0
		.amdhsa_system_sgpr_private_segment_wavefront_offset 0
		.amdhsa_system_sgpr_workgroup_id_x 1
		.amdhsa_system_sgpr_workgroup_id_y 0
		.amdhsa_system_sgpr_workgroup_id_z 0
		.amdhsa_system_sgpr_workgroup_info 0
		.amdhsa_system_vgpr_workitem_id 0
		.amdhsa_next_free_vgpr 1
		.amdhsa_next_free_sgpr 0
		.amdhsa_accum_offset 4
		.amdhsa_reserve_vcc 0
		.amdhsa_reserve_flat_scratch 0
		.amdhsa_float_round_mode_32 0
		.amdhsa_float_round_mode_16_64 0
		.amdhsa_float_denorm_mode_32 3
		.amdhsa_float_denorm_mode_16_64 3
		.amdhsa_dx10_clamp 1
		.amdhsa_ieee_mode 1
		.amdhsa_fp16_overflow 0
		.amdhsa_tg_split 0
		.amdhsa_exception_fp_ieee_invalid_op 0
		.amdhsa_exception_fp_denorm_src 0
		.amdhsa_exception_fp_ieee_div_zero 0
		.amdhsa_exception_fp_ieee_overflow 0
		.amdhsa_exception_fp_ieee_underflow 0
		.amdhsa_exception_fp_ieee_inexact 0
		.amdhsa_exception_int_div_zero 0
	.end_amdhsa_kernel
	.section	.text._ZN7rocprim17ROCPRIM_400000_NS6detail17trampoline_kernelINS0_14default_configENS1_22reduce_config_selectorIN6thrust23THRUST_200600_302600_NS5tupleIblNS6_9null_typeES8_S8_S8_S8_S8_S8_S8_EEEEZNS1_11reduce_implILb1ES3_NS6_12zip_iteratorINS7_INS6_11hip_rocprim26transform_input_iterator_tIbPaNS6_6detail10functional5actorINSH_9compositeIJNSH_27transparent_binary_operatorINS6_8equal_toIvEEEENSI_INSH_8argumentILj0EEEEENSH_5valueIaEEEEEEEEENSD_19counting_iterator_tIlEES8_S8_S8_S8_S8_S8_S8_S8_EEEEPS9_S9_NSD_9__find_if7functorIS9_EEEE10hipError_tPvRmT1_T2_T3_mT4_P12ihipStream_tbEUlT_E0_NS1_11comp_targetILNS1_3genE10ELNS1_11target_archE1200ELNS1_3gpuE4ELNS1_3repE0EEENS1_30default_config_static_selectorELNS0_4arch9wavefront6targetE1EEEvS17_,"axG",@progbits,_ZN7rocprim17ROCPRIM_400000_NS6detail17trampoline_kernelINS0_14default_configENS1_22reduce_config_selectorIN6thrust23THRUST_200600_302600_NS5tupleIblNS6_9null_typeES8_S8_S8_S8_S8_S8_S8_EEEEZNS1_11reduce_implILb1ES3_NS6_12zip_iteratorINS7_INS6_11hip_rocprim26transform_input_iterator_tIbPaNS6_6detail10functional5actorINSH_9compositeIJNSH_27transparent_binary_operatorINS6_8equal_toIvEEEENSI_INSH_8argumentILj0EEEEENSH_5valueIaEEEEEEEEENSD_19counting_iterator_tIlEES8_S8_S8_S8_S8_S8_S8_S8_EEEEPS9_S9_NSD_9__find_if7functorIS9_EEEE10hipError_tPvRmT1_T2_T3_mT4_P12ihipStream_tbEUlT_E0_NS1_11comp_targetILNS1_3genE10ELNS1_11target_archE1200ELNS1_3gpuE4ELNS1_3repE0EEENS1_30default_config_static_selectorELNS0_4arch9wavefront6targetE1EEEvS17_,comdat
.Lfunc_end714:
	.size	_ZN7rocprim17ROCPRIM_400000_NS6detail17trampoline_kernelINS0_14default_configENS1_22reduce_config_selectorIN6thrust23THRUST_200600_302600_NS5tupleIblNS6_9null_typeES8_S8_S8_S8_S8_S8_S8_EEEEZNS1_11reduce_implILb1ES3_NS6_12zip_iteratorINS7_INS6_11hip_rocprim26transform_input_iterator_tIbPaNS6_6detail10functional5actorINSH_9compositeIJNSH_27transparent_binary_operatorINS6_8equal_toIvEEEENSI_INSH_8argumentILj0EEEEENSH_5valueIaEEEEEEEEENSD_19counting_iterator_tIlEES8_S8_S8_S8_S8_S8_S8_S8_EEEEPS9_S9_NSD_9__find_if7functorIS9_EEEE10hipError_tPvRmT1_T2_T3_mT4_P12ihipStream_tbEUlT_E0_NS1_11comp_targetILNS1_3genE10ELNS1_11target_archE1200ELNS1_3gpuE4ELNS1_3repE0EEENS1_30default_config_static_selectorELNS0_4arch9wavefront6targetE1EEEvS17_, .Lfunc_end714-_ZN7rocprim17ROCPRIM_400000_NS6detail17trampoline_kernelINS0_14default_configENS1_22reduce_config_selectorIN6thrust23THRUST_200600_302600_NS5tupleIblNS6_9null_typeES8_S8_S8_S8_S8_S8_S8_EEEEZNS1_11reduce_implILb1ES3_NS6_12zip_iteratorINS7_INS6_11hip_rocprim26transform_input_iterator_tIbPaNS6_6detail10functional5actorINSH_9compositeIJNSH_27transparent_binary_operatorINS6_8equal_toIvEEEENSI_INSH_8argumentILj0EEEEENSH_5valueIaEEEEEEEEENSD_19counting_iterator_tIlEES8_S8_S8_S8_S8_S8_S8_S8_EEEEPS9_S9_NSD_9__find_if7functorIS9_EEEE10hipError_tPvRmT1_T2_T3_mT4_P12ihipStream_tbEUlT_E0_NS1_11comp_targetILNS1_3genE10ELNS1_11target_archE1200ELNS1_3gpuE4ELNS1_3repE0EEENS1_30default_config_static_selectorELNS0_4arch9wavefront6targetE1EEEvS17_
                                        ; -- End function
	.section	.AMDGPU.csdata,"",@progbits
; Kernel info:
; codeLenInByte = 0
; NumSgprs: 4
; NumVgprs: 0
; NumAgprs: 0
; TotalNumVgprs: 0
; ScratchSize: 0
; MemoryBound: 0
; FloatMode: 240
; IeeeMode: 1
; LDSByteSize: 0 bytes/workgroup (compile time only)
; SGPRBlocks: 0
; VGPRBlocks: 0
; NumSGPRsForWavesPerEU: 4
; NumVGPRsForWavesPerEU: 1
; AccumOffset: 4
; Occupancy: 8
; WaveLimiterHint : 0
; COMPUTE_PGM_RSRC2:SCRATCH_EN: 0
; COMPUTE_PGM_RSRC2:USER_SGPR: 6
; COMPUTE_PGM_RSRC2:TRAP_HANDLER: 0
; COMPUTE_PGM_RSRC2:TGID_X_EN: 1
; COMPUTE_PGM_RSRC2:TGID_Y_EN: 0
; COMPUTE_PGM_RSRC2:TGID_Z_EN: 0
; COMPUTE_PGM_RSRC2:TIDIG_COMP_CNT: 0
; COMPUTE_PGM_RSRC3_GFX90A:ACCUM_OFFSET: 0
; COMPUTE_PGM_RSRC3_GFX90A:TG_SPLIT: 0
	.section	.text._ZN7rocprim17ROCPRIM_400000_NS6detail17trampoline_kernelINS0_14default_configENS1_22reduce_config_selectorIN6thrust23THRUST_200600_302600_NS5tupleIblNS6_9null_typeES8_S8_S8_S8_S8_S8_S8_EEEEZNS1_11reduce_implILb1ES3_NS6_12zip_iteratorINS7_INS6_11hip_rocprim26transform_input_iterator_tIbPaNS6_6detail10functional5actorINSH_9compositeIJNSH_27transparent_binary_operatorINS6_8equal_toIvEEEENSI_INSH_8argumentILj0EEEEENSH_5valueIaEEEEEEEEENSD_19counting_iterator_tIlEES8_S8_S8_S8_S8_S8_S8_S8_EEEEPS9_S9_NSD_9__find_if7functorIS9_EEEE10hipError_tPvRmT1_T2_T3_mT4_P12ihipStream_tbEUlT_E0_NS1_11comp_targetILNS1_3genE9ELNS1_11target_archE1100ELNS1_3gpuE3ELNS1_3repE0EEENS1_30default_config_static_selectorELNS0_4arch9wavefront6targetE1EEEvS17_,"axG",@progbits,_ZN7rocprim17ROCPRIM_400000_NS6detail17trampoline_kernelINS0_14default_configENS1_22reduce_config_selectorIN6thrust23THRUST_200600_302600_NS5tupleIblNS6_9null_typeES8_S8_S8_S8_S8_S8_S8_EEEEZNS1_11reduce_implILb1ES3_NS6_12zip_iteratorINS7_INS6_11hip_rocprim26transform_input_iterator_tIbPaNS6_6detail10functional5actorINSH_9compositeIJNSH_27transparent_binary_operatorINS6_8equal_toIvEEEENSI_INSH_8argumentILj0EEEEENSH_5valueIaEEEEEEEEENSD_19counting_iterator_tIlEES8_S8_S8_S8_S8_S8_S8_S8_EEEEPS9_S9_NSD_9__find_if7functorIS9_EEEE10hipError_tPvRmT1_T2_T3_mT4_P12ihipStream_tbEUlT_E0_NS1_11comp_targetILNS1_3genE9ELNS1_11target_archE1100ELNS1_3gpuE3ELNS1_3repE0EEENS1_30default_config_static_selectorELNS0_4arch9wavefront6targetE1EEEvS17_,comdat
	.protected	_ZN7rocprim17ROCPRIM_400000_NS6detail17trampoline_kernelINS0_14default_configENS1_22reduce_config_selectorIN6thrust23THRUST_200600_302600_NS5tupleIblNS6_9null_typeES8_S8_S8_S8_S8_S8_S8_EEEEZNS1_11reduce_implILb1ES3_NS6_12zip_iteratorINS7_INS6_11hip_rocprim26transform_input_iterator_tIbPaNS6_6detail10functional5actorINSH_9compositeIJNSH_27transparent_binary_operatorINS6_8equal_toIvEEEENSI_INSH_8argumentILj0EEEEENSH_5valueIaEEEEEEEEENSD_19counting_iterator_tIlEES8_S8_S8_S8_S8_S8_S8_S8_EEEEPS9_S9_NSD_9__find_if7functorIS9_EEEE10hipError_tPvRmT1_T2_T3_mT4_P12ihipStream_tbEUlT_E0_NS1_11comp_targetILNS1_3genE9ELNS1_11target_archE1100ELNS1_3gpuE3ELNS1_3repE0EEENS1_30default_config_static_selectorELNS0_4arch9wavefront6targetE1EEEvS17_ ; -- Begin function _ZN7rocprim17ROCPRIM_400000_NS6detail17trampoline_kernelINS0_14default_configENS1_22reduce_config_selectorIN6thrust23THRUST_200600_302600_NS5tupleIblNS6_9null_typeES8_S8_S8_S8_S8_S8_S8_EEEEZNS1_11reduce_implILb1ES3_NS6_12zip_iteratorINS7_INS6_11hip_rocprim26transform_input_iterator_tIbPaNS6_6detail10functional5actorINSH_9compositeIJNSH_27transparent_binary_operatorINS6_8equal_toIvEEEENSI_INSH_8argumentILj0EEEEENSH_5valueIaEEEEEEEEENSD_19counting_iterator_tIlEES8_S8_S8_S8_S8_S8_S8_S8_EEEEPS9_S9_NSD_9__find_if7functorIS9_EEEE10hipError_tPvRmT1_T2_T3_mT4_P12ihipStream_tbEUlT_E0_NS1_11comp_targetILNS1_3genE9ELNS1_11target_archE1100ELNS1_3gpuE3ELNS1_3repE0EEENS1_30default_config_static_selectorELNS0_4arch9wavefront6targetE1EEEvS17_
	.globl	_ZN7rocprim17ROCPRIM_400000_NS6detail17trampoline_kernelINS0_14default_configENS1_22reduce_config_selectorIN6thrust23THRUST_200600_302600_NS5tupleIblNS6_9null_typeES8_S8_S8_S8_S8_S8_S8_EEEEZNS1_11reduce_implILb1ES3_NS6_12zip_iteratorINS7_INS6_11hip_rocprim26transform_input_iterator_tIbPaNS6_6detail10functional5actorINSH_9compositeIJNSH_27transparent_binary_operatorINS6_8equal_toIvEEEENSI_INSH_8argumentILj0EEEEENSH_5valueIaEEEEEEEEENSD_19counting_iterator_tIlEES8_S8_S8_S8_S8_S8_S8_S8_EEEEPS9_S9_NSD_9__find_if7functorIS9_EEEE10hipError_tPvRmT1_T2_T3_mT4_P12ihipStream_tbEUlT_E0_NS1_11comp_targetILNS1_3genE9ELNS1_11target_archE1100ELNS1_3gpuE3ELNS1_3repE0EEENS1_30default_config_static_selectorELNS0_4arch9wavefront6targetE1EEEvS17_
	.p2align	8
	.type	_ZN7rocprim17ROCPRIM_400000_NS6detail17trampoline_kernelINS0_14default_configENS1_22reduce_config_selectorIN6thrust23THRUST_200600_302600_NS5tupleIblNS6_9null_typeES8_S8_S8_S8_S8_S8_S8_EEEEZNS1_11reduce_implILb1ES3_NS6_12zip_iteratorINS7_INS6_11hip_rocprim26transform_input_iterator_tIbPaNS6_6detail10functional5actorINSH_9compositeIJNSH_27transparent_binary_operatorINS6_8equal_toIvEEEENSI_INSH_8argumentILj0EEEEENSH_5valueIaEEEEEEEEENSD_19counting_iterator_tIlEES8_S8_S8_S8_S8_S8_S8_S8_EEEEPS9_S9_NSD_9__find_if7functorIS9_EEEE10hipError_tPvRmT1_T2_T3_mT4_P12ihipStream_tbEUlT_E0_NS1_11comp_targetILNS1_3genE9ELNS1_11target_archE1100ELNS1_3gpuE3ELNS1_3repE0EEENS1_30default_config_static_selectorELNS0_4arch9wavefront6targetE1EEEvS17_,@function
_ZN7rocprim17ROCPRIM_400000_NS6detail17trampoline_kernelINS0_14default_configENS1_22reduce_config_selectorIN6thrust23THRUST_200600_302600_NS5tupleIblNS6_9null_typeES8_S8_S8_S8_S8_S8_S8_EEEEZNS1_11reduce_implILb1ES3_NS6_12zip_iteratorINS7_INS6_11hip_rocprim26transform_input_iterator_tIbPaNS6_6detail10functional5actorINSH_9compositeIJNSH_27transparent_binary_operatorINS6_8equal_toIvEEEENSI_INSH_8argumentILj0EEEEENSH_5valueIaEEEEEEEEENSD_19counting_iterator_tIlEES8_S8_S8_S8_S8_S8_S8_S8_EEEEPS9_S9_NSD_9__find_if7functorIS9_EEEE10hipError_tPvRmT1_T2_T3_mT4_P12ihipStream_tbEUlT_E0_NS1_11comp_targetILNS1_3genE9ELNS1_11target_archE1100ELNS1_3gpuE3ELNS1_3repE0EEENS1_30default_config_static_selectorELNS0_4arch9wavefront6targetE1EEEvS17_: ; @_ZN7rocprim17ROCPRIM_400000_NS6detail17trampoline_kernelINS0_14default_configENS1_22reduce_config_selectorIN6thrust23THRUST_200600_302600_NS5tupleIblNS6_9null_typeES8_S8_S8_S8_S8_S8_S8_EEEEZNS1_11reduce_implILb1ES3_NS6_12zip_iteratorINS7_INS6_11hip_rocprim26transform_input_iterator_tIbPaNS6_6detail10functional5actorINSH_9compositeIJNSH_27transparent_binary_operatorINS6_8equal_toIvEEEENSI_INSH_8argumentILj0EEEEENSH_5valueIaEEEEEEEEENSD_19counting_iterator_tIlEES8_S8_S8_S8_S8_S8_S8_S8_EEEEPS9_S9_NSD_9__find_if7functorIS9_EEEE10hipError_tPvRmT1_T2_T3_mT4_P12ihipStream_tbEUlT_E0_NS1_11comp_targetILNS1_3genE9ELNS1_11target_archE1100ELNS1_3gpuE3ELNS1_3repE0EEENS1_30default_config_static_selectorELNS0_4arch9wavefront6targetE1EEEvS17_
; %bb.0:
	.section	.rodata,"a",@progbits
	.p2align	6, 0x0
	.amdhsa_kernel _ZN7rocprim17ROCPRIM_400000_NS6detail17trampoline_kernelINS0_14default_configENS1_22reduce_config_selectorIN6thrust23THRUST_200600_302600_NS5tupleIblNS6_9null_typeES8_S8_S8_S8_S8_S8_S8_EEEEZNS1_11reduce_implILb1ES3_NS6_12zip_iteratorINS7_INS6_11hip_rocprim26transform_input_iterator_tIbPaNS6_6detail10functional5actorINSH_9compositeIJNSH_27transparent_binary_operatorINS6_8equal_toIvEEEENSI_INSH_8argumentILj0EEEEENSH_5valueIaEEEEEEEEENSD_19counting_iterator_tIlEES8_S8_S8_S8_S8_S8_S8_S8_EEEEPS9_S9_NSD_9__find_if7functorIS9_EEEE10hipError_tPvRmT1_T2_T3_mT4_P12ihipStream_tbEUlT_E0_NS1_11comp_targetILNS1_3genE9ELNS1_11target_archE1100ELNS1_3gpuE3ELNS1_3repE0EEENS1_30default_config_static_selectorELNS0_4arch9wavefront6targetE1EEEvS17_
		.amdhsa_group_segment_fixed_size 0
		.amdhsa_private_segment_fixed_size 0
		.amdhsa_kernarg_size 88
		.amdhsa_user_sgpr_count 6
		.amdhsa_user_sgpr_private_segment_buffer 1
		.amdhsa_user_sgpr_dispatch_ptr 0
		.amdhsa_user_sgpr_queue_ptr 0
		.amdhsa_user_sgpr_kernarg_segment_ptr 1
		.amdhsa_user_sgpr_dispatch_id 0
		.amdhsa_user_sgpr_flat_scratch_init 0
		.amdhsa_user_sgpr_kernarg_preload_length 0
		.amdhsa_user_sgpr_kernarg_preload_offset 0
		.amdhsa_user_sgpr_private_segment_size 0
		.amdhsa_uses_dynamic_stack 0
		.amdhsa_system_sgpr_private_segment_wavefront_offset 0
		.amdhsa_system_sgpr_workgroup_id_x 1
		.amdhsa_system_sgpr_workgroup_id_y 0
		.amdhsa_system_sgpr_workgroup_id_z 0
		.amdhsa_system_sgpr_workgroup_info 0
		.amdhsa_system_vgpr_workitem_id 0
		.amdhsa_next_free_vgpr 1
		.amdhsa_next_free_sgpr 0
		.amdhsa_accum_offset 4
		.amdhsa_reserve_vcc 0
		.amdhsa_reserve_flat_scratch 0
		.amdhsa_float_round_mode_32 0
		.amdhsa_float_round_mode_16_64 0
		.amdhsa_float_denorm_mode_32 3
		.amdhsa_float_denorm_mode_16_64 3
		.amdhsa_dx10_clamp 1
		.amdhsa_ieee_mode 1
		.amdhsa_fp16_overflow 0
		.amdhsa_tg_split 0
		.amdhsa_exception_fp_ieee_invalid_op 0
		.amdhsa_exception_fp_denorm_src 0
		.amdhsa_exception_fp_ieee_div_zero 0
		.amdhsa_exception_fp_ieee_overflow 0
		.amdhsa_exception_fp_ieee_underflow 0
		.amdhsa_exception_fp_ieee_inexact 0
		.amdhsa_exception_int_div_zero 0
	.end_amdhsa_kernel
	.section	.text._ZN7rocprim17ROCPRIM_400000_NS6detail17trampoline_kernelINS0_14default_configENS1_22reduce_config_selectorIN6thrust23THRUST_200600_302600_NS5tupleIblNS6_9null_typeES8_S8_S8_S8_S8_S8_S8_EEEEZNS1_11reduce_implILb1ES3_NS6_12zip_iteratorINS7_INS6_11hip_rocprim26transform_input_iterator_tIbPaNS6_6detail10functional5actorINSH_9compositeIJNSH_27transparent_binary_operatorINS6_8equal_toIvEEEENSI_INSH_8argumentILj0EEEEENSH_5valueIaEEEEEEEEENSD_19counting_iterator_tIlEES8_S8_S8_S8_S8_S8_S8_S8_EEEEPS9_S9_NSD_9__find_if7functorIS9_EEEE10hipError_tPvRmT1_T2_T3_mT4_P12ihipStream_tbEUlT_E0_NS1_11comp_targetILNS1_3genE9ELNS1_11target_archE1100ELNS1_3gpuE3ELNS1_3repE0EEENS1_30default_config_static_selectorELNS0_4arch9wavefront6targetE1EEEvS17_,"axG",@progbits,_ZN7rocprim17ROCPRIM_400000_NS6detail17trampoline_kernelINS0_14default_configENS1_22reduce_config_selectorIN6thrust23THRUST_200600_302600_NS5tupleIblNS6_9null_typeES8_S8_S8_S8_S8_S8_S8_EEEEZNS1_11reduce_implILb1ES3_NS6_12zip_iteratorINS7_INS6_11hip_rocprim26transform_input_iterator_tIbPaNS6_6detail10functional5actorINSH_9compositeIJNSH_27transparent_binary_operatorINS6_8equal_toIvEEEENSI_INSH_8argumentILj0EEEEENSH_5valueIaEEEEEEEEENSD_19counting_iterator_tIlEES8_S8_S8_S8_S8_S8_S8_S8_EEEEPS9_S9_NSD_9__find_if7functorIS9_EEEE10hipError_tPvRmT1_T2_T3_mT4_P12ihipStream_tbEUlT_E0_NS1_11comp_targetILNS1_3genE9ELNS1_11target_archE1100ELNS1_3gpuE3ELNS1_3repE0EEENS1_30default_config_static_selectorELNS0_4arch9wavefront6targetE1EEEvS17_,comdat
.Lfunc_end715:
	.size	_ZN7rocprim17ROCPRIM_400000_NS6detail17trampoline_kernelINS0_14default_configENS1_22reduce_config_selectorIN6thrust23THRUST_200600_302600_NS5tupleIblNS6_9null_typeES8_S8_S8_S8_S8_S8_S8_EEEEZNS1_11reduce_implILb1ES3_NS6_12zip_iteratorINS7_INS6_11hip_rocprim26transform_input_iterator_tIbPaNS6_6detail10functional5actorINSH_9compositeIJNSH_27transparent_binary_operatorINS6_8equal_toIvEEEENSI_INSH_8argumentILj0EEEEENSH_5valueIaEEEEEEEEENSD_19counting_iterator_tIlEES8_S8_S8_S8_S8_S8_S8_S8_EEEEPS9_S9_NSD_9__find_if7functorIS9_EEEE10hipError_tPvRmT1_T2_T3_mT4_P12ihipStream_tbEUlT_E0_NS1_11comp_targetILNS1_3genE9ELNS1_11target_archE1100ELNS1_3gpuE3ELNS1_3repE0EEENS1_30default_config_static_selectorELNS0_4arch9wavefront6targetE1EEEvS17_, .Lfunc_end715-_ZN7rocprim17ROCPRIM_400000_NS6detail17trampoline_kernelINS0_14default_configENS1_22reduce_config_selectorIN6thrust23THRUST_200600_302600_NS5tupleIblNS6_9null_typeES8_S8_S8_S8_S8_S8_S8_EEEEZNS1_11reduce_implILb1ES3_NS6_12zip_iteratorINS7_INS6_11hip_rocprim26transform_input_iterator_tIbPaNS6_6detail10functional5actorINSH_9compositeIJNSH_27transparent_binary_operatorINS6_8equal_toIvEEEENSI_INSH_8argumentILj0EEEEENSH_5valueIaEEEEEEEEENSD_19counting_iterator_tIlEES8_S8_S8_S8_S8_S8_S8_S8_EEEEPS9_S9_NSD_9__find_if7functorIS9_EEEE10hipError_tPvRmT1_T2_T3_mT4_P12ihipStream_tbEUlT_E0_NS1_11comp_targetILNS1_3genE9ELNS1_11target_archE1100ELNS1_3gpuE3ELNS1_3repE0EEENS1_30default_config_static_selectorELNS0_4arch9wavefront6targetE1EEEvS17_
                                        ; -- End function
	.section	.AMDGPU.csdata,"",@progbits
; Kernel info:
; codeLenInByte = 0
; NumSgprs: 4
; NumVgprs: 0
; NumAgprs: 0
; TotalNumVgprs: 0
; ScratchSize: 0
; MemoryBound: 0
; FloatMode: 240
; IeeeMode: 1
; LDSByteSize: 0 bytes/workgroup (compile time only)
; SGPRBlocks: 0
; VGPRBlocks: 0
; NumSGPRsForWavesPerEU: 4
; NumVGPRsForWavesPerEU: 1
; AccumOffset: 4
; Occupancy: 8
; WaveLimiterHint : 0
; COMPUTE_PGM_RSRC2:SCRATCH_EN: 0
; COMPUTE_PGM_RSRC2:USER_SGPR: 6
; COMPUTE_PGM_RSRC2:TRAP_HANDLER: 0
; COMPUTE_PGM_RSRC2:TGID_X_EN: 1
; COMPUTE_PGM_RSRC2:TGID_Y_EN: 0
; COMPUTE_PGM_RSRC2:TGID_Z_EN: 0
; COMPUTE_PGM_RSRC2:TIDIG_COMP_CNT: 0
; COMPUTE_PGM_RSRC3_GFX90A:ACCUM_OFFSET: 0
; COMPUTE_PGM_RSRC3_GFX90A:TG_SPLIT: 0
	.section	.text._ZN7rocprim17ROCPRIM_400000_NS6detail17trampoline_kernelINS0_14default_configENS1_22reduce_config_selectorIN6thrust23THRUST_200600_302600_NS5tupleIblNS6_9null_typeES8_S8_S8_S8_S8_S8_S8_EEEEZNS1_11reduce_implILb1ES3_NS6_12zip_iteratorINS7_INS6_11hip_rocprim26transform_input_iterator_tIbPaNS6_6detail10functional5actorINSH_9compositeIJNSH_27transparent_binary_operatorINS6_8equal_toIvEEEENSI_INSH_8argumentILj0EEEEENSH_5valueIaEEEEEEEEENSD_19counting_iterator_tIlEES8_S8_S8_S8_S8_S8_S8_S8_EEEEPS9_S9_NSD_9__find_if7functorIS9_EEEE10hipError_tPvRmT1_T2_T3_mT4_P12ihipStream_tbEUlT_E0_NS1_11comp_targetILNS1_3genE8ELNS1_11target_archE1030ELNS1_3gpuE2ELNS1_3repE0EEENS1_30default_config_static_selectorELNS0_4arch9wavefront6targetE1EEEvS17_,"axG",@progbits,_ZN7rocprim17ROCPRIM_400000_NS6detail17trampoline_kernelINS0_14default_configENS1_22reduce_config_selectorIN6thrust23THRUST_200600_302600_NS5tupleIblNS6_9null_typeES8_S8_S8_S8_S8_S8_S8_EEEEZNS1_11reduce_implILb1ES3_NS6_12zip_iteratorINS7_INS6_11hip_rocprim26transform_input_iterator_tIbPaNS6_6detail10functional5actorINSH_9compositeIJNSH_27transparent_binary_operatorINS6_8equal_toIvEEEENSI_INSH_8argumentILj0EEEEENSH_5valueIaEEEEEEEEENSD_19counting_iterator_tIlEES8_S8_S8_S8_S8_S8_S8_S8_EEEEPS9_S9_NSD_9__find_if7functorIS9_EEEE10hipError_tPvRmT1_T2_T3_mT4_P12ihipStream_tbEUlT_E0_NS1_11comp_targetILNS1_3genE8ELNS1_11target_archE1030ELNS1_3gpuE2ELNS1_3repE0EEENS1_30default_config_static_selectorELNS0_4arch9wavefront6targetE1EEEvS17_,comdat
	.protected	_ZN7rocprim17ROCPRIM_400000_NS6detail17trampoline_kernelINS0_14default_configENS1_22reduce_config_selectorIN6thrust23THRUST_200600_302600_NS5tupleIblNS6_9null_typeES8_S8_S8_S8_S8_S8_S8_EEEEZNS1_11reduce_implILb1ES3_NS6_12zip_iteratorINS7_INS6_11hip_rocprim26transform_input_iterator_tIbPaNS6_6detail10functional5actorINSH_9compositeIJNSH_27transparent_binary_operatorINS6_8equal_toIvEEEENSI_INSH_8argumentILj0EEEEENSH_5valueIaEEEEEEEEENSD_19counting_iterator_tIlEES8_S8_S8_S8_S8_S8_S8_S8_EEEEPS9_S9_NSD_9__find_if7functorIS9_EEEE10hipError_tPvRmT1_T2_T3_mT4_P12ihipStream_tbEUlT_E0_NS1_11comp_targetILNS1_3genE8ELNS1_11target_archE1030ELNS1_3gpuE2ELNS1_3repE0EEENS1_30default_config_static_selectorELNS0_4arch9wavefront6targetE1EEEvS17_ ; -- Begin function _ZN7rocprim17ROCPRIM_400000_NS6detail17trampoline_kernelINS0_14default_configENS1_22reduce_config_selectorIN6thrust23THRUST_200600_302600_NS5tupleIblNS6_9null_typeES8_S8_S8_S8_S8_S8_S8_EEEEZNS1_11reduce_implILb1ES3_NS6_12zip_iteratorINS7_INS6_11hip_rocprim26transform_input_iterator_tIbPaNS6_6detail10functional5actorINSH_9compositeIJNSH_27transparent_binary_operatorINS6_8equal_toIvEEEENSI_INSH_8argumentILj0EEEEENSH_5valueIaEEEEEEEEENSD_19counting_iterator_tIlEES8_S8_S8_S8_S8_S8_S8_S8_EEEEPS9_S9_NSD_9__find_if7functorIS9_EEEE10hipError_tPvRmT1_T2_T3_mT4_P12ihipStream_tbEUlT_E0_NS1_11comp_targetILNS1_3genE8ELNS1_11target_archE1030ELNS1_3gpuE2ELNS1_3repE0EEENS1_30default_config_static_selectorELNS0_4arch9wavefront6targetE1EEEvS17_
	.globl	_ZN7rocprim17ROCPRIM_400000_NS6detail17trampoline_kernelINS0_14default_configENS1_22reduce_config_selectorIN6thrust23THRUST_200600_302600_NS5tupleIblNS6_9null_typeES8_S8_S8_S8_S8_S8_S8_EEEEZNS1_11reduce_implILb1ES3_NS6_12zip_iteratorINS7_INS6_11hip_rocprim26transform_input_iterator_tIbPaNS6_6detail10functional5actorINSH_9compositeIJNSH_27transparent_binary_operatorINS6_8equal_toIvEEEENSI_INSH_8argumentILj0EEEEENSH_5valueIaEEEEEEEEENSD_19counting_iterator_tIlEES8_S8_S8_S8_S8_S8_S8_S8_EEEEPS9_S9_NSD_9__find_if7functorIS9_EEEE10hipError_tPvRmT1_T2_T3_mT4_P12ihipStream_tbEUlT_E0_NS1_11comp_targetILNS1_3genE8ELNS1_11target_archE1030ELNS1_3gpuE2ELNS1_3repE0EEENS1_30default_config_static_selectorELNS0_4arch9wavefront6targetE1EEEvS17_
	.p2align	8
	.type	_ZN7rocprim17ROCPRIM_400000_NS6detail17trampoline_kernelINS0_14default_configENS1_22reduce_config_selectorIN6thrust23THRUST_200600_302600_NS5tupleIblNS6_9null_typeES8_S8_S8_S8_S8_S8_S8_EEEEZNS1_11reduce_implILb1ES3_NS6_12zip_iteratorINS7_INS6_11hip_rocprim26transform_input_iterator_tIbPaNS6_6detail10functional5actorINSH_9compositeIJNSH_27transparent_binary_operatorINS6_8equal_toIvEEEENSI_INSH_8argumentILj0EEEEENSH_5valueIaEEEEEEEEENSD_19counting_iterator_tIlEES8_S8_S8_S8_S8_S8_S8_S8_EEEEPS9_S9_NSD_9__find_if7functorIS9_EEEE10hipError_tPvRmT1_T2_T3_mT4_P12ihipStream_tbEUlT_E0_NS1_11comp_targetILNS1_3genE8ELNS1_11target_archE1030ELNS1_3gpuE2ELNS1_3repE0EEENS1_30default_config_static_selectorELNS0_4arch9wavefront6targetE1EEEvS17_,@function
_ZN7rocprim17ROCPRIM_400000_NS6detail17trampoline_kernelINS0_14default_configENS1_22reduce_config_selectorIN6thrust23THRUST_200600_302600_NS5tupleIblNS6_9null_typeES8_S8_S8_S8_S8_S8_S8_EEEEZNS1_11reduce_implILb1ES3_NS6_12zip_iteratorINS7_INS6_11hip_rocprim26transform_input_iterator_tIbPaNS6_6detail10functional5actorINSH_9compositeIJNSH_27transparent_binary_operatorINS6_8equal_toIvEEEENSI_INSH_8argumentILj0EEEEENSH_5valueIaEEEEEEEEENSD_19counting_iterator_tIlEES8_S8_S8_S8_S8_S8_S8_S8_EEEEPS9_S9_NSD_9__find_if7functorIS9_EEEE10hipError_tPvRmT1_T2_T3_mT4_P12ihipStream_tbEUlT_E0_NS1_11comp_targetILNS1_3genE8ELNS1_11target_archE1030ELNS1_3gpuE2ELNS1_3repE0EEENS1_30default_config_static_selectorELNS0_4arch9wavefront6targetE1EEEvS17_: ; @_ZN7rocprim17ROCPRIM_400000_NS6detail17trampoline_kernelINS0_14default_configENS1_22reduce_config_selectorIN6thrust23THRUST_200600_302600_NS5tupleIblNS6_9null_typeES8_S8_S8_S8_S8_S8_S8_EEEEZNS1_11reduce_implILb1ES3_NS6_12zip_iteratorINS7_INS6_11hip_rocprim26transform_input_iterator_tIbPaNS6_6detail10functional5actorINSH_9compositeIJNSH_27transparent_binary_operatorINS6_8equal_toIvEEEENSI_INSH_8argumentILj0EEEEENSH_5valueIaEEEEEEEEENSD_19counting_iterator_tIlEES8_S8_S8_S8_S8_S8_S8_S8_EEEEPS9_S9_NSD_9__find_if7functorIS9_EEEE10hipError_tPvRmT1_T2_T3_mT4_P12ihipStream_tbEUlT_E0_NS1_11comp_targetILNS1_3genE8ELNS1_11target_archE1030ELNS1_3gpuE2ELNS1_3repE0EEENS1_30default_config_static_selectorELNS0_4arch9wavefront6targetE1EEEvS17_
; %bb.0:
	.section	.rodata,"a",@progbits
	.p2align	6, 0x0
	.amdhsa_kernel _ZN7rocprim17ROCPRIM_400000_NS6detail17trampoline_kernelINS0_14default_configENS1_22reduce_config_selectorIN6thrust23THRUST_200600_302600_NS5tupleIblNS6_9null_typeES8_S8_S8_S8_S8_S8_S8_EEEEZNS1_11reduce_implILb1ES3_NS6_12zip_iteratorINS7_INS6_11hip_rocprim26transform_input_iterator_tIbPaNS6_6detail10functional5actorINSH_9compositeIJNSH_27transparent_binary_operatorINS6_8equal_toIvEEEENSI_INSH_8argumentILj0EEEEENSH_5valueIaEEEEEEEEENSD_19counting_iterator_tIlEES8_S8_S8_S8_S8_S8_S8_S8_EEEEPS9_S9_NSD_9__find_if7functorIS9_EEEE10hipError_tPvRmT1_T2_T3_mT4_P12ihipStream_tbEUlT_E0_NS1_11comp_targetILNS1_3genE8ELNS1_11target_archE1030ELNS1_3gpuE2ELNS1_3repE0EEENS1_30default_config_static_selectorELNS0_4arch9wavefront6targetE1EEEvS17_
		.amdhsa_group_segment_fixed_size 0
		.amdhsa_private_segment_fixed_size 0
		.amdhsa_kernarg_size 88
		.amdhsa_user_sgpr_count 6
		.amdhsa_user_sgpr_private_segment_buffer 1
		.amdhsa_user_sgpr_dispatch_ptr 0
		.amdhsa_user_sgpr_queue_ptr 0
		.amdhsa_user_sgpr_kernarg_segment_ptr 1
		.amdhsa_user_sgpr_dispatch_id 0
		.amdhsa_user_sgpr_flat_scratch_init 0
		.amdhsa_user_sgpr_kernarg_preload_length 0
		.amdhsa_user_sgpr_kernarg_preload_offset 0
		.amdhsa_user_sgpr_private_segment_size 0
		.amdhsa_uses_dynamic_stack 0
		.amdhsa_system_sgpr_private_segment_wavefront_offset 0
		.amdhsa_system_sgpr_workgroup_id_x 1
		.amdhsa_system_sgpr_workgroup_id_y 0
		.amdhsa_system_sgpr_workgroup_id_z 0
		.amdhsa_system_sgpr_workgroup_info 0
		.amdhsa_system_vgpr_workitem_id 0
		.amdhsa_next_free_vgpr 1
		.amdhsa_next_free_sgpr 0
		.amdhsa_accum_offset 4
		.amdhsa_reserve_vcc 0
		.amdhsa_reserve_flat_scratch 0
		.amdhsa_float_round_mode_32 0
		.amdhsa_float_round_mode_16_64 0
		.amdhsa_float_denorm_mode_32 3
		.amdhsa_float_denorm_mode_16_64 3
		.amdhsa_dx10_clamp 1
		.amdhsa_ieee_mode 1
		.amdhsa_fp16_overflow 0
		.amdhsa_tg_split 0
		.amdhsa_exception_fp_ieee_invalid_op 0
		.amdhsa_exception_fp_denorm_src 0
		.amdhsa_exception_fp_ieee_div_zero 0
		.amdhsa_exception_fp_ieee_overflow 0
		.amdhsa_exception_fp_ieee_underflow 0
		.amdhsa_exception_fp_ieee_inexact 0
		.amdhsa_exception_int_div_zero 0
	.end_amdhsa_kernel
	.section	.text._ZN7rocprim17ROCPRIM_400000_NS6detail17trampoline_kernelINS0_14default_configENS1_22reduce_config_selectorIN6thrust23THRUST_200600_302600_NS5tupleIblNS6_9null_typeES8_S8_S8_S8_S8_S8_S8_EEEEZNS1_11reduce_implILb1ES3_NS6_12zip_iteratorINS7_INS6_11hip_rocprim26transform_input_iterator_tIbPaNS6_6detail10functional5actorINSH_9compositeIJNSH_27transparent_binary_operatorINS6_8equal_toIvEEEENSI_INSH_8argumentILj0EEEEENSH_5valueIaEEEEEEEEENSD_19counting_iterator_tIlEES8_S8_S8_S8_S8_S8_S8_S8_EEEEPS9_S9_NSD_9__find_if7functorIS9_EEEE10hipError_tPvRmT1_T2_T3_mT4_P12ihipStream_tbEUlT_E0_NS1_11comp_targetILNS1_3genE8ELNS1_11target_archE1030ELNS1_3gpuE2ELNS1_3repE0EEENS1_30default_config_static_selectorELNS0_4arch9wavefront6targetE1EEEvS17_,"axG",@progbits,_ZN7rocprim17ROCPRIM_400000_NS6detail17trampoline_kernelINS0_14default_configENS1_22reduce_config_selectorIN6thrust23THRUST_200600_302600_NS5tupleIblNS6_9null_typeES8_S8_S8_S8_S8_S8_S8_EEEEZNS1_11reduce_implILb1ES3_NS6_12zip_iteratorINS7_INS6_11hip_rocprim26transform_input_iterator_tIbPaNS6_6detail10functional5actorINSH_9compositeIJNSH_27transparent_binary_operatorINS6_8equal_toIvEEEENSI_INSH_8argumentILj0EEEEENSH_5valueIaEEEEEEEEENSD_19counting_iterator_tIlEES8_S8_S8_S8_S8_S8_S8_S8_EEEEPS9_S9_NSD_9__find_if7functorIS9_EEEE10hipError_tPvRmT1_T2_T3_mT4_P12ihipStream_tbEUlT_E0_NS1_11comp_targetILNS1_3genE8ELNS1_11target_archE1030ELNS1_3gpuE2ELNS1_3repE0EEENS1_30default_config_static_selectorELNS0_4arch9wavefront6targetE1EEEvS17_,comdat
.Lfunc_end716:
	.size	_ZN7rocprim17ROCPRIM_400000_NS6detail17trampoline_kernelINS0_14default_configENS1_22reduce_config_selectorIN6thrust23THRUST_200600_302600_NS5tupleIblNS6_9null_typeES8_S8_S8_S8_S8_S8_S8_EEEEZNS1_11reduce_implILb1ES3_NS6_12zip_iteratorINS7_INS6_11hip_rocprim26transform_input_iterator_tIbPaNS6_6detail10functional5actorINSH_9compositeIJNSH_27transparent_binary_operatorINS6_8equal_toIvEEEENSI_INSH_8argumentILj0EEEEENSH_5valueIaEEEEEEEEENSD_19counting_iterator_tIlEES8_S8_S8_S8_S8_S8_S8_S8_EEEEPS9_S9_NSD_9__find_if7functorIS9_EEEE10hipError_tPvRmT1_T2_T3_mT4_P12ihipStream_tbEUlT_E0_NS1_11comp_targetILNS1_3genE8ELNS1_11target_archE1030ELNS1_3gpuE2ELNS1_3repE0EEENS1_30default_config_static_selectorELNS0_4arch9wavefront6targetE1EEEvS17_, .Lfunc_end716-_ZN7rocprim17ROCPRIM_400000_NS6detail17trampoline_kernelINS0_14default_configENS1_22reduce_config_selectorIN6thrust23THRUST_200600_302600_NS5tupleIblNS6_9null_typeES8_S8_S8_S8_S8_S8_S8_EEEEZNS1_11reduce_implILb1ES3_NS6_12zip_iteratorINS7_INS6_11hip_rocprim26transform_input_iterator_tIbPaNS6_6detail10functional5actorINSH_9compositeIJNSH_27transparent_binary_operatorINS6_8equal_toIvEEEENSI_INSH_8argumentILj0EEEEENSH_5valueIaEEEEEEEEENSD_19counting_iterator_tIlEES8_S8_S8_S8_S8_S8_S8_S8_EEEEPS9_S9_NSD_9__find_if7functorIS9_EEEE10hipError_tPvRmT1_T2_T3_mT4_P12ihipStream_tbEUlT_E0_NS1_11comp_targetILNS1_3genE8ELNS1_11target_archE1030ELNS1_3gpuE2ELNS1_3repE0EEENS1_30default_config_static_selectorELNS0_4arch9wavefront6targetE1EEEvS17_
                                        ; -- End function
	.section	.AMDGPU.csdata,"",@progbits
; Kernel info:
; codeLenInByte = 0
; NumSgprs: 4
; NumVgprs: 0
; NumAgprs: 0
; TotalNumVgprs: 0
; ScratchSize: 0
; MemoryBound: 0
; FloatMode: 240
; IeeeMode: 1
; LDSByteSize: 0 bytes/workgroup (compile time only)
; SGPRBlocks: 0
; VGPRBlocks: 0
; NumSGPRsForWavesPerEU: 4
; NumVGPRsForWavesPerEU: 1
; AccumOffset: 4
; Occupancy: 8
; WaveLimiterHint : 0
; COMPUTE_PGM_RSRC2:SCRATCH_EN: 0
; COMPUTE_PGM_RSRC2:USER_SGPR: 6
; COMPUTE_PGM_RSRC2:TRAP_HANDLER: 0
; COMPUTE_PGM_RSRC2:TGID_X_EN: 1
; COMPUTE_PGM_RSRC2:TGID_Y_EN: 0
; COMPUTE_PGM_RSRC2:TGID_Z_EN: 0
; COMPUTE_PGM_RSRC2:TIDIG_COMP_CNT: 0
; COMPUTE_PGM_RSRC3_GFX90A:ACCUM_OFFSET: 0
; COMPUTE_PGM_RSRC3_GFX90A:TG_SPLIT: 0
	.section	.text._ZN7rocprim17ROCPRIM_400000_NS6detail17trampoline_kernelINS0_14default_configENS1_22reduce_config_selectorIN6thrust23THRUST_200600_302600_NS5tupleIblNS6_9null_typeES8_S8_S8_S8_S8_S8_S8_EEEEZNS1_11reduce_implILb1ES3_NS6_12zip_iteratorINS7_INS6_11hip_rocprim26transform_input_iterator_tIbPaNS6_6detail10functional5actorINSH_9compositeIJNSH_27transparent_binary_operatorINS6_8equal_toIvEEEENSI_INSH_8argumentILj0EEEEENSH_5valueIaEEEEEEEEENSD_19counting_iterator_tIlEES8_S8_S8_S8_S8_S8_S8_S8_EEEEPS9_S9_NSD_9__find_if7functorIS9_EEEE10hipError_tPvRmT1_T2_T3_mT4_P12ihipStream_tbEUlT_E1_NS1_11comp_targetILNS1_3genE0ELNS1_11target_archE4294967295ELNS1_3gpuE0ELNS1_3repE0EEENS1_30default_config_static_selectorELNS0_4arch9wavefront6targetE1EEEvS17_,"axG",@progbits,_ZN7rocprim17ROCPRIM_400000_NS6detail17trampoline_kernelINS0_14default_configENS1_22reduce_config_selectorIN6thrust23THRUST_200600_302600_NS5tupleIblNS6_9null_typeES8_S8_S8_S8_S8_S8_S8_EEEEZNS1_11reduce_implILb1ES3_NS6_12zip_iteratorINS7_INS6_11hip_rocprim26transform_input_iterator_tIbPaNS6_6detail10functional5actorINSH_9compositeIJNSH_27transparent_binary_operatorINS6_8equal_toIvEEEENSI_INSH_8argumentILj0EEEEENSH_5valueIaEEEEEEEEENSD_19counting_iterator_tIlEES8_S8_S8_S8_S8_S8_S8_S8_EEEEPS9_S9_NSD_9__find_if7functorIS9_EEEE10hipError_tPvRmT1_T2_T3_mT4_P12ihipStream_tbEUlT_E1_NS1_11comp_targetILNS1_3genE0ELNS1_11target_archE4294967295ELNS1_3gpuE0ELNS1_3repE0EEENS1_30default_config_static_selectorELNS0_4arch9wavefront6targetE1EEEvS17_,comdat
	.protected	_ZN7rocprim17ROCPRIM_400000_NS6detail17trampoline_kernelINS0_14default_configENS1_22reduce_config_selectorIN6thrust23THRUST_200600_302600_NS5tupleIblNS6_9null_typeES8_S8_S8_S8_S8_S8_S8_EEEEZNS1_11reduce_implILb1ES3_NS6_12zip_iteratorINS7_INS6_11hip_rocprim26transform_input_iterator_tIbPaNS6_6detail10functional5actorINSH_9compositeIJNSH_27transparent_binary_operatorINS6_8equal_toIvEEEENSI_INSH_8argumentILj0EEEEENSH_5valueIaEEEEEEEEENSD_19counting_iterator_tIlEES8_S8_S8_S8_S8_S8_S8_S8_EEEEPS9_S9_NSD_9__find_if7functorIS9_EEEE10hipError_tPvRmT1_T2_T3_mT4_P12ihipStream_tbEUlT_E1_NS1_11comp_targetILNS1_3genE0ELNS1_11target_archE4294967295ELNS1_3gpuE0ELNS1_3repE0EEENS1_30default_config_static_selectorELNS0_4arch9wavefront6targetE1EEEvS17_ ; -- Begin function _ZN7rocprim17ROCPRIM_400000_NS6detail17trampoline_kernelINS0_14default_configENS1_22reduce_config_selectorIN6thrust23THRUST_200600_302600_NS5tupleIblNS6_9null_typeES8_S8_S8_S8_S8_S8_S8_EEEEZNS1_11reduce_implILb1ES3_NS6_12zip_iteratorINS7_INS6_11hip_rocprim26transform_input_iterator_tIbPaNS6_6detail10functional5actorINSH_9compositeIJNSH_27transparent_binary_operatorINS6_8equal_toIvEEEENSI_INSH_8argumentILj0EEEEENSH_5valueIaEEEEEEEEENSD_19counting_iterator_tIlEES8_S8_S8_S8_S8_S8_S8_S8_EEEEPS9_S9_NSD_9__find_if7functorIS9_EEEE10hipError_tPvRmT1_T2_T3_mT4_P12ihipStream_tbEUlT_E1_NS1_11comp_targetILNS1_3genE0ELNS1_11target_archE4294967295ELNS1_3gpuE0ELNS1_3repE0EEENS1_30default_config_static_selectorELNS0_4arch9wavefront6targetE1EEEvS17_
	.globl	_ZN7rocprim17ROCPRIM_400000_NS6detail17trampoline_kernelINS0_14default_configENS1_22reduce_config_selectorIN6thrust23THRUST_200600_302600_NS5tupleIblNS6_9null_typeES8_S8_S8_S8_S8_S8_S8_EEEEZNS1_11reduce_implILb1ES3_NS6_12zip_iteratorINS7_INS6_11hip_rocprim26transform_input_iterator_tIbPaNS6_6detail10functional5actorINSH_9compositeIJNSH_27transparent_binary_operatorINS6_8equal_toIvEEEENSI_INSH_8argumentILj0EEEEENSH_5valueIaEEEEEEEEENSD_19counting_iterator_tIlEES8_S8_S8_S8_S8_S8_S8_S8_EEEEPS9_S9_NSD_9__find_if7functorIS9_EEEE10hipError_tPvRmT1_T2_T3_mT4_P12ihipStream_tbEUlT_E1_NS1_11comp_targetILNS1_3genE0ELNS1_11target_archE4294967295ELNS1_3gpuE0ELNS1_3repE0EEENS1_30default_config_static_selectorELNS0_4arch9wavefront6targetE1EEEvS17_
	.p2align	8
	.type	_ZN7rocprim17ROCPRIM_400000_NS6detail17trampoline_kernelINS0_14default_configENS1_22reduce_config_selectorIN6thrust23THRUST_200600_302600_NS5tupleIblNS6_9null_typeES8_S8_S8_S8_S8_S8_S8_EEEEZNS1_11reduce_implILb1ES3_NS6_12zip_iteratorINS7_INS6_11hip_rocprim26transform_input_iterator_tIbPaNS6_6detail10functional5actorINSH_9compositeIJNSH_27transparent_binary_operatorINS6_8equal_toIvEEEENSI_INSH_8argumentILj0EEEEENSH_5valueIaEEEEEEEEENSD_19counting_iterator_tIlEES8_S8_S8_S8_S8_S8_S8_S8_EEEEPS9_S9_NSD_9__find_if7functorIS9_EEEE10hipError_tPvRmT1_T2_T3_mT4_P12ihipStream_tbEUlT_E1_NS1_11comp_targetILNS1_3genE0ELNS1_11target_archE4294967295ELNS1_3gpuE0ELNS1_3repE0EEENS1_30default_config_static_selectorELNS0_4arch9wavefront6targetE1EEEvS17_,@function
_ZN7rocprim17ROCPRIM_400000_NS6detail17trampoline_kernelINS0_14default_configENS1_22reduce_config_selectorIN6thrust23THRUST_200600_302600_NS5tupleIblNS6_9null_typeES8_S8_S8_S8_S8_S8_S8_EEEEZNS1_11reduce_implILb1ES3_NS6_12zip_iteratorINS7_INS6_11hip_rocprim26transform_input_iterator_tIbPaNS6_6detail10functional5actorINSH_9compositeIJNSH_27transparent_binary_operatorINS6_8equal_toIvEEEENSI_INSH_8argumentILj0EEEEENSH_5valueIaEEEEEEEEENSD_19counting_iterator_tIlEES8_S8_S8_S8_S8_S8_S8_S8_EEEEPS9_S9_NSD_9__find_if7functorIS9_EEEE10hipError_tPvRmT1_T2_T3_mT4_P12ihipStream_tbEUlT_E1_NS1_11comp_targetILNS1_3genE0ELNS1_11target_archE4294967295ELNS1_3gpuE0ELNS1_3repE0EEENS1_30default_config_static_selectorELNS0_4arch9wavefront6targetE1EEEvS17_: ; @_ZN7rocprim17ROCPRIM_400000_NS6detail17trampoline_kernelINS0_14default_configENS1_22reduce_config_selectorIN6thrust23THRUST_200600_302600_NS5tupleIblNS6_9null_typeES8_S8_S8_S8_S8_S8_S8_EEEEZNS1_11reduce_implILb1ES3_NS6_12zip_iteratorINS7_INS6_11hip_rocprim26transform_input_iterator_tIbPaNS6_6detail10functional5actorINSH_9compositeIJNSH_27transparent_binary_operatorINS6_8equal_toIvEEEENSI_INSH_8argumentILj0EEEEENSH_5valueIaEEEEEEEEENSD_19counting_iterator_tIlEES8_S8_S8_S8_S8_S8_S8_S8_EEEEPS9_S9_NSD_9__find_if7functorIS9_EEEE10hipError_tPvRmT1_T2_T3_mT4_P12ihipStream_tbEUlT_E1_NS1_11comp_targetILNS1_3genE0ELNS1_11target_archE4294967295ELNS1_3gpuE0ELNS1_3repE0EEENS1_30default_config_static_selectorELNS0_4arch9wavefront6targetE1EEEvS17_
; %bb.0:
	.section	.rodata,"a",@progbits
	.p2align	6, 0x0
	.amdhsa_kernel _ZN7rocprim17ROCPRIM_400000_NS6detail17trampoline_kernelINS0_14default_configENS1_22reduce_config_selectorIN6thrust23THRUST_200600_302600_NS5tupleIblNS6_9null_typeES8_S8_S8_S8_S8_S8_S8_EEEEZNS1_11reduce_implILb1ES3_NS6_12zip_iteratorINS7_INS6_11hip_rocprim26transform_input_iterator_tIbPaNS6_6detail10functional5actorINSH_9compositeIJNSH_27transparent_binary_operatorINS6_8equal_toIvEEEENSI_INSH_8argumentILj0EEEEENSH_5valueIaEEEEEEEEENSD_19counting_iterator_tIlEES8_S8_S8_S8_S8_S8_S8_S8_EEEEPS9_S9_NSD_9__find_if7functorIS9_EEEE10hipError_tPvRmT1_T2_T3_mT4_P12ihipStream_tbEUlT_E1_NS1_11comp_targetILNS1_3genE0ELNS1_11target_archE4294967295ELNS1_3gpuE0ELNS1_3repE0EEENS1_30default_config_static_selectorELNS0_4arch9wavefront6targetE1EEEvS17_
		.amdhsa_group_segment_fixed_size 0
		.amdhsa_private_segment_fixed_size 0
		.amdhsa_kernarg_size 72
		.amdhsa_user_sgpr_count 6
		.amdhsa_user_sgpr_private_segment_buffer 1
		.amdhsa_user_sgpr_dispatch_ptr 0
		.amdhsa_user_sgpr_queue_ptr 0
		.amdhsa_user_sgpr_kernarg_segment_ptr 1
		.amdhsa_user_sgpr_dispatch_id 0
		.amdhsa_user_sgpr_flat_scratch_init 0
		.amdhsa_user_sgpr_kernarg_preload_length 0
		.amdhsa_user_sgpr_kernarg_preload_offset 0
		.amdhsa_user_sgpr_private_segment_size 0
		.amdhsa_uses_dynamic_stack 0
		.amdhsa_system_sgpr_private_segment_wavefront_offset 0
		.amdhsa_system_sgpr_workgroup_id_x 1
		.amdhsa_system_sgpr_workgroup_id_y 0
		.amdhsa_system_sgpr_workgroup_id_z 0
		.amdhsa_system_sgpr_workgroup_info 0
		.amdhsa_system_vgpr_workitem_id 0
		.amdhsa_next_free_vgpr 1
		.amdhsa_next_free_sgpr 0
		.amdhsa_accum_offset 4
		.amdhsa_reserve_vcc 0
		.amdhsa_reserve_flat_scratch 0
		.amdhsa_float_round_mode_32 0
		.amdhsa_float_round_mode_16_64 0
		.amdhsa_float_denorm_mode_32 3
		.amdhsa_float_denorm_mode_16_64 3
		.amdhsa_dx10_clamp 1
		.amdhsa_ieee_mode 1
		.amdhsa_fp16_overflow 0
		.amdhsa_tg_split 0
		.amdhsa_exception_fp_ieee_invalid_op 0
		.amdhsa_exception_fp_denorm_src 0
		.amdhsa_exception_fp_ieee_div_zero 0
		.amdhsa_exception_fp_ieee_overflow 0
		.amdhsa_exception_fp_ieee_underflow 0
		.amdhsa_exception_fp_ieee_inexact 0
		.amdhsa_exception_int_div_zero 0
	.end_amdhsa_kernel
	.section	.text._ZN7rocprim17ROCPRIM_400000_NS6detail17trampoline_kernelINS0_14default_configENS1_22reduce_config_selectorIN6thrust23THRUST_200600_302600_NS5tupleIblNS6_9null_typeES8_S8_S8_S8_S8_S8_S8_EEEEZNS1_11reduce_implILb1ES3_NS6_12zip_iteratorINS7_INS6_11hip_rocprim26transform_input_iterator_tIbPaNS6_6detail10functional5actorINSH_9compositeIJNSH_27transparent_binary_operatorINS6_8equal_toIvEEEENSI_INSH_8argumentILj0EEEEENSH_5valueIaEEEEEEEEENSD_19counting_iterator_tIlEES8_S8_S8_S8_S8_S8_S8_S8_EEEEPS9_S9_NSD_9__find_if7functorIS9_EEEE10hipError_tPvRmT1_T2_T3_mT4_P12ihipStream_tbEUlT_E1_NS1_11comp_targetILNS1_3genE0ELNS1_11target_archE4294967295ELNS1_3gpuE0ELNS1_3repE0EEENS1_30default_config_static_selectorELNS0_4arch9wavefront6targetE1EEEvS17_,"axG",@progbits,_ZN7rocprim17ROCPRIM_400000_NS6detail17trampoline_kernelINS0_14default_configENS1_22reduce_config_selectorIN6thrust23THRUST_200600_302600_NS5tupleIblNS6_9null_typeES8_S8_S8_S8_S8_S8_S8_EEEEZNS1_11reduce_implILb1ES3_NS6_12zip_iteratorINS7_INS6_11hip_rocprim26transform_input_iterator_tIbPaNS6_6detail10functional5actorINSH_9compositeIJNSH_27transparent_binary_operatorINS6_8equal_toIvEEEENSI_INSH_8argumentILj0EEEEENSH_5valueIaEEEEEEEEENSD_19counting_iterator_tIlEES8_S8_S8_S8_S8_S8_S8_S8_EEEEPS9_S9_NSD_9__find_if7functorIS9_EEEE10hipError_tPvRmT1_T2_T3_mT4_P12ihipStream_tbEUlT_E1_NS1_11comp_targetILNS1_3genE0ELNS1_11target_archE4294967295ELNS1_3gpuE0ELNS1_3repE0EEENS1_30default_config_static_selectorELNS0_4arch9wavefront6targetE1EEEvS17_,comdat
.Lfunc_end717:
	.size	_ZN7rocprim17ROCPRIM_400000_NS6detail17trampoline_kernelINS0_14default_configENS1_22reduce_config_selectorIN6thrust23THRUST_200600_302600_NS5tupleIblNS6_9null_typeES8_S8_S8_S8_S8_S8_S8_EEEEZNS1_11reduce_implILb1ES3_NS6_12zip_iteratorINS7_INS6_11hip_rocprim26transform_input_iterator_tIbPaNS6_6detail10functional5actorINSH_9compositeIJNSH_27transparent_binary_operatorINS6_8equal_toIvEEEENSI_INSH_8argumentILj0EEEEENSH_5valueIaEEEEEEEEENSD_19counting_iterator_tIlEES8_S8_S8_S8_S8_S8_S8_S8_EEEEPS9_S9_NSD_9__find_if7functorIS9_EEEE10hipError_tPvRmT1_T2_T3_mT4_P12ihipStream_tbEUlT_E1_NS1_11comp_targetILNS1_3genE0ELNS1_11target_archE4294967295ELNS1_3gpuE0ELNS1_3repE0EEENS1_30default_config_static_selectorELNS0_4arch9wavefront6targetE1EEEvS17_, .Lfunc_end717-_ZN7rocprim17ROCPRIM_400000_NS6detail17trampoline_kernelINS0_14default_configENS1_22reduce_config_selectorIN6thrust23THRUST_200600_302600_NS5tupleIblNS6_9null_typeES8_S8_S8_S8_S8_S8_S8_EEEEZNS1_11reduce_implILb1ES3_NS6_12zip_iteratorINS7_INS6_11hip_rocprim26transform_input_iterator_tIbPaNS6_6detail10functional5actorINSH_9compositeIJNSH_27transparent_binary_operatorINS6_8equal_toIvEEEENSI_INSH_8argumentILj0EEEEENSH_5valueIaEEEEEEEEENSD_19counting_iterator_tIlEES8_S8_S8_S8_S8_S8_S8_S8_EEEEPS9_S9_NSD_9__find_if7functorIS9_EEEE10hipError_tPvRmT1_T2_T3_mT4_P12ihipStream_tbEUlT_E1_NS1_11comp_targetILNS1_3genE0ELNS1_11target_archE4294967295ELNS1_3gpuE0ELNS1_3repE0EEENS1_30default_config_static_selectorELNS0_4arch9wavefront6targetE1EEEvS17_
                                        ; -- End function
	.section	.AMDGPU.csdata,"",@progbits
; Kernel info:
; codeLenInByte = 0
; NumSgprs: 4
; NumVgprs: 0
; NumAgprs: 0
; TotalNumVgprs: 0
; ScratchSize: 0
; MemoryBound: 0
; FloatMode: 240
; IeeeMode: 1
; LDSByteSize: 0 bytes/workgroup (compile time only)
; SGPRBlocks: 0
; VGPRBlocks: 0
; NumSGPRsForWavesPerEU: 4
; NumVGPRsForWavesPerEU: 1
; AccumOffset: 4
; Occupancy: 8
; WaveLimiterHint : 0
; COMPUTE_PGM_RSRC2:SCRATCH_EN: 0
; COMPUTE_PGM_RSRC2:USER_SGPR: 6
; COMPUTE_PGM_RSRC2:TRAP_HANDLER: 0
; COMPUTE_PGM_RSRC2:TGID_X_EN: 1
; COMPUTE_PGM_RSRC2:TGID_Y_EN: 0
; COMPUTE_PGM_RSRC2:TGID_Z_EN: 0
; COMPUTE_PGM_RSRC2:TIDIG_COMP_CNT: 0
; COMPUTE_PGM_RSRC3_GFX90A:ACCUM_OFFSET: 0
; COMPUTE_PGM_RSRC3_GFX90A:TG_SPLIT: 0
	.section	.text._ZN7rocprim17ROCPRIM_400000_NS6detail17trampoline_kernelINS0_14default_configENS1_22reduce_config_selectorIN6thrust23THRUST_200600_302600_NS5tupleIblNS6_9null_typeES8_S8_S8_S8_S8_S8_S8_EEEEZNS1_11reduce_implILb1ES3_NS6_12zip_iteratorINS7_INS6_11hip_rocprim26transform_input_iterator_tIbPaNS6_6detail10functional5actorINSH_9compositeIJNSH_27transparent_binary_operatorINS6_8equal_toIvEEEENSI_INSH_8argumentILj0EEEEENSH_5valueIaEEEEEEEEENSD_19counting_iterator_tIlEES8_S8_S8_S8_S8_S8_S8_S8_EEEEPS9_S9_NSD_9__find_if7functorIS9_EEEE10hipError_tPvRmT1_T2_T3_mT4_P12ihipStream_tbEUlT_E1_NS1_11comp_targetILNS1_3genE5ELNS1_11target_archE942ELNS1_3gpuE9ELNS1_3repE0EEENS1_30default_config_static_selectorELNS0_4arch9wavefront6targetE1EEEvS17_,"axG",@progbits,_ZN7rocprim17ROCPRIM_400000_NS6detail17trampoline_kernelINS0_14default_configENS1_22reduce_config_selectorIN6thrust23THRUST_200600_302600_NS5tupleIblNS6_9null_typeES8_S8_S8_S8_S8_S8_S8_EEEEZNS1_11reduce_implILb1ES3_NS6_12zip_iteratorINS7_INS6_11hip_rocprim26transform_input_iterator_tIbPaNS6_6detail10functional5actorINSH_9compositeIJNSH_27transparent_binary_operatorINS6_8equal_toIvEEEENSI_INSH_8argumentILj0EEEEENSH_5valueIaEEEEEEEEENSD_19counting_iterator_tIlEES8_S8_S8_S8_S8_S8_S8_S8_EEEEPS9_S9_NSD_9__find_if7functorIS9_EEEE10hipError_tPvRmT1_T2_T3_mT4_P12ihipStream_tbEUlT_E1_NS1_11comp_targetILNS1_3genE5ELNS1_11target_archE942ELNS1_3gpuE9ELNS1_3repE0EEENS1_30default_config_static_selectorELNS0_4arch9wavefront6targetE1EEEvS17_,comdat
	.protected	_ZN7rocprim17ROCPRIM_400000_NS6detail17trampoline_kernelINS0_14default_configENS1_22reduce_config_selectorIN6thrust23THRUST_200600_302600_NS5tupleIblNS6_9null_typeES8_S8_S8_S8_S8_S8_S8_EEEEZNS1_11reduce_implILb1ES3_NS6_12zip_iteratorINS7_INS6_11hip_rocprim26transform_input_iterator_tIbPaNS6_6detail10functional5actorINSH_9compositeIJNSH_27transparent_binary_operatorINS6_8equal_toIvEEEENSI_INSH_8argumentILj0EEEEENSH_5valueIaEEEEEEEEENSD_19counting_iterator_tIlEES8_S8_S8_S8_S8_S8_S8_S8_EEEEPS9_S9_NSD_9__find_if7functorIS9_EEEE10hipError_tPvRmT1_T2_T3_mT4_P12ihipStream_tbEUlT_E1_NS1_11comp_targetILNS1_3genE5ELNS1_11target_archE942ELNS1_3gpuE9ELNS1_3repE0EEENS1_30default_config_static_selectorELNS0_4arch9wavefront6targetE1EEEvS17_ ; -- Begin function _ZN7rocprim17ROCPRIM_400000_NS6detail17trampoline_kernelINS0_14default_configENS1_22reduce_config_selectorIN6thrust23THRUST_200600_302600_NS5tupleIblNS6_9null_typeES8_S8_S8_S8_S8_S8_S8_EEEEZNS1_11reduce_implILb1ES3_NS6_12zip_iteratorINS7_INS6_11hip_rocprim26transform_input_iterator_tIbPaNS6_6detail10functional5actorINSH_9compositeIJNSH_27transparent_binary_operatorINS6_8equal_toIvEEEENSI_INSH_8argumentILj0EEEEENSH_5valueIaEEEEEEEEENSD_19counting_iterator_tIlEES8_S8_S8_S8_S8_S8_S8_S8_EEEEPS9_S9_NSD_9__find_if7functorIS9_EEEE10hipError_tPvRmT1_T2_T3_mT4_P12ihipStream_tbEUlT_E1_NS1_11comp_targetILNS1_3genE5ELNS1_11target_archE942ELNS1_3gpuE9ELNS1_3repE0EEENS1_30default_config_static_selectorELNS0_4arch9wavefront6targetE1EEEvS17_
	.globl	_ZN7rocprim17ROCPRIM_400000_NS6detail17trampoline_kernelINS0_14default_configENS1_22reduce_config_selectorIN6thrust23THRUST_200600_302600_NS5tupleIblNS6_9null_typeES8_S8_S8_S8_S8_S8_S8_EEEEZNS1_11reduce_implILb1ES3_NS6_12zip_iteratorINS7_INS6_11hip_rocprim26transform_input_iterator_tIbPaNS6_6detail10functional5actorINSH_9compositeIJNSH_27transparent_binary_operatorINS6_8equal_toIvEEEENSI_INSH_8argumentILj0EEEEENSH_5valueIaEEEEEEEEENSD_19counting_iterator_tIlEES8_S8_S8_S8_S8_S8_S8_S8_EEEEPS9_S9_NSD_9__find_if7functorIS9_EEEE10hipError_tPvRmT1_T2_T3_mT4_P12ihipStream_tbEUlT_E1_NS1_11comp_targetILNS1_3genE5ELNS1_11target_archE942ELNS1_3gpuE9ELNS1_3repE0EEENS1_30default_config_static_selectorELNS0_4arch9wavefront6targetE1EEEvS17_
	.p2align	8
	.type	_ZN7rocprim17ROCPRIM_400000_NS6detail17trampoline_kernelINS0_14default_configENS1_22reduce_config_selectorIN6thrust23THRUST_200600_302600_NS5tupleIblNS6_9null_typeES8_S8_S8_S8_S8_S8_S8_EEEEZNS1_11reduce_implILb1ES3_NS6_12zip_iteratorINS7_INS6_11hip_rocprim26transform_input_iterator_tIbPaNS6_6detail10functional5actorINSH_9compositeIJNSH_27transparent_binary_operatorINS6_8equal_toIvEEEENSI_INSH_8argumentILj0EEEEENSH_5valueIaEEEEEEEEENSD_19counting_iterator_tIlEES8_S8_S8_S8_S8_S8_S8_S8_EEEEPS9_S9_NSD_9__find_if7functorIS9_EEEE10hipError_tPvRmT1_T2_T3_mT4_P12ihipStream_tbEUlT_E1_NS1_11comp_targetILNS1_3genE5ELNS1_11target_archE942ELNS1_3gpuE9ELNS1_3repE0EEENS1_30default_config_static_selectorELNS0_4arch9wavefront6targetE1EEEvS17_,@function
_ZN7rocprim17ROCPRIM_400000_NS6detail17trampoline_kernelINS0_14default_configENS1_22reduce_config_selectorIN6thrust23THRUST_200600_302600_NS5tupleIblNS6_9null_typeES8_S8_S8_S8_S8_S8_S8_EEEEZNS1_11reduce_implILb1ES3_NS6_12zip_iteratorINS7_INS6_11hip_rocprim26transform_input_iterator_tIbPaNS6_6detail10functional5actorINSH_9compositeIJNSH_27transparent_binary_operatorINS6_8equal_toIvEEEENSI_INSH_8argumentILj0EEEEENSH_5valueIaEEEEEEEEENSD_19counting_iterator_tIlEES8_S8_S8_S8_S8_S8_S8_S8_EEEEPS9_S9_NSD_9__find_if7functorIS9_EEEE10hipError_tPvRmT1_T2_T3_mT4_P12ihipStream_tbEUlT_E1_NS1_11comp_targetILNS1_3genE5ELNS1_11target_archE942ELNS1_3gpuE9ELNS1_3repE0EEENS1_30default_config_static_selectorELNS0_4arch9wavefront6targetE1EEEvS17_: ; @_ZN7rocprim17ROCPRIM_400000_NS6detail17trampoline_kernelINS0_14default_configENS1_22reduce_config_selectorIN6thrust23THRUST_200600_302600_NS5tupleIblNS6_9null_typeES8_S8_S8_S8_S8_S8_S8_EEEEZNS1_11reduce_implILb1ES3_NS6_12zip_iteratorINS7_INS6_11hip_rocprim26transform_input_iterator_tIbPaNS6_6detail10functional5actorINSH_9compositeIJNSH_27transparent_binary_operatorINS6_8equal_toIvEEEENSI_INSH_8argumentILj0EEEEENSH_5valueIaEEEEEEEEENSD_19counting_iterator_tIlEES8_S8_S8_S8_S8_S8_S8_S8_EEEEPS9_S9_NSD_9__find_if7functorIS9_EEEE10hipError_tPvRmT1_T2_T3_mT4_P12ihipStream_tbEUlT_E1_NS1_11comp_targetILNS1_3genE5ELNS1_11target_archE942ELNS1_3gpuE9ELNS1_3repE0EEENS1_30default_config_static_selectorELNS0_4arch9wavefront6targetE1EEEvS17_
; %bb.0:
	.section	.rodata,"a",@progbits
	.p2align	6, 0x0
	.amdhsa_kernel _ZN7rocprim17ROCPRIM_400000_NS6detail17trampoline_kernelINS0_14default_configENS1_22reduce_config_selectorIN6thrust23THRUST_200600_302600_NS5tupleIblNS6_9null_typeES8_S8_S8_S8_S8_S8_S8_EEEEZNS1_11reduce_implILb1ES3_NS6_12zip_iteratorINS7_INS6_11hip_rocprim26transform_input_iterator_tIbPaNS6_6detail10functional5actorINSH_9compositeIJNSH_27transparent_binary_operatorINS6_8equal_toIvEEEENSI_INSH_8argumentILj0EEEEENSH_5valueIaEEEEEEEEENSD_19counting_iterator_tIlEES8_S8_S8_S8_S8_S8_S8_S8_EEEEPS9_S9_NSD_9__find_if7functorIS9_EEEE10hipError_tPvRmT1_T2_T3_mT4_P12ihipStream_tbEUlT_E1_NS1_11comp_targetILNS1_3genE5ELNS1_11target_archE942ELNS1_3gpuE9ELNS1_3repE0EEENS1_30default_config_static_selectorELNS0_4arch9wavefront6targetE1EEEvS17_
		.amdhsa_group_segment_fixed_size 0
		.amdhsa_private_segment_fixed_size 0
		.amdhsa_kernarg_size 72
		.amdhsa_user_sgpr_count 6
		.amdhsa_user_sgpr_private_segment_buffer 1
		.amdhsa_user_sgpr_dispatch_ptr 0
		.amdhsa_user_sgpr_queue_ptr 0
		.amdhsa_user_sgpr_kernarg_segment_ptr 1
		.amdhsa_user_sgpr_dispatch_id 0
		.amdhsa_user_sgpr_flat_scratch_init 0
		.amdhsa_user_sgpr_kernarg_preload_length 0
		.amdhsa_user_sgpr_kernarg_preload_offset 0
		.amdhsa_user_sgpr_private_segment_size 0
		.amdhsa_uses_dynamic_stack 0
		.amdhsa_system_sgpr_private_segment_wavefront_offset 0
		.amdhsa_system_sgpr_workgroup_id_x 1
		.amdhsa_system_sgpr_workgroup_id_y 0
		.amdhsa_system_sgpr_workgroup_id_z 0
		.amdhsa_system_sgpr_workgroup_info 0
		.amdhsa_system_vgpr_workitem_id 0
		.amdhsa_next_free_vgpr 1
		.amdhsa_next_free_sgpr 0
		.amdhsa_accum_offset 4
		.amdhsa_reserve_vcc 0
		.amdhsa_reserve_flat_scratch 0
		.amdhsa_float_round_mode_32 0
		.amdhsa_float_round_mode_16_64 0
		.amdhsa_float_denorm_mode_32 3
		.amdhsa_float_denorm_mode_16_64 3
		.amdhsa_dx10_clamp 1
		.amdhsa_ieee_mode 1
		.amdhsa_fp16_overflow 0
		.amdhsa_tg_split 0
		.amdhsa_exception_fp_ieee_invalid_op 0
		.amdhsa_exception_fp_denorm_src 0
		.amdhsa_exception_fp_ieee_div_zero 0
		.amdhsa_exception_fp_ieee_overflow 0
		.amdhsa_exception_fp_ieee_underflow 0
		.amdhsa_exception_fp_ieee_inexact 0
		.amdhsa_exception_int_div_zero 0
	.end_amdhsa_kernel
	.section	.text._ZN7rocprim17ROCPRIM_400000_NS6detail17trampoline_kernelINS0_14default_configENS1_22reduce_config_selectorIN6thrust23THRUST_200600_302600_NS5tupleIblNS6_9null_typeES8_S8_S8_S8_S8_S8_S8_EEEEZNS1_11reduce_implILb1ES3_NS6_12zip_iteratorINS7_INS6_11hip_rocprim26transform_input_iterator_tIbPaNS6_6detail10functional5actorINSH_9compositeIJNSH_27transparent_binary_operatorINS6_8equal_toIvEEEENSI_INSH_8argumentILj0EEEEENSH_5valueIaEEEEEEEEENSD_19counting_iterator_tIlEES8_S8_S8_S8_S8_S8_S8_S8_EEEEPS9_S9_NSD_9__find_if7functorIS9_EEEE10hipError_tPvRmT1_T2_T3_mT4_P12ihipStream_tbEUlT_E1_NS1_11comp_targetILNS1_3genE5ELNS1_11target_archE942ELNS1_3gpuE9ELNS1_3repE0EEENS1_30default_config_static_selectorELNS0_4arch9wavefront6targetE1EEEvS17_,"axG",@progbits,_ZN7rocprim17ROCPRIM_400000_NS6detail17trampoline_kernelINS0_14default_configENS1_22reduce_config_selectorIN6thrust23THRUST_200600_302600_NS5tupleIblNS6_9null_typeES8_S8_S8_S8_S8_S8_S8_EEEEZNS1_11reduce_implILb1ES3_NS6_12zip_iteratorINS7_INS6_11hip_rocprim26transform_input_iterator_tIbPaNS6_6detail10functional5actorINSH_9compositeIJNSH_27transparent_binary_operatorINS6_8equal_toIvEEEENSI_INSH_8argumentILj0EEEEENSH_5valueIaEEEEEEEEENSD_19counting_iterator_tIlEES8_S8_S8_S8_S8_S8_S8_S8_EEEEPS9_S9_NSD_9__find_if7functorIS9_EEEE10hipError_tPvRmT1_T2_T3_mT4_P12ihipStream_tbEUlT_E1_NS1_11comp_targetILNS1_3genE5ELNS1_11target_archE942ELNS1_3gpuE9ELNS1_3repE0EEENS1_30default_config_static_selectorELNS0_4arch9wavefront6targetE1EEEvS17_,comdat
.Lfunc_end718:
	.size	_ZN7rocprim17ROCPRIM_400000_NS6detail17trampoline_kernelINS0_14default_configENS1_22reduce_config_selectorIN6thrust23THRUST_200600_302600_NS5tupleIblNS6_9null_typeES8_S8_S8_S8_S8_S8_S8_EEEEZNS1_11reduce_implILb1ES3_NS6_12zip_iteratorINS7_INS6_11hip_rocprim26transform_input_iterator_tIbPaNS6_6detail10functional5actorINSH_9compositeIJNSH_27transparent_binary_operatorINS6_8equal_toIvEEEENSI_INSH_8argumentILj0EEEEENSH_5valueIaEEEEEEEEENSD_19counting_iterator_tIlEES8_S8_S8_S8_S8_S8_S8_S8_EEEEPS9_S9_NSD_9__find_if7functorIS9_EEEE10hipError_tPvRmT1_T2_T3_mT4_P12ihipStream_tbEUlT_E1_NS1_11comp_targetILNS1_3genE5ELNS1_11target_archE942ELNS1_3gpuE9ELNS1_3repE0EEENS1_30default_config_static_selectorELNS0_4arch9wavefront6targetE1EEEvS17_, .Lfunc_end718-_ZN7rocprim17ROCPRIM_400000_NS6detail17trampoline_kernelINS0_14default_configENS1_22reduce_config_selectorIN6thrust23THRUST_200600_302600_NS5tupleIblNS6_9null_typeES8_S8_S8_S8_S8_S8_S8_EEEEZNS1_11reduce_implILb1ES3_NS6_12zip_iteratorINS7_INS6_11hip_rocprim26transform_input_iterator_tIbPaNS6_6detail10functional5actorINSH_9compositeIJNSH_27transparent_binary_operatorINS6_8equal_toIvEEEENSI_INSH_8argumentILj0EEEEENSH_5valueIaEEEEEEEEENSD_19counting_iterator_tIlEES8_S8_S8_S8_S8_S8_S8_S8_EEEEPS9_S9_NSD_9__find_if7functorIS9_EEEE10hipError_tPvRmT1_T2_T3_mT4_P12ihipStream_tbEUlT_E1_NS1_11comp_targetILNS1_3genE5ELNS1_11target_archE942ELNS1_3gpuE9ELNS1_3repE0EEENS1_30default_config_static_selectorELNS0_4arch9wavefront6targetE1EEEvS17_
                                        ; -- End function
	.section	.AMDGPU.csdata,"",@progbits
; Kernel info:
; codeLenInByte = 0
; NumSgprs: 4
; NumVgprs: 0
; NumAgprs: 0
; TotalNumVgprs: 0
; ScratchSize: 0
; MemoryBound: 0
; FloatMode: 240
; IeeeMode: 1
; LDSByteSize: 0 bytes/workgroup (compile time only)
; SGPRBlocks: 0
; VGPRBlocks: 0
; NumSGPRsForWavesPerEU: 4
; NumVGPRsForWavesPerEU: 1
; AccumOffset: 4
; Occupancy: 8
; WaveLimiterHint : 0
; COMPUTE_PGM_RSRC2:SCRATCH_EN: 0
; COMPUTE_PGM_RSRC2:USER_SGPR: 6
; COMPUTE_PGM_RSRC2:TRAP_HANDLER: 0
; COMPUTE_PGM_RSRC2:TGID_X_EN: 1
; COMPUTE_PGM_RSRC2:TGID_Y_EN: 0
; COMPUTE_PGM_RSRC2:TGID_Z_EN: 0
; COMPUTE_PGM_RSRC2:TIDIG_COMP_CNT: 0
; COMPUTE_PGM_RSRC3_GFX90A:ACCUM_OFFSET: 0
; COMPUTE_PGM_RSRC3_GFX90A:TG_SPLIT: 0
	.section	.text._ZN7rocprim17ROCPRIM_400000_NS6detail17trampoline_kernelINS0_14default_configENS1_22reduce_config_selectorIN6thrust23THRUST_200600_302600_NS5tupleIblNS6_9null_typeES8_S8_S8_S8_S8_S8_S8_EEEEZNS1_11reduce_implILb1ES3_NS6_12zip_iteratorINS7_INS6_11hip_rocprim26transform_input_iterator_tIbPaNS6_6detail10functional5actorINSH_9compositeIJNSH_27transparent_binary_operatorINS6_8equal_toIvEEEENSI_INSH_8argumentILj0EEEEENSH_5valueIaEEEEEEEEENSD_19counting_iterator_tIlEES8_S8_S8_S8_S8_S8_S8_S8_EEEEPS9_S9_NSD_9__find_if7functorIS9_EEEE10hipError_tPvRmT1_T2_T3_mT4_P12ihipStream_tbEUlT_E1_NS1_11comp_targetILNS1_3genE4ELNS1_11target_archE910ELNS1_3gpuE8ELNS1_3repE0EEENS1_30default_config_static_selectorELNS0_4arch9wavefront6targetE1EEEvS17_,"axG",@progbits,_ZN7rocprim17ROCPRIM_400000_NS6detail17trampoline_kernelINS0_14default_configENS1_22reduce_config_selectorIN6thrust23THRUST_200600_302600_NS5tupleIblNS6_9null_typeES8_S8_S8_S8_S8_S8_S8_EEEEZNS1_11reduce_implILb1ES3_NS6_12zip_iteratorINS7_INS6_11hip_rocprim26transform_input_iterator_tIbPaNS6_6detail10functional5actorINSH_9compositeIJNSH_27transparent_binary_operatorINS6_8equal_toIvEEEENSI_INSH_8argumentILj0EEEEENSH_5valueIaEEEEEEEEENSD_19counting_iterator_tIlEES8_S8_S8_S8_S8_S8_S8_S8_EEEEPS9_S9_NSD_9__find_if7functorIS9_EEEE10hipError_tPvRmT1_T2_T3_mT4_P12ihipStream_tbEUlT_E1_NS1_11comp_targetILNS1_3genE4ELNS1_11target_archE910ELNS1_3gpuE8ELNS1_3repE0EEENS1_30default_config_static_selectorELNS0_4arch9wavefront6targetE1EEEvS17_,comdat
	.protected	_ZN7rocprim17ROCPRIM_400000_NS6detail17trampoline_kernelINS0_14default_configENS1_22reduce_config_selectorIN6thrust23THRUST_200600_302600_NS5tupleIblNS6_9null_typeES8_S8_S8_S8_S8_S8_S8_EEEEZNS1_11reduce_implILb1ES3_NS6_12zip_iteratorINS7_INS6_11hip_rocprim26transform_input_iterator_tIbPaNS6_6detail10functional5actorINSH_9compositeIJNSH_27transparent_binary_operatorINS6_8equal_toIvEEEENSI_INSH_8argumentILj0EEEEENSH_5valueIaEEEEEEEEENSD_19counting_iterator_tIlEES8_S8_S8_S8_S8_S8_S8_S8_EEEEPS9_S9_NSD_9__find_if7functorIS9_EEEE10hipError_tPvRmT1_T2_T3_mT4_P12ihipStream_tbEUlT_E1_NS1_11comp_targetILNS1_3genE4ELNS1_11target_archE910ELNS1_3gpuE8ELNS1_3repE0EEENS1_30default_config_static_selectorELNS0_4arch9wavefront6targetE1EEEvS17_ ; -- Begin function _ZN7rocprim17ROCPRIM_400000_NS6detail17trampoline_kernelINS0_14default_configENS1_22reduce_config_selectorIN6thrust23THRUST_200600_302600_NS5tupleIblNS6_9null_typeES8_S8_S8_S8_S8_S8_S8_EEEEZNS1_11reduce_implILb1ES3_NS6_12zip_iteratorINS7_INS6_11hip_rocprim26transform_input_iterator_tIbPaNS6_6detail10functional5actorINSH_9compositeIJNSH_27transparent_binary_operatorINS6_8equal_toIvEEEENSI_INSH_8argumentILj0EEEEENSH_5valueIaEEEEEEEEENSD_19counting_iterator_tIlEES8_S8_S8_S8_S8_S8_S8_S8_EEEEPS9_S9_NSD_9__find_if7functorIS9_EEEE10hipError_tPvRmT1_T2_T3_mT4_P12ihipStream_tbEUlT_E1_NS1_11comp_targetILNS1_3genE4ELNS1_11target_archE910ELNS1_3gpuE8ELNS1_3repE0EEENS1_30default_config_static_selectorELNS0_4arch9wavefront6targetE1EEEvS17_
	.globl	_ZN7rocprim17ROCPRIM_400000_NS6detail17trampoline_kernelINS0_14default_configENS1_22reduce_config_selectorIN6thrust23THRUST_200600_302600_NS5tupleIblNS6_9null_typeES8_S8_S8_S8_S8_S8_S8_EEEEZNS1_11reduce_implILb1ES3_NS6_12zip_iteratorINS7_INS6_11hip_rocprim26transform_input_iterator_tIbPaNS6_6detail10functional5actorINSH_9compositeIJNSH_27transparent_binary_operatorINS6_8equal_toIvEEEENSI_INSH_8argumentILj0EEEEENSH_5valueIaEEEEEEEEENSD_19counting_iterator_tIlEES8_S8_S8_S8_S8_S8_S8_S8_EEEEPS9_S9_NSD_9__find_if7functorIS9_EEEE10hipError_tPvRmT1_T2_T3_mT4_P12ihipStream_tbEUlT_E1_NS1_11comp_targetILNS1_3genE4ELNS1_11target_archE910ELNS1_3gpuE8ELNS1_3repE0EEENS1_30default_config_static_selectorELNS0_4arch9wavefront6targetE1EEEvS17_
	.p2align	8
	.type	_ZN7rocprim17ROCPRIM_400000_NS6detail17trampoline_kernelINS0_14default_configENS1_22reduce_config_selectorIN6thrust23THRUST_200600_302600_NS5tupleIblNS6_9null_typeES8_S8_S8_S8_S8_S8_S8_EEEEZNS1_11reduce_implILb1ES3_NS6_12zip_iteratorINS7_INS6_11hip_rocprim26transform_input_iterator_tIbPaNS6_6detail10functional5actorINSH_9compositeIJNSH_27transparent_binary_operatorINS6_8equal_toIvEEEENSI_INSH_8argumentILj0EEEEENSH_5valueIaEEEEEEEEENSD_19counting_iterator_tIlEES8_S8_S8_S8_S8_S8_S8_S8_EEEEPS9_S9_NSD_9__find_if7functorIS9_EEEE10hipError_tPvRmT1_T2_T3_mT4_P12ihipStream_tbEUlT_E1_NS1_11comp_targetILNS1_3genE4ELNS1_11target_archE910ELNS1_3gpuE8ELNS1_3repE0EEENS1_30default_config_static_selectorELNS0_4arch9wavefront6targetE1EEEvS17_,@function
_ZN7rocprim17ROCPRIM_400000_NS6detail17trampoline_kernelINS0_14default_configENS1_22reduce_config_selectorIN6thrust23THRUST_200600_302600_NS5tupleIblNS6_9null_typeES8_S8_S8_S8_S8_S8_S8_EEEEZNS1_11reduce_implILb1ES3_NS6_12zip_iteratorINS7_INS6_11hip_rocprim26transform_input_iterator_tIbPaNS6_6detail10functional5actorINSH_9compositeIJNSH_27transparent_binary_operatorINS6_8equal_toIvEEEENSI_INSH_8argumentILj0EEEEENSH_5valueIaEEEEEEEEENSD_19counting_iterator_tIlEES8_S8_S8_S8_S8_S8_S8_S8_EEEEPS9_S9_NSD_9__find_if7functorIS9_EEEE10hipError_tPvRmT1_T2_T3_mT4_P12ihipStream_tbEUlT_E1_NS1_11comp_targetILNS1_3genE4ELNS1_11target_archE910ELNS1_3gpuE8ELNS1_3repE0EEENS1_30default_config_static_selectorELNS0_4arch9wavefront6targetE1EEEvS17_: ; @_ZN7rocprim17ROCPRIM_400000_NS6detail17trampoline_kernelINS0_14default_configENS1_22reduce_config_selectorIN6thrust23THRUST_200600_302600_NS5tupleIblNS6_9null_typeES8_S8_S8_S8_S8_S8_S8_EEEEZNS1_11reduce_implILb1ES3_NS6_12zip_iteratorINS7_INS6_11hip_rocprim26transform_input_iterator_tIbPaNS6_6detail10functional5actorINSH_9compositeIJNSH_27transparent_binary_operatorINS6_8equal_toIvEEEENSI_INSH_8argumentILj0EEEEENSH_5valueIaEEEEEEEEENSD_19counting_iterator_tIlEES8_S8_S8_S8_S8_S8_S8_S8_EEEEPS9_S9_NSD_9__find_if7functorIS9_EEEE10hipError_tPvRmT1_T2_T3_mT4_P12ihipStream_tbEUlT_E1_NS1_11comp_targetILNS1_3genE4ELNS1_11target_archE910ELNS1_3gpuE8ELNS1_3repE0EEENS1_30default_config_static_selectorELNS0_4arch9wavefront6targetE1EEEvS17_
; %bb.0:
	s_load_dword s33, s[4:5], 0x4
	s_load_dwordx2 s[24:25], s[4:5], 0x8
	s_load_dword s0, s[4:5], 0x10
	s_load_dwordx4 s[20:23], s[4:5], 0x18
	s_load_dword s30, s[4:5], 0x30
	s_load_dwordx2 s[18:19], s[4:5], 0x38
	s_waitcnt lgkmcnt(0)
	s_lshr_b32 s31, s0, 16
	s_cmp_lt_i32 s33, 4
	s_cbranch_scc1 .LBB719_21
; %bb.1:
	s_cmp_gt_i32 s33, 7
	s_cbranch_scc0 .LBB719_22
; %bb.2:
	s_cmp_eq_u32 s33, 8
	s_mov_b64 s[26:27], 0
	s_cbranch_scc0 .LBB719_23
; %bb.3:
	s_lshl_b32 s8, s6, 11
	s_lshr_b64 s[0:1], s[22:23], 11
	s_add_u32 s16, s24, s8
	s_addc_u32 s17, s25, 0
	s_add_u32 s34, s20, s8
	s_mov_b32 s7, 0
	s_addc_u32 s35, s21, 0
	s_cmp_lg_u64 s[0:1], s[6:7]
	s_cbranch_scc0 .LBB719_44
; %bb.4:
	global_load_ubyte v1, v0, s[16:17] offset:512
	global_load_ubyte v2, v0, s[16:17] offset:1024
	global_load_ubyte v3, v0, s[16:17] offset:1536
	global_load_ubyte v4, v0, s[16:17] offset:1792
	global_load_ubyte v5, v0, s[16:17] offset:256
	global_load_ubyte v6, v0, s[16:17] offset:768
	global_load_ubyte v7, v0, s[16:17] offset:1280
	global_load_ubyte v8, v0, s[16:17]
	v_mov_b32_e32 v9, s35
	v_add_co_u32_e32 v17, vcc, s34, v0
	v_addc_co_u32_e32 v9, vcc, 0, v9, vcc
	v_mov_b32_e32 v10, 0x200
	v_mov_b32_e32 v11, 0x100
	v_mov_b32_e32 v12, 0x400
	v_mov_b32_e32 v13, 0x300
	v_mov_b32_e32 v14, 0x600
	v_mov_b32_e32 v15, 0x500
	v_mov_b32_e32 v16, 0x700
	s_waitcnt vmcnt(7)
	v_cmp_eq_u16_sdwa s[10:11], v1, s31 src0_sel:BYTE_0 src1_sel:BYTE_0
	s_waitcnt vmcnt(6)
	v_cmp_eq_u16_sdwa s[12:13], v2, s31 src0_sel:BYTE_0 src1_sel:BYTE_0
	;; [unrolled: 2-line block ×4, first 2 shown]
	s_waitcnt vmcnt(3)
	v_cmp_eq_u16_sdwa vcc, v5, s31 src0_sel:DWORD src1_sel:BYTE_0
	v_cndmask_b32_e32 v1, v10, v11, vcc
	s_waitcnt vmcnt(2)
	v_cmp_eq_u16_sdwa s[0:1], v6, s31 src0_sel:DWORD src1_sel:BYTE_0
	s_waitcnt vmcnt(0)
	v_cmp_eq_u16_sdwa s[36:37], v8, s31 src0_sel:DWORD src1_sel:BYTE_0
	v_cndmask_b32_e64 v1, v1, 0, s[36:37]
	s_or_b64 s[36:37], s[36:37], vcc
	s_or_b64 vcc, s[36:37], s[10:11]
	v_cndmask_b32_e64 v2, v12, v13, s[0:1]
	s_or_b64 s[0:1], vcc, s[0:1]
	v_cmp_eq_u16_sdwa s[2:3], v7, s31 src0_sel:DWORD src1_sel:BYTE_0
	v_cndmask_b32_e32 v1, v2, v1, vcc
	s_or_b64 vcc, s[0:1], s[12:13]
	v_cndmask_b32_e64 v3, v14, v15, s[2:3]
	s_or_b64 s[0:1], vcc, s[2:3]
	v_cndmask_b32_e32 v1, v3, v1, vcc
	s_or_b64 vcc, s[0:1], s[14:15]
	v_cndmask_b32_e32 v1, v16, v1, vcc
	v_add_co_u32_e64 v2, s[0:1], v17, v1
	v_addc_co_u32_e64 v3, s[0:1], 0, v9, s[0:1]
	s_or_b64 s[0:1], vcc, s[28:29]
	v_cndmask_b32_e64 v1, 0, 1, s[0:1]
	v_mov_b32_dpp v4, v2 quad_perm:[1,0,3,2] row_mask:0xf bank_mask:0xf bound_ctrl:1
	v_mov_b32_dpp v5, v3 quad_perm:[1,0,3,2] row_mask:0xf bank_mask:0xf bound_ctrl:1
	;; [unrolled: 1-line block ×3, first 2 shown]
	v_and_b32_e32 v7, 1, v6
	v_cmp_eq_u32_e32 vcc, 1, v7
	s_and_saveexec_b64 s[2:3], vcc
; %bb.5:
	v_cmp_lt_i64_e32 vcc, v[2:3], v[4:5]
	v_cndmask_b32_e64 v6, v6, 1, s[0:1]
	s_and_b64 vcc, s[0:1], vcc
	v_cndmask_b32_e32 v2, v4, v2, vcc
	v_and_b32_e32 v4, 1, v6
	v_cndmask_b32_e32 v3, v5, v3, vcc
	v_cmp_eq_u32_e32 vcc, 1, v4
	s_andn2_b64 s[0:1], s[0:1], exec
	s_and_b64 s[10:11], vcc, exec
	v_and_b32_e32 v1, 0xff, v6
	s_or_b64 s[0:1], s[0:1], s[10:11]
; %bb.6:
	s_or_b64 exec, exec, s[2:3]
	v_mov_b32_dpp v6, v1 quad_perm:[2,3,0,1] row_mask:0xf bank_mask:0xf bound_ctrl:1
	v_and_b32_e32 v7, 1, v6
	v_mov_b32_dpp v4, v2 quad_perm:[2,3,0,1] row_mask:0xf bank_mask:0xf bound_ctrl:1
	v_mov_b32_dpp v5, v3 quad_perm:[2,3,0,1] row_mask:0xf bank_mask:0xf bound_ctrl:1
	v_cmp_eq_u32_e32 vcc, 1, v7
	s_and_saveexec_b64 s[2:3], vcc
; %bb.7:
	v_cmp_lt_i64_e32 vcc, v[2:3], v[4:5]
	v_cndmask_b32_e64 v6, v6, 1, s[0:1]
	s_and_b64 vcc, s[0:1], vcc
	v_cndmask_b32_e32 v2, v4, v2, vcc
	v_and_b32_e32 v4, 1, v6
	v_cndmask_b32_e32 v3, v5, v3, vcc
	v_cmp_eq_u32_e32 vcc, 1, v4
	s_andn2_b64 s[0:1], s[0:1], exec
	s_and_b64 s[10:11], vcc, exec
	v_and_b32_e32 v1, 0xff, v6
	s_or_b64 s[0:1], s[0:1], s[10:11]
; %bb.8:
	s_or_b64 exec, exec, s[2:3]
	v_mov_b32_dpp v6, v1 row_ror:4 row_mask:0xf bank_mask:0xf bound_ctrl:1
	v_and_b32_e32 v7, 1, v6
	v_mov_b32_dpp v4, v2 row_ror:4 row_mask:0xf bank_mask:0xf bound_ctrl:1
	v_mov_b32_dpp v5, v3 row_ror:4 row_mask:0xf bank_mask:0xf bound_ctrl:1
	v_cmp_eq_u32_e32 vcc, 1, v7
	s_and_saveexec_b64 s[2:3], vcc
; %bb.9:
	v_cmp_lt_i64_e32 vcc, v[2:3], v[4:5]
	v_cndmask_b32_e64 v6, v6, 1, s[0:1]
	s_and_b64 vcc, s[0:1], vcc
	v_cndmask_b32_e32 v2, v4, v2, vcc
	v_and_b32_e32 v4, 1, v6
	v_cndmask_b32_e32 v3, v5, v3, vcc
	v_cmp_eq_u32_e32 vcc, 1, v4
	s_andn2_b64 s[0:1], s[0:1], exec
	s_and_b64 s[10:11], vcc, exec
	v_and_b32_e32 v1, 0xff, v6
	s_or_b64 s[0:1], s[0:1], s[10:11]
; %bb.10:
	s_or_b64 exec, exec, s[2:3]
	v_mov_b32_dpp v6, v1 row_ror:8 row_mask:0xf bank_mask:0xf bound_ctrl:1
	v_and_b32_e32 v7, 1, v6
	v_mov_b32_dpp v4, v2 row_ror:8 row_mask:0xf bank_mask:0xf bound_ctrl:1
	v_mov_b32_dpp v5, v3 row_ror:8 row_mask:0xf bank_mask:0xf bound_ctrl:1
	v_cmp_eq_u32_e32 vcc, 1, v7
	s_and_saveexec_b64 s[2:3], vcc
; %bb.11:
	v_cmp_lt_i64_e32 vcc, v[2:3], v[4:5]
	v_cndmask_b32_e64 v6, v6, 1, s[0:1]
	s_and_b64 vcc, s[0:1], vcc
	v_cndmask_b32_e32 v2, v4, v2, vcc
	v_and_b32_e32 v4, 1, v6
	v_cndmask_b32_e32 v3, v5, v3, vcc
	v_cmp_eq_u32_e32 vcc, 1, v4
	s_andn2_b64 s[0:1], s[0:1], exec
	s_and_b64 s[10:11], vcc, exec
	v_and_b32_e32 v1, 0xff, v6
	s_or_b64 s[0:1], s[0:1], s[10:11]
; %bb.12:
	s_or_b64 exec, exec, s[2:3]
	v_mov_b32_dpp v6, v1 row_bcast:15 row_mask:0xf bank_mask:0xf bound_ctrl:1
	v_and_b32_e32 v7, 1, v6
	v_mov_b32_dpp v4, v2 row_bcast:15 row_mask:0xf bank_mask:0xf bound_ctrl:1
	v_mov_b32_dpp v5, v3 row_bcast:15 row_mask:0xf bank_mask:0xf bound_ctrl:1
	v_cmp_eq_u32_e32 vcc, 1, v7
	s_and_saveexec_b64 s[2:3], vcc
; %bb.13:
	v_cmp_lt_i64_e32 vcc, v[2:3], v[4:5]
	v_cndmask_b32_e64 v6, v6, 1, s[0:1]
	s_and_b64 vcc, s[0:1], vcc
	v_cndmask_b32_e32 v2, v4, v2, vcc
	v_and_b32_e32 v4, 1, v6
	v_cndmask_b32_e32 v3, v5, v3, vcc
	v_cmp_eq_u32_e32 vcc, 1, v4
	s_andn2_b64 s[0:1], s[0:1], exec
	s_and_b64 s[10:11], vcc, exec
	v_and_b32_e32 v1, 0xff, v6
	s_or_b64 s[0:1], s[0:1], s[10:11]
; %bb.14:
	s_or_b64 exec, exec, s[2:3]
	v_mov_b32_dpp v6, v1 row_bcast:31 row_mask:0xf bank_mask:0xf bound_ctrl:1
	v_and_b32_e32 v7, 1, v6
	v_mov_b32_dpp v4, v2 row_bcast:31 row_mask:0xf bank_mask:0xf bound_ctrl:1
	v_mov_b32_dpp v5, v3 row_bcast:31 row_mask:0xf bank_mask:0xf bound_ctrl:1
	v_cmp_eq_u32_e32 vcc, 1, v7
	s_and_saveexec_b64 s[2:3], vcc
; %bb.15:
	v_cmp_lt_i64_e32 vcc, v[2:3], v[4:5]
	v_and_b32_e32 v1, 0xff, v6
	s_and_b64 vcc, s[0:1], vcc
	v_cndmask_b32_e32 v2, v4, v2, vcc
	v_cndmask_b32_e32 v3, v5, v3, vcc
	v_cndmask_b32_e64 v1, v1, 1, s[0:1]
; %bb.16:
	s_or_b64 exec, exec, s[2:3]
	v_mbcnt_lo_u32_b32 v4, -1, 0
	v_mbcnt_hi_u32_b32 v4, -1, v4
	v_bfrev_b32_e32 v5, 0.5
	v_lshl_or_b32 v5, v4, 2, v5
	ds_bpermute_b32 v7, v5, v1
	ds_bpermute_b32 v2, v5, v2
	;; [unrolled: 1-line block ×3, first 2 shown]
	v_cmp_eq_u32_e32 vcc, 0, v4
	s_and_saveexec_b64 s[0:1], vcc
	s_cbranch_execz .LBB719_18
; %bb.17:
	v_lshrrev_b32_e32 v1, 2, v0
	v_and_b32_e32 v1, 48, v1
	s_waitcnt lgkmcnt(2)
	ds_write_b8 v1, v7 offset:192
	s_waitcnt lgkmcnt(1)
	ds_write_b64 v1, v[2:3] offset:200
.LBB719_18:
	s_or_b64 exec, exec, s[0:1]
	v_cmp_gt_u32_e32 vcc, 64, v0
	s_waitcnt lgkmcnt(0)
	s_barrier
	s_and_saveexec_b64 s[2:3], vcc
	s_cbranch_execz .LBB719_20
; %bb.19:
	v_and_b32_e32 v1, 3, v4
	v_lshlrev_b32_e32 v2, 4, v1
	ds_read_u8 v5, v2 offset:192
	ds_read_b64 v[2:3], v2 offset:200
	v_cmp_ne_u32_e32 vcc, 3, v1
	v_addc_co_u32_e32 v6, vcc, 0, v4, vcc
	s_waitcnt lgkmcnt(1)
	v_and_b32_e32 v7, 0xff, v5
	v_lshlrev_b32_e32 v8, 2, v6
	ds_bpermute_b32 v9, v8, v7
	s_waitcnt lgkmcnt(1)
	ds_bpermute_b32 v6, v8, v2
	ds_bpermute_b32 v7, v8, v3
	v_and_b32_e32 v8, 1, v5
	s_waitcnt lgkmcnt(2)
	v_and_b32_e32 v10, 1, v9
	v_cmp_eq_u32_e64 s[0:1], 1, v10
	s_waitcnt lgkmcnt(0)
	v_cmp_lt_i64_e32 vcc, v[6:7], v[2:3]
	s_and_b64 vcc, s[0:1], vcc
	v_cndmask_b32_e64 v5, v5, 1, s[0:1]
	v_cndmask_b32_e32 v2, v2, v6, vcc
	v_cndmask_b32_e32 v3, v3, v7, vcc
	v_cmp_eq_u32_e32 vcc, 1, v8
	v_cndmask_b32_e32 v8, v9, v5, vcc
	v_cndmask_b32_e32 v3, v7, v3, vcc
	;; [unrolled: 1-line block ×3, first 2 shown]
	v_cmp_gt_u32_e32 vcc, 2, v1
	v_cndmask_b32_e64 v1, 0, 1, vcc
	v_lshlrev_b32_e32 v1, 1, v1
	v_and_b32_e32 v5, 0xff, v8
	v_add_lshl_u32 v1, v1, v4, 2
	ds_bpermute_b32 v6, v1, v5
	ds_bpermute_b32 v4, v1, v2
	;; [unrolled: 1-line block ×3, first 2 shown]
	v_and_b32_e32 v1, 1, v8
	s_waitcnt lgkmcnt(2)
	v_and_b32_e32 v7, 1, v6
	v_cmp_eq_u32_e64 s[0:1], 1, v7
	s_waitcnt lgkmcnt(0)
	v_cmp_lt_i64_e32 vcc, v[4:5], v[2:3]
	s_and_b64 vcc, s[0:1], vcc
	v_cndmask_b32_e64 v7, v8, 1, s[0:1]
	v_cndmask_b32_e32 v2, v2, v4, vcc
	v_cndmask_b32_e32 v3, v3, v5, vcc
	v_cmp_eq_u32_e32 vcc, 1, v1
	v_cndmask_b32_e32 v1, v6, v7, vcc
	v_cndmask_b32_e32 v3, v5, v3, vcc
	;; [unrolled: 1-line block ×3, first 2 shown]
	v_and_b32_e32 v7, 0xff, v1
.LBB719_20:
	s_or_b64 exec, exec, s[2:3]
	s_branch .LBB719_89
.LBB719_21:
	s_mov_b64 s[10:11], 0
                                        ; implicit-def: $vgpr4_vgpr5
                                        ; implicit-def: $vgpr1
	s_cbranch_execnz .LBB719_133
	s_branch .LBB719_208
.LBB719_22:
	s_mov_b64 s[26:27], -1
.LBB719_23:
	s_mov_b64 s[10:11], 0
                                        ; implicit-def: $vgpr4_vgpr5
                                        ; implicit-def: $vgpr1
	s_and_b64 vcc, exec, s[26:27]
	s_cbranch_vccz .LBB719_94
.LBB719_24:
	s_cmp_eq_u32 s33, 4
	s_cbranch_scc0 .LBB719_43
; %bb.25:
	s_lshl_b32 s12, s6, 10
	s_lshr_b64 s[0:1], s[22:23], 10
	s_add_u32 s8, s24, s12
	s_addc_u32 s9, s25, 0
	s_add_u32 s14, s20, s12
	s_mov_b32 s7, 0
	s_addc_u32 s15, s21, 0
	s_cmp_lg_u64 s[0:1], s[6:7]
	s_cbranch_scc0 .LBB719_95
; %bb.26:
	global_load_ubyte v1, v0, s[8:9] offset:512
	global_load_ubyte v2, v0, s[8:9] offset:768
	;; [unrolled: 1-line block ×3, first 2 shown]
	s_waitcnt lgkmcnt(1)
	global_load_ubyte v4, v0, s[8:9]
	s_waitcnt lgkmcnt(0)
	v_mov_b32_e32 v5, s15
	v_add_co_u32_e32 v9, vcc, s14, v0
	v_addc_co_u32_e32 v5, vcc, 0, v5, vcc
	v_mov_b32_e32 v6, 0x200
	v_mov_b32_e32 v7, 0x100
	;; [unrolled: 1-line block ×3, first 2 shown]
	s_waitcnt vmcnt(3)
	v_cmp_eq_u16_sdwa s[0:1], v1, s31 src0_sel:BYTE_0 src1_sel:BYTE_0
	s_waitcnt vmcnt(2)
	v_cmp_eq_u16_sdwa s[2:3], v2, s31 src0_sel:BYTE_0 src1_sel:BYTE_0
	s_waitcnt vmcnt(1)
	v_cmp_eq_u16_sdwa vcc, v3, s31 src0_sel:DWORD src1_sel:BYTE_0
	v_cndmask_b32_e32 v1, v6, v7, vcc
	s_waitcnt vmcnt(0)
	v_cmp_eq_u16_sdwa s[16:17], v4, s31 src0_sel:DWORD src1_sel:BYTE_0
	v_cndmask_b32_e64 v1, v1, 0, s[16:17]
	s_or_b64 s[16:17], s[16:17], vcc
	s_or_b64 vcc, s[16:17], s[0:1]
	v_cndmask_b32_e32 v1, v8, v1, vcc
	v_add_co_u32_e64 v2, s[0:1], v9, v1
	v_addc_co_u32_e64 v3, s[0:1], 0, v5, s[0:1]
	s_or_b64 s[0:1], vcc, s[2:3]
	v_cndmask_b32_e64 v1, 0, 1, s[0:1]
	v_mov_b32_dpp v4, v2 quad_perm:[1,0,3,2] row_mask:0xf bank_mask:0xf bound_ctrl:1
	v_mov_b32_dpp v5, v3 quad_perm:[1,0,3,2] row_mask:0xf bank_mask:0xf bound_ctrl:1
	;; [unrolled: 1-line block ×3, first 2 shown]
	v_and_b32_e32 v7, 1, v6
	v_cmp_eq_u32_e32 vcc, 1, v7
	s_and_saveexec_b64 s[2:3], vcc
; %bb.27:
	v_cmp_lt_i64_e32 vcc, v[2:3], v[4:5]
	v_cndmask_b32_e64 v6, v6, 1, s[0:1]
	s_and_b64 vcc, s[0:1], vcc
	v_cndmask_b32_e32 v2, v4, v2, vcc
	v_and_b32_e32 v4, 1, v6
	v_cndmask_b32_e32 v3, v5, v3, vcc
	v_cmp_eq_u32_e32 vcc, 1, v4
	s_andn2_b64 s[0:1], s[0:1], exec
	s_and_b64 s[16:17], vcc, exec
	v_and_b32_e32 v1, 0xff, v6
	s_or_b64 s[0:1], s[0:1], s[16:17]
; %bb.28:
	s_or_b64 exec, exec, s[2:3]
	v_mov_b32_dpp v6, v1 quad_perm:[2,3,0,1] row_mask:0xf bank_mask:0xf bound_ctrl:1
	v_and_b32_e32 v7, 1, v6
	v_mov_b32_dpp v4, v2 quad_perm:[2,3,0,1] row_mask:0xf bank_mask:0xf bound_ctrl:1
	v_mov_b32_dpp v5, v3 quad_perm:[2,3,0,1] row_mask:0xf bank_mask:0xf bound_ctrl:1
	v_cmp_eq_u32_e32 vcc, 1, v7
	s_and_saveexec_b64 s[2:3], vcc
; %bb.29:
	v_cmp_lt_i64_e32 vcc, v[2:3], v[4:5]
	v_cndmask_b32_e64 v6, v6, 1, s[0:1]
	s_and_b64 vcc, s[0:1], vcc
	v_cndmask_b32_e32 v2, v4, v2, vcc
	v_and_b32_e32 v4, 1, v6
	v_cndmask_b32_e32 v3, v5, v3, vcc
	v_cmp_eq_u32_e32 vcc, 1, v4
	s_andn2_b64 s[0:1], s[0:1], exec
	s_and_b64 s[16:17], vcc, exec
	v_and_b32_e32 v1, 0xff, v6
	s_or_b64 s[0:1], s[0:1], s[16:17]
; %bb.30:
	s_or_b64 exec, exec, s[2:3]
	v_mov_b32_dpp v6, v1 row_ror:4 row_mask:0xf bank_mask:0xf bound_ctrl:1
	v_and_b32_e32 v7, 1, v6
	v_mov_b32_dpp v4, v2 row_ror:4 row_mask:0xf bank_mask:0xf bound_ctrl:1
	v_mov_b32_dpp v5, v3 row_ror:4 row_mask:0xf bank_mask:0xf bound_ctrl:1
	v_cmp_eq_u32_e32 vcc, 1, v7
	s_and_saveexec_b64 s[2:3], vcc
; %bb.31:
	v_cmp_lt_i64_e32 vcc, v[2:3], v[4:5]
	v_cndmask_b32_e64 v6, v6, 1, s[0:1]
	s_and_b64 vcc, s[0:1], vcc
	v_cndmask_b32_e32 v2, v4, v2, vcc
	v_and_b32_e32 v4, 1, v6
	v_cndmask_b32_e32 v3, v5, v3, vcc
	v_cmp_eq_u32_e32 vcc, 1, v4
	s_andn2_b64 s[0:1], s[0:1], exec
	s_and_b64 s[16:17], vcc, exec
	v_and_b32_e32 v1, 0xff, v6
	s_or_b64 s[0:1], s[0:1], s[16:17]
; %bb.32:
	s_or_b64 exec, exec, s[2:3]
	v_mov_b32_dpp v6, v1 row_ror:8 row_mask:0xf bank_mask:0xf bound_ctrl:1
	v_and_b32_e32 v7, 1, v6
	v_mov_b32_dpp v4, v2 row_ror:8 row_mask:0xf bank_mask:0xf bound_ctrl:1
	v_mov_b32_dpp v5, v3 row_ror:8 row_mask:0xf bank_mask:0xf bound_ctrl:1
	v_cmp_eq_u32_e32 vcc, 1, v7
	s_and_saveexec_b64 s[2:3], vcc
; %bb.33:
	v_cmp_lt_i64_e32 vcc, v[2:3], v[4:5]
	v_cndmask_b32_e64 v6, v6, 1, s[0:1]
	s_and_b64 vcc, s[0:1], vcc
	v_cndmask_b32_e32 v2, v4, v2, vcc
	v_and_b32_e32 v4, 1, v6
	v_cndmask_b32_e32 v3, v5, v3, vcc
	v_cmp_eq_u32_e32 vcc, 1, v4
	s_andn2_b64 s[0:1], s[0:1], exec
	s_and_b64 s[16:17], vcc, exec
	v_and_b32_e32 v1, 0xff, v6
	s_or_b64 s[0:1], s[0:1], s[16:17]
; %bb.34:
	s_or_b64 exec, exec, s[2:3]
	v_mov_b32_dpp v6, v1 row_bcast:15 row_mask:0xf bank_mask:0xf bound_ctrl:1
	v_and_b32_e32 v7, 1, v6
	v_mov_b32_dpp v4, v2 row_bcast:15 row_mask:0xf bank_mask:0xf bound_ctrl:1
	v_mov_b32_dpp v5, v3 row_bcast:15 row_mask:0xf bank_mask:0xf bound_ctrl:1
	v_cmp_eq_u32_e32 vcc, 1, v7
	s_and_saveexec_b64 s[2:3], vcc
; %bb.35:
	v_cmp_lt_i64_e32 vcc, v[2:3], v[4:5]
	v_cndmask_b32_e64 v6, v6, 1, s[0:1]
	s_and_b64 vcc, s[0:1], vcc
	v_cndmask_b32_e32 v2, v4, v2, vcc
	v_and_b32_e32 v4, 1, v6
	v_cndmask_b32_e32 v3, v5, v3, vcc
	v_cmp_eq_u32_e32 vcc, 1, v4
	s_andn2_b64 s[0:1], s[0:1], exec
	s_and_b64 s[16:17], vcc, exec
	v_and_b32_e32 v1, 0xff, v6
	s_or_b64 s[0:1], s[0:1], s[16:17]
; %bb.36:
	s_or_b64 exec, exec, s[2:3]
	v_mov_b32_dpp v6, v1 row_bcast:31 row_mask:0xf bank_mask:0xf bound_ctrl:1
	v_and_b32_e32 v7, 1, v6
	v_mov_b32_dpp v4, v2 row_bcast:31 row_mask:0xf bank_mask:0xf bound_ctrl:1
	v_mov_b32_dpp v5, v3 row_bcast:31 row_mask:0xf bank_mask:0xf bound_ctrl:1
	v_cmp_eq_u32_e32 vcc, 1, v7
	s_and_saveexec_b64 s[2:3], vcc
; %bb.37:
	v_cmp_lt_i64_e32 vcc, v[2:3], v[4:5]
	v_and_b32_e32 v1, 0xff, v6
	s_and_b64 vcc, s[0:1], vcc
	v_cndmask_b32_e32 v2, v4, v2, vcc
	v_cndmask_b32_e32 v3, v5, v3, vcc
	v_cndmask_b32_e64 v1, v1, 1, s[0:1]
; %bb.38:
	s_or_b64 exec, exec, s[2:3]
	v_mbcnt_lo_u32_b32 v4, -1, 0
	v_mbcnt_hi_u32_b32 v4, -1, v4
	v_bfrev_b32_e32 v5, 0.5
	v_lshl_or_b32 v5, v4, 2, v5
	ds_bpermute_b32 v6, v5, v1
	ds_bpermute_b32 v2, v5, v2
	;; [unrolled: 1-line block ×3, first 2 shown]
	v_cmp_eq_u32_e32 vcc, 0, v4
	s_and_saveexec_b64 s[0:1], vcc
	s_cbranch_execz .LBB719_40
; %bb.39:
	v_lshrrev_b32_e32 v1, 2, v0
	v_and_b32_e32 v1, 48, v1
	s_waitcnt lgkmcnt(2)
	ds_write_b8 v1, v6 offset:128
	s_waitcnt lgkmcnt(1)
	ds_write_b64 v1, v[2:3] offset:136
.LBB719_40:
	s_or_b64 exec, exec, s[0:1]
	v_cmp_gt_u32_e32 vcc, 64, v0
	s_waitcnt lgkmcnt(0)
	s_barrier
	s_and_saveexec_b64 s[2:3], vcc
	s_cbranch_execz .LBB719_42
; %bb.41:
	v_and_b32_e32 v1, 3, v4
	v_lshlrev_b32_e32 v2, 4, v1
	ds_read_u8 v5, v2 offset:128
	ds_read_b64 v[2:3], v2 offset:136
	v_cmp_ne_u32_e32 vcc, 3, v1
	v_addc_co_u32_e32 v6, vcc, 0, v4, vcc
	s_waitcnt lgkmcnt(1)
	v_and_b32_e32 v7, 0xff, v5
	v_lshlrev_b32_e32 v8, 2, v6
	ds_bpermute_b32 v9, v8, v7
	s_waitcnt lgkmcnt(1)
	ds_bpermute_b32 v6, v8, v2
	ds_bpermute_b32 v7, v8, v3
	v_and_b32_e32 v8, 1, v5
	s_waitcnt lgkmcnt(2)
	v_and_b32_e32 v10, 1, v9
	v_cmp_eq_u32_e64 s[0:1], 1, v10
	s_waitcnt lgkmcnt(0)
	v_cmp_lt_i64_e32 vcc, v[6:7], v[2:3]
	s_and_b64 vcc, s[0:1], vcc
	v_cndmask_b32_e64 v5, v5, 1, s[0:1]
	v_cndmask_b32_e32 v2, v2, v6, vcc
	v_cndmask_b32_e32 v3, v3, v7, vcc
	v_cmp_eq_u32_e32 vcc, 1, v8
	v_cndmask_b32_e32 v8, v9, v5, vcc
	v_cndmask_b32_e32 v3, v7, v3, vcc
	;; [unrolled: 1-line block ×3, first 2 shown]
	v_cmp_gt_u32_e32 vcc, 2, v1
	v_cndmask_b32_e64 v1, 0, 1, vcc
	v_lshlrev_b32_e32 v1, 1, v1
	v_and_b32_e32 v5, 0xff, v8
	v_add_lshl_u32 v1, v1, v4, 2
	ds_bpermute_b32 v6, v1, v5
	ds_bpermute_b32 v4, v1, v2
	;; [unrolled: 1-line block ×3, first 2 shown]
	v_and_b32_e32 v1, 1, v8
	s_waitcnt lgkmcnt(2)
	v_and_b32_e32 v7, 1, v6
	v_cmp_eq_u32_e64 s[0:1], 1, v7
	s_waitcnt lgkmcnt(0)
	v_cmp_lt_i64_e32 vcc, v[4:5], v[2:3]
	s_and_b64 vcc, s[0:1], vcc
	v_cndmask_b32_e64 v7, v8, 1, s[0:1]
	v_cndmask_b32_e32 v2, v2, v4, vcc
	v_cndmask_b32_e32 v3, v3, v5, vcc
	v_cmp_eq_u32_e32 vcc, 1, v1
	v_cndmask_b32_e32 v1, v6, v7, vcc
	v_cndmask_b32_e32 v3, v5, v3, vcc
	v_cndmask_b32_e32 v2, v4, v2, vcc
	v_and_b32_e32 v6, 0xff, v1
.LBB719_42:
	s_or_b64 exec, exec, s[2:3]
	s_branch .LBB719_128
.LBB719_43:
                                        ; implicit-def: $vgpr4_vgpr5
                                        ; implicit-def: $vgpr1
	s_branch .LBB719_208
.LBB719_44:
                                        ; implicit-def: $vgpr2_vgpr3
                                        ; implicit-def: $vgpr7
	s_cbranch_execz .LBB719_89
; %bb.45:
	s_sub_i32 s36, s22, s8
	v_pk_mov_b32 v[10:11], 0, 0
	v_cmp_gt_u32_e32 vcc, s36, v0
	v_mov_b32_e32 v21, 0
	v_pk_mov_b32 v[2:3], v[10:11], v[10:11] op_sel:[0,1]
	v_mov_b32_e32 v1, 0
	s_and_saveexec_b64 s[0:1], vcc
	s_cbranch_execz .LBB719_47
; %bb.46:
	global_load_ubyte v1, v0, s[16:17]
	v_mov_b32_e32 v3, s35
	v_add_co_u32_e32 v2, vcc, s34, v0
	v_addc_co_u32_e32 v3, vcc, 0, v3, vcc
	s_waitcnt vmcnt(0)
	v_cmp_eq_u16_sdwa s[2:3], v1, s31 src0_sel:DWORD src1_sel:BYTE_0
	v_cndmask_b32_e64 v1, 0, 1, s[2:3]
.LBB719_47:
	s_or_b64 exec, exec, s[0:1]
	v_or_b32_e32 v4, 0x100, v0
	v_cmp_gt_u32_e64 s[14:15], s36, v4
	s_and_saveexec_b64 s[0:1], s[14:15]
	s_cbranch_execz .LBB719_49
; %bb.48:
	global_load_ubyte v5, v0, s[16:17] offset:256
	v_mov_b32_e32 v6, s35
	v_add_co_u32_e32 v10, vcc, s34, v4
	v_addc_co_u32_e32 v11, vcc, 0, v6, vcc
	s_waitcnt vmcnt(0)
	v_cmp_eq_u16_sdwa s[2:3], v5, s31 src0_sel:DWORD src1_sel:BYTE_0
	v_cndmask_b32_e64 v21, 0, 1, s[2:3]
.LBB719_49:
	s_or_b64 exec, exec, s[0:1]
	v_or_b32_e32 v4, 0x200, v0
	v_pk_mov_b32 v[8:9], 0, 0
	v_cmp_gt_u32_e64 s[12:13], s36, v4
	v_mov_b32_e32 v20, 0
	v_pk_mov_b32 v[16:17], v[8:9], v[8:9] op_sel:[0,1]
	v_mov_b32_e32 v24, 0
	s_and_saveexec_b64 s[0:1], s[12:13]
	s_cbranch_execz .LBB719_51
; %bb.50:
	global_load_ubyte v5, v0, s[16:17] offset:512
	v_mov_b32_e32 v6, s35
	v_add_co_u32_e32 v16, vcc, s34, v4
	v_addc_co_u32_e32 v17, vcc, 0, v6, vcc
	s_waitcnt vmcnt(0)
	v_cmp_eq_u16_sdwa s[2:3], v5, s31 src0_sel:DWORD src1_sel:BYTE_0
	v_cndmask_b32_e64 v24, 0, 1, s[2:3]
.LBB719_51:
	s_or_b64 exec, exec, s[0:1]
	v_or_b32_e32 v4, 0x300, v0
	v_cmp_gt_u32_e64 s[10:11], s36, v4
	s_and_saveexec_b64 s[0:1], s[10:11]
	s_cbranch_execz .LBB719_53
; %bb.52:
	global_load_ubyte v5, v0, s[16:17] offset:768
	v_mov_b32_e32 v6, s35
	v_add_co_u32_e32 v8, vcc, s34, v4
	v_addc_co_u32_e32 v9, vcc, 0, v6, vcc
	s_waitcnt vmcnt(0)
	v_cmp_eq_u16_sdwa s[2:3], v5, s31 src0_sel:DWORD src1_sel:BYTE_0
	v_cndmask_b32_e64 v20, 0, 1, s[2:3]
.LBB719_53:
	s_or_b64 exec, exec, s[0:1]
	v_or_b32_e32 v4, 0x400, v0
	v_pk_mov_b32 v[6:7], 0, 0
	v_cmp_gt_u32_e64 s[8:9], s36, v4
	v_mov_b32_e32 v19, 0
	v_pk_mov_b32 v[14:15], v[6:7], v[6:7] op_sel:[0,1]
	v_mov_b32_e32 v23, 0
	s_and_saveexec_b64 s[0:1], s[8:9]
	s_cbranch_execz .LBB719_55
; %bb.54:
	global_load_ubyte v5, v0, s[16:17] offset:1024
	v_mov_b32_e32 v12, s35
	v_add_co_u32_e32 v14, vcc, s34, v4
	v_addc_co_u32_e32 v15, vcc, 0, v12, vcc
	s_waitcnt vmcnt(0)
	v_cmp_eq_u16_sdwa s[2:3], v5, s31 src0_sel:DWORD src1_sel:BYTE_0
	v_cndmask_b32_e64 v23, 0, 1, s[2:3]
.LBB719_55:
	s_or_b64 exec, exec, s[0:1]
	v_or_b32_e32 v4, 0x500, v0
	v_cmp_gt_u32_e64 s[2:3], s36, v4
	s_and_saveexec_b64 s[0:1], s[2:3]
	s_cbranch_execz .LBB719_57
; %bb.56:
	global_load_ubyte v5, v0, s[16:17] offset:1280
	v_mov_b32_e32 v7, s35
	v_add_co_u32_e32 v6, vcc, s34, v4
	v_addc_co_u32_e32 v7, vcc, 0, v7, vcc
	s_waitcnt vmcnt(0)
	v_cmp_eq_u16_sdwa s[28:29], v5, s31 src0_sel:DWORD src1_sel:BYTE_0
	v_cndmask_b32_e64 v19, 0, 1, s[28:29]
.LBB719_57:
	s_or_b64 exec, exec, s[0:1]
	v_or_b32_e32 v25, 0x600, v0
	v_pk_mov_b32 v[4:5], 0, 0
	v_cmp_gt_u32_e64 s[0:1], s36, v25
	v_mov_b32_e32 v18, 0
	v_mov_b32_e32 v22, 0
	v_pk_mov_b32 v[12:13], v[4:5], v[4:5] op_sel:[0,1]
	s_and_saveexec_b64 s[28:29], s[0:1]
	s_cbranch_execz .LBB719_59
; %bb.58:
	global_load_ubyte v22, v0, s[16:17] offset:1536
	v_mov_b32_e32 v13, s35
	v_add_co_u32_e32 v12, vcc, s34, v25
	v_addc_co_u32_e32 v13, vcc, 0, v13, vcc
	s_waitcnt vmcnt(0)
	v_cmp_eq_u16_sdwa s[38:39], v22, s31 src0_sel:DWORD src1_sel:BYTE_0
	v_cndmask_b32_e64 v22, 0, 1, s[38:39]
.LBB719_59:
	s_or_b64 exec, exec, s[28:29]
	v_or_b32_e32 v25, 0x700, v0
	v_cmp_gt_u32_e32 vcc, s36, v25
	s_and_saveexec_b64 s[28:29], vcc
	s_cbranch_execnz .LBB719_240
; %bb.60:
	s_or_b64 exec, exec, s[28:29]
	s_and_saveexec_b64 s[28:29], s[14:15]
	s_cbranch_execnz .LBB719_241
.LBB719_61:
	s_or_b64 exec, exec, s[28:29]
	s_and_saveexec_b64 s[16:17], s[12:13]
	s_cbranch_execnz .LBB719_242
.LBB719_62:
	s_or_b64 exec, exec, s[16:17]
	s_and_saveexec_b64 s[14:15], s[10:11]
	s_cbranch_execnz .LBB719_243
.LBB719_63:
	s_or_b64 exec, exec, s[14:15]
	s_and_saveexec_b64 s[12:13], s[8:9]
	s_cbranch_execnz .LBB719_244
.LBB719_64:
	s_or_b64 exec, exec, s[12:13]
	s_and_saveexec_b64 s[10:11], s[2:3]
	s_cbranch_execnz .LBB719_245
.LBB719_65:
	s_or_b64 exec, exec, s[10:11]
	s_and_saveexec_b64 s[8:9], s[0:1]
	s_cbranch_execnz .LBB719_246
.LBB719_66:
	s_or_b64 exec, exec, s[8:9]
	s_and_saveexec_b64 s[2:3], vcc
	s_cbranch_execz .LBB719_68
.LBB719_67:
	v_and_b32_e32 v7, 1, v18
	v_cmp_lt_i64_e32 vcc, v[4:5], v[2:3]
	v_cmp_eq_u32_e64 s[0:1], 1, v7
	v_and_b32_e32 v6, 1, v1
	s_and_b64 vcc, s[0:1], vcc
	v_cndmask_b32_e64 v1, v1, 1, s[0:1]
	v_cndmask_b32_e32 v2, v2, v4, vcc
	v_cndmask_b32_e32 v3, v3, v5, vcc
	v_cmp_eq_u32_e32 vcc, 1, v6
	v_cndmask_b32_e32 v1, v18, v1, vcc
	v_cndmask_b32_e32 v3, v5, v3, vcc
	;; [unrolled: 1-line block ×3, first 2 shown]
.LBB719_68:
	s_or_b64 exec, exec, s[2:3]
	v_mbcnt_lo_u32_b32 v4, -1, 0
	v_mbcnt_hi_u32_b32 v6, -1, v4
	v_and_b32_e32 v8, 63, v6
	v_cmp_ne_u32_e32 vcc, 63, v8
	v_addc_co_u32_e32 v4, vcc, 0, v6, vcc
	v_and_b32_e32 v7, 0xffff, v1
	v_lshlrev_b32_e32 v5, 2, v4
	ds_bpermute_b32 v11, v5, v7
	ds_bpermute_b32 v4, v5, v2
	;; [unrolled: 1-line block ×3, first 2 shown]
	s_min_u32 s8, s36, 0x100
	v_and_b32_e32 v9, 0xc0, v0
	v_sub_u32_e64 v10, s8, v9 clamp
	v_add_u32_e32 v9, 1, v8
	v_cmp_lt_u32_e32 vcc, v9, v10
	v_mov_b32_e32 v9, v7
	s_and_saveexec_b64 s[0:1], vcc
	s_xor_b64 s[2:3], exec, s[0:1]
	s_cbranch_execz .LBB719_70
; %bb.69:
	s_waitcnt lgkmcnt(2)
	v_and_b32_e32 v9, 1, v11
	s_waitcnt lgkmcnt(0)
	v_cmp_lt_i64_e32 vcc, v[4:5], v[2:3]
	v_cmp_eq_u32_e64 s[0:1], 1, v9
	v_and_b32_e32 v1, 1, v1
	s_and_b64 vcc, s[0:1], vcc
	v_cndmask_b32_e64 v7, v7, 1, s[0:1]
	v_cndmask_b32_e32 v2, v2, v4, vcc
	v_cndmask_b32_e32 v3, v3, v5, vcc
	v_cmp_eq_u32_e32 vcc, 1, v1
	v_cndmask_b32_e32 v9, v11, v7, vcc
	v_cndmask_b32_e32 v3, v5, v3, vcc
	;; [unrolled: 1-line block ×3, first 2 shown]
	v_and_b32_e32 v7, 0xff, v9
.LBB719_70:
	s_or_b64 exec, exec, s[2:3]
	v_cmp_gt_u32_e32 vcc, 62, v8
	v_cndmask_b32_e64 v1, 0, 1, vcc
	v_lshlrev_b32_e32 v1, 1, v1
	s_waitcnt lgkmcnt(0)
	v_add_lshl_u32 v5, v1, v6, 2
	ds_bpermute_b32 v1, v5, v7
	ds_bpermute_b32 v4, v5, v2
	ds_bpermute_b32 v5, v5, v3
	v_add_u32_e32 v11, 2, v8
	v_cmp_lt_u32_e32 vcc, v11, v10
	s_and_saveexec_b64 s[2:3], vcc
	s_cbranch_execz .LBB719_72
; %bb.71:
	s_waitcnt lgkmcnt(2)
	v_and_b32_e32 v11, 1, v1
	s_waitcnt lgkmcnt(0)
	v_cmp_lt_i64_e32 vcc, v[4:5], v[2:3]
	v_cmp_eq_u32_e64 s[0:1], 1, v11
	v_and_b32_e32 v7, 1, v9
	s_and_b64 vcc, s[0:1], vcc
	v_cndmask_b32_e64 v9, v9, 1, s[0:1]
	v_cndmask_b32_e32 v2, v2, v4, vcc
	v_cndmask_b32_e32 v3, v3, v5, vcc
	v_cmp_eq_u32_e32 vcc, 1, v7
	v_cndmask_b32_e32 v9, v1, v9, vcc
	v_cndmask_b32_e32 v3, v5, v3, vcc
	v_cndmask_b32_e32 v2, v4, v2, vcc
	v_and_b32_e32 v7, 0xff, v9
.LBB719_72:
	s_or_b64 exec, exec, s[2:3]
	v_cmp_gt_u32_e32 vcc, 60, v8
	s_waitcnt lgkmcnt(2)
	v_cndmask_b32_e64 v1, 0, 1, vcc
	v_lshlrev_b32_e32 v1, 2, v1
	s_waitcnt lgkmcnt(0)
	v_add_lshl_u32 v5, v1, v6, 2
	ds_bpermute_b32 v1, v5, v7
	ds_bpermute_b32 v4, v5, v2
	ds_bpermute_b32 v5, v5, v3
	v_add_u32_e32 v11, 4, v8
	v_cmp_lt_u32_e32 vcc, v11, v10
	s_and_saveexec_b64 s[2:3], vcc
	s_cbranch_execz .LBB719_74
; %bb.73:
	s_waitcnt lgkmcnt(2)
	v_and_b32_e32 v11, 1, v1
	s_waitcnt lgkmcnt(0)
	v_cmp_lt_i64_e32 vcc, v[4:5], v[2:3]
	v_cmp_eq_u32_e64 s[0:1], 1, v11
	v_and_b32_e32 v7, 1, v9
	s_and_b64 vcc, s[0:1], vcc
	v_cndmask_b32_e64 v9, v9, 1, s[0:1]
	v_cndmask_b32_e32 v2, v2, v4, vcc
	v_cndmask_b32_e32 v3, v3, v5, vcc
	v_cmp_eq_u32_e32 vcc, 1, v7
	v_cndmask_b32_e32 v9, v1, v9, vcc
	v_cndmask_b32_e32 v3, v5, v3, vcc
	v_cndmask_b32_e32 v2, v4, v2, vcc
	v_and_b32_e32 v7, 0xff, v9
.LBB719_74:
	s_or_b64 exec, exec, s[2:3]
	v_cmp_gt_u32_e32 vcc, 56, v8
	s_waitcnt lgkmcnt(2)
	;; [unrolled: 31-line block ×4, first 2 shown]
	v_cndmask_b32_e64 v1, 0, 1, vcc
	v_lshlrev_b32_e32 v1, 5, v1
	s_waitcnt lgkmcnt(0)
	v_add_lshl_u32 v5, v1, v6, 2
	ds_bpermute_b32 v1, v5, v7
	ds_bpermute_b32 v4, v5, v2
	ds_bpermute_b32 v5, v5, v3
	v_add_u32_e32 v8, 32, v8
	v_cmp_lt_u32_e32 vcc, v8, v10
	s_and_saveexec_b64 s[2:3], vcc
	s_cbranch_execz .LBB719_80
; %bb.79:
	s_waitcnt lgkmcnt(2)
	v_and_b32_e32 v8, 1, v1
	s_waitcnt lgkmcnt(0)
	v_cmp_lt_i64_e32 vcc, v[4:5], v[2:3]
	v_cmp_eq_u32_e64 s[0:1], 1, v8
	v_and_b32_e32 v7, 1, v9
	s_and_b64 vcc, s[0:1], vcc
	v_cndmask_b32_e64 v8, v9, 1, s[0:1]
	v_cndmask_b32_e32 v2, v2, v4, vcc
	v_cndmask_b32_e32 v3, v3, v5, vcc
	v_cmp_eq_u32_e32 vcc, 1, v7
	v_cndmask_b32_e32 v9, v1, v8, vcc
	v_cndmask_b32_e32 v3, v5, v3, vcc
	;; [unrolled: 1-line block ×3, first 2 shown]
	v_and_b32_e32 v7, 0xff, v9
.LBB719_80:
	s_or_b64 exec, exec, s[2:3]
	v_cmp_eq_u32_e32 vcc, 0, v6
	s_and_saveexec_b64 s[0:1], vcc
	s_cbranch_execz .LBB719_82
; %bb.81:
	s_waitcnt lgkmcnt(2)
	v_lshrrev_b32_e32 v1, 2, v0
	v_and_b32_e32 v1, 48, v1
	ds_write_b8 v1, v9 offset:256
	ds_write_b64 v1, v[2:3] offset:264
.LBB719_82:
	s_or_b64 exec, exec, s[0:1]
	v_cmp_gt_u32_e32 vcc, 4, v0
	s_waitcnt lgkmcnt(0)
	s_barrier
	s_and_saveexec_b64 s[2:3], vcc
	s_cbranch_execz .LBB719_88
; %bb.83:
	v_lshlrev_b32_e32 v2, 4, v6
	ds_read_u8 v1, v2 offset:256
	ds_read_b64 v[2:3], v2 offset:264
	v_and_b32_e32 v8, 3, v6
	v_cmp_ne_u32_e32 vcc, 3, v8
	v_addc_co_u32_e32 v4, vcc, 0, v6, vcc
	s_waitcnt lgkmcnt(1)
	v_and_b32_e32 v7, 0xff, v1
	v_lshlrev_b32_e32 v5, 2, v4
	ds_bpermute_b32 v9, v5, v7
	s_waitcnt lgkmcnt(1)
	ds_bpermute_b32 v4, v5, v2
	ds_bpermute_b32 v5, v5, v3
	s_add_i32 s8, s8, 63
	s_lshr_b32 s10, s8, 6
	v_add_u32_e32 v10, 1, v8
	v_cmp_gt_u32_e32 vcc, s10, v10
	s_and_saveexec_b64 s[8:9], vcc
	s_cbranch_execz .LBB719_85
; %bb.84:
	s_waitcnt lgkmcnt(2)
	v_and_b32_e32 v10, 1, v9
	s_waitcnt lgkmcnt(0)
	v_cmp_lt_i64_e32 vcc, v[4:5], v[2:3]
	v_cmp_eq_u32_e64 s[0:1], 1, v10
	v_and_b32_e32 v7, 1, v1
	s_and_b64 vcc, s[0:1], vcc
	v_cndmask_b32_e64 v1, v1, 1, s[0:1]
	v_cndmask_b32_e32 v2, v2, v4, vcc
	v_cndmask_b32_e32 v3, v3, v5, vcc
	v_cmp_eq_u32_e32 vcc, 1, v7
	v_cndmask_b32_e32 v1, v9, v1, vcc
	v_cndmask_b32_e32 v3, v5, v3, vcc
	;; [unrolled: 1-line block ×3, first 2 shown]
	v_and_b32_e32 v7, 0xff, v1
.LBB719_85:
	s_or_b64 exec, exec, s[8:9]
	v_cmp_gt_u32_e32 vcc, 2, v8
	s_waitcnt lgkmcnt(1)
	v_cndmask_b32_e64 v4, 0, 1, vcc
	v_lshlrev_b32_e32 v4, 1, v4
	s_waitcnt lgkmcnt(0)
	v_add_lshl_u32 v5, v4, v6, 2
	ds_bpermute_b32 v6, v5, v7
	ds_bpermute_b32 v4, v5, v2
	;; [unrolled: 1-line block ×3, first 2 shown]
	v_add_u32_e32 v8, 2, v8
	v_cmp_gt_u32_e32 vcc, s10, v8
	s_and_saveexec_b64 s[8:9], vcc
	s_cbranch_execz .LBB719_87
; %bb.86:
	s_waitcnt lgkmcnt(2)
	v_and_b32_e32 v8, 1, v6
	s_waitcnt lgkmcnt(0)
	v_cmp_lt_i64_e32 vcc, v[4:5], v[2:3]
	v_cmp_eq_u32_e64 s[0:1], 1, v8
	v_and_b32_e32 v7, 1, v1
	s_and_b64 vcc, s[0:1], vcc
	v_cndmask_b32_e64 v1, v1, 1, s[0:1]
	v_cndmask_b32_e32 v2, v2, v4, vcc
	v_cndmask_b32_e32 v3, v3, v5, vcc
	v_cmp_eq_u32_e32 vcc, 1, v7
	v_cndmask_b32_e32 v1, v6, v1, vcc
	v_cndmask_b32_e32 v3, v5, v3, vcc
	;; [unrolled: 1-line block ×3, first 2 shown]
	v_and_b32_e32 v7, 0xff, v1
.LBB719_87:
	s_or_b64 exec, exec, s[8:9]
.LBB719_88:
	s_or_b64 exec, exec, s[2:3]
.LBB719_89:
	v_cmp_eq_u32_e32 vcc, 0, v0
	s_mov_b64 s[10:11], 0
                                        ; implicit-def: $vgpr4_vgpr5
                                        ; implicit-def: $vgpr1
	s_and_saveexec_b64 s[0:1], vcc
	s_xor_b64 s[8:9], exec, s[0:1]
	s_cbranch_execz .LBB719_93
; %bb.90:
	s_cmp_eq_u64 s[22:23], 0
	s_waitcnt lgkmcnt(0)
	v_pk_mov_b32 v[4:5], s[18:19], s[18:19] op_sel:[0,1]
	v_mov_b32_e32 v1, s30
	s_cbranch_scc1 .LBB719_92
; %bb.91:
	v_and_b32_e32 v1, 1, v7
	s_bitcmp1_b32 s30, 0
	v_mov_b32_e32 v4, s30
	v_cmp_eq_u32_e32 vcc, 1, v1
	v_cmp_gt_i64_e64 s[2:3], s[18:19], v[2:3]
	v_cndmask_b32_e64 v1, v4, 1, vcc
	s_cselect_b64 s[0:1], -1, 0
	v_mov_b32_e32 v4, s18
	s_and_b64 vcc, vcc, s[2:3]
	v_mov_b32_e32 v5, s19
	v_cndmask_b32_e32 v4, v4, v2, vcc
	v_cndmask_b32_e32 v5, v5, v3, vcc
	v_cndmask_b32_e64 v1, v7, v1, s[0:1]
	v_cndmask_b32_e64 v5, v3, v5, s[0:1]
	;; [unrolled: 1-line block ×3, first 2 shown]
.LBB719_92:
	s_mov_b64 s[10:11], exec
.LBB719_93:
	s_or_b64 exec, exec, s[8:9]
	s_and_b64 vcc, exec, s[26:27]
	s_cbranch_vccnz .LBB719_24
.LBB719_94:
	s_branch .LBB719_208
.LBB719_95:
                                        ; implicit-def: $vgpr2_vgpr3
                                        ; implicit-def: $vgpr6
	s_cbranch_execz .LBB719_128
; %bb.96:
	s_sub_i32 s16, s22, s12
	s_waitcnt lgkmcnt(2)
	v_pk_mov_b32 v[6:7], 0, 0
	v_cmp_gt_u32_e32 vcc, s16, v0
	v_mov_b32_e32 v11, 0
	v_pk_mov_b32 v[2:3], v[6:7], v[6:7] op_sel:[0,1]
	v_mov_b32_e32 v10, 0
	s_and_saveexec_b64 s[0:1], vcc
	s_cbranch_execz .LBB719_98
; %bb.97:
	global_load_ubyte v1, v0, s[8:9]
	v_mov_b32_e32 v3, s15
	v_add_co_u32_e32 v2, vcc, s14, v0
	v_addc_co_u32_e32 v3, vcc, 0, v3, vcc
	s_waitcnt vmcnt(0)
	v_cmp_eq_u16_sdwa s[2:3], v1, s31 src0_sel:DWORD src1_sel:BYTE_0
	v_cndmask_b32_e64 v10, 0, 1, s[2:3]
.LBB719_98:
	s_or_b64 exec, exec, s[0:1]
	v_or_b32_e32 v1, 0x100, v0
	v_cmp_gt_u32_e64 s[2:3], s16, v1
	s_and_saveexec_b64 s[0:1], s[2:3]
	s_cbranch_execz .LBB719_100
; %bb.99:
	s_waitcnt lgkmcnt(1)
	global_load_ubyte v4, v0, s[8:9] offset:256
	s_waitcnt lgkmcnt(0)
	v_mov_b32_e32 v5, s15
	v_add_co_u32_e32 v6, vcc, s14, v1
	v_addc_co_u32_e32 v7, vcc, 0, v5, vcc
	s_waitcnt vmcnt(0)
	v_cmp_eq_u16_sdwa s[12:13], v4, s31 src0_sel:DWORD src1_sel:BYTE_0
	v_cndmask_b32_e64 v11, 0, 1, s[12:13]
.LBB719_100:
	s_or_b64 exec, exec, s[0:1]
	v_or_b32_e32 v13, 0x200, v0
	s_waitcnt lgkmcnt(0)
	v_pk_mov_b32 v[4:5], 0, 0
	v_cmp_gt_u32_e64 s[0:1], s16, v13
	v_mov_b32_e32 v1, 0
	v_pk_mov_b32 v[8:9], v[4:5], v[4:5] op_sel:[0,1]
	v_mov_b32_e32 v12, 0
	s_and_saveexec_b64 s[12:13], s[0:1]
	s_cbranch_execz .LBB719_102
; %bb.101:
	global_load_ubyte v12, v0, s[8:9] offset:512
	v_mov_b32_e32 v9, s15
	v_add_co_u32_e32 v8, vcc, s14, v13
	v_addc_co_u32_e32 v9, vcc, 0, v9, vcc
	s_waitcnt vmcnt(0)
	v_cmp_eq_u16_sdwa s[26:27], v12, s31 src0_sel:DWORD src1_sel:BYTE_0
	v_cndmask_b32_e64 v12, 0, 1, s[26:27]
.LBB719_102:
	s_or_b64 exec, exec, s[12:13]
	v_or_b32_e32 v13, 0x300, v0
	v_cmp_gt_u32_e32 vcc, s16, v13
	s_and_saveexec_b64 s[12:13], vcc
	s_cbranch_execnz .LBB719_247
; %bb.103:
	s_or_b64 exec, exec, s[12:13]
	s_and_saveexec_b64 s[12:13], s[2:3]
	s_cbranch_execnz .LBB719_248
.LBB719_104:
	s_or_b64 exec, exec, s[12:13]
	s_and_saveexec_b64 s[8:9], s[0:1]
	s_cbranch_execnz .LBB719_249
.LBB719_105:
	s_or_b64 exec, exec, s[8:9]
	s_and_saveexec_b64 s[2:3], vcc
	s_cbranch_execz .LBB719_107
.LBB719_106:
	v_and_b32_e32 v7, 1, v1
	v_cmp_lt_i64_e32 vcc, v[4:5], v[2:3]
	v_cmp_eq_u32_e64 s[0:1], 1, v7
	v_and_b32_e32 v6, 1, v10
	s_and_b64 vcc, s[0:1], vcc
	v_cndmask_b32_e64 v7, v10, 1, s[0:1]
	v_cndmask_b32_e32 v2, v2, v4, vcc
	v_cndmask_b32_e32 v3, v3, v5, vcc
	v_cmp_eq_u32_e32 vcc, 1, v6
	v_cndmask_b32_e32 v10, v1, v7, vcc
	v_cndmask_b32_e32 v3, v5, v3, vcc
	;; [unrolled: 1-line block ×3, first 2 shown]
.LBB719_107:
	s_or_b64 exec, exec, s[2:3]
	v_mbcnt_lo_u32_b32 v1, -1, 0
	v_mbcnt_hi_u32_b32 v1, -1, v1
	v_and_b32_e32 v7, 63, v1
	v_cmp_ne_u32_e32 vcc, 63, v7
	v_addc_co_u32_e32 v4, vcc, 0, v1, vcc
	v_and_b32_e32 v6, 0xffff, v10
	v_lshlrev_b32_e32 v5, 2, v4
	ds_bpermute_b32 v11, v5, v6
	ds_bpermute_b32 v4, v5, v2
	;; [unrolled: 1-line block ×3, first 2 shown]
	s_min_u32 s8, s16, 0x100
	v_and_b32_e32 v8, 0xc0, v0
	v_sub_u32_e64 v9, s8, v8 clamp
	v_add_u32_e32 v8, 1, v7
	v_cmp_lt_u32_e32 vcc, v8, v9
	v_mov_b32_e32 v8, v6
	s_and_saveexec_b64 s[0:1], vcc
	s_xor_b64 s[2:3], exec, s[0:1]
	s_cbranch_execz .LBB719_109
; %bb.108:
	v_and_b32_e32 v8, 1, v10
	s_waitcnt lgkmcnt(2)
	v_and_b32_e32 v10, 1, v11
	s_waitcnt lgkmcnt(0)
	v_cmp_lt_i64_e32 vcc, v[4:5], v[2:3]
	v_cmp_eq_u32_e64 s[0:1], 1, v10
	s_and_b64 vcc, s[0:1], vcc
	v_cndmask_b32_e64 v6, v6, 1, s[0:1]
	v_cndmask_b32_e32 v2, v2, v4, vcc
	v_cndmask_b32_e32 v3, v3, v5, vcc
	v_cmp_eq_u32_e32 vcc, 1, v8
	v_cndmask_b32_e32 v8, v11, v6, vcc
	v_cndmask_b32_e32 v3, v5, v3, vcc
	;; [unrolled: 1-line block ×3, first 2 shown]
	v_and_b32_e32 v6, 0xff, v8
.LBB719_109:
	s_or_b64 exec, exec, s[2:3]
	v_cmp_gt_u32_e32 vcc, 62, v7
	s_waitcnt lgkmcnt(1)
	v_cndmask_b32_e64 v4, 0, 1, vcc
	v_lshlrev_b32_e32 v4, 1, v4
	s_waitcnt lgkmcnt(0)
	v_add_lshl_u32 v5, v4, v1, 2
	ds_bpermute_b32 v10, v5, v6
	ds_bpermute_b32 v4, v5, v2
	ds_bpermute_b32 v5, v5, v3
	v_add_u32_e32 v11, 2, v7
	v_cmp_lt_u32_e32 vcc, v11, v9
	s_and_saveexec_b64 s[2:3], vcc
	s_cbranch_execz .LBB719_111
; %bb.110:
	s_waitcnt lgkmcnt(2)
	v_and_b32_e32 v11, 1, v10
	s_waitcnt lgkmcnt(0)
	v_cmp_lt_i64_e32 vcc, v[4:5], v[2:3]
	v_cmp_eq_u32_e64 s[0:1], 1, v11
	v_and_b32_e32 v6, 1, v8
	s_and_b64 vcc, s[0:1], vcc
	v_cndmask_b32_e64 v8, v8, 1, s[0:1]
	v_cndmask_b32_e32 v2, v2, v4, vcc
	v_cndmask_b32_e32 v3, v3, v5, vcc
	v_cmp_eq_u32_e32 vcc, 1, v6
	v_cndmask_b32_e32 v8, v10, v8, vcc
	v_cndmask_b32_e32 v3, v5, v3, vcc
	v_cndmask_b32_e32 v2, v4, v2, vcc
	v_and_b32_e32 v6, 0xff, v8
.LBB719_111:
	s_or_b64 exec, exec, s[2:3]
	v_cmp_gt_u32_e32 vcc, 60, v7
	s_waitcnt lgkmcnt(1)
	v_cndmask_b32_e64 v4, 0, 1, vcc
	v_lshlrev_b32_e32 v4, 2, v4
	s_waitcnt lgkmcnt(0)
	v_add_lshl_u32 v5, v4, v1, 2
	ds_bpermute_b32 v10, v5, v6
	ds_bpermute_b32 v4, v5, v2
	ds_bpermute_b32 v5, v5, v3
	v_add_u32_e32 v11, 4, v7
	v_cmp_lt_u32_e32 vcc, v11, v9
	s_and_saveexec_b64 s[2:3], vcc
	s_cbranch_execz .LBB719_113
; %bb.112:
	s_waitcnt lgkmcnt(2)
	v_and_b32_e32 v11, 1, v10
	s_waitcnt lgkmcnt(0)
	v_cmp_lt_i64_e32 vcc, v[4:5], v[2:3]
	v_cmp_eq_u32_e64 s[0:1], 1, v11
	v_and_b32_e32 v6, 1, v8
	s_and_b64 vcc, s[0:1], vcc
	v_cndmask_b32_e64 v8, v8, 1, s[0:1]
	v_cndmask_b32_e32 v2, v2, v4, vcc
	v_cndmask_b32_e32 v3, v3, v5, vcc
	v_cmp_eq_u32_e32 vcc, 1, v6
	v_cndmask_b32_e32 v8, v10, v8, vcc
	v_cndmask_b32_e32 v3, v5, v3, vcc
	v_cndmask_b32_e32 v2, v4, v2, vcc
	v_and_b32_e32 v6, 0xff, v8
.LBB719_113:
	;; [unrolled: 31-line block ×5, first 2 shown]
	s_or_b64 exec, exec, s[2:3]
	v_cmp_eq_u32_e32 vcc, 0, v1
	s_and_saveexec_b64 s[0:1], vcc
	s_cbranch_execz .LBB719_121
; %bb.120:
	s_waitcnt lgkmcnt(1)
	v_lshrrev_b32_e32 v4, 2, v0
	v_and_b32_e32 v4, 48, v4
	ds_write_b8 v4, v8 offset:256
	ds_write_b64 v4, v[2:3] offset:264
.LBB719_121:
	s_or_b64 exec, exec, s[0:1]
	v_cmp_gt_u32_e32 vcc, 4, v0
	s_waitcnt lgkmcnt(0)
	s_barrier
	s_and_saveexec_b64 s[2:3], vcc
	s_cbranch_execz .LBB719_127
; %bb.122:
	v_lshlrev_b32_e32 v2, 4, v1
	ds_read_u8 v7, v2 offset:256
	ds_read_b64 v[2:3], v2 offset:264
	v_and_b32_e32 v8, 3, v1
	v_cmp_ne_u32_e32 vcc, 3, v8
	v_addc_co_u32_e32 v4, vcc, 0, v1, vcc
	s_waitcnt lgkmcnt(1)
	v_and_b32_e32 v6, 0xff, v7
	v_lshlrev_b32_e32 v5, 2, v4
	ds_bpermute_b32 v9, v5, v6
	s_waitcnt lgkmcnt(1)
	ds_bpermute_b32 v4, v5, v2
	ds_bpermute_b32 v5, v5, v3
	s_add_i32 s8, s8, 63
	s_lshr_b32 s12, s8, 6
	v_add_u32_e32 v10, 1, v8
	v_cmp_gt_u32_e32 vcc, s12, v10
	s_and_saveexec_b64 s[8:9], vcc
	s_cbranch_execz .LBB719_124
; %bb.123:
	s_waitcnt lgkmcnt(2)
	v_and_b32_e32 v10, 1, v9
	s_waitcnt lgkmcnt(0)
	v_cmp_lt_i64_e32 vcc, v[4:5], v[2:3]
	v_cmp_eq_u32_e64 s[0:1], 1, v10
	v_and_b32_e32 v6, 1, v7
	s_and_b64 vcc, s[0:1], vcc
	v_cndmask_b32_e64 v7, v7, 1, s[0:1]
	v_cndmask_b32_e32 v2, v2, v4, vcc
	v_cndmask_b32_e32 v3, v3, v5, vcc
	v_cmp_eq_u32_e32 vcc, 1, v6
	v_cndmask_b32_e32 v7, v9, v7, vcc
	v_cndmask_b32_e32 v3, v5, v3, vcc
	;; [unrolled: 1-line block ×3, first 2 shown]
	v_and_b32_e32 v6, 0xff, v7
.LBB719_124:
	s_or_b64 exec, exec, s[8:9]
	v_cmp_gt_u32_e32 vcc, 2, v8
	s_waitcnt lgkmcnt(1)
	v_cndmask_b32_e64 v4, 0, 1, vcc
	v_lshlrev_b32_e32 v4, 1, v4
	s_waitcnt lgkmcnt(0)
	v_add_lshl_u32 v5, v4, v1, 2
	ds_bpermute_b32 v1, v5, v6
	ds_bpermute_b32 v4, v5, v2
	;; [unrolled: 1-line block ×3, first 2 shown]
	v_add_u32_e32 v8, 2, v8
	v_cmp_gt_u32_e32 vcc, s12, v8
	s_and_saveexec_b64 s[8:9], vcc
	s_cbranch_execz .LBB719_126
; %bb.125:
	s_waitcnt lgkmcnt(2)
	v_and_b32_e32 v8, 1, v1
	s_waitcnt lgkmcnt(0)
	v_cmp_lt_i64_e32 vcc, v[4:5], v[2:3]
	v_cmp_eq_u32_e64 s[0:1], 1, v8
	v_and_b32_e32 v6, 1, v7
	s_and_b64 vcc, s[0:1], vcc
	v_cndmask_b32_e64 v7, v7, 1, s[0:1]
	v_cndmask_b32_e32 v2, v2, v4, vcc
	v_cndmask_b32_e32 v3, v3, v5, vcc
	v_cmp_eq_u32_e32 vcc, 1, v6
	v_cndmask_b32_e32 v1, v1, v7, vcc
	v_cndmask_b32_e32 v3, v5, v3, vcc
	;; [unrolled: 1-line block ×3, first 2 shown]
	v_and_b32_e32 v6, 0xff, v1
.LBB719_126:
	s_or_b64 exec, exec, s[8:9]
.LBB719_127:
	s_or_b64 exec, exec, s[2:3]
.LBB719_128:
	v_cmp_eq_u32_e32 vcc, 0, v0
                                        ; implicit-def: $vgpr4_vgpr5
                                        ; implicit-def: $vgpr1
	s_and_saveexec_b64 s[0:1], vcc
	s_xor_b64 s[8:9], exec, s[0:1]
	s_cbranch_execz .LBB719_132
; %bb.129:
	s_cmp_eq_u64 s[22:23], 0
	s_waitcnt lgkmcnt(0)
	v_pk_mov_b32 v[4:5], s[18:19], s[18:19] op_sel:[0,1]
	v_mov_b32_e32 v1, s30
	s_cbranch_scc1 .LBB719_131
; %bb.130:
	v_and_b32_e32 v1, 1, v6
	s_bitcmp1_b32 s30, 0
	v_mov_b32_e32 v4, s30
	v_cmp_eq_u32_e32 vcc, 1, v1
	v_cmp_gt_i64_e64 s[2:3], s[18:19], v[2:3]
	v_cndmask_b32_e64 v1, v4, 1, vcc
	s_cselect_b64 s[0:1], -1, 0
	v_mov_b32_e32 v4, s18
	s_and_b64 vcc, vcc, s[2:3]
	v_mov_b32_e32 v5, s19
	v_cndmask_b32_e32 v4, v4, v2, vcc
	v_cndmask_b32_e32 v5, v5, v3, vcc
	v_cndmask_b32_e64 v1, v6, v1, s[0:1]
	v_cndmask_b32_e64 v5, v3, v5, s[0:1]
	;; [unrolled: 1-line block ×3, first 2 shown]
.LBB719_131:
	s_or_b64 s[10:11], s[10:11], exec
.LBB719_132:
	s_or_b64 exec, exec, s[8:9]
	s_branch .LBB719_208
.LBB719_133:
	s_cmp_gt_i32 s33, 1
	s_cbranch_scc0 .LBB719_153
; %bb.134:
	s_cmp_eq_u32 s33, 2
	s_cbranch_scc0 .LBB719_154
; %bb.135:
	s_lshl_b32 s14, s6, 9
	s_lshr_b64 s[0:1], s[22:23], 9
	s_add_u32 s2, s24, s14
	s_addc_u32 s3, s25, 0
	s_add_u32 s12, s20, s14
	s_mov_b32 s7, 0
	s_addc_u32 s13, s21, 0
	s_cmp_lg_u64 s[0:1], s[6:7]
	s_cbranch_scc0 .LBB719_155
; %bb.136:
	s_waitcnt lgkmcnt(2)
	global_load_ubyte v1, v0, s[2:3] offset:256
	global_load_ubyte v2, v0, s[2:3]
	v_mov_b32_e32 v3, s13
	s_waitcnt lgkmcnt(1)
	v_add_co_u32_e32 v4, vcc, s12, v0
	v_addc_co_u32_e32 v3, vcc, 0, v3, vcc
	s_waitcnt lgkmcnt(0)
	v_add_co_u32_e32 v5, vcc, 0x100, v4
	v_addc_co_u32_e32 v6, vcc, 0, v3, vcc
	s_waitcnt vmcnt(1)
	v_cmp_eq_u16_sdwa s[0:1], v1, s31 src0_sel:BYTE_0 src1_sel:BYTE_0
	s_waitcnt vmcnt(0)
	v_cmp_eq_u16_sdwa vcc, v2, s31 src0_sel:DWORD src1_sel:BYTE_0
	s_or_b64 s[0:1], vcc, s[0:1]
	v_cndmask_b32_e64 v1, 0, 1, s[0:1]
	v_cndmask_b32_e32 v3, v6, v3, vcc
	v_cndmask_b32_e32 v2, v5, v4, vcc
	v_mov_b32_dpp v6, v1 quad_perm:[1,0,3,2] row_mask:0xf bank_mask:0xf bound_ctrl:1
	v_and_b32_e32 v7, 1, v6
	v_mov_b32_dpp v4, v2 quad_perm:[1,0,3,2] row_mask:0xf bank_mask:0xf bound_ctrl:1
	v_mov_b32_dpp v5, v3 quad_perm:[1,0,3,2] row_mask:0xf bank_mask:0xf bound_ctrl:1
	v_cmp_eq_u32_e32 vcc, 1, v7
	s_and_saveexec_b64 s[8:9], vcc
; %bb.137:
	v_cmp_lt_i64_e32 vcc, v[2:3], v[4:5]
	v_cndmask_b32_e64 v6, v6, 1, s[0:1]
	s_and_b64 vcc, s[0:1], vcc
	v_cndmask_b32_e32 v2, v4, v2, vcc
	v_and_b32_e32 v4, 1, v6
	v_cndmask_b32_e32 v3, v5, v3, vcc
	v_cmp_eq_u32_e32 vcc, 1, v4
	s_andn2_b64 s[0:1], s[0:1], exec
	s_and_b64 s[16:17], vcc, exec
	v_and_b32_e32 v1, 0xff, v6
	s_or_b64 s[0:1], s[0:1], s[16:17]
; %bb.138:
	s_or_b64 exec, exec, s[8:9]
	v_mov_b32_dpp v6, v1 quad_perm:[2,3,0,1] row_mask:0xf bank_mask:0xf bound_ctrl:1
	v_and_b32_e32 v7, 1, v6
	v_mov_b32_dpp v4, v2 quad_perm:[2,3,0,1] row_mask:0xf bank_mask:0xf bound_ctrl:1
	v_mov_b32_dpp v5, v3 quad_perm:[2,3,0,1] row_mask:0xf bank_mask:0xf bound_ctrl:1
	v_cmp_eq_u32_e32 vcc, 1, v7
	s_and_saveexec_b64 s[8:9], vcc
; %bb.139:
	v_cmp_lt_i64_e32 vcc, v[2:3], v[4:5]
	v_cndmask_b32_e64 v6, v6, 1, s[0:1]
	s_and_b64 vcc, s[0:1], vcc
	v_cndmask_b32_e32 v2, v4, v2, vcc
	v_and_b32_e32 v4, 1, v6
	v_cndmask_b32_e32 v3, v5, v3, vcc
	v_cmp_eq_u32_e32 vcc, 1, v4
	s_andn2_b64 s[0:1], s[0:1], exec
	s_and_b64 s[16:17], vcc, exec
	v_and_b32_e32 v1, 0xff, v6
	s_or_b64 s[0:1], s[0:1], s[16:17]
; %bb.140:
	s_or_b64 exec, exec, s[8:9]
	v_mov_b32_dpp v6, v1 row_ror:4 row_mask:0xf bank_mask:0xf bound_ctrl:1
	v_and_b32_e32 v7, 1, v6
	v_mov_b32_dpp v4, v2 row_ror:4 row_mask:0xf bank_mask:0xf bound_ctrl:1
	v_mov_b32_dpp v5, v3 row_ror:4 row_mask:0xf bank_mask:0xf bound_ctrl:1
	v_cmp_eq_u32_e32 vcc, 1, v7
	s_and_saveexec_b64 s[8:9], vcc
; %bb.141:
	v_cmp_lt_i64_e32 vcc, v[2:3], v[4:5]
	v_cndmask_b32_e64 v6, v6, 1, s[0:1]
	s_and_b64 vcc, s[0:1], vcc
	v_cndmask_b32_e32 v2, v4, v2, vcc
	v_and_b32_e32 v4, 1, v6
	v_cndmask_b32_e32 v3, v5, v3, vcc
	v_cmp_eq_u32_e32 vcc, 1, v4
	s_andn2_b64 s[0:1], s[0:1], exec
	s_and_b64 s[16:17], vcc, exec
	v_and_b32_e32 v1, 0xff, v6
	s_or_b64 s[0:1], s[0:1], s[16:17]
; %bb.142:
	s_or_b64 exec, exec, s[8:9]
	v_mov_b32_dpp v6, v1 row_ror:8 row_mask:0xf bank_mask:0xf bound_ctrl:1
	v_and_b32_e32 v7, 1, v6
	v_mov_b32_dpp v4, v2 row_ror:8 row_mask:0xf bank_mask:0xf bound_ctrl:1
	v_mov_b32_dpp v5, v3 row_ror:8 row_mask:0xf bank_mask:0xf bound_ctrl:1
	v_cmp_eq_u32_e32 vcc, 1, v7
	s_and_saveexec_b64 s[8:9], vcc
; %bb.143:
	v_cmp_lt_i64_e32 vcc, v[2:3], v[4:5]
	v_cndmask_b32_e64 v6, v6, 1, s[0:1]
	s_and_b64 vcc, s[0:1], vcc
	v_cndmask_b32_e32 v2, v4, v2, vcc
	v_and_b32_e32 v4, 1, v6
	v_cndmask_b32_e32 v3, v5, v3, vcc
	v_cmp_eq_u32_e32 vcc, 1, v4
	s_andn2_b64 s[0:1], s[0:1], exec
	s_and_b64 s[16:17], vcc, exec
	v_and_b32_e32 v1, 0xff, v6
	s_or_b64 s[0:1], s[0:1], s[16:17]
; %bb.144:
	s_or_b64 exec, exec, s[8:9]
	v_mov_b32_dpp v6, v1 row_bcast:15 row_mask:0xf bank_mask:0xf bound_ctrl:1
	v_and_b32_e32 v7, 1, v6
	v_mov_b32_dpp v4, v2 row_bcast:15 row_mask:0xf bank_mask:0xf bound_ctrl:1
	v_mov_b32_dpp v5, v3 row_bcast:15 row_mask:0xf bank_mask:0xf bound_ctrl:1
	v_cmp_eq_u32_e32 vcc, 1, v7
	s_and_saveexec_b64 s[8:9], vcc
; %bb.145:
	v_cmp_lt_i64_e32 vcc, v[2:3], v[4:5]
	v_cndmask_b32_e64 v6, v6, 1, s[0:1]
	s_and_b64 vcc, s[0:1], vcc
	v_cndmask_b32_e32 v2, v4, v2, vcc
	v_and_b32_e32 v4, 1, v6
	v_cndmask_b32_e32 v3, v5, v3, vcc
	v_cmp_eq_u32_e32 vcc, 1, v4
	s_andn2_b64 s[0:1], s[0:1], exec
	s_and_b64 s[16:17], vcc, exec
	v_and_b32_e32 v1, 0xff, v6
	s_or_b64 s[0:1], s[0:1], s[16:17]
; %bb.146:
	s_or_b64 exec, exec, s[8:9]
	v_mov_b32_dpp v6, v1 row_bcast:31 row_mask:0xf bank_mask:0xf bound_ctrl:1
	v_and_b32_e32 v7, 1, v6
	v_mov_b32_dpp v4, v2 row_bcast:31 row_mask:0xf bank_mask:0xf bound_ctrl:1
	v_mov_b32_dpp v5, v3 row_bcast:31 row_mask:0xf bank_mask:0xf bound_ctrl:1
	v_cmp_eq_u32_e32 vcc, 1, v7
	s_and_saveexec_b64 s[8:9], vcc
; %bb.147:
	v_cmp_lt_i64_e32 vcc, v[2:3], v[4:5]
	v_and_b32_e32 v1, 0xff, v6
	s_and_b64 vcc, s[0:1], vcc
	v_cndmask_b32_e32 v2, v4, v2, vcc
	v_cndmask_b32_e32 v3, v5, v3, vcc
	v_cndmask_b32_e64 v1, v1, 1, s[0:1]
; %bb.148:
	s_or_b64 exec, exec, s[8:9]
	v_mbcnt_lo_u32_b32 v4, -1, 0
	v_mbcnt_hi_u32_b32 v4, -1, v4
	v_bfrev_b32_e32 v5, 0.5
	v_lshl_or_b32 v5, v4, 2, v5
	ds_bpermute_b32 v6, v5, v1
	ds_bpermute_b32 v2, v5, v2
	;; [unrolled: 1-line block ×3, first 2 shown]
	v_cmp_eq_u32_e32 vcc, 0, v4
	s_and_saveexec_b64 s[0:1], vcc
	s_cbranch_execz .LBB719_150
; %bb.149:
	v_lshrrev_b32_e32 v1, 2, v0
	v_and_b32_e32 v1, 48, v1
	s_waitcnt lgkmcnt(2)
	ds_write_b8 v1, v6 offset:64
	s_waitcnt lgkmcnt(1)
	ds_write_b64 v1, v[2:3] offset:72
.LBB719_150:
	s_or_b64 exec, exec, s[0:1]
	v_cmp_gt_u32_e32 vcc, 64, v0
	s_waitcnt lgkmcnt(0)
	s_barrier
	s_and_saveexec_b64 s[8:9], vcc
	s_cbranch_execz .LBB719_152
; %bb.151:
	v_and_b32_e32 v1, 3, v4
	v_lshlrev_b32_e32 v2, 4, v1
	ds_read_u8 v5, v2 offset:64
	ds_read_b64 v[2:3], v2 offset:72
	v_cmp_ne_u32_e32 vcc, 3, v1
	v_addc_co_u32_e32 v6, vcc, 0, v4, vcc
	s_waitcnt lgkmcnt(1)
	v_and_b32_e32 v7, 0xff, v5
	v_lshlrev_b32_e32 v8, 2, v6
	ds_bpermute_b32 v9, v8, v7
	s_waitcnt lgkmcnt(1)
	ds_bpermute_b32 v6, v8, v2
	ds_bpermute_b32 v7, v8, v3
	v_and_b32_e32 v8, 1, v5
	s_waitcnt lgkmcnt(2)
	v_and_b32_e32 v10, 1, v9
	v_cmp_eq_u32_e64 s[0:1], 1, v10
	s_waitcnt lgkmcnt(0)
	v_cmp_lt_i64_e32 vcc, v[6:7], v[2:3]
	s_and_b64 vcc, s[0:1], vcc
	v_cndmask_b32_e64 v5, v5, 1, s[0:1]
	v_cndmask_b32_e32 v2, v2, v6, vcc
	v_cndmask_b32_e32 v3, v3, v7, vcc
	v_cmp_eq_u32_e32 vcc, 1, v8
	v_cndmask_b32_e32 v8, v9, v5, vcc
	v_cndmask_b32_e32 v3, v7, v3, vcc
	;; [unrolled: 1-line block ×3, first 2 shown]
	v_cmp_gt_u32_e32 vcc, 2, v1
	v_cndmask_b32_e64 v1, 0, 1, vcc
	v_lshlrev_b32_e32 v1, 1, v1
	v_and_b32_e32 v5, 0xff, v8
	v_add_lshl_u32 v1, v1, v4, 2
	ds_bpermute_b32 v6, v1, v5
	ds_bpermute_b32 v4, v1, v2
	;; [unrolled: 1-line block ×3, first 2 shown]
	v_and_b32_e32 v1, 1, v8
	s_waitcnt lgkmcnt(2)
	v_and_b32_e32 v7, 1, v6
	v_cmp_eq_u32_e64 s[0:1], 1, v7
	s_waitcnt lgkmcnt(0)
	v_cmp_lt_i64_e32 vcc, v[4:5], v[2:3]
	s_and_b64 vcc, s[0:1], vcc
	v_cndmask_b32_e64 v7, v8, 1, s[0:1]
	v_cndmask_b32_e32 v2, v2, v4, vcc
	v_cndmask_b32_e32 v3, v3, v5, vcc
	v_cmp_eq_u32_e32 vcc, 1, v1
	v_cndmask_b32_e32 v1, v6, v7, vcc
	v_cndmask_b32_e32 v3, v5, v3, vcc
	;; [unrolled: 1-line block ×3, first 2 shown]
	v_and_b32_e32 v6, 0xff, v1
.LBB719_152:
	s_or_b64 exec, exec, s[8:9]
	s_branch .LBB719_183
.LBB719_153:
                                        ; implicit-def: $vgpr4_vgpr5
                                        ; implicit-def: $vgpr1
	s_cbranch_execnz .LBB719_188
	s_branch .LBB719_208
.LBB719_154:
                                        ; implicit-def: $vgpr4_vgpr5
                                        ; implicit-def: $vgpr1
	s_branch .LBB719_208
.LBB719_155:
                                        ; implicit-def: $vgpr2_vgpr3
                                        ; implicit-def: $vgpr6
	s_cbranch_execz .LBB719_183
; %bb.156:
	s_sub_i32 s14, s22, s14
	s_waitcnt lgkmcnt(0)
	v_pk_mov_b32 v[4:5], 0, 0
	v_cmp_gt_u32_e32 vcc, s14, v0
	v_mov_b32_e32 v1, 0
	v_pk_mov_b32 v[2:3], v[4:5], v[4:5] op_sel:[0,1]
	v_mov_b32_e32 v7, 0
	s_and_saveexec_b64 s[0:1], vcc
	s_cbranch_execz .LBB719_158
; %bb.157:
	global_load_ubyte v6, v0, s[2:3]
	v_mov_b32_e32 v3, s13
	v_add_co_u32_e32 v2, vcc, s12, v0
	v_addc_co_u32_e32 v3, vcc, 0, v3, vcc
	s_waitcnt vmcnt(0)
	v_cmp_eq_u16_sdwa s[8:9], v6, s31 src0_sel:DWORD src1_sel:BYTE_0
	v_cndmask_b32_e64 v7, 0, 1, s[8:9]
.LBB719_158:
	s_or_b64 exec, exec, s[0:1]
	v_or_b32_e32 v6, 0x100, v0
	v_cmp_gt_u32_e32 vcc, s14, v6
	s_and_saveexec_b64 s[8:9], vcc
	s_cbranch_execz .LBB719_160
; %bb.159:
	global_load_ubyte v1, v0, s[2:3] offset:256
	v_mov_b32_e32 v5, s13
	v_add_co_u32_e64 v4, s[0:1], s12, v6
	v_addc_co_u32_e64 v5, s[0:1], 0, v5, s[0:1]
	s_waitcnt vmcnt(0)
	v_cmp_eq_u16_sdwa s[0:1], v1, s31 src0_sel:DWORD src1_sel:BYTE_0
	v_cndmask_b32_e64 v1, 0, 1, s[0:1]
.LBB719_160:
	s_or_b64 exec, exec, s[8:9]
	s_and_saveexec_b64 s[2:3], vcc
	s_cbranch_execz .LBB719_162
; %bb.161:
	v_and_b32_e32 v8, 1, v1
	v_cmp_lt_i64_e32 vcc, v[4:5], v[2:3]
	v_cmp_eq_u32_e64 s[0:1], 1, v8
	v_and_b32_e32 v6, 1, v7
	s_and_b64 vcc, s[0:1], vcc
	v_cndmask_b32_e64 v7, v7, 1, s[0:1]
	v_cndmask_b32_e32 v2, v2, v4, vcc
	v_cndmask_b32_e32 v3, v3, v5, vcc
	v_cmp_eq_u32_e32 vcc, 1, v6
	v_cndmask_b32_e32 v7, v1, v7, vcc
	v_cndmask_b32_e32 v3, v5, v3, vcc
	;; [unrolled: 1-line block ×3, first 2 shown]
.LBB719_162:
	s_or_b64 exec, exec, s[2:3]
	v_mbcnt_lo_u32_b32 v1, -1, 0
	v_mbcnt_hi_u32_b32 v1, -1, v1
	v_and_b32_e32 v8, 63, v1
	v_cmp_ne_u32_e32 vcc, 63, v8
	v_addc_co_u32_e32 v4, vcc, 0, v1, vcc
	v_and_b32_e32 v6, 0xffff, v7
	v_lshlrev_b32_e32 v5, 2, v4
	ds_bpermute_b32 v10, v5, v6
	ds_bpermute_b32 v4, v5, v2
	;; [unrolled: 1-line block ×3, first 2 shown]
	s_min_u32 s8, s14, 0x100
	v_and_b32_e32 v9, 0xc0, v0
	v_sub_u32_e64 v9, s8, v9 clamp
	v_add_u32_e32 v11, 1, v8
	v_cmp_lt_u32_e32 vcc, v11, v9
	s_and_saveexec_b64 s[2:3], vcc
	s_cbranch_execz .LBB719_164
; %bb.163:
	s_waitcnt lgkmcnt(2)
	v_and_b32_e32 v11, 1, v10
	s_waitcnt lgkmcnt(0)
	v_cmp_lt_i64_e32 vcc, v[4:5], v[2:3]
	v_cmp_eq_u32_e64 s[0:1], 1, v11
	v_and_b32_e32 v6, 1, v7
	s_and_b64 vcc, s[0:1], vcc
	v_cndmask_b32_e64 v7, v7, 1, s[0:1]
	v_cndmask_b32_e32 v2, v2, v4, vcc
	v_cndmask_b32_e32 v3, v3, v5, vcc
	v_cmp_eq_u32_e32 vcc, 1, v6
	v_cndmask_b32_e32 v7, v10, v7, vcc
	v_cndmask_b32_e32 v3, v5, v3, vcc
	v_cndmask_b32_e32 v2, v4, v2, vcc
	v_and_b32_e32 v6, 0xff, v7
.LBB719_164:
	s_or_b64 exec, exec, s[2:3]
	v_cmp_gt_u32_e32 vcc, 62, v8
	s_waitcnt lgkmcnt(1)
	v_cndmask_b32_e64 v4, 0, 1, vcc
	v_lshlrev_b32_e32 v4, 1, v4
	s_waitcnt lgkmcnt(0)
	v_add_lshl_u32 v5, v4, v1, 2
	ds_bpermute_b32 v10, v5, v6
	ds_bpermute_b32 v4, v5, v2
	ds_bpermute_b32 v5, v5, v3
	v_add_u32_e32 v11, 2, v8
	v_cmp_lt_u32_e32 vcc, v11, v9
	s_and_saveexec_b64 s[2:3], vcc
	s_cbranch_execz .LBB719_166
; %bb.165:
	s_waitcnt lgkmcnt(2)
	v_and_b32_e32 v11, 1, v10
	s_waitcnt lgkmcnt(0)
	v_cmp_lt_i64_e32 vcc, v[4:5], v[2:3]
	v_cmp_eq_u32_e64 s[0:1], 1, v11
	v_and_b32_e32 v6, 1, v7
	s_and_b64 vcc, s[0:1], vcc
	v_cndmask_b32_e64 v7, v7, 1, s[0:1]
	v_cndmask_b32_e32 v2, v2, v4, vcc
	v_cndmask_b32_e32 v3, v3, v5, vcc
	v_cmp_eq_u32_e32 vcc, 1, v6
	v_cndmask_b32_e32 v7, v10, v7, vcc
	v_cndmask_b32_e32 v3, v5, v3, vcc
	v_cndmask_b32_e32 v2, v4, v2, vcc
	v_and_b32_e32 v6, 0xff, v7
.LBB719_166:
	s_or_b64 exec, exec, s[2:3]
	v_cmp_gt_u32_e32 vcc, 60, v8
	s_waitcnt lgkmcnt(1)
	v_cndmask_b32_e64 v4, 0, 1, vcc
	v_lshlrev_b32_e32 v4, 2, v4
	s_waitcnt lgkmcnt(0)
	v_add_lshl_u32 v5, v4, v1, 2
	ds_bpermute_b32 v10, v5, v6
	ds_bpermute_b32 v4, v5, v2
	ds_bpermute_b32 v5, v5, v3
	v_add_u32_e32 v11, 4, v8
	v_cmp_lt_u32_e32 vcc, v11, v9
	s_and_saveexec_b64 s[2:3], vcc
	s_cbranch_execz .LBB719_168
; %bb.167:
	s_waitcnt lgkmcnt(2)
	v_and_b32_e32 v11, 1, v10
	s_waitcnt lgkmcnt(0)
	v_cmp_lt_i64_e32 vcc, v[4:5], v[2:3]
	v_cmp_eq_u32_e64 s[0:1], 1, v11
	v_and_b32_e32 v6, 1, v7
	s_and_b64 vcc, s[0:1], vcc
	v_cndmask_b32_e64 v7, v7, 1, s[0:1]
	v_cndmask_b32_e32 v2, v2, v4, vcc
	v_cndmask_b32_e32 v3, v3, v5, vcc
	v_cmp_eq_u32_e32 vcc, 1, v6
	v_cndmask_b32_e32 v7, v10, v7, vcc
	v_cndmask_b32_e32 v3, v5, v3, vcc
	v_cndmask_b32_e32 v2, v4, v2, vcc
	v_and_b32_e32 v6, 0xff, v7
.LBB719_168:
	s_or_b64 exec, exec, s[2:3]
	v_cmp_gt_u32_e32 vcc, 56, v8
	s_waitcnt lgkmcnt(1)
	v_cndmask_b32_e64 v4, 0, 1, vcc
	v_lshlrev_b32_e32 v4, 3, v4
	s_waitcnt lgkmcnt(0)
	v_add_lshl_u32 v5, v4, v1, 2
	ds_bpermute_b32 v10, v5, v6
	ds_bpermute_b32 v4, v5, v2
	ds_bpermute_b32 v5, v5, v3
	v_add_u32_e32 v11, 8, v8
	v_cmp_lt_u32_e32 vcc, v11, v9
	s_and_saveexec_b64 s[2:3], vcc
	s_cbranch_execz .LBB719_170
; %bb.169:
	s_waitcnt lgkmcnt(2)
	v_and_b32_e32 v11, 1, v10
	s_waitcnt lgkmcnt(0)
	v_cmp_lt_i64_e32 vcc, v[4:5], v[2:3]
	v_cmp_eq_u32_e64 s[0:1], 1, v11
	v_and_b32_e32 v6, 1, v7
	s_and_b64 vcc, s[0:1], vcc
	v_cndmask_b32_e64 v7, v7, 1, s[0:1]
	v_cndmask_b32_e32 v2, v2, v4, vcc
	v_cndmask_b32_e32 v3, v3, v5, vcc
	v_cmp_eq_u32_e32 vcc, 1, v6
	v_cndmask_b32_e32 v7, v10, v7, vcc
	v_cndmask_b32_e32 v3, v5, v3, vcc
	v_cndmask_b32_e32 v2, v4, v2, vcc
	v_and_b32_e32 v6, 0xff, v7
.LBB719_170:
	s_or_b64 exec, exec, s[2:3]
	v_cmp_gt_u32_e32 vcc, 48, v8
	s_waitcnt lgkmcnt(1)
	v_cndmask_b32_e64 v4, 0, 1, vcc
	v_lshlrev_b32_e32 v4, 4, v4
	s_waitcnt lgkmcnt(0)
	v_add_lshl_u32 v5, v4, v1, 2
	ds_bpermute_b32 v10, v5, v6
	ds_bpermute_b32 v4, v5, v2
	ds_bpermute_b32 v5, v5, v3
	v_add_u32_e32 v11, 16, v8
	v_cmp_lt_u32_e32 vcc, v11, v9
	s_and_saveexec_b64 s[2:3], vcc
	s_cbranch_execz .LBB719_172
; %bb.171:
	s_waitcnt lgkmcnt(2)
	v_and_b32_e32 v11, 1, v10
	s_waitcnt lgkmcnt(0)
	v_cmp_lt_i64_e32 vcc, v[4:5], v[2:3]
	v_cmp_eq_u32_e64 s[0:1], 1, v11
	v_and_b32_e32 v6, 1, v7
	s_and_b64 vcc, s[0:1], vcc
	v_cndmask_b32_e64 v7, v7, 1, s[0:1]
	v_cndmask_b32_e32 v2, v2, v4, vcc
	v_cndmask_b32_e32 v3, v3, v5, vcc
	v_cmp_eq_u32_e32 vcc, 1, v6
	v_cndmask_b32_e32 v7, v10, v7, vcc
	v_cndmask_b32_e32 v3, v5, v3, vcc
	v_cndmask_b32_e32 v2, v4, v2, vcc
	v_and_b32_e32 v6, 0xff, v7
.LBB719_172:
	s_or_b64 exec, exec, s[2:3]
	v_cmp_gt_u32_e32 vcc, 32, v8
	s_waitcnt lgkmcnt(1)
	v_cndmask_b32_e64 v4, 0, 1, vcc
	v_lshlrev_b32_e32 v4, 5, v4
	s_waitcnt lgkmcnt(0)
	v_add_lshl_u32 v5, v4, v1, 2
	ds_bpermute_b32 v10, v5, v6
	ds_bpermute_b32 v4, v5, v2
	ds_bpermute_b32 v5, v5, v3
	v_add_u32_e32 v8, 32, v8
	v_cmp_lt_u32_e32 vcc, v8, v9
	s_and_saveexec_b64 s[2:3], vcc
	s_cbranch_execz .LBB719_174
; %bb.173:
	s_waitcnt lgkmcnt(2)
	v_and_b32_e32 v8, 1, v10
	s_waitcnt lgkmcnt(0)
	v_cmp_lt_i64_e32 vcc, v[4:5], v[2:3]
	v_cmp_eq_u32_e64 s[0:1], 1, v8
	v_and_b32_e32 v6, 1, v7
	s_and_b64 vcc, s[0:1], vcc
	v_cndmask_b32_e64 v7, v7, 1, s[0:1]
	v_cndmask_b32_e32 v2, v2, v4, vcc
	v_cndmask_b32_e32 v3, v3, v5, vcc
	v_cmp_eq_u32_e32 vcc, 1, v6
	v_cndmask_b32_e32 v7, v10, v7, vcc
	v_cndmask_b32_e32 v3, v5, v3, vcc
	;; [unrolled: 1-line block ×3, first 2 shown]
	v_and_b32_e32 v6, 0xff, v7
.LBB719_174:
	s_or_b64 exec, exec, s[2:3]
	v_cmp_eq_u32_e32 vcc, 0, v1
	s_and_saveexec_b64 s[0:1], vcc
	s_cbranch_execz .LBB719_176
; %bb.175:
	s_waitcnt lgkmcnt(1)
	v_lshrrev_b32_e32 v4, 2, v0
	v_and_b32_e32 v4, 48, v4
	ds_write_b8 v4, v7 offset:256
	ds_write_b64 v4, v[2:3] offset:264
.LBB719_176:
	s_or_b64 exec, exec, s[0:1]
	v_cmp_gt_u32_e32 vcc, 4, v0
	s_waitcnt lgkmcnt(0)
	s_barrier
	s_and_saveexec_b64 s[2:3], vcc
	s_cbranch_execz .LBB719_182
; %bb.177:
	v_lshlrev_b32_e32 v2, 4, v1
	ds_read_u8 v7, v2 offset:256
	ds_read_b64 v[2:3], v2 offset:264
	v_and_b32_e32 v8, 3, v1
	v_cmp_ne_u32_e32 vcc, 3, v8
	v_addc_co_u32_e32 v4, vcc, 0, v1, vcc
	s_waitcnt lgkmcnt(1)
	v_and_b32_e32 v6, 0xff, v7
	v_lshlrev_b32_e32 v5, 2, v4
	ds_bpermute_b32 v9, v5, v6
	s_waitcnt lgkmcnt(1)
	ds_bpermute_b32 v4, v5, v2
	ds_bpermute_b32 v5, v5, v3
	s_add_i32 s8, s8, 63
	s_lshr_b32 s12, s8, 6
	v_add_u32_e32 v10, 1, v8
	v_cmp_gt_u32_e32 vcc, s12, v10
	s_and_saveexec_b64 s[8:9], vcc
	s_cbranch_execz .LBB719_179
; %bb.178:
	s_waitcnt lgkmcnt(2)
	v_and_b32_e32 v10, 1, v9
	s_waitcnt lgkmcnt(0)
	v_cmp_lt_i64_e32 vcc, v[4:5], v[2:3]
	v_cmp_eq_u32_e64 s[0:1], 1, v10
	v_and_b32_e32 v6, 1, v7
	s_and_b64 vcc, s[0:1], vcc
	v_cndmask_b32_e64 v7, v7, 1, s[0:1]
	v_cndmask_b32_e32 v2, v2, v4, vcc
	v_cndmask_b32_e32 v3, v3, v5, vcc
	v_cmp_eq_u32_e32 vcc, 1, v6
	v_cndmask_b32_e32 v7, v9, v7, vcc
	v_cndmask_b32_e32 v3, v5, v3, vcc
	;; [unrolled: 1-line block ×3, first 2 shown]
	v_and_b32_e32 v6, 0xff, v7
.LBB719_179:
	s_or_b64 exec, exec, s[8:9]
	v_cmp_gt_u32_e32 vcc, 2, v8
	s_waitcnt lgkmcnt(1)
	v_cndmask_b32_e64 v4, 0, 1, vcc
	v_lshlrev_b32_e32 v4, 1, v4
	s_waitcnt lgkmcnt(0)
	v_add_lshl_u32 v5, v4, v1, 2
	ds_bpermute_b32 v1, v5, v6
	ds_bpermute_b32 v4, v5, v2
	;; [unrolled: 1-line block ×3, first 2 shown]
	v_add_u32_e32 v8, 2, v8
	v_cmp_gt_u32_e32 vcc, s12, v8
	s_and_saveexec_b64 s[8:9], vcc
	s_cbranch_execz .LBB719_181
; %bb.180:
	s_waitcnt lgkmcnt(2)
	v_and_b32_e32 v8, 1, v1
	s_waitcnt lgkmcnt(0)
	v_cmp_lt_i64_e32 vcc, v[4:5], v[2:3]
	v_cmp_eq_u32_e64 s[0:1], 1, v8
	v_and_b32_e32 v6, 1, v7
	s_and_b64 vcc, s[0:1], vcc
	v_cndmask_b32_e64 v7, v7, 1, s[0:1]
	v_cndmask_b32_e32 v2, v2, v4, vcc
	v_cndmask_b32_e32 v3, v3, v5, vcc
	v_cmp_eq_u32_e32 vcc, 1, v6
	v_cndmask_b32_e32 v1, v1, v7, vcc
	v_cndmask_b32_e32 v3, v5, v3, vcc
	v_cndmask_b32_e32 v2, v4, v2, vcc
	v_and_b32_e32 v6, 0xff, v1
.LBB719_181:
	s_or_b64 exec, exec, s[8:9]
.LBB719_182:
	s_or_b64 exec, exec, s[2:3]
.LBB719_183:
	v_cmp_eq_u32_e32 vcc, 0, v0
                                        ; implicit-def: $vgpr4_vgpr5
                                        ; implicit-def: $vgpr1
	s_and_saveexec_b64 s[0:1], vcc
	s_xor_b64 s[8:9], exec, s[0:1]
	s_cbranch_execz .LBB719_187
; %bb.184:
	s_cmp_eq_u64 s[22:23], 0
	s_waitcnt lgkmcnt(0)
	v_pk_mov_b32 v[4:5], s[18:19], s[18:19] op_sel:[0,1]
	v_mov_b32_e32 v1, s30
	s_cbranch_scc1 .LBB719_186
; %bb.185:
	v_and_b32_e32 v1, 1, v6
	s_bitcmp1_b32 s30, 0
	v_mov_b32_e32 v4, s30
	v_cmp_eq_u32_e32 vcc, 1, v1
	v_cmp_gt_i64_e64 s[2:3], s[18:19], v[2:3]
	v_cndmask_b32_e64 v1, v4, 1, vcc
	s_cselect_b64 s[0:1], -1, 0
	v_mov_b32_e32 v4, s18
	s_and_b64 vcc, vcc, s[2:3]
	v_mov_b32_e32 v5, s19
	v_cndmask_b32_e32 v4, v4, v2, vcc
	v_cndmask_b32_e32 v5, v5, v3, vcc
	v_cndmask_b32_e64 v1, v6, v1, s[0:1]
	v_cndmask_b32_e64 v5, v3, v5, s[0:1]
	v_cndmask_b32_e64 v4, v2, v4, s[0:1]
.LBB719_186:
	s_or_b64 s[10:11], s[10:11], exec
.LBB719_187:
	s_or_b64 exec, exec, s[8:9]
	s_branch .LBB719_208
.LBB719_188:
	s_cmp_eq_u32 s33, 1
	s_cbranch_scc0 .LBB719_207
; %bb.189:
	s_lshl_b32 s8, s6, 8
	s_mov_b32 s7, 0
	s_lshr_b64 s[0:1], s[22:23], 8
	s_cmp_lg_u64 s[0:1], s[6:7]
	s_cbranch_scc0 .LBB719_211
; %bb.190:
	s_add_u32 s0, s24, s8
	s_addc_u32 s1, s25, 0
	s_waitcnt lgkmcnt(2)
	global_load_ubyte v1, v0, s[0:1]
	s_add_u32 s0, s20, s8
	s_addc_u32 s1, s21, 0
	v_mov_b32_e32 v3, s1
	v_add_co_u32_e32 v2, vcc, s0, v0
	v_addc_co_u32_e32 v3, vcc, 0, v3, vcc
	s_waitcnt lgkmcnt(1)
	v_mov_b32_dpp v4, v2 quad_perm:[1,0,3,2] row_mask:0xf bank_mask:0xf bound_ctrl:1
	s_waitcnt lgkmcnt(0)
	v_mov_b32_dpp v5, v3 quad_perm:[1,0,3,2] row_mask:0xf bank_mask:0xf bound_ctrl:1
	s_waitcnt vmcnt(0)
	v_cmp_eq_u16_sdwa s[2:3], v1, s31 src0_sel:DWORD src1_sel:BYTE_0
	v_cndmask_b32_e64 v1, 0, 1, s[2:3]
	v_cndmask_b32_e64 v6, 0, 1, s[2:3]
	s_nop 0
	v_mov_b32_dpp v1, v1 quad_perm:[1,0,3,2] row_mask:0xf bank_mask:0xf bound_ctrl:1
	v_and_b32_e32 v7, 1, v1
	v_cmp_eq_u32_e32 vcc, 1, v7
	s_and_saveexec_b64 s[0:1], vcc
; %bb.191:
	v_cmp_lt_i64_e32 vcc, v[2:3], v[4:5]
	s_and_b64 vcc, s[2:3], vcc
	v_cndmask_b32_e64 v6, v1, 1, s[2:3]
	v_cndmask_b32_e32 v3, v5, v3, vcc
	v_cndmask_b32_e32 v2, v4, v2, vcc
; %bb.192:
	s_or_b64 exec, exec, s[0:1]
	v_and_b32_e32 v1, 0xff, v6
	v_and_b32_e32 v6, 1, v6
	v_mov_b32_dpp v4, v2 quad_perm:[2,3,0,1] row_mask:0xf bank_mask:0xf bound_ctrl:1
	v_mov_b32_dpp v7, v1 quad_perm:[2,3,0,1] row_mask:0xf bank_mask:0xf bound_ctrl:1
	v_and_b32_e32 v8, 1, v7
	v_mov_b32_dpp v5, v3 quad_perm:[2,3,0,1] row_mask:0xf bank_mask:0xf bound_ctrl:1
	v_cmp_eq_u32_e32 vcc, 1, v8
	v_cmp_eq_u32_e64 s[0:1], 1, v6
	s_and_saveexec_b64 s[2:3], vcc
; %bb.193:
	v_cmp_lt_i64_e32 vcc, v[2:3], v[4:5]
	v_cndmask_b32_e64 v6, v7, 1, s[0:1]
	s_and_b64 vcc, s[0:1], vcc
	v_cndmask_b32_e32 v2, v4, v2, vcc
	v_and_b32_e32 v4, 1, v6
	v_cndmask_b32_e32 v3, v5, v3, vcc
	v_cmp_eq_u32_e32 vcc, 1, v4
	s_andn2_b64 s[0:1], s[0:1], exec
	s_and_b64 s[12:13], vcc, exec
	v_and_b32_e32 v1, 0xff, v6
	s_or_b64 s[0:1], s[0:1], s[12:13]
; %bb.194:
	s_or_b64 exec, exec, s[2:3]
	v_mov_b32_dpp v6, v1 row_ror:4 row_mask:0xf bank_mask:0xf bound_ctrl:1
	v_and_b32_e32 v7, 1, v6
	v_mov_b32_dpp v4, v2 row_ror:4 row_mask:0xf bank_mask:0xf bound_ctrl:1
	v_mov_b32_dpp v5, v3 row_ror:4 row_mask:0xf bank_mask:0xf bound_ctrl:1
	v_cmp_eq_u32_e32 vcc, 1, v7
	s_and_saveexec_b64 s[2:3], vcc
; %bb.195:
	v_cmp_lt_i64_e32 vcc, v[2:3], v[4:5]
	v_cndmask_b32_e64 v6, v6, 1, s[0:1]
	s_and_b64 vcc, s[0:1], vcc
	v_cndmask_b32_e32 v2, v4, v2, vcc
	v_and_b32_e32 v4, 1, v6
	v_cndmask_b32_e32 v3, v5, v3, vcc
	v_cmp_eq_u32_e32 vcc, 1, v4
	s_andn2_b64 s[0:1], s[0:1], exec
	s_and_b64 s[12:13], vcc, exec
	v_and_b32_e32 v1, 0xff, v6
	s_or_b64 s[0:1], s[0:1], s[12:13]
; %bb.196:
	s_or_b64 exec, exec, s[2:3]
	v_mov_b32_dpp v6, v1 row_ror:8 row_mask:0xf bank_mask:0xf bound_ctrl:1
	v_and_b32_e32 v7, 1, v6
	v_mov_b32_dpp v4, v2 row_ror:8 row_mask:0xf bank_mask:0xf bound_ctrl:1
	v_mov_b32_dpp v5, v3 row_ror:8 row_mask:0xf bank_mask:0xf bound_ctrl:1
	v_cmp_eq_u32_e32 vcc, 1, v7
	s_and_saveexec_b64 s[2:3], vcc
; %bb.197:
	v_cmp_lt_i64_e32 vcc, v[2:3], v[4:5]
	v_cndmask_b32_e64 v6, v6, 1, s[0:1]
	s_and_b64 vcc, s[0:1], vcc
	v_cndmask_b32_e32 v2, v4, v2, vcc
	v_and_b32_e32 v4, 1, v6
	v_cndmask_b32_e32 v3, v5, v3, vcc
	v_cmp_eq_u32_e32 vcc, 1, v4
	s_andn2_b64 s[0:1], s[0:1], exec
	s_and_b64 s[12:13], vcc, exec
	v_and_b32_e32 v1, 0xff, v6
	s_or_b64 s[0:1], s[0:1], s[12:13]
; %bb.198:
	s_or_b64 exec, exec, s[2:3]
	v_mov_b32_dpp v6, v1 row_bcast:15 row_mask:0xf bank_mask:0xf bound_ctrl:1
	v_and_b32_e32 v7, 1, v6
	v_mov_b32_dpp v4, v2 row_bcast:15 row_mask:0xf bank_mask:0xf bound_ctrl:1
	v_mov_b32_dpp v5, v3 row_bcast:15 row_mask:0xf bank_mask:0xf bound_ctrl:1
	v_cmp_eq_u32_e32 vcc, 1, v7
	s_and_saveexec_b64 s[2:3], vcc
; %bb.199:
	v_cmp_lt_i64_e32 vcc, v[2:3], v[4:5]
	v_cndmask_b32_e64 v6, v6, 1, s[0:1]
	s_and_b64 vcc, s[0:1], vcc
	v_cndmask_b32_e32 v2, v4, v2, vcc
	v_and_b32_e32 v4, 1, v6
	v_cndmask_b32_e32 v3, v5, v3, vcc
	v_cmp_eq_u32_e32 vcc, 1, v4
	s_andn2_b64 s[0:1], s[0:1], exec
	s_and_b64 s[12:13], vcc, exec
	v_and_b32_e32 v1, 0xff, v6
	s_or_b64 s[0:1], s[0:1], s[12:13]
; %bb.200:
	s_or_b64 exec, exec, s[2:3]
	v_mov_b32_dpp v6, v1 row_bcast:31 row_mask:0xf bank_mask:0xf bound_ctrl:1
	v_and_b32_e32 v7, 1, v6
	v_mov_b32_dpp v4, v2 row_bcast:31 row_mask:0xf bank_mask:0xf bound_ctrl:1
	v_mov_b32_dpp v5, v3 row_bcast:31 row_mask:0xf bank_mask:0xf bound_ctrl:1
	v_cmp_eq_u32_e32 vcc, 1, v7
	s_and_saveexec_b64 s[2:3], vcc
; %bb.201:
	v_cmp_lt_i64_e32 vcc, v[2:3], v[4:5]
	v_and_b32_e32 v1, 0xff, v6
	s_and_b64 vcc, s[0:1], vcc
	v_cndmask_b32_e32 v2, v4, v2, vcc
	v_cndmask_b32_e32 v3, v5, v3, vcc
	v_cndmask_b32_e64 v1, v1, 1, s[0:1]
; %bb.202:
	s_or_b64 exec, exec, s[2:3]
	v_mbcnt_lo_u32_b32 v4, -1, 0
	v_mbcnt_hi_u32_b32 v4, -1, v4
	v_bfrev_b32_e32 v5, 0.5
	v_lshl_or_b32 v5, v4, 2, v5
	ds_bpermute_b32 v6, v5, v1
	ds_bpermute_b32 v2, v5, v2
	;; [unrolled: 1-line block ×3, first 2 shown]
	v_cmp_eq_u32_e32 vcc, 0, v4
	s_and_saveexec_b64 s[0:1], vcc
	s_cbranch_execz .LBB719_204
; %bb.203:
	v_lshrrev_b32_e32 v1, 2, v0
	v_and_b32_e32 v1, 48, v1
	s_waitcnt lgkmcnt(2)
	ds_write_b8 v1, v6
	s_waitcnt lgkmcnt(1)
	ds_write_b64 v1, v[2:3] offset:8
.LBB719_204:
	s_or_b64 exec, exec, s[0:1]
	v_cmp_gt_u32_e32 vcc, 64, v0
	s_waitcnt lgkmcnt(0)
	s_barrier
	s_and_saveexec_b64 s[2:3], vcc
	s_cbranch_execz .LBB719_206
; %bb.205:
	v_and_b32_e32 v1, 3, v4
	v_lshlrev_b32_e32 v2, 4, v1
	ds_read_u8 v5, v2
	ds_read_b64 v[2:3], v2 offset:8
	v_cmp_ne_u32_e32 vcc, 3, v1
	v_addc_co_u32_e32 v6, vcc, 0, v4, vcc
	s_waitcnt lgkmcnt(1)
	v_and_b32_e32 v7, 0xff, v5
	v_lshlrev_b32_e32 v8, 2, v6
	ds_bpermute_b32 v9, v8, v7
	s_waitcnt lgkmcnt(1)
	ds_bpermute_b32 v6, v8, v2
	ds_bpermute_b32 v7, v8, v3
	v_and_b32_e32 v8, 1, v5
	s_waitcnt lgkmcnt(2)
	v_and_b32_e32 v10, 1, v9
	v_cmp_eq_u32_e64 s[0:1], 1, v10
	s_waitcnt lgkmcnt(0)
	v_cmp_lt_i64_e32 vcc, v[6:7], v[2:3]
	s_and_b64 vcc, s[0:1], vcc
	v_cndmask_b32_e64 v5, v5, 1, s[0:1]
	v_cndmask_b32_e32 v2, v2, v6, vcc
	v_cndmask_b32_e32 v3, v3, v7, vcc
	v_cmp_eq_u32_e32 vcc, 1, v8
	v_cndmask_b32_e32 v8, v9, v5, vcc
	v_cndmask_b32_e32 v3, v7, v3, vcc
	;; [unrolled: 1-line block ×3, first 2 shown]
	v_cmp_gt_u32_e32 vcc, 2, v1
	v_cndmask_b32_e64 v1, 0, 1, vcc
	v_lshlrev_b32_e32 v1, 1, v1
	v_and_b32_e32 v5, 0xff, v8
	v_add_lshl_u32 v1, v1, v4, 2
	ds_bpermute_b32 v6, v1, v5
	ds_bpermute_b32 v4, v1, v2
	;; [unrolled: 1-line block ×3, first 2 shown]
	v_and_b32_e32 v1, 1, v8
	s_waitcnt lgkmcnt(2)
	v_and_b32_e32 v7, 1, v6
	v_cmp_eq_u32_e64 s[0:1], 1, v7
	s_waitcnt lgkmcnt(0)
	v_cmp_lt_i64_e32 vcc, v[4:5], v[2:3]
	s_and_b64 vcc, s[0:1], vcc
	v_cndmask_b32_e64 v7, v8, 1, s[0:1]
	v_cndmask_b32_e32 v2, v2, v4, vcc
	v_cndmask_b32_e32 v3, v3, v5, vcc
	v_cmp_eq_u32_e32 vcc, 1, v1
	v_cndmask_b32_e32 v1, v6, v7, vcc
	v_cndmask_b32_e32 v3, v5, v3, vcc
	;; [unrolled: 1-line block ×3, first 2 shown]
	v_and_b32_e32 v6, 0xff, v1
.LBB719_206:
	s_or_b64 exec, exec, s[2:3]
	s_branch .LBB719_235
.LBB719_207:
                                        ; implicit-def: $vgpr4_vgpr5
                                        ; implicit-def: $vgpr1
                                        ; implicit-def: $sgpr6_sgpr7
.LBB719_208:
	s_and_saveexec_b64 s[0:1], s[10:11]
	s_cbranch_execz .LBB719_210
.LBB719_209:
	s_load_dwordx2 s[0:1], s[4:5], 0x28
	s_lshl_b64 s[2:3], s[6:7], 4
	v_mov_b32_e32 v0, 0
	s_waitcnt lgkmcnt(0)
	s_add_u32 s0, s0, s2
	s_addc_u32 s1, s1, s3
	global_store_byte v0, v1, s[0:1]
	global_store_dwordx2 v0, v[4:5], s[0:1] offset:8
.LBB719_210:
	s_endpgm
.LBB719_211:
                                        ; implicit-def: $vgpr2_vgpr3
                                        ; implicit-def: $vgpr6
	s_cbranch_execz .LBB719_235
; %bb.212:
	s_sub_i32 s2, s22, s8
	v_cmp_gt_u32_e32 vcc, s2, v0
	v_pk_mov_b32 v[2:3], 0, 0
	v_mov_b32_e32 v7, 0
	s_and_saveexec_b64 s[0:1], vcc
	s_cbranch_execz .LBB719_214
; %bb.213:
	s_add_u32 s3, s20, s8
	s_addc_u32 s12, s21, 0
	s_add_u32 s8, s24, s8
	s_addc_u32 s9, s25, 0
	s_waitcnt lgkmcnt(2)
	global_load_ubyte v1, v0, s[8:9]
	v_mov_b32_e32 v3, s12
	v_add_co_u32_e32 v2, vcc, s3, v0
	v_addc_co_u32_e32 v3, vcc, 0, v3, vcc
	s_waitcnt vmcnt(0)
	v_cmp_eq_u16_sdwa s[8:9], v1, s31 src0_sel:DWORD src1_sel:BYTE_0
	v_cndmask_b32_e64 v7, 0, 1, s[8:9]
.LBB719_214:
	s_or_b64 exec, exec, s[0:1]
	s_waitcnt lgkmcnt(2)
	v_mbcnt_lo_u32_b32 v1, -1, 0
	v_mbcnt_hi_u32_b32 v1, -1, v1
	v_and_b32_e32 v8, 63, v1
	v_cmp_ne_u32_e32 vcc, 63, v8
	s_waitcnt lgkmcnt(1)
	v_addc_co_u32_e32 v4, vcc, 0, v1, vcc
	v_and_b32_e32 v6, 0xffff, v7
	s_waitcnt lgkmcnt(0)
	v_lshlrev_b32_e32 v5, 2, v4
	ds_bpermute_b32 v10, v5, v6
	ds_bpermute_b32 v4, v5, v2
	;; [unrolled: 1-line block ×3, first 2 shown]
	s_min_u32 s8, s2, 0x100
	v_and_b32_e32 v9, 0xc0, v0
	v_sub_u32_e64 v9, s8, v9 clamp
	v_add_u32_e32 v11, 1, v8
	v_cmp_lt_u32_e32 vcc, v11, v9
	s_and_saveexec_b64 s[2:3], vcc
	s_cbranch_execz .LBB719_216
; %bb.215:
	s_waitcnt lgkmcnt(2)
	v_and_b32_e32 v11, 1, v10
	s_waitcnt lgkmcnt(0)
	v_cmp_lt_i64_e32 vcc, v[4:5], v[2:3]
	v_cmp_eq_u32_e64 s[0:1], 1, v11
	v_and_b32_e32 v6, 1, v7
	s_and_b64 vcc, s[0:1], vcc
	v_cndmask_b32_e64 v7, v7, 1, s[0:1]
	v_cndmask_b32_e32 v2, v2, v4, vcc
	v_cndmask_b32_e32 v3, v3, v5, vcc
	v_cmp_eq_u32_e32 vcc, 1, v6
	v_cndmask_b32_e32 v7, v10, v7, vcc
	v_cndmask_b32_e32 v3, v5, v3, vcc
	v_cndmask_b32_e32 v2, v4, v2, vcc
	v_and_b32_e32 v6, 0xff, v7
.LBB719_216:
	s_or_b64 exec, exec, s[2:3]
	v_cmp_gt_u32_e32 vcc, 62, v8
	s_waitcnt lgkmcnt(1)
	v_cndmask_b32_e64 v4, 0, 1, vcc
	v_lshlrev_b32_e32 v4, 1, v4
	s_waitcnt lgkmcnt(0)
	v_add_lshl_u32 v5, v4, v1, 2
	ds_bpermute_b32 v10, v5, v6
	ds_bpermute_b32 v4, v5, v2
	ds_bpermute_b32 v5, v5, v3
	v_add_u32_e32 v11, 2, v8
	v_cmp_lt_u32_e32 vcc, v11, v9
	s_and_saveexec_b64 s[2:3], vcc
	s_cbranch_execz .LBB719_218
; %bb.217:
	s_waitcnt lgkmcnt(2)
	v_and_b32_e32 v11, 1, v10
	s_waitcnt lgkmcnt(0)
	v_cmp_lt_i64_e32 vcc, v[4:5], v[2:3]
	v_cmp_eq_u32_e64 s[0:1], 1, v11
	v_and_b32_e32 v6, 1, v7
	s_and_b64 vcc, s[0:1], vcc
	v_cndmask_b32_e64 v7, v7, 1, s[0:1]
	v_cndmask_b32_e32 v2, v2, v4, vcc
	v_cndmask_b32_e32 v3, v3, v5, vcc
	v_cmp_eq_u32_e32 vcc, 1, v6
	v_cndmask_b32_e32 v7, v10, v7, vcc
	v_cndmask_b32_e32 v3, v5, v3, vcc
	v_cndmask_b32_e32 v2, v4, v2, vcc
	v_and_b32_e32 v6, 0xff, v7
.LBB719_218:
	s_or_b64 exec, exec, s[2:3]
	v_cmp_gt_u32_e32 vcc, 60, v8
	s_waitcnt lgkmcnt(1)
	v_cndmask_b32_e64 v4, 0, 1, vcc
	v_lshlrev_b32_e32 v4, 2, v4
	s_waitcnt lgkmcnt(0)
	v_add_lshl_u32 v5, v4, v1, 2
	ds_bpermute_b32 v10, v5, v6
	ds_bpermute_b32 v4, v5, v2
	ds_bpermute_b32 v5, v5, v3
	v_add_u32_e32 v11, 4, v8
	v_cmp_lt_u32_e32 vcc, v11, v9
	s_and_saveexec_b64 s[2:3], vcc
	s_cbranch_execz .LBB719_220
; %bb.219:
	s_waitcnt lgkmcnt(2)
	v_and_b32_e32 v11, 1, v10
	s_waitcnt lgkmcnt(0)
	v_cmp_lt_i64_e32 vcc, v[4:5], v[2:3]
	v_cmp_eq_u32_e64 s[0:1], 1, v11
	v_and_b32_e32 v6, 1, v7
	s_and_b64 vcc, s[0:1], vcc
	v_cndmask_b32_e64 v7, v7, 1, s[0:1]
	v_cndmask_b32_e32 v2, v2, v4, vcc
	v_cndmask_b32_e32 v3, v3, v5, vcc
	v_cmp_eq_u32_e32 vcc, 1, v6
	v_cndmask_b32_e32 v7, v10, v7, vcc
	v_cndmask_b32_e32 v3, v5, v3, vcc
	v_cndmask_b32_e32 v2, v4, v2, vcc
	v_and_b32_e32 v6, 0xff, v7
.LBB719_220:
	s_or_b64 exec, exec, s[2:3]
	v_cmp_gt_u32_e32 vcc, 56, v8
	s_waitcnt lgkmcnt(1)
	v_cndmask_b32_e64 v4, 0, 1, vcc
	v_lshlrev_b32_e32 v4, 3, v4
	s_waitcnt lgkmcnt(0)
	v_add_lshl_u32 v5, v4, v1, 2
	ds_bpermute_b32 v10, v5, v6
	ds_bpermute_b32 v4, v5, v2
	ds_bpermute_b32 v5, v5, v3
	v_add_u32_e32 v11, 8, v8
	v_cmp_lt_u32_e32 vcc, v11, v9
	s_and_saveexec_b64 s[2:3], vcc
	s_cbranch_execz .LBB719_222
; %bb.221:
	s_waitcnt lgkmcnt(2)
	v_and_b32_e32 v11, 1, v10
	s_waitcnt lgkmcnt(0)
	v_cmp_lt_i64_e32 vcc, v[4:5], v[2:3]
	v_cmp_eq_u32_e64 s[0:1], 1, v11
	v_and_b32_e32 v6, 1, v7
	s_and_b64 vcc, s[0:1], vcc
	v_cndmask_b32_e64 v7, v7, 1, s[0:1]
	v_cndmask_b32_e32 v2, v2, v4, vcc
	v_cndmask_b32_e32 v3, v3, v5, vcc
	v_cmp_eq_u32_e32 vcc, 1, v6
	v_cndmask_b32_e32 v7, v10, v7, vcc
	v_cndmask_b32_e32 v3, v5, v3, vcc
	v_cndmask_b32_e32 v2, v4, v2, vcc
	v_and_b32_e32 v6, 0xff, v7
.LBB719_222:
	s_or_b64 exec, exec, s[2:3]
	v_cmp_gt_u32_e32 vcc, 48, v8
	s_waitcnt lgkmcnt(1)
	v_cndmask_b32_e64 v4, 0, 1, vcc
	v_lshlrev_b32_e32 v4, 4, v4
	s_waitcnt lgkmcnt(0)
	v_add_lshl_u32 v5, v4, v1, 2
	ds_bpermute_b32 v10, v5, v6
	ds_bpermute_b32 v4, v5, v2
	ds_bpermute_b32 v5, v5, v3
	v_add_u32_e32 v11, 16, v8
	v_cmp_lt_u32_e32 vcc, v11, v9
	s_and_saveexec_b64 s[2:3], vcc
	s_cbranch_execz .LBB719_224
; %bb.223:
	s_waitcnt lgkmcnt(2)
	v_and_b32_e32 v11, 1, v10
	s_waitcnt lgkmcnt(0)
	v_cmp_lt_i64_e32 vcc, v[4:5], v[2:3]
	v_cmp_eq_u32_e64 s[0:1], 1, v11
	v_and_b32_e32 v6, 1, v7
	s_and_b64 vcc, s[0:1], vcc
	v_cndmask_b32_e64 v7, v7, 1, s[0:1]
	v_cndmask_b32_e32 v2, v2, v4, vcc
	v_cndmask_b32_e32 v3, v3, v5, vcc
	v_cmp_eq_u32_e32 vcc, 1, v6
	v_cndmask_b32_e32 v7, v10, v7, vcc
	v_cndmask_b32_e32 v3, v5, v3, vcc
	v_cndmask_b32_e32 v2, v4, v2, vcc
	v_and_b32_e32 v6, 0xff, v7
.LBB719_224:
	s_or_b64 exec, exec, s[2:3]
	v_cmp_gt_u32_e32 vcc, 32, v8
	s_waitcnt lgkmcnt(1)
	v_cndmask_b32_e64 v4, 0, 1, vcc
	v_lshlrev_b32_e32 v4, 5, v4
	s_waitcnt lgkmcnt(0)
	v_add_lshl_u32 v5, v4, v1, 2
	ds_bpermute_b32 v10, v5, v6
	ds_bpermute_b32 v4, v5, v2
	ds_bpermute_b32 v5, v5, v3
	v_add_u32_e32 v8, 32, v8
	v_cmp_lt_u32_e32 vcc, v8, v9
	s_and_saveexec_b64 s[2:3], vcc
	s_cbranch_execz .LBB719_226
; %bb.225:
	s_waitcnt lgkmcnt(2)
	v_and_b32_e32 v8, 1, v10
	s_waitcnt lgkmcnt(0)
	v_cmp_lt_i64_e32 vcc, v[4:5], v[2:3]
	v_cmp_eq_u32_e64 s[0:1], 1, v8
	v_and_b32_e32 v6, 1, v7
	s_and_b64 vcc, s[0:1], vcc
	v_cndmask_b32_e64 v7, v7, 1, s[0:1]
	v_cndmask_b32_e32 v2, v2, v4, vcc
	v_cndmask_b32_e32 v3, v3, v5, vcc
	v_cmp_eq_u32_e32 vcc, 1, v6
	v_cndmask_b32_e32 v7, v10, v7, vcc
	v_cndmask_b32_e32 v3, v5, v3, vcc
	;; [unrolled: 1-line block ×3, first 2 shown]
	v_and_b32_e32 v6, 0xff, v7
.LBB719_226:
	s_or_b64 exec, exec, s[2:3]
	v_cmp_eq_u32_e32 vcc, 0, v1
	s_and_saveexec_b64 s[0:1], vcc
	s_cbranch_execz .LBB719_228
; %bb.227:
	s_waitcnt lgkmcnt(1)
	v_lshrrev_b32_e32 v4, 2, v0
	v_and_b32_e32 v4, 48, v4
	ds_write_b8 v4, v7 offset:256
	ds_write_b64 v4, v[2:3] offset:264
.LBB719_228:
	s_or_b64 exec, exec, s[0:1]
	v_cmp_gt_u32_e32 vcc, 4, v0
	s_waitcnt lgkmcnt(0)
	s_barrier
	s_and_saveexec_b64 s[2:3], vcc
	s_cbranch_execz .LBB719_234
; %bb.229:
	v_lshlrev_b32_e32 v2, 4, v1
	ds_read_u8 v7, v2 offset:256
	ds_read_b64 v[2:3], v2 offset:264
	v_and_b32_e32 v8, 3, v1
	v_cmp_ne_u32_e32 vcc, 3, v8
	v_addc_co_u32_e32 v4, vcc, 0, v1, vcc
	s_waitcnt lgkmcnt(1)
	v_and_b32_e32 v6, 0xff, v7
	v_lshlrev_b32_e32 v5, 2, v4
	ds_bpermute_b32 v9, v5, v6
	s_waitcnt lgkmcnt(1)
	ds_bpermute_b32 v4, v5, v2
	ds_bpermute_b32 v5, v5, v3
	s_add_i32 s8, s8, 63
	s_lshr_b32 s12, s8, 6
	v_add_u32_e32 v10, 1, v8
	v_cmp_gt_u32_e32 vcc, s12, v10
	s_and_saveexec_b64 s[8:9], vcc
	s_cbranch_execz .LBB719_231
; %bb.230:
	s_waitcnt lgkmcnt(2)
	v_and_b32_e32 v10, 1, v9
	s_waitcnt lgkmcnt(0)
	v_cmp_lt_i64_e32 vcc, v[4:5], v[2:3]
	v_cmp_eq_u32_e64 s[0:1], 1, v10
	v_and_b32_e32 v6, 1, v7
	s_and_b64 vcc, s[0:1], vcc
	v_cndmask_b32_e64 v7, v7, 1, s[0:1]
	v_cndmask_b32_e32 v2, v2, v4, vcc
	v_cndmask_b32_e32 v3, v3, v5, vcc
	v_cmp_eq_u32_e32 vcc, 1, v6
	v_cndmask_b32_e32 v7, v9, v7, vcc
	v_cndmask_b32_e32 v3, v5, v3, vcc
	;; [unrolled: 1-line block ×3, first 2 shown]
	v_and_b32_e32 v6, 0xff, v7
.LBB719_231:
	s_or_b64 exec, exec, s[8:9]
	v_cmp_gt_u32_e32 vcc, 2, v8
	s_waitcnt lgkmcnt(1)
	v_cndmask_b32_e64 v4, 0, 1, vcc
	v_lshlrev_b32_e32 v4, 1, v4
	s_waitcnt lgkmcnt(0)
	v_add_lshl_u32 v5, v4, v1, 2
	ds_bpermute_b32 v1, v5, v6
	ds_bpermute_b32 v4, v5, v2
	;; [unrolled: 1-line block ×3, first 2 shown]
	v_add_u32_e32 v8, 2, v8
	v_cmp_gt_u32_e32 vcc, s12, v8
	s_and_saveexec_b64 s[8:9], vcc
	s_cbranch_execz .LBB719_233
; %bb.232:
	s_waitcnt lgkmcnt(2)
	v_and_b32_e32 v8, 1, v1
	s_waitcnt lgkmcnt(0)
	v_cmp_lt_i64_e32 vcc, v[4:5], v[2:3]
	v_cmp_eq_u32_e64 s[0:1], 1, v8
	v_and_b32_e32 v6, 1, v7
	s_and_b64 vcc, s[0:1], vcc
	v_cndmask_b32_e64 v7, v7, 1, s[0:1]
	v_cndmask_b32_e32 v2, v2, v4, vcc
	v_cndmask_b32_e32 v3, v3, v5, vcc
	v_cmp_eq_u32_e32 vcc, 1, v6
	v_cndmask_b32_e32 v1, v1, v7, vcc
	v_cndmask_b32_e32 v3, v5, v3, vcc
	;; [unrolled: 1-line block ×3, first 2 shown]
	v_and_b32_e32 v6, 0xff, v1
.LBB719_233:
	s_or_b64 exec, exec, s[8:9]
.LBB719_234:
	s_or_b64 exec, exec, s[2:3]
.LBB719_235:
	v_cmp_eq_u32_e32 vcc, 0, v0
                                        ; implicit-def: $vgpr4_vgpr5
                                        ; implicit-def: $vgpr1
	s_and_saveexec_b64 s[8:9], vcc
	s_cbranch_execz .LBB719_239
; %bb.236:
	s_cmp_eq_u64 s[22:23], 0
	s_waitcnt lgkmcnt(0)
	v_pk_mov_b32 v[4:5], s[18:19], s[18:19] op_sel:[0,1]
	v_mov_b32_e32 v1, s30
	s_cbranch_scc1 .LBB719_238
; %bb.237:
	v_and_b32_e32 v0, 1, v6
	s_bitcmp1_b32 s30, 0
	v_mov_b32_e32 v1, s30
	v_cmp_eq_u32_e32 vcc, 1, v0
	v_cmp_gt_i64_e64 s[2:3], s[18:19], v[2:3]
	v_cndmask_b32_e64 v0, v1, 1, vcc
	s_cselect_b64 s[0:1], -1, 0
	v_mov_b32_e32 v1, s18
	s_and_b64 vcc, vcc, s[2:3]
	v_cndmask_b32_e32 v4, v1, v2, vcc
	v_mov_b32_e32 v1, s19
	v_cndmask_b32_e32 v5, v1, v3, vcc
	v_cndmask_b32_e64 v1, v6, v0, s[0:1]
	v_cndmask_b32_e64 v5, v3, v5, s[0:1]
	;; [unrolled: 1-line block ×3, first 2 shown]
.LBB719_238:
	s_or_b64 s[10:11], s[10:11], exec
.LBB719_239:
	s_or_b64 exec, exec, s[8:9]
	s_and_saveexec_b64 s[0:1], s[10:11]
	s_cbranch_execnz .LBB719_209
	s_branch .LBB719_210
.LBB719_240:
	global_load_ubyte v18, v0, s[16:17] offset:1792
	v_mov_b32_e32 v5, s35
	v_add_co_u32_e64 v4, s[16:17], s34, v25
	v_addc_co_u32_e64 v5, s[16:17], 0, v5, s[16:17]
	s_waitcnt vmcnt(0)
	v_cmp_eq_u16_sdwa s[16:17], v18, s31 src0_sel:DWORD src1_sel:BYTE_0
	v_cndmask_b32_e64 v18, 0, 1, s[16:17]
	s_or_b64 exec, exec, s[28:29]
	s_and_saveexec_b64 s[28:29], s[14:15]
	s_cbranch_execz .LBB719_61
.LBB719_241:
	v_and_b32_e32 v26, 1, v21
	v_cmp_lt_i64_e64 s[14:15], v[10:11], v[2:3]
	v_cmp_eq_u32_e64 s[16:17], 1, v26
	v_and_b32_e32 v25, 1, v1
	s_and_b64 s[14:15], s[16:17], s[14:15]
	v_cndmask_b32_e64 v1, v1, 1, s[16:17]
	v_cndmask_b32_e64 v2, v2, v10, s[14:15]
	;; [unrolled: 1-line block ×3, first 2 shown]
	v_cmp_eq_u32_e64 s[14:15], 1, v25
	v_cndmask_b32_e64 v1, v21, v1, s[14:15]
	v_cndmask_b32_e64 v3, v11, v3, s[14:15]
	;; [unrolled: 1-line block ×3, first 2 shown]
	s_or_b64 exec, exec, s[28:29]
	s_and_saveexec_b64 s[16:17], s[12:13]
	s_cbranch_execz .LBB719_62
.LBB719_242:
	v_and_b32_e32 v11, 1, v24
	v_cmp_lt_i64_e64 s[12:13], v[16:17], v[2:3]
	v_cmp_eq_u32_e64 s[14:15], 1, v11
	v_and_b32_e32 v10, 1, v1
	s_and_b64 s[12:13], s[14:15], s[12:13]
	v_cndmask_b32_e64 v1, v1, 1, s[14:15]
	v_cndmask_b32_e64 v2, v2, v16, s[12:13]
	;; [unrolled: 1-line block ×3, first 2 shown]
	v_cmp_eq_u32_e64 s[12:13], 1, v10
	v_cndmask_b32_e64 v1, v24, v1, s[12:13]
	v_cndmask_b32_e64 v3, v17, v3, s[12:13]
	;; [unrolled: 1-line block ×3, first 2 shown]
	s_or_b64 exec, exec, s[16:17]
	s_and_saveexec_b64 s[14:15], s[10:11]
	s_cbranch_execz .LBB719_63
.LBB719_243:
	v_and_b32_e32 v11, 1, v20
	v_cmp_lt_i64_e64 s[10:11], v[8:9], v[2:3]
	v_cmp_eq_u32_e64 s[12:13], 1, v11
	v_and_b32_e32 v10, 1, v1
	s_and_b64 s[10:11], s[12:13], s[10:11]
	v_cndmask_b32_e64 v1, v1, 1, s[12:13]
	v_cndmask_b32_e64 v2, v2, v8, s[10:11]
	;; [unrolled: 1-line block ×3, first 2 shown]
	v_cmp_eq_u32_e64 s[10:11], 1, v10
	v_cndmask_b32_e64 v1, v20, v1, s[10:11]
	v_cndmask_b32_e64 v3, v9, v3, s[10:11]
	;; [unrolled: 1-line block ×3, first 2 shown]
	s_or_b64 exec, exec, s[14:15]
	s_and_saveexec_b64 s[12:13], s[8:9]
	s_cbranch_execz .LBB719_64
.LBB719_244:
	v_and_b32_e32 v9, 1, v23
	v_cmp_lt_i64_e64 s[8:9], v[14:15], v[2:3]
	v_cmp_eq_u32_e64 s[10:11], 1, v9
	v_and_b32_e32 v8, 1, v1
	s_and_b64 s[8:9], s[10:11], s[8:9]
	v_cndmask_b32_e64 v1, v1, 1, s[10:11]
	v_cndmask_b32_e64 v2, v2, v14, s[8:9]
	v_cndmask_b32_e64 v3, v3, v15, s[8:9]
	v_cmp_eq_u32_e64 s[8:9], 1, v8
	v_cndmask_b32_e64 v1, v23, v1, s[8:9]
	v_cndmask_b32_e64 v3, v15, v3, s[8:9]
	;; [unrolled: 1-line block ×3, first 2 shown]
	s_or_b64 exec, exec, s[12:13]
	s_and_saveexec_b64 s[10:11], s[2:3]
	s_cbranch_execz .LBB719_65
.LBB719_245:
	v_and_b32_e32 v9, 1, v19
	v_cmp_lt_i64_e64 s[2:3], v[6:7], v[2:3]
	v_cmp_eq_u32_e64 s[8:9], 1, v9
	v_and_b32_e32 v8, 1, v1
	s_and_b64 s[2:3], s[8:9], s[2:3]
	v_cndmask_b32_e64 v1, v1, 1, s[8:9]
	v_cndmask_b32_e64 v2, v2, v6, s[2:3]
	;; [unrolled: 1-line block ×3, first 2 shown]
	v_cmp_eq_u32_e64 s[2:3], 1, v8
	v_cndmask_b32_e64 v1, v19, v1, s[2:3]
	v_cndmask_b32_e64 v3, v7, v3, s[2:3]
	;; [unrolled: 1-line block ×3, first 2 shown]
	s_or_b64 exec, exec, s[10:11]
	s_and_saveexec_b64 s[8:9], s[0:1]
	s_cbranch_execz .LBB719_66
.LBB719_246:
	v_and_b32_e32 v7, 1, v22
	v_cmp_lt_i64_e64 s[0:1], v[12:13], v[2:3]
	v_cmp_eq_u32_e64 s[2:3], 1, v7
	v_and_b32_e32 v6, 1, v1
	s_and_b64 s[0:1], s[2:3], s[0:1]
	v_cndmask_b32_e64 v1, v1, 1, s[2:3]
	v_cndmask_b32_e64 v2, v2, v12, s[0:1]
	;; [unrolled: 1-line block ×3, first 2 shown]
	v_cmp_eq_u32_e64 s[0:1], 1, v6
	v_cndmask_b32_e64 v1, v22, v1, s[0:1]
	v_cndmask_b32_e64 v3, v13, v3, s[0:1]
	;; [unrolled: 1-line block ×3, first 2 shown]
	s_or_b64 exec, exec, s[8:9]
	s_and_saveexec_b64 s[2:3], vcc
	s_cbranch_execnz .LBB719_67
	s_branch .LBB719_68
.LBB719_247:
	global_load_ubyte v1, v0, s[8:9] offset:768
	v_mov_b32_e32 v5, s15
	v_add_co_u32_e64 v4, s[8:9], s14, v13
	v_addc_co_u32_e64 v5, s[8:9], 0, v5, s[8:9]
	s_waitcnt vmcnt(0)
	v_cmp_eq_u16_sdwa s[8:9], v1, s31 src0_sel:DWORD src1_sel:BYTE_0
	v_cndmask_b32_e64 v1, 0, 1, s[8:9]
	s_or_b64 exec, exec, s[12:13]
	s_and_saveexec_b64 s[12:13], s[2:3]
	s_cbranch_execz .LBB719_104
.LBB719_248:
	v_and_b32_e32 v14, 1, v11
	v_cmp_lt_i64_e64 s[2:3], v[6:7], v[2:3]
	v_cmp_eq_u32_e64 s[8:9], 1, v14
	v_and_b32_e32 v13, 1, v10
	s_and_b64 s[2:3], s[8:9], s[2:3]
	v_cndmask_b32_e64 v10, v10, 1, s[8:9]
	v_cndmask_b32_e64 v2, v2, v6, s[2:3]
	;; [unrolled: 1-line block ×3, first 2 shown]
	v_cmp_eq_u32_e64 s[2:3], 1, v13
	v_cndmask_b32_e64 v10, v11, v10, s[2:3]
	v_cndmask_b32_e64 v3, v7, v3, s[2:3]
	;; [unrolled: 1-line block ×3, first 2 shown]
	s_or_b64 exec, exec, s[12:13]
	s_and_saveexec_b64 s[8:9], s[0:1]
	s_cbranch_execz .LBB719_105
.LBB719_249:
	v_and_b32_e32 v7, 1, v12
	v_cmp_lt_i64_e64 s[0:1], v[8:9], v[2:3]
	v_cmp_eq_u32_e64 s[2:3], 1, v7
	v_and_b32_e32 v6, 1, v10
	s_and_b64 s[0:1], s[2:3], s[0:1]
	v_cndmask_b32_e64 v7, v10, 1, s[2:3]
	v_cndmask_b32_e64 v2, v2, v8, s[0:1]
	;; [unrolled: 1-line block ×3, first 2 shown]
	v_cmp_eq_u32_e64 s[0:1], 1, v6
	v_cndmask_b32_e64 v10, v12, v7, s[0:1]
	v_cndmask_b32_e64 v3, v9, v3, s[0:1]
	;; [unrolled: 1-line block ×3, first 2 shown]
	s_or_b64 exec, exec, s[8:9]
	s_and_saveexec_b64 s[2:3], vcc
	s_cbranch_execnz .LBB719_106
	s_branch .LBB719_107
	.section	.rodata,"a",@progbits
	.p2align	6, 0x0
	.amdhsa_kernel _ZN7rocprim17ROCPRIM_400000_NS6detail17trampoline_kernelINS0_14default_configENS1_22reduce_config_selectorIN6thrust23THRUST_200600_302600_NS5tupleIblNS6_9null_typeES8_S8_S8_S8_S8_S8_S8_EEEEZNS1_11reduce_implILb1ES3_NS6_12zip_iteratorINS7_INS6_11hip_rocprim26transform_input_iterator_tIbPaNS6_6detail10functional5actorINSH_9compositeIJNSH_27transparent_binary_operatorINS6_8equal_toIvEEEENSI_INSH_8argumentILj0EEEEENSH_5valueIaEEEEEEEEENSD_19counting_iterator_tIlEES8_S8_S8_S8_S8_S8_S8_S8_EEEEPS9_S9_NSD_9__find_if7functorIS9_EEEE10hipError_tPvRmT1_T2_T3_mT4_P12ihipStream_tbEUlT_E1_NS1_11comp_targetILNS1_3genE4ELNS1_11target_archE910ELNS1_3gpuE8ELNS1_3repE0EEENS1_30default_config_static_selectorELNS0_4arch9wavefront6targetE1EEEvS17_
		.amdhsa_group_segment_fixed_size 320
		.amdhsa_private_segment_fixed_size 0
		.amdhsa_kernarg_size 72
		.amdhsa_user_sgpr_count 6
		.amdhsa_user_sgpr_private_segment_buffer 1
		.amdhsa_user_sgpr_dispatch_ptr 0
		.amdhsa_user_sgpr_queue_ptr 0
		.amdhsa_user_sgpr_kernarg_segment_ptr 1
		.amdhsa_user_sgpr_dispatch_id 0
		.amdhsa_user_sgpr_flat_scratch_init 0
		.amdhsa_user_sgpr_kernarg_preload_length 0
		.amdhsa_user_sgpr_kernarg_preload_offset 0
		.amdhsa_user_sgpr_private_segment_size 0
		.amdhsa_uses_dynamic_stack 0
		.amdhsa_system_sgpr_private_segment_wavefront_offset 0
		.amdhsa_system_sgpr_workgroup_id_x 1
		.amdhsa_system_sgpr_workgroup_id_y 0
		.amdhsa_system_sgpr_workgroup_id_z 0
		.amdhsa_system_sgpr_workgroup_info 0
		.amdhsa_system_vgpr_workitem_id 0
		.amdhsa_next_free_vgpr 27
		.amdhsa_next_free_sgpr 40
		.amdhsa_accum_offset 28
		.amdhsa_reserve_vcc 1
		.amdhsa_reserve_flat_scratch 0
		.amdhsa_float_round_mode_32 0
		.amdhsa_float_round_mode_16_64 0
		.amdhsa_float_denorm_mode_32 3
		.amdhsa_float_denorm_mode_16_64 3
		.amdhsa_dx10_clamp 1
		.amdhsa_ieee_mode 1
		.amdhsa_fp16_overflow 0
		.amdhsa_tg_split 0
		.amdhsa_exception_fp_ieee_invalid_op 0
		.amdhsa_exception_fp_denorm_src 0
		.amdhsa_exception_fp_ieee_div_zero 0
		.amdhsa_exception_fp_ieee_overflow 0
		.amdhsa_exception_fp_ieee_underflow 0
		.amdhsa_exception_fp_ieee_inexact 0
		.amdhsa_exception_int_div_zero 0
	.end_amdhsa_kernel
	.section	.text._ZN7rocprim17ROCPRIM_400000_NS6detail17trampoline_kernelINS0_14default_configENS1_22reduce_config_selectorIN6thrust23THRUST_200600_302600_NS5tupleIblNS6_9null_typeES8_S8_S8_S8_S8_S8_S8_EEEEZNS1_11reduce_implILb1ES3_NS6_12zip_iteratorINS7_INS6_11hip_rocprim26transform_input_iterator_tIbPaNS6_6detail10functional5actorINSH_9compositeIJNSH_27transparent_binary_operatorINS6_8equal_toIvEEEENSI_INSH_8argumentILj0EEEEENSH_5valueIaEEEEEEEEENSD_19counting_iterator_tIlEES8_S8_S8_S8_S8_S8_S8_S8_EEEEPS9_S9_NSD_9__find_if7functorIS9_EEEE10hipError_tPvRmT1_T2_T3_mT4_P12ihipStream_tbEUlT_E1_NS1_11comp_targetILNS1_3genE4ELNS1_11target_archE910ELNS1_3gpuE8ELNS1_3repE0EEENS1_30default_config_static_selectorELNS0_4arch9wavefront6targetE1EEEvS17_,"axG",@progbits,_ZN7rocprim17ROCPRIM_400000_NS6detail17trampoline_kernelINS0_14default_configENS1_22reduce_config_selectorIN6thrust23THRUST_200600_302600_NS5tupleIblNS6_9null_typeES8_S8_S8_S8_S8_S8_S8_EEEEZNS1_11reduce_implILb1ES3_NS6_12zip_iteratorINS7_INS6_11hip_rocprim26transform_input_iterator_tIbPaNS6_6detail10functional5actorINSH_9compositeIJNSH_27transparent_binary_operatorINS6_8equal_toIvEEEENSI_INSH_8argumentILj0EEEEENSH_5valueIaEEEEEEEEENSD_19counting_iterator_tIlEES8_S8_S8_S8_S8_S8_S8_S8_EEEEPS9_S9_NSD_9__find_if7functorIS9_EEEE10hipError_tPvRmT1_T2_T3_mT4_P12ihipStream_tbEUlT_E1_NS1_11comp_targetILNS1_3genE4ELNS1_11target_archE910ELNS1_3gpuE8ELNS1_3repE0EEENS1_30default_config_static_selectorELNS0_4arch9wavefront6targetE1EEEvS17_,comdat
.Lfunc_end719:
	.size	_ZN7rocprim17ROCPRIM_400000_NS6detail17trampoline_kernelINS0_14default_configENS1_22reduce_config_selectorIN6thrust23THRUST_200600_302600_NS5tupleIblNS6_9null_typeES8_S8_S8_S8_S8_S8_S8_EEEEZNS1_11reduce_implILb1ES3_NS6_12zip_iteratorINS7_INS6_11hip_rocprim26transform_input_iterator_tIbPaNS6_6detail10functional5actorINSH_9compositeIJNSH_27transparent_binary_operatorINS6_8equal_toIvEEEENSI_INSH_8argumentILj0EEEEENSH_5valueIaEEEEEEEEENSD_19counting_iterator_tIlEES8_S8_S8_S8_S8_S8_S8_S8_EEEEPS9_S9_NSD_9__find_if7functorIS9_EEEE10hipError_tPvRmT1_T2_T3_mT4_P12ihipStream_tbEUlT_E1_NS1_11comp_targetILNS1_3genE4ELNS1_11target_archE910ELNS1_3gpuE8ELNS1_3repE0EEENS1_30default_config_static_selectorELNS0_4arch9wavefront6targetE1EEEvS17_, .Lfunc_end719-_ZN7rocprim17ROCPRIM_400000_NS6detail17trampoline_kernelINS0_14default_configENS1_22reduce_config_selectorIN6thrust23THRUST_200600_302600_NS5tupleIblNS6_9null_typeES8_S8_S8_S8_S8_S8_S8_EEEEZNS1_11reduce_implILb1ES3_NS6_12zip_iteratorINS7_INS6_11hip_rocprim26transform_input_iterator_tIbPaNS6_6detail10functional5actorINSH_9compositeIJNSH_27transparent_binary_operatorINS6_8equal_toIvEEEENSI_INSH_8argumentILj0EEEEENSH_5valueIaEEEEEEEEENSD_19counting_iterator_tIlEES8_S8_S8_S8_S8_S8_S8_S8_EEEEPS9_S9_NSD_9__find_if7functorIS9_EEEE10hipError_tPvRmT1_T2_T3_mT4_P12ihipStream_tbEUlT_E1_NS1_11comp_targetILNS1_3genE4ELNS1_11target_archE910ELNS1_3gpuE8ELNS1_3repE0EEENS1_30default_config_static_selectorELNS0_4arch9wavefront6targetE1EEEvS17_
                                        ; -- End function
	.section	.AMDGPU.csdata,"",@progbits
; Kernel info:
; codeLenInByte = 12868
; NumSgprs: 44
; NumVgprs: 27
; NumAgprs: 0
; TotalNumVgprs: 27
; ScratchSize: 0
; MemoryBound: 0
; FloatMode: 240
; IeeeMode: 1
; LDSByteSize: 320 bytes/workgroup (compile time only)
; SGPRBlocks: 5
; VGPRBlocks: 3
; NumSGPRsForWavesPerEU: 44
; NumVGPRsForWavesPerEU: 27
; AccumOffset: 28
; Occupancy: 8
; WaveLimiterHint : 1
; COMPUTE_PGM_RSRC2:SCRATCH_EN: 0
; COMPUTE_PGM_RSRC2:USER_SGPR: 6
; COMPUTE_PGM_RSRC2:TRAP_HANDLER: 0
; COMPUTE_PGM_RSRC2:TGID_X_EN: 1
; COMPUTE_PGM_RSRC2:TGID_Y_EN: 0
; COMPUTE_PGM_RSRC2:TGID_Z_EN: 0
; COMPUTE_PGM_RSRC2:TIDIG_COMP_CNT: 0
; COMPUTE_PGM_RSRC3_GFX90A:ACCUM_OFFSET: 6
; COMPUTE_PGM_RSRC3_GFX90A:TG_SPLIT: 0
	.section	.text._ZN7rocprim17ROCPRIM_400000_NS6detail17trampoline_kernelINS0_14default_configENS1_22reduce_config_selectorIN6thrust23THRUST_200600_302600_NS5tupleIblNS6_9null_typeES8_S8_S8_S8_S8_S8_S8_EEEEZNS1_11reduce_implILb1ES3_NS6_12zip_iteratorINS7_INS6_11hip_rocprim26transform_input_iterator_tIbPaNS6_6detail10functional5actorINSH_9compositeIJNSH_27transparent_binary_operatorINS6_8equal_toIvEEEENSI_INSH_8argumentILj0EEEEENSH_5valueIaEEEEEEEEENSD_19counting_iterator_tIlEES8_S8_S8_S8_S8_S8_S8_S8_EEEEPS9_S9_NSD_9__find_if7functorIS9_EEEE10hipError_tPvRmT1_T2_T3_mT4_P12ihipStream_tbEUlT_E1_NS1_11comp_targetILNS1_3genE3ELNS1_11target_archE908ELNS1_3gpuE7ELNS1_3repE0EEENS1_30default_config_static_selectorELNS0_4arch9wavefront6targetE1EEEvS17_,"axG",@progbits,_ZN7rocprim17ROCPRIM_400000_NS6detail17trampoline_kernelINS0_14default_configENS1_22reduce_config_selectorIN6thrust23THRUST_200600_302600_NS5tupleIblNS6_9null_typeES8_S8_S8_S8_S8_S8_S8_EEEEZNS1_11reduce_implILb1ES3_NS6_12zip_iteratorINS7_INS6_11hip_rocprim26transform_input_iterator_tIbPaNS6_6detail10functional5actorINSH_9compositeIJNSH_27transparent_binary_operatorINS6_8equal_toIvEEEENSI_INSH_8argumentILj0EEEEENSH_5valueIaEEEEEEEEENSD_19counting_iterator_tIlEES8_S8_S8_S8_S8_S8_S8_S8_EEEEPS9_S9_NSD_9__find_if7functorIS9_EEEE10hipError_tPvRmT1_T2_T3_mT4_P12ihipStream_tbEUlT_E1_NS1_11comp_targetILNS1_3genE3ELNS1_11target_archE908ELNS1_3gpuE7ELNS1_3repE0EEENS1_30default_config_static_selectorELNS0_4arch9wavefront6targetE1EEEvS17_,comdat
	.protected	_ZN7rocprim17ROCPRIM_400000_NS6detail17trampoline_kernelINS0_14default_configENS1_22reduce_config_selectorIN6thrust23THRUST_200600_302600_NS5tupleIblNS6_9null_typeES8_S8_S8_S8_S8_S8_S8_EEEEZNS1_11reduce_implILb1ES3_NS6_12zip_iteratorINS7_INS6_11hip_rocprim26transform_input_iterator_tIbPaNS6_6detail10functional5actorINSH_9compositeIJNSH_27transparent_binary_operatorINS6_8equal_toIvEEEENSI_INSH_8argumentILj0EEEEENSH_5valueIaEEEEEEEEENSD_19counting_iterator_tIlEES8_S8_S8_S8_S8_S8_S8_S8_EEEEPS9_S9_NSD_9__find_if7functorIS9_EEEE10hipError_tPvRmT1_T2_T3_mT4_P12ihipStream_tbEUlT_E1_NS1_11comp_targetILNS1_3genE3ELNS1_11target_archE908ELNS1_3gpuE7ELNS1_3repE0EEENS1_30default_config_static_selectorELNS0_4arch9wavefront6targetE1EEEvS17_ ; -- Begin function _ZN7rocprim17ROCPRIM_400000_NS6detail17trampoline_kernelINS0_14default_configENS1_22reduce_config_selectorIN6thrust23THRUST_200600_302600_NS5tupleIblNS6_9null_typeES8_S8_S8_S8_S8_S8_S8_EEEEZNS1_11reduce_implILb1ES3_NS6_12zip_iteratorINS7_INS6_11hip_rocprim26transform_input_iterator_tIbPaNS6_6detail10functional5actorINSH_9compositeIJNSH_27transparent_binary_operatorINS6_8equal_toIvEEEENSI_INSH_8argumentILj0EEEEENSH_5valueIaEEEEEEEEENSD_19counting_iterator_tIlEES8_S8_S8_S8_S8_S8_S8_S8_EEEEPS9_S9_NSD_9__find_if7functorIS9_EEEE10hipError_tPvRmT1_T2_T3_mT4_P12ihipStream_tbEUlT_E1_NS1_11comp_targetILNS1_3genE3ELNS1_11target_archE908ELNS1_3gpuE7ELNS1_3repE0EEENS1_30default_config_static_selectorELNS0_4arch9wavefront6targetE1EEEvS17_
	.globl	_ZN7rocprim17ROCPRIM_400000_NS6detail17trampoline_kernelINS0_14default_configENS1_22reduce_config_selectorIN6thrust23THRUST_200600_302600_NS5tupleIblNS6_9null_typeES8_S8_S8_S8_S8_S8_S8_EEEEZNS1_11reduce_implILb1ES3_NS6_12zip_iteratorINS7_INS6_11hip_rocprim26transform_input_iterator_tIbPaNS6_6detail10functional5actorINSH_9compositeIJNSH_27transparent_binary_operatorINS6_8equal_toIvEEEENSI_INSH_8argumentILj0EEEEENSH_5valueIaEEEEEEEEENSD_19counting_iterator_tIlEES8_S8_S8_S8_S8_S8_S8_S8_EEEEPS9_S9_NSD_9__find_if7functorIS9_EEEE10hipError_tPvRmT1_T2_T3_mT4_P12ihipStream_tbEUlT_E1_NS1_11comp_targetILNS1_3genE3ELNS1_11target_archE908ELNS1_3gpuE7ELNS1_3repE0EEENS1_30default_config_static_selectorELNS0_4arch9wavefront6targetE1EEEvS17_
	.p2align	8
	.type	_ZN7rocprim17ROCPRIM_400000_NS6detail17trampoline_kernelINS0_14default_configENS1_22reduce_config_selectorIN6thrust23THRUST_200600_302600_NS5tupleIblNS6_9null_typeES8_S8_S8_S8_S8_S8_S8_EEEEZNS1_11reduce_implILb1ES3_NS6_12zip_iteratorINS7_INS6_11hip_rocprim26transform_input_iterator_tIbPaNS6_6detail10functional5actorINSH_9compositeIJNSH_27transparent_binary_operatorINS6_8equal_toIvEEEENSI_INSH_8argumentILj0EEEEENSH_5valueIaEEEEEEEEENSD_19counting_iterator_tIlEES8_S8_S8_S8_S8_S8_S8_S8_EEEEPS9_S9_NSD_9__find_if7functorIS9_EEEE10hipError_tPvRmT1_T2_T3_mT4_P12ihipStream_tbEUlT_E1_NS1_11comp_targetILNS1_3genE3ELNS1_11target_archE908ELNS1_3gpuE7ELNS1_3repE0EEENS1_30default_config_static_selectorELNS0_4arch9wavefront6targetE1EEEvS17_,@function
_ZN7rocprim17ROCPRIM_400000_NS6detail17trampoline_kernelINS0_14default_configENS1_22reduce_config_selectorIN6thrust23THRUST_200600_302600_NS5tupleIblNS6_9null_typeES8_S8_S8_S8_S8_S8_S8_EEEEZNS1_11reduce_implILb1ES3_NS6_12zip_iteratorINS7_INS6_11hip_rocprim26transform_input_iterator_tIbPaNS6_6detail10functional5actorINSH_9compositeIJNSH_27transparent_binary_operatorINS6_8equal_toIvEEEENSI_INSH_8argumentILj0EEEEENSH_5valueIaEEEEEEEEENSD_19counting_iterator_tIlEES8_S8_S8_S8_S8_S8_S8_S8_EEEEPS9_S9_NSD_9__find_if7functorIS9_EEEE10hipError_tPvRmT1_T2_T3_mT4_P12ihipStream_tbEUlT_E1_NS1_11comp_targetILNS1_3genE3ELNS1_11target_archE908ELNS1_3gpuE7ELNS1_3repE0EEENS1_30default_config_static_selectorELNS0_4arch9wavefront6targetE1EEEvS17_: ; @_ZN7rocprim17ROCPRIM_400000_NS6detail17trampoline_kernelINS0_14default_configENS1_22reduce_config_selectorIN6thrust23THRUST_200600_302600_NS5tupleIblNS6_9null_typeES8_S8_S8_S8_S8_S8_S8_EEEEZNS1_11reduce_implILb1ES3_NS6_12zip_iteratorINS7_INS6_11hip_rocprim26transform_input_iterator_tIbPaNS6_6detail10functional5actorINSH_9compositeIJNSH_27transparent_binary_operatorINS6_8equal_toIvEEEENSI_INSH_8argumentILj0EEEEENSH_5valueIaEEEEEEEEENSD_19counting_iterator_tIlEES8_S8_S8_S8_S8_S8_S8_S8_EEEEPS9_S9_NSD_9__find_if7functorIS9_EEEE10hipError_tPvRmT1_T2_T3_mT4_P12ihipStream_tbEUlT_E1_NS1_11comp_targetILNS1_3genE3ELNS1_11target_archE908ELNS1_3gpuE7ELNS1_3repE0EEENS1_30default_config_static_selectorELNS0_4arch9wavefront6targetE1EEEvS17_
; %bb.0:
	.section	.rodata,"a",@progbits
	.p2align	6, 0x0
	.amdhsa_kernel _ZN7rocprim17ROCPRIM_400000_NS6detail17trampoline_kernelINS0_14default_configENS1_22reduce_config_selectorIN6thrust23THRUST_200600_302600_NS5tupleIblNS6_9null_typeES8_S8_S8_S8_S8_S8_S8_EEEEZNS1_11reduce_implILb1ES3_NS6_12zip_iteratorINS7_INS6_11hip_rocprim26transform_input_iterator_tIbPaNS6_6detail10functional5actorINSH_9compositeIJNSH_27transparent_binary_operatorINS6_8equal_toIvEEEENSI_INSH_8argumentILj0EEEEENSH_5valueIaEEEEEEEEENSD_19counting_iterator_tIlEES8_S8_S8_S8_S8_S8_S8_S8_EEEEPS9_S9_NSD_9__find_if7functorIS9_EEEE10hipError_tPvRmT1_T2_T3_mT4_P12ihipStream_tbEUlT_E1_NS1_11comp_targetILNS1_3genE3ELNS1_11target_archE908ELNS1_3gpuE7ELNS1_3repE0EEENS1_30default_config_static_selectorELNS0_4arch9wavefront6targetE1EEEvS17_
		.amdhsa_group_segment_fixed_size 0
		.amdhsa_private_segment_fixed_size 0
		.amdhsa_kernarg_size 72
		.amdhsa_user_sgpr_count 6
		.amdhsa_user_sgpr_private_segment_buffer 1
		.amdhsa_user_sgpr_dispatch_ptr 0
		.amdhsa_user_sgpr_queue_ptr 0
		.amdhsa_user_sgpr_kernarg_segment_ptr 1
		.amdhsa_user_sgpr_dispatch_id 0
		.amdhsa_user_sgpr_flat_scratch_init 0
		.amdhsa_user_sgpr_kernarg_preload_length 0
		.amdhsa_user_sgpr_kernarg_preload_offset 0
		.amdhsa_user_sgpr_private_segment_size 0
		.amdhsa_uses_dynamic_stack 0
		.amdhsa_system_sgpr_private_segment_wavefront_offset 0
		.amdhsa_system_sgpr_workgroup_id_x 1
		.amdhsa_system_sgpr_workgroup_id_y 0
		.amdhsa_system_sgpr_workgroup_id_z 0
		.amdhsa_system_sgpr_workgroup_info 0
		.amdhsa_system_vgpr_workitem_id 0
		.amdhsa_next_free_vgpr 1
		.amdhsa_next_free_sgpr 0
		.amdhsa_accum_offset 4
		.amdhsa_reserve_vcc 0
		.amdhsa_reserve_flat_scratch 0
		.amdhsa_float_round_mode_32 0
		.amdhsa_float_round_mode_16_64 0
		.amdhsa_float_denorm_mode_32 3
		.amdhsa_float_denorm_mode_16_64 3
		.amdhsa_dx10_clamp 1
		.amdhsa_ieee_mode 1
		.amdhsa_fp16_overflow 0
		.amdhsa_tg_split 0
		.amdhsa_exception_fp_ieee_invalid_op 0
		.amdhsa_exception_fp_denorm_src 0
		.amdhsa_exception_fp_ieee_div_zero 0
		.amdhsa_exception_fp_ieee_overflow 0
		.amdhsa_exception_fp_ieee_underflow 0
		.amdhsa_exception_fp_ieee_inexact 0
		.amdhsa_exception_int_div_zero 0
	.end_amdhsa_kernel
	.section	.text._ZN7rocprim17ROCPRIM_400000_NS6detail17trampoline_kernelINS0_14default_configENS1_22reduce_config_selectorIN6thrust23THRUST_200600_302600_NS5tupleIblNS6_9null_typeES8_S8_S8_S8_S8_S8_S8_EEEEZNS1_11reduce_implILb1ES3_NS6_12zip_iteratorINS7_INS6_11hip_rocprim26transform_input_iterator_tIbPaNS6_6detail10functional5actorINSH_9compositeIJNSH_27transparent_binary_operatorINS6_8equal_toIvEEEENSI_INSH_8argumentILj0EEEEENSH_5valueIaEEEEEEEEENSD_19counting_iterator_tIlEES8_S8_S8_S8_S8_S8_S8_S8_EEEEPS9_S9_NSD_9__find_if7functorIS9_EEEE10hipError_tPvRmT1_T2_T3_mT4_P12ihipStream_tbEUlT_E1_NS1_11comp_targetILNS1_3genE3ELNS1_11target_archE908ELNS1_3gpuE7ELNS1_3repE0EEENS1_30default_config_static_selectorELNS0_4arch9wavefront6targetE1EEEvS17_,"axG",@progbits,_ZN7rocprim17ROCPRIM_400000_NS6detail17trampoline_kernelINS0_14default_configENS1_22reduce_config_selectorIN6thrust23THRUST_200600_302600_NS5tupleIblNS6_9null_typeES8_S8_S8_S8_S8_S8_S8_EEEEZNS1_11reduce_implILb1ES3_NS6_12zip_iteratorINS7_INS6_11hip_rocprim26transform_input_iterator_tIbPaNS6_6detail10functional5actorINSH_9compositeIJNSH_27transparent_binary_operatorINS6_8equal_toIvEEEENSI_INSH_8argumentILj0EEEEENSH_5valueIaEEEEEEEEENSD_19counting_iterator_tIlEES8_S8_S8_S8_S8_S8_S8_S8_EEEEPS9_S9_NSD_9__find_if7functorIS9_EEEE10hipError_tPvRmT1_T2_T3_mT4_P12ihipStream_tbEUlT_E1_NS1_11comp_targetILNS1_3genE3ELNS1_11target_archE908ELNS1_3gpuE7ELNS1_3repE0EEENS1_30default_config_static_selectorELNS0_4arch9wavefront6targetE1EEEvS17_,comdat
.Lfunc_end720:
	.size	_ZN7rocprim17ROCPRIM_400000_NS6detail17trampoline_kernelINS0_14default_configENS1_22reduce_config_selectorIN6thrust23THRUST_200600_302600_NS5tupleIblNS6_9null_typeES8_S8_S8_S8_S8_S8_S8_EEEEZNS1_11reduce_implILb1ES3_NS6_12zip_iteratorINS7_INS6_11hip_rocprim26transform_input_iterator_tIbPaNS6_6detail10functional5actorINSH_9compositeIJNSH_27transparent_binary_operatorINS6_8equal_toIvEEEENSI_INSH_8argumentILj0EEEEENSH_5valueIaEEEEEEEEENSD_19counting_iterator_tIlEES8_S8_S8_S8_S8_S8_S8_S8_EEEEPS9_S9_NSD_9__find_if7functorIS9_EEEE10hipError_tPvRmT1_T2_T3_mT4_P12ihipStream_tbEUlT_E1_NS1_11comp_targetILNS1_3genE3ELNS1_11target_archE908ELNS1_3gpuE7ELNS1_3repE0EEENS1_30default_config_static_selectorELNS0_4arch9wavefront6targetE1EEEvS17_, .Lfunc_end720-_ZN7rocprim17ROCPRIM_400000_NS6detail17trampoline_kernelINS0_14default_configENS1_22reduce_config_selectorIN6thrust23THRUST_200600_302600_NS5tupleIblNS6_9null_typeES8_S8_S8_S8_S8_S8_S8_EEEEZNS1_11reduce_implILb1ES3_NS6_12zip_iteratorINS7_INS6_11hip_rocprim26transform_input_iterator_tIbPaNS6_6detail10functional5actorINSH_9compositeIJNSH_27transparent_binary_operatorINS6_8equal_toIvEEEENSI_INSH_8argumentILj0EEEEENSH_5valueIaEEEEEEEEENSD_19counting_iterator_tIlEES8_S8_S8_S8_S8_S8_S8_S8_EEEEPS9_S9_NSD_9__find_if7functorIS9_EEEE10hipError_tPvRmT1_T2_T3_mT4_P12ihipStream_tbEUlT_E1_NS1_11comp_targetILNS1_3genE3ELNS1_11target_archE908ELNS1_3gpuE7ELNS1_3repE0EEENS1_30default_config_static_selectorELNS0_4arch9wavefront6targetE1EEEvS17_
                                        ; -- End function
	.section	.AMDGPU.csdata,"",@progbits
; Kernel info:
; codeLenInByte = 0
; NumSgprs: 4
; NumVgprs: 0
; NumAgprs: 0
; TotalNumVgprs: 0
; ScratchSize: 0
; MemoryBound: 0
; FloatMode: 240
; IeeeMode: 1
; LDSByteSize: 0 bytes/workgroup (compile time only)
; SGPRBlocks: 0
; VGPRBlocks: 0
; NumSGPRsForWavesPerEU: 4
; NumVGPRsForWavesPerEU: 1
; AccumOffset: 4
; Occupancy: 8
; WaveLimiterHint : 0
; COMPUTE_PGM_RSRC2:SCRATCH_EN: 0
; COMPUTE_PGM_RSRC2:USER_SGPR: 6
; COMPUTE_PGM_RSRC2:TRAP_HANDLER: 0
; COMPUTE_PGM_RSRC2:TGID_X_EN: 1
; COMPUTE_PGM_RSRC2:TGID_Y_EN: 0
; COMPUTE_PGM_RSRC2:TGID_Z_EN: 0
; COMPUTE_PGM_RSRC2:TIDIG_COMP_CNT: 0
; COMPUTE_PGM_RSRC3_GFX90A:ACCUM_OFFSET: 0
; COMPUTE_PGM_RSRC3_GFX90A:TG_SPLIT: 0
	.section	.text._ZN7rocprim17ROCPRIM_400000_NS6detail17trampoline_kernelINS0_14default_configENS1_22reduce_config_selectorIN6thrust23THRUST_200600_302600_NS5tupleIblNS6_9null_typeES8_S8_S8_S8_S8_S8_S8_EEEEZNS1_11reduce_implILb1ES3_NS6_12zip_iteratorINS7_INS6_11hip_rocprim26transform_input_iterator_tIbPaNS6_6detail10functional5actorINSH_9compositeIJNSH_27transparent_binary_operatorINS6_8equal_toIvEEEENSI_INSH_8argumentILj0EEEEENSH_5valueIaEEEEEEEEENSD_19counting_iterator_tIlEES8_S8_S8_S8_S8_S8_S8_S8_EEEEPS9_S9_NSD_9__find_if7functorIS9_EEEE10hipError_tPvRmT1_T2_T3_mT4_P12ihipStream_tbEUlT_E1_NS1_11comp_targetILNS1_3genE2ELNS1_11target_archE906ELNS1_3gpuE6ELNS1_3repE0EEENS1_30default_config_static_selectorELNS0_4arch9wavefront6targetE1EEEvS17_,"axG",@progbits,_ZN7rocprim17ROCPRIM_400000_NS6detail17trampoline_kernelINS0_14default_configENS1_22reduce_config_selectorIN6thrust23THRUST_200600_302600_NS5tupleIblNS6_9null_typeES8_S8_S8_S8_S8_S8_S8_EEEEZNS1_11reduce_implILb1ES3_NS6_12zip_iteratorINS7_INS6_11hip_rocprim26transform_input_iterator_tIbPaNS6_6detail10functional5actorINSH_9compositeIJNSH_27transparent_binary_operatorINS6_8equal_toIvEEEENSI_INSH_8argumentILj0EEEEENSH_5valueIaEEEEEEEEENSD_19counting_iterator_tIlEES8_S8_S8_S8_S8_S8_S8_S8_EEEEPS9_S9_NSD_9__find_if7functorIS9_EEEE10hipError_tPvRmT1_T2_T3_mT4_P12ihipStream_tbEUlT_E1_NS1_11comp_targetILNS1_3genE2ELNS1_11target_archE906ELNS1_3gpuE6ELNS1_3repE0EEENS1_30default_config_static_selectorELNS0_4arch9wavefront6targetE1EEEvS17_,comdat
	.protected	_ZN7rocprim17ROCPRIM_400000_NS6detail17trampoline_kernelINS0_14default_configENS1_22reduce_config_selectorIN6thrust23THRUST_200600_302600_NS5tupleIblNS6_9null_typeES8_S8_S8_S8_S8_S8_S8_EEEEZNS1_11reduce_implILb1ES3_NS6_12zip_iteratorINS7_INS6_11hip_rocprim26transform_input_iterator_tIbPaNS6_6detail10functional5actorINSH_9compositeIJNSH_27transparent_binary_operatorINS6_8equal_toIvEEEENSI_INSH_8argumentILj0EEEEENSH_5valueIaEEEEEEEEENSD_19counting_iterator_tIlEES8_S8_S8_S8_S8_S8_S8_S8_EEEEPS9_S9_NSD_9__find_if7functorIS9_EEEE10hipError_tPvRmT1_T2_T3_mT4_P12ihipStream_tbEUlT_E1_NS1_11comp_targetILNS1_3genE2ELNS1_11target_archE906ELNS1_3gpuE6ELNS1_3repE0EEENS1_30default_config_static_selectorELNS0_4arch9wavefront6targetE1EEEvS17_ ; -- Begin function _ZN7rocprim17ROCPRIM_400000_NS6detail17trampoline_kernelINS0_14default_configENS1_22reduce_config_selectorIN6thrust23THRUST_200600_302600_NS5tupleIblNS6_9null_typeES8_S8_S8_S8_S8_S8_S8_EEEEZNS1_11reduce_implILb1ES3_NS6_12zip_iteratorINS7_INS6_11hip_rocprim26transform_input_iterator_tIbPaNS6_6detail10functional5actorINSH_9compositeIJNSH_27transparent_binary_operatorINS6_8equal_toIvEEEENSI_INSH_8argumentILj0EEEEENSH_5valueIaEEEEEEEEENSD_19counting_iterator_tIlEES8_S8_S8_S8_S8_S8_S8_S8_EEEEPS9_S9_NSD_9__find_if7functorIS9_EEEE10hipError_tPvRmT1_T2_T3_mT4_P12ihipStream_tbEUlT_E1_NS1_11comp_targetILNS1_3genE2ELNS1_11target_archE906ELNS1_3gpuE6ELNS1_3repE0EEENS1_30default_config_static_selectorELNS0_4arch9wavefront6targetE1EEEvS17_
	.globl	_ZN7rocprim17ROCPRIM_400000_NS6detail17trampoline_kernelINS0_14default_configENS1_22reduce_config_selectorIN6thrust23THRUST_200600_302600_NS5tupleIblNS6_9null_typeES8_S8_S8_S8_S8_S8_S8_EEEEZNS1_11reduce_implILb1ES3_NS6_12zip_iteratorINS7_INS6_11hip_rocprim26transform_input_iterator_tIbPaNS6_6detail10functional5actorINSH_9compositeIJNSH_27transparent_binary_operatorINS6_8equal_toIvEEEENSI_INSH_8argumentILj0EEEEENSH_5valueIaEEEEEEEEENSD_19counting_iterator_tIlEES8_S8_S8_S8_S8_S8_S8_S8_EEEEPS9_S9_NSD_9__find_if7functorIS9_EEEE10hipError_tPvRmT1_T2_T3_mT4_P12ihipStream_tbEUlT_E1_NS1_11comp_targetILNS1_3genE2ELNS1_11target_archE906ELNS1_3gpuE6ELNS1_3repE0EEENS1_30default_config_static_selectorELNS0_4arch9wavefront6targetE1EEEvS17_
	.p2align	8
	.type	_ZN7rocprim17ROCPRIM_400000_NS6detail17trampoline_kernelINS0_14default_configENS1_22reduce_config_selectorIN6thrust23THRUST_200600_302600_NS5tupleIblNS6_9null_typeES8_S8_S8_S8_S8_S8_S8_EEEEZNS1_11reduce_implILb1ES3_NS6_12zip_iteratorINS7_INS6_11hip_rocprim26transform_input_iterator_tIbPaNS6_6detail10functional5actorINSH_9compositeIJNSH_27transparent_binary_operatorINS6_8equal_toIvEEEENSI_INSH_8argumentILj0EEEEENSH_5valueIaEEEEEEEEENSD_19counting_iterator_tIlEES8_S8_S8_S8_S8_S8_S8_S8_EEEEPS9_S9_NSD_9__find_if7functorIS9_EEEE10hipError_tPvRmT1_T2_T3_mT4_P12ihipStream_tbEUlT_E1_NS1_11comp_targetILNS1_3genE2ELNS1_11target_archE906ELNS1_3gpuE6ELNS1_3repE0EEENS1_30default_config_static_selectorELNS0_4arch9wavefront6targetE1EEEvS17_,@function
_ZN7rocprim17ROCPRIM_400000_NS6detail17trampoline_kernelINS0_14default_configENS1_22reduce_config_selectorIN6thrust23THRUST_200600_302600_NS5tupleIblNS6_9null_typeES8_S8_S8_S8_S8_S8_S8_EEEEZNS1_11reduce_implILb1ES3_NS6_12zip_iteratorINS7_INS6_11hip_rocprim26transform_input_iterator_tIbPaNS6_6detail10functional5actorINSH_9compositeIJNSH_27transparent_binary_operatorINS6_8equal_toIvEEEENSI_INSH_8argumentILj0EEEEENSH_5valueIaEEEEEEEEENSD_19counting_iterator_tIlEES8_S8_S8_S8_S8_S8_S8_S8_EEEEPS9_S9_NSD_9__find_if7functorIS9_EEEE10hipError_tPvRmT1_T2_T3_mT4_P12ihipStream_tbEUlT_E1_NS1_11comp_targetILNS1_3genE2ELNS1_11target_archE906ELNS1_3gpuE6ELNS1_3repE0EEENS1_30default_config_static_selectorELNS0_4arch9wavefront6targetE1EEEvS17_: ; @_ZN7rocprim17ROCPRIM_400000_NS6detail17trampoline_kernelINS0_14default_configENS1_22reduce_config_selectorIN6thrust23THRUST_200600_302600_NS5tupleIblNS6_9null_typeES8_S8_S8_S8_S8_S8_S8_EEEEZNS1_11reduce_implILb1ES3_NS6_12zip_iteratorINS7_INS6_11hip_rocprim26transform_input_iterator_tIbPaNS6_6detail10functional5actorINSH_9compositeIJNSH_27transparent_binary_operatorINS6_8equal_toIvEEEENSI_INSH_8argumentILj0EEEEENSH_5valueIaEEEEEEEEENSD_19counting_iterator_tIlEES8_S8_S8_S8_S8_S8_S8_S8_EEEEPS9_S9_NSD_9__find_if7functorIS9_EEEE10hipError_tPvRmT1_T2_T3_mT4_P12ihipStream_tbEUlT_E1_NS1_11comp_targetILNS1_3genE2ELNS1_11target_archE906ELNS1_3gpuE6ELNS1_3repE0EEENS1_30default_config_static_selectorELNS0_4arch9wavefront6targetE1EEEvS17_
; %bb.0:
	.section	.rodata,"a",@progbits
	.p2align	6, 0x0
	.amdhsa_kernel _ZN7rocprim17ROCPRIM_400000_NS6detail17trampoline_kernelINS0_14default_configENS1_22reduce_config_selectorIN6thrust23THRUST_200600_302600_NS5tupleIblNS6_9null_typeES8_S8_S8_S8_S8_S8_S8_EEEEZNS1_11reduce_implILb1ES3_NS6_12zip_iteratorINS7_INS6_11hip_rocprim26transform_input_iterator_tIbPaNS6_6detail10functional5actorINSH_9compositeIJNSH_27transparent_binary_operatorINS6_8equal_toIvEEEENSI_INSH_8argumentILj0EEEEENSH_5valueIaEEEEEEEEENSD_19counting_iterator_tIlEES8_S8_S8_S8_S8_S8_S8_S8_EEEEPS9_S9_NSD_9__find_if7functorIS9_EEEE10hipError_tPvRmT1_T2_T3_mT4_P12ihipStream_tbEUlT_E1_NS1_11comp_targetILNS1_3genE2ELNS1_11target_archE906ELNS1_3gpuE6ELNS1_3repE0EEENS1_30default_config_static_selectorELNS0_4arch9wavefront6targetE1EEEvS17_
		.amdhsa_group_segment_fixed_size 0
		.amdhsa_private_segment_fixed_size 0
		.amdhsa_kernarg_size 72
		.amdhsa_user_sgpr_count 6
		.amdhsa_user_sgpr_private_segment_buffer 1
		.amdhsa_user_sgpr_dispatch_ptr 0
		.amdhsa_user_sgpr_queue_ptr 0
		.amdhsa_user_sgpr_kernarg_segment_ptr 1
		.amdhsa_user_sgpr_dispatch_id 0
		.amdhsa_user_sgpr_flat_scratch_init 0
		.amdhsa_user_sgpr_kernarg_preload_length 0
		.amdhsa_user_sgpr_kernarg_preload_offset 0
		.amdhsa_user_sgpr_private_segment_size 0
		.amdhsa_uses_dynamic_stack 0
		.amdhsa_system_sgpr_private_segment_wavefront_offset 0
		.amdhsa_system_sgpr_workgroup_id_x 1
		.amdhsa_system_sgpr_workgroup_id_y 0
		.amdhsa_system_sgpr_workgroup_id_z 0
		.amdhsa_system_sgpr_workgroup_info 0
		.amdhsa_system_vgpr_workitem_id 0
		.amdhsa_next_free_vgpr 1
		.amdhsa_next_free_sgpr 0
		.amdhsa_accum_offset 4
		.amdhsa_reserve_vcc 0
		.amdhsa_reserve_flat_scratch 0
		.amdhsa_float_round_mode_32 0
		.amdhsa_float_round_mode_16_64 0
		.amdhsa_float_denorm_mode_32 3
		.amdhsa_float_denorm_mode_16_64 3
		.amdhsa_dx10_clamp 1
		.amdhsa_ieee_mode 1
		.amdhsa_fp16_overflow 0
		.amdhsa_tg_split 0
		.amdhsa_exception_fp_ieee_invalid_op 0
		.amdhsa_exception_fp_denorm_src 0
		.amdhsa_exception_fp_ieee_div_zero 0
		.amdhsa_exception_fp_ieee_overflow 0
		.amdhsa_exception_fp_ieee_underflow 0
		.amdhsa_exception_fp_ieee_inexact 0
		.amdhsa_exception_int_div_zero 0
	.end_amdhsa_kernel
	.section	.text._ZN7rocprim17ROCPRIM_400000_NS6detail17trampoline_kernelINS0_14default_configENS1_22reduce_config_selectorIN6thrust23THRUST_200600_302600_NS5tupleIblNS6_9null_typeES8_S8_S8_S8_S8_S8_S8_EEEEZNS1_11reduce_implILb1ES3_NS6_12zip_iteratorINS7_INS6_11hip_rocprim26transform_input_iterator_tIbPaNS6_6detail10functional5actorINSH_9compositeIJNSH_27transparent_binary_operatorINS6_8equal_toIvEEEENSI_INSH_8argumentILj0EEEEENSH_5valueIaEEEEEEEEENSD_19counting_iterator_tIlEES8_S8_S8_S8_S8_S8_S8_S8_EEEEPS9_S9_NSD_9__find_if7functorIS9_EEEE10hipError_tPvRmT1_T2_T3_mT4_P12ihipStream_tbEUlT_E1_NS1_11comp_targetILNS1_3genE2ELNS1_11target_archE906ELNS1_3gpuE6ELNS1_3repE0EEENS1_30default_config_static_selectorELNS0_4arch9wavefront6targetE1EEEvS17_,"axG",@progbits,_ZN7rocprim17ROCPRIM_400000_NS6detail17trampoline_kernelINS0_14default_configENS1_22reduce_config_selectorIN6thrust23THRUST_200600_302600_NS5tupleIblNS6_9null_typeES8_S8_S8_S8_S8_S8_S8_EEEEZNS1_11reduce_implILb1ES3_NS6_12zip_iteratorINS7_INS6_11hip_rocprim26transform_input_iterator_tIbPaNS6_6detail10functional5actorINSH_9compositeIJNSH_27transparent_binary_operatorINS6_8equal_toIvEEEENSI_INSH_8argumentILj0EEEEENSH_5valueIaEEEEEEEEENSD_19counting_iterator_tIlEES8_S8_S8_S8_S8_S8_S8_S8_EEEEPS9_S9_NSD_9__find_if7functorIS9_EEEE10hipError_tPvRmT1_T2_T3_mT4_P12ihipStream_tbEUlT_E1_NS1_11comp_targetILNS1_3genE2ELNS1_11target_archE906ELNS1_3gpuE6ELNS1_3repE0EEENS1_30default_config_static_selectorELNS0_4arch9wavefront6targetE1EEEvS17_,comdat
.Lfunc_end721:
	.size	_ZN7rocprim17ROCPRIM_400000_NS6detail17trampoline_kernelINS0_14default_configENS1_22reduce_config_selectorIN6thrust23THRUST_200600_302600_NS5tupleIblNS6_9null_typeES8_S8_S8_S8_S8_S8_S8_EEEEZNS1_11reduce_implILb1ES3_NS6_12zip_iteratorINS7_INS6_11hip_rocprim26transform_input_iterator_tIbPaNS6_6detail10functional5actorINSH_9compositeIJNSH_27transparent_binary_operatorINS6_8equal_toIvEEEENSI_INSH_8argumentILj0EEEEENSH_5valueIaEEEEEEEEENSD_19counting_iterator_tIlEES8_S8_S8_S8_S8_S8_S8_S8_EEEEPS9_S9_NSD_9__find_if7functorIS9_EEEE10hipError_tPvRmT1_T2_T3_mT4_P12ihipStream_tbEUlT_E1_NS1_11comp_targetILNS1_3genE2ELNS1_11target_archE906ELNS1_3gpuE6ELNS1_3repE0EEENS1_30default_config_static_selectorELNS0_4arch9wavefront6targetE1EEEvS17_, .Lfunc_end721-_ZN7rocprim17ROCPRIM_400000_NS6detail17trampoline_kernelINS0_14default_configENS1_22reduce_config_selectorIN6thrust23THRUST_200600_302600_NS5tupleIblNS6_9null_typeES8_S8_S8_S8_S8_S8_S8_EEEEZNS1_11reduce_implILb1ES3_NS6_12zip_iteratorINS7_INS6_11hip_rocprim26transform_input_iterator_tIbPaNS6_6detail10functional5actorINSH_9compositeIJNSH_27transparent_binary_operatorINS6_8equal_toIvEEEENSI_INSH_8argumentILj0EEEEENSH_5valueIaEEEEEEEEENSD_19counting_iterator_tIlEES8_S8_S8_S8_S8_S8_S8_S8_EEEEPS9_S9_NSD_9__find_if7functorIS9_EEEE10hipError_tPvRmT1_T2_T3_mT4_P12ihipStream_tbEUlT_E1_NS1_11comp_targetILNS1_3genE2ELNS1_11target_archE906ELNS1_3gpuE6ELNS1_3repE0EEENS1_30default_config_static_selectorELNS0_4arch9wavefront6targetE1EEEvS17_
                                        ; -- End function
	.section	.AMDGPU.csdata,"",@progbits
; Kernel info:
; codeLenInByte = 0
; NumSgprs: 4
; NumVgprs: 0
; NumAgprs: 0
; TotalNumVgprs: 0
; ScratchSize: 0
; MemoryBound: 0
; FloatMode: 240
; IeeeMode: 1
; LDSByteSize: 0 bytes/workgroup (compile time only)
; SGPRBlocks: 0
; VGPRBlocks: 0
; NumSGPRsForWavesPerEU: 4
; NumVGPRsForWavesPerEU: 1
; AccumOffset: 4
; Occupancy: 8
; WaveLimiterHint : 0
; COMPUTE_PGM_RSRC2:SCRATCH_EN: 0
; COMPUTE_PGM_RSRC2:USER_SGPR: 6
; COMPUTE_PGM_RSRC2:TRAP_HANDLER: 0
; COMPUTE_PGM_RSRC2:TGID_X_EN: 1
; COMPUTE_PGM_RSRC2:TGID_Y_EN: 0
; COMPUTE_PGM_RSRC2:TGID_Z_EN: 0
; COMPUTE_PGM_RSRC2:TIDIG_COMP_CNT: 0
; COMPUTE_PGM_RSRC3_GFX90A:ACCUM_OFFSET: 0
; COMPUTE_PGM_RSRC3_GFX90A:TG_SPLIT: 0
	.section	.text._ZN7rocprim17ROCPRIM_400000_NS6detail17trampoline_kernelINS0_14default_configENS1_22reduce_config_selectorIN6thrust23THRUST_200600_302600_NS5tupleIblNS6_9null_typeES8_S8_S8_S8_S8_S8_S8_EEEEZNS1_11reduce_implILb1ES3_NS6_12zip_iteratorINS7_INS6_11hip_rocprim26transform_input_iterator_tIbPaNS6_6detail10functional5actorINSH_9compositeIJNSH_27transparent_binary_operatorINS6_8equal_toIvEEEENSI_INSH_8argumentILj0EEEEENSH_5valueIaEEEEEEEEENSD_19counting_iterator_tIlEES8_S8_S8_S8_S8_S8_S8_S8_EEEEPS9_S9_NSD_9__find_if7functorIS9_EEEE10hipError_tPvRmT1_T2_T3_mT4_P12ihipStream_tbEUlT_E1_NS1_11comp_targetILNS1_3genE10ELNS1_11target_archE1201ELNS1_3gpuE5ELNS1_3repE0EEENS1_30default_config_static_selectorELNS0_4arch9wavefront6targetE1EEEvS17_,"axG",@progbits,_ZN7rocprim17ROCPRIM_400000_NS6detail17trampoline_kernelINS0_14default_configENS1_22reduce_config_selectorIN6thrust23THRUST_200600_302600_NS5tupleIblNS6_9null_typeES8_S8_S8_S8_S8_S8_S8_EEEEZNS1_11reduce_implILb1ES3_NS6_12zip_iteratorINS7_INS6_11hip_rocprim26transform_input_iterator_tIbPaNS6_6detail10functional5actorINSH_9compositeIJNSH_27transparent_binary_operatorINS6_8equal_toIvEEEENSI_INSH_8argumentILj0EEEEENSH_5valueIaEEEEEEEEENSD_19counting_iterator_tIlEES8_S8_S8_S8_S8_S8_S8_S8_EEEEPS9_S9_NSD_9__find_if7functorIS9_EEEE10hipError_tPvRmT1_T2_T3_mT4_P12ihipStream_tbEUlT_E1_NS1_11comp_targetILNS1_3genE10ELNS1_11target_archE1201ELNS1_3gpuE5ELNS1_3repE0EEENS1_30default_config_static_selectorELNS0_4arch9wavefront6targetE1EEEvS17_,comdat
	.protected	_ZN7rocprim17ROCPRIM_400000_NS6detail17trampoline_kernelINS0_14default_configENS1_22reduce_config_selectorIN6thrust23THRUST_200600_302600_NS5tupleIblNS6_9null_typeES8_S8_S8_S8_S8_S8_S8_EEEEZNS1_11reduce_implILb1ES3_NS6_12zip_iteratorINS7_INS6_11hip_rocprim26transform_input_iterator_tIbPaNS6_6detail10functional5actorINSH_9compositeIJNSH_27transparent_binary_operatorINS6_8equal_toIvEEEENSI_INSH_8argumentILj0EEEEENSH_5valueIaEEEEEEEEENSD_19counting_iterator_tIlEES8_S8_S8_S8_S8_S8_S8_S8_EEEEPS9_S9_NSD_9__find_if7functorIS9_EEEE10hipError_tPvRmT1_T2_T3_mT4_P12ihipStream_tbEUlT_E1_NS1_11comp_targetILNS1_3genE10ELNS1_11target_archE1201ELNS1_3gpuE5ELNS1_3repE0EEENS1_30default_config_static_selectorELNS0_4arch9wavefront6targetE1EEEvS17_ ; -- Begin function _ZN7rocprim17ROCPRIM_400000_NS6detail17trampoline_kernelINS0_14default_configENS1_22reduce_config_selectorIN6thrust23THRUST_200600_302600_NS5tupleIblNS6_9null_typeES8_S8_S8_S8_S8_S8_S8_EEEEZNS1_11reduce_implILb1ES3_NS6_12zip_iteratorINS7_INS6_11hip_rocprim26transform_input_iterator_tIbPaNS6_6detail10functional5actorINSH_9compositeIJNSH_27transparent_binary_operatorINS6_8equal_toIvEEEENSI_INSH_8argumentILj0EEEEENSH_5valueIaEEEEEEEEENSD_19counting_iterator_tIlEES8_S8_S8_S8_S8_S8_S8_S8_EEEEPS9_S9_NSD_9__find_if7functorIS9_EEEE10hipError_tPvRmT1_T2_T3_mT4_P12ihipStream_tbEUlT_E1_NS1_11comp_targetILNS1_3genE10ELNS1_11target_archE1201ELNS1_3gpuE5ELNS1_3repE0EEENS1_30default_config_static_selectorELNS0_4arch9wavefront6targetE1EEEvS17_
	.globl	_ZN7rocprim17ROCPRIM_400000_NS6detail17trampoline_kernelINS0_14default_configENS1_22reduce_config_selectorIN6thrust23THRUST_200600_302600_NS5tupleIblNS6_9null_typeES8_S8_S8_S8_S8_S8_S8_EEEEZNS1_11reduce_implILb1ES3_NS6_12zip_iteratorINS7_INS6_11hip_rocprim26transform_input_iterator_tIbPaNS6_6detail10functional5actorINSH_9compositeIJNSH_27transparent_binary_operatorINS6_8equal_toIvEEEENSI_INSH_8argumentILj0EEEEENSH_5valueIaEEEEEEEEENSD_19counting_iterator_tIlEES8_S8_S8_S8_S8_S8_S8_S8_EEEEPS9_S9_NSD_9__find_if7functorIS9_EEEE10hipError_tPvRmT1_T2_T3_mT4_P12ihipStream_tbEUlT_E1_NS1_11comp_targetILNS1_3genE10ELNS1_11target_archE1201ELNS1_3gpuE5ELNS1_3repE0EEENS1_30default_config_static_selectorELNS0_4arch9wavefront6targetE1EEEvS17_
	.p2align	8
	.type	_ZN7rocprim17ROCPRIM_400000_NS6detail17trampoline_kernelINS0_14default_configENS1_22reduce_config_selectorIN6thrust23THRUST_200600_302600_NS5tupleIblNS6_9null_typeES8_S8_S8_S8_S8_S8_S8_EEEEZNS1_11reduce_implILb1ES3_NS6_12zip_iteratorINS7_INS6_11hip_rocprim26transform_input_iterator_tIbPaNS6_6detail10functional5actorINSH_9compositeIJNSH_27transparent_binary_operatorINS6_8equal_toIvEEEENSI_INSH_8argumentILj0EEEEENSH_5valueIaEEEEEEEEENSD_19counting_iterator_tIlEES8_S8_S8_S8_S8_S8_S8_S8_EEEEPS9_S9_NSD_9__find_if7functorIS9_EEEE10hipError_tPvRmT1_T2_T3_mT4_P12ihipStream_tbEUlT_E1_NS1_11comp_targetILNS1_3genE10ELNS1_11target_archE1201ELNS1_3gpuE5ELNS1_3repE0EEENS1_30default_config_static_selectorELNS0_4arch9wavefront6targetE1EEEvS17_,@function
_ZN7rocprim17ROCPRIM_400000_NS6detail17trampoline_kernelINS0_14default_configENS1_22reduce_config_selectorIN6thrust23THRUST_200600_302600_NS5tupleIblNS6_9null_typeES8_S8_S8_S8_S8_S8_S8_EEEEZNS1_11reduce_implILb1ES3_NS6_12zip_iteratorINS7_INS6_11hip_rocprim26transform_input_iterator_tIbPaNS6_6detail10functional5actorINSH_9compositeIJNSH_27transparent_binary_operatorINS6_8equal_toIvEEEENSI_INSH_8argumentILj0EEEEENSH_5valueIaEEEEEEEEENSD_19counting_iterator_tIlEES8_S8_S8_S8_S8_S8_S8_S8_EEEEPS9_S9_NSD_9__find_if7functorIS9_EEEE10hipError_tPvRmT1_T2_T3_mT4_P12ihipStream_tbEUlT_E1_NS1_11comp_targetILNS1_3genE10ELNS1_11target_archE1201ELNS1_3gpuE5ELNS1_3repE0EEENS1_30default_config_static_selectorELNS0_4arch9wavefront6targetE1EEEvS17_: ; @_ZN7rocprim17ROCPRIM_400000_NS6detail17trampoline_kernelINS0_14default_configENS1_22reduce_config_selectorIN6thrust23THRUST_200600_302600_NS5tupleIblNS6_9null_typeES8_S8_S8_S8_S8_S8_S8_EEEEZNS1_11reduce_implILb1ES3_NS6_12zip_iteratorINS7_INS6_11hip_rocprim26transform_input_iterator_tIbPaNS6_6detail10functional5actorINSH_9compositeIJNSH_27transparent_binary_operatorINS6_8equal_toIvEEEENSI_INSH_8argumentILj0EEEEENSH_5valueIaEEEEEEEEENSD_19counting_iterator_tIlEES8_S8_S8_S8_S8_S8_S8_S8_EEEEPS9_S9_NSD_9__find_if7functorIS9_EEEE10hipError_tPvRmT1_T2_T3_mT4_P12ihipStream_tbEUlT_E1_NS1_11comp_targetILNS1_3genE10ELNS1_11target_archE1201ELNS1_3gpuE5ELNS1_3repE0EEENS1_30default_config_static_selectorELNS0_4arch9wavefront6targetE1EEEvS17_
; %bb.0:
	.section	.rodata,"a",@progbits
	.p2align	6, 0x0
	.amdhsa_kernel _ZN7rocprim17ROCPRIM_400000_NS6detail17trampoline_kernelINS0_14default_configENS1_22reduce_config_selectorIN6thrust23THRUST_200600_302600_NS5tupleIblNS6_9null_typeES8_S8_S8_S8_S8_S8_S8_EEEEZNS1_11reduce_implILb1ES3_NS6_12zip_iteratorINS7_INS6_11hip_rocprim26transform_input_iterator_tIbPaNS6_6detail10functional5actorINSH_9compositeIJNSH_27transparent_binary_operatorINS6_8equal_toIvEEEENSI_INSH_8argumentILj0EEEEENSH_5valueIaEEEEEEEEENSD_19counting_iterator_tIlEES8_S8_S8_S8_S8_S8_S8_S8_EEEEPS9_S9_NSD_9__find_if7functorIS9_EEEE10hipError_tPvRmT1_T2_T3_mT4_P12ihipStream_tbEUlT_E1_NS1_11comp_targetILNS1_3genE10ELNS1_11target_archE1201ELNS1_3gpuE5ELNS1_3repE0EEENS1_30default_config_static_selectorELNS0_4arch9wavefront6targetE1EEEvS17_
		.amdhsa_group_segment_fixed_size 0
		.amdhsa_private_segment_fixed_size 0
		.amdhsa_kernarg_size 72
		.amdhsa_user_sgpr_count 6
		.amdhsa_user_sgpr_private_segment_buffer 1
		.amdhsa_user_sgpr_dispatch_ptr 0
		.amdhsa_user_sgpr_queue_ptr 0
		.amdhsa_user_sgpr_kernarg_segment_ptr 1
		.amdhsa_user_sgpr_dispatch_id 0
		.amdhsa_user_sgpr_flat_scratch_init 0
		.amdhsa_user_sgpr_kernarg_preload_length 0
		.amdhsa_user_sgpr_kernarg_preload_offset 0
		.amdhsa_user_sgpr_private_segment_size 0
		.amdhsa_uses_dynamic_stack 0
		.amdhsa_system_sgpr_private_segment_wavefront_offset 0
		.amdhsa_system_sgpr_workgroup_id_x 1
		.amdhsa_system_sgpr_workgroup_id_y 0
		.amdhsa_system_sgpr_workgroup_id_z 0
		.amdhsa_system_sgpr_workgroup_info 0
		.amdhsa_system_vgpr_workitem_id 0
		.amdhsa_next_free_vgpr 1
		.amdhsa_next_free_sgpr 0
		.amdhsa_accum_offset 4
		.amdhsa_reserve_vcc 0
		.amdhsa_reserve_flat_scratch 0
		.amdhsa_float_round_mode_32 0
		.amdhsa_float_round_mode_16_64 0
		.amdhsa_float_denorm_mode_32 3
		.amdhsa_float_denorm_mode_16_64 3
		.amdhsa_dx10_clamp 1
		.amdhsa_ieee_mode 1
		.amdhsa_fp16_overflow 0
		.amdhsa_tg_split 0
		.amdhsa_exception_fp_ieee_invalid_op 0
		.amdhsa_exception_fp_denorm_src 0
		.amdhsa_exception_fp_ieee_div_zero 0
		.amdhsa_exception_fp_ieee_overflow 0
		.amdhsa_exception_fp_ieee_underflow 0
		.amdhsa_exception_fp_ieee_inexact 0
		.amdhsa_exception_int_div_zero 0
	.end_amdhsa_kernel
	.section	.text._ZN7rocprim17ROCPRIM_400000_NS6detail17trampoline_kernelINS0_14default_configENS1_22reduce_config_selectorIN6thrust23THRUST_200600_302600_NS5tupleIblNS6_9null_typeES8_S8_S8_S8_S8_S8_S8_EEEEZNS1_11reduce_implILb1ES3_NS6_12zip_iteratorINS7_INS6_11hip_rocprim26transform_input_iterator_tIbPaNS6_6detail10functional5actorINSH_9compositeIJNSH_27transparent_binary_operatorINS6_8equal_toIvEEEENSI_INSH_8argumentILj0EEEEENSH_5valueIaEEEEEEEEENSD_19counting_iterator_tIlEES8_S8_S8_S8_S8_S8_S8_S8_EEEEPS9_S9_NSD_9__find_if7functorIS9_EEEE10hipError_tPvRmT1_T2_T3_mT4_P12ihipStream_tbEUlT_E1_NS1_11comp_targetILNS1_3genE10ELNS1_11target_archE1201ELNS1_3gpuE5ELNS1_3repE0EEENS1_30default_config_static_selectorELNS0_4arch9wavefront6targetE1EEEvS17_,"axG",@progbits,_ZN7rocprim17ROCPRIM_400000_NS6detail17trampoline_kernelINS0_14default_configENS1_22reduce_config_selectorIN6thrust23THRUST_200600_302600_NS5tupleIblNS6_9null_typeES8_S8_S8_S8_S8_S8_S8_EEEEZNS1_11reduce_implILb1ES3_NS6_12zip_iteratorINS7_INS6_11hip_rocprim26transform_input_iterator_tIbPaNS6_6detail10functional5actorINSH_9compositeIJNSH_27transparent_binary_operatorINS6_8equal_toIvEEEENSI_INSH_8argumentILj0EEEEENSH_5valueIaEEEEEEEEENSD_19counting_iterator_tIlEES8_S8_S8_S8_S8_S8_S8_S8_EEEEPS9_S9_NSD_9__find_if7functorIS9_EEEE10hipError_tPvRmT1_T2_T3_mT4_P12ihipStream_tbEUlT_E1_NS1_11comp_targetILNS1_3genE10ELNS1_11target_archE1201ELNS1_3gpuE5ELNS1_3repE0EEENS1_30default_config_static_selectorELNS0_4arch9wavefront6targetE1EEEvS17_,comdat
.Lfunc_end722:
	.size	_ZN7rocprim17ROCPRIM_400000_NS6detail17trampoline_kernelINS0_14default_configENS1_22reduce_config_selectorIN6thrust23THRUST_200600_302600_NS5tupleIblNS6_9null_typeES8_S8_S8_S8_S8_S8_S8_EEEEZNS1_11reduce_implILb1ES3_NS6_12zip_iteratorINS7_INS6_11hip_rocprim26transform_input_iterator_tIbPaNS6_6detail10functional5actorINSH_9compositeIJNSH_27transparent_binary_operatorINS6_8equal_toIvEEEENSI_INSH_8argumentILj0EEEEENSH_5valueIaEEEEEEEEENSD_19counting_iterator_tIlEES8_S8_S8_S8_S8_S8_S8_S8_EEEEPS9_S9_NSD_9__find_if7functorIS9_EEEE10hipError_tPvRmT1_T2_T3_mT4_P12ihipStream_tbEUlT_E1_NS1_11comp_targetILNS1_3genE10ELNS1_11target_archE1201ELNS1_3gpuE5ELNS1_3repE0EEENS1_30default_config_static_selectorELNS0_4arch9wavefront6targetE1EEEvS17_, .Lfunc_end722-_ZN7rocprim17ROCPRIM_400000_NS6detail17trampoline_kernelINS0_14default_configENS1_22reduce_config_selectorIN6thrust23THRUST_200600_302600_NS5tupleIblNS6_9null_typeES8_S8_S8_S8_S8_S8_S8_EEEEZNS1_11reduce_implILb1ES3_NS6_12zip_iteratorINS7_INS6_11hip_rocprim26transform_input_iterator_tIbPaNS6_6detail10functional5actorINSH_9compositeIJNSH_27transparent_binary_operatorINS6_8equal_toIvEEEENSI_INSH_8argumentILj0EEEEENSH_5valueIaEEEEEEEEENSD_19counting_iterator_tIlEES8_S8_S8_S8_S8_S8_S8_S8_EEEEPS9_S9_NSD_9__find_if7functorIS9_EEEE10hipError_tPvRmT1_T2_T3_mT4_P12ihipStream_tbEUlT_E1_NS1_11comp_targetILNS1_3genE10ELNS1_11target_archE1201ELNS1_3gpuE5ELNS1_3repE0EEENS1_30default_config_static_selectorELNS0_4arch9wavefront6targetE1EEEvS17_
                                        ; -- End function
	.section	.AMDGPU.csdata,"",@progbits
; Kernel info:
; codeLenInByte = 0
; NumSgprs: 4
; NumVgprs: 0
; NumAgprs: 0
; TotalNumVgprs: 0
; ScratchSize: 0
; MemoryBound: 0
; FloatMode: 240
; IeeeMode: 1
; LDSByteSize: 0 bytes/workgroup (compile time only)
; SGPRBlocks: 0
; VGPRBlocks: 0
; NumSGPRsForWavesPerEU: 4
; NumVGPRsForWavesPerEU: 1
; AccumOffset: 4
; Occupancy: 8
; WaveLimiterHint : 0
; COMPUTE_PGM_RSRC2:SCRATCH_EN: 0
; COMPUTE_PGM_RSRC2:USER_SGPR: 6
; COMPUTE_PGM_RSRC2:TRAP_HANDLER: 0
; COMPUTE_PGM_RSRC2:TGID_X_EN: 1
; COMPUTE_PGM_RSRC2:TGID_Y_EN: 0
; COMPUTE_PGM_RSRC2:TGID_Z_EN: 0
; COMPUTE_PGM_RSRC2:TIDIG_COMP_CNT: 0
; COMPUTE_PGM_RSRC3_GFX90A:ACCUM_OFFSET: 0
; COMPUTE_PGM_RSRC3_GFX90A:TG_SPLIT: 0
	.section	.text._ZN7rocprim17ROCPRIM_400000_NS6detail17trampoline_kernelINS0_14default_configENS1_22reduce_config_selectorIN6thrust23THRUST_200600_302600_NS5tupleIblNS6_9null_typeES8_S8_S8_S8_S8_S8_S8_EEEEZNS1_11reduce_implILb1ES3_NS6_12zip_iteratorINS7_INS6_11hip_rocprim26transform_input_iterator_tIbPaNS6_6detail10functional5actorINSH_9compositeIJNSH_27transparent_binary_operatorINS6_8equal_toIvEEEENSI_INSH_8argumentILj0EEEEENSH_5valueIaEEEEEEEEENSD_19counting_iterator_tIlEES8_S8_S8_S8_S8_S8_S8_S8_EEEEPS9_S9_NSD_9__find_if7functorIS9_EEEE10hipError_tPvRmT1_T2_T3_mT4_P12ihipStream_tbEUlT_E1_NS1_11comp_targetILNS1_3genE10ELNS1_11target_archE1200ELNS1_3gpuE4ELNS1_3repE0EEENS1_30default_config_static_selectorELNS0_4arch9wavefront6targetE1EEEvS17_,"axG",@progbits,_ZN7rocprim17ROCPRIM_400000_NS6detail17trampoline_kernelINS0_14default_configENS1_22reduce_config_selectorIN6thrust23THRUST_200600_302600_NS5tupleIblNS6_9null_typeES8_S8_S8_S8_S8_S8_S8_EEEEZNS1_11reduce_implILb1ES3_NS6_12zip_iteratorINS7_INS6_11hip_rocprim26transform_input_iterator_tIbPaNS6_6detail10functional5actorINSH_9compositeIJNSH_27transparent_binary_operatorINS6_8equal_toIvEEEENSI_INSH_8argumentILj0EEEEENSH_5valueIaEEEEEEEEENSD_19counting_iterator_tIlEES8_S8_S8_S8_S8_S8_S8_S8_EEEEPS9_S9_NSD_9__find_if7functorIS9_EEEE10hipError_tPvRmT1_T2_T3_mT4_P12ihipStream_tbEUlT_E1_NS1_11comp_targetILNS1_3genE10ELNS1_11target_archE1200ELNS1_3gpuE4ELNS1_3repE0EEENS1_30default_config_static_selectorELNS0_4arch9wavefront6targetE1EEEvS17_,comdat
	.protected	_ZN7rocprim17ROCPRIM_400000_NS6detail17trampoline_kernelINS0_14default_configENS1_22reduce_config_selectorIN6thrust23THRUST_200600_302600_NS5tupleIblNS6_9null_typeES8_S8_S8_S8_S8_S8_S8_EEEEZNS1_11reduce_implILb1ES3_NS6_12zip_iteratorINS7_INS6_11hip_rocprim26transform_input_iterator_tIbPaNS6_6detail10functional5actorINSH_9compositeIJNSH_27transparent_binary_operatorINS6_8equal_toIvEEEENSI_INSH_8argumentILj0EEEEENSH_5valueIaEEEEEEEEENSD_19counting_iterator_tIlEES8_S8_S8_S8_S8_S8_S8_S8_EEEEPS9_S9_NSD_9__find_if7functorIS9_EEEE10hipError_tPvRmT1_T2_T3_mT4_P12ihipStream_tbEUlT_E1_NS1_11comp_targetILNS1_3genE10ELNS1_11target_archE1200ELNS1_3gpuE4ELNS1_3repE0EEENS1_30default_config_static_selectorELNS0_4arch9wavefront6targetE1EEEvS17_ ; -- Begin function _ZN7rocprim17ROCPRIM_400000_NS6detail17trampoline_kernelINS0_14default_configENS1_22reduce_config_selectorIN6thrust23THRUST_200600_302600_NS5tupleIblNS6_9null_typeES8_S8_S8_S8_S8_S8_S8_EEEEZNS1_11reduce_implILb1ES3_NS6_12zip_iteratorINS7_INS6_11hip_rocprim26transform_input_iterator_tIbPaNS6_6detail10functional5actorINSH_9compositeIJNSH_27transparent_binary_operatorINS6_8equal_toIvEEEENSI_INSH_8argumentILj0EEEEENSH_5valueIaEEEEEEEEENSD_19counting_iterator_tIlEES8_S8_S8_S8_S8_S8_S8_S8_EEEEPS9_S9_NSD_9__find_if7functorIS9_EEEE10hipError_tPvRmT1_T2_T3_mT4_P12ihipStream_tbEUlT_E1_NS1_11comp_targetILNS1_3genE10ELNS1_11target_archE1200ELNS1_3gpuE4ELNS1_3repE0EEENS1_30default_config_static_selectorELNS0_4arch9wavefront6targetE1EEEvS17_
	.globl	_ZN7rocprim17ROCPRIM_400000_NS6detail17trampoline_kernelINS0_14default_configENS1_22reduce_config_selectorIN6thrust23THRUST_200600_302600_NS5tupleIblNS6_9null_typeES8_S8_S8_S8_S8_S8_S8_EEEEZNS1_11reduce_implILb1ES3_NS6_12zip_iteratorINS7_INS6_11hip_rocprim26transform_input_iterator_tIbPaNS6_6detail10functional5actorINSH_9compositeIJNSH_27transparent_binary_operatorINS6_8equal_toIvEEEENSI_INSH_8argumentILj0EEEEENSH_5valueIaEEEEEEEEENSD_19counting_iterator_tIlEES8_S8_S8_S8_S8_S8_S8_S8_EEEEPS9_S9_NSD_9__find_if7functorIS9_EEEE10hipError_tPvRmT1_T2_T3_mT4_P12ihipStream_tbEUlT_E1_NS1_11comp_targetILNS1_3genE10ELNS1_11target_archE1200ELNS1_3gpuE4ELNS1_3repE0EEENS1_30default_config_static_selectorELNS0_4arch9wavefront6targetE1EEEvS17_
	.p2align	8
	.type	_ZN7rocprim17ROCPRIM_400000_NS6detail17trampoline_kernelINS0_14default_configENS1_22reduce_config_selectorIN6thrust23THRUST_200600_302600_NS5tupleIblNS6_9null_typeES8_S8_S8_S8_S8_S8_S8_EEEEZNS1_11reduce_implILb1ES3_NS6_12zip_iteratorINS7_INS6_11hip_rocprim26transform_input_iterator_tIbPaNS6_6detail10functional5actorINSH_9compositeIJNSH_27transparent_binary_operatorINS6_8equal_toIvEEEENSI_INSH_8argumentILj0EEEEENSH_5valueIaEEEEEEEEENSD_19counting_iterator_tIlEES8_S8_S8_S8_S8_S8_S8_S8_EEEEPS9_S9_NSD_9__find_if7functorIS9_EEEE10hipError_tPvRmT1_T2_T3_mT4_P12ihipStream_tbEUlT_E1_NS1_11comp_targetILNS1_3genE10ELNS1_11target_archE1200ELNS1_3gpuE4ELNS1_3repE0EEENS1_30default_config_static_selectorELNS0_4arch9wavefront6targetE1EEEvS17_,@function
_ZN7rocprim17ROCPRIM_400000_NS6detail17trampoline_kernelINS0_14default_configENS1_22reduce_config_selectorIN6thrust23THRUST_200600_302600_NS5tupleIblNS6_9null_typeES8_S8_S8_S8_S8_S8_S8_EEEEZNS1_11reduce_implILb1ES3_NS6_12zip_iteratorINS7_INS6_11hip_rocprim26transform_input_iterator_tIbPaNS6_6detail10functional5actorINSH_9compositeIJNSH_27transparent_binary_operatorINS6_8equal_toIvEEEENSI_INSH_8argumentILj0EEEEENSH_5valueIaEEEEEEEEENSD_19counting_iterator_tIlEES8_S8_S8_S8_S8_S8_S8_S8_EEEEPS9_S9_NSD_9__find_if7functorIS9_EEEE10hipError_tPvRmT1_T2_T3_mT4_P12ihipStream_tbEUlT_E1_NS1_11comp_targetILNS1_3genE10ELNS1_11target_archE1200ELNS1_3gpuE4ELNS1_3repE0EEENS1_30default_config_static_selectorELNS0_4arch9wavefront6targetE1EEEvS17_: ; @_ZN7rocprim17ROCPRIM_400000_NS6detail17trampoline_kernelINS0_14default_configENS1_22reduce_config_selectorIN6thrust23THRUST_200600_302600_NS5tupleIblNS6_9null_typeES8_S8_S8_S8_S8_S8_S8_EEEEZNS1_11reduce_implILb1ES3_NS6_12zip_iteratorINS7_INS6_11hip_rocprim26transform_input_iterator_tIbPaNS6_6detail10functional5actorINSH_9compositeIJNSH_27transparent_binary_operatorINS6_8equal_toIvEEEENSI_INSH_8argumentILj0EEEEENSH_5valueIaEEEEEEEEENSD_19counting_iterator_tIlEES8_S8_S8_S8_S8_S8_S8_S8_EEEEPS9_S9_NSD_9__find_if7functorIS9_EEEE10hipError_tPvRmT1_T2_T3_mT4_P12ihipStream_tbEUlT_E1_NS1_11comp_targetILNS1_3genE10ELNS1_11target_archE1200ELNS1_3gpuE4ELNS1_3repE0EEENS1_30default_config_static_selectorELNS0_4arch9wavefront6targetE1EEEvS17_
; %bb.0:
	.section	.rodata,"a",@progbits
	.p2align	6, 0x0
	.amdhsa_kernel _ZN7rocprim17ROCPRIM_400000_NS6detail17trampoline_kernelINS0_14default_configENS1_22reduce_config_selectorIN6thrust23THRUST_200600_302600_NS5tupleIblNS6_9null_typeES8_S8_S8_S8_S8_S8_S8_EEEEZNS1_11reduce_implILb1ES3_NS6_12zip_iteratorINS7_INS6_11hip_rocprim26transform_input_iterator_tIbPaNS6_6detail10functional5actorINSH_9compositeIJNSH_27transparent_binary_operatorINS6_8equal_toIvEEEENSI_INSH_8argumentILj0EEEEENSH_5valueIaEEEEEEEEENSD_19counting_iterator_tIlEES8_S8_S8_S8_S8_S8_S8_S8_EEEEPS9_S9_NSD_9__find_if7functorIS9_EEEE10hipError_tPvRmT1_T2_T3_mT4_P12ihipStream_tbEUlT_E1_NS1_11comp_targetILNS1_3genE10ELNS1_11target_archE1200ELNS1_3gpuE4ELNS1_3repE0EEENS1_30default_config_static_selectorELNS0_4arch9wavefront6targetE1EEEvS17_
		.amdhsa_group_segment_fixed_size 0
		.amdhsa_private_segment_fixed_size 0
		.amdhsa_kernarg_size 72
		.amdhsa_user_sgpr_count 6
		.amdhsa_user_sgpr_private_segment_buffer 1
		.amdhsa_user_sgpr_dispatch_ptr 0
		.amdhsa_user_sgpr_queue_ptr 0
		.amdhsa_user_sgpr_kernarg_segment_ptr 1
		.amdhsa_user_sgpr_dispatch_id 0
		.amdhsa_user_sgpr_flat_scratch_init 0
		.amdhsa_user_sgpr_kernarg_preload_length 0
		.amdhsa_user_sgpr_kernarg_preload_offset 0
		.amdhsa_user_sgpr_private_segment_size 0
		.amdhsa_uses_dynamic_stack 0
		.amdhsa_system_sgpr_private_segment_wavefront_offset 0
		.amdhsa_system_sgpr_workgroup_id_x 1
		.amdhsa_system_sgpr_workgroup_id_y 0
		.amdhsa_system_sgpr_workgroup_id_z 0
		.amdhsa_system_sgpr_workgroup_info 0
		.amdhsa_system_vgpr_workitem_id 0
		.amdhsa_next_free_vgpr 1
		.amdhsa_next_free_sgpr 0
		.amdhsa_accum_offset 4
		.amdhsa_reserve_vcc 0
		.amdhsa_reserve_flat_scratch 0
		.amdhsa_float_round_mode_32 0
		.amdhsa_float_round_mode_16_64 0
		.amdhsa_float_denorm_mode_32 3
		.amdhsa_float_denorm_mode_16_64 3
		.amdhsa_dx10_clamp 1
		.amdhsa_ieee_mode 1
		.amdhsa_fp16_overflow 0
		.amdhsa_tg_split 0
		.amdhsa_exception_fp_ieee_invalid_op 0
		.amdhsa_exception_fp_denorm_src 0
		.amdhsa_exception_fp_ieee_div_zero 0
		.amdhsa_exception_fp_ieee_overflow 0
		.amdhsa_exception_fp_ieee_underflow 0
		.amdhsa_exception_fp_ieee_inexact 0
		.amdhsa_exception_int_div_zero 0
	.end_amdhsa_kernel
	.section	.text._ZN7rocprim17ROCPRIM_400000_NS6detail17trampoline_kernelINS0_14default_configENS1_22reduce_config_selectorIN6thrust23THRUST_200600_302600_NS5tupleIblNS6_9null_typeES8_S8_S8_S8_S8_S8_S8_EEEEZNS1_11reduce_implILb1ES3_NS6_12zip_iteratorINS7_INS6_11hip_rocprim26transform_input_iterator_tIbPaNS6_6detail10functional5actorINSH_9compositeIJNSH_27transparent_binary_operatorINS6_8equal_toIvEEEENSI_INSH_8argumentILj0EEEEENSH_5valueIaEEEEEEEEENSD_19counting_iterator_tIlEES8_S8_S8_S8_S8_S8_S8_S8_EEEEPS9_S9_NSD_9__find_if7functorIS9_EEEE10hipError_tPvRmT1_T2_T3_mT4_P12ihipStream_tbEUlT_E1_NS1_11comp_targetILNS1_3genE10ELNS1_11target_archE1200ELNS1_3gpuE4ELNS1_3repE0EEENS1_30default_config_static_selectorELNS0_4arch9wavefront6targetE1EEEvS17_,"axG",@progbits,_ZN7rocprim17ROCPRIM_400000_NS6detail17trampoline_kernelINS0_14default_configENS1_22reduce_config_selectorIN6thrust23THRUST_200600_302600_NS5tupleIblNS6_9null_typeES8_S8_S8_S8_S8_S8_S8_EEEEZNS1_11reduce_implILb1ES3_NS6_12zip_iteratorINS7_INS6_11hip_rocprim26transform_input_iterator_tIbPaNS6_6detail10functional5actorINSH_9compositeIJNSH_27transparent_binary_operatorINS6_8equal_toIvEEEENSI_INSH_8argumentILj0EEEEENSH_5valueIaEEEEEEEEENSD_19counting_iterator_tIlEES8_S8_S8_S8_S8_S8_S8_S8_EEEEPS9_S9_NSD_9__find_if7functorIS9_EEEE10hipError_tPvRmT1_T2_T3_mT4_P12ihipStream_tbEUlT_E1_NS1_11comp_targetILNS1_3genE10ELNS1_11target_archE1200ELNS1_3gpuE4ELNS1_3repE0EEENS1_30default_config_static_selectorELNS0_4arch9wavefront6targetE1EEEvS17_,comdat
.Lfunc_end723:
	.size	_ZN7rocprim17ROCPRIM_400000_NS6detail17trampoline_kernelINS0_14default_configENS1_22reduce_config_selectorIN6thrust23THRUST_200600_302600_NS5tupleIblNS6_9null_typeES8_S8_S8_S8_S8_S8_S8_EEEEZNS1_11reduce_implILb1ES3_NS6_12zip_iteratorINS7_INS6_11hip_rocprim26transform_input_iterator_tIbPaNS6_6detail10functional5actorINSH_9compositeIJNSH_27transparent_binary_operatorINS6_8equal_toIvEEEENSI_INSH_8argumentILj0EEEEENSH_5valueIaEEEEEEEEENSD_19counting_iterator_tIlEES8_S8_S8_S8_S8_S8_S8_S8_EEEEPS9_S9_NSD_9__find_if7functorIS9_EEEE10hipError_tPvRmT1_T2_T3_mT4_P12ihipStream_tbEUlT_E1_NS1_11comp_targetILNS1_3genE10ELNS1_11target_archE1200ELNS1_3gpuE4ELNS1_3repE0EEENS1_30default_config_static_selectorELNS0_4arch9wavefront6targetE1EEEvS17_, .Lfunc_end723-_ZN7rocprim17ROCPRIM_400000_NS6detail17trampoline_kernelINS0_14default_configENS1_22reduce_config_selectorIN6thrust23THRUST_200600_302600_NS5tupleIblNS6_9null_typeES8_S8_S8_S8_S8_S8_S8_EEEEZNS1_11reduce_implILb1ES3_NS6_12zip_iteratorINS7_INS6_11hip_rocprim26transform_input_iterator_tIbPaNS6_6detail10functional5actorINSH_9compositeIJNSH_27transparent_binary_operatorINS6_8equal_toIvEEEENSI_INSH_8argumentILj0EEEEENSH_5valueIaEEEEEEEEENSD_19counting_iterator_tIlEES8_S8_S8_S8_S8_S8_S8_S8_EEEEPS9_S9_NSD_9__find_if7functorIS9_EEEE10hipError_tPvRmT1_T2_T3_mT4_P12ihipStream_tbEUlT_E1_NS1_11comp_targetILNS1_3genE10ELNS1_11target_archE1200ELNS1_3gpuE4ELNS1_3repE0EEENS1_30default_config_static_selectorELNS0_4arch9wavefront6targetE1EEEvS17_
                                        ; -- End function
	.section	.AMDGPU.csdata,"",@progbits
; Kernel info:
; codeLenInByte = 0
; NumSgprs: 4
; NumVgprs: 0
; NumAgprs: 0
; TotalNumVgprs: 0
; ScratchSize: 0
; MemoryBound: 0
; FloatMode: 240
; IeeeMode: 1
; LDSByteSize: 0 bytes/workgroup (compile time only)
; SGPRBlocks: 0
; VGPRBlocks: 0
; NumSGPRsForWavesPerEU: 4
; NumVGPRsForWavesPerEU: 1
; AccumOffset: 4
; Occupancy: 8
; WaveLimiterHint : 0
; COMPUTE_PGM_RSRC2:SCRATCH_EN: 0
; COMPUTE_PGM_RSRC2:USER_SGPR: 6
; COMPUTE_PGM_RSRC2:TRAP_HANDLER: 0
; COMPUTE_PGM_RSRC2:TGID_X_EN: 1
; COMPUTE_PGM_RSRC2:TGID_Y_EN: 0
; COMPUTE_PGM_RSRC2:TGID_Z_EN: 0
; COMPUTE_PGM_RSRC2:TIDIG_COMP_CNT: 0
; COMPUTE_PGM_RSRC3_GFX90A:ACCUM_OFFSET: 0
; COMPUTE_PGM_RSRC3_GFX90A:TG_SPLIT: 0
	.section	.text._ZN7rocprim17ROCPRIM_400000_NS6detail17trampoline_kernelINS0_14default_configENS1_22reduce_config_selectorIN6thrust23THRUST_200600_302600_NS5tupleIblNS6_9null_typeES8_S8_S8_S8_S8_S8_S8_EEEEZNS1_11reduce_implILb1ES3_NS6_12zip_iteratorINS7_INS6_11hip_rocprim26transform_input_iterator_tIbPaNS6_6detail10functional5actorINSH_9compositeIJNSH_27transparent_binary_operatorINS6_8equal_toIvEEEENSI_INSH_8argumentILj0EEEEENSH_5valueIaEEEEEEEEENSD_19counting_iterator_tIlEES8_S8_S8_S8_S8_S8_S8_S8_EEEEPS9_S9_NSD_9__find_if7functorIS9_EEEE10hipError_tPvRmT1_T2_T3_mT4_P12ihipStream_tbEUlT_E1_NS1_11comp_targetILNS1_3genE9ELNS1_11target_archE1100ELNS1_3gpuE3ELNS1_3repE0EEENS1_30default_config_static_selectorELNS0_4arch9wavefront6targetE1EEEvS17_,"axG",@progbits,_ZN7rocprim17ROCPRIM_400000_NS6detail17trampoline_kernelINS0_14default_configENS1_22reduce_config_selectorIN6thrust23THRUST_200600_302600_NS5tupleIblNS6_9null_typeES8_S8_S8_S8_S8_S8_S8_EEEEZNS1_11reduce_implILb1ES3_NS6_12zip_iteratorINS7_INS6_11hip_rocprim26transform_input_iterator_tIbPaNS6_6detail10functional5actorINSH_9compositeIJNSH_27transparent_binary_operatorINS6_8equal_toIvEEEENSI_INSH_8argumentILj0EEEEENSH_5valueIaEEEEEEEEENSD_19counting_iterator_tIlEES8_S8_S8_S8_S8_S8_S8_S8_EEEEPS9_S9_NSD_9__find_if7functorIS9_EEEE10hipError_tPvRmT1_T2_T3_mT4_P12ihipStream_tbEUlT_E1_NS1_11comp_targetILNS1_3genE9ELNS1_11target_archE1100ELNS1_3gpuE3ELNS1_3repE0EEENS1_30default_config_static_selectorELNS0_4arch9wavefront6targetE1EEEvS17_,comdat
	.protected	_ZN7rocprim17ROCPRIM_400000_NS6detail17trampoline_kernelINS0_14default_configENS1_22reduce_config_selectorIN6thrust23THRUST_200600_302600_NS5tupleIblNS6_9null_typeES8_S8_S8_S8_S8_S8_S8_EEEEZNS1_11reduce_implILb1ES3_NS6_12zip_iteratorINS7_INS6_11hip_rocprim26transform_input_iterator_tIbPaNS6_6detail10functional5actorINSH_9compositeIJNSH_27transparent_binary_operatorINS6_8equal_toIvEEEENSI_INSH_8argumentILj0EEEEENSH_5valueIaEEEEEEEEENSD_19counting_iterator_tIlEES8_S8_S8_S8_S8_S8_S8_S8_EEEEPS9_S9_NSD_9__find_if7functorIS9_EEEE10hipError_tPvRmT1_T2_T3_mT4_P12ihipStream_tbEUlT_E1_NS1_11comp_targetILNS1_3genE9ELNS1_11target_archE1100ELNS1_3gpuE3ELNS1_3repE0EEENS1_30default_config_static_selectorELNS0_4arch9wavefront6targetE1EEEvS17_ ; -- Begin function _ZN7rocprim17ROCPRIM_400000_NS6detail17trampoline_kernelINS0_14default_configENS1_22reduce_config_selectorIN6thrust23THRUST_200600_302600_NS5tupleIblNS6_9null_typeES8_S8_S8_S8_S8_S8_S8_EEEEZNS1_11reduce_implILb1ES3_NS6_12zip_iteratorINS7_INS6_11hip_rocprim26transform_input_iterator_tIbPaNS6_6detail10functional5actorINSH_9compositeIJNSH_27transparent_binary_operatorINS6_8equal_toIvEEEENSI_INSH_8argumentILj0EEEEENSH_5valueIaEEEEEEEEENSD_19counting_iterator_tIlEES8_S8_S8_S8_S8_S8_S8_S8_EEEEPS9_S9_NSD_9__find_if7functorIS9_EEEE10hipError_tPvRmT1_T2_T3_mT4_P12ihipStream_tbEUlT_E1_NS1_11comp_targetILNS1_3genE9ELNS1_11target_archE1100ELNS1_3gpuE3ELNS1_3repE0EEENS1_30default_config_static_selectorELNS0_4arch9wavefront6targetE1EEEvS17_
	.globl	_ZN7rocprim17ROCPRIM_400000_NS6detail17trampoline_kernelINS0_14default_configENS1_22reduce_config_selectorIN6thrust23THRUST_200600_302600_NS5tupleIblNS6_9null_typeES8_S8_S8_S8_S8_S8_S8_EEEEZNS1_11reduce_implILb1ES3_NS6_12zip_iteratorINS7_INS6_11hip_rocprim26transform_input_iterator_tIbPaNS6_6detail10functional5actorINSH_9compositeIJNSH_27transparent_binary_operatorINS6_8equal_toIvEEEENSI_INSH_8argumentILj0EEEEENSH_5valueIaEEEEEEEEENSD_19counting_iterator_tIlEES8_S8_S8_S8_S8_S8_S8_S8_EEEEPS9_S9_NSD_9__find_if7functorIS9_EEEE10hipError_tPvRmT1_T2_T3_mT4_P12ihipStream_tbEUlT_E1_NS1_11comp_targetILNS1_3genE9ELNS1_11target_archE1100ELNS1_3gpuE3ELNS1_3repE0EEENS1_30default_config_static_selectorELNS0_4arch9wavefront6targetE1EEEvS17_
	.p2align	8
	.type	_ZN7rocprim17ROCPRIM_400000_NS6detail17trampoline_kernelINS0_14default_configENS1_22reduce_config_selectorIN6thrust23THRUST_200600_302600_NS5tupleIblNS6_9null_typeES8_S8_S8_S8_S8_S8_S8_EEEEZNS1_11reduce_implILb1ES3_NS6_12zip_iteratorINS7_INS6_11hip_rocprim26transform_input_iterator_tIbPaNS6_6detail10functional5actorINSH_9compositeIJNSH_27transparent_binary_operatorINS6_8equal_toIvEEEENSI_INSH_8argumentILj0EEEEENSH_5valueIaEEEEEEEEENSD_19counting_iterator_tIlEES8_S8_S8_S8_S8_S8_S8_S8_EEEEPS9_S9_NSD_9__find_if7functorIS9_EEEE10hipError_tPvRmT1_T2_T3_mT4_P12ihipStream_tbEUlT_E1_NS1_11comp_targetILNS1_3genE9ELNS1_11target_archE1100ELNS1_3gpuE3ELNS1_3repE0EEENS1_30default_config_static_selectorELNS0_4arch9wavefront6targetE1EEEvS17_,@function
_ZN7rocprim17ROCPRIM_400000_NS6detail17trampoline_kernelINS0_14default_configENS1_22reduce_config_selectorIN6thrust23THRUST_200600_302600_NS5tupleIblNS6_9null_typeES8_S8_S8_S8_S8_S8_S8_EEEEZNS1_11reduce_implILb1ES3_NS6_12zip_iteratorINS7_INS6_11hip_rocprim26transform_input_iterator_tIbPaNS6_6detail10functional5actorINSH_9compositeIJNSH_27transparent_binary_operatorINS6_8equal_toIvEEEENSI_INSH_8argumentILj0EEEEENSH_5valueIaEEEEEEEEENSD_19counting_iterator_tIlEES8_S8_S8_S8_S8_S8_S8_S8_EEEEPS9_S9_NSD_9__find_if7functorIS9_EEEE10hipError_tPvRmT1_T2_T3_mT4_P12ihipStream_tbEUlT_E1_NS1_11comp_targetILNS1_3genE9ELNS1_11target_archE1100ELNS1_3gpuE3ELNS1_3repE0EEENS1_30default_config_static_selectorELNS0_4arch9wavefront6targetE1EEEvS17_: ; @_ZN7rocprim17ROCPRIM_400000_NS6detail17trampoline_kernelINS0_14default_configENS1_22reduce_config_selectorIN6thrust23THRUST_200600_302600_NS5tupleIblNS6_9null_typeES8_S8_S8_S8_S8_S8_S8_EEEEZNS1_11reduce_implILb1ES3_NS6_12zip_iteratorINS7_INS6_11hip_rocprim26transform_input_iterator_tIbPaNS6_6detail10functional5actorINSH_9compositeIJNSH_27transparent_binary_operatorINS6_8equal_toIvEEEENSI_INSH_8argumentILj0EEEEENSH_5valueIaEEEEEEEEENSD_19counting_iterator_tIlEES8_S8_S8_S8_S8_S8_S8_S8_EEEEPS9_S9_NSD_9__find_if7functorIS9_EEEE10hipError_tPvRmT1_T2_T3_mT4_P12ihipStream_tbEUlT_E1_NS1_11comp_targetILNS1_3genE9ELNS1_11target_archE1100ELNS1_3gpuE3ELNS1_3repE0EEENS1_30default_config_static_selectorELNS0_4arch9wavefront6targetE1EEEvS17_
; %bb.0:
	.section	.rodata,"a",@progbits
	.p2align	6, 0x0
	.amdhsa_kernel _ZN7rocprim17ROCPRIM_400000_NS6detail17trampoline_kernelINS0_14default_configENS1_22reduce_config_selectorIN6thrust23THRUST_200600_302600_NS5tupleIblNS6_9null_typeES8_S8_S8_S8_S8_S8_S8_EEEEZNS1_11reduce_implILb1ES3_NS6_12zip_iteratorINS7_INS6_11hip_rocprim26transform_input_iterator_tIbPaNS6_6detail10functional5actorINSH_9compositeIJNSH_27transparent_binary_operatorINS6_8equal_toIvEEEENSI_INSH_8argumentILj0EEEEENSH_5valueIaEEEEEEEEENSD_19counting_iterator_tIlEES8_S8_S8_S8_S8_S8_S8_S8_EEEEPS9_S9_NSD_9__find_if7functorIS9_EEEE10hipError_tPvRmT1_T2_T3_mT4_P12ihipStream_tbEUlT_E1_NS1_11comp_targetILNS1_3genE9ELNS1_11target_archE1100ELNS1_3gpuE3ELNS1_3repE0EEENS1_30default_config_static_selectorELNS0_4arch9wavefront6targetE1EEEvS17_
		.amdhsa_group_segment_fixed_size 0
		.amdhsa_private_segment_fixed_size 0
		.amdhsa_kernarg_size 72
		.amdhsa_user_sgpr_count 6
		.amdhsa_user_sgpr_private_segment_buffer 1
		.amdhsa_user_sgpr_dispatch_ptr 0
		.amdhsa_user_sgpr_queue_ptr 0
		.amdhsa_user_sgpr_kernarg_segment_ptr 1
		.amdhsa_user_sgpr_dispatch_id 0
		.amdhsa_user_sgpr_flat_scratch_init 0
		.amdhsa_user_sgpr_kernarg_preload_length 0
		.amdhsa_user_sgpr_kernarg_preload_offset 0
		.amdhsa_user_sgpr_private_segment_size 0
		.amdhsa_uses_dynamic_stack 0
		.amdhsa_system_sgpr_private_segment_wavefront_offset 0
		.amdhsa_system_sgpr_workgroup_id_x 1
		.amdhsa_system_sgpr_workgroup_id_y 0
		.amdhsa_system_sgpr_workgroup_id_z 0
		.amdhsa_system_sgpr_workgroup_info 0
		.amdhsa_system_vgpr_workitem_id 0
		.amdhsa_next_free_vgpr 1
		.amdhsa_next_free_sgpr 0
		.amdhsa_accum_offset 4
		.amdhsa_reserve_vcc 0
		.amdhsa_reserve_flat_scratch 0
		.amdhsa_float_round_mode_32 0
		.amdhsa_float_round_mode_16_64 0
		.amdhsa_float_denorm_mode_32 3
		.amdhsa_float_denorm_mode_16_64 3
		.amdhsa_dx10_clamp 1
		.amdhsa_ieee_mode 1
		.amdhsa_fp16_overflow 0
		.amdhsa_tg_split 0
		.amdhsa_exception_fp_ieee_invalid_op 0
		.amdhsa_exception_fp_denorm_src 0
		.amdhsa_exception_fp_ieee_div_zero 0
		.amdhsa_exception_fp_ieee_overflow 0
		.amdhsa_exception_fp_ieee_underflow 0
		.amdhsa_exception_fp_ieee_inexact 0
		.amdhsa_exception_int_div_zero 0
	.end_amdhsa_kernel
	.section	.text._ZN7rocprim17ROCPRIM_400000_NS6detail17trampoline_kernelINS0_14default_configENS1_22reduce_config_selectorIN6thrust23THRUST_200600_302600_NS5tupleIblNS6_9null_typeES8_S8_S8_S8_S8_S8_S8_EEEEZNS1_11reduce_implILb1ES3_NS6_12zip_iteratorINS7_INS6_11hip_rocprim26transform_input_iterator_tIbPaNS6_6detail10functional5actorINSH_9compositeIJNSH_27transparent_binary_operatorINS6_8equal_toIvEEEENSI_INSH_8argumentILj0EEEEENSH_5valueIaEEEEEEEEENSD_19counting_iterator_tIlEES8_S8_S8_S8_S8_S8_S8_S8_EEEEPS9_S9_NSD_9__find_if7functorIS9_EEEE10hipError_tPvRmT1_T2_T3_mT4_P12ihipStream_tbEUlT_E1_NS1_11comp_targetILNS1_3genE9ELNS1_11target_archE1100ELNS1_3gpuE3ELNS1_3repE0EEENS1_30default_config_static_selectorELNS0_4arch9wavefront6targetE1EEEvS17_,"axG",@progbits,_ZN7rocprim17ROCPRIM_400000_NS6detail17trampoline_kernelINS0_14default_configENS1_22reduce_config_selectorIN6thrust23THRUST_200600_302600_NS5tupleIblNS6_9null_typeES8_S8_S8_S8_S8_S8_S8_EEEEZNS1_11reduce_implILb1ES3_NS6_12zip_iteratorINS7_INS6_11hip_rocprim26transform_input_iterator_tIbPaNS6_6detail10functional5actorINSH_9compositeIJNSH_27transparent_binary_operatorINS6_8equal_toIvEEEENSI_INSH_8argumentILj0EEEEENSH_5valueIaEEEEEEEEENSD_19counting_iterator_tIlEES8_S8_S8_S8_S8_S8_S8_S8_EEEEPS9_S9_NSD_9__find_if7functorIS9_EEEE10hipError_tPvRmT1_T2_T3_mT4_P12ihipStream_tbEUlT_E1_NS1_11comp_targetILNS1_3genE9ELNS1_11target_archE1100ELNS1_3gpuE3ELNS1_3repE0EEENS1_30default_config_static_selectorELNS0_4arch9wavefront6targetE1EEEvS17_,comdat
.Lfunc_end724:
	.size	_ZN7rocprim17ROCPRIM_400000_NS6detail17trampoline_kernelINS0_14default_configENS1_22reduce_config_selectorIN6thrust23THRUST_200600_302600_NS5tupleIblNS6_9null_typeES8_S8_S8_S8_S8_S8_S8_EEEEZNS1_11reduce_implILb1ES3_NS6_12zip_iteratorINS7_INS6_11hip_rocprim26transform_input_iterator_tIbPaNS6_6detail10functional5actorINSH_9compositeIJNSH_27transparent_binary_operatorINS6_8equal_toIvEEEENSI_INSH_8argumentILj0EEEEENSH_5valueIaEEEEEEEEENSD_19counting_iterator_tIlEES8_S8_S8_S8_S8_S8_S8_S8_EEEEPS9_S9_NSD_9__find_if7functorIS9_EEEE10hipError_tPvRmT1_T2_T3_mT4_P12ihipStream_tbEUlT_E1_NS1_11comp_targetILNS1_3genE9ELNS1_11target_archE1100ELNS1_3gpuE3ELNS1_3repE0EEENS1_30default_config_static_selectorELNS0_4arch9wavefront6targetE1EEEvS17_, .Lfunc_end724-_ZN7rocprim17ROCPRIM_400000_NS6detail17trampoline_kernelINS0_14default_configENS1_22reduce_config_selectorIN6thrust23THRUST_200600_302600_NS5tupleIblNS6_9null_typeES8_S8_S8_S8_S8_S8_S8_EEEEZNS1_11reduce_implILb1ES3_NS6_12zip_iteratorINS7_INS6_11hip_rocprim26transform_input_iterator_tIbPaNS6_6detail10functional5actorINSH_9compositeIJNSH_27transparent_binary_operatorINS6_8equal_toIvEEEENSI_INSH_8argumentILj0EEEEENSH_5valueIaEEEEEEEEENSD_19counting_iterator_tIlEES8_S8_S8_S8_S8_S8_S8_S8_EEEEPS9_S9_NSD_9__find_if7functorIS9_EEEE10hipError_tPvRmT1_T2_T3_mT4_P12ihipStream_tbEUlT_E1_NS1_11comp_targetILNS1_3genE9ELNS1_11target_archE1100ELNS1_3gpuE3ELNS1_3repE0EEENS1_30default_config_static_selectorELNS0_4arch9wavefront6targetE1EEEvS17_
                                        ; -- End function
	.section	.AMDGPU.csdata,"",@progbits
; Kernel info:
; codeLenInByte = 0
; NumSgprs: 4
; NumVgprs: 0
; NumAgprs: 0
; TotalNumVgprs: 0
; ScratchSize: 0
; MemoryBound: 0
; FloatMode: 240
; IeeeMode: 1
; LDSByteSize: 0 bytes/workgroup (compile time only)
; SGPRBlocks: 0
; VGPRBlocks: 0
; NumSGPRsForWavesPerEU: 4
; NumVGPRsForWavesPerEU: 1
; AccumOffset: 4
; Occupancy: 8
; WaveLimiterHint : 0
; COMPUTE_PGM_RSRC2:SCRATCH_EN: 0
; COMPUTE_PGM_RSRC2:USER_SGPR: 6
; COMPUTE_PGM_RSRC2:TRAP_HANDLER: 0
; COMPUTE_PGM_RSRC2:TGID_X_EN: 1
; COMPUTE_PGM_RSRC2:TGID_Y_EN: 0
; COMPUTE_PGM_RSRC2:TGID_Z_EN: 0
; COMPUTE_PGM_RSRC2:TIDIG_COMP_CNT: 0
; COMPUTE_PGM_RSRC3_GFX90A:ACCUM_OFFSET: 0
; COMPUTE_PGM_RSRC3_GFX90A:TG_SPLIT: 0
	.section	.text._ZN7rocprim17ROCPRIM_400000_NS6detail17trampoline_kernelINS0_14default_configENS1_22reduce_config_selectorIN6thrust23THRUST_200600_302600_NS5tupleIblNS6_9null_typeES8_S8_S8_S8_S8_S8_S8_EEEEZNS1_11reduce_implILb1ES3_NS6_12zip_iteratorINS7_INS6_11hip_rocprim26transform_input_iterator_tIbPaNS6_6detail10functional5actorINSH_9compositeIJNSH_27transparent_binary_operatorINS6_8equal_toIvEEEENSI_INSH_8argumentILj0EEEEENSH_5valueIaEEEEEEEEENSD_19counting_iterator_tIlEES8_S8_S8_S8_S8_S8_S8_S8_EEEEPS9_S9_NSD_9__find_if7functorIS9_EEEE10hipError_tPvRmT1_T2_T3_mT4_P12ihipStream_tbEUlT_E1_NS1_11comp_targetILNS1_3genE8ELNS1_11target_archE1030ELNS1_3gpuE2ELNS1_3repE0EEENS1_30default_config_static_selectorELNS0_4arch9wavefront6targetE1EEEvS17_,"axG",@progbits,_ZN7rocprim17ROCPRIM_400000_NS6detail17trampoline_kernelINS0_14default_configENS1_22reduce_config_selectorIN6thrust23THRUST_200600_302600_NS5tupleIblNS6_9null_typeES8_S8_S8_S8_S8_S8_S8_EEEEZNS1_11reduce_implILb1ES3_NS6_12zip_iteratorINS7_INS6_11hip_rocprim26transform_input_iterator_tIbPaNS6_6detail10functional5actorINSH_9compositeIJNSH_27transparent_binary_operatorINS6_8equal_toIvEEEENSI_INSH_8argumentILj0EEEEENSH_5valueIaEEEEEEEEENSD_19counting_iterator_tIlEES8_S8_S8_S8_S8_S8_S8_S8_EEEEPS9_S9_NSD_9__find_if7functorIS9_EEEE10hipError_tPvRmT1_T2_T3_mT4_P12ihipStream_tbEUlT_E1_NS1_11comp_targetILNS1_3genE8ELNS1_11target_archE1030ELNS1_3gpuE2ELNS1_3repE0EEENS1_30default_config_static_selectorELNS0_4arch9wavefront6targetE1EEEvS17_,comdat
	.protected	_ZN7rocprim17ROCPRIM_400000_NS6detail17trampoline_kernelINS0_14default_configENS1_22reduce_config_selectorIN6thrust23THRUST_200600_302600_NS5tupleIblNS6_9null_typeES8_S8_S8_S8_S8_S8_S8_EEEEZNS1_11reduce_implILb1ES3_NS6_12zip_iteratorINS7_INS6_11hip_rocprim26transform_input_iterator_tIbPaNS6_6detail10functional5actorINSH_9compositeIJNSH_27transparent_binary_operatorINS6_8equal_toIvEEEENSI_INSH_8argumentILj0EEEEENSH_5valueIaEEEEEEEEENSD_19counting_iterator_tIlEES8_S8_S8_S8_S8_S8_S8_S8_EEEEPS9_S9_NSD_9__find_if7functorIS9_EEEE10hipError_tPvRmT1_T2_T3_mT4_P12ihipStream_tbEUlT_E1_NS1_11comp_targetILNS1_3genE8ELNS1_11target_archE1030ELNS1_3gpuE2ELNS1_3repE0EEENS1_30default_config_static_selectorELNS0_4arch9wavefront6targetE1EEEvS17_ ; -- Begin function _ZN7rocprim17ROCPRIM_400000_NS6detail17trampoline_kernelINS0_14default_configENS1_22reduce_config_selectorIN6thrust23THRUST_200600_302600_NS5tupleIblNS6_9null_typeES8_S8_S8_S8_S8_S8_S8_EEEEZNS1_11reduce_implILb1ES3_NS6_12zip_iteratorINS7_INS6_11hip_rocprim26transform_input_iterator_tIbPaNS6_6detail10functional5actorINSH_9compositeIJNSH_27transparent_binary_operatorINS6_8equal_toIvEEEENSI_INSH_8argumentILj0EEEEENSH_5valueIaEEEEEEEEENSD_19counting_iterator_tIlEES8_S8_S8_S8_S8_S8_S8_S8_EEEEPS9_S9_NSD_9__find_if7functorIS9_EEEE10hipError_tPvRmT1_T2_T3_mT4_P12ihipStream_tbEUlT_E1_NS1_11comp_targetILNS1_3genE8ELNS1_11target_archE1030ELNS1_3gpuE2ELNS1_3repE0EEENS1_30default_config_static_selectorELNS0_4arch9wavefront6targetE1EEEvS17_
	.globl	_ZN7rocprim17ROCPRIM_400000_NS6detail17trampoline_kernelINS0_14default_configENS1_22reduce_config_selectorIN6thrust23THRUST_200600_302600_NS5tupleIblNS6_9null_typeES8_S8_S8_S8_S8_S8_S8_EEEEZNS1_11reduce_implILb1ES3_NS6_12zip_iteratorINS7_INS6_11hip_rocprim26transform_input_iterator_tIbPaNS6_6detail10functional5actorINSH_9compositeIJNSH_27transparent_binary_operatorINS6_8equal_toIvEEEENSI_INSH_8argumentILj0EEEEENSH_5valueIaEEEEEEEEENSD_19counting_iterator_tIlEES8_S8_S8_S8_S8_S8_S8_S8_EEEEPS9_S9_NSD_9__find_if7functorIS9_EEEE10hipError_tPvRmT1_T2_T3_mT4_P12ihipStream_tbEUlT_E1_NS1_11comp_targetILNS1_3genE8ELNS1_11target_archE1030ELNS1_3gpuE2ELNS1_3repE0EEENS1_30default_config_static_selectorELNS0_4arch9wavefront6targetE1EEEvS17_
	.p2align	8
	.type	_ZN7rocprim17ROCPRIM_400000_NS6detail17trampoline_kernelINS0_14default_configENS1_22reduce_config_selectorIN6thrust23THRUST_200600_302600_NS5tupleIblNS6_9null_typeES8_S8_S8_S8_S8_S8_S8_EEEEZNS1_11reduce_implILb1ES3_NS6_12zip_iteratorINS7_INS6_11hip_rocprim26transform_input_iterator_tIbPaNS6_6detail10functional5actorINSH_9compositeIJNSH_27transparent_binary_operatorINS6_8equal_toIvEEEENSI_INSH_8argumentILj0EEEEENSH_5valueIaEEEEEEEEENSD_19counting_iterator_tIlEES8_S8_S8_S8_S8_S8_S8_S8_EEEEPS9_S9_NSD_9__find_if7functorIS9_EEEE10hipError_tPvRmT1_T2_T3_mT4_P12ihipStream_tbEUlT_E1_NS1_11comp_targetILNS1_3genE8ELNS1_11target_archE1030ELNS1_3gpuE2ELNS1_3repE0EEENS1_30default_config_static_selectorELNS0_4arch9wavefront6targetE1EEEvS17_,@function
_ZN7rocprim17ROCPRIM_400000_NS6detail17trampoline_kernelINS0_14default_configENS1_22reduce_config_selectorIN6thrust23THRUST_200600_302600_NS5tupleIblNS6_9null_typeES8_S8_S8_S8_S8_S8_S8_EEEEZNS1_11reduce_implILb1ES3_NS6_12zip_iteratorINS7_INS6_11hip_rocprim26transform_input_iterator_tIbPaNS6_6detail10functional5actorINSH_9compositeIJNSH_27transparent_binary_operatorINS6_8equal_toIvEEEENSI_INSH_8argumentILj0EEEEENSH_5valueIaEEEEEEEEENSD_19counting_iterator_tIlEES8_S8_S8_S8_S8_S8_S8_S8_EEEEPS9_S9_NSD_9__find_if7functorIS9_EEEE10hipError_tPvRmT1_T2_T3_mT4_P12ihipStream_tbEUlT_E1_NS1_11comp_targetILNS1_3genE8ELNS1_11target_archE1030ELNS1_3gpuE2ELNS1_3repE0EEENS1_30default_config_static_selectorELNS0_4arch9wavefront6targetE1EEEvS17_: ; @_ZN7rocprim17ROCPRIM_400000_NS6detail17trampoline_kernelINS0_14default_configENS1_22reduce_config_selectorIN6thrust23THRUST_200600_302600_NS5tupleIblNS6_9null_typeES8_S8_S8_S8_S8_S8_S8_EEEEZNS1_11reduce_implILb1ES3_NS6_12zip_iteratorINS7_INS6_11hip_rocprim26transform_input_iterator_tIbPaNS6_6detail10functional5actorINSH_9compositeIJNSH_27transparent_binary_operatorINS6_8equal_toIvEEEENSI_INSH_8argumentILj0EEEEENSH_5valueIaEEEEEEEEENSD_19counting_iterator_tIlEES8_S8_S8_S8_S8_S8_S8_S8_EEEEPS9_S9_NSD_9__find_if7functorIS9_EEEE10hipError_tPvRmT1_T2_T3_mT4_P12ihipStream_tbEUlT_E1_NS1_11comp_targetILNS1_3genE8ELNS1_11target_archE1030ELNS1_3gpuE2ELNS1_3repE0EEENS1_30default_config_static_selectorELNS0_4arch9wavefront6targetE1EEEvS17_
; %bb.0:
	.section	.rodata,"a",@progbits
	.p2align	6, 0x0
	.amdhsa_kernel _ZN7rocprim17ROCPRIM_400000_NS6detail17trampoline_kernelINS0_14default_configENS1_22reduce_config_selectorIN6thrust23THRUST_200600_302600_NS5tupleIblNS6_9null_typeES8_S8_S8_S8_S8_S8_S8_EEEEZNS1_11reduce_implILb1ES3_NS6_12zip_iteratorINS7_INS6_11hip_rocprim26transform_input_iterator_tIbPaNS6_6detail10functional5actorINSH_9compositeIJNSH_27transparent_binary_operatorINS6_8equal_toIvEEEENSI_INSH_8argumentILj0EEEEENSH_5valueIaEEEEEEEEENSD_19counting_iterator_tIlEES8_S8_S8_S8_S8_S8_S8_S8_EEEEPS9_S9_NSD_9__find_if7functorIS9_EEEE10hipError_tPvRmT1_T2_T3_mT4_P12ihipStream_tbEUlT_E1_NS1_11comp_targetILNS1_3genE8ELNS1_11target_archE1030ELNS1_3gpuE2ELNS1_3repE0EEENS1_30default_config_static_selectorELNS0_4arch9wavefront6targetE1EEEvS17_
		.amdhsa_group_segment_fixed_size 0
		.amdhsa_private_segment_fixed_size 0
		.amdhsa_kernarg_size 72
		.amdhsa_user_sgpr_count 6
		.amdhsa_user_sgpr_private_segment_buffer 1
		.amdhsa_user_sgpr_dispatch_ptr 0
		.amdhsa_user_sgpr_queue_ptr 0
		.amdhsa_user_sgpr_kernarg_segment_ptr 1
		.amdhsa_user_sgpr_dispatch_id 0
		.amdhsa_user_sgpr_flat_scratch_init 0
		.amdhsa_user_sgpr_kernarg_preload_length 0
		.amdhsa_user_sgpr_kernarg_preload_offset 0
		.amdhsa_user_sgpr_private_segment_size 0
		.amdhsa_uses_dynamic_stack 0
		.amdhsa_system_sgpr_private_segment_wavefront_offset 0
		.amdhsa_system_sgpr_workgroup_id_x 1
		.amdhsa_system_sgpr_workgroup_id_y 0
		.amdhsa_system_sgpr_workgroup_id_z 0
		.amdhsa_system_sgpr_workgroup_info 0
		.amdhsa_system_vgpr_workitem_id 0
		.amdhsa_next_free_vgpr 1
		.amdhsa_next_free_sgpr 0
		.amdhsa_accum_offset 4
		.amdhsa_reserve_vcc 0
		.amdhsa_reserve_flat_scratch 0
		.amdhsa_float_round_mode_32 0
		.amdhsa_float_round_mode_16_64 0
		.amdhsa_float_denorm_mode_32 3
		.amdhsa_float_denorm_mode_16_64 3
		.amdhsa_dx10_clamp 1
		.amdhsa_ieee_mode 1
		.amdhsa_fp16_overflow 0
		.amdhsa_tg_split 0
		.amdhsa_exception_fp_ieee_invalid_op 0
		.amdhsa_exception_fp_denorm_src 0
		.amdhsa_exception_fp_ieee_div_zero 0
		.amdhsa_exception_fp_ieee_overflow 0
		.amdhsa_exception_fp_ieee_underflow 0
		.amdhsa_exception_fp_ieee_inexact 0
		.amdhsa_exception_int_div_zero 0
	.end_amdhsa_kernel
	.section	.text._ZN7rocprim17ROCPRIM_400000_NS6detail17trampoline_kernelINS0_14default_configENS1_22reduce_config_selectorIN6thrust23THRUST_200600_302600_NS5tupleIblNS6_9null_typeES8_S8_S8_S8_S8_S8_S8_EEEEZNS1_11reduce_implILb1ES3_NS6_12zip_iteratorINS7_INS6_11hip_rocprim26transform_input_iterator_tIbPaNS6_6detail10functional5actorINSH_9compositeIJNSH_27transparent_binary_operatorINS6_8equal_toIvEEEENSI_INSH_8argumentILj0EEEEENSH_5valueIaEEEEEEEEENSD_19counting_iterator_tIlEES8_S8_S8_S8_S8_S8_S8_S8_EEEEPS9_S9_NSD_9__find_if7functorIS9_EEEE10hipError_tPvRmT1_T2_T3_mT4_P12ihipStream_tbEUlT_E1_NS1_11comp_targetILNS1_3genE8ELNS1_11target_archE1030ELNS1_3gpuE2ELNS1_3repE0EEENS1_30default_config_static_selectorELNS0_4arch9wavefront6targetE1EEEvS17_,"axG",@progbits,_ZN7rocprim17ROCPRIM_400000_NS6detail17trampoline_kernelINS0_14default_configENS1_22reduce_config_selectorIN6thrust23THRUST_200600_302600_NS5tupleIblNS6_9null_typeES8_S8_S8_S8_S8_S8_S8_EEEEZNS1_11reduce_implILb1ES3_NS6_12zip_iteratorINS7_INS6_11hip_rocprim26transform_input_iterator_tIbPaNS6_6detail10functional5actorINSH_9compositeIJNSH_27transparent_binary_operatorINS6_8equal_toIvEEEENSI_INSH_8argumentILj0EEEEENSH_5valueIaEEEEEEEEENSD_19counting_iterator_tIlEES8_S8_S8_S8_S8_S8_S8_S8_EEEEPS9_S9_NSD_9__find_if7functorIS9_EEEE10hipError_tPvRmT1_T2_T3_mT4_P12ihipStream_tbEUlT_E1_NS1_11comp_targetILNS1_3genE8ELNS1_11target_archE1030ELNS1_3gpuE2ELNS1_3repE0EEENS1_30default_config_static_selectorELNS0_4arch9wavefront6targetE1EEEvS17_,comdat
.Lfunc_end725:
	.size	_ZN7rocprim17ROCPRIM_400000_NS6detail17trampoline_kernelINS0_14default_configENS1_22reduce_config_selectorIN6thrust23THRUST_200600_302600_NS5tupleIblNS6_9null_typeES8_S8_S8_S8_S8_S8_S8_EEEEZNS1_11reduce_implILb1ES3_NS6_12zip_iteratorINS7_INS6_11hip_rocprim26transform_input_iterator_tIbPaNS6_6detail10functional5actorINSH_9compositeIJNSH_27transparent_binary_operatorINS6_8equal_toIvEEEENSI_INSH_8argumentILj0EEEEENSH_5valueIaEEEEEEEEENSD_19counting_iterator_tIlEES8_S8_S8_S8_S8_S8_S8_S8_EEEEPS9_S9_NSD_9__find_if7functorIS9_EEEE10hipError_tPvRmT1_T2_T3_mT4_P12ihipStream_tbEUlT_E1_NS1_11comp_targetILNS1_3genE8ELNS1_11target_archE1030ELNS1_3gpuE2ELNS1_3repE0EEENS1_30default_config_static_selectorELNS0_4arch9wavefront6targetE1EEEvS17_, .Lfunc_end725-_ZN7rocprim17ROCPRIM_400000_NS6detail17trampoline_kernelINS0_14default_configENS1_22reduce_config_selectorIN6thrust23THRUST_200600_302600_NS5tupleIblNS6_9null_typeES8_S8_S8_S8_S8_S8_S8_EEEEZNS1_11reduce_implILb1ES3_NS6_12zip_iteratorINS7_INS6_11hip_rocprim26transform_input_iterator_tIbPaNS6_6detail10functional5actorINSH_9compositeIJNSH_27transparent_binary_operatorINS6_8equal_toIvEEEENSI_INSH_8argumentILj0EEEEENSH_5valueIaEEEEEEEEENSD_19counting_iterator_tIlEES8_S8_S8_S8_S8_S8_S8_S8_EEEEPS9_S9_NSD_9__find_if7functorIS9_EEEE10hipError_tPvRmT1_T2_T3_mT4_P12ihipStream_tbEUlT_E1_NS1_11comp_targetILNS1_3genE8ELNS1_11target_archE1030ELNS1_3gpuE2ELNS1_3repE0EEENS1_30default_config_static_selectorELNS0_4arch9wavefront6targetE1EEEvS17_
                                        ; -- End function
	.section	.AMDGPU.csdata,"",@progbits
; Kernel info:
; codeLenInByte = 0
; NumSgprs: 4
; NumVgprs: 0
; NumAgprs: 0
; TotalNumVgprs: 0
; ScratchSize: 0
; MemoryBound: 0
; FloatMode: 240
; IeeeMode: 1
; LDSByteSize: 0 bytes/workgroup (compile time only)
; SGPRBlocks: 0
; VGPRBlocks: 0
; NumSGPRsForWavesPerEU: 4
; NumVGPRsForWavesPerEU: 1
; AccumOffset: 4
; Occupancy: 8
; WaveLimiterHint : 0
; COMPUTE_PGM_RSRC2:SCRATCH_EN: 0
; COMPUTE_PGM_RSRC2:USER_SGPR: 6
; COMPUTE_PGM_RSRC2:TRAP_HANDLER: 0
; COMPUTE_PGM_RSRC2:TGID_X_EN: 1
; COMPUTE_PGM_RSRC2:TGID_Y_EN: 0
; COMPUTE_PGM_RSRC2:TGID_Z_EN: 0
; COMPUTE_PGM_RSRC2:TIDIG_COMP_CNT: 0
; COMPUTE_PGM_RSRC3_GFX90A:ACCUM_OFFSET: 0
; COMPUTE_PGM_RSRC3_GFX90A:TG_SPLIT: 0
	.section	.text._ZN7rocprim17ROCPRIM_400000_NS6detail17trampoline_kernelINS0_13kernel_configILj256ELj4ELj4294967295EEENS1_37radix_sort_block_sort_config_selectorIilEEZNS1_21radix_sort_block_sortIS4_Lb0EPiS8_N6thrust23THRUST_200600_302600_NS10device_ptrIlEESC_NS0_19identity_decomposerEEE10hipError_tT1_T2_T3_T4_jRjT5_jjP12ihipStream_tbEUlT_E_NS1_11comp_targetILNS1_3genE0ELNS1_11target_archE4294967295ELNS1_3gpuE0ELNS1_3repE0EEENS1_44radix_sort_block_sort_config_static_selectorELNS0_4arch9wavefront6targetE1EEEvSF_,"axG",@progbits,_ZN7rocprim17ROCPRIM_400000_NS6detail17trampoline_kernelINS0_13kernel_configILj256ELj4ELj4294967295EEENS1_37radix_sort_block_sort_config_selectorIilEEZNS1_21radix_sort_block_sortIS4_Lb0EPiS8_N6thrust23THRUST_200600_302600_NS10device_ptrIlEESC_NS0_19identity_decomposerEEE10hipError_tT1_T2_T3_T4_jRjT5_jjP12ihipStream_tbEUlT_E_NS1_11comp_targetILNS1_3genE0ELNS1_11target_archE4294967295ELNS1_3gpuE0ELNS1_3repE0EEENS1_44radix_sort_block_sort_config_static_selectorELNS0_4arch9wavefront6targetE1EEEvSF_,comdat
	.protected	_ZN7rocprim17ROCPRIM_400000_NS6detail17trampoline_kernelINS0_13kernel_configILj256ELj4ELj4294967295EEENS1_37radix_sort_block_sort_config_selectorIilEEZNS1_21radix_sort_block_sortIS4_Lb0EPiS8_N6thrust23THRUST_200600_302600_NS10device_ptrIlEESC_NS0_19identity_decomposerEEE10hipError_tT1_T2_T3_T4_jRjT5_jjP12ihipStream_tbEUlT_E_NS1_11comp_targetILNS1_3genE0ELNS1_11target_archE4294967295ELNS1_3gpuE0ELNS1_3repE0EEENS1_44radix_sort_block_sort_config_static_selectorELNS0_4arch9wavefront6targetE1EEEvSF_ ; -- Begin function _ZN7rocprim17ROCPRIM_400000_NS6detail17trampoline_kernelINS0_13kernel_configILj256ELj4ELj4294967295EEENS1_37radix_sort_block_sort_config_selectorIilEEZNS1_21radix_sort_block_sortIS4_Lb0EPiS8_N6thrust23THRUST_200600_302600_NS10device_ptrIlEESC_NS0_19identity_decomposerEEE10hipError_tT1_T2_T3_T4_jRjT5_jjP12ihipStream_tbEUlT_E_NS1_11comp_targetILNS1_3genE0ELNS1_11target_archE4294967295ELNS1_3gpuE0ELNS1_3repE0EEENS1_44radix_sort_block_sort_config_static_selectorELNS0_4arch9wavefront6targetE1EEEvSF_
	.globl	_ZN7rocprim17ROCPRIM_400000_NS6detail17trampoline_kernelINS0_13kernel_configILj256ELj4ELj4294967295EEENS1_37radix_sort_block_sort_config_selectorIilEEZNS1_21radix_sort_block_sortIS4_Lb0EPiS8_N6thrust23THRUST_200600_302600_NS10device_ptrIlEESC_NS0_19identity_decomposerEEE10hipError_tT1_T2_T3_T4_jRjT5_jjP12ihipStream_tbEUlT_E_NS1_11comp_targetILNS1_3genE0ELNS1_11target_archE4294967295ELNS1_3gpuE0ELNS1_3repE0EEENS1_44radix_sort_block_sort_config_static_selectorELNS0_4arch9wavefront6targetE1EEEvSF_
	.p2align	8
	.type	_ZN7rocprim17ROCPRIM_400000_NS6detail17trampoline_kernelINS0_13kernel_configILj256ELj4ELj4294967295EEENS1_37radix_sort_block_sort_config_selectorIilEEZNS1_21radix_sort_block_sortIS4_Lb0EPiS8_N6thrust23THRUST_200600_302600_NS10device_ptrIlEESC_NS0_19identity_decomposerEEE10hipError_tT1_T2_T3_T4_jRjT5_jjP12ihipStream_tbEUlT_E_NS1_11comp_targetILNS1_3genE0ELNS1_11target_archE4294967295ELNS1_3gpuE0ELNS1_3repE0EEENS1_44radix_sort_block_sort_config_static_selectorELNS0_4arch9wavefront6targetE1EEEvSF_,@function
_ZN7rocprim17ROCPRIM_400000_NS6detail17trampoline_kernelINS0_13kernel_configILj256ELj4ELj4294967295EEENS1_37radix_sort_block_sort_config_selectorIilEEZNS1_21radix_sort_block_sortIS4_Lb0EPiS8_N6thrust23THRUST_200600_302600_NS10device_ptrIlEESC_NS0_19identity_decomposerEEE10hipError_tT1_T2_T3_T4_jRjT5_jjP12ihipStream_tbEUlT_E_NS1_11comp_targetILNS1_3genE0ELNS1_11target_archE4294967295ELNS1_3gpuE0ELNS1_3repE0EEENS1_44radix_sort_block_sort_config_static_selectorELNS0_4arch9wavefront6targetE1EEEvSF_: ; @_ZN7rocprim17ROCPRIM_400000_NS6detail17trampoline_kernelINS0_13kernel_configILj256ELj4ELj4294967295EEENS1_37radix_sort_block_sort_config_selectorIilEEZNS1_21radix_sort_block_sortIS4_Lb0EPiS8_N6thrust23THRUST_200600_302600_NS10device_ptrIlEESC_NS0_19identity_decomposerEEE10hipError_tT1_T2_T3_T4_jRjT5_jjP12ihipStream_tbEUlT_E_NS1_11comp_targetILNS1_3genE0ELNS1_11target_archE4294967295ELNS1_3gpuE0ELNS1_3repE0EEENS1_44radix_sort_block_sort_config_static_selectorELNS0_4arch9wavefront6targetE1EEEvSF_
; %bb.0:
	.section	.rodata,"a",@progbits
	.p2align	6, 0x0
	.amdhsa_kernel _ZN7rocprim17ROCPRIM_400000_NS6detail17trampoline_kernelINS0_13kernel_configILj256ELj4ELj4294967295EEENS1_37radix_sort_block_sort_config_selectorIilEEZNS1_21radix_sort_block_sortIS4_Lb0EPiS8_N6thrust23THRUST_200600_302600_NS10device_ptrIlEESC_NS0_19identity_decomposerEEE10hipError_tT1_T2_T3_T4_jRjT5_jjP12ihipStream_tbEUlT_E_NS1_11comp_targetILNS1_3genE0ELNS1_11target_archE4294967295ELNS1_3gpuE0ELNS1_3repE0EEENS1_44radix_sort_block_sort_config_static_selectorELNS0_4arch9wavefront6targetE1EEEvSF_
		.amdhsa_group_segment_fixed_size 0
		.amdhsa_private_segment_fixed_size 0
		.amdhsa_kernarg_size 48
		.amdhsa_user_sgpr_count 6
		.amdhsa_user_sgpr_private_segment_buffer 1
		.amdhsa_user_sgpr_dispatch_ptr 0
		.amdhsa_user_sgpr_queue_ptr 0
		.amdhsa_user_sgpr_kernarg_segment_ptr 1
		.amdhsa_user_sgpr_dispatch_id 0
		.amdhsa_user_sgpr_flat_scratch_init 0
		.amdhsa_user_sgpr_kernarg_preload_length 0
		.amdhsa_user_sgpr_kernarg_preload_offset 0
		.amdhsa_user_sgpr_private_segment_size 0
		.amdhsa_uses_dynamic_stack 0
		.amdhsa_system_sgpr_private_segment_wavefront_offset 0
		.amdhsa_system_sgpr_workgroup_id_x 1
		.amdhsa_system_sgpr_workgroup_id_y 0
		.amdhsa_system_sgpr_workgroup_id_z 0
		.amdhsa_system_sgpr_workgroup_info 0
		.amdhsa_system_vgpr_workitem_id 0
		.amdhsa_next_free_vgpr 1
		.amdhsa_next_free_sgpr 0
		.amdhsa_accum_offset 4
		.amdhsa_reserve_vcc 0
		.amdhsa_reserve_flat_scratch 0
		.amdhsa_float_round_mode_32 0
		.amdhsa_float_round_mode_16_64 0
		.amdhsa_float_denorm_mode_32 3
		.amdhsa_float_denorm_mode_16_64 3
		.amdhsa_dx10_clamp 1
		.amdhsa_ieee_mode 1
		.amdhsa_fp16_overflow 0
		.amdhsa_tg_split 0
		.amdhsa_exception_fp_ieee_invalid_op 0
		.amdhsa_exception_fp_denorm_src 0
		.amdhsa_exception_fp_ieee_div_zero 0
		.amdhsa_exception_fp_ieee_overflow 0
		.amdhsa_exception_fp_ieee_underflow 0
		.amdhsa_exception_fp_ieee_inexact 0
		.amdhsa_exception_int_div_zero 0
	.end_amdhsa_kernel
	.section	.text._ZN7rocprim17ROCPRIM_400000_NS6detail17trampoline_kernelINS0_13kernel_configILj256ELj4ELj4294967295EEENS1_37radix_sort_block_sort_config_selectorIilEEZNS1_21radix_sort_block_sortIS4_Lb0EPiS8_N6thrust23THRUST_200600_302600_NS10device_ptrIlEESC_NS0_19identity_decomposerEEE10hipError_tT1_T2_T3_T4_jRjT5_jjP12ihipStream_tbEUlT_E_NS1_11comp_targetILNS1_3genE0ELNS1_11target_archE4294967295ELNS1_3gpuE0ELNS1_3repE0EEENS1_44radix_sort_block_sort_config_static_selectorELNS0_4arch9wavefront6targetE1EEEvSF_,"axG",@progbits,_ZN7rocprim17ROCPRIM_400000_NS6detail17trampoline_kernelINS0_13kernel_configILj256ELj4ELj4294967295EEENS1_37radix_sort_block_sort_config_selectorIilEEZNS1_21radix_sort_block_sortIS4_Lb0EPiS8_N6thrust23THRUST_200600_302600_NS10device_ptrIlEESC_NS0_19identity_decomposerEEE10hipError_tT1_T2_T3_T4_jRjT5_jjP12ihipStream_tbEUlT_E_NS1_11comp_targetILNS1_3genE0ELNS1_11target_archE4294967295ELNS1_3gpuE0ELNS1_3repE0EEENS1_44radix_sort_block_sort_config_static_selectorELNS0_4arch9wavefront6targetE1EEEvSF_,comdat
.Lfunc_end726:
	.size	_ZN7rocprim17ROCPRIM_400000_NS6detail17trampoline_kernelINS0_13kernel_configILj256ELj4ELj4294967295EEENS1_37radix_sort_block_sort_config_selectorIilEEZNS1_21radix_sort_block_sortIS4_Lb0EPiS8_N6thrust23THRUST_200600_302600_NS10device_ptrIlEESC_NS0_19identity_decomposerEEE10hipError_tT1_T2_T3_T4_jRjT5_jjP12ihipStream_tbEUlT_E_NS1_11comp_targetILNS1_3genE0ELNS1_11target_archE4294967295ELNS1_3gpuE0ELNS1_3repE0EEENS1_44radix_sort_block_sort_config_static_selectorELNS0_4arch9wavefront6targetE1EEEvSF_, .Lfunc_end726-_ZN7rocprim17ROCPRIM_400000_NS6detail17trampoline_kernelINS0_13kernel_configILj256ELj4ELj4294967295EEENS1_37radix_sort_block_sort_config_selectorIilEEZNS1_21radix_sort_block_sortIS4_Lb0EPiS8_N6thrust23THRUST_200600_302600_NS10device_ptrIlEESC_NS0_19identity_decomposerEEE10hipError_tT1_T2_T3_T4_jRjT5_jjP12ihipStream_tbEUlT_E_NS1_11comp_targetILNS1_3genE0ELNS1_11target_archE4294967295ELNS1_3gpuE0ELNS1_3repE0EEENS1_44radix_sort_block_sort_config_static_selectorELNS0_4arch9wavefront6targetE1EEEvSF_
                                        ; -- End function
	.section	.AMDGPU.csdata,"",@progbits
; Kernel info:
; codeLenInByte = 0
; NumSgprs: 4
; NumVgprs: 0
; NumAgprs: 0
; TotalNumVgprs: 0
; ScratchSize: 0
; MemoryBound: 0
; FloatMode: 240
; IeeeMode: 1
; LDSByteSize: 0 bytes/workgroup (compile time only)
; SGPRBlocks: 0
; VGPRBlocks: 0
; NumSGPRsForWavesPerEU: 4
; NumVGPRsForWavesPerEU: 1
; AccumOffset: 4
; Occupancy: 8
; WaveLimiterHint : 0
; COMPUTE_PGM_RSRC2:SCRATCH_EN: 0
; COMPUTE_PGM_RSRC2:USER_SGPR: 6
; COMPUTE_PGM_RSRC2:TRAP_HANDLER: 0
; COMPUTE_PGM_RSRC2:TGID_X_EN: 1
; COMPUTE_PGM_RSRC2:TGID_Y_EN: 0
; COMPUTE_PGM_RSRC2:TGID_Z_EN: 0
; COMPUTE_PGM_RSRC2:TIDIG_COMP_CNT: 0
; COMPUTE_PGM_RSRC3_GFX90A:ACCUM_OFFSET: 0
; COMPUTE_PGM_RSRC3_GFX90A:TG_SPLIT: 0
	.section	.text._ZN7rocprim17ROCPRIM_400000_NS6detail17trampoline_kernelINS0_13kernel_configILj256ELj4ELj4294967295EEENS1_37radix_sort_block_sort_config_selectorIilEEZNS1_21radix_sort_block_sortIS4_Lb0EPiS8_N6thrust23THRUST_200600_302600_NS10device_ptrIlEESC_NS0_19identity_decomposerEEE10hipError_tT1_T2_T3_T4_jRjT5_jjP12ihipStream_tbEUlT_E_NS1_11comp_targetILNS1_3genE5ELNS1_11target_archE942ELNS1_3gpuE9ELNS1_3repE0EEENS1_44radix_sort_block_sort_config_static_selectorELNS0_4arch9wavefront6targetE1EEEvSF_,"axG",@progbits,_ZN7rocprim17ROCPRIM_400000_NS6detail17trampoline_kernelINS0_13kernel_configILj256ELj4ELj4294967295EEENS1_37radix_sort_block_sort_config_selectorIilEEZNS1_21radix_sort_block_sortIS4_Lb0EPiS8_N6thrust23THRUST_200600_302600_NS10device_ptrIlEESC_NS0_19identity_decomposerEEE10hipError_tT1_T2_T3_T4_jRjT5_jjP12ihipStream_tbEUlT_E_NS1_11comp_targetILNS1_3genE5ELNS1_11target_archE942ELNS1_3gpuE9ELNS1_3repE0EEENS1_44radix_sort_block_sort_config_static_selectorELNS0_4arch9wavefront6targetE1EEEvSF_,comdat
	.protected	_ZN7rocprim17ROCPRIM_400000_NS6detail17trampoline_kernelINS0_13kernel_configILj256ELj4ELj4294967295EEENS1_37radix_sort_block_sort_config_selectorIilEEZNS1_21radix_sort_block_sortIS4_Lb0EPiS8_N6thrust23THRUST_200600_302600_NS10device_ptrIlEESC_NS0_19identity_decomposerEEE10hipError_tT1_T2_T3_T4_jRjT5_jjP12ihipStream_tbEUlT_E_NS1_11comp_targetILNS1_3genE5ELNS1_11target_archE942ELNS1_3gpuE9ELNS1_3repE0EEENS1_44radix_sort_block_sort_config_static_selectorELNS0_4arch9wavefront6targetE1EEEvSF_ ; -- Begin function _ZN7rocprim17ROCPRIM_400000_NS6detail17trampoline_kernelINS0_13kernel_configILj256ELj4ELj4294967295EEENS1_37radix_sort_block_sort_config_selectorIilEEZNS1_21radix_sort_block_sortIS4_Lb0EPiS8_N6thrust23THRUST_200600_302600_NS10device_ptrIlEESC_NS0_19identity_decomposerEEE10hipError_tT1_T2_T3_T4_jRjT5_jjP12ihipStream_tbEUlT_E_NS1_11comp_targetILNS1_3genE5ELNS1_11target_archE942ELNS1_3gpuE9ELNS1_3repE0EEENS1_44radix_sort_block_sort_config_static_selectorELNS0_4arch9wavefront6targetE1EEEvSF_
	.globl	_ZN7rocprim17ROCPRIM_400000_NS6detail17trampoline_kernelINS0_13kernel_configILj256ELj4ELj4294967295EEENS1_37radix_sort_block_sort_config_selectorIilEEZNS1_21radix_sort_block_sortIS4_Lb0EPiS8_N6thrust23THRUST_200600_302600_NS10device_ptrIlEESC_NS0_19identity_decomposerEEE10hipError_tT1_T2_T3_T4_jRjT5_jjP12ihipStream_tbEUlT_E_NS1_11comp_targetILNS1_3genE5ELNS1_11target_archE942ELNS1_3gpuE9ELNS1_3repE0EEENS1_44radix_sort_block_sort_config_static_selectorELNS0_4arch9wavefront6targetE1EEEvSF_
	.p2align	8
	.type	_ZN7rocprim17ROCPRIM_400000_NS6detail17trampoline_kernelINS0_13kernel_configILj256ELj4ELj4294967295EEENS1_37radix_sort_block_sort_config_selectorIilEEZNS1_21radix_sort_block_sortIS4_Lb0EPiS8_N6thrust23THRUST_200600_302600_NS10device_ptrIlEESC_NS0_19identity_decomposerEEE10hipError_tT1_T2_T3_T4_jRjT5_jjP12ihipStream_tbEUlT_E_NS1_11comp_targetILNS1_3genE5ELNS1_11target_archE942ELNS1_3gpuE9ELNS1_3repE0EEENS1_44radix_sort_block_sort_config_static_selectorELNS0_4arch9wavefront6targetE1EEEvSF_,@function
_ZN7rocprim17ROCPRIM_400000_NS6detail17trampoline_kernelINS0_13kernel_configILj256ELj4ELj4294967295EEENS1_37radix_sort_block_sort_config_selectorIilEEZNS1_21radix_sort_block_sortIS4_Lb0EPiS8_N6thrust23THRUST_200600_302600_NS10device_ptrIlEESC_NS0_19identity_decomposerEEE10hipError_tT1_T2_T3_T4_jRjT5_jjP12ihipStream_tbEUlT_E_NS1_11comp_targetILNS1_3genE5ELNS1_11target_archE942ELNS1_3gpuE9ELNS1_3repE0EEENS1_44radix_sort_block_sort_config_static_selectorELNS0_4arch9wavefront6targetE1EEEvSF_: ; @_ZN7rocprim17ROCPRIM_400000_NS6detail17trampoline_kernelINS0_13kernel_configILj256ELj4ELj4294967295EEENS1_37radix_sort_block_sort_config_selectorIilEEZNS1_21radix_sort_block_sortIS4_Lb0EPiS8_N6thrust23THRUST_200600_302600_NS10device_ptrIlEESC_NS0_19identity_decomposerEEE10hipError_tT1_T2_T3_T4_jRjT5_jjP12ihipStream_tbEUlT_E_NS1_11comp_targetILNS1_3genE5ELNS1_11target_archE942ELNS1_3gpuE9ELNS1_3repE0EEENS1_44radix_sort_block_sort_config_static_selectorELNS0_4arch9wavefront6targetE1EEEvSF_
; %bb.0:
	.section	.rodata,"a",@progbits
	.p2align	6, 0x0
	.amdhsa_kernel _ZN7rocprim17ROCPRIM_400000_NS6detail17trampoline_kernelINS0_13kernel_configILj256ELj4ELj4294967295EEENS1_37radix_sort_block_sort_config_selectorIilEEZNS1_21radix_sort_block_sortIS4_Lb0EPiS8_N6thrust23THRUST_200600_302600_NS10device_ptrIlEESC_NS0_19identity_decomposerEEE10hipError_tT1_T2_T3_T4_jRjT5_jjP12ihipStream_tbEUlT_E_NS1_11comp_targetILNS1_3genE5ELNS1_11target_archE942ELNS1_3gpuE9ELNS1_3repE0EEENS1_44radix_sort_block_sort_config_static_selectorELNS0_4arch9wavefront6targetE1EEEvSF_
		.amdhsa_group_segment_fixed_size 0
		.amdhsa_private_segment_fixed_size 0
		.amdhsa_kernarg_size 48
		.amdhsa_user_sgpr_count 6
		.amdhsa_user_sgpr_private_segment_buffer 1
		.amdhsa_user_sgpr_dispatch_ptr 0
		.amdhsa_user_sgpr_queue_ptr 0
		.amdhsa_user_sgpr_kernarg_segment_ptr 1
		.amdhsa_user_sgpr_dispatch_id 0
		.amdhsa_user_sgpr_flat_scratch_init 0
		.amdhsa_user_sgpr_kernarg_preload_length 0
		.amdhsa_user_sgpr_kernarg_preload_offset 0
		.amdhsa_user_sgpr_private_segment_size 0
		.amdhsa_uses_dynamic_stack 0
		.amdhsa_system_sgpr_private_segment_wavefront_offset 0
		.amdhsa_system_sgpr_workgroup_id_x 1
		.amdhsa_system_sgpr_workgroup_id_y 0
		.amdhsa_system_sgpr_workgroup_id_z 0
		.amdhsa_system_sgpr_workgroup_info 0
		.amdhsa_system_vgpr_workitem_id 0
		.amdhsa_next_free_vgpr 1
		.amdhsa_next_free_sgpr 0
		.amdhsa_accum_offset 4
		.amdhsa_reserve_vcc 0
		.amdhsa_reserve_flat_scratch 0
		.amdhsa_float_round_mode_32 0
		.amdhsa_float_round_mode_16_64 0
		.amdhsa_float_denorm_mode_32 3
		.amdhsa_float_denorm_mode_16_64 3
		.amdhsa_dx10_clamp 1
		.amdhsa_ieee_mode 1
		.amdhsa_fp16_overflow 0
		.amdhsa_tg_split 0
		.amdhsa_exception_fp_ieee_invalid_op 0
		.amdhsa_exception_fp_denorm_src 0
		.amdhsa_exception_fp_ieee_div_zero 0
		.amdhsa_exception_fp_ieee_overflow 0
		.amdhsa_exception_fp_ieee_underflow 0
		.amdhsa_exception_fp_ieee_inexact 0
		.amdhsa_exception_int_div_zero 0
	.end_amdhsa_kernel
	.section	.text._ZN7rocprim17ROCPRIM_400000_NS6detail17trampoline_kernelINS0_13kernel_configILj256ELj4ELj4294967295EEENS1_37radix_sort_block_sort_config_selectorIilEEZNS1_21radix_sort_block_sortIS4_Lb0EPiS8_N6thrust23THRUST_200600_302600_NS10device_ptrIlEESC_NS0_19identity_decomposerEEE10hipError_tT1_T2_T3_T4_jRjT5_jjP12ihipStream_tbEUlT_E_NS1_11comp_targetILNS1_3genE5ELNS1_11target_archE942ELNS1_3gpuE9ELNS1_3repE0EEENS1_44radix_sort_block_sort_config_static_selectorELNS0_4arch9wavefront6targetE1EEEvSF_,"axG",@progbits,_ZN7rocprim17ROCPRIM_400000_NS6detail17trampoline_kernelINS0_13kernel_configILj256ELj4ELj4294967295EEENS1_37radix_sort_block_sort_config_selectorIilEEZNS1_21radix_sort_block_sortIS4_Lb0EPiS8_N6thrust23THRUST_200600_302600_NS10device_ptrIlEESC_NS0_19identity_decomposerEEE10hipError_tT1_T2_T3_T4_jRjT5_jjP12ihipStream_tbEUlT_E_NS1_11comp_targetILNS1_3genE5ELNS1_11target_archE942ELNS1_3gpuE9ELNS1_3repE0EEENS1_44radix_sort_block_sort_config_static_selectorELNS0_4arch9wavefront6targetE1EEEvSF_,comdat
.Lfunc_end727:
	.size	_ZN7rocprim17ROCPRIM_400000_NS6detail17trampoline_kernelINS0_13kernel_configILj256ELj4ELj4294967295EEENS1_37radix_sort_block_sort_config_selectorIilEEZNS1_21radix_sort_block_sortIS4_Lb0EPiS8_N6thrust23THRUST_200600_302600_NS10device_ptrIlEESC_NS0_19identity_decomposerEEE10hipError_tT1_T2_T3_T4_jRjT5_jjP12ihipStream_tbEUlT_E_NS1_11comp_targetILNS1_3genE5ELNS1_11target_archE942ELNS1_3gpuE9ELNS1_3repE0EEENS1_44radix_sort_block_sort_config_static_selectorELNS0_4arch9wavefront6targetE1EEEvSF_, .Lfunc_end727-_ZN7rocprim17ROCPRIM_400000_NS6detail17trampoline_kernelINS0_13kernel_configILj256ELj4ELj4294967295EEENS1_37radix_sort_block_sort_config_selectorIilEEZNS1_21radix_sort_block_sortIS4_Lb0EPiS8_N6thrust23THRUST_200600_302600_NS10device_ptrIlEESC_NS0_19identity_decomposerEEE10hipError_tT1_T2_T3_T4_jRjT5_jjP12ihipStream_tbEUlT_E_NS1_11comp_targetILNS1_3genE5ELNS1_11target_archE942ELNS1_3gpuE9ELNS1_3repE0EEENS1_44radix_sort_block_sort_config_static_selectorELNS0_4arch9wavefront6targetE1EEEvSF_
                                        ; -- End function
	.section	.AMDGPU.csdata,"",@progbits
; Kernel info:
; codeLenInByte = 0
; NumSgprs: 4
; NumVgprs: 0
; NumAgprs: 0
; TotalNumVgprs: 0
; ScratchSize: 0
; MemoryBound: 0
; FloatMode: 240
; IeeeMode: 1
; LDSByteSize: 0 bytes/workgroup (compile time only)
; SGPRBlocks: 0
; VGPRBlocks: 0
; NumSGPRsForWavesPerEU: 4
; NumVGPRsForWavesPerEU: 1
; AccumOffset: 4
; Occupancy: 8
; WaveLimiterHint : 0
; COMPUTE_PGM_RSRC2:SCRATCH_EN: 0
; COMPUTE_PGM_RSRC2:USER_SGPR: 6
; COMPUTE_PGM_RSRC2:TRAP_HANDLER: 0
; COMPUTE_PGM_RSRC2:TGID_X_EN: 1
; COMPUTE_PGM_RSRC2:TGID_Y_EN: 0
; COMPUTE_PGM_RSRC2:TGID_Z_EN: 0
; COMPUTE_PGM_RSRC2:TIDIG_COMP_CNT: 0
; COMPUTE_PGM_RSRC3_GFX90A:ACCUM_OFFSET: 0
; COMPUTE_PGM_RSRC3_GFX90A:TG_SPLIT: 0
	.section	.text._ZN7rocprim17ROCPRIM_400000_NS6detail17trampoline_kernelINS0_13kernel_configILj256ELj4ELj4294967295EEENS1_37radix_sort_block_sort_config_selectorIilEEZNS1_21radix_sort_block_sortIS4_Lb0EPiS8_N6thrust23THRUST_200600_302600_NS10device_ptrIlEESC_NS0_19identity_decomposerEEE10hipError_tT1_T2_T3_T4_jRjT5_jjP12ihipStream_tbEUlT_E_NS1_11comp_targetILNS1_3genE4ELNS1_11target_archE910ELNS1_3gpuE8ELNS1_3repE0EEENS1_44radix_sort_block_sort_config_static_selectorELNS0_4arch9wavefront6targetE1EEEvSF_,"axG",@progbits,_ZN7rocprim17ROCPRIM_400000_NS6detail17trampoline_kernelINS0_13kernel_configILj256ELj4ELj4294967295EEENS1_37radix_sort_block_sort_config_selectorIilEEZNS1_21radix_sort_block_sortIS4_Lb0EPiS8_N6thrust23THRUST_200600_302600_NS10device_ptrIlEESC_NS0_19identity_decomposerEEE10hipError_tT1_T2_T3_T4_jRjT5_jjP12ihipStream_tbEUlT_E_NS1_11comp_targetILNS1_3genE4ELNS1_11target_archE910ELNS1_3gpuE8ELNS1_3repE0EEENS1_44radix_sort_block_sort_config_static_selectorELNS0_4arch9wavefront6targetE1EEEvSF_,comdat
	.protected	_ZN7rocprim17ROCPRIM_400000_NS6detail17trampoline_kernelINS0_13kernel_configILj256ELj4ELj4294967295EEENS1_37radix_sort_block_sort_config_selectorIilEEZNS1_21radix_sort_block_sortIS4_Lb0EPiS8_N6thrust23THRUST_200600_302600_NS10device_ptrIlEESC_NS0_19identity_decomposerEEE10hipError_tT1_T2_T3_T4_jRjT5_jjP12ihipStream_tbEUlT_E_NS1_11comp_targetILNS1_3genE4ELNS1_11target_archE910ELNS1_3gpuE8ELNS1_3repE0EEENS1_44radix_sort_block_sort_config_static_selectorELNS0_4arch9wavefront6targetE1EEEvSF_ ; -- Begin function _ZN7rocprim17ROCPRIM_400000_NS6detail17trampoline_kernelINS0_13kernel_configILj256ELj4ELj4294967295EEENS1_37radix_sort_block_sort_config_selectorIilEEZNS1_21radix_sort_block_sortIS4_Lb0EPiS8_N6thrust23THRUST_200600_302600_NS10device_ptrIlEESC_NS0_19identity_decomposerEEE10hipError_tT1_T2_T3_T4_jRjT5_jjP12ihipStream_tbEUlT_E_NS1_11comp_targetILNS1_3genE4ELNS1_11target_archE910ELNS1_3gpuE8ELNS1_3repE0EEENS1_44radix_sort_block_sort_config_static_selectorELNS0_4arch9wavefront6targetE1EEEvSF_
	.globl	_ZN7rocprim17ROCPRIM_400000_NS6detail17trampoline_kernelINS0_13kernel_configILj256ELj4ELj4294967295EEENS1_37radix_sort_block_sort_config_selectorIilEEZNS1_21radix_sort_block_sortIS4_Lb0EPiS8_N6thrust23THRUST_200600_302600_NS10device_ptrIlEESC_NS0_19identity_decomposerEEE10hipError_tT1_T2_T3_T4_jRjT5_jjP12ihipStream_tbEUlT_E_NS1_11comp_targetILNS1_3genE4ELNS1_11target_archE910ELNS1_3gpuE8ELNS1_3repE0EEENS1_44radix_sort_block_sort_config_static_selectorELNS0_4arch9wavefront6targetE1EEEvSF_
	.p2align	8
	.type	_ZN7rocprim17ROCPRIM_400000_NS6detail17trampoline_kernelINS0_13kernel_configILj256ELj4ELj4294967295EEENS1_37radix_sort_block_sort_config_selectorIilEEZNS1_21radix_sort_block_sortIS4_Lb0EPiS8_N6thrust23THRUST_200600_302600_NS10device_ptrIlEESC_NS0_19identity_decomposerEEE10hipError_tT1_T2_T3_T4_jRjT5_jjP12ihipStream_tbEUlT_E_NS1_11comp_targetILNS1_3genE4ELNS1_11target_archE910ELNS1_3gpuE8ELNS1_3repE0EEENS1_44radix_sort_block_sort_config_static_selectorELNS0_4arch9wavefront6targetE1EEEvSF_,@function
_ZN7rocprim17ROCPRIM_400000_NS6detail17trampoline_kernelINS0_13kernel_configILj256ELj4ELj4294967295EEENS1_37radix_sort_block_sort_config_selectorIilEEZNS1_21radix_sort_block_sortIS4_Lb0EPiS8_N6thrust23THRUST_200600_302600_NS10device_ptrIlEESC_NS0_19identity_decomposerEEE10hipError_tT1_T2_T3_T4_jRjT5_jjP12ihipStream_tbEUlT_E_NS1_11comp_targetILNS1_3genE4ELNS1_11target_archE910ELNS1_3gpuE8ELNS1_3repE0EEENS1_44radix_sort_block_sort_config_static_selectorELNS0_4arch9wavefront6targetE1EEEvSF_: ; @_ZN7rocprim17ROCPRIM_400000_NS6detail17trampoline_kernelINS0_13kernel_configILj256ELj4ELj4294967295EEENS1_37radix_sort_block_sort_config_selectorIilEEZNS1_21radix_sort_block_sortIS4_Lb0EPiS8_N6thrust23THRUST_200600_302600_NS10device_ptrIlEESC_NS0_19identity_decomposerEEE10hipError_tT1_T2_T3_T4_jRjT5_jjP12ihipStream_tbEUlT_E_NS1_11comp_targetILNS1_3genE4ELNS1_11target_archE910ELNS1_3gpuE8ELNS1_3repE0EEENS1_44radix_sort_block_sort_config_static_selectorELNS0_4arch9wavefront6targetE1EEEvSF_
; %bb.0:
	s_load_dword s2, s[4:5], 0x20
	s_load_dwordx8 s[36:43], s[4:5], 0x0
	s_lshl_b32 s28, s6, 10
	s_mov_b32 s29, 0
	v_mbcnt_lo_u32_b32 v1, -1, 0
	s_waitcnt lgkmcnt(0)
	s_lshr_b32 s0, s2, 10
	s_cmp_lg_u32 s6, s0
	s_cselect_b64 s[30:31], -1, 0
	s_lshl_b64 s[34:35], s[28:29], 2
	v_mbcnt_hi_u32_b32 v1, -1, v1
	v_and_b32_e32 v8, 0x3ff, v0
	s_add_u32 s1, s36, s34
	v_and_b32_e32 v10, 63, v1
	s_addc_u32 s3, s37, s35
	v_lshlrev_b32_e32 v9, 2, v8
	v_lshlrev_b32_e32 v2, 2, v10
	v_and_b32_e32 v12, 0x300, v9
	v_mov_b32_e32 v3, s3
	v_add_co_u32_e32 v2, vcc, s1, v2
	v_addc_co_u32_e32 v3, vcc, 0, v3, vcc
	v_lshlrev_b32_e32 v4, 2, v12
	v_add_co_u32_e32 v6, vcc, v2, v4
	s_cmp_eq_u32 s6, s0
	v_addc_co_u32_e32 v7, vcc, 0, v3, vcc
	v_lshlrev_b32_e32 v15, 3, v10
	v_lshlrev_b32_e32 v14, 3, v12
	v_or_b32_e32 v11, v10, v12
	s_cbranch_scc1 .LBB728_2
; %bb.1:
	s_lshl_b64 s[0:1], s[28:29], 3
	s_add_u32 s0, s40, s0
	s_addc_u32 s1, s41, s1
	v_mov_b32_e32 v13, s1
	v_add_co_u32_e32 v16, vcc, s0, v15
	v_addc_co_u32_e32 v13, vcc, 0, v13, vcc
	v_add_co_u32_e32 v16, vcc, v16, v14
	v_addc_co_u32_e32 v17, vcc, 0, v13, vcc
	global_load_dword v2, v[6:7], off
	global_load_dword v3, v[6:7], off offset:256
	global_load_dword v4, v[6:7], off offset:512
	;; [unrolled: 1-line block ×3, first 2 shown]
	global_load_dwordx2 v[20:21], v[16:17], off
	global_load_dwordx2 v[22:23], v[16:17], off offset:512
	global_load_dwordx2 v[24:25], v[16:17], off offset:1024
	;; [unrolled: 1-line block ×3, first 2 shown]
	v_or_b32_e32 v16, v10, v12
	v_or_b32_e32 v10, 64, v16
	;; [unrolled: 1-line block ×4, first 2 shown]
	s_load_dwordx2 s[36:37], s[4:5], 0x28
	s_sub_i32 s33, s2, s28
	s_cbranch_execz .LBB728_3
	s_branch .LBB728_17
.LBB728_2:
                                        ; implicit-def: $vgpr2_vgpr3_vgpr4_vgpr5
                                        ; implicit-def: $vgpr20_vgpr21
                                        ; implicit-def: $vgpr22_vgpr23
                                        ; implicit-def: $vgpr24_vgpr25
                                        ; implicit-def: $vgpr26_vgpr27
                                        ; implicit-def: $vgpr16
                                        ; implicit-def: $vgpr10
                                        ; implicit-def: $vgpr12
                                        ; implicit-def: $vgpr13
	s_load_dwordx2 s[36:37], s[4:5], 0x28
	s_sub_i32 s33, s2, s28
.LBB728_3:
	s_brev_b32 s0, -2
	s_mov_b32 s2, s0
	s_mov_b32 s3, s0
	;; [unrolled: 1-line block ×3, first 2 shown]
	s_waitcnt vmcnt(4)
	v_pk_mov_b32 v[4:5], s[2:3], s[2:3] op_sel:[0,1]
	v_cmp_gt_u32_e32 vcc, s33, v11
	v_pk_mov_b32 v[2:3], s[0:1], s[0:1] op_sel:[0,1]
	s_and_saveexec_b64 s[0:1], vcc
	s_cbranch_execz .LBB728_5
; %bb.4:
	global_load_dword v2, v[6:7], off
	v_bfrev_b32_e32 v3, -2
	v_mov_b32_e32 v4, v3
	v_mov_b32_e32 v5, v3
.LBB728_5:
	s_or_b64 exec, exec, s[0:1]
	v_or_b32_e32 v10, 64, v11
	v_cmp_gt_u32_e64 s[0:1], s33, v10
	s_and_saveexec_b64 s[2:3], s[0:1]
	s_cbranch_execz .LBB728_7
; %bb.6:
	global_load_dword v3, v[6:7], off offset:256
.LBB728_7:
	s_or_b64 exec, exec, s[2:3]
	v_or_b32_e32 v12, 0x80, v11
	v_cmp_gt_u32_e64 s[2:3], s33, v12
	s_and_saveexec_b64 s[6:7], s[2:3]
	s_cbranch_execz .LBB728_9
; %bb.8:
	global_load_dword v4, v[6:7], off offset:512
.LBB728_9:
	s_or_b64 exec, exec, s[6:7]
	v_or_b32_e32 v13, 0xc0, v11
	v_cmp_gt_u32_e64 s[6:7], s33, v13
	s_and_saveexec_b64 s[8:9], s[6:7]
	s_cbranch_execz .LBB728_11
; %bb.10:
	global_load_dword v5, v[6:7], off offset:768
.LBB728_11:
	s_or_b64 exec, exec, s[8:9]
	s_lshl_b64 s[8:9], s[28:29], 3
	s_add_u32 s8, s40, s8
	s_addc_u32 s9, s41, s9
	v_mov_b32_e32 v6, s9
	v_add_co_u32_e64 v7, s[8:9], s8, v15
	v_addc_co_u32_e64 v15, s[8:9], 0, v6, s[8:9]
	v_add_co_u32_e64 v6, s[8:9], v7, v14
	v_addc_co_u32_e64 v7, s[8:9], 0, v15, s[8:9]
                                        ; implicit-def: $vgpr20_vgpr21
	s_and_saveexec_b64 s[8:9], vcc
	s_cbranch_execnz .LBB728_54
; %bb.12:
	s_or_b64 exec, exec, s[8:9]
                                        ; implicit-def: $vgpr22_vgpr23
	s_and_saveexec_b64 s[8:9], s[0:1]
	s_cbranch_execnz .LBB728_55
.LBB728_13:
	s_or_b64 exec, exec, s[8:9]
                                        ; implicit-def: $vgpr24_vgpr25
	s_and_saveexec_b64 s[0:1], s[2:3]
	s_cbranch_execnz .LBB728_56
.LBB728_14:
	s_or_b64 exec, exec, s[0:1]
                                        ; implicit-def: $vgpr26_vgpr27
	s_and_saveexec_b64 s[0:1], s[6:7]
	s_cbranch_execz .LBB728_16
.LBB728_15:
	global_load_dwordx2 v[26:27], v[6:7], off offset:1536
.LBB728_16:
	s_or_b64 exec, exec, s[0:1]
	v_mov_b32_e32 v16, v11
.LBB728_17:
	s_load_dword s2, s[4:5], 0x3c
	s_waitcnt lgkmcnt(0)
	s_add_i32 s40, s37, s36
	s_getpc_b64 s[0:1]
	s_add_u32 s0, s0, _ZN7rocprim17ROCPRIM_400000_NS16block_radix_sortIiLj256ELj4ElLj1ELj1ELj0ELNS0_26block_radix_rank_algorithmE1ELNS0_18block_padding_hintE2ELNS0_4arch9wavefront6targetE1EE19radix_bits_per_passE@rel32@lo+4
	s_addc_u32 s1, s1, _ZN7rocprim17ROCPRIM_400000_NS16block_radix_sortIiLj256ELj4ElLj1ELj1ELj0ELNS0_26block_radix_rank_algorithmE1ELNS0_18block_padding_hintE2ELNS0_4arch9wavefront6targetE1EE19radix_bits_per_passE@rel32@hi+12
	s_waitcnt vmcnt(0)
	v_xor_b32_e32 v19, 0x80000000, v4
	s_load_dword s41, s[0:1], 0x0
	s_lshr_b32 s0, s2, 16
	v_bfe_u32 v4, v0, 10, 10
	v_bfe_u32 v0, v0, 20, 10
	s_and_b32 s1, s2, 0xffff
	v_mad_u32_u24 v0, v0, s0, v4
	v_xor_b32_e32 v46, 0x80000000, v5
	v_mad_u64_u32 v[4:5], s[0:1], v0, s1, v[8:9]
	v_and_b32_e32 v0, 15, v1
	v_cmp_eq_u32_e64 s[0:1], 0, v0
	v_cmp_lt_u32_e64 s[2:3], 1, v0
	v_cmp_lt_u32_e64 s[4:5], 3, v0
	v_cmp_lt_u32_e64 s[6:7], 7, v0
	v_and_b32_e32 v0, 16, v1
	v_cmp_eq_u32_e64 s[8:9], 0, v0
	v_and_b32_e32 v0, 0x3c0, v8
	v_min_u32_e32 v0, 0xc0, v0
	v_or_b32_e32 v0, 63, v0
	v_lshrrev_b32_e32 v29, 6, v4
	v_cmp_eq_u32_e64 s[12:13], v0, v8
	v_add_u32_e32 v0, -1, v1
	v_and_b32_e32 v4, 64, v1
	v_cmp_lt_i32_e32 vcc, v0, v4
	v_cndmask_b32_e32 v0, v0, v1, vcc
	s_mov_b32 s26, 0
	v_lshlrev_b32_e32 v31, 2, v0
	v_lshrrev_b32_e32 v0, 4, v8
	v_and_b32_e32 v32, 60, v0
	v_and_b32_e32 v0, 3, v1
	v_lshlrev_b32_e32 v34, 2, v16
	v_lshlrev_b32_e32 v35, 2, v10
	v_lshlrev_b32_e32 v36, 2, v12
	v_lshlrev_b32_e32 v37, 2, v13
	s_mov_b32 s27, s26
	s_mov_b32 s44, s26
	;; [unrolled: 1-line block ×3, first 2 shown]
	v_xor_b32_e32 v2, 0x80000000, v2
	v_xor_b32_e32 v3, 0x80000000, v3
	v_lshlrev_b32_e32 v28, 2, v9
	v_cmp_lt_u32_e64 s[10:11], 31, v1
	v_cmp_gt_u32_e64 s[14:15], 4, v8
	v_cmp_lt_u32_e64 s[16:17], 63, v8
	v_cmp_eq_u32_e64 s[18:19], 0, v1
	v_cmp_eq_u32_e64 s[20:21], 0, v8
	v_mul_i32_i24_e32 v30, -12, v8
	v_cmp_eq_u32_e64 s[22:23], 0, v0
	v_cmp_lt_u32_e64 s[24:25], 1, v0
	v_add_u32_e32 v33, -4, v32
	v_pk_mov_b32 v[4:5], s[26:27], s[26:27] op_sel:[0,1]
	v_pk_mov_b32 v[10:11], s[44:45], s[44:45] op_sel:[0,1]
	v_add_u32_e32 v38, v34, v34
	v_add_u32_e32 v39, v35, v35
	;; [unrolled: 1-line block ×4, first 2 shown]
	v_mov_b32_e32 v18, 0
	s_branch .LBB728_19
.LBB728_18:                             ;   in Loop: Header=BB728_19 Depth=1
	v_lshl_add_u32 v20, v48, 2, v52
	s_barrier
	ds_write_b32 v52, v45
	ds_write_b32 v51, v44
	;; [unrolled: 1-line block ×4, first 2 shown]
	s_waitcnt lgkmcnt(0)
	s_barrier
	ds_read_b32 v2, v34
	ds_read_b32 v3, v35
	;; [unrolled: 1-line block ×4, first 2 shown]
	s_waitcnt lgkmcnt(0)
	s_barrier
	ds_write_b64 v20, v[16:17]
	v_lshl_add_u32 v20, v47, 2, v51
	ds_write_b64 v20, v[14:15]
	v_lshl_add_u32 v20, v1, 2, v50
	;; [unrolled: 2-line block ×3, first 2 shown]
	ds_write_b64 v20, v[6:7]
	s_waitcnt lgkmcnt(0)
	s_barrier
	ds_read_b64 v[20:21], v38
	ds_read_b64 v[22:23], v39
	;; [unrolled: 1-line block ×4, first 2 shown]
	s_add_i32 s37, s37, -8
	s_waitcnt lgkmcnt(0)
	s_barrier
	s_cbranch_execz .LBB728_35
.LBB728_19:                             ; =>This Inner Loop Header: Depth=1
	s_waitcnt lgkmcnt(0)
	s_min_u32 s26, s41, s37
	v_mov_b32_e32 v45, v2
	s_lshl_b32 s26, -1, s26
	s_not_b32 s44, s26
	v_lshrrev_b32_e32 v0, s36, v45
	v_and_b32_e32 v0, s44, v0
	v_lshl_add_u32 v1, v0, 2, v29
	v_pk_mov_b32 v[16:17], v[20:21], v[20:21] op_sel:[0,1]
	v_lshl_add_u32 v20, v1, 2, 16
	v_and_b32_e32 v1, 1, v0
	v_add_co_u32_e32 v2, vcc, -1, v1
	v_mov_b32_e32 v43, v19
	v_mov_b32_e32 v44, v3
	v_addc_co_u32_e64 v3, s[26:27], 0, -1, vcc
	v_cmp_ne_u32_e32 vcc, 0, v1
	v_lshlrev_b32_e32 v19, 30, v0
	v_xor_b32_e32 v1, vcc_hi, v3
	v_not_b32_e32 v3, v19
	v_xor_b32_e32 v2, vcc_lo, v2
	v_cmp_gt_i64_e32 vcc, 0, v[18:19]
	v_ashrrev_i32_e32 v3, 31, v3
	v_and_b32_e32 v1, exec_hi, v1
	v_xor_b32_e32 v19, vcc_hi, v3
	v_and_b32_e32 v2, exec_lo, v2
	v_xor_b32_e32 v3, vcc_lo, v3
	v_and_b32_e32 v1, v1, v19
	v_lshlrev_b32_e32 v19, 29, v0
	v_and_b32_e32 v2, v2, v3
	v_not_b32_e32 v3, v19
	v_cmp_gt_i64_e32 vcc, 0, v[18:19]
	v_ashrrev_i32_e32 v3, 31, v3
	v_xor_b32_e32 v19, vcc_hi, v3
	v_xor_b32_e32 v3, vcc_lo, v3
	v_and_b32_e32 v1, v1, v19
	v_lshlrev_b32_e32 v19, 28, v0
	v_and_b32_e32 v2, v2, v3
	v_not_b32_e32 v3, v19
	v_cmp_gt_i64_e32 vcc, 0, v[18:19]
	v_ashrrev_i32_e32 v3, 31, v3
	v_xor_b32_e32 v19, vcc_hi, v3
	;; [unrolled: 8-line block ×5, first 2 shown]
	v_and_b32_e32 v1, v1, v19
	v_lshlrev_b32_e32 v19, 24, v0
	v_not_b32_e32 v0, v19
	v_xor_b32_e32 v3, vcc_lo, v3
	v_cmp_gt_i64_e32 vcc, 0, v[18:19]
	v_ashrrev_i32_e32 v0, 31, v0
	v_and_b32_e32 v2, v2, v3
	v_xor_b32_e32 v3, vcc_hi, v0
	v_xor_b32_e32 v0, vcc_lo, v0
	v_and_b32_e32 v0, v2, v0
	v_and_b32_e32 v1, v1, v3
	v_mbcnt_lo_u32_b32 v2, v0, 0
	v_mbcnt_hi_u32_b32 v21, v1, v2
	v_cmp_eq_u32_e32 vcc, 0, v21
	v_cmp_ne_u64_e64 s[26:27], 0, v[0:1]
	v_mov_b32_e32 v42, v46
	v_pk_mov_b32 v[14:15], v[22:23], v[22:23] op_sel:[0,1]
	v_pk_mov_b32 v[12:13], v[24:25], v[24:25] op_sel:[0,1]
	;; [unrolled: 1-line block ×3, first 2 shown]
	s_and_b64 s[46:47], s[26:27], vcc
	ds_write2_b64 v28, v[4:5], v[10:11] offset0:2 offset1:3
	s_waitcnt lgkmcnt(0)
	s_barrier
	s_waitcnt lgkmcnt(0)
	; wave barrier
	s_and_saveexec_b64 s[26:27], s[46:47]
	s_cbranch_execz .LBB728_21
; %bb.20:                               ;   in Loop: Header=BB728_19 Depth=1
	v_bcnt_u32_b32 v0, v0, 0
	v_bcnt_u32_b32 v0, v1, v0
	ds_write_b32 v20, v0
.LBB728_21:                             ;   in Loop: Header=BB728_19 Depth=1
	s_or_b64 exec, exec, s[26:27]
	v_lshrrev_b32_e32 v0, s36, v44
	v_and_b32_e32 v0, s44, v0
	v_lshlrev_b32_e32 v1, 2, v0
	v_add_lshl_u32 v1, v1, v29, 2
	; wave barrier
	v_add_u32_e32 v23, 16, v1
	ds_read_b32 v22, v1 offset:16
	v_and_b32_e32 v1, 1, v0
	v_add_co_u32_e32 v2, vcc, -1, v1
	v_addc_co_u32_e64 v3, s[26:27], 0, -1, vcc
	v_cmp_ne_u32_e32 vcc, 0, v1
	v_lshlrev_b32_e32 v19, 30, v0
	v_xor_b32_e32 v1, vcc_hi, v3
	v_not_b32_e32 v3, v19
	v_xor_b32_e32 v2, vcc_lo, v2
	v_cmp_gt_i64_e32 vcc, 0, v[18:19]
	v_ashrrev_i32_e32 v3, 31, v3
	v_and_b32_e32 v1, exec_hi, v1
	v_xor_b32_e32 v19, vcc_hi, v3
	v_and_b32_e32 v2, exec_lo, v2
	v_xor_b32_e32 v3, vcc_lo, v3
	v_and_b32_e32 v1, v1, v19
	v_lshlrev_b32_e32 v19, 29, v0
	v_and_b32_e32 v2, v2, v3
	v_not_b32_e32 v3, v19
	v_cmp_gt_i64_e32 vcc, 0, v[18:19]
	v_ashrrev_i32_e32 v3, 31, v3
	v_xor_b32_e32 v19, vcc_hi, v3
	v_xor_b32_e32 v3, vcc_lo, v3
	v_and_b32_e32 v1, v1, v19
	v_lshlrev_b32_e32 v19, 28, v0
	v_and_b32_e32 v2, v2, v3
	v_not_b32_e32 v3, v19
	v_cmp_gt_i64_e32 vcc, 0, v[18:19]
	v_ashrrev_i32_e32 v3, 31, v3
	v_xor_b32_e32 v19, vcc_hi, v3
	;; [unrolled: 8-line block ×5, first 2 shown]
	v_and_b32_e32 v1, v1, v19
	v_lshlrev_b32_e32 v19, 24, v0
	v_not_b32_e32 v0, v19
	v_xor_b32_e32 v3, vcc_lo, v3
	v_cmp_gt_i64_e32 vcc, 0, v[18:19]
	v_ashrrev_i32_e32 v0, 31, v0
	v_and_b32_e32 v2, v2, v3
	v_xor_b32_e32 v3, vcc_hi, v0
	v_xor_b32_e32 v0, vcc_lo, v0
	v_and_b32_e32 v0, v2, v0
	v_and_b32_e32 v1, v1, v3
	v_mbcnt_lo_u32_b32 v2, v0, 0
	v_mbcnt_hi_u32_b32 v24, v1, v2
	v_cmp_eq_u32_e32 vcc, 0, v24
	v_cmp_ne_u64_e64 s[26:27], 0, v[0:1]
	s_and_b64 s[46:47], s[26:27], vcc
	; wave barrier
	s_and_saveexec_b64 s[26:27], s[46:47]
	s_cbranch_execz .LBB728_23
; %bb.22:                               ;   in Loop: Header=BB728_19 Depth=1
	v_bcnt_u32_b32 v0, v0, 0
	v_bcnt_u32_b32 v0, v1, v0
	s_waitcnt lgkmcnt(0)
	v_add_u32_e32 v0, v22, v0
	ds_write_b32 v23, v0
.LBB728_23:                             ;   in Loop: Header=BB728_19 Depth=1
	s_or_b64 exec, exec, s[26:27]
	v_lshrrev_b32_e32 v0, s36, v43
	v_and_b32_e32 v0, s44, v0
	v_lshlrev_b32_e32 v1, 2, v0
	v_add_lshl_u32 v1, v1, v29, 2
	; wave barrier
	v_add_u32_e32 v26, 16, v1
	ds_read_b32 v25, v1 offset:16
	v_and_b32_e32 v1, 1, v0
	v_add_co_u32_e32 v2, vcc, -1, v1
	v_addc_co_u32_e64 v3, s[26:27], 0, -1, vcc
	v_cmp_ne_u32_e32 vcc, 0, v1
	v_lshlrev_b32_e32 v19, 30, v0
	v_xor_b32_e32 v1, vcc_hi, v3
	v_not_b32_e32 v3, v19
	v_xor_b32_e32 v2, vcc_lo, v2
	v_cmp_gt_i64_e32 vcc, 0, v[18:19]
	v_ashrrev_i32_e32 v3, 31, v3
	v_and_b32_e32 v1, exec_hi, v1
	v_xor_b32_e32 v19, vcc_hi, v3
	v_and_b32_e32 v2, exec_lo, v2
	v_xor_b32_e32 v3, vcc_lo, v3
	v_and_b32_e32 v1, v1, v19
	v_lshlrev_b32_e32 v19, 29, v0
	v_and_b32_e32 v2, v2, v3
	v_not_b32_e32 v3, v19
	v_cmp_gt_i64_e32 vcc, 0, v[18:19]
	v_ashrrev_i32_e32 v3, 31, v3
	v_xor_b32_e32 v19, vcc_hi, v3
	v_xor_b32_e32 v3, vcc_lo, v3
	v_and_b32_e32 v1, v1, v19
	v_lshlrev_b32_e32 v19, 28, v0
	v_and_b32_e32 v2, v2, v3
	v_not_b32_e32 v3, v19
	v_cmp_gt_i64_e32 vcc, 0, v[18:19]
	v_ashrrev_i32_e32 v3, 31, v3
	v_xor_b32_e32 v19, vcc_hi, v3
	;; [unrolled: 8-line block ×5, first 2 shown]
	v_and_b32_e32 v1, v1, v19
	v_lshlrev_b32_e32 v19, 24, v0
	v_not_b32_e32 v0, v19
	v_xor_b32_e32 v3, vcc_lo, v3
	v_cmp_gt_i64_e32 vcc, 0, v[18:19]
	v_ashrrev_i32_e32 v0, 31, v0
	v_and_b32_e32 v2, v2, v3
	v_xor_b32_e32 v3, vcc_hi, v0
	v_xor_b32_e32 v0, vcc_lo, v0
	v_and_b32_e32 v0, v2, v0
	v_and_b32_e32 v1, v1, v3
	v_mbcnt_lo_u32_b32 v2, v0, 0
	v_mbcnt_hi_u32_b32 v27, v1, v2
	v_cmp_eq_u32_e32 vcc, 0, v27
	v_cmp_ne_u64_e64 s[26:27], 0, v[0:1]
	s_and_b64 s[46:47], s[26:27], vcc
	; wave barrier
	s_and_saveexec_b64 s[26:27], s[46:47]
	s_cbranch_execz .LBB728_25
; %bb.24:                               ;   in Loop: Header=BB728_19 Depth=1
	v_bcnt_u32_b32 v0, v0, 0
	v_bcnt_u32_b32 v0, v1, v0
	s_waitcnt lgkmcnt(0)
	v_add_u32_e32 v0, v25, v0
	ds_write_b32 v26, v0
.LBB728_25:                             ;   in Loop: Header=BB728_19 Depth=1
	s_or_b64 exec, exec, s[26:27]
	v_lshrrev_b32_e32 v0, s36, v42
	v_and_b32_e32 v0, s44, v0
	v_lshlrev_b32_e32 v1, 2, v0
	v_add_lshl_u32 v1, v1, v29, 2
	; wave barrier
	v_add_u32_e32 v47, 16, v1
	ds_read_b32 v46, v1 offset:16
	v_and_b32_e32 v1, 1, v0
	v_add_co_u32_e32 v2, vcc, -1, v1
	v_addc_co_u32_e64 v3, s[26:27], 0, -1, vcc
	v_cmp_ne_u32_e32 vcc, 0, v1
	v_lshlrev_b32_e32 v19, 30, v0
	v_xor_b32_e32 v1, vcc_hi, v3
	v_not_b32_e32 v3, v19
	v_xor_b32_e32 v2, vcc_lo, v2
	v_cmp_gt_i64_e32 vcc, 0, v[18:19]
	v_ashrrev_i32_e32 v3, 31, v3
	v_and_b32_e32 v1, exec_hi, v1
	v_xor_b32_e32 v19, vcc_hi, v3
	v_and_b32_e32 v2, exec_lo, v2
	v_xor_b32_e32 v3, vcc_lo, v3
	v_and_b32_e32 v1, v1, v19
	v_lshlrev_b32_e32 v19, 29, v0
	v_and_b32_e32 v2, v2, v3
	v_not_b32_e32 v3, v19
	v_cmp_gt_i64_e32 vcc, 0, v[18:19]
	v_ashrrev_i32_e32 v3, 31, v3
	v_xor_b32_e32 v19, vcc_hi, v3
	v_xor_b32_e32 v3, vcc_lo, v3
	v_and_b32_e32 v1, v1, v19
	v_lshlrev_b32_e32 v19, 28, v0
	v_and_b32_e32 v2, v2, v3
	v_not_b32_e32 v3, v19
	v_cmp_gt_i64_e32 vcc, 0, v[18:19]
	v_ashrrev_i32_e32 v3, 31, v3
	v_xor_b32_e32 v19, vcc_hi, v3
	;; [unrolled: 8-line block ×5, first 2 shown]
	v_and_b32_e32 v1, v1, v19
	v_lshlrev_b32_e32 v19, 24, v0
	v_not_b32_e32 v0, v19
	v_xor_b32_e32 v3, vcc_lo, v3
	v_cmp_gt_i64_e32 vcc, 0, v[18:19]
	v_ashrrev_i32_e32 v0, 31, v0
	v_and_b32_e32 v2, v2, v3
	v_xor_b32_e32 v3, vcc_hi, v0
	v_xor_b32_e32 v0, vcc_lo, v0
	v_and_b32_e32 v0, v2, v0
	v_and_b32_e32 v1, v1, v3
	v_mbcnt_lo_u32_b32 v2, v0, 0
	v_mbcnt_hi_u32_b32 v19, v1, v2
	v_cmp_eq_u32_e32 vcc, 0, v19
	v_cmp_ne_u64_e64 s[26:27], 0, v[0:1]
	s_and_b64 s[44:45], s[26:27], vcc
	; wave barrier
	s_and_saveexec_b64 s[26:27], s[44:45]
	s_cbranch_execz .LBB728_27
; %bb.26:                               ;   in Loop: Header=BB728_19 Depth=1
	v_bcnt_u32_b32 v0, v0, 0
	v_bcnt_u32_b32 v0, v1, v0
	s_waitcnt lgkmcnt(0)
	v_add_u32_e32 v0, v46, v0
	ds_write_b32 v47, v0
.LBB728_27:                             ;   in Loop: Header=BB728_19 Depth=1
	s_or_b64 exec, exec, s[26:27]
	; wave barrier
	s_waitcnt lgkmcnt(0)
	s_barrier
	ds_read2_b64 v[0:3], v28 offset0:2 offset1:3
	s_waitcnt lgkmcnt(0)
	v_add_u32_e32 v48, v1, v0
	v_add3_u32 v3, v48, v2, v3
	s_nop 1
	v_mov_b32_dpp v48, v3 row_shr:1 row_mask:0xf bank_mask:0xf
	v_cndmask_b32_e64 v48, v48, 0, s[0:1]
	v_add_u32_e32 v3, v48, v3
	s_nop 1
	v_mov_b32_dpp v48, v3 row_shr:2 row_mask:0xf bank_mask:0xf
	v_cndmask_b32_e64 v48, 0, v48, s[2:3]
	v_add_u32_e32 v3, v3, v48
	;; [unrolled: 4-line block ×4, first 2 shown]
	s_nop 1
	v_mov_b32_dpp v48, v3 row_bcast:15 row_mask:0xf bank_mask:0xf
	v_cndmask_b32_e64 v48, v48, 0, s[8:9]
	v_add_u32_e32 v3, v3, v48
	s_nop 1
	v_mov_b32_dpp v48, v3 row_bcast:31 row_mask:0xf bank_mask:0xf
	v_cndmask_b32_e64 v48, 0, v48, s[10:11]
	v_add_u32_e32 v3, v3, v48
	s_and_saveexec_b64 s[26:27], s[12:13]
	s_cbranch_execz .LBB728_29
; %bb.28:                               ;   in Loop: Header=BB728_19 Depth=1
	ds_write_b32 v32, v3
.LBB728_29:                             ;   in Loop: Header=BB728_19 Depth=1
	s_or_b64 exec, exec, s[26:27]
	s_waitcnt lgkmcnt(0)
	s_barrier
	s_and_saveexec_b64 s[26:27], s[14:15]
	s_cbranch_execz .LBB728_31
; %bb.30:                               ;   in Loop: Header=BB728_19 Depth=1
	v_add_u32_e32 v48, v28, v30
	ds_read_b32 v49, v48
	s_waitcnt lgkmcnt(0)
	s_nop 0
	v_mov_b32_dpp v50, v49 row_shr:1 row_mask:0xf bank_mask:0xf
	v_cndmask_b32_e64 v50, v50, 0, s[22:23]
	v_add_u32_e32 v49, v50, v49
	s_nop 1
	v_mov_b32_dpp v50, v49 row_shr:2 row_mask:0xf bank_mask:0xf
	v_cndmask_b32_e64 v50, 0, v50, s[24:25]
	v_add_u32_e32 v49, v49, v50
	ds_write_b32 v48, v49
.LBB728_31:                             ;   in Loop: Header=BB728_19 Depth=1
	s_or_b64 exec, exec, s[26:27]
	v_mov_b32_e32 v48, 0
	s_waitcnt lgkmcnt(0)
	s_barrier
	s_and_saveexec_b64 s[26:27], s[16:17]
	s_cbranch_execz .LBB728_33
; %bb.32:                               ;   in Loop: Header=BB728_19 Depth=1
	ds_read_b32 v48, v33
.LBB728_33:                             ;   in Loop: Header=BB728_19 Depth=1
	s_or_b64 exec, exec, s[26:27]
	s_waitcnt lgkmcnt(0)
	v_add_u32_e32 v3, v48, v3
	ds_bpermute_b32 v3, v31, v3
	s_add_i32 s36, s36, 8
	s_cmp_ge_u32 s36, s40
	s_waitcnt lgkmcnt(0)
	v_cndmask_b32_e64 v3, v3, v48, s[18:19]
	v_cndmask_b32_e64 v48, v3, 0, s[20:21]
	v_add_u32_e32 v49, v48, v0
	v_add_u32_e32 v0, v49, v1
	;; [unrolled: 1-line block ×3, first 2 shown]
	ds_write2_b64 v28, v[48:49], v[0:1] offset0:2 offset1:3
	s_waitcnt lgkmcnt(0)
	s_barrier
	ds_read_b32 v0, v20
	ds_read_b32 v1, v23
	;; [unrolled: 1-line block ×4, first 2 shown]
	s_waitcnt lgkmcnt(0)
	v_add_u32_e32 v48, v0, v21
	v_add3_u32 v47, v24, v22, v1
	v_add3_u32 v1, v27, v25, v2
	;; [unrolled: 1-line block ×3, first 2 shown]
	v_lshlrev_b32_e32 v52, 2, v48
	v_lshlrev_b32_e32 v51, 2, v47
	v_lshlrev_b32_e32 v50, 2, v1
	v_lshlrev_b32_e32 v49, 2, v0
	s_cbranch_scc0 .LBB728_18
; %bb.34:
                                        ; implicit-def: $vgpr46
                                        ; implicit-def: $vgpr19
                                        ; implicit-def: $vgpr3
                                        ; implicit-def: $vgpr2
                                        ; implicit-def: $sgpr36
                                        ; implicit-def: $vgpr20_vgpr21
                                        ; implicit-def: $vgpr22_vgpr23
                                        ; implicit-def: $vgpr24_vgpr25
                                        ; implicit-def: $vgpr26_vgpr27
.LBB728_35:
	v_add_u32_e32 v2, v28, v30
	s_barrier
	ds_write_b32 v52, v45
	ds_write_b32 v51, v44
	;; [unrolled: 1-line block ×4, first 2 shown]
	s_waitcnt lgkmcnt(0)
	s_barrier
	ds_read2st64_b32 v[10:11], v9 offset0:4 offset1:8
	ds_read_b32 v18, v2
	ds_read_b32 v19, v9 offset:3072
	v_lshl_add_u32 v2, v48, 2, v52
	s_waitcnt lgkmcnt(0)
	s_barrier
	ds_write_b64 v2, v[16:17]
	v_lshl_add_u32 v2, v47, 2, v51
	v_lshl_add_u32 v1, v1, 2, v50
	;; [unrolled: 1-line block ×3, first 2 shown]
	ds_write_b64 v2, v[14:15]
	ds_write_b64 v1, v[12:13]
	;; [unrolled: 1-line block ×3, first 2 shown]
	v_add_u32_e32 v0, v9, v9
	s_waitcnt lgkmcnt(0)
	s_barrier
	ds_read2st64_b64 v[4:7], v0 offset1:4
	ds_read2st64_b64 v[0:3], v0 offset0:8 offset1:12
	s_add_u32 s0, s38, s34
	s_addc_u32 s1, s39, s35
	v_xor_b32_e32 v15, 0x80000000, v10
	v_xor_b32_e32 v14, 0x80000000, v11
	v_mov_b32_e32 v11, s1
	v_add_co_u32_e32 v10, vcc, s0, v9
	v_addc_co_u32_e32 v11, vcc, 0, v11, vcc
	v_xor_b32_e32 v16, 0x80000000, v18
	v_xor_b32_e32 v13, 0x80000000, v19
	s_andn2_b64 vcc, exec, s[30:31]
	v_lshlrev_b32_e32 v12, 3, v8
	s_cbranch_vccnz .LBB728_37
; %bb.36:
	s_lshl_b64 s[0:1], s[28:29], 3
	s_add_u32 s0, s42, s0
	s_addc_u32 s1, s43, s1
	v_mov_b32_e32 v9, s1
	v_add_co_u32_e32 v17, vcc, s0, v12
	v_addc_co_u32_e32 v9, vcc, 0, v9, vcc
	v_add_co_u32_e32 v18, vcc, 0x1000, v17
	global_store_dword v[10:11], v16, off
	global_store_dword v[10:11], v15, off offset:1024
	global_store_dword v[10:11], v14, off offset:2048
	;; [unrolled: 1-line block ×3, first 2 shown]
	s_waitcnt lgkmcnt(1)
	global_store_dwordx2 v12, v[4:5], s[0:1]
	global_store_dwordx2 v12, v[6:7], s[0:1] offset:2048
	v_addc_co_u32_e32 v19, vcc, 0, v9, vcc
	s_mov_b64 s[6:7], -1
	s_waitcnt lgkmcnt(0)
	global_store_dwordx2 v[18:19], v[0:1], off
	s_cbranch_execz .LBB728_38
	s_branch .LBB728_51
.LBB728_37:
	s_mov_b64 s[6:7], 0
.LBB728_38:
	v_cmp_gt_u32_e32 vcc, s33, v8
	s_and_saveexec_b64 s[0:1], vcc
	s_cbranch_execz .LBB728_40
; %bb.39:
	global_store_dword v[10:11], v16, off
.LBB728_40:
	s_or_b64 exec, exec, s[0:1]
	v_add_u32_e32 v9, 0x100, v8
	v_cmp_gt_u32_e64 s[0:1], s33, v9
	s_and_saveexec_b64 s[2:3], s[0:1]
	s_cbranch_execz .LBB728_42
; %bb.41:
	global_store_dword v[10:11], v15, off offset:1024
.LBB728_42:
	s_or_b64 exec, exec, s[2:3]
	v_add_u32_e32 v9, 0x200, v8
	v_cmp_gt_u32_e64 s[2:3], s33, v9
	s_and_saveexec_b64 s[4:5], s[2:3]
	s_cbranch_execz .LBB728_44
; %bb.43:
	global_store_dword v[10:11], v14, off offset:2048
.LBB728_44:
	s_or_b64 exec, exec, s[4:5]
	v_add_u32_e32 v8, 0x300, v8
	v_cmp_gt_u32_e64 s[6:7], s33, v8
	s_and_saveexec_b64 s[4:5], s[6:7]
	s_cbranch_execz .LBB728_46
; %bb.45:
	global_store_dword v[10:11], v13, off offset:3072
.LBB728_46:
	s_or_b64 exec, exec, s[4:5]
	s_lshl_b64 s[4:5], s[28:29], 3
	s_add_u32 s4, s42, s4
	s_addc_u32 s5, s43, s5
	v_mov_b32_e32 v9, s5
	v_add_co_u32_e64 v8, s[4:5], s4, v12
	v_addc_co_u32_e64 v9, s[4:5], 0, v9, s[4:5]
	s_and_saveexec_b64 s[4:5], vcc
	s_cbranch_execnz .LBB728_57
; %bb.47:
	s_or_b64 exec, exec, s[4:5]
	s_and_saveexec_b64 s[4:5], s[0:1]
	s_cbranch_execnz .LBB728_58
.LBB728_48:
	s_or_b64 exec, exec, s[4:5]
	s_and_saveexec_b64 s[0:1], s[2:3]
	s_cbranch_execz .LBB728_50
.LBB728_49:
	s_waitcnt lgkmcnt(1)
	v_add_co_u32_e32 v4, vcc, 0x1000, v8
	v_addc_co_u32_e32 v5, vcc, 0, v9, vcc
	s_waitcnt lgkmcnt(0)
	global_store_dwordx2 v[4:5], v[0:1], off
.LBB728_50:
	s_or_b64 exec, exec, s[0:1]
.LBB728_51:
	s_and_saveexec_b64 s[0:1], s[6:7]
	s_cbranch_execnz .LBB728_53
; %bb.52:
	s_endpgm
.LBB728_53:
	s_lshl_b64 s[0:1], s[28:29], 3
	s_add_u32 s0, s42, s0
	s_addc_u32 s1, s43, s1
	s_waitcnt lgkmcnt(0)
	v_mov_b32_e32 v0, s1
	v_add_co_u32_e32 v1, vcc, s0, v12
	v_addc_co_u32_e32 v4, vcc, 0, v0, vcc
	v_add_co_u32_e32 v0, vcc, 0x1000, v1
	v_addc_co_u32_e32 v1, vcc, 0, v4, vcc
	global_store_dwordx2 v[0:1], v[2:3], off offset:2048
	s_endpgm
.LBB728_54:
	global_load_dwordx2 v[20:21], v[6:7], off
	s_or_b64 exec, exec, s[8:9]
                                        ; implicit-def: $vgpr22_vgpr23
	s_and_saveexec_b64 s[8:9], s[0:1]
	s_cbranch_execz .LBB728_13
.LBB728_55:
	global_load_dwordx2 v[22:23], v[6:7], off offset:512
	s_or_b64 exec, exec, s[8:9]
                                        ; implicit-def: $vgpr24_vgpr25
	s_and_saveexec_b64 s[0:1], s[2:3]
	s_cbranch_execz .LBB728_14
.LBB728_56:
	global_load_dwordx2 v[24:25], v[6:7], off offset:1024
	s_or_b64 exec, exec, s[0:1]
                                        ; implicit-def: $vgpr26_vgpr27
	s_and_saveexec_b64 s[0:1], s[6:7]
	s_cbranch_execnz .LBB728_15
	s_branch .LBB728_16
.LBB728_57:
	s_waitcnt lgkmcnt(1)
	global_store_dwordx2 v[8:9], v[4:5], off
	s_or_b64 exec, exec, s[4:5]
	s_and_saveexec_b64 s[4:5], s[0:1]
	s_cbranch_execz .LBB728_48
.LBB728_58:
	s_waitcnt lgkmcnt(1)
	global_store_dwordx2 v[8:9], v[6:7], off offset:2048
	s_or_b64 exec, exec, s[4:5]
	s_and_saveexec_b64 s[0:1], s[2:3]
	s_cbranch_execnz .LBB728_49
	s_branch .LBB728_50
	.section	.rodata,"a",@progbits
	.p2align	6, 0x0
	.amdhsa_kernel _ZN7rocprim17ROCPRIM_400000_NS6detail17trampoline_kernelINS0_13kernel_configILj256ELj4ELj4294967295EEENS1_37radix_sort_block_sort_config_selectorIilEEZNS1_21radix_sort_block_sortIS4_Lb0EPiS8_N6thrust23THRUST_200600_302600_NS10device_ptrIlEESC_NS0_19identity_decomposerEEE10hipError_tT1_T2_T3_T4_jRjT5_jjP12ihipStream_tbEUlT_E_NS1_11comp_targetILNS1_3genE4ELNS1_11target_archE910ELNS1_3gpuE8ELNS1_3repE0EEENS1_44radix_sort_block_sort_config_static_selectorELNS0_4arch9wavefront6targetE1EEEvSF_
		.amdhsa_group_segment_fixed_size 8192
		.amdhsa_private_segment_fixed_size 0
		.amdhsa_kernarg_size 304
		.amdhsa_user_sgpr_count 6
		.amdhsa_user_sgpr_private_segment_buffer 1
		.amdhsa_user_sgpr_dispatch_ptr 0
		.amdhsa_user_sgpr_queue_ptr 0
		.amdhsa_user_sgpr_kernarg_segment_ptr 1
		.amdhsa_user_sgpr_dispatch_id 0
		.amdhsa_user_sgpr_flat_scratch_init 0
		.amdhsa_user_sgpr_kernarg_preload_length 0
		.amdhsa_user_sgpr_kernarg_preload_offset 0
		.amdhsa_user_sgpr_private_segment_size 0
		.amdhsa_uses_dynamic_stack 0
		.amdhsa_system_sgpr_private_segment_wavefront_offset 0
		.amdhsa_system_sgpr_workgroup_id_x 1
		.amdhsa_system_sgpr_workgroup_id_y 0
		.amdhsa_system_sgpr_workgroup_id_z 0
		.amdhsa_system_sgpr_workgroup_info 0
		.amdhsa_system_vgpr_workitem_id 2
		.amdhsa_next_free_vgpr 53
		.amdhsa_next_free_sgpr 48
		.amdhsa_accum_offset 56
		.amdhsa_reserve_vcc 1
		.amdhsa_reserve_flat_scratch 0
		.amdhsa_float_round_mode_32 0
		.amdhsa_float_round_mode_16_64 0
		.amdhsa_float_denorm_mode_32 3
		.amdhsa_float_denorm_mode_16_64 3
		.amdhsa_dx10_clamp 1
		.amdhsa_ieee_mode 1
		.amdhsa_fp16_overflow 0
		.amdhsa_tg_split 0
		.amdhsa_exception_fp_ieee_invalid_op 0
		.amdhsa_exception_fp_denorm_src 0
		.amdhsa_exception_fp_ieee_div_zero 0
		.amdhsa_exception_fp_ieee_overflow 0
		.amdhsa_exception_fp_ieee_underflow 0
		.amdhsa_exception_fp_ieee_inexact 0
		.amdhsa_exception_int_div_zero 0
	.end_amdhsa_kernel
	.section	.text._ZN7rocprim17ROCPRIM_400000_NS6detail17trampoline_kernelINS0_13kernel_configILj256ELj4ELj4294967295EEENS1_37radix_sort_block_sort_config_selectorIilEEZNS1_21radix_sort_block_sortIS4_Lb0EPiS8_N6thrust23THRUST_200600_302600_NS10device_ptrIlEESC_NS0_19identity_decomposerEEE10hipError_tT1_T2_T3_T4_jRjT5_jjP12ihipStream_tbEUlT_E_NS1_11comp_targetILNS1_3genE4ELNS1_11target_archE910ELNS1_3gpuE8ELNS1_3repE0EEENS1_44radix_sort_block_sort_config_static_selectorELNS0_4arch9wavefront6targetE1EEEvSF_,"axG",@progbits,_ZN7rocprim17ROCPRIM_400000_NS6detail17trampoline_kernelINS0_13kernel_configILj256ELj4ELj4294967295EEENS1_37radix_sort_block_sort_config_selectorIilEEZNS1_21radix_sort_block_sortIS4_Lb0EPiS8_N6thrust23THRUST_200600_302600_NS10device_ptrIlEESC_NS0_19identity_decomposerEEE10hipError_tT1_T2_T3_T4_jRjT5_jjP12ihipStream_tbEUlT_E_NS1_11comp_targetILNS1_3genE4ELNS1_11target_archE910ELNS1_3gpuE8ELNS1_3repE0EEENS1_44radix_sort_block_sort_config_static_selectorELNS0_4arch9wavefront6targetE1EEEvSF_,comdat
.Lfunc_end728:
	.size	_ZN7rocprim17ROCPRIM_400000_NS6detail17trampoline_kernelINS0_13kernel_configILj256ELj4ELj4294967295EEENS1_37radix_sort_block_sort_config_selectorIilEEZNS1_21radix_sort_block_sortIS4_Lb0EPiS8_N6thrust23THRUST_200600_302600_NS10device_ptrIlEESC_NS0_19identity_decomposerEEE10hipError_tT1_T2_T3_T4_jRjT5_jjP12ihipStream_tbEUlT_E_NS1_11comp_targetILNS1_3genE4ELNS1_11target_archE910ELNS1_3gpuE8ELNS1_3repE0EEENS1_44radix_sort_block_sort_config_static_selectorELNS0_4arch9wavefront6targetE1EEEvSF_, .Lfunc_end728-_ZN7rocprim17ROCPRIM_400000_NS6detail17trampoline_kernelINS0_13kernel_configILj256ELj4ELj4294967295EEENS1_37radix_sort_block_sort_config_selectorIilEEZNS1_21radix_sort_block_sortIS4_Lb0EPiS8_N6thrust23THRUST_200600_302600_NS10device_ptrIlEESC_NS0_19identity_decomposerEEE10hipError_tT1_T2_T3_T4_jRjT5_jjP12ihipStream_tbEUlT_E_NS1_11comp_targetILNS1_3genE4ELNS1_11target_archE910ELNS1_3gpuE8ELNS1_3repE0EEENS1_44radix_sort_block_sort_config_static_selectorELNS0_4arch9wavefront6targetE1EEEvSF_
                                        ; -- End function
	.section	.AMDGPU.csdata,"",@progbits
; Kernel info:
; codeLenInByte = 3932
; NumSgprs: 52
; NumVgprs: 53
; NumAgprs: 0
; TotalNumVgprs: 53
; ScratchSize: 0
; MemoryBound: 0
; FloatMode: 240
; IeeeMode: 1
; LDSByteSize: 8192 bytes/workgroup (compile time only)
; SGPRBlocks: 6
; VGPRBlocks: 6
; NumSGPRsForWavesPerEU: 52
; NumVGPRsForWavesPerEU: 53
; AccumOffset: 56
; Occupancy: 8
; WaveLimiterHint : 1
; COMPUTE_PGM_RSRC2:SCRATCH_EN: 0
; COMPUTE_PGM_RSRC2:USER_SGPR: 6
; COMPUTE_PGM_RSRC2:TRAP_HANDLER: 0
; COMPUTE_PGM_RSRC2:TGID_X_EN: 1
; COMPUTE_PGM_RSRC2:TGID_Y_EN: 0
; COMPUTE_PGM_RSRC2:TGID_Z_EN: 0
; COMPUTE_PGM_RSRC2:TIDIG_COMP_CNT: 2
; COMPUTE_PGM_RSRC3_GFX90A:ACCUM_OFFSET: 13
; COMPUTE_PGM_RSRC3_GFX90A:TG_SPLIT: 0
	.section	.text._ZN7rocprim17ROCPRIM_400000_NS6detail17trampoline_kernelINS0_13kernel_configILj256ELj4ELj4294967295EEENS1_37radix_sort_block_sort_config_selectorIilEEZNS1_21radix_sort_block_sortIS4_Lb0EPiS8_N6thrust23THRUST_200600_302600_NS10device_ptrIlEESC_NS0_19identity_decomposerEEE10hipError_tT1_T2_T3_T4_jRjT5_jjP12ihipStream_tbEUlT_E_NS1_11comp_targetILNS1_3genE3ELNS1_11target_archE908ELNS1_3gpuE7ELNS1_3repE0EEENS1_44radix_sort_block_sort_config_static_selectorELNS0_4arch9wavefront6targetE1EEEvSF_,"axG",@progbits,_ZN7rocprim17ROCPRIM_400000_NS6detail17trampoline_kernelINS0_13kernel_configILj256ELj4ELj4294967295EEENS1_37radix_sort_block_sort_config_selectorIilEEZNS1_21radix_sort_block_sortIS4_Lb0EPiS8_N6thrust23THRUST_200600_302600_NS10device_ptrIlEESC_NS0_19identity_decomposerEEE10hipError_tT1_T2_T3_T4_jRjT5_jjP12ihipStream_tbEUlT_E_NS1_11comp_targetILNS1_3genE3ELNS1_11target_archE908ELNS1_3gpuE7ELNS1_3repE0EEENS1_44radix_sort_block_sort_config_static_selectorELNS0_4arch9wavefront6targetE1EEEvSF_,comdat
	.protected	_ZN7rocprim17ROCPRIM_400000_NS6detail17trampoline_kernelINS0_13kernel_configILj256ELj4ELj4294967295EEENS1_37radix_sort_block_sort_config_selectorIilEEZNS1_21radix_sort_block_sortIS4_Lb0EPiS8_N6thrust23THRUST_200600_302600_NS10device_ptrIlEESC_NS0_19identity_decomposerEEE10hipError_tT1_T2_T3_T4_jRjT5_jjP12ihipStream_tbEUlT_E_NS1_11comp_targetILNS1_3genE3ELNS1_11target_archE908ELNS1_3gpuE7ELNS1_3repE0EEENS1_44radix_sort_block_sort_config_static_selectorELNS0_4arch9wavefront6targetE1EEEvSF_ ; -- Begin function _ZN7rocprim17ROCPRIM_400000_NS6detail17trampoline_kernelINS0_13kernel_configILj256ELj4ELj4294967295EEENS1_37radix_sort_block_sort_config_selectorIilEEZNS1_21radix_sort_block_sortIS4_Lb0EPiS8_N6thrust23THRUST_200600_302600_NS10device_ptrIlEESC_NS0_19identity_decomposerEEE10hipError_tT1_T2_T3_T4_jRjT5_jjP12ihipStream_tbEUlT_E_NS1_11comp_targetILNS1_3genE3ELNS1_11target_archE908ELNS1_3gpuE7ELNS1_3repE0EEENS1_44radix_sort_block_sort_config_static_selectorELNS0_4arch9wavefront6targetE1EEEvSF_
	.globl	_ZN7rocprim17ROCPRIM_400000_NS6detail17trampoline_kernelINS0_13kernel_configILj256ELj4ELj4294967295EEENS1_37radix_sort_block_sort_config_selectorIilEEZNS1_21radix_sort_block_sortIS4_Lb0EPiS8_N6thrust23THRUST_200600_302600_NS10device_ptrIlEESC_NS0_19identity_decomposerEEE10hipError_tT1_T2_T3_T4_jRjT5_jjP12ihipStream_tbEUlT_E_NS1_11comp_targetILNS1_3genE3ELNS1_11target_archE908ELNS1_3gpuE7ELNS1_3repE0EEENS1_44radix_sort_block_sort_config_static_selectorELNS0_4arch9wavefront6targetE1EEEvSF_
	.p2align	8
	.type	_ZN7rocprim17ROCPRIM_400000_NS6detail17trampoline_kernelINS0_13kernel_configILj256ELj4ELj4294967295EEENS1_37radix_sort_block_sort_config_selectorIilEEZNS1_21radix_sort_block_sortIS4_Lb0EPiS8_N6thrust23THRUST_200600_302600_NS10device_ptrIlEESC_NS0_19identity_decomposerEEE10hipError_tT1_T2_T3_T4_jRjT5_jjP12ihipStream_tbEUlT_E_NS1_11comp_targetILNS1_3genE3ELNS1_11target_archE908ELNS1_3gpuE7ELNS1_3repE0EEENS1_44radix_sort_block_sort_config_static_selectorELNS0_4arch9wavefront6targetE1EEEvSF_,@function
_ZN7rocprim17ROCPRIM_400000_NS6detail17trampoline_kernelINS0_13kernel_configILj256ELj4ELj4294967295EEENS1_37radix_sort_block_sort_config_selectorIilEEZNS1_21radix_sort_block_sortIS4_Lb0EPiS8_N6thrust23THRUST_200600_302600_NS10device_ptrIlEESC_NS0_19identity_decomposerEEE10hipError_tT1_T2_T3_T4_jRjT5_jjP12ihipStream_tbEUlT_E_NS1_11comp_targetILNS1_3genE3ELNS1_11target_archE908ELNS1_3gpuE7ELNS1_3repE0EEENS1_44radix_sort_block_sort_config_static_selectorELNS0_4arch9wavefront6targetE1EEEvSF_: ; @_ZN7rocprim17ROCPRIM_400000_NS6detail17trampoline_kernelINS0_13kernel_configILj256ELj4ELj4294967295EEENS1_37radix_sort_block_sort_config_selectorIilEEZNS1_21radix_sort_block_sortIS4_Lb0EPiS8_N6thrust23THRUST_200600_302600_NS10device_ptrIlEESC_NS0_19identity_decomposerEEE10hipError_tT1_T2_T3_T4_jRjT5_jjP12ihipStream_tbEUlT_E_NS1_11comp_targetILNS1_3genE3ELNS1_11target_archE908ELNS1_3gpuE7ELNS1_3repE0EEENS1_44radix_sort_block_sort_config_static_selectorELNS0_4arch9wavefront6targetE1EEEvSF_
; %bb.0:
	.section	.rodata,"a",@progbits
	.p2align	6, 0x0
	.amdhsa_kernel _ZN7rocprim17ROCPRIM_400000_NS6detail17trampoline_kernelINS0_13kernel_configILj256ELj4ELj4294967295EEENS1_37radix_sort_block_sort_config_selectorIilEEZNS1_21radix_sort_block_sortIS4_Lb0EPiS8_N6thrust23THRUST_200600_302600_NS10device_ptrIlEESC_NS0_19identity_decomposerEEE10hipError_tT1_T2_T3_T4_jRjT5_jjP12ihipStream_tbEUlT_E_NS1_11comp_targetILNS1_3genE3ELNS1_11target_archE908ELNS1_3gpuE7ELNS1_3repE0EEENS1_44radix_sort_block_sort_config_static_selectorELNS0_4arch9wavefront6targetE1EEEvSF_
		.amdhsa_group_segment_fixed_size 0
		.amdhsa_private_segment_fixed_size 0
		.amdhsa_kernarg_size 48
		.amdhsa_user_sgpr_count 6
		.amdhsa_user_sgpr_private_segment_buffer 1
		.amdhsa_user_sgpr_dispatch_ptr 0
		.amdhsa_user_sgpr_queue_ptr 0
		.amdhsa_user_sgpr_kernarg_segment_ptr 1
		.amdhsa_user_sgpr_dispatch_id 0
		.amdhsa_user_sgpr_flat_scratch_init 0
		.amdhsa_user_sgpr_kernarg_preload_length 0
		.amdhsa_user_sgpr_kernarg_preload_offset 0
		.amdhsa_user_sgpr_private_segment_size 0
		.amdhsa_uses_dynamic_stack 0
		.amdhsa_system_sgpr_private_segment_wavefront_offset 0
		.amdhsa_system_sgpr_workgroup_id_x 1
		.amdhsa_system_sgpr_workgroup_id_y 0
		.amdhsa_system_sgpr_workgroup_id_z 0
		.amdhsa_system_sgpr_workgroup_info 0
		.amdhsa_system_vgpr_workitem_id 0
		.amdhsa_next_free_vgpr 1
		.amdhsa_next_free_sgpr 0
		.amdhsa_accum_offset 4
		.amdhsa_reserve_vcc 0
		.amdhsa_reserve_flat_scratch 0
		.amdhsa_float_round_mode_32 0
		.amdhsa_float_round_mode_16_64 0
		.amdhsa_float_denorm_mode_32 3
		.amdhsa_float_denorm_mode_16_64 3
		.amdhsa_dx10_clamp 1
		.amdhsa_ieee_mode 1
		.amdhsa_fp16_overflow 0
		.amdhsa_tg_split 0
		.amdhsa_exception_fp_ieee_invalid_op 0
		.amdhsa_exception_fp_denorm_src 0
		.amdhsa_exception_fp_ieee_div_zero 0
		.amdhsa_exception_fp_ieee_overflow 0
		.amdhsa_exception_fp_ieee_underflow 0
		.amdhsa_exception_fp_ieee_inexact 0
		.amdhsa_exception_int_div_zero 0
	.end_amdhsa_kernel
	.section	.text._ZN7rocprim17ROCPRIM_400000_NS6detail17trampoline_kernelINS0_13kernel_configILj256ELj4ELj4294967295EEENS1_37radix_sort_block_sort_config_selectorIilEEZNS1_21radix_sort_block_sortIS4_Lb0EPiS8_N6thrust23THRUST_200600_302600_NS10device_ptrIlEESC_NS0_19identity_decomposerEEE10hipError_tT1_T2_T3_T4_jRjT5_jjP12ihipStream_tbEUlT_E_NS1_11comp_targetILNS1_3genE3ELNS1_11target_archE908ELNS1_3gpuE7ELNS1_3repE0EEENS1_44radix_sort_block_sort_config_static_selectorELNS0_4arch9wavefront6targetE1EEEvSF_,"axG",@progbits,_ZN7rocprim17ROCPRIM_400000_NS6detail17trampoline_kernelINS0_13kernel_configILj256ELj4ELj4294967295EEENS1_37radix_sort_block_sort_config_selectorIilEEZNS1_21radix_sort_block_sortIS4_Lb0EPiS8_N6thrust23THRUST_200600_302600_NS10device_ptrIlEESC_NS0_19identity_decomposerEEE10hipError_tT1_T2_T3_T4_jRjT5_jjP12ihipStream_tbEUlT_E_NS1_11comp_targetILNS1_3genE3ELNS1_11target_archE908ELNS1_3gpuE7ELNS1_3repE0EEENS1_44radix_sort_block_sort_config_static_selectorELNS0_4arch9wavefront6targetE1EEEvSF_,comdat
.Lfunc_end729:
	.size	_ZN7rocprim17ROCPRIM_400000_NS6detail17trampoline_kernelINS0_13kernel_configILj256ELj4ELj4294967295EEENS1_37radix_sort_block_sort_config_selectorIilEEZNS1_21radix_sort_block_sortIS4_Lb0EPiS8_N6thrust23THRUST_200600_302600_NS10device_ptrIlEESC_NS0_19identity_decomposerEEE10hipError_tT1_T2_T3_T4_jRjT5_jjP12ihipStream_tbEUlT_E_NS1_11comp_targetILNS1_3genE3ELNS1_11target_archE908ELNS1_3gpuE7ELNS1_3repE0EEENS1_44radix_sort_block_sort_config_static_selectorELNS0_4arch9wavefront6targetE1EEEvSF_, .Lfunc_end729-_ZN7rocprim17ROCPRIM_400000_NS6detail17trampoline_kernelINS0_13kernel_configILj256ELj4ELj4294967295EEENS1_37radix_sort_block_sort_config_selectorIilEEZNS1_21radix_sort_block_sortIS4_Lb0EPiS8_N6thrust23THRUST_200600_302600_NS10device_ptrIlEESC_NS0_19identity_decomposerEEE10hipError_tT1_T2_T3_T4_jRjT5_jjP12ihipStream_tbEUlT_E_NS1_11comp_targetILNS1_3genE3ELNS1_11target_archE908ELNS1_3gpuE7ELNS1_3repE0EEENS1_44radix_sort_block_sort_config_static_selectorELNS0_4arch9wavefront6targetE1EEEvSF_
                                        ; -- End function
	.section	.AMDGPU.csdata,"",@progbits
; Kernel info:
; codeLenInByte = 0
; NumSgprs: 4
; NumVgprs: 0
; NumAgprs: 0
; TotalNumVgprs: 0
; ScratchSize: 0
; MemoryBound: 0
; FloatMode: 240
; IeeeMode: 1
; LDSByteSize: 0 bytes/workgroup (compile time only)
; SGPRBlocks: 0
; VGPRBlocks: 0
; NumSGPRsForWavesPerEU: 4
; NumVGPRsForWavesPerEU: 1
; AccumOffset: 4
; Occupancy: 8
; WaveLimiterHint : 0
; COMPUTE_PGM_RSRC2:SCRATCH_EN: 0
; COMPUTE_PGM_RSRC2:USER_SGPR: 6
; COMPUTE_PGM_RSRC2:TRAP_HANDLER: 0
; COMPUTE_PGM_RSRC2:TGID_X_EN: 1
; COMPUTE_PGM_RSRC2:TGID_Y_EN: 0
; COMPUTE_PGM_RSRC2:TGID_Z_EN: 0
; COMPUTE_PGM_RSRC2:TIDIG_COMP_CNT: 0
; COMPUTE_PGM_RSRC3_GFX90A:ACCUM_OFFSET: 0
; COMPUTE_PGM_RSRC3_GFX90A:TG_SPLIT: 0
	.section	.text._ZN7rocprim17ROCPRIM_400000_NS6detail17trampoline_kernelINS0_13kernel_configILj256ELj4ELj4294967295EEENS1_37radix_sort_block_sort_config_selectorIilEEZNS1_21radix_sort_block_sortIS4_Lb0EPiS8_N6thrust23THRUST_200600_302600_NS10device_ptrIlEESC_NS0_19identity_decomposerEEE10hipError_tT1_T2_T3_T4_jRjT5_jjP12ihipStream_tbEUlT_E_NS1_11comp_targetILNS1_3genE2ELNS1_11target_archE906ELNS1_3gpuE6ELNS1_3repE0EEENS1_44radix_sort_block_sort_config_static_selectorELNS0_4arch9wavefront6targetE1EEEvSF_,"axG",@progbits,_ZN7rocprim17ROCPRIM_400000_NS6detail17trampoline_kernelINS0_13kernel_configILj256ELj4ELj4294967295EEENS1_37radix_sort_block_sort_config_selectorIilEEZNS1_21radix_sort_block_sortIS4_Lb0EPiS8_N6thrust23THRUST_200600_302600_NS10device_ptrIlEESC_NS0_19identity_decomposerEEE10hipError_tT1_T2_T3_T4_jRjT5_jjP12ihipStream_tbEUlT_E_NS1_11comp_targetILNS1_3genE2ELNS1_11target_archE906ELNS1_3gpuE6ELNS1_3repE0EEENS1_44radix_sort_block_sort_config_static_selectorELNS0_4arch9wavefront6targetE1EEEvSF_,comdat
	.protected	_ZN7rocprim17ROCPRIM_400000_NS6detail17trampoline_kernelINS0_13kernel_configILj256ELj4ELj4294967295EEENS1_37radix_sort_block_sort_config_selectorIilEEZNS1_21radix_sort_block_sortIS4_Lb0EPiS8_N6thrust23THRUST_200600_302600_NS10device_ptrIlEESC_NS0_19identity_decomposerEEE10hipError_tT1_T2_T3_T4_jRjT5_jjP12ihipStream_tbEUlT_E_NS1_11comp_targetILNS1_3genE2ELNS1_11target_archE906ELNS1_3gpuE6ELNS1_3repE0EEENS1_44radix_sort_block_sort_config_static_selectorELNS0_4arch9wavefront6targetE1EEEvSF_ ; -- Begin function _ZN7rocprim17ROCPRIM_400000_NS6detail17trampoline_kernelINS0_13kernel_configILj256ELj4ELj4294967295EEENS1_37radix_sort_block_sort_config_selectorIilEEZNS1_21radix_sort_block_sortIS4_Lb0EPiS8_N6thrust23THRUST_200600_302600_NS10device_ptrIlEESC_NS0_19identity_decomposerEEE10hipError_tT1_T2_T3_T4_jRjT5_jjP12ihipStream_tbEUlT_E_NS1_11comp_targetILNS1_3genE2ELNS1_11target_archE906ELNS1_3gpuE6ELNS1_3repE0EEENS1_44radix_sort_block_sort_config_static_selectorELNS0_4arch9wavefront6targetE1EEEvSF_
	.globl	_ZN7rocprim17ROCPRIM_400000_NS6detail17trampoline_kernelINS0_13kernel_configILj256ELj4ELj4294967295EEENS1_37radix_sort_block_sort_config_selectorIilEEZNS1_21radix_sort_block_sortIS4_Lb0EPiS8_N6thrust23THRUST_200600_302600_NS10device_ptrIlEESC_NS0_19identity_decomposerEEE10hipError_tT1_T2_T3_T4_jRjT5_jjP12ihipStream_tbEUlT_E_NS1_11comp_targetILNS1_3genE2ELNS1_11target_archE906ELNS1_3gpuE6ELNS1_3repE0EEENS1_44radix_sort_block_sort_config_static_selectorELNS0_4arch9wavefront6targetE1EEEvSF_
	.p2align	8
	.type	_ZN7rocprim17ROCPRIM_400000_NS6detail17trampoline_kernelINS0_13kernel_configILj256ELj4ELj4294967295EEENS1_37radix_sort_block_sort_config_selectorIilEEZNS1_21radix_sort_block_sortIS4_Lb0EPiS8_N6thrust23THRUST_200600_302600_NS10device_ptrIlEESC_NS0_19identity_decomposerEEE10hipError_tT1_T2_T3_T4_jRjT5_jjP12ihipStream_tbEUlT_E_NS1_11comp_targetILNS1_3genE2ELNS1_11target_archE906ELNS1_3gpuE6ELNS1_3repE0EEENS1_44radix_sort_block_sort_config_static_selectorELNS0_4arch9wavefront6targetE1EEEvSF_,@function
_ZN7rocprim17ROCPRIM_400000_NS6detail17trampoline_kernelINS0_13kernel_configILj256ELj4ELj4294967295EEENS1_37radix_sort_block_sort_config_selectorIilEEZNS1_21radix_sort_block_sortIS4_Lb0EPiS8_N6thrust23THRUST_200600_302600_NS10device_ptrIlEESC_NS0_19identity_decomposerEEE10hipError_tT1_T2_T3_T4_jRjT5_jjP12ihipStream_tbEUlT_E_NS1_11comp_targetILNS1_3genE2ELNS1_11target_archE906ELNS1_3gpuE6ELNS1_3repE0EEENS1_44radix_sort_block_sort_config_static_selectorELNS0_4arch9wavefront6targetE1EEEvSF_: ; @_ZN7rocprim17ROCPRIM_400000_NS6detail17trampoline_kernelINS0_13kernel_configILj256ELj4ELj4294967295EEENS1_37radix_sort_block_sort_config_selectorIilEEZNS1_21radix_sort_block_sortIS4_Lb0EPiS8_N6thrust23THRUST_200600_302600_NS10device_ptrIlEESC_NS0_19identity_decomposerEEE10hipError_tT1_T2_T3_T4_jRjT5_jjP12ihipStream_tbEUlT_E_NS1_11comp_targetILNS1_3genE2ELNS1_11target_archE906ELNS1_3gpuE6ELNS1_3repE0EEENS1_44radix_sort_block_sort_config_static_selectorELNS0_4arch9wavefront6targetE1EEEvSF_
; %bb.0:
	.section	.rodata,"a",@progbits
	.p2align	6, 0x0
	.amdhsa_kernel _ZN7rocprim17ROCPRIM_400000_NS6detail17trampoline_kernelINS0_13kernel_configILj256ELj4ELj4294967295EEENS1_37radix_sort_block_sort_config_selectorIilEEZNS1_21radix_sort_block_sortIS4_Lb0EPiS8_N6thrust23THRUST_200600_302600_NS10device_ptrIlEESC_NS0_19identity_decomposerEEE10hipError_tT1_T2_T3_T4_jRjT5_jjP12ihipStream_tbEUlT_E_NS1_11comp_targetILNS1_3genE2ELNS1_11target_archE906ELNS1_3gpuE6ELNS1_3repE0EEENS1_44radix_sort_block_sort_config_static_selectorELNS0_4arch9wavefront6targetE1EEEvSF_
		.amdhsa_group_segment_fixed_size 0
		.amdhsa_private_segment_fixed_size 0
		.amdhsa_kernarg_size 48
		.amdhsa_user_sgpr_count 6
		.amdhsa_user_sgpr_private_segment_buffer 1
		.amdhsa_user_sgpr_dispatch_ptr 0
		.amdhsa_user_sgpr_queue_ptr 0
		.amdhsa_user_sgpr_kernarg_segment_ptr 1
		.amdhsa_user_sgpr_dispatch_id 0
		.amdhsa_user_sgpr_flat_scratch_init 0
		.amdhsa_user_sgpr_kernarg_preload_length 0
		.amdhsa_user_sgpr_kernarg_preload_offset 0
		.amdhsa_user_sgpr_private_segment_size 0
		.amdhsa_uses_dynamic_stack 0
		.amdhsa_system_sgpr_private_segment_wavefront_offset 0
		.amdhsa_system_sgpr_workgroup_id_x 1
		.amdhsa_system_sgpr_workgroup_id_y 0
		.amdhsa_system_sgpr_workgroup_id_z 0
		.amdhsa_system_sgpr_workgroup_info 0
		.amdhsa_system_vgpr_workitem_id 0
		.amdhsa_next_free_vgpr 1
		.amdhsa_next_free_sgpr 0
		.amdhsa_accum_offset 4
		.amdhsa_reserve_vcc 0
		.amdhsa_reserve_flat_scratch 0
		.amdhsa_float_round_mode_32 0
		.amdhsa_float_round_mode_16_64 0
		.amdhsa_float_denorm_mode_32 3
		.amdhsa_float_denorm_mode_16_64 3
		.amdhsa_dx10_clamp 1
		.amdhsa_ieee_mode 1
		.amdhsa_fp16_overflow 0
		.amdhsa_tg_split 0
		.amdhsa_exception_fp_ieee_invalid_op 0
		.amdhsa_exception_fp_denorm_src 0
		.amdhsa_exception_fp_ieee_div_zero 0
		.amdhsa_exception_fp_ieee_overflow 0
		.amdhsa_exception_fp_ieee_underflow 0
		.amdhsa_exception_fp_ieee_inexact 0
		.amdhsa_exception_int_div_zero 0
	.end_amdhsa_kernel
	.section	.text._ZN7rocprim17ROCPRIM_400000_NS6detail17trampoline_kernelINS0_13kernel_configILj256ELj4ELj4294967295EEENS1_37radix_sort_block_sort_config_selectorIilEEZNS1_21radix_sort_block_sortIS4_Lb0EPiS8_N6thrust23THRUST_200600_302600_NS10device_ptrIlEESC_NS0_19identity_decomposerEEE10hipError_tT1_T2_T3_T4_jRjT5_jjP12ihipStream_tbEUlT_E_NS1_11comp_targetILNS1_3genE2ELNS1_11target_archE906ELNS1_3gpuE6ELNS1_3repE0EEENS1_44radix_sort_block_sort_config_static_selectorELNS0_4arch9wavefront6targetE1EEEvSF_,"axG",@progbits,_ZN7rocprim17ROCPRIM_400000_NS6detail17trampoline_kernelINS0_13kernel_configILj256ELj4ELj4294967295EEENS1_37radix_sort_block_sort_config_selectorIilEEZNS1_21radix_sort_block_sortIS4_Lb0EPiS8_N6thrust23THRUST_200600_302600_NS10device_ptrIlEESC_NS0_19identity_decomposerEEE10hipError_tT1_T2_T3_T4_jRjT5_jjP12ihipStream_tbEUlT_E_NS1_11comp_targetILNS1_3genE2ELNS1_11target_archE906ELNS1_3gpuE6ELNS1_3repE0EEENS1_44radix_sort_block_sort_config_static_selectorELNS0_4arch9wavefront6targetE1EEEvSF_,comdat
.Lfunc_end730:
	.size	_ZN7rocprim17ROCPRIM_400000_NS6detail17trampoline_kernelINS0_13kernel_configILj256ELj4ELj4294967295EEENS1_37radix_sort_block_sort_config_selectorIilEEZNS1_21radix_sort_block_sortIS4_Lb0EPiS8_N6thrust23THRUST_200600_302600_NS10device_ptrIlEESC_NS0_19identity_decomposerEEE10hipError_tT1_T2_T3_T4_jRjT5_jjP12ihipStream_tbEUlT_E_NS1_11comp_targetILNS1_3genE2ELNS1_11target_archE906ELNS1_3gpuE6ELNS1_3repE0EEENS1_44radix_sort_block_sort_config_static_selectorELNS0_4arch9wavefront6targetE1EEEvSF_, .Lfunc_end730-_ZN7rocprim17ROCPRIM_400000_NS6detail17trampoline_kernelINS0_13kernel_configILj256ELj4ELj4294967295EEENS1_37radix_sort_block_sort_config_selectorIilEEZNS1_21radix_sort_block_sortIS4_Lb0EPiS8_N6thrust23THRUST_200600_302600_NS10device_ptrIlEESC_NS0_19identity_decomposerEEE10hipError_tT1_T2_T3_T4_jRjT5_jjP12ihipStream_tbEUlT_E_NS1_11comp_targetILNS1_3genE2ELNS1_11target_archE906ELNS1_3gpuE6ELNS1_3repE0EEENS1_44radix_sort_block_sort_config_static_selectorELNS0_4arch9wavefront6targetE1EEEvSF_
                                        ; -- End function
	.section	.AMDGPU.csdata,"",@progbits
; Kernel info:
; codeLenInByte = 0
; NumSgprs: 4
; NumVgprs: 0
; NumAgprs: 0
; TotalNumVgprs: 0
; ScratchSize: 0
; MemoryBound: 0
; FloatMode: 240
; IeeeMode: 1
; LDSByteSize: 0 bytes/workgroup (compile time only)
; SGPRBlocks: 0
; VGPRBlocks: 0
; NumSGPRsForWavesPerEU: 4
; NumVGPRsForWavesPerEU: 1
; AccumOffset: 4
; Occupancy: 8
; WaveLimiterHint : 0
; COMPUTE_PGM_RSRC2:SCRATCH_EN: 0
; COMPUTE_PGM_RSRC2:USER_SGPR: 6
; COMPUTE_PGM_RSRC2:TRAP_HANDLER: 0
; COMPUTE_PGM_RSRC2:TGID_X_EN: 1
; COMPUTE_PGM_RSRC2:TGID_Y_EN: 0
; COMPUTE_PGM_RSRC2:TGID_Z_EN: 0
; COMPUTE_PGM_RSRC2:TIDIG_COMP_CNT: 0
; COMPUTE_PGM_RSRC3_GFX90A:ACCUM_OFFSET: 0
; COMPUTE_PGM_RSRC3_GFX90A:TG_SPLIT: 0
	.section	.text._ZN7rocprim17ROCPRIM_400000_NS6detail17trampoline_kernelINS0_13kernel_configILj256ELj4ELj4294967295EEENS1_37radix_sort_block_sort_config_selectorIilEEZNS1_21radix_sort_block_sortIS4_Lb0EPiS8_N6thrust23THRUST_200600_302600_NS10device_ptrIlEESC_NS0_19identity_decomposerEEE10hipError_tT1_T2_T3_T4_jRjT5_jjP12ihipStream_tbEUlT_E_NS1_11comp_targetILNS1_3genE10ELNS1_11target_archE1201ELNS1_3gpuE5ELNS1_3repE0EEENS1_44radix_sort_block_sort_config_static_selectorELNS0_4arch9wavefront6targetE1EEEvSF_,"axG",@progbits,_ZN7rocprim17ROCPRIM_400000_NS6detail17trampoline_kernelINS0_13kernel_configILj256ELj4ELj4294967295EEENS1_37radix_sort_block_sort_config_selectorIilEEZNS1_21radix_sort_block_sortIS4_Lb0EPiS8_N6thrust23THRUST_200600_302600_NS10device_ptrIlEESC_NS0_19identity_decomposerEEE10hipError_tT1_T2_T3_T4_jRjT5_jjP12ihipStream_tbEUlT_E_NS1_11comp_targetILNS1_3genE10ELNS1_11target_archE1201ELNS1_3gpuE5ELNS1_3repE0EEENS1_44radix_sort_block_sort_config_static_selectorELNS0_4arch9wavefront6targetE1EEEvSF_,comdat
	.protected	_ZN7rocprim17ROCPRIM_400000_NS6detail17trampoline_kernelINS0_13kernel_configILj256ELj4ELj4294967295EEENS1_37radix_sort_block_sort_config_selectorIilEEZNS1_21radix_sort_block_sortIS4_Lb0EPiS8_N6thrust23THRUST_200600_302600_NS10device_ptrIlEESC_NS0_19identity_decomposerEEE10hipError_tT1_T2_T3_T4_jRjT5_jjP12ihipStream_tbEUlT_E_NS1_11comp_targetILNS1_3genE10ELNS1_11target_archE1201ELNS1_3gpuE5ELNS1_3repE0EEENS1_44radix_sort_block_sort_config_static_selectorELNS0_4arch9wavefront6targetE1EEEvSF_ ; -- Begin function _ZN7rocprim17ROCPRIM_400000_NS6detail17trampoline_kernelINS0_13kernel_configILj256ELj4ELj4294967295EEENS1_37radix_sort_block_sort_config_selectorIilEEZNS1_21radix_sort_block_sortIS4_Lb0EPiS8_N6thrust23THRUST_200600_302600_NS10device_ptrIlEESC_NS0_19identity_decomposerEEE10hipError_tT1_T2_T3_T4_jRjT5_jjP12ihipStream_tbEUlT_E_NS1_11comp_targetILNS1_3genE10ELNS1_11target_archE1201ELNS1_3gpuE5ELNS1_3repE0EEENS1_44radix_sort_block_sort_config_static_selectorELNS0_4arch9wavefront6targetE1EEEvSF_
	.globl	_ZN7rocprim17ROCPRIM_400000_NS6detail17trampoline_kernelINS0_13kernel_configILj256ELj4ELj4294967295EEENS1_37radix_sort_block_sort_config_selectorIilEEZNS1_21radix_sort_block_sortIS4_Lb0EPiS8_N6thrust23THRUST_200600_302600_NS10device_ptrIlEESC_NS0_19identity_decomposerEEE10hipError_tT1_T2_T3_T4_jRjT5_jjP12ihipStream_tbEUlT_E_NS1_11comp_targetILNS1_3genE10ELNS1_11target_archE1201ELNS1_3gpuE5ELNS1_3repE0EEENS1_44radix_sort_block_sort_config_static_selectorELNS0_4arch9wavefront6targetE1EEEvSF_
	.p2align	8
	.type	_ZN7rocprim17ROCPRIM_400000_NS6detail17trampoline_kernelINS0_13kernel_configILj256ELj4ELj4294967295EEENS1_37radix_sort_block_sort_config_selectorIilEEZNS1_21radix_sort_block_sortIS4_Lb0EPiS8_N6thrust23THRUST_200600_302600_NS10device_ptrIlEESC_NS0_19identity_decomposerEEE10hipError_tT1_T2_T3_T4_jRjT5_jjP12ihipStream_tbEUlT_E_NS1_11comp_targetILNS1_3genE10ELNS1_11target_archE1201ELNS1_3gpuE5ELNS1_3repE0EEENS1_44radix_sort_block_sort_config_static_selectorELNS0_4arch9wavefront6targetE1EEEvSF_,@function
_ZN7rocprim17ROCPRIM_400000_NS6detail17trampoline_kernelINS0_13kernel_configILj256ELj4ELj4294967295EEENS1_37radix_sort_block_sort_config_selectorIilEEZNS1_21radix_sort_block_sortIS4_Lb0EPiS8_N6thrust23THRUST_200600_302600_NS10device_ptrIlEESC_NS0_19identity_decomposerEEE10hipError_tT1_T2_T3_T4_jRjT5_jjP12ihipStream_tbEUlT_E_NS1_11comp_targetILNS1_3genE10ELNS1_11target_archE1201ELNS1_3gpuE5ELNS1_3repE0EEENS1_44radix_sort_block_sort_config_static_selectorELNS0_4arch9wavefront6targetE1EEEvSF_: ; @_ZN7rocprim17ROCPRIM_400000_NS6detail17trampoline_kernelINS0_13kernel_configILj256ELj4ELj4294967295EEENS1_37radix_sort_block_sort_config_selectorIilEEZNS1_21radix_sort_block_sortIS4_Lb0EPiS8_N6thrust23THRUST_200600_302600_NS10device_ptrIlEESC_NS0_19identity_decomposerEEE10hipError_tT1_T2_T3_T4_jRjT5_jjP12ihipStream_tbEUlT_E_NS1_11comp_targetILNS1_3genE10ELNS1_11target_archE1201ELNS1_3gpuE5ELNS1_3repE0EEENS1_44radix_sort_block_sort_config_static_selectorELNS0_4arch9wavefront6targetE1EEEvSF_
; %bb.0:
	.section	.rodata,"a",@progbits
	.p2align	6, 0x0
	.amdhsa_kernel _ZN7rocprim17ROCPRIM_400000_NS6detail17trampoline_kernelINS0_13kernel_configILj256ELj4ELj4294967295EEENS1_37radix_sort_block_sort_config_selectorIilEEZNS1_21radix_sort_block_sortIS4_Lb0EPiS8_N6thrust23THRUST_200600_302600_NS10device_ptrIlEESC_NS0_19identity_decomposerEEE10hipError_tT1_T2_T3_T4_jRjT5_jjP12ihipStream_tbEUlT_E_NS1_11comp_targetILNS1_3genE10ELNS1_11target_archE1201ELNS1_3gpuE5ELNS1_3repE0EEENS1_44radix_sort_block_sort_config_static_selectorELNS0_4arch9wavefront6targetE1EEEvSF_
		.amdhsa_group_segment_fixed_size 0
		.amdhsa_private_segment_fixed_size 0
		.amdhsa_kernarg_size 48
		.amdhsa_user_sgpr_count 6
		.amdhsa_user_sgpr_private_segment_buffer 1
		.amdhsa_user_sgpr_dispatch_ptr 0
		.amdhsa_user_sgpr_queue_ptr 0
		.amdhsa_user_sgpr_kernarg_segment_ptr 1
		.amdhsa_user_sgpr_dispatch_id 0
		.amdhsa_user_sgpr_flat_scratch_init 0
		.amdhsa_user_sgpr_kernarg_preload_length 0
		.amdhsa_user_sgpr_kernarg_preload_offset 0
		.amdhsa_user_sgpr_private_segment_size 0
		.amdhsa_uses_dynamic_stack 0
		.amdhsa_system_sgpr_private_segment_wavefront_offset 0
		.amdhsa_system_sgpr_workgroup_id_x 1
		.amdhsa_system_sgpr_workgroup_id_y 0
		.amdhsa_system_sgpr_workgroup_id_z 0
		.amdhsa_system_sgpr_workgroup_info 0
		.amdhsa_system_vgpr_workitem_id 0
		.amdhsa_next_free_vgpr 1
		.amdhsa_next_free_sgpr 0
		.amdhsa_accum_offset 4
		.amdhsa_reserve_vcc 0
		.amdhsa_reserve_flat_scratch 0
		.amdhsa_float_round_mode_32 0
		.amdhsa_float_round_mode_16_64 0
		.amdhsa_float_denorm_mode_32 3
		.amdhsa_float_denorm_mode_16_64 3
		.amdhsa_dx10_clamp 1
		.amdhsa_ieee_mode 1
		.amdhsa_fp16_overflow 0
		.amdhsa_tg_split 0
		.amdhsa_exception_fp_ieee_invalid_op 0
		.amdhsa_exception_fp_denorm_src 0
		.amdhsa_exception_fp_ieee_div_zero 0
		.amdhsa_exception_fp_ieee_overflow 0
		.amdhsa_exception_fp_ieee_underflow 0
		.amdhsa_exception_fp_ieee_inexact 0
		.amdhsa_exception_int_div_zero 0
	.end_amdhsa_kernel
	.section	.text._ZN7rocprim17ROCPRIM_400000_NS6detail17trampoline_kernelINS0_13kernel_configILj256ELj4ELj4294967295EEENS1_37radix_sort_block_sort_config_selectorIilEEZNS1_21radix_sort_block_sortIS4_Lb0EPiS8_N6thrust23THRUST_200600_302600_NS10device_ptrIlEESC_NS0_19identity_decomposerEEE10hipError_tT1_T2_T3_T4_jRjT5_jjP12ihipStream_tbEUlT_E_NS1_11comp_targetILNS1_3genE10ELNS1_11target_archE1201ELNS1_3gpuE5ELNS1_3repE0EEENS1_44radix_sort_block_sort_config_static_selectorELNS0_4arch9wavefront6targetE1EEEvSF_,"axG",@progbits,_ZN7rocprim17ROCPRIM_400000_NS6detail17trampoline_kernelINS0_13kernel_configILj256ELj4ELj4294967295EEENS1_37radix_sort_block_sort_config_selectorIilEEZNS1_21radix_sort_block_sortIS4_Lb0EPiS8_N6thrust23THRUST_200600_302600_NS10device_ptrIlEESC_NS0_19identity_decomposerEEE10hipError_tT1_T2_T3_T4_jRjT5_jjP12ihipStream_tbEUlT_E_NS1_11comp_targetILNS1_3genE10ELNS1_11target_archE1201ELNS1_3gpuE5ELNS1_3repE0EEENS1_44radix_sort_block_sort_config_static_selectorELNS0_4arch9wavefront6targetE1EEEvSF_,comdat
.Lfunc_end731:
	.size	_ZN7rocprim17ROCPRIM_400000_NS6detail17trampoline_kernelINS0_13kernel_configILj256ELj4ELj4294967295EEENS1_37radix_sort_block_sort_config_selectorIilEEZNS1_21radix_sort_block_sortIS4_Lb0EPiS8_N6thrust23THRUST_200600_302600_NS10device_ptrIlEESC_NS0_19identity_decomposerEEE10hipError_tT1_T2_T3_T4_jRjT5_jjP12ihipStream_tbEUlT_E_NS1_11comp_targetILNS1_3genE10ELNS1_11target_archE1201ELNS1_3gpuE5ELNS1_3repE0EEENS1_44radix_sort_block_sort_config_static_selectorELNS0_4arch9wavefront6targetE1EEEvSF_, .Lfunc_end731-_ZN7rocprim17ROCPRIM_400000_NS6detail17trampoline_kernelINS0_13kernel_configILj256ELj4ELj4294967295EEENS1_37radix_sort_block_sort_config_selectorIilEEZNS1_21radix_sort_block_sortIS4_Lb0EPiS8_N6thrust23THRUST_200600_302600_NS10device_ptrIlEESC_NS0_19identity_decomposerEEE10hipError_tT1_T2_T3_T4_jRjT5_jjP12ihipStream_tbEUlT_E_NS1_11comp_targetILNS1_3genE10ELNS1_11target_archE1201ELNS1_3gpuE5ELNS1_3repE0EEENS1_44radix_sort_block_sort_config_static_selectorELNS0_4arch9wavefront6targetE1EEEvSF_
                                        ; -- End function
	.section	.AMDGPU.csdata,"",@progbits
; Kernel info:
; codeLenInByte = 0
; NumSgprs: 4
; NumVgprs: 0
; NumAgprs: 0
; TotalNumVgprs: 0
; ScratchSize: 0
; MemoryBound: 0
; FloatMode: 240
; IeeeMode: 1
; LDSByteSize: 0 bytes/workgroup (compile time only)
; SGPRBlocks: 0
; VGPRBlocks: 0
; NumSGPRsForWavesPerEU: 4
; NumVGPRsForWavesPerEU: 1
; AccumOffset: 4
; Occupancy: 8
; WaveLimiterHint : 0
; COMPUTE_PGM_RSRC2:SCRATCH_EN: 0
; COMPUTE_PGM_RSRC2:USER_SGPR: 6
; COMPUTE_PGM_RSRC2:TRAP_HANDLER: 0
; COMPUTE_PGM_RSRC2:TGID_X_EN: 1
; COMPUTE_PGM_RSRC2:TGID_Y_EN: 0
; COMPUTE_PGM_RSRC2:TGID_Z_EN: 0
; COMPUTE_PGM_RSRC2:TIDIG_COMP_CNT: 0
; COMPUTE_PGM_RSRC3_GFX90A:ACCUM_OFFSET: 0
; COMPUTE_PGM_RSRC3_GFX90A:TG_SPLIT: 0
	.section	.text._ZN7rocprim17ROCPRIM_400000_NS6detail17trampoline_kernelINS0_13kernel_configILj256ELj4ELj4294967295EEENS1_37radix_sort_block_sort_config_selectorIilEEZNS1_21radix_sort_block_sortIS4_Lb0EPiS8_N6thrust23THRUST_200600_302600_NS10device_ptrIlEESC_NS0_19identity_decomposerEEE10hipError_tT1_T2_T3_T4_jRjT5_jjP12ihipStream_tbEUlT_E_NS1_11comp_targetILNS1_3genE10ELNS1_11target_archE1200ELNS1_3gpuE4ELNS1_3repE0EEENS1_44radix_sort_block_sort_config_static_selectorELNS0_4arch9wavefront6targetE1EEEvSF_,"axG",@progbits,_ZN7rocprim17ROCPRIM_400000_NS6detail17trampoline_kernelINS0_13kernel_configILj256ELj4ELj4294967295EEENS1_37radix_sort_block_sort_config_selectorIilEEZNS1_21radix_sort_block_sortIS4_Lb0EPiS8_N6thrust23THRUST_200600_302600_NS10device_ptrIlEESC_NS0_19identity_decomposerEEE10hipError_tT1_T2_T3_T4_jRjT5_jjP12ihipStream_tbEUlT_E_NS1_11comp_targetILNS1_3genE10ELNS1_11target_archE1200ELNS1_3gpuE4ELNS1_3repE0EEENS1_44radix_sort_block_sort_config_static_selectorELNS0_4arch9wavefront6targetE1EEEvSF_,comdat
	.protected	_ZN7rocprim17ROCPRIM_400000_NS6detail17trampoline_kernelINS0_13kernel_configILj256ELj4ELj4294967295EEENS1_37radix_sort_block_sort_config_selectorIilEEZNS1_21radix_sort_block_sortIS4_Lb0EPiS8_N6thrust23THRUST_200600_302600_NS10device_ptrIlEESC_NS0_19identity_decomposerEEE10hipError_tT1_T2_T3_T4_jRjT5_jjP12ihipStream_tbEUlT_E_NS1_11comp_targetILNS1_3genE10ELNS1_11target_archE1200ELNS1_3gpuE4ELNS1_3repE0EEENS1_44radix_sort_block_sort_config_static_selectorELNS0_4arch9wavefront6targetE1EEEvSF_ ; -- Begin function _ZN7rocprim17ROCPRIM_400000_NS6detail17trampoline_kernelINS0_13kernel_configILj256ELj4ELj4294967295EEENS1_37radix_sort_block_sort_config_selectorIilEEZNS1_21radix_sort_block_sortIS4_Lb0EPiS8_N6thrust23THRUST_200600_302600_NS10device_ptrIlEESC_NS0_19identity_decomposerEEE10hipError_tT1_T2_T3_T4_jRjT5_jjP12ihipStream_tbEUlT_E_NS1_11comp_targetILNS1_3genE10ELNS1_11target_archE1200ELNS1_3gpuE4ELNS1_3repE0EEENS1_44radix_sort_block_sort_config_static_selectorELNS0_4arch9wavefront6targetE1EEEvSF_
	.globl	_ZN7rocprim17ROCPRIM_400000_NS6detail17trampoline_kernelINS0_13kernel_configILj256ELj4ELj4294967295EEENS1_37radix_sort_block_sort_config_selectorIilEEZNS1_21radix_sort_block_sortIS4_Lb0EPiS8_N6thrust23THRUST_200600_302600_NS10device_ptrIlEESC_NS0_19identity_decomposerEEE10hipError_tT1_T2_T3_T4_jRjT5_jjP12ihipStream_tbEUlT_E_NS1_11comp_targetILNS1_3genE10ELNS1_11target_archE1200ELNS1_3gpuE4ELNS1_3repE0EEENS1_44radix_sort_block_sort_config_static_selectorELNS0_4arch9wavefront6targetE1EEEvSF_
	.p2align	8
	.type	_ZN7rocprim17ROCPRIM_400000_NS6detail17trampoline_kernelINS0_13kernel_configILj256ELj4ELj4294967295EEENS1_37radix_sort_block_sort_config_selectorIilEEZNS1_21radix_sort_block_sortIS4_Lb0EPiS8_N6thrust23THRUST_200600_302600_NS10device_ptrIlEESC_NS0_19identity_decomposerEEE10hipError_tT1_T2_T3_T4_jRjT5_jjP12ihipStream_tbEUlT_E_NS1_11comp_targetILNS1_3genE10ELNS1_11target_archE1200ELNS1_3gpuE4ELNS1_3repE0EEENS1_44radix_sort_block_sort_config_static_selectorELNS0_4arch9wavefront6targetE1EEEvSF_,@function
_ZN7rocprim17ROCPRIM_400000_NS6detail17trampoline_kernelINS0_13kernel_configILj256ELj4ELj4294967295EEENS1_37radix_sort_block_sort_config_selectorIilEEZNS1_21radix_sort_block_sortIS4_Lb0EPiS8_N6thrust23THRUST_200600_302600_NS10device_ptrIlEESC_NS0_19identity_decomposerEEE10hipError_tT1_T2_T3_T4_jRjT5_jjP12ihipStream_tbEUlT_E_NS1_11comp_targetILNS1_3genE10ELNS1_11target_archE1200ELNS1_3gpuE4ELNS1_3repE0EEENS1_44radix_sort_block_sort_config_static_selectorELNS0_4arch9wavefront6targetE1EEEvSF_: ; @_ZN7rocprim17ROCPRIM_400000_NS6detail17trampoline_kernelINS0_13kernel_configILj256ELj4ELj4294967295EEENS1_37radix_sort_block_sort_config_selectorIilEEZNS1_21radix_sort_block_sortIS4_Lb0EPiS8_N6thrust23THRUST_200600_302600_NS10device_ptrIlEESC_NS0_19identity_decomposerEEE10hipError_tT1_T2_T3_T4_jRjT5_jjP12ihipStream_tbEUlT_E_NS1_11comp_targetILNS1_3genE10ELNS1_11target_archE1200ELNS1_3gpuE4ELNS1_3repE0EEENS1_44radix_sort_block_sort_config_static_selectorELNS0_4arch9wavefront6targetE1EEEvSF_
; %bb.0:
	.section	.rodata,"a",@progbits
	.p2align	6, 0x0
	.amdhsa_kernel _ZN7rocprim17ROCPRIM_400000_NS6detail17trampoline_kernelINS0_13kernel_configILj256ELj4ELj4294967295EEENS1_37radix_sort_block_sort_config_selectorIilEEZNS1_21radix_sort_block_sortIS4_Lb0EPiS8_N6thrust23THRUST_200600_302600_NS10device_ptrIlEESC_NS0_19identity_decomposerEEE10hipError_tT1_T2_T3_T4_jRjT5_jjP12ihipStream_tbEUlT_E_NS1_11comp_targetILNS1_3genE10ELNS1_11target_archE1200ELNS1_3gpuE4ELNS1_3repE0EEENS1_44radix_sort_block_sort_config_static_selectorELNS0_4arch9wavefront6targetE1EEEvSF_
		.amdhsa_group_segment_fixed_size 0
		.amdhsa_private_segment_fixed_size 0
		.amdhsa_kernarg_size 48
		.amdhsa_user_sgpr_count 6
		.amdhsa_user_sgpr_private_segment_buffer 1
		.amdhsa_user_sgpr_dispatch_ptr 0
		.amdhsa_user_sgpr_queue_ptr 0
		.amdhsa_user_sgpr_kernarg_segment_ptr 1
		.amdhsa_user_sgpr_dispatch_id 0
		.amdhsa_user_sgpr_flat_scratch_init 0
		.amdhsa_user_sgpr_kernarg_preload_length 0
		.amdhsa_user_sgpr_kernarg_preload_offset 0
		.amdhsa_user_sgpr_private_segment_size 0
		.amdhsa_uses_dynamic_stack 0
		.amdhsa_system_sgpr_private_segment_wavefront_offset 0
		.amdhsa_system_sgpr_workgroup_id_x 1
		.amdhsa_system_sgpr_workgroup_id_y 0
		.amdhsa_system_sgpr_workgroup_id_z 0
		.amdhsa_system_sgpr_workgroup_info 0
		.amdhsa_system_vgpr_workitem_id 0
		.amdhsa_next_free_vgpr 1
		.amdhsa_next_free_sgpr 0
		.amdhsa_accum_offset 4
		.amdhsa_reserve_vcc 0
		.amdhsa_reserve_flat_scratch 0
		.amdhsa_float_round_mode_32 0
		.amdhsa_float_round_mode_16_64 0
		.amdhsa_float_denorm_mode_32 3
		.amdhsa_float_denorm_mode_16_64 3
		.amdhsa_dx10_clamp 1
		.amdhsa_ieee_mode 1
		.amdhsa_fp16_overflow 0
		.amdhsa_tg_split 0
		.amdhsa_exception_fp_ieee_invalid_op 0
		.amdhsa_exception_fp_denorm_src 0
		.amdhsa_exception_fp_ieee_div_zero 0
		.amdhsa_exception_fp_ieee_overflow 0
		.amdhsa_exception_fp_ieee_underflow 0
		.amdhsa_exception_fp_ieee_inexact 0
		.amdhsa_exception_int_div_zero 0
	.end_amdhsa_kernel
	.section	.text._ZN7rocprim17ROCPRIM_400000_NS6detail17trampoline_kernelINS0_13kernel_configILj256ELj4ELj4294967295EEENS1_37radix_sort_block_sort_config_selectorIilEEZNS1_21radix_sort_block_sortIS4_Lb0EPiS8_N6thrust23THRUST_200600_302600_NS10device_ptrIlEESC_NS0_19identity_decomposerEEE10hipError_tT1_T2_T3_T4_jRjT5_jjP12ihipStream_tbEUlT_E_NS1_11comp_targetILNS1_3genE10ELNS1_11target_archE1200ELNS1_3gpuE4ELNS1_3repE0EEENS1_44radix_sort_block_sort_config_static_selectorELNS0_4arch9wavefront6targetE1EEEvSF_,"axG",@progbits,_ZN7rocprim17ROCPRIM_400000_NS6detail17trampoline_kernelINS0_13kernel_configILj256ELj4ELj4294967295EEENS1_37radix_sort_block_sort_config_selectorIilEEZNS1_21radix_sort_block_sortIS4_Lb0EPiS8_N6thrust23THRUST_200600_302600_NS10device_ptrIlEESC_NS0_19identity_decomposerEEE10hipError_tT1_T2_T3_T4_jRjT5_jjP12ihipStream_tbEUlT_E_NS1_11comp_targetILNS1_3genE10ELNS1_11target_archE1200ELNS1_3gpuE4ELNS1_3repE0EEENS1_44radix_sort_block_sort_config_static_selectorELNS0_4arch9wavefront6targetE1EEEvSF_,comdat
.Lfunc_end732:
	.size	_ZN7rocprim17ROCPRIM_400000_NS6detail17trampoline_kernelINS0_13kernel_configILj256ELj4ELj4294967295EEENS1_37radix_sort_block_sort_config_selectorIilEEZNS1_21radix_sort_block_sortIS4_Lb0EPiS8_N6thrust23THRUST_200600_302600_NS10device_ptrIlEESC_NS0_19identity_decomposerEEE10hipError_tT1_T2_T3_T4_jRjT5_jjP12ihipStream_tbEUlT_E_NS1_11comp_targetILNS1_3genE10ELNS1_11target_archE1200ELNS1_3gpuE4ELNS1_3repE0EEENS1_44radix_sort_block_sort_config_static_selectorELNS0_4arch9wavefront6targetE1EEEvSF_, .Lfunc_end732-_ZN7rocprim17ROCPRIM_400000_NS6detail17trampoline_kernelINS0_13kernel_configILj256ELj4ELj4294967295EEENS1_37radix_sort_block_sort_config_selectorIilEEZNS1_21radix_sort_block_sortIS4_Lb0EPiS8_N6thrust23THRUST_200600_302600_NS10device_ptrIlEESC_NS0_19identity_decomposerEEE10hipError_tT1_T2_T3_T4_jRjT5_jjP12ihipStream_tbEUlT_E_NS1_11comp_targetILNS1_3genE10ELNS1_11target_archE1200ELNS1_3gpuE4ELNS1_3repE0EEENS1_44radix_sort_block_sort_config_static_selectorELNS0_4arch9wavefront6targetE1EEEvSF_
                                        ; -- End function
	.section	.AMDGPU.csdata,"",@progbits
; Kernel info:
; codeLenInByte = 0
; NumSgprs: 4
; NumVgprs: 0
; NumAgprs: 0
; TotalNumVgprs: 0
; ScratchSize: 0
; MemoryBound: 0
; FloatMode: 240
; IeeeMode: 1
; LDSByteSize: 0 bytes/workgroup (compile time only)
; SGPRBlocks: 0
; VGPRBlocks: 0
; NumSGPRsForWavesPerEU: 4
; NumVGPRsForWavesPerEU: 1
; AccumOffset: 4
; Occupancy: 8
; WaveLimiterHint : 0
; COMPUTE_PGM_RSRC2:SCRATCH_EN: 0
; COMPUTE_PGM_RSRC2:USER_SGPR: 6
; COMPUTE_PGM_RSRC2:TRAP_HANDLER: 0
; COMPUTE_PGM_RSRC2:TGID_X_EN: 1
; COMPUTE_PGM_RSRC2:TGID_Y_EN: 0
; COMPUTE_PGM_RSRC2:TGID_Z_EN: 0
; COMPUTE_PGM_RSRC2:TIDIG_COMP_CNT: 0
; COMPUTE_PGM_RSRC3_GFX90A:ACCUM_OFFSET: 0
; COMPUTE_PGM_RSRC3_GFX90A:TG_SPLIT: 0
	.section	.text._ZN7rocprim17ROCPRIM_400000_NS6detail17trampoline_kernelINS0_13kernel_configILj256ELj4ELj4294967295EEENS1_37radix_sort_block_sort_config_selectorIilEEZNS1_21radix_sort_block_sortIS4_Lb0EPiS8_N6thrust23THRUST_200600_302600_NS10device_ptrIlEESC_NS0_19identity_decomposerEEE10hipError_tT1_T2_T3_T4_jRjT5_jjP12ihipStream_tbEUlT_E_NS1_11comp_targetILNS1_3genE9ELNS1_11target_archE1100ELNS1_3gpuE3ELNS1_3repE0EEENS1_44radix_sort_block_sort_config_static_selectorELNS0_4arch9wavefront6targetE1EEEvSF_,"axG",@progbits,_ZN7rocprim17ROCPRIM_400000_NS6detail17trampoline_kernelINS0_13kernel_configILj256ELj4ELj4294967295EEENS1_37radix_sort_block_sort_config_selectorIilEEZNS1_21radix_sort_block_sortIS4_Lb0EPiS8_N6thrust23THRUST_200600_302600_NS10device_ptrIlEESC_NS0_19identity_decomposerEEE10hipError_tT1_T2_T3_T4_jRjT5_jjP12ihipStream_tbEUlT_E_NS1_11comp_targetILNS1_3genE9ELNS1_11target_archE1100ELNS1_3gpuE3ELNS1_3repE0EEENS1_44radix_sort_block_sort_config_static_selectorELNS0_4arch9wavefront6targetE1EEEvSF_,comdat
	.protected	_ZN7rocprim17ROCPRIM_400000_NS6detail17trampoline_kernelINS0_13kernel_configILj256ELj4ELj4294967295EEENS1_37radix_sort_block_sort_config_selectorIilEEZNS1_21radix_sort_block_sortIS4_Lb0EPiS8_N6thrust23THRUST_200600_302600_NS10device_ptrIlEESC_NS0_19identity_decomposerEEE10hipError_tT1_T2_T3_T4_jRjT5_jjP12ihipStream_tbEUlT_E_NS1_11comp_targetILNS1_3genE9ELNS1_11target_archE1100ELNS1_3gpuE3ELNS1_3repE0EEENS1_44radix_sort_block_sort_config_static_selectorELNS0_4arch9wavefront6targetE1EEEvSF_ ; -- Begin function _ZN7rocprim17ROCPRIM_400000_NS6detail17trampoline_kernelINS0_13kernel_configILj256ELj4ELj4294967295EEENS1_37radix_sort_block_sort_config_selectorIilEEZNS1_21radix_sort_block_sortIS4_Lb0EPiS8_N6thrust23THRUST_200600_302600_NS10device_ptrIlEESC_NS0_19identity_decomposerEEE10hipError_tT1_T2_T3_T4_jRjT5_jjP12ihipStream_tbEUlT_E_NS1_11comp_targetILNS1_3genE9ELNS1_11target_archE1100ELNS1_3gpuE3ELNS1_3repE0EEENS1_44radix_sort_block_sort_config_static_selectorELNS0_4arch9wavefront6targetE1EEEvSF_
	.globl	_ZN7rocprim17ROCPRIM_400000_NS6detail17trampoline_kernelINS0_13kernel_configILj256ELj4ELj4294967295EEENS1_37radix_sort_block_sort_config_selectorIilEEZNS1_21radix_sort_block_sortIS4_Lb0EPiS8_N6thrust23THRUST_200600_302600_NS10device_ptrIlEESC_NS0_19identity_decomposerEEE10hipError_tT1_T2_T3_T4_jRjT5_jjP12ihipStream_tbEUlT_E_NS1_11comp_targetILNS1_3genE9ELNS1_11target_archE1100ELNS1_3gpuE3ELNS1_3repE0EEENS1_44radix_sort_block_sort_config_static_selectorELNS0_4arch9wavefront6targetE1EEEvSF_
	.p2align	8
	.type	_ZN7rocprim17ROCPRIM_400000_NS6detail17trampoline_kernelINS0_13kernel_configILj256ELj4ELj4294967295EEENS1_37radix_sort_block_sort_config_selectorIilEEZNS1_21radix_sort_block_sortIS4_Lb0EPiS8_N6thrust23THRUST_200600_302600_NS10device_ptrIlEESC_NS0_19identity_decomposerEEE10hipError_tT1_T2_T3_T4_jRjT5_jjP12ihipStream_tbEUlT_E_NS1_11comp_targetILNS1_3genE9ELNS1_11target_archE1100ELNS1_3gpuE3ELNS1_3repE0EEENS1_44radix_sort_block_sort_config_static_selectorELNS0_4arch9wavefront6targetE1EEEvSF_,@function
_ZN7rocprim17ROCPRIM_400000_NS6detail17trampoline_kernelINS0_13kernel_configILj256ELj4ELj4294967295EEENS1_37radix_sort_block_sort_config_selectorIilEEZNS1_21radix_sort_block_sortIS4_Lb0EPiS8_N6thrust23THRUST_200600_302600_NS10device_ptrIlEESC_NS0_19identity_decomposerEEE10hipError_tT1_T2_T3_T4_jRjT5_jjP12ihipStream_tbEUlT_E_NS1_11comp_targetILNS1_3genE9ELNS1_11target_archE1100ELNS1_3gpuE3ELNS1_3repE0EEENS1_44radix_sort_block_sort_config_static_selectorELNS0_4arch9wavefront6targetE1EEEvSF_: ; @_ZN7rocprim17ROCPRIM_400000_NS6detail17trampoline_kernelINS0_13kernel_configILj256ELj4ELj4294967295EEENS1_37radix_sort_block_sort_config_selectorIilEEZNS1_21radix_sort_block_sortIS4_Lb0EPiS8_N6thrust23THRUST_200600_302600_NS10device_ptrIlEESC_NS0_19identity_decomposerEEE10hipError_tT1_T2_T3_T4_jRjT5_jjP12ihipStream_tbEUlT_E_NS1_11comp_targetILNS1_3genE9ELNS1_11target_archE1100ELNS1_3gpuE3ELNS1_3repE0EEENS1_44radix_sort_block_sort_config_static_selectorELNS0_4arch9wavefront6targetE1EEEvSF_
; %bb.0:
	.section	.rodata,"a",@progbits
	.p2align	6, 0x0
	.amdhsa_kernel _ZN7rocprim17ROCPRIM_400000_NS6detail17trampoline_kernelINS0_13kernel_configILj256ELj4ELj4294967295EEENS1_37radix_sort_block_sort_config_selectorIilEEZNS1_21radix_sort_block_sortIS4_Lb0EPiS8_N6thrust23THRUST_200600_302600_NS10device_ptrIlEESC_NS0_19identity_decomposerEEE10hipError_tT1_T2_T3_T4_jRjT5_jjP12ihipStream_tbEUlT_E_NS1_11comp_targetILNS1_3genE9ELNS1_11target_archE1100ELNS1_3gpuE3ELNS1_3repE0EEENS1_44radix_sort_block_sort_config_static_selectorELNS0_4arch9wavefront6targetE1EEEvSF_
		.amdhsa_group_segment_fixed_size 0
		.amdhsa_private_segment_fixed_size 0
		.amdhsa_kernarg_size 48
		.amdhsa_user_sgpr_count 6
		.amdhsa_user_sgpr_private_segment_buffer 1
		.amdhsa_user_sgpr_dispatch_ptr 0
		.amdhsa_user_sgpr_queue_ptr 0
		.amdhsa_user_sgpr_kernarg_segment_ptr 1
		.amdhsa_user_sgpr_dispatch_id 0
		.amdhsa_user_sgpr_flat_scratch_init 0
		.amdhsa_user_sgpr_kernarg_preload_length 0
		.amdhsa_user_sgpr_kernarg_preload_offset 0
		.amdhsa_user_sgpr_private_segment_size 0
		.amdhsa_uses_dynamic_stack 0
		.amdhsa_system_sgpr_private_segment_wavefront_offset 0
		.amdhsa_system_sgpr_workgroup_id_x 1
		.amdhsa_system_sgpr_workgroup_id_y 0
		.amdhsa_system_sgpr_workgroup_id_z 0
		.amdhsa_system_sgpr_workgroup_info 0
		.amdhsa_system_vgpr_workitem_id 0
		.amdhsa_next_free_vgpr 1
		.amdhsa_next_free_sgpr 0
		.amdhsa_accum_offset 4
		.amdhsa_reserve_vcc 0
		.amdhsa_reserve_flat_scratch 0
		.amdhsa_float_round_mode_32 0
		.amdhsa_float_round_mode_16_64 0
		.amdhsa_float_denorm_mode_32 3
		.amdhsa_float_denorm_mode_16_64 3
		.amdhsa_dx10_clamp 1
		.amdhsa_ieee_mode 1
		.amdhsa_fp16_overflow 0
		.amdhsa_tg_split 0
		.amdhsa_exception_fp_ieee_invalid_op 0
		.amdhsa_exception_fp_denorm_src 0
		.amdhsa_exception_fp_ieee_div_zero 0
		.amdhsa_exception_fp_ieee_overflow 0
		.amdhsa_exception_fp_ieee_underflow 0
		.amdhsa_exception_fp_ieee_inexact 0
		.amdhsa_exception_int_div_zero 0
	.end_amdhsa_kernel
	.section	.text._ZN7rocprim17ROCPRIM_400000_NS6detail17trampoline_kernelINS0_13kernel_configILj256ELj4ELj4294967295EEENS1_37radix_sort_block_sort_config_selectorIilEEZNS1_21radix_sort_block_sortIS4_Lb0EPiS8_N6thrust23THRUST_200600_302600_NS10device_ptrIlEESC_NS0_19identity_decomposerEEE10hipError_tT1_T2_T3_T4_jRjT5_jjP12ihipStream_tbEUlT_E_NS1_11comp_targetILNS1_3genE9ELNS1_11target_archE1100ELNS1_3gpuE3ELNS1_3repE0EEENS1_44radix_sort_block_sort_config_static_selectorELNS0_4arch9wavefront6targetE1EEEvSF_,"axG",@progbits,_ZN7rocprim17ROCPRIM_400000_NS6detail17trampoline_kernelINS0_13kernel_configILj256ELj4ELj4294967295EEENS1_37radix_sort_block_sort_config_selectorIilEEZNS1_21radix_sort_block_sortIS4_Lb0EPiS8_N6thrust23THRUST_200600_302600_NS10device_ptrIlEESC_NS0_19identity_decomposerEEE10hipError_tT1_T2_T3_T4_jRjT5_jjP12ihipStream_tbEUlT_E_NS1_11comp_targetILNS1_3genE9ELNS1_11target_archE1100ELNS1_3gpuE3ELNS1_3repE0EEENS1_44radix_sort_block_sort_config_static_selectorELNS0_4arch9wavefront6targetE1EEEvSF_,comdat
.Lfunc_end733:
	.size	_ZN7rocprim17ROCPRIM_400000_NS6detail17trampoline_kernelINS0_13kernel_configILj256ELj4ELj4294967295EEENS1_37radix_sort_block_sort_config_selectorIilEEZNS1_21radix_sort_block_sortIS4_Lb0EPiS8_N6thrust23THRUST_200600_302600_NS10device_ptrIlEESC_NS0_19identity_decomposerEEE10hipError_tT1_T2_T3_T4_jRjT5_jjP12ihipStream_tbEUlT_E_NS1_11comp_targetILNS1_3genE9ELNS1_11target_archE1100ELNS1_3gpuE3ELNS1_3repE0EEENS1_44radix_sort_block_sort_config_static_selectorELNS0_4arch9wavefront6targetE1EEEvSF_, .Lfunc_end733-_ZN7rocprim17ROCPRIM_400000_NS6detail17trampoline_kernelINS0_13kernel_configILj256ELj4ELj4294967295EEENS1_37radix_sort_block_sort_config_selectorIilEEZNS1_21radix_sort_block_sortIS4_Lb0EPiS8_N6thrust23THRUST_200600_302600_NS10device_ptrIlEESC_NS0_19identity_decomposerEEE10hipError_tT1_T2_T3_T4_jRjT5_jjP12ihipStream_tbEUlT_E_NS1_11comp_targetILNS1_3genE9ELNS1_11target_archE1100ELNS1_3gpuE3ELNS1_3repE0EEENS1_44radix_sort_block_sort_config_static_selectorELNS0_4arch9wavefront6targetE1EEEvSF_
                                        ; -- End function
	.section	.AMDGPU.csdata,"",@progbits
; Kernel info:
; codeLenInByte = 0
; NumSgprs: 4
; NumVgprs: 0
; NumAgprs: 0
; TotalNumVgprs: 0
; ScratchSize: 0
; MemoryBound: 0
; FloatMode: 240
; IeeeMode: 1
; LDSByteSize: 0 bytes/workgroup (compile time only)
; SGPRBlocks: 0
; VGPRBlocks: 0
; NumSGPRsForWavesPerEU: 4
; NumVGPRsForWavesPerEU: 1
; AccumOffset: 4
; Occupancy: 8
; WaveLimiterHint : 0
; COMPUTE_PGM_RSRC2:SCRATCH_EN: 0
; COMPUTE_PGM_RSRC2:USER_SGPR: 6
; COMPUTE_PGM_RSRC2:TRAP_HANDLER: 0
; COMPUTE_PGM_RSRC2:TGID_X_EN: 1
; COMPUTE_PGM_RSRC2:TGID_Y_EN: 0
; COMPUTE_PGM_RSRC2:TGID_Z_EN: 0
; COMPUTE_PGM_RSRC2:TIDIG_COMP_CNT: 0
; COMPUTE_PGM_RSRC3_GFX90A:ACCUM_OFFSET: 0
; COMPUTE_PGM_RSRC3_GFX90A:TG_SPLIT: 0
	.section	.text._ZN7rocprim17ROCPRIM_400000_NS6detail17trampoline_kernelINS0_13kernel_configILj256ELj4ELj4294967295EEENS1_37radix_sort_block_sort_config_selectorIilEEZNS1_21radix_sort_block_sortIS4_Lb0EPiS8_N6thrust23THRUST_200600_302600_NS10device_ptrIlEESC_NS0_19identity_decomposerEEE10hipError_tT1_T2_T3_T4_jRjT5_jjP12ihipStream_tbEUlT_E_NS1_11comp_targetILNS1_3genE8ELNS1_11target_archE1030ELNS1_3gpuE2ELNS1_3repE0EEENS1_44radix_sort_block_sort_config_static_selectorELNS0_4arch9wavefront6targetE1EEEvSF_,"axG",@progbits,_ZN7rocprim17ROCPRIM_400000_NS6detail17trampoline_kernelINS0_13kernel_configILj256ELj4ELj4294967295EEENS1_37radix_sort_block_sort_config_selectorIilEEZNS1_21radix_sort_block_sortIS4_Lb0EPiS8_N6thrust23THRUST_200600_302600_NS10device_ptrIlEESC_NS0_19identity_decomposerEEE10hipError_tT1_T2_T3_T4_jRjT5_jjP12ihipStream_tbEUlT_E_NS1_11comp_targetILNS1_3genE8ELNS1_11target_archE1030ELNS1_3gpuE2ELNS1_3repE0EEENS1_44radix_sort_block_sort_config_static_selectorELNS0_4arch9wavefront6targetE1EEEvSF_,comdat
	.protected	_ZN7rocprim17ROCPRIM_400000_NS6detail17trampoline_kernelINS0_13kernel_configILj256ELj4ELj4294967295EEENS1_37radix_sort_block_sort_config_selectorIilEEZNS1_21radix_sort_block_sortIS4_Lb0EPiS8_N6thrust23THRUST_200600_302600_NS10device_ptrIlEESC_NS0_19identity_decomposerEEE10hipError_tT1_T2_T3_T4_jRjT5_jjP12ihipStream_tbEUlT_E_NS1_11comp_targetILNS1_3genE8ELNS1_11target_archE1030ELNS1_3gpuE2ELNS1_3repE0EEENS1_44radix_sort_block_sort_config_static_selectorELNS0_4arch9wavefront6targetE1EEEvSF_ ; -- Begin function _ZN7rocprim17ROCPRIM_400000_NS6detail17trampoline_kernelINS0_13kernel_configILj256ELj4ELj4294967295EEENS1_37radix_sort_block_sort_config_selectorIilEEZNS1_21radix_sort_block_sortIS4_Lb0EPiS8_N6thrust23THRUST_200600_302600_NS10device_ptrIlEESC_NS0_19identity_decomposerEEE10hipError_tT1_T2_T3_T4_jRjT5_jjP12ihipStream_tbEUlT_E_NS1_11comp_targetILNS1_3genE8ELNS1_11target_archE1030ELNS1_3gpuE2ELNS1_3repE0EEENS1_44radix_sort_block_sort_config_static_selectorELNS0_4arch9wavefront6targetE1EEEvSF_
	.globl	_ZN7rocprim17ROCPRIM_400000_NS6detail17trampoline_kernelINS0_13kernel_configILj256ELj4ELj4294967295EEENS1_37radix_sort_block_sort_config_selectorIilEEZNS1_21radix_sort_block_sortIS4_Lb0EPiS8_N6thrust23THRUST_200600_302600_NS10device_ptrIlEESC_NS0_19identity_decomposerEEE10hipError_tT1_T2_T3_T4_jRjT5_jjP12ihipStream_tbEUlT_E_NS1_11comp_targetILNS1_3genE8ELNS1_11target_archE1030ELNS1_3gpuE2ELNS1_3repE0EEENS1_44radix_sort_block_sort_config_static_selectorELNS0_4arch9wavefront6targetE1EEEvSF_
	.p2align	8
	.type	_ZN7rocprim17ROCPRIM_400000_NS6detail17trampoline_kernelINS0_13kernel_configILj256ELj4ELj4294967295EEENS1_37radix_sort_block_sort_config_selectorIilEEZNS1_21radix_sort_block_sortIS4_Lb0EPiS8_N6thrust23THRUST_200600_302600_NS10device_ptrIlEESC_NS0_19identity_decomposerEEE10hipError_tT1_T2_T3_T4_jRjT5_jjP12ihipStream_tbEUlT_E_NS1_11comp_targetILNS1_3genE8ELNS1_11target_archE1030ELNS1_3gpuE2ELNS1_3repE0EEENS1_44radix_sort_block_sort_config_static_selectorELNS0_4arch9wavefront6targetE1EEEvSF_,@function
_ZN7rocprim17ROCPRIM_400000_NS6detail17trampoline_kernelINS0_13kernel_configILj256ELj4ELj4294967295EEENS1_37radix_sort_block_sort_config_selectorIilEEZNS1_21radix_sort_block_sortIS4_Lb0EPiS8_N6thrust23THRUST_200600_302600_NS10device_ptrIlEESC_NS0_19identity_decomposerEEE10hipError_tT1_T2_T3_T4_jRjT5_jjP12ihipStream_tbEUlT_E_NS1_11comp_targetILNS1_3genE8ELNS1_11target_archE1030ELNS1_3gpuE2ELNS1_3repE0EEENS1_44radix_sort_block_sort_config_static_selectorELNS0_4arch9wavefront6targetE1EEEvSF_: ; @_ZN7rocprim17ROCPRIM_400000_NS6detail17trampoline_kernelINS0_13kernel_configILj256ELj4ELj4294967295EEENS1_37radix_sort_block_sort_config_selectorIilEEZNS1_21radix_sort_block_sortIS4_Lb0EPiS8_N6thrust23THRUST_200600_302600_NS10device_ptrIlEESC_NS0_19identity_decomposerEEE10hipError_tT1_T2_T3_T4_jRjT5_jjP12ihipStream_tbEUlT_E_NS1_11comp_targetILNS1_3genE8ELNS1_11target_archE1030ELNS1_3gpuE2ELNS1_3repE0EEENS1_44radix_sort_block_sort_config_static_selectorELNS0_4arch9wavefront6targetE1EEEvSF_
; %bb.0:
	.section	.rodata,"a",@progbits
	.p2align	6, 0x0
	.amdhsa_kernel _ZN7rocprim17ROCPRIM_400000_NS6detail17trampoline_kernelINS0_13kernel_configILj256ELj4ELj4294967295EEENS1_37radix_sort_block_sort_config_selectorIilEEZNS1_21radix_sort_block_sortIS4_Lb0EPiS8_N6thrust23THRUST_200600_302600_NS10device_ptrIlEESC_NS0_19identity_decomposerEEE10hipError_tT1_T2_T3_T4_jRjT5_jjP12ihipStream_tbEUlT_E_NS1_11comp_targetILNS1_3genE8ELNS1_11target_archE1030ELNS1_3gpuE2ELNS1_3repE0EEENS1_44radix_sort_block_sort_config_static_selectorELNS0_4arch9wavefront6targetE1EEEvSF_
		.amdhsa_group_segment_fixed_size 0
		.amdhsa_private_segment_fixed_size 0
		.amdhsa_kernarg_size 48
		.amdhsa_user_sgpr_count 6
		.amdhsa_user_sgpr_private_segment_buffer 1
		.amdhsa_user_sgpr_dispatch_ptr 0
		.amdhsa_user_sgpr_queue_ptr 0
		.amdhsa_user_sgpr_kernarg_segment_ptr 1
		.amdhsa_user_sgpr_dispatch_id 0
		.amdhsa_user_sgpr_flat_scratch_init 0
		.amdhsa_user_sgpr_kernarg_preload_length 0
		.amdhsa_user_sgpr_kernarg_preload_offset 0
		.amdhsa_user_sgpr_private_segment_size 0
		.amdhsa_uses_dynamic_stack 0
		.amdhsa_system_sgpr_private_segment_wavefront_offset 0
		.amdhsa_system_sgpr_workgroup_id_x 1
		.amdhsa_system_sgpr_workgroup_id_y 0
		.amdhsa_system_sgpr_workgroup_id_z 0
		.amdhsa_system_sgpr_workgroup_info 0
		.amdhsa_system_vgpr_workitem_id 0
		.amdhsa_next_free_vgpr 1
		.amdhsa_next_free_sgpr 0
		.amdhsa_accum_offset 4
		.amdhsa_reserve_vcc 0
		.amdhsa_reserve_flat_scratch 0
		.amdhsa_float_round_mode_32 0
		.amdhsa_float_round_mode_16_64 0
		.amdhsa_float_denorm_mode_32 3
		.amdhsa_float_denorm_mode_16_64 3
		.amdhsa_dx10_clamp 1
		.amdhsa_ieee_mode 1
		.amdhsa_fp16_overflow 0
		.amdhsa_tg_split 0
		.amdhsa_exception_fp_ieee_invalid_op 0
		.amdhsa_exception_fp_denorm_src 0
		.amdhsa_exception_fp_ieee_div_zero 0
		.amdhsa_exception_fp_ieee_overflow 0
		.amdhsa_exception_fp_ieee_underflow 0
		.amdhsa_exception_fp_ieee_inexact 0
		.amdhsa_exception_int_div_zero 0
	.end_amdhsa_kernel
	.section	.text._ZN7rocprim17ROCPRIM_400000_NS6detail17trampoline_kernelINS0_13kernel_configILj256ELj4ELj4294967295EEENS1_37radix_sort_block_sort_config_selectorIilEEZNS1_21radix_sort_block_sortIS4_Lb0EPiS8_N6thrust23THRUST_200600_302600_NS10device_ptrIlEESC_NS0_19identity_decomposerEEE10hipError_tT1_T2_T3_T4_jRjT5_jjP12ihipStream_tbEUlT_E_NS1_11comp_targetILNS1_3genE8ELNS1_11target_archE1030ELNS1_3gpuE2ELNS1_3repE0EEENS1_44radix_sort_block_sort_config_static_selectorELNS0_4arch9wavefront6targetE1EEEvSF_,"axG",@progbits,_ZN7rocprim17ROCPRIM_400000_NS6detail17trampoline_kernelINS0_13kernel_configILj256ELj4ELj4294967295EEENS1_37radix_sort_block_sort_config_selectorIilEEZNS1_21radix_sort_block_sortIS4_Lb0EPiS8_N6thrust23THRUST_200600_302600_NS10device_ptrIlEESC_NS0_19identity_decomposerEEE10hipError_tT1_T2_T3_T4_jRjT5_jjP12ihipStream_tbEUlT_E_NS1_11comp_targetILNS1_3genE8ELNS1_11target_archE1030ELNS1_3gpuE2ELNS1_3repE0EEENS1_44radix_sort_block_sort_config_static_selectorELNS0_4arch9wavefront6targetE1EEEvSF_,comdat
.Lfunc_end734:
	.size	_ZN7rocprim17ROCPRIM_400000_NS6detail17trampoline_kernelINS0_13kernel_configILj256ELj4ELj4294967295EEENS1_37radix_sort_block_sort_config_selectorIilEEZNS1_21radix_sort_block_sortIS4_Lb0EPiS8_N6thrust23THRUST_200600_302600_NS10device_ptrIlEESC_NS0_19identity_decomposerEEE10hipError_tT1_T2_T3_T4_jRjT5_jjP12ihipStream_tbEUlT_E_NS1_11comp_targetILNS1_3genE8ELNS1_11target_archE1030ELNS1_3gpuE2ELNS1_3repE0EEENS1_44radix_sort_block_sort_config_static_selectorELNS0_4arch9wavefront6targetE1EEEvSF_, .Lfunc_end734-_ZN7rocprim17ROCPRIM_400000_NS6detail17trampoline_kernelINS0_13kernel_configILj256ELj4ELj4294967295EEENS1_37radix_sort_block_sort_config_selectorIilEEZNS1_21radix_sort_block_sortIS4_Lb0EPiS8_N6thrust23THRUST_200600_302600_NS10device_ptrIlEESC_NS0_19identity_decomposerEEE10hipError_tT1_T2_T3_T4_jRjT5_jjP12ihipStream_tbEUlT_E_NS1_11comp_targetILNS1_3genE8ELNS1_11target_archE1030ELNS1_3gpuE2ELNS1_3repE0EEENS1_44radix_sort_block_sort_config_static_selectorELNS0_4arch9wavefront6targetE1EEEvSF_
                                        ; -- End function
	.section	.AMDGPU.csdata,"",@progbits
; Kernel info:
; codeLenInByte = 0
; NumSgprs: 4
; NumVgprs: 0
; NumAgprs: 0
; TotalNumVgprs: 0
; ScratchSize: 0
; MemoryBound: 0
; FloatMode: 240
; IeeeMode: 1
; LDSByteSize: 0 bytes/workgroup (compile time only)
; SGPRBlocks: 0
; VGPRBlocks: 0
; NumSGPRsForWavesPerEU: 4
; NumVGPRsForWavesPerEU: 1
; AccumOffset: 4
; Occupancy: 8
; WaveLimiterHint : 0
; COMPUTE_PGM_RSRC2:SCRATCH_EN: 0
; COMPUTE_PGM_RSRC2:USER_SGPR: 6
; COMPUTE_PGM_RSRC2:TRAP_HANDLER: 0
; COMPUTE_PGM_RSRC2:TGID_X_EN: 1
; COMPUTE_PGM_RSRC2:TGID_Y_EN: 0
; COMPUTE_PGM_RSRC2:TGID_Z_EN: 0
; COMPUTE_PGM_RSRC2:TIDIG_COMP_CNT: 0
; COMPUTE_PGM_RSRC3_GFX90A:ACCUM_OFFSET: 0
; COMPUTE_PGM_RSRC3_GFX90A:TG_SPLIT: 0
	.section	.text._ZN7rocprim17ROCPRIM_400000_NS6detail44device_merge_sort_compile_time_verifier_archINS1_11comp_targetILNS1_3genE0ELNS1_11target_archE4294967295ELNS1_3gpuE0ELNS1_3repE0EEES8_NS1_28merge_sort_block_sort_configILj256ELj4ELNS0_20block_sort_algorithmE0EEENS0_14default_configENS1_37merge_sort_block_sort_config_selectorIilEENS1_38merge_sort_block_merge_config_selectorIilEEEEvv,"axG",@progbits,_ZN7rocprim17ROCPRIM_400000_NS6detail44device_merge_sort_compile_time_verifier_archINS1_11comp_targetILNS1_3genE0ELNS1_11target_archE4294967295ELNS1_3gpuE0ELNS1_3repE0EEES8_NS1_28merge_sort_block_sort_configILj256ELj4ELNS0_20block_sort_algorithmE0EEENS0_14default_configENS1_37merge_sort_block_sort_config_selectorIilEENS1_38merge_sort_block_merge_config_selectorIilEEEEvv,comdat
	.protected	_ZN7rocprim17ROCPRIM_400000_NS6detail44device_merge_sort_compile_time_verifier_archINS1_11comp_targetILNS1_3genE0ELNS1_11target_archE4294967295ELNS1_3gpuE0ELNS1_3repE0EEES8_NS1_28merge_sort_block_sort_configILj256ELj4ELNS0_20block_sort_algorithmE0EEENS0_14default_configENS1_37merge_sort_block_sort_config_selectorIilEENS1_38merge_sort_block_merge_config_selectorIilEEEEvv ; -- Begin function _ZN7rocprim17ROCPRIM_400000_NS6detail44device_merge_sort_compile_time_verifier_archINS1_11comp_targetILNS1_3genE0ELNS1_11target_archE4294967295ELNS1_3gpuE0ELNS1_3repE0EEES8_NS1_28merge_sort_block_sort_configILj256ELj4ELNS0_20block_sort_algorithmE0EEENS0_14default_configENS1_37merge_sort_block_sort_config_selectorIilEENS1_38merge_sort_block_merge_config_selectorIilEEEEvv
	.globl	_ZN7rocprim17ROCPRIM_400000_NS6detail44device_merge_sort_compile_time_verifier_archINS1_11comp_targetILNS1_3genE0ELNS1_11target_archE4294967295ELNS1_3gpuE0ELNS1_3repE0EEES8_NS1_28merge_sort_block_sort_configILj256ELj4ELNS0_20block_sort_algorithmE0EEENS0_14default_configENS1_37merge_sort_block_sort_config_selectorIilEENS1_38merge_sort_block_merge_config_selectorIilEEEEvv
	.p2align	8
	.type	_ZN7rocprim17ROCPRIM_400000_NS6detail44device_merge_sort_compile_time_verifier_archINS1_11comp_targetILNS1_3genE0ELNS1_11target_archE4294967295ELNS1_3gpuE0ELNS1_3repE0EEES8_NS1_28merge_sort_block_sort_configILj256ELj4ELNS0_20block_sort_algorithmE0EEENS0_14default_configENS1_37merge_sort_block_sort_config_selectorIilEENS1_38merge_sort_block_merge_config_selectorIilEEEEvv,@function
_ZN7rocprim17ROCPRIM_400000_NS6detail44device_merge_sort_compile_time_verifier_archINS1_11comp_targetILNS1_3genE0ELNS1_11target_archE4294967295ELNS1_3gpuE0ELNS1_3repE0EEES8_NS1_28merge_sort_block_sort_configILj256ELj4ELNS0_20block_sort_algorithmE0EEENS0_14default_configENS1_37merge_sort_block_sort_config_selectorIilEENS1_38merge_sort_block_merge_config_selectorIilEEEEvv: ; @_ZN7rocprim17ROCPRIM_400000_NS6detail44device_merge_sort_compile_time_verifier_archINS1_11comp_targetILNS1_3genE0ELNS1_11target_archE4294967295ELNS1_3gpuE0ELNS1_3repE0EEES8_NS1_28merge_sort_block_sort_configILj256ELj4ELNS0_20block_sort_algorithmE0EEENS0_14default_configENS1_37merge_sort_block_sort_config_selectorIilEENS1_38merge_sort_block_merge_config_selectorIilEEEEvv
; %bb.0:
	s_endpgm
	.section	.rodata,"a",@progbits
	.p2align	6, 0x0
	.amdhsa_kernel _ZN7rocprim17ROCPRIM_400000_NS6detail44device_merge_sort_compile_time_verifier_archINS1_11comp_targetILNS1_3genE0ELNS1_11target_archE4294967295ELNS1_3gpuE0ELNS1_3repE0EEES8_NS1_28merge_sort_block_sort_configILj256ELj4ELNS0_20block_sort_algorithmE0EEENS0_14default_configENS1_37merge_sort_block_sort_config_selectorIilEENS1_38merge_sort_block_merge_config_selectorIilEEEEvv
		.amdhsa_group_segment_fixed_size 0
		.amdhsa_private_segment_fixed_size 0
		.amdhsa_kernarg_size 0
		.amdhsa_user_sgpr_count 4
		.amdhsa_user_sgpr_private_segment_buffer 1
		.amdhsa_user_sgpr_dispatch_ptr 0
		.amdhsa_user_sgpr_queue_ptr 0
		.amdhsa_user_sgpr_kernarg_segment_ptr 0
		.amdhsa_user_sgpr_dispatch_id 0
		.amdhsa_user_sgpr_flat_scratch_init 0
		.amdhsa_user_sgpr_kernarg_preload_length 0
		.amdhsa_user_sgpr_kernarg_preload_offset 0
		.amdhsa_user_sgpr_private_segment_size 0
		.amdhsa_uses_dynamic_stack 0
		.amdhsa_system_sgpr_private_segment_wavefront_offset 0
		.amdhsa_system_sgpr_workgroup_id_x 1
		.amdhsa_system_sgpr_workgroup_id_y 0
		.amdhsa_system_sgpr_workgroup_id_z 0
		.amdhsa_system_sgpr_workgroup_info 0
		.amdhsa_system_vgpr_workitem_id 0
		.amdhsa_next_free_vgpr 1
		.amdhsa_next_free_sgpr 0
		.amdhsa_accum_offset 4
		.amdhsa_reserve_vcc 0
		.amdhsa_reserve_flat_scratch 0
		.amdhsa_float_round_mode_32 0
		.amdhsa_float_round_mode_16_64 0
		.amdhsa_float_denorm_mode_32 3
		.amdhsa_float_denorm_mode_16_64 3
		.amdhsa_dx10_clamp 1
		.amdhsa_ieee_mode 1
		.amdhsa_fp16_overflow 0
		.amdhsa_tg_split 0
		.amdhsa_exception_fp_ieee_invalid_op 0
		.amdhsa_exception_fp_denorm_src 0
		.amdhsa_exception_fp_ieee_div_zero 0
		.amdhsa_exception_fp_ieee_overflow 0
		.amdhsa_exception_fp_ieee_underflow 0
		.amdhsa_exception_fp_ieee_inexact 0
		.amdhsa_exception_int_div_zero 0
	.end_amdhsa_kernel
	.section	.text._ZN7rocprim17ROCPRIM_400000_NS6detail44device_merge_sort_compile_time_verifier_archINS1_11comp_targetILNS1_3genE0ELNS1_11target_archE4294967295ELNS1_3gpuE0ELNS1_3repE0EEES8_NS1_28merge_sort_block_sort_configILj256ELj4ELNS0_20block_sort_algorithmE0EEENS0_14default_configENS1_37merge_sort_block_sort_config_selectorIilEENS1_38merge_sort_block_merge_config_selectorIilEEEEvv,"axG",@progbits,_ZN7rocprim17ROCPRIM_400000_NS6detail44device_merge_sort_compile_time_verifier_archINS1_11comp_targetILNS1_3genE0ELNS1_11target_archE4294967295ELNS1_3gpuE0ELNS1_3repE0EEES8_NS1_28merge_sort_block_sort_configILj256ELj4ELNS0_20block_sort_algorithmE0EEENS0_14default_configENS1_37merge_sort_block_sort_config_selectorIilEENS1_38merge_sort_block_merge_config_selectorIilEEEEvv,comdat
.Lfunc_end735:
	.size	_ZN7rocprim17ROCPRIM_400000_NS6detail44device_merge_sort_compile_time_verifier_archINS1_11comp_targetILNS1_3genE0ELNS1_11target_archE4294967295ELNS1_3gpuE0ELNS1_3repE0EEES8_NS1_28merge_sort_block_sort_configILj256ELj4ELNS0_20block_sort_algorithmE0EEENS0_14default_configENS1_37merge_sort_block_sort_config_selectorIilEENS1_38merge_sort_block_merge_config_selectorIilEEEEvv, .Lfunc_end735-_ZN7rocprim17ROCPRIM_400000_NS6detail44device_merge_sort_compile_time_verifier_archINS1_11comp_targetILNS1_3genE0ELNS1_11target_archE4294967295ELNS1_3gpuE0ELNS1_3repE0EEES8_NS1_28merge_sort_block_sort_configILj256ELj4ELNS0_20block_sort_algorithmE0EEENS0_14default_configENS1_37merge_sort_block_sort_config_selectorIilEENS1_38merge_sort_block_merge_config_selectorIilEEEEvv
                                        ; -- End function
	.section	.AMDGPU.csdata,"",@progbits
; Kernel info:
; codeLenInByte = 4
; NumSgprs: 4
; NumVgprs: 0
; NumAgprs: 0
; TotalNumVgprs: 0
; ScratchSize: 0
; MemoryBound: 0
; FloatMode: 240
; IeeeMode: 1
; LDSByteSize: 0 bytes/workgroup (compile time only)
; SGPRBlocks: 0
; VGPRBlocks: 0
; NumSGPRsForWavesPerEU: 4
; NumVGPRsForWavesPerEU: 1
; AccumOffset: 4
; Occupancy: 8
; WaveLimiterHint : 0
; COMPUTE_PGM_RSRC2:SCRATCH_EN: 0
; COMPUTE_PGM_RSRC2:USER_SGPR: 4
; COMPUTE_PGM_RSRC2:TRAP_HANDLER: 0
; COMPUTE_PGM_RSRC2:TGID_X_EN: 1
; COMPUTE_PGM_RSRC2:TGID_Y_EN: 0
; COMPUTE_PGM_RSRC2:TGID_Z_EN: 0
; COMPUTE_PGM_RSRC2:TIDIG_COMP_CNT: 0
; COMPUTE_PGM_RSRC3_GFX90A:ACCUM_OFFSET: 0
; COMPUTE_PGM_RSRC3_GFX90A:TG_SPLIT: 0
	.section	.text._ZN7rocprim17ROCPRIM_400000_NS6detail44device_merge_sort_compile_time_verifier_archINS1_11comp_targetILNS1_3genE5ELNS1_11target_archE942ELNS1_3gpuE9ELNS1_3repE0EEES8_NS1_28merge_sort_block_sort_configILj256ELj4ELNS0_20block_sort_algorithmE0EEENS0_14default_configENS1_37merge_sort_block_sort_config_selectorIilEENS1_38merge_sort_block_merge_config_selectorIilEEEEvv,"axG",@progbits,_ZN7rocprim17ROCPRIM_400000_NS6detail44device_merge_sort_compile_time_verifier_archINS1_11comp_targetILNS1_3genE5ELNS1_11target_archE942ELNS1_3gpuE9ELNS1_3repE0EEES8_NS1_28merge_sort_block_sort_configILj256ELj4ELNS0_20block_sort_algorithmE0EEENS0_14default_configENS1_37merge_sort_block_sort_config_selectorIilEENS1_38merge_sort_block_merge_config_selectorIilEEEEvv,comdat
	.protected	_ZN7rocprim17ROCPRIM_400000_NS6detail44device_merge_sort_compile_time_verifier_archINS1_11comp_targetILNS1_3genE5ELNS1_11target_archE942ELNS1_3gpuE9ELNS1_3repE0EEES8_NS1_28merge_sort_block_sort_configILj256ELj4ELNS0_20block_sort_algorithmE0EEENS0_14default_configENS1_37merge_sort_block_sort_config_selectorIilEENS1_38merge_sort_block_merge_config_selectorIilEEEEvv ; -- Begin function _ZN7rocprim17ROCPRIM_400000_NS6detail44device_merge_sort_compile_time_verifier_archINS1_11comp_targetILNS1_3genE5ELNS1_11target_archE942ELNS1_3gpuE9ELNS1_3repE0EEES8_NS1_28merge_sort_block_sort_configILj256ELj4ELNS0_20block_sort_algorithmE0EEENS0_14default_configENS1_37merge_sort_block_sort_config_selectorIilEENS1_38merge_sort_block_merge_config_selectorIilEEEEvv
	.globl	_ZN7rocprim17ROCPRIM_400000_NS6detail44device_merge_sort_compile_time_verifier_archINS1_11comp_targetILNS1_3genE5ELNS1_11target_archE942ELNS1_3gpuE9ELNS1_3repE0EEES8_NS1_28merge_sort_block_sort_configILj256ELj4ELNS0_20block_sort_algorithmE0EEENS0_14default_configENS1_37merge_sort_block_sort_config_selectorIilEENS1_38merge_sort_block_merge_config_selectorIilEEEEvv
	.p2align	8
	.type	_ZN7rocprim17ROCPRIM_400000_NS6detail44device_merge_sort_compile_time_verifier_archINS1_11comp_targetILNS1_3genE5ELNS1_11target_archE942ELNS1_3gpuE9ELNS1_3repE0EEES8_NS1_28merge_sort_block_sort_configILj256ELj4ELNS0_20block_sort_algorithmE0EEENS0_14default_configENS1_37merge_sort_block_sort_config_selectorIilEENS1_38merge_sort_block_merge_config_selectorIilEEEEvv,@function
_ZN7rocprim17ROCPRIM_400000_NS6detail44device_merge_sort_compile_time_verifier_archINS1_11comp_targetILNS1_3genE5ELNS1_11target_archE942ELNS1_3gpuE9ELNS1_3repE0EEES8_NS1_28merge_sort_block_sort_configILj256ELj4ELNS0_20block_sort_algorithmE0EEENS0_14default_configENS1_37merge_sort_block_sort_config_selectorIilEENS1_38merge_sort_block_merge_config_selectorIilEEEEvv: ; @_ZN7rocprim17ROCPRIM_400000_NS6detail44device_merge_sort_compile_time_verifier_archINS1_11comp_targetILNS1_3genE5ELNS1_11target_archE942ELNS1_3gpuE9ELNS1_3repE0EEES8_NS1_28merge_sort_block_sort_configILj256ELj4ELNS0_20block_sort_algorithmE0EEENS0_14default_configENS1_37merge_sort_block_sort_config_selectorIilEENS1_38merge_sort_block_merge_config_selectorIilEEEEvv
; %bb.0:
	s_endpgm
	.section	.rodata,"a",@progbits
	.p2align	6, 0x0
	.amdhsa_kernel _ZN7rocprim17ROCPRIM_400000_NS6detail44device_merge_sort_compile_time_verifier_archINS1_11comp_targetILNS1_3genE5ELNS1_11target_archE942ELNS1_3gpuE9ELNS1_3repE0EEES8_NS1_28merge_sort_block_sort_configILj256ELj4ELNS0_20block_sort_algorithmE0EEENS0_14default_configENS1_37merge_sort_block_sort_config_selectorIilEENS1_38merge_sort_block_merge_config_selectorIilEEEEvv
		.amdhsa_group_segment_fixed_size 0
		.amdhsa_private_segment_fixed_size 0
		.amdhsa_kernarg_size 0
		.amdhsa_user_sgpr_count 4
		.amdhsa_user_sgpr_private_segment_buffer 1
		.amdhsa_user_sgpr_dispatch_ptr 0
		.amdhsa_user_sgpr_queue_ptr 0
		.amdhsa_user_sgpr_kernarg_segment_ptr 0
		.amdhsa_user_sgpr_dispatch_id 0
		.amdhsa_user_sgpr_flat_scratch_init 0
		.amdhsa_user_sgpr_kernarg_preload_length 0
		.amdhsa_user_sgpr_kernarg_preload_offset 0
		.amdhsa_user_sgpr_private_segment_size 0
		.amdhsa_uses_dynamic_stack 0
		.amdhsa_system_sgpr_private_segment_wavefront_offset 0
		.amdhsa_system_sgpr_workgroup_id_x 1
		.amdhsa_system_sgpr_workgroup_id_y 0
		.amdhsa_system_sgpr_workgroup_id_z 0
		.amdhsa_system_sgpr_workgroup_info 0
		.amdhsa_system_vgpr_workitem_id 0
		.amdhsa_next_free_vgpr 1
		.amdhsa_next_free_sgpr 0
		.amdhsa_accum_offset 4
		.amdhsa_reserve_vcc 0
		.amdhsa_reserve_flat_scratch 0
		.amdhsa_float_round_mode_32 0
		.amdhsa_float_round_mode_16_64 0
		.amdhsa_float_denorm_mode_32 3
		.amdhsa_float_denorm_mode_16_64 3
		.amdhsa_dx10_clamp 1
		.amdhsa_ieee_mode 1
		.amdhsa_fp16_overflow 0
		.amdhsa_tg_split 0
		.amdhsa_exception_fp_ieee_invalid_op 0
		.amdhsa_exception_fp_denorm_src 0
		.amdhsa_exception_fp_ieee_div_zero 0
		.amdhsa_exception_fp_ieee_overflow 0
		.amdhsa_exception_fp_ieee_underflow 0
		.amdhsa_exception_fp_ieee_inexact 0
		.amdhsa_exception_int_div_zero 0
	.end_amdhsa_kernel
	.section	.text._ZN7rocprim17ROCPRIM_400000_NS6detail44device_merge_sort_compile_time_verifier_archINS1_11comp_targetILNS1_3genE5ELNS1_11target_archE942ELNS1_3gpuE9ELNS1_3repE0EEES8_NS1_28merge_sort_block_sort_configILj256ELj4ELNS0_20block_sort_algorithmE0EEENS0_14default_configENS1_37merge_sort_block_sort_config_selectorIilEENS1_38merge_sort_block_merge_config_selectorIilEEEEvv,"axG",@progbits,_ZN7rocprim17ROCPRIM_400000_NS6detail44device_merge_sort_compile_time_verifier_archINS1_11comp_targetILNS1_3genE5ELNS1_11target_archE942ELNS1_3gpuE9ELNS1_3repE0EEES8_NS1_28merge_sort_block_sort_configILj256ELj4ELNS0_20block_sort_algorithmE0EEENS0_14default_configENS1_37merge_sort_block_sort_config_selectorIilEENS1_38merge_sort_block_merge_config_selectorIilEEEEvv,comdat
.Lfunc_end736:
	.size	_ZN7rocprim17ROCPRIM_400000_NS6detail44device_merge_sort_compile_time_verifier_archINS1_11comp_targetILNS1_3genE5ELNS1_11target_archE942ELNS1_3gpuE9ELNS1_3repE0EEES8_NS1_28merge_sort_block_sort_configILj256ELj4ELNS0_20block_sort_algorithmE0EEENS0_14default_configENS1_37merge_sort_block_sort_config_selectorIilEENS1_38merge_sort_block_merge_config_selectorIilEEEEvv, .Lfunc_end736-_ZN7rocprim17ROCPRIM_400000_NS6detail44device_merge_sort_compile_time_verifier_archINS1_11comp_targetILNS1_3genE5ELNS1_11target_archE942ELNS1_3gpuE9ELNS1_3repE0EEES8_NS1_28merge_sort_block_sort_configILj256ELj4ELNS0_20block_sort_algorithmE0EEENS0_14default_configENS1_37merge_sort_block_sort_config_selectorIilEENS1_38merge_sort_block_merge_config_selectorIilEEEEvv
                                        ; -- End function
	.section	.AMDGPU.csdata,"",@progbits
; Kernel info:
; codeLenInByte = 4
; NumSgprs: 4
; NumVgprs: 0
; NumAgprs: 0
; TotalNumVgprs: 0
; ScratchSize: 0
; MemoryBound: 0
; FloatMode: 240
; IeeeMode: 1
; LDSByteSize: 0 bytes/workgroup (compile time only)
; SGPRBlocks: 0
; VGPRBlocks: 0
; NumSGPRsForWavesPerEU: 4
; NumVGPRsForWavesPerEU: 1
; AccumOffset: 4
; Occupancy: 8
; WaveLimiterHint : 0
; COMPUTE_PGM_RSRC2:SCRATCH_EN: 0
; COMPUTE_PGM_RSRC2:USER_SGPR: 4
; COMPUTE_PGM_RSRC2:TRAP_HANDLER: 0
; COMPUTE_PGM_RSRC2:TGID_X_EN: 1
; COMPUTE_PGM_RSRC2:TGID_Y_EN: 0
; COMPUTE_PGM_RSRC2:TGID_Z_EN: 0
; COMPUTE_PGM_RSRC2:TIDIG_COMP_CNT: 0
; COMPUTE_PGM_RSRC3_GFX90A:ACCUM_OFFSET: 0
; COMPUTE_PGM_RSRC3_GFX90A:TG_SPLIT: 0
	.section	.text._ZN7rocprim17ROCPRIM_400000_NS6detail44device_merge_sort_compile_time_verifier_archINS1_11comp_targetILNS1_3genE4ELNS1_11target_archE910ELNS1_3gpuE8ELNS1_3repE0EEES8_NS1_28merge_sort_block_sort_configILj256ELj4ELNS0_20block_sort_algorithmE0EEENS0_14default_configENS1_37merge_sort_block_sort_config_selectorIilEENS1_38merge_sort_block_merge_config_selectorIilEEEEvv,"axG",@progbits,_ZN7rocprim17ROCPRIM_400000_NS6detail44device_merge_sort_compile_time_verifier_archINS1_11comp_targetILNS1_3genE4ELNS1_11target_archE910ELNS1_3gpuE8ELNS1_3repE0EEES8_NS1_28merge_sort_block_sort_configILj256ELj4ELNS0_20block_sort_algorithmE0EEENS0_14default_configENS1_37merge_sort_block_sort_config_selectorIilEENS1_38merge_sort_block_merge_config_selectorIilEEEEvv,comdat
	.protected	_ZN7rocprim17ROCPRIM_400000_NS6detail44device_merge_sort_compile_time_verifier_archINS1_11comp_targetILNS1_3genE4ELNS1_11target_archE910ELNS1_3gpuE8ELNS1_3repE0EEES8_NS1_28merge_sort_block_sort_configILj256ELj4ELNS0_20block_sort_algorithmE0EEENS0_14default_configENS1_37merge_sort_block_sort_config_selectorIilEENS1_38merge_sort_block_merge_config_selectorIilEEEEvv ; -- Begin function _ZN7rocprim17ROCPRIM_400000_NS6detail44device_merge_sort_compile_time_verifier_archINS1_11comp_targetILNS1_3genE4ELNS1_11target_archE910ELNS1_3gpuE8ELNS1_3repE0EEES8_NS1_28merge_sort_block_sort_configILj256ELj4ELNS0_20block_sort_algorithmE0EEENS0_14default_configENS1_37merge_sort_block_sort_config_selectorIilEENS1_38merge_sort_block_merge_config_selectorIilEEEEvv
	.globl	_ZN7rocprim17ROCPRIM_400000_NS6detail44device_merge_sort_compile_time_verifier_archINS1_11comp_targetILNS1_3genE4ELNS1_11target_archE910ELNS1_3gpuE8ELNS1_3repE0EEES8_NS1_28merge_sort_block_sort_configILj256ELj4ELNS0_20block_sort_algorithmE0EEENS0_14default_configENS1_37merge_sort_block_sort_config_selectorIilEENS1_38merge_sort_block_merge_config_selectorIilEEEEvv
	.p2align	8
	.type	_ZN7rocprim17ROCPRIM_400000_NS6detail44device_merge_sort_compile_time_verifier_archINS1_11comp_targetILNS1_3genE4ELNS1_11target_archE910ELNS1_3gpuE8ELNS1_3repE0EEES8_NS1_28merge_sort_block_sort_configILj256ELj4ELNS0_20block_sort_algorithmE0EEENS0_14default_configENS1_37merge_sort_block_sort_config_selectorIilEENS1_38merge_sort_block_merge_config_selectorIilEEEEvv,@function
_ZN7rocprim17ROCPRIM_400000_NS6detail44device_merge_sort_compile_time_verifier_archINS1_11comp_targetILNS1_3genE4ELNS1_11target_archE910ELNS1_3gpuE8ELNS1_3repE0EEES8_NS1_28merge_sort_block_sort_configILj256ELj4ELNS0_20block_sort_algorithmE0EEENS0_14default_configENS1_37merge_sort_block_sort_config_selectorIilEENS1_38merge_sort_block_merge_config_selectorIilEEEEvv: ; @_ZN7rocprim17ROCPRIM_400000_NS6detail44device_merge_sort_compile_time_verifier_archINS1_11comp_targetILNS1_3genE4ELNS1_11target_archE910ELNS1_3gpuE8ELNS1_3repE0EEES8_NS1_28merge_sort_block_sort_configILj256ELj4ELNS0_20block_sort_algorithmE0EEENS0_14default_configENS1_37merge_sort_block_sort_config_selectorIilEENS1_38merge_sort_block_merge_config_selectorIilEEEEvv
; %bb.0:
	s_endpgm
	.section	.rodata,"a",@progbits
	.p2align	6, 0x0
	.amdhsa_kernel _ZN7rocprim17ROCPRIM_400000_NS6detail44device_merge_sort_compile_time_verifier_archINS1_11comp_targetILNS1_3genE4ELNS1_11target_archE910ELNS1_3gpuE8ELNS1_3repE0EEES8_NS1_28merge_sort_block_sort_configILj256ELj4ELNS0_20block_sort_algorithmE0EEENS0_14default_configENS1_37merge_sort_block_sort_config_selectorIilEENS1_38merge_sort_block_merge_config_selectorIilEEEEvv
		.amdhsa_group_segment_fixed_size 0
		.amdhsa_private_segment_fixed_size 0
		.amdhsa_kernarg_size 0
		.amdhsa_user_sgpr_count 4
		.amdhsa_user_sgpr_private_segment_buffer 1
		.amdhsa_user_sgpr_dispatch_ptr 0
		.amdhsa_user_sgpr_queue_ptr 0
		.amdhsa_user_sgpr_kernarg_segment_ptr 0
		.amdhsa_user_sgpr_dispatch_id 0
		.amdhsa_user_sgpr_flat_scratch_init 0
		.amdhsa_user_sgpr_kernarg_preload_length 0
		.amdhsa_user_sgpr_kernarg_preload_offset 0
		.amdhsa_user_sgpr_private_segment_size 0
		.amdhsa_uses_dynamic_stack 0
		.amdhsa_system_sgpr_private_segment_wavefront_offset 0
		.amdhsa_system_sgpr_workgroup_id_x 1
		.amdhsa_system_sgpr_workgroup_id_y 0
		.amdhsa_system_sgpr_workgroup_id_z 0
		.amdhsa_system_sgpr_workgroup_info 0
		.amdhsa_system_vgpr_workitem_id 0
		.amdhsa_next_free_vgpr 1
		.amdhsa_next_free_sgpr 0
		.amdhsa_accum_offset 4
		.amdhsa_reserve_vcc 0
		.amdhsa_reserve_flat_scratch 0
		.amdhsa_float_round_mode_32 0
		.amdhsa_float_round_mode_16_64 0
		.amdhsa_float_denorm_mode_32 3
		.amdhsa_float_denorm_mode_16_64 3
		.amdhsa_dx10_clamp 1
		.amdhsa_ieee_mode 1
		.amdhsa_fp16_overflow 0
		.amdhsa_tg_split 0
		.amdhsa_exception_fp_ieee_invalid_op 0
		.amdhsa_exception_fp_denorm_src 0
		.amdhsa_exception_fp_ieee_div_zero 0
		.amdhsa_exception_fp_ieee_overflow 0
		.amdhsa_exception_fp_ieee_underflow 0
		.amdhsa_exception_fp_ieee_inexact 0
		.amdhsa_exception_int_div_zero 0
	.end_amdhsa_kernel
	.section	.text._ZN7rocprim17ROCPRIM_400000_NS6detail44device_merge_sort_compile_time_verifier_archINS1_11comp_targetILNS1_3genE4ELNS1_11target_archE910ELNS1_3gpuE8ELNS1_3repE0EEES8_NS1_28merge_sort_block_sort_configILj256ELj4ELNS0_20block_sort_algorithmE0EEENS0_14default_configENS1_37merge_sort_block_sort_config_selectorIilEENS1_38merge_sort_block_merge_config_selectorIilEEEEvv,"axG",@progbits,_ZN7rocprim17ROCPRIM_400000_NS6detail44device_merge_sort_compile_time_verifier_archINS1_11comp_targetILNS1_3genE4ELNS1_11target_archE910ELNS1_3gpuE8ELNS1_3repE0EEES8_NS1_28merge_sort_block_sort_configILj256ELj4ELNS0_20block_sort_algorithmE0EEENS0_14default_configENS1_37merge_sort_block_sort_config_selectorIilEENS1_38merge_sort_block_merge_config_selectorIilEEEEvv,comdat
.Lfunc_end737:
	.size	_ZN7rocprim17ROCPRIM_400000_NS6detail44device_merge_sort_compile_time_verifier_archINS1_11comp_targetILNS1_3genE4ELNS1_11target_archE910ELNS1_3gpuE8ELNS1_3repE0EEES8_NS1_28merge_sort_block_sort_configILj256ELj4ELNS0_20block_sort_algorithmE0EEENS0_14default_configENS1_37merge_sort_block_sort_config_selectorIilEENS1_38merge_sort_block_merge_config_selectorIilEEEEvv, .Lfunc_end737-_ZN7rocprim17ROCPRIM_400000_NS6detail44device_merge_sort_compile_time_verifier_archINS1_11comp_targetILNS1_3genE4ELNS1_11target_archE910ELNS1_3gpuE8ELNS1_3repE0EEES8_NS1_28merge_sort_block_sort_configILj256ELj4ELNS0_20block_sort_algorithmE0EEENS0_14default_configENS1_37merge_sort_block_sort_config_selectorIilEENS1_38merge_sort_block_merge_config_selectorIilEEEEvv
                                        ; -- End function
	.section	.AMDGPU.csdata,"",@progbits
; Kernel info:
; codeLenInByte = 4
; NumSgprs: 4
; NumVgprs: 0
; NumAgprs: 0
; TotalNumVgprs: 0
; ScratchSize: 0
; MemoryBound: 0
; FloatMode: 240
; IeeeMode: 1
; LDSByteSize: 0 bytes/workgroup (compile time only)
; SGPRBlocks: 0
; VGPRBlocks: 0
; NumSGPRsForWavesPerEU: 4
; NumVGPRsForWavesPerEU: 1
; AccumOffset: 4
; Occupancy: 8
; WaveLimiterHint : 0
; COMPUTE_PGM_RSRC2:SCRATCH_EN: 0
; COMPUTE_PGM_RSRC2:USER_SGPR: 4
; COMPUTE_PGM_RSRC2:TRAP_HANDLER: 0
; COMPUTE_PGM_RSRC2:TGID_X_EN: 1
; COMPUTE_PGM_RSRC2:TGID_Y_EN: 0
; COMPUTE_PGM_RSRC2:TGID_Z_EN: 0
; COMPUTE_PGM_RSRC2:TIDIG_COMP_CNT: 0
; COMPUTE_PGM_RSRC3_GFX90A:ACCUM_OFFSET: 0
; COMPUTE_PGM_RSRC3_GFX90A:TG_SPLIT: 0
	.section	.text._ZN7rocprim17ROCPRIM_400000_NS6detail44device_merge_sort_compile_time_verifier_archINS1_11comp_targetILNS1_3genE3ELNS1_11target_archE908ELNS1_3gpuE7ELNS1_3repE0EEES8_NS1_28merge_sort_block_sort_configILj256ELj4ELNS0_20block_sort_algorithmE0EEENS0_14default_configENS1_37merge_sort_block_sort_config_selectorIilEENS1_38merge_sort_block_merge_config_selectorIilEEEEvv,"axG",@progbits,_ZN7rocprim17ROCPRIM_400000_NS6detail44device_merge_sort_compile_time_verifier_archINS1_11comp_targetILNS1_3genE3ELNS1_11target_archE908ELNS1_3gpuE7ELNS1_3repE0EEES8_NS1_28merge_sort_block_sort_configILj256ELj4ELNS0_20block_sort_algorithmE0EEENS0_14default_configENS1_37merge_sort_block_sort_config_selectorIilEENS1_38merge_sort_block_merge_config_selectorIilEEEEvv,comdat
	.protected	_ZN7rocprim17ROCPRIM_400000_NS6detail44device_merge_sort_compile_time_verifier_archINS1_11comp_targetILNS1_3genE3ELNS1_11target_archE908ELNS1_3gpuE7ELNS1_3repE0EEES8_NS1_28merge_sort_block_sort_configILj256ELj4ELNS0_20block_sort_algorithmE0EEENS0_14default_configENS1_37merge_sort_block_sort_config_selectorIilEENS1_38merge_sort_block_merge_config_selectorIilEEEEvv ; -- Begin function _ZN7rocprim17ROCPRIM_400000_NS6detail44device_merge_sort_compile_time_verifier_archINS1_11comp_targetILNS1_3genE3ELNS1_11target_archE908ELNS1_3gpuE7ELNS1_3repE0EEES8_NS1_28merge_sort_block_sort_configILj256ELj4ELNS0_20block_sort_algorithmE0EEENS0_14default_configENS1_37merge_sort_block_sort_config_selectorIilEENS1_38merge_sort_block_merge_config_selectorIilEEEEvv
	.globl	_ZN7rocprim17ROCPRIM_400000_NS6detail44device_merge_sort_compile_time_verifier_archINS1_11comp_targetILNS1_3genE3ELNS1_11target_archE908ELNS1_3gpuE7ELNS1_3repE0EEES8_NS1_28merge_sort_block_sort_configILj256ELj4ELNS0_20block_sort_algorithmE0EEENS0_14default_configENS1_37merge_sort_block_sort_config_selectorIilEENS1_38merge_sort_block_merge_config_selectorIilEEEEvv
	.p2align	8
	.type	_ZN7rocprim17ROCPRIM_400000_NS6detail44device_merge_sort_compile_time_verifier_archINS1_11comp_targetILNS1_3genE3ELNS1_11target_archE908ELNS1_3gpuE7ELNS1_3repE0EEES8_NS1_28merge_sort_block_sort_configILj256ELj4ELNS0_20block_sort_algorithmE0EEENS0_14default_configENS1_37merge_sort_block_sort_config_selectorIilEENS1_38merge_sort_block_merge_config_selectorIilEEEEvv,@function
_ZN7rocprim17ROCPRIM_400000_NS6detail44device_merge_sort_compile_time_verifier_archINS1_11comp_targetILNS1_3genE3ELNS1_11target_archE908ELNS1_3gpuE7ELNS1_3repE0EEES8_NS1_28merge_sort_block_sort_configILj256ELj4ELNS0_20block_sort_algorithmE0EEENS0_14default_configENS1_37merge_sort_block_sort_config_selectorIilEENS1_38merge_sort_block_merge_config_selectorIilEEEEvv: ; @_ZN7rocprim17ROCPRIM_400000_NS6detail44device_merge_sort_compile_time_verifier_archINS1_11comp_targetILNS1_3genE3ELNS1_11target_archE908ELNS1_3gpuE7ELNS1_3repE0EEES8_NS1_28merge_sort_block_sort_configILj256ELj4ELNS0_20block_sort_algorithmE0EEENS0_14default_configENS1_37merge_sort_block_sort_config_selectorIilEENS1_38merge_sort_block_merge_config_selectorIilEEEEvv
; %bb.0:
	s_endpgm
	.section	.rodata,"a",@progbits
	.p2align	6, 0x0
	.amdhsa_kernel _ZN7rocprim17ROCPRIM_400000_NS6detail44device_merge_sort_compile_time_verifier_archINS1_11comp_targetILNS1_3genE3ELNS1_11target_archE908ELNS1_3gpuE7ELNS1_3repE0EEES8_NS1_28merge_sort_block_sort_configILj256ELj4ELNS0_20block_sort_algorithmE0EEENS0_14default_configENS1_37merge_sort_block_sort_config_selectorIilEENS1_38merge_sort_block_merge_config_selectorIilEEEEvv
		.amdhsa_group_segment_fixed_size 0
		.amdhsa_private_segment_fixed_size 0
		.amdhsa_kernarg_size 0
		.amdhsa_user_sgpr_count 4
		.amdhsa_user_sgpr_private_segment_buffer 1
		.amdhsa_user_sgpr_dispatch_ptr 0
		.amdhsa_user_sgpr_queue_ptr 0
		.amdhsa_user_sgpr_kernarg_segment_ptr 0
		.amdhsa_user_sgpr_dispatch_id 0
		.amdhsa_user_sgpr_flat_scratch_init 0
		.amdhsa_user_sgpr_kernarg_preload_length 0
		.amdhsa_user_sgpr_kernarg_preload_offset 0
		.amdhsa_user_sgpr_private_segment_size 0
		.amdhsa_uses_dynamic_stack 0
		.amdhsa_system_sgpr_private_segment_wavefront_offset 0
		.amdhsa_system_sgpr_workgroup_id_x 1
		.amdhsa_system_sgpr_workgroup_id_y 0
		.amdhsa_system_sgpr_workgroup_id_z 0
		.amdhsa_system_sgpr_workgroup_info 0
		.amdhsa_system_vgpr_workitem_id 0
		.amdhsa_next_free_vgpr 1
		.amdhsa_next_free_sgpr 0
		.amdhsa_accum_offset 4
		.amdhsa_reserve_vcc 0
		.amdhsa_reserve_flat_scratch 0
		.amdhsa_float_round_mode_32 0
		.amdhsa_float_round_mode_16_64 0
		.amdhsa_float_denorm_mode_32 3
		.amdhsa_float_denorm_mode_16_64 3
		.amdhsa_dx10_clamp 1
		.amdhsa_ieee_mode 1
		.amdhsa_fp16_overflow 0
		.amdhsa_tg_split 0
		.amdhsa_exception_fp_ieee_invalid_op 0
		.amdhsa_exception_fp_denorm_src 0
		.amdhsa_exception_fp_ieee_div_zero 0
		.amdhsa_exception_fp_ieee_overflow 0
		.amdhsa_exception_fp_ieee_underflow 0
		.amdhsa_exception_fp_ieee_inexact 0
		.amdhsa_exception_int_div_zero 0
	.end_amdhsa_kernel
	.section	.text._ZN7rocprim17ROCPRIM_400000_NS6detail44device_merge_sort_compile_time_verifier_archINS1_11comp_targetILNS1_3genE3ELNS1_11target_archE908ELNS1_3gpuE7ELNS1_3repE0EEES8_NS1_28merge_sort_block_sort_configILj256ELj4ELNS0_20block_sort_algorithmE0EEENS0_14default_configENS1_37merge_sort_block_sort_config_selectorIilEENS1_38merge_sort_block_merge_config_selectorIilEEEEvv,"axG",@progbits,_ZN7rocprim17ROCPRIM_400000_NS6detail44device_merge_sort_compile_time_verifier_archINS1_11comp_targetILNS1_3genE3ELNS1_11target_archE908ELNS1_3gpuE7ELNS1_3repE0EEES8_NS1_28merge_sort_block_sort_configILj256ELj4ELNS0_20block_sort_algorithmE0EEENS0_14default_configENS1_37merge_sort_block_sort_config_selectorIilEENS1_38merge_sort_block_merge_config_selectorIilEEEEvv,comdat
.Lfunc_end738:
	.size	_ZN7rocprim17ROCPRIM_400000_NS6detail44device_merge_sort_compile_time_verifier_archINS1_11comp_targetILNS1_3genE3ELNS1_11target_archE908ELNS1_3gpuE7ELNS1_3repE0EEES8_NS1_28merge_sort_block_sort_configILj256ELj4ELNS0_20block_sort_algorithmE0EEENS0_14default_configENS1_37merge_sort_block_sort_config_selectorIilEENS1_38merge_sort_block_merge_config_selectorIilEEEEvv, .Lfunc_end738-_ZN7rocprim17ROCPRIM_400000_NS6detail44device_merge_sort_compile_time_verifier_archINS1_11comp_targetILNS1_3genE3ELNS1_11target_archE908ELNS1_3gpuE7ELNS1_3repE0EEES8_NS1_28merge_sort_block_sort_configILj256ELj4ELNS0_20block_sort_algorithmE0EEENS0_14default_configENS1_37merge_sort_block_sort_config_selectorIilEENS1_38merge_sort_block_merge_config_selectorIilEEEEvv
                                        ; -- End function
	.section	.AMDGPU.csdata,"",@progbits
; Kernel info:
; codeLenInByte = 4
; NumSgprs: 4
; NumVgprs: 0
; NumAgprs: 0
; TotalNumVgprs: 0
; ScratchSize: 0
; MemoryBound: 0
; FloatMode: 240
; IeeeMode: 1
; LDSByteSize: 0 bytes/workgroup (compile time only)
; SGPRBlocks: 0
; VGPRBlocks: 0
; NumSGPRsForWavesPerEU: 4
; NumVGPRsForWavesPerEU: 1
; AccumOffset: 4
; Occupancy: 8
; WaveLimiterHint : 0
; COMPUTE_PGM_RSRC2:SCRATCH_EN: 0
; COMPUTE_PGM_RSRC2:USER_SGPR: 4
; COMPUTE_PGM_RSRC2:TRAP_HANDLER: 0
; COMPUTE_PGM_RSRC2:TGID_X_EN: 1
; COMPUTE_PGM_RSRC2:TGID_Y_EN: 0
; COMPUTE_PGM_RSRC2:TGID_Z_EN: 0
; COMPUTE_PGM_RSRC2:TIDIG_COMP_CNT: 0
; COMPUTE_PGM_RSRC3_GFX90A:ACCUM_OFFSET: 0
; COMPUTE_PGM_RSRC3_GFX90A:TG_SPLIT: 0
	.section	.text._ZN7rocprim17ROCPRIM_400000_NS6detail44device_merge_sort_compile_time_verifier_archINS1_11comp_targetILNS1_3genE2ELNS1_11target_archE906ELNS1_3gpuE6ELNS1_3repE0EEES8_NS1_28merge_sort_block_sort_configILj256ELj4ELNS0_20block_sort_algorithmE0EEENS0_14default_configENS1_37merge_sort_block_sort_config_selectorIilEENS1_38merge_sort_block_merge_config_selectorIilEEEEvv,"axG",@progbits,_ZN7rocprim17ROCPRIM_400000_NS6detail44device_merge_sort_compile_time_verifier_archINS1_11comp_targetILNS1_3genE2ELNS1_11target_archE906ELNS1_3gpuE6ELNS1_3repE0EEES8_NS1_28merge_sort_block_sort_configILj256ELj4ELNS0_20block_sort_algorithmE0EEENS0_14default_configENS1_37merge_sort_block_sort_config_selectorIilEENS1_38merge_sort_block_merge_config_selectorIilEEEEvv,comdat
	.protected	_ZN7rocprim17ROCPRIM_400000_NS6detail44device_merge_sort_compile_time_verifier_archINS1_11comp_targetILNS1_3genE2ELNS1_11target_archE906ELNS1_3gpuE6ELNS1_3repE0EEES8_NS1_28merge_sort_block_sort_configILj256ELj4ELNS0_20block_sort_algorithmE0EEENS0_14default_configENS1_37merge_sort_block_sort_config_selectorIilEENS1_38merge_sort_block_merge_config_selectorIilEEEEvv ; -- Begin function _ZN7rocprim17ROCPRIM_400000_NS6detail44device_merge_sort_compile_time_verifier_archINS1_11comp_targetILNS1_3genE2ELNS1_11target_archE906ELNS1_3gpuE6ELNS1_3repE0EEES8_NS1_28merge_sort_block_sort_configILj256ELj4ELNS0_20block_sort_algorithmE0EEENS0_14default_configENS1_37merge_sort_block_sort_config_selectorIilEENS1_38merge_sort_block_merge_config_selectorIilEEEEvv
	.globl	_ZN7rocprim17ROCPRIM_400000_NS6detail44device_merge_sort_compile_time_verifier_archINS1_11comp_targetILNS1_3genE2ELNS1_11target_archE906ELNS1_3gpuE6ELNS1_3repE0EEES8_NS1_28merge_sort_block_sort_configILj256ELj4ELNS0_20block_sort_algorithmE0EEENS0_14default_configENS1_37merge_sort_block_sort_config_selectorIilEENS1_38merge_sort_block_merge_config_selectorIilEEEEvv
	.p2align	8
	.type	_ZN7rocprim17ROCPRIM_400000_NS6detail44device_merge_sort_compile_time_verifier_archINS1_11comp_targetILNS1_3genE2ELNS1_11target_archE906ELNS1_3gpuE6ELNS1_3repE0EEES8_NS1_28merge_sort_block_sort_configILj256ELj4ELNS0_20block_sort_algorithmE0EEENS0_14default_configENS1_37merge_sort_block_sort_config_selectorIilEENS1_38merge_sort_block_merge_config_selectorIilEEEEvv,@function
_ZN7rocprim17ROCPRIM_400000_NS6detail44device_merge_sort_compile_time_verifier_archINS1_11comp_targetILNS1_3genE2ELNS1_11target_archE906ELNS1_3gpuE6ELNS1_3repE0EEES8_NS1_28merge_sort_block_sort_configILj256ELj4ELNS0_20block_sort_algorithmE0EEENS0_14default_configENS1_37merge_sort_block_sort_config_selectorIilEENS1_38merge_sort_block_merge_config_selectorIilEEEEvv: ; @_ZN7rocprim17ROCPRIM_400000_NS6detail44device_merge_sort_compile_time_verifier_archINS1_11comp_targetILNS1_3genE2ELNS1_11target_archE906ELNS1_3gpuE6ELNS1_3repE0EEES8_NS1_28merge_sort_block_sort_configILj256ELj4ELNS0_20block_sort_algorithmE0EEENS0_14default_configENS1_37merge_sort_block_sort_config_selectorIilEENS1_38merge_sort_block_merge_config_selectorIilEEEEvv
; %bb.0:
	s_endpgm
	.section	.rodata,"a",@progbits
	.p2align	6, 0x0
	.amdhsa_kernel _ZN7rocprim17ROCPRIM_400000_NS6detail44device_merge_sort_compile_time_verifier_archINS1_11comp_targetILNS1_3genE2ELNS1_11target_archE906ELNS1_3gpuE6ELNS1_3repE0EEES8_NS1_28merge_sort_block_sort_configILj256ELj4ELNS0_20block_sort_algorithmE0EEENS0_14default_configENS1_37merge_sort_block_sort_config_selectorIilEENS1_38merge_sort_block_merge_config_selectorIilEEEEvv
		.amdhsa_group_segment_fixed_size 0
		.amdhsa_private_segment_fixed_size 0
		.amdhsa_kernarg_size 0
		.amdhsa_user_sgpr_count 4
		.amdhsa_user_sgpr_private_segment_buffer 1
		.amdhsa_user_sgpr_dispatch_ptr 0
		.amdhsa_user_sgpr_queue_ptr 0
		.amdhsa_user_sgpr_kernarg_segment_ptr 0
		.amdhsa_user_sgpr_dispatch_id 0
		.amdhsa_user_sgpr_flat_scratch_init 0
		.amdhsa_user_sgpr_kernarg_preload_length 0
		.amdhsa_user_sgpr_kernarg_preload_offset 0
		.amdhsa_user_sgpr_private_segment_size 0
		.amdhsa_uses_dynamic_stack 0
		.amdhsa_system_sgpr_private_segment_wavefront_offset 0
		.amdhsa_system_sgpr_workgroup_id_x 1
		.amdhsa_system_sgpr_workgroup_id_y 0
		.amdhsa_system_sgpr_workgroup_id_z 0
		.amdhsa_system_sgpr_workgroup_info 0
		.amdhsa_system_vgpr_workitem_id 0
		.amdhsa_next_free_vgpr 1
		.amdhsa_next_free_sgpr 0
		.amdhsa_accum_offset 4
		.amdhsa_reserve_vcc 0
		.amdhsa_reserve_flat_scratch 0
		.amdhsa_float_round_mode_32 0
		.amdhsa_float_round_mode_16_64 0
		.amdhsa_float_denorm_mode_32 3
		.amdhsa_float_denorm_mode_16_64 3
		.amdhsa_dx10_clamp 1
		.amdhsa_ieee_mode 1
		.amdhsa_fp16_overflow 0
		.amdhsa_tg_split 0
		.amdhsa_exception_fp_ieee_invalid_op 0
		.amdhsa_exception_fp_denorm_src 0
		.amdhsa_exception_fp_ieee_div_zero 0
		.amdhsa_exception_fp_ieee_overflow 0
		.amdhsa_exception_fp_ieee_underflow 0
		.amdhsa_exception_fp_ieee_inexact 0
		.amdhsa_exception_int_div_zero 0
	.end_amdhsa_kernel
	.section	.text._ZN7rocprim17ROCPRIM_400000_NS6detail44device_merge_sort_compile_time_verifier_archINS1_11comp_targetILNS1_3genE2ELNS1_11target_archE906ELNS1_3gpuE6ELNS1_3repE0EEES8_NS1_28merge_sort_block_sort_configILj256ELj4ELNS0_20block_sort_algorithmE0EEENS0_14default_configENS1_37merge_sort_block_sort_config_selectorIilEENS1_38merge_sort_block_merge_config_selectorIilEEEEvv,"axG",@progbits,_ZN7rocprim17ROCPRIM_400000_NS6detail44device_merge_sort_compile_time_verifier_archINS1_11comp_targetILNS1_3genE2ELNS1_11target_archE906ELNS1_3gpuE6ELNS1_3repE0EEES8_NS1_28merge_sort_block_sort_configILj256ELj4ELNS0_20block_sort_algorithmE0EEENS0_14default_configENS1_37merge_sort_block_sort_config_selectorIilEENS1_38merge_sort_block_merge_config_selectorIilEEEEvv,comdat
.Lfunc_end739:
	.size	_ZN7rocprim17ROCPRIM_400000_NS6detail44device_merge_sort_compile_time_verifier_archINS1_11comp_targetILNS1_3genE2ELNS1_11target_archE906ELNS1_3gpuE6ELNS1_3repE0EEES8_NS1_28merge_sort_block_sort_configILj256ELj4ELNS0_20block_sort_algorithmE0EEENS0_14default_configENS1_37merge_sort_block_sort_config_selectorIilEENS1_38merge_sort_block_merge_config_selectorIilEEEEvv, .Lfunc_end739-_ZN7rocprim17ROCPRIM_400000_NS6detail44device_merge_sort_compile_time_verifier_archINS1_11comp_targetILNS1_3genE2ELNS1_11target_archE906ELNS1_3gpuE6ELNS1_3repE0EEES8_NS1_28merge_sort_block_sort_configILj256ELj4ELNS0_20block_sort_algorithmE0EEENS0_14default_configENS1_37merge_sort_block_sort_config_selectorIilEENS1_38merge_sort_block_merge_config_selectorIilEEEEvv
                                        ; -- End function
	.section	.AMDGPU.csdata,"",@progbits
; Kernel info:
; codeLenInByte = 4
; NumSgprs: 4
; NumVgprs: 0
; NumAgprs: 0
; TotalNumVgprs: 0
; ScratchSize: 0
; MemoryBound: 0
; FloatMode: 240
; IeeeMode: 1
; LDSByteSize: 0 bytes/workgroup (compile time only)
; SGPRBlocks: 0
; VGPRBlocks: 0
; NumSGPRsForWavesPerEU: 4
; NumVGPRsForWavesPerEU: 1
; AccumOffset: 4
; Occupancy: 8
; WaveLimiterHint : 0
; COMPUTE_PGM_RSRC2:SCRATCH_EN: 0
; COMPUTE_PGM_RSRC2:USER_SGPR: 4
; COMPUTE_PGM_RSRC2:TRAP_HANDLER: 0
; COMPUTE_PGM_RSRC2:TGID_X_EN: 1
; COMPUTE_PGM_RSRC2:TGID_Y_EN: 0
; COMPUTE_PGM_RSRC2:TGID_Z_EN: 0
; COMPUTE_PGM_RSRC2:TIDIG_COMP_CNT: 0
; COMPUTE_PGM_RSRC3_GFX90A:ACCUM_OFFSET: 0
; COMPUTE_PGM_RSRC3_GFX90A:TG_SPLIT: 0
	.section	.text._ZN7rocprim17ROCPRIM_400000_NS6detail44device_merge_sort_compile_time_verifier_archINS1_11comp_targetILNS1_3genE10ELNS1_11target_archE1201ELNS1_3gpuE5ELNS1_3repE0EEES8_NS1_28merge_sort_block_sort_configILj256ELj4ELNS0_20block_sort_algorithmE0EEENS0_14default_configENS1_37merge_sort_block_sort_config_selectorIilEENS1_38merge_sort_block_merge_config_selectorIilEEEEvv,"axG",@progbits,_ZN7rocprim17ROCPRIM_400000_NS6detail44device_merge_sort_compile_time_verifier_archINS1_11comp_targetILNS1_3genE10ELNS1_11target_archE1201ELNS1_3gpuE5ELNS1_3repE0EEES8_NS1_28merge_sort_block_sort_configILj256ELj4ELNS0_20block_sort_algorithmE0EEENS0_14default_configENS1_37merge_sort_block_sort_config_selectorIilEENS1_38merge_sort_block_merge_config_selectorIilEEEEvv,comdat
	.protected	_ZN7rocprim17ROCPRIM_400000_NS6detail44device_merge_sort_compile_time_verifier_archINS1_11comp_targetILNS1_3genE10ELNS1_11target_archE1201ELNS1_3gpuE5ELNS1_3repE0EEES8_NS1_28merge_sort_block_sort_configILj256ELj4ELNS0_20block_sort_algorithmE0EEENS0_14default_configENS1_37merge_sort_block_sort_config_selectorIilEENS1_38merge_sort_block_merge_config_selectorIilEEEEvv ; -- Begin function _ZN7rocprim17ROCPRIM_400000_NS6detail44device_merge_sort_compile_time_verifier_archINS1_11comp_targetILNS1_3genE10ELNS1_11target_archE1201ELNS1_3gpuE5ELNS1_3repE0EEES8_NS1_28merge_sort_block_sort_configILj256ELj4ELNS0_20block_sort_algorithmE0EEENS0_14default_configENS1_37merge_sort_block_sort_config_selectorIilEENS1_38merge_sort_block_merge_config_selectorIilEEEEvv
	.globl	_ZN7rocprim17ROCPRIM_400000_NS6detail44device_merge_sort_compile_time_verifier_archINS1_11comp_targetILNS1_3genE10ELNS1_11target_archE1201ELNS1_3gpuE5ELNS1_3repE0EEES8_NS1_28merge_sort_block_sort_configILj256ELj4ELNS0_20block_sort_algorithmE0EEENS0_14default_configENS1_37merge_sort_block_sort_config_selectorIilEENS1_38merge_sort_block_merge_config_selectorIilEEEEvv
	.p2align	8
	.type	_ZN7rocprim17ROCPRIM_400000_NS6detail44device_merge_sort_compile_time_verifier_archINS1_11comp_targetILNS1_3genE10ELNS1_11target_archE1201ELNS1_3gpuE5ELNS1_3repE0EEES8_NS1_28merge_sort_block_sort_configILj256ELj4ELNS0_20block_sort_algorithmE0EEENS0_14default_configENS1_37merge_sort_block_sort_config_selectorIilEENS1_38merge_sort_block_merge_config_selectorIilEEEEvv,@function
_ZN7rocprim17ROCPRIM_400000_NS6detail44device_merge_sort_compile_time_verifier_archINS1_11comp_targetILNS1_3genE10ELNS1_11target_archE1201ELNS1_3gpuE5ELNS1_3repE0EEES8_NS1_28merge_sort_block_sort_configILj256ELj4ELNS0_20block_sort_algorithmE0EEENS0_14default_configENS1_37merge_sort_block_sort_config_selectorIilEENS1_38merge_sort_block_merge_config_selectorIilEEEEvv: ; @_ZN7rocprim17ROCPRIM_400000_NS6detail44device_merge_sort_compile_time_verifier_archINS1_11comp_targetILNS1_3genE10ELNS1_11target_archE1201ELNS1_3gpuE5ELNS1_3repE0EEES8_NS1_28merge_sort_block_sort_configILj256ELj4ELNS0_20block_sort_algorithmE0EEENS0_14default_configENS1_37merge_sort_block_sort_config_selectorIilEENS1_38merge_sort_block_merge_config_selectorIilEEEEvv
; %bb.0:
	s_endpgm
	.section	.rodata,"a",@progbits
	.p2align	6, 0x0
	.amdhsa_kernel _ZN7rocprim17ROCPRIM_400000_NS6detail44device_merge_sort_compile_time_verifier_archINS1_11comp_targetILNS1_3genE10ELNS1_11target_archE1201ELNS1_3gpuE5ELNS1_3repE0EEES8_NS1_28merge_sort_block_sort_configILj256ELj4ELNS0_20block_sort_algorithmE0EEENS0_14default_configENS1_37merge_sort_block_sort_config_selectorIilEENS1_38merge_sort_block_merge_config_selectorIilEEEEvv
		.amdhsa_group_segment_fixed_size 0
		.amdhsa_private_segment_fixed_size 0
		.amdhsa_kernarg_size 0
		.amdhsa_user_sgpr_count 4
		.amdhsa_user_sgpr_private_segment_buffer 1
		.amdhsa_user_sgpr_dispatch_ptr 0
		.amdhsa_user_sgpr_queue_ptr 0
		.amdhsa_user_sgpr_kernarg_segment_ptr 0
		.amdhsa_user_sgpr_dispatch_id 0
		.amdhsa_user_sgpr_flat_scratch_init 0
		.amdhsa_user_sgpr_kernarg_preload_length 0
		.amdhsa_user_sgpr_kernarg_preload_offset 0
		.amdhsa_user_sgpr_private_segment_size 0
		.amdhsa_uses_dynamic_stack 0
		.amdhsa_system_sgpr_private_segment_wavefront_offset 0
		.amdhsa_system_sgpr_workgroup_id_x 1
		.amdhsa_system_sgpr_workgroup_id_y 0
		.amdhsa_system_sgpr_workgroup_id_z 0
		.amdhsa_system_sgpr_workgroup_info 0
		.amdhsa_system_vgpr_workitem_id 0
		.amdhsa_next_free_vgpr 1
		.amdhsa_next_free_sgpr 0
		.amdhsa_accum_offset 4
		.amdhsa_reserve_vcc 0
		.amdhsa_reserve_flat_scratch 0
		.amdhsa_float_round_mode_32 0
		.amdhsa_float_round_mode_16_64 0
		.amdhsa_float_denorm_mode_32 3
		.amdhsa_float_denorm_mode_16_64 3
		.amdhsa_dx10_clamp 1
		.amdhsa_ieee_mode 1
		.amdhsa_fp16_overflow 0
		.amdhsa_tg_split 0
		.amdhsa_exception_fp_ieee_invalid_op 0
		.amdhsa_exception_fp_denorm_src 0
		.amdhsa_exception_fp_ieee_div_zero 0
		.amdhsa_exception_fp_ieee_overflow 0
		.amdhsa_exception_fp_ieee_underflow 0
		.amdhsa_exception_fp_ieee_inexact 0
		.amdhsa_exception_int_div_zero 0
	.end_amdhsa_kernel
	.section	.text._ZN7rocprim17ROCPRIM_400000_NS6detail44device_merge_sort_compile_time_verifier_archINS1_11comp_targetILNS1_3genE10ELNS1_11target_archE1201ELNS1_3gpuE5ELNS1_3repE0EEES8_NS1_28merge_sort_block_sort_configILj256ELj4ELNS0_20block_sort_algorithmE0EEENS0_14default_configENS1_37merge_sort_block_sort_config_selectorIilEENS1_38merge_sort_block_merge_config_selectorIilEEEEvv,"axG",@progbits,_ZN7rocprim17ROCPRIM_400000_NS6detail44device_merge_sort_compile_time_verifier_archINS1_11comp_targetILNS1_3genE10ELNS1_11target_archE1201ELNS1_3gpuE5ELNS1_3repE0EEES8_NS1_28merge_sort_block_sort_configILj256ELj4ELNS0_20block_sort_algorithmE0EEENS0_14default_configENS1_37merge_sort_block_sort_config_selectorIilEENS1_38merge_sort_block_merge_config_selectorIilEEEEvv,comdat
.Lfunc_end740:
	.size	_ZN7rocprim17ROCPRIM_400000_NS6detail44device_merge_sort_compile_time_verifier_archINS1_11comp_targetILNS1_3genE10ELNS1_11target_archE1201ELNS1_3gpuE5ELNS1_3repE0EEES8_NS1_28merge_sort_block_sort_configILj256ELj4ELNS0_20block_sort_algorithmE0EEENS0_14default_configENS1_37merge_sort_block_sort_config_selectorIilEENS1_38merge_sort_block_merge_config_selectorIilEEEEvv, .Lfunc_end740-_ZN7rocprim17ROCPRIM_400000_NS6detail44device_merge_sort_compile_time_verifier_archINS1_11comp_targetILNS1_3genE10ELNS1_11target_archE1201ELNS1_3gpuE5ELNS1_3repE0EEES8_NS1_28merge_sort_block_sort_configILj256ELj4ELNS0_20block_sort_algorithmE0EEENS0_14default_configENS1_37merge_sort_block_sort_config_selectorIilEENS1_38merge_sort_block_merge_config_selectorIilEEEEvv
                                        ; -- End function
	.section	.AMDGPU.csdata,"",@progbits
; Kernel info:
; codeLenInByte = 4
; NumSgprs: 4
; NumVgprs: 0
; NumAgprs: 0
; TotalNumVgprs: 0
; ScratchSize: 0
; MemoryBound: 0
; FloatMode: 240
; IeeeMode: 1
; LDSByteSize: 0 bytes/workgroup (compile time only)
; SGPRBlocks: 0
; VGPRBlocks: 0
; NumSGPRsForWavesPerEU: 4
; NumVGPRsForWavesPerEU: 1
; AccumOffset: 4
; Occupancy: 8
; WaveLimiterHint : 0
; COMPUTE_PGM_RSRC2:SCRATCH_EN: 0
; COMPUTE_PGM_RSRC2:USER_SGPR: 4
; COMPUTE_PGM_RSRC2:TRAP_HANDLER: 0
; COMPUTE_PGM_RSRC2:TGID_X_EN: 1
; COMPUTE_PGM_RSRC2:TGID_Y_EN: 0
; COMPUTE_PGM_RSRC2:TGID_Z_EN: 0
; COMPUTE_PGM_RSRC2:TIDIG_COMP_CNT: 0
; COMPUTE_PGM_RSRC3_GFX90A:ACCUM_OFFSET: 0
; COMPUTE_PGM_RSRC3_GFX90A:TG_SPLIT: 0
	.section	.text._ZN7rocprim17ROCPRIM_400000_NS6detail44device_merge_sort_compile_time_verifier_archINS1_11comp_targetILNS1_3genE10ELNS1_11target_archE1200ELNS1_3gpuE4ELNS1_3repE0EEENS3_ILS4_10ELS5_1201ELS6_5ELS7_0EEENS1_28merge_sort_block_sort_configILj256ELj4ELNS0_20block_sort_algorithmE0EEENS0_14default_configENS1_37merge_sort_block_sort_config_selectorIilEENS1_38merge_sort_block_merge_config_selectorIilEEEEvv,"axG",@progbits,_ZN7rocprim17ROCPRIM_400000_NS6detail44device_merge_sort_compile_time_verifier_archINS1_11comp_targetILNS1_3genE10ELNS1_11target_archE1200ELNS1_3gpuE4ELNS1_3repE0EEENS3_ILS4_10ELS5_1201ELS6_5ELS7_0EEENS1_28merge_sort_block_sort_configILj256ELj4ELNS0_20block_sort_algorithmE0EEENS0_14default_configENS1_37merge_sort_block_sort_config_selectorIilEENS1_38merge_sort_block_merge_config_selectorIilEEEEvv,comdat
	.protected	_ZN7rocprim17ROCPRIM_400000_NS6detail44device_merge_sort_compile_time_verifier_archINS1_11comp_targetILNS1_3genE10ELNS1_11target_archE1200ELNS1_3gpuE4ELNS1_3repE0EEENS3_ILS4_10ELS5_1201ELS6_5ELS7_0EEENS1_28merge_sort_block_sort_configILj256ELj4ELNS0_20block_sort_algorithmE0EEENS0_14default_configENS1_37merge_sort_block_sort_config_selectorIilEENS1_38merge_sort_block_merge_config_selectorIilEEEEvv ; -- Begin function _ZN7rocprim17ROCPRIM_400000_NS6detail44device_merge_sort_compile_time_verifier_archINS1_11comp_targetILNS1_3genE10ELNS1_11target_archE1200ELNS1_3gpuE4ELNS1_3repE0EEENS3_ILS4_10ELS5_1201ELS6_5ELS7_0EEENS1_28merge_sort_block_sort_configILj256ELj4ELNS0_20block_sort_algorithmE0EEENS0_14default_configENS1_37merge_sort_block_sort_config_selectorIilEENS1_38merge_sort_block_merge_config_selectorIilEEEEvv
	.globl	_ZN7rocprim17ROCPRIM_400000_NS6detail44device_merge_sort_compile_time_verifier_archINS1_11comp_targetILNS1_3genE10ELNS1_11target_archE1200ELNS1_3gpuE4ELNS1_3repE0EEENS3_ILS4_10ELS5_1201ELS6_5ELS7_0EEENS1_28merge_sort_block_sort_configILj256ELj4ELNS0_20block_sort_algorithmE0EEENS0_14default_configENS1_37merge_sort_block_sort_config_selectorIilEENS1_38merge_sort_block_merge_config_selectorIilEEEEvv
	.p2align	8
	.type	_ZN7rocprim17ROCPRIM_400000_NS6detail44device_merge_sort_compile_time_verifier_archINS1_11comp_targetILNS1_3genE10ELNS1_11target_archE1200ELNS1_3gpuE4ELNS1_3repE0EEENS3_ILS4_10ELS5_1201ELS6_5ELS7_0EEENS1_28merge_sort_block_sort_configILj256ELj4ELNS0_20block_sort_algorithmE0EEENS0_14default_configENS1_37merge_sort_block_sort_config_selectorIilEENS1_38merge_sort_block_merge_config_selectorIilEEEEvv,@function
_ZN7rocprim17ROCPRIM_400000_NS6detail44device_merge_sort_compile_time_verifier_archINS1_11comp_targetILNS1_3genE10ELNS1_11target_archE1200ELNS1_3gpuE4ELNS1_3repE0EEENS3_ILS4_10ELS5_1201ELS6_5ELS7_0EEENS1_28merge_sort_block_sort_configILj256ELj4ELNS0_20block_sort_algorithmE0EEENS0_14default_configENS1_37merge_sort_block_sort_config_selectorIilEENS1_38merge_sort_block_merge_config_selectorIilEEEEvv: ; @_ZN7rocprim17ROCPRIM_400000_NS6detail44device_merge_sort_compile_time_verifier_archINS1_11comp_targetILNS1_3genE10ELNS1_11target_archE1200ELNS1_3gpuE4ELNS1_3repE0EEENS3_ILS4_10ELS5_1201ELS6_5ELS7_0EEENS1_28merge_sort_block_sort_configILj256ELj4ELNS0_20block_sort_algorithmE0EEENS0_14default_configENS1_37merge_sort_block_sort_config_selectorIilEENS1_38merge_sort_block_merge_config_selectorIilEEEEvv
; %bb.0:
	s_endpgm
	.section	.rodata,"a",@progbits
	.p2align	6, 0x0
	.amdhsa_kernel _ZN7rocprim17ROCPRIM_400000_NS6detail44device_merge_sort_compile_time_verifier_archINS1_11comp_targetILNS1_3genE10ELNS1_11target_archE1200ELNS1_3gpuE4ELNS1_3repE0EEENS3_ILS4_10ELS5_1201ELS6_5ELS7_0EEENS1_28merge_sort_block_sort_configILj256ELj4ELNS0_20block_sort_algorithmE0EEENS0_14default_configENS1_37merge_sort_block_sort_config_selectorIilEENS1_38merge_sort_block_merge_config_selectorIilEEEEvv
		.amdhsa_group_segment_fixed_size 0
		.amdhsa_private_segment_fixed_size 0
		.amdhsa_kernarg_size 0
		.amdhsa_user_sgpr_count 4
		.amdhsa_user_sgpr_private_segment_buffer 1
		.amdhsa_user_sgpr_dispatch_ptr 0
		.amdhsa_user_sgpr_queue_ptr 0
		.amdhsa_user_sgpr_kernarg_segment_ptr 0
		.amdhsa_user_sgpr_dispatch_id 0
		.amdhsa_user_sgpr_flat_scratch_init 0
		.amdhsa_user_sgpr_kernarg_preload_length 0
		.amdhsa_user_sgpr_kernarg_preload_offset 0
		.amdhsa_user_sgpr_private_segment_size 0
		.amdhsa_uses_dynamic_stack 0
		.amdhsa_system_sgpr_private_segment_wavefront_offset 0
		.amdhsa_system_sgpr_workgroup_id_x 1
		.amdhsa_system_sgpr_workgroup_id_y 0
		.amdhsa_system_sgpr_workgroup_id_z 0
		.amdhsa_system_sgpr_workgroup_info 0
		.amdhsa_system_vgpr_workitem_id 0
		.amdhsa_next_free_vgpr 1
		.amdhsa_next_free_sgpr 0
		.amdhsa_accum_offset 4
		.amdhsa_reserve_vcc 0
		.amdhsa_reserve_flat_scratch 0
		.amdhsa_float_round_mode_32 0
		.amdhsa_float_round_mode_16_64 0
		.amdhsa_float_denorm_mode_32 3
		.amdhsa_float_denorm_mode_16_64 3
		.amdhsa_dx10_clamp 1
		.amdhsa_ieee_mode 1
		.amdhsa_fp16_overflow 0
		.amdhsa_tg_split 0
		.amdhsa_exception_fp_ieee_invalid_op 0
		.amdhsa_exception_fp_denorm_src 0
		.amdhsa_exception_fp_ieee_div_zero 0
		.amdhsa_exception_fp_ieee_overflow 0
		.amdhsa_exception_fp_ieee_underflow 0
		.amdhsa_exception_fp_ieee_inexact 0
		.amdhsa_exception_int_div_zero 0
	.end_amdhsa_kernel
	.section	.text._ZN7rocprim17ROCPRIM_400000_NS6detail44device_merge_sort_compile_time_verifier_archINS1_11comp_targetILNS1_3genE10ELNS1_11target_archE1200ELNS1_3gpuE4ELNS1_3repE0EEENS3_ILS4_10ELS5_1201ELS6_5ELS7_0EEENS1_28merge_sort_block_sort_configILj256ELj4ELNS0_20block_sort_algorithmE0EEENS0_14default_configENS1_37merge_sort_block_sort_config_selectorIilEENS1_38merge_sort_block_merge_config_selectorIilEEEEvv,"axG",@progbits,_ZN7rocprim17ROCPRIM_400000_NS6detail44device_merge_sort_compile_time_verifier_archINS1_11comp_targetILNS1_3genE10ELNS1_11target_archE1200ELNS1_3gpuE4ELNS1_3repE0EEENS3_ILS4_10ELS5_1201ELS6_5ELS7_0EEENS1_28merge_sort_block_sort_configILj256ELj4ELNS0_20block_sort_algorithmE0EEENS0_14default_configENS1_37merge_sort_block_sort_config_selectorIilEENS1_38merge_sort_block_merge_config_selectorIilEEEEvv,comdat
.Lfunc_end741:
	.size	_ZN7rocprim17ROCPRIM_400000_NS6detail44device_merge_sort_compile_time_verifier_archINS1_11comp_targetILNS1_3genE10ELNS1_11target_archE1200ELNS1_3gpuE4ELNS1_3repE0EEENS3_ILS4_10ELS5_1201ELS6_5ELS7_0EEENS1_28merge_sort_block_sort_configILj256ELj4ELNS0_20block_sort_algorithmE0EEENS0_14default_configENS1_37merge_sort_block_sort_config_selectorIilEENS1_38merge_sort_block_merge_config_selectorIilEEEEvv, .Lfunc_end741-_ZN7rocprim17ROCPRIM_400000_NS6detail44device_merge_sort_compile_time_verifier_archINS1_11comp_targetILNS1_3genE10ELNS1_11target_archE1200ELNS1_3gpuE4ELNS1_3repE0EEENS3_ILS4_10ELS5_1201ELS6_5ELS7_0EEENS1_28merge_sort_block_sort_configILj256ELj4ELNS0_20block_sort_algorithmE0EEENS0_14default_configENS1_37merge_sort_block_sort_config_selectorIilEENS1_38merge_sort_block_merge_config_selectorIilEEEEvv
                                        ; -- End function
	.section	.AMDGPU.csdata,"",@progbits
; Kernel info:
; codeLenInByte = 4
; NumSgprs: 4
; NumVgprs: 0
; NumAgprs: 0
; TotalNumVgprs: 0
; ScratchSize: 0
; MemoryBound: 0
; FloatMode: 240
; IeeeMode: 1
; LDSByteSize: 0 bytes/workgroup (compile time only)
; SGPRBlocks: 0
; VGPRBlocks: 0
; NumSGPRsForWavesPerEU: 4
; NumVGPRsForWavesPerEU: 1
; AccumOffset: 4
; Occupancy: 8
; WaveLimiterHint : 0
; COMPUTE_PGM_RSRC2:SCRATCH_EN: 0
; COMPUTE_PGM_RSRC2:USER_SGPR: 4
; COMPUTE_PGM_RSRC2:TRAP_HANDLER: 0
; COMPUTE_PGM_RSRC2:TGID_X_EN: 1
; COMPUTE_PGM_RSRC2:TGID_Y_EN: 0
; COMPUTE_PGM_RSRC2:TGID_Z_EN: 0
; COMPUTE_PGM_RSRC2:TIDIG_COMP_CNT: 0
; COMPUTE_PGM_RSRC3_GFX90A:ACCUM_OFFSET: 0
; COMPUTE_PGM_RSRC3_GFX90A:TG_SPLIT: 0
	.section	.text._ZN7rocprim17ROCPRIM_400000_NS6detail44device_merge_sort_compile_time_verifier_archINS1_11comp_targetILNS1_3genE9ELNS1_11target_archE1100ELNS1_3gpuE3ELNS1_3repE0EEES8_NS1_28merge_sort_block_sort_configILj256ELj4ELNS0_20block_sort_algorithmE0EEENS0_14default_configENS1_37merge_sort_block_sort_config_selectorIilEENS1_38merge_sort_block_merge_config_selectorIilEEEEvv,"axG",@progbits,_ZN7rocprim17ROCPRIM_400000_NS6detail44device_merge_sort_compile_time_verifier_archINS1_11comp_targetILNS1_3genE9ELNS1_11target_archE1100ELNS1_3gpuE3ELNS1_3repE0EEES8_NS1_28merge_sort_block_sort_configILj256ELj4ELNS0_20block_sort_algorithmE0EEENS0_14default_configENS1_37merge_sort_block_sort_config_selectorIilEENS1_38merge_sort_block_merge_config_selectorIilEEEEvv,comdat
	.protected	_ZN7rocprim17ROCPRIM_400000_NS6detail44device_merge_sort_compile_time_verifier_archINS1_11comp_targetILNS1_3genE9ELNS1_11target_archE1100ELNS1_3gpuE3ELNS1_3repE0EEES8_NS1_28merge_sort_block_sort_configILj256ELj4ELNS0_20block_sort_algorithmE0EEENS0_14default_configENS1_37merge_sort_block_sort_config_selectorIilEENS1_38merge_sort_block_merge_config_selectorIilEEEEvv ; -- Begin function _ZN7rocprim17ROCPRIM_400000_NS6detail44device_merge_sort_compile_time_verifier_archINS1_11comp_targetILNS1_3genE9ELNS1_11target_archE1100ELNS1_3gpuE3ELNS1_3repE0EEES8_NS1_28merge_sort_block_sort_configILj256ELj4ELNS0_20block_sort_algorithmE0EEENS0_14default_configENS1_37merge_sort_block_sort_config_selectorIilEENS1_38merge_sort_block_merge_config_selectorIilEEEEvv
	.globl	_ZN7rocprim17ROCPRIM_400000_NS6detail44device_merge_sort_compile_time_verifier_archINS1_11comp_targetILNS1_3genE9ELNS1_11target_archE1100ELNS1_3gpuE3ELNS1_3repE0EEES8_NS1_28merge_sort_block_sort_configILj256ELj4ELNS0_20block_sort_algorithmE0EEENS0_14default_configENS1_37merge_sort_block_sort_config_selectorIilEENS1_38merge_sort_block_merge_config_selectorIilEEEEvv
	.p2align	8
	.type	_ZN7rocprim17ROCPRIM_400000_NS6detail44device_merge_sort_compile_time_verifier_archINS1_11comp_targetILNS1_3genE9ELNS1_11target_archE1100ELNS1_3gpuE3ELNS1_3repE0EEES8_NS1_28merge_sort_block_sort_configILj256ELj4ELNS0_20block_sort_algorithmE0EEENS0_14default_configENS1_37merge_sort_block_sort_config_selectorIilEENS1_38merge_sort_block_merge_config_selectorIilEEEEvv,@function
_ZN7rocprim17ROCPRIM_400000_NS6detail44device_merge_sort_compile_time_verifier_archINS1_11comp_targetILNS1_3genE9ELNS1_11target_archE1100ELNS1_3gpuE3ELNS1_3repE0EEES8_NS1_28merge_sort_block_sort_configILj256ELj4ELNS0_20block_sort_algorithmE0EEENS0_14default_configENS1_37merge_sort_block_sort_config_selectorIilEENS1_38merge_sort_block_merge_config_selectorIilEEEEvv: ; @_ZN7rocprim17ROCPRIM_400000_NS6detail44device_merge_sort_compile_time_verifier_archINS1_11comp_targetILNS1_3genE9ELNS1_11target_archE1100ELNS1_3gpuE3ELNS1_3repE0EEES8_NS1_28merge_sort_block_sort_configILj256ELj4ELNS0_20block_sort_algorithmE0EEENS0_14default_configENS1_37merge_sort_block_sort_config_selectorIilEENS1_38merge_sort_block_merge_config_selectorIilEEEEvv
; %bb.0:
	s_endpgm
	.section	.rodata,"a",@progbits
	.p2align	6, 0x0
	.amdhsa_kernel _ZN7rocprim17ROCPRIM_400000_NS6detail44device_merge_sort_compile_time_verifier_archINS1_11comp_targetILNS1_3genE9ELNS1_11target_archE1100ELNS1_3gpuE3ELNS1_3repE0EEES8_NS1_28merge_sort_block_sort_configILj256ELj4ELNS0_20block_sort_algorithmE0EEENS0_14default_configENS1_37merge_sort_block_sort_config_selectorIilEENS1_38merge_sort_block_merge_config_selectorIilEEEEvv
		.amdhsa_group_segment_fixed_size 0
		.amdhsa_private_segment_fixed_size 0
		.amdhsa_kernarg_size 0
		.amdhsa_user_sgpr_count 4
		.amdhsa_user_sgpr_private_segment_buffer 1
		.amdhsa_user_sgpr_dispatch_ptr 0
		.amdhsa_user_sgpr_queue_ptr 0
		.amdhsa_user_sgpr_kernarg_segment_ptr 0
		.amdhsa_user_sgpr_dispatch_id 0
		.amdhsa_user_sgpr_flat_scratch_init 0
		.amdhsa_user_sgpr_kernarg_preload_length 0
		.amdhsa_user_sgpr_kernarg_preload_offset 0
		.amdhsa_user_sgpr_private_segment_size 0
		.amdhsa_uses_dynamic_stack 0
		.amdhsa_system_sgpr_private_segment_wavefront_offset 0
		.amdhsa_system_sgpr_workgroup_id_x 1
		.amdhsa_system_sgpr_workgroup_id_y 0
		.amdhsa_system_sgpr_workgroup_id_z 0
		.amdhsa_system_sgpr_workgroup_info 0
		.amdhsa_system_vgpr_workitem_id 0
		.amdhsa_next_free_vgpr 1
		.amdhsa_next_free_sgpr 0
		.amdhsa_accum_offset 4
		.amdhsa_reserve_vcc 0
		.amdhsa_reserve_flat_scratch 0
		.amdhsa_float_round_mode_32 0
		.amdhsa_float_round_mode_16_64 0
		.amdhsa_float_denorm_mode_32 3
		.amdhsa_float_denorm_mode_16_64 3
		.amdhsa_dx10_clamp 1
		.amdhsa_ieee_mode 1
		.amdhsa_fp16_overflow 0
		.amdhsa_tg_split 0
		.amdhsa_exception_fp_ieee_invalid_op 0
		.amdhsa_exception_fp_denorm_src 0
		.amdhsa_exception_fp_ieee_div_zero 0
		.amdhsa_exception_fp_ieee_overflow 0
		.amdhsa_exception_fp_ieee_underflow 0
		.amdhsa_exception_fp_ieee_inexact 0
		.amdhsa_exception_int_div_zero 0
	.end_amdhsa_kernel
	.section	.text._ZN7rocprim17ROCPRIM_400000_NS6detail44device_merge_sort_compile_time_verifier_archINS1_11comp_targetILNS1_3genE9ELNS1_11target_archE1100ELNS1_3gpuE3ELNS1_3repE0EEES8_NS1_28merge_sort_block_sort_configILj256ELj4ELNS0_20block_sort_algorithmE0EEENS0_14default_configENS1_37merge_sort_block_sort_config_selectorIilEENS1_38merge_sort_block_merge_config_selectorIilEEEEvv,"axG",@progbits,_ZN7rocprim17ROCPRIM_400000_NS6detail44device_merge_sort_compile_time_verifier_archINS1_11comp_targetILNS1_3genE9ELNS1_11target_archE1100ELNS1_3gpuE3ELNS1_3repE0EEES8_NS1_28merge_sort_block_sort_configILj256ELj4ELNS0_20block_sort_algorithmE0EEENS0_14default_configENS1_37merge_sort_block_sort_config_selectorIilEENS1_38merge_sort_block_merge_config_selectorIilEEEEvv,comdat
.Lfunc_end742:
	.size	_ZN7rocprim17ROCPRIM_400000_NS6detail44device_merge_sort_compile_time_verifier_archINS1_11comp_targetILNS1_3genE9ELNS1_11target_archE1100ELNS1_3gpuE3ELNS1_3repE0EEES8_NS1_28merge_sort_block_sort_configILj256ELj4ELNS0_20block_sort_algorithmE0EEENS0_14default_configENS1_37merge_sort_block_sort_config_selectorIilEENS1_38merge_sort_block_merge_config_selectorIilEEEEvv, .Lfunc_end742-_ZN7rocprim17ROCPRIM_400000_NS6detail44device_merge_sort_compile_time_verifier_archINS1_11comp_targetILNS1_3genE9ELNS1_11target_archE1100ELNS1_3gpuE3ELNS1_3repE0EEES8_NS1_28merge_sort_block_sort_configILj256ELj4ELNS0_20block_sort_algorithmE0EEENS0_14default_configENS1_37merge_sort_block_sort_config_selectorIilEENS1_38merge_sort_block_merge_config_selectorIilEEEEvv
                                        ; -- End function
	.section	.AMDGPU.csdata,"",@progbits
; Kernel info:
; codeLenInByte = 4
; NumSgprs: 4
; NumVgprs: 0
; NumAgprs: 0
; TotalNumVgprs: 0
; ScratchSize: 0
; MemoryBound: 0
; FloatMode: 240
; IeeeMode: 1
; LDSByteSize: 0 bytes/workgroup (compile time only)
; SGPRBlocks: 0
; VGPRBlocks: 0
; NumSGPRsForWavesPerEU: 4
; NumVGPRsForWavesPerEU: 1
; AccumOffset: 4
; Occupancy: 8
; WaveLimiterHint : 0
; COMPUTE_PGM_RSRC2:SCRATCH_EN: 0
; COMPUTE_PGM_RSRC2:USER_SGPR: 4
; COMPUTE_PGM_RSRC2:TRAP_HANDLER: 0
; COMPUTE_PGM_RSRC2:TGID_X_EN: 1
; COMPUTE_PGM_RSRC2:TGID_Y_EN: 0
; COMPUTE_PGM_RSRC2:TGID_Z_EN: 0
; COMPUTE_PGM_RSRC2:TIDIG_COMP_CNT: 0
; COMPUTE_PGM_RSRC3_GFX90A:ACCUM_OFFSET: 0
; COMPUTE_PGM_RSRC3_GFX90A:TG_SPLIT: 0
	.section	.text._ZN7rocprim17ROCPRIM_400000_NS6detail44device_merge_sort_compile_time_verifier_archINS1_11comp_targetILNS1_3genE8ELNS1_11target_archE1030ELNS1_3gpuE2ELNS1_3repE0EEES8_NS1_28merge_sort_block_sort_configILj256ELj4ELNS0_20block_sort_algorithmE0EEENS0_14default_configENS1_37merge_sort_block_sort_config_selectorIilEENS1_38merge_sort_block_merge_config_selectorIilEEEEvv,"axG",@progbits,_ZN7rocprim17ROCPRIM_400000_NS6detail44device_merge_sort_compile_time_verifier_archINS1_11comp_targetILNS1_3genE8ELNS1_11target_archE1030ELNS1_3gpuE2ELNS1_3repE0EEES8_NS1_28merge_sort_block_sort_configILj256ELj4ELNS0_20block_sort_algorithmE0EEENS0_14default_configENS1_37merge_sort_block_sort_config_selectorIilEENS1_38merge_sort_block_merge_config_selectorIilEEEEvv,comdat
	.protected	_ZN7rocprim17ROCPRIM_400000_NS6detail44device_merge_sort_compile_time_verifier_archINS1_11comp_targetILNS1_3genE8ELNS1_11target_archE1030ELNS1_3gpuE2ELNS1_3repE0EEES8_NS1_28merge_sort_block_sort_configILj256ELj4ELNS0_20block_sort_algorithmE0EEENS0_14default_configENS1_37merge_sort_block_sort_config_selectorIilEENS1_38merge_sort_block_merge_config_selectorIilEEEEvv ; -- Begin function _ZN7rocprim17ROCPRIM_400000_NS6detail44device_merge_sort_compile_time_verifier_archINS1_11comp_targetILNS1_3genE8ELNS1_11target_archE1030ELNS1_3gpuE2ELNS1_3repE0EEES8_NS1_28merge_sort_block_sort_configILj256ELj4ELNS0_20block_sort_algorithmE0EEENS0_14default_configENS1_37merge_sort_block_sort_config_selectorIilEENS1_38merge_sort_block_merge_config_selectorIilEEEEvv
	.globl	_ZN7rocprim17ROCPRIM_400000_NS6detail44device_merge_sort_compile_time_verifier_archINS1_11comp_targetILNS1_3genE8ELNS1_11target_archE1030ELNS1_3gpuE2ELNS1_3repE0EEES8_NS1_28merge_sort_block_sort_configILj256ELj4ELNS0_20block_sort_algorithmE0EEENS0_14default_configENS1_37merge_sort_block_sort_config_selectorIilEENS1_38merge_sort_block_merge_config_selectorIilEEEEvv
	.p2align	8
	.type	_ZN7rocprim17ROCPRIM_400000_NS6detail44device_merge_sort_compile_time_verifier_archINS1_11comp_targetILNS1_3genE8ELNS1_11target_archE1030ELNS1_3gpuE2ELNS1_3repE0EEES8_NS1_28merge_sort_block_sort_configILj256ELj4ELNS0_20block_sort_algorithmE0EEENS0_14default_configENS1_37merge_sort_block_sort_config_selectorIilEENS1_38merge_sort_block_merge_config_selectorIilEEEEvv,@function
_ZN7rocprim17ROCPRIM_400000_NS6detail44device_merge_sort_compile_time_verifier_archINS1_11comp_targetILNS1_3genE8ELNS1_11target_archE1030ELNS1_3gpuE2ELNS1_3repE0EEES8_NS1_28merge_sort_block_sort_configILj256ELj4ELNS0_20block_sort_algorithmE0EEENS0_14default_configENS1_37merge_sort_block_sort_config_selectorIilEENS1_38merge_sort_block_merge_config_selectorIilEEEEvv: ; @_ZN7rocprim17ROCPRIM_400000_NS6detail44device_merge_sort_compile_time_verifier_archINS1_11comp_targetILNS1_3genE8ELNS1_11target_archE1030ELNS1_3gpuE2ELNS1_3repE0EEES8_NS1_28merge_sort_block_sort_configILj256ELj4ELNS0_20block_sort_algorithmE0EEENS0_14default_configENS1_37merge_sort_block_sort_config_selectorIilEENS1_38merge_sort_block_merge_config_selectorIilEEEEvv
; %bb.0:
	s_endpgm
	.section	.rodata,"a",@progbits
	.p2align	6, 0x0
	.amdhsa_kernel _ZN7rocprim17ROCPRIM_400000_NS6detail44device_merge_sort_compile_time_verifier_archINS1_11comp_targetILNS1_3genE8ELNS1_11target_archE1030ELNS1_3gpuE2ELNS1_3repE0EEES8_NS1_28merge_sort_block_sort_configILj256ELj4ELNS0_20block_sort_algorithmE0EEENS0_14default_configENS1_37merge_sort_block_sort_config_selectorIilEENS1_38merge_sort_block_merge_config_selectorIilEEEEvv
		.amdhsa_group_segment_fixed_size 0
		.amdhsa_private_segment_fixed_size 0
		.amdhsa_kernarg_size 0
		.amdhsa_user_sgpr_count 4
		.amdhsa_user_sgpr_private_segment_buffer 1
		.amdhsa_user_sgpr_dispatch_ptr 0
		.amdhsa_user_sgpr_queue_ptr 0
		.amdhsa_user_sgpr_kernarg_segment_ptr 0
		.amdhsa_user_sgpr_dispatch_id 0
		.amdhsa_user_sgpr_flat_scratch_init 0
		.amdhsa_user_sgpr_kernarg_preload_length 0
		.amdhsa_user_sgpr_kernarg_preload_offset 0
		.amdhsa_user_sgpr_private_segment_size 0
		.amdhsa_uses_dynamic_stack 0
		.amdhsa_system_sgpr_private_segment_wavefront_offset 0
		.amdhsa_system_sgpr_workgroup_id_x 1
		.amdhsa_system_sgpr_workgroup_id_y 0
		.amdhsa_system_sgpr_workgroup_id_z 0
		.amdhsa_system_sgpr_workgroup_info 0
		.amdhsa_system_vgpr_workitem_id 0
		.amdhsa_next_free_vgpr 1
		.amdhsa_next_free_sgpr 0
		.amdhsa_accum_offset 4
		.amdhsa_reserve_vcc 0
		.amdhsa_reserve_flat_scratch 0
		.amdhsa_float_round_mode_32 0
		.amdhsa_float_round_mode_16_64 0
		.amdhsa_float_denorm_mode_32 3
		.amdhsa_float_denorm_mode_16_64 3
		.amdhsa_dx10_clamp 1
		.amdhsa_ieee_mode 1
		.amdhsa_fp16_overflow 0
		.amdhsa_tg_split 0
		.amdhsa_exception_fp_ieee_invalid_op 0
		.amdhsa_exception_fp_denorm_src 0
		.amdhsa_exception_fp_ieee_div_zero 0
		.amdhsa_exception_fp_ieee_overflow 0
		.amdhsa_exception_fp_ieee_underflow 0
		.amdhsa_exception_fp_ieee_inexact 0
		.amdhsa_exception_int_div_zero 0
	.end_amdhsa_kernel
	.section	.text._ZN7rocprim17ROCPRIM_400000_NS6detail44device_merge_sort_compile_time_verifier_archINS1_11comp_targetILNS1_3genE8ELNS1_11target_archE1030ELNS1_3gpuE2ELNS1_3repE0EEES8_NS1_28merge_sort_block_sort_configILj256ELj4ELNS0_20block_sort_algorithmE0EEENS0_14default_configENS1_37merge_sort_block_sort_config_selectorIilEENS1_38merge_sort_block_merge_config_selectorIilEEEEvv,"axG",@progbits,_ZN7rocprim17ROCPRIM_400000_NS6detail44device_merge_sort_compile_time_verifier_archINS1_11comp_targetILNS1_3genE8ELNS1_11target_archE1030ELNS1_3gpuE2ELNS1_3repE0EEES8_NS1_28merge_sort_block_sort_configILj256ELj4ELNS0_20block_sort_algorithmE0EEENS0_14default_configENS1_37merge_sort_block_sort_config_selectorIilEENS1_38merge_sort_block_merge_config_selectorIilEEEEvv,comdat
.Lfunc_end743:
	.size	_ZN7rocprim17ROCPRIM_400000_NS6detail44device_merge_sort_compile_time_verifier_archINS1_11comp_targetILNS1_3genE8ELNS1_11target_archE1030ELNS1_3gpuE2ELNS1_3repE0EEES8_NS1_28merge_sort_block_sort_configILj256ELj4ELNS0_20block_sort_algorithmE0EEENS0_14default_configENS1_37merge_sort_block_sort_config_selectorIilEENS1_38merge_sort_block_merge_config_selectorIilEEEEvv, .Lfunc_end743-_ZN7rocprim17ROCPRIM_400000_NS6detail44device_merge_sort_compile_time_verifier_archINS1_11comp_targetILNS1_3genE8ELNS1_11target_archE1030ELNS1_3gpuE2ELNS1_3repE0EEES8_NS1_28merge_sort_block_sort_configILj256ELj4ELNS0_20block_sort_algorithmE0EEENS0_14default_configENS1_37merge_sort_block_sort_config_selectorIilEENS1_38merge_sort_block_merge_config_selectorIilEEEEvv
                                        ; -- End function
	.section	.AMDGPU.csdata,"",@progbits
; Kernel info:
; codeLenInByte = 4
; NumSgprs: 4
; NumVgprs: 0
; NumAgprs: 0
; TotalNumVgprs: 0
; ScratchSize: 0
; MemoryBound: 0
; FloatMode: 240
; IeeeMode: 1
; LDSByteSize: 0 bytes/workgroup (compile time only)
; SGPRBlocks: 0
; VGPRBlocks: 0
; NumSGPRsForWavesPerEU: 4
; NumVGPRsForWavesPerEU: 1
; AccumOffset: 4
; Occupancy: 8
; WaveLimiterHint : 0
; COMPUTE_PGM_RSRC2:SCRATCH_EN: 0
; COMPUTE_PGM_RSRC2:USER_SGPR: 4
; COMPUTE_PGM_RSRC2:TRAP_HANDLER: 0
; COMPUTE_PGM_RSRC2:TGID_X_EN: 1
; COMPUTE_PGM_RSRC2:TGID_Y_EN: 0
; COMPUTE_PGM_RSRC2:TGID_Z_EN: 0
; COMPUTE_PGM_RSRC2:TIDIG_COMP_CNT: 0
; COMPUTE_PGM_RSRC3_GFX90A:ACCUM_OFFSET: 0
; COMPUTE_PGM_RSRC3_GFX90A:TG_SPLIT: 0
	.section	.text._ZN7rocprim17ROCPRIM_400000_NS6detail17trampoline_kernelINS0_14default_configENS1_38merge_sort_block_merge_config_selectorIilEEZZNS1_27merge_sort_block_merge_implIS3_PiN6thrust23THRUST_200600_302600_NS10device_ptrIlEEjNS1_19radix_merge_compareILb0ELb0EiNS0_19identity_decomposerEEEEE10hipError_tT0_T1_T2_jT3_P12ihipStream_tbPNSt15iterator_traitsISG_E10value_typeEPNSM_ISH_E10value_typeEPSI_NS1_7vsmem_tEENKUlT_SG_SH_SI_E_clIS7_S7_PlSB_EESF_SV_SG_SH_SI_EUlSV_E_NS1_11comp_targetILNS1_3genE0ELNS1_11target_archE4294967295ELNS1_3gpuE0ELNS1_3repE0EEENS1_48merge_mergepath_partition_config_static_selectorELNS0_4arch9wavefront6targetE1EEEvSH_,"axG",@progbits,_ZN7rocprim17ROCPRIM_400000_NS6detail17trampoline_kernelINS0_14default_configENS1_38merge_sort_block_merge_config_selectorIilEEZZNS1_27merge_sort_block_merge_implIS3_PiN6thrust23THRUST_200600_302600_NS10device_ptrIlEEjNS1_19radix_merge_compareILb0ELb0EiNS0_19identity_decomposerEEEEE10hipError_tT0_T1_T2_jT3_P12ihipStream_tbPNSt15iterator_traitsISG_E10value_typeEPNSM_ISH_E10value_typeEPSI_NS1_7vsmem_tEENKUlT_SG_SH_SI_E_clIS7_S7_PlSB_EESF_SV_SG_SH_SI_EUlSV_E_NS1_11comp_targetILNS1_3genE0ELNS1_11target_archE4294967295ELNS1_3gpuE0ELNS1_3repE0EEENS1_48merge_mergepath_partition_config_static_selectorELNS0_4arch9wavefront6targetE1EEEvSH_,comdat
	.protected	_ZN7rocprim17ROCPRIM_400000_NS6detail17trampoline_kernelINS0_14default_configENS1_38merge_sort_block_merge_config_selectorIilEEZZNS1_27merge_sort_block_merge_implIS3_PiN6thrust23THRUST_200600_302600_NS10device_ptrIlEEjNS1_19radix_merge_compareILb0ELb0EiNS0_19identity_decomposerEEEEE10hipError_tT0_T1_T2_jT3_P12ihipStream_tbPNSt15iterator_traitsISG_E10value_typeEPNSM_ISH_E10value_typeEPSI_NS1_7vsmem_tEENKUlT_SG_SH_SI_E_clIS7_S7_PlSB_EESF_SV_SG_SH_SI_EUlSV_E_NS1_11comp_targetILNS1_3genE0ELNS1_11target_archE4294967295ELNS1_3gpuE0ELNS1_3repE0EEENS1_48merge_mergepath_partition_config_static_selectorELNS0_4arch9wavefront6targetE1EEEvSH_ ; -- Begin function _ZN7rocprim17ROCPRIM_400000_NS6detail17trampoline_kernelINS0_14default_configENS1_38merge_sort_block_merge_config_selectorIilEEZZNS1_27merge_sort_block_merge_implIS3_PiN6thrust23THRUST_200600_302600_NS10device_ptrIlEEjNS1_19radix_merge_compareILb0ELb0EiNS0_19identity_decomposerEEEEE10hipError_tT0_T1_T2_jT3_P12ihipStream_tbPNSt15iterator_traitsISG_E10value_typeEPNSM_ISH_E10value_typeEPSI_NS1_7vsmem_tEENKUlT_SG_SH_SI_E_clIS7_S7_PlSB_EESF_SV_SG_SH_SI_EUlSV_E_NS1_11comp_targetILNS1_3genE0ELNS1_11target_archE4294967295ELNS1_3gpuE0ELNS1_3repE0EEENS1_48merge_mergepath_partition_config_static_selectorELNS0_4arch9wavefront6targetE1EEEvSH_
	.globl	_ZN7rocprim17ROCPRIM_400000_NS6detail17trampoline_kernelINS0_14default_configENS1_38merge_sort_block_merge_config_selectorIilEEZZNS1_27merge_sort_block_merge_implIS3_PiN6thrust23THRUST_200600_302600_NS10device_ptrIlEEjNS1_19radix_merge_compareILb0ELb0EiNS0_19identity_decomposerEEEEE10hipError_tT0_T1_T2_jT3_P12ihipStream_tbPNSt15iterator_traitsISG_E10value_typeEPNSM_ISH_E10value_typeEPSI_NS1_7vsmem_tEENKUlT_SG_SH_SI_E_clIS7_S7_PlSB_EESF_SV_SG_SH_SI_EUlSV_E_NS1_11comp_targetILNS1_3genE0ELNS1_11target_archE4294967295ELNS1_3gpuE0ELNS1_3repE0EEENS1_48merge_mergepath_partition_config_static_selectorELNS0_4arch9wavefront6targetE1EEEvSH_
	.p2align	8
	.type	_ZN7rocprim17ROCPRIM_400000_NS6detail17trampoline_kernelINS0_14default_configENS1_38merge_sort_block_merge_config_selectorIilEEZZNS1_27merge_sort_block_merge_implIS3_PiN6thrust23THRUST_200600_302600_NS10device_ptrIlEEjNS1_19radix_merge_compareILb0ELb0EiNS0_19identity_decomposerEEEEE10hipError_tT0_T1_T2_jT3_P12ihipStream_tbPNSt15iterator_traitsISG_E10value_typeEPNSM_ISH_E10value_typeEPSI_NS1_7vsmem_tEENKUlT_SG_SH_SI_E_clIS7_S7_PlSB_EESF_SV_SG_SH_SI_EUlSV_E_NS1_11comp_targetILNS1_3genE0ELNS1_11target_archE4294967295ELNS1_3gpuE0ELNS1_3repE0EEENS1_48merge_mergepath_partition_config_static_selectorELNS0_4arch9wavefront6targetE1EEEvSH_,@function
_ZN7rocprim17ROCPRIM_400000_NS6detail17trampoline_kernelINS0_14default_configENS1_38merge_sort_block_merge_config_selectorIilEEZZNS1_27merge_sort_block_merge_implIS3_PiN6thrust23THRUST_200600_302600_NS10device_ptrIlEEjNS1_19radix_merge_compareILb0ELb0EiNS0_19identity_decomposerEEEEE10hipError_tT0_T1_T2_jT3_P12ihipStream_tbPNSt15iterator_traitsISG_E10value_typeEPNSM_ISH_E10value_typeEPSI_NS1_7vsmem_tEENKUlT_SG_SH_SI_E_clIS7_S7_PlSB_EESF_SV_SG_SH_SI_EUlSV_E_NS1_11comp_targetILNS1_3genE0ELNS1_11target_archE4294967295ELNS1_3gpuE0ELNS1_3repE0EEENS1_48merge_mergepath_partition_config_static_selectorELNS0_4arch9wavefront6targetE1EEEvSH_: ; @_ZN7rocprim17ROCPRIM_400000_NS6detail17trampoline_kernelINS0_14default_configENS1_38merge_sort_block_merge_config_selectorIilEEZZNS1_27merge_sort_block_merge_implIS3_PiN6thrust23THRUST_200600_302600_NS10device_ptrIlEEjNS1_19radix_merge_compareILb0ELb0EiNS0_19identity_decomposerEEEEE10hipError_tT0_T1_T2_jT3_P12ihipStream_tbPNSt15iterator_traitsISG_E10value_typeEPNSM_ISH_E10value_typeEPSI_NS1_7vsmem_tEENKUlT_SG_SH_SI_E_clIS7_S7_PlSB_EESF_SV_SG_SH_SI_EUlSV_E_NS1_11comp_targetILNS1_3genE0ELNS1_11target_archE4294967295ELNS1_3gpuE0ELNS1_3repE0EEENS1_48merge_mergepath_partition_config_static_selectorELNS0_4arch9wavefront6targetE1EEEvSH_
; %bb.0:
	.section	.rodata,"a",@progbits
	.p2align	6, 0x0
	.amdhsa_kernel _ZN7rocprim17ROCPRIM_400000_NS6detail17trampoline_kernelINS0_14default_configENS1_38merge_sort_block_merge_config_selectorIilEEZZNS1_27merge_sort_block_merge_implIS3_PiN6thrust23THRUST_200600_302600_NS10device_ptrIlEEjNS1_19radix_merge_compareILb0ELb0EiNS0_19identity_decomposerEEEEE10hipError_tT0_T1_T2_jT3_P12ihipStream_tbPNSt15iterator_traitsISG_E10value_typeEPNSM_ISH_E10value_typeEPSI_NS1_7vsmem_tEENKUlT_SG_SH_SI_E_clIS7_S7_PlSB_EESF_SV_SG_SH_SI_EUlSV_E_NS1_11comp_targetILNS1_3genE0ELNS1_11target_archE4294967295ELNS1_3gpuE0ELNS1_3repE0EEENS1_48merge_mergepath_partition_config_static_selectorELNS0_4arch9wavefront6targetE1EEEvSH_
		.amdhsa_group_segment_fixed_size 0
		.amdhsa_private_segment_fixed_size 0
		.amdhsa_kernarg_size 40
		.amdhsa_user_sgpr_count 6
		.amdhsa_user_sgpr_private_segment_buffer 1
		.amdhsa_user_sgpr_dispatch_ptr 0
		.amdhsa_user_sgpr_queue_ptr 0
		.amdhsa_user_sgpr_kernarg_segment_ptr 1
		.amdhsa_user_sgpr_dispatch_id 0
		.amdhsa_user_sgpr_flat_scratch_init 0
		.amdhsa_user_sgpr_kernarg_preload_length 0
		.amdhsa_user_sgpr_kernarg_preload_offset 0
		.amdhsa_user_sgpr_private_segment_size 0
		.amdhsa_uses_dynamic_stack 0
		.amdhsa_system_sgpr_private_segment_wavefront_offset 0
		.amdhsa_system_sgpr_workgroup_id_x 1
		.amdhsa_system_sgpr_workgroup_id_y 0
		.amdhsa_system_sgpr_workgroup_id_z 0
		.amdhsa_system_sgpr_workgroup_info 0
		.amdhsa_system_vgpr_workitem_id 0
		.amdhsa_next_free_vgpr 1
		.amdhsa_next_free_sgpr 0
		.amdhsa_accum_offset 4
		.amdhsa_reserve_vcc 0
		.amdhsa_reserve_flat_scratch 0
		.amdhsa_float_round_mode_32 0
		.amdhsa_float_round_mode_16_64 0
		.amdhsa_float_denorm_mode_32 3
		.amdhsa_float_denorm_mode_16_64 3
		.amdhsa_dx10_clamp 1
		.amdhsa_ieee_mode 1
		.amdhsa_fp16_overflow 0
		.amdhsa_tg_split 0
		.amdhsa_exception_fp_ieee_invalid_op 0
		.amdhsa_exception_fp_denorm_src 0
		.amdhsa_exception_fp_ieee_div_zero 0
		.amdhsa_exception_fp_ieee_overflow 0
		.amdhsa_exception_fp_ieee_underflow 0
		.amdhsa_exception_fp_ieee_inexact 0
		.amdhsa_exception_int_div_zero 0
	.end_amdhsa_kernel
	.section	.text._ZN7rocprim17ROCPRIM_400000_NS6detail17trampoline_kernelINS0_14default_configENS1_38merge_sort_block_merge_config_selectorIilEEZZNS1_27merge_sort_block_merge_implIS3_PiN6thrust23THRUST_200600_302600_NS10device_ptrIlEEjNS1_19radix_merge_compareILb0ELb0EiNS0_19identity_decomposerEEEEE10hipError_tT0_T1_T2_jT3_P12ihipStream_tbPNSt15iterator_traitsISG_E10value_typeEPNSM_ISH_E10value_typeEPSI_NS1_7vsmem_tEENKUlT_SG_SH_SI_E_clIS7_S7_PlSB_EESF_SV_SG_SH_SI_EUlSV_E_NS1_11comp_targetILNS1_3genE0ELNS1_11target_archE4294967295ELNS1_3gpuE0ELNS1_3repE0EEENS1_48merge_mergepath_partition_config_static_selectorELNS0_4arch9wavefront6targetE1EEEvSH_,"axG",@progbits,_ZN7rocprim17ROCPRIM_400000_NS6detail17trampoline_kernelINS0_14default_configENS1_38merge_sort_block_merge_config_selectorIilEEZZNS1_27merge_sort_block_merge_implIS3_PiN6thrust23THRUST_200600_302600_NS10device_ptrIlEEjNS1_19radix_merge_compareILb0ELb0EiNS0_19identity_decomposerEEEEE10hipError_tT0_T1_T2_jT3_P12ihipStream_tbPNSt15iterator_traitsISG_E10value_typeEPNSM_ISH_E10value_typeEPSI_NS1_7vsmem_tEENKUlT_SG_SH_SI_E_clIS7_S7_PlSB_EESF_SV_SG_SH_SI_EUlSV_E_NS1_11comp_targetILNS1_3genE0ELNS1_11target_archE4294967295ELNS1_3gpuE0ELNS1_3repE0EEENS1_48merge_mergepath_partition_config_static_selectorELNS0_4arch9wavefront6targetE1EEEvSH_,comdat
.Lfunc_end744:
	.size	_ZN7rocprim17ROCPRIM_400000_NS6detail17trampoline_kernelINS0_14default_configENS1_38merge_sort_block_merge_config_selectorIilEEZZNS1_27merge_sort_block_merge_implIS3_PiN6thrust23THRUST_200600_302600_NS10device_ptrIlEEjNS1_19radix_merge_compareILb0ELb0EiNS0_19identity_decomposerEEEEE10hipError_tT0_T1_T2_jT3_P12ihipStream_tbPNSt15iterator_traitsISG_E10value_typeEPNSM_ISH_E10value_typeEPSI_NS1_7vsmem_tEENKUlT_SG_SH_SI_E_clIS7_S7_PlSB_EESF_SV_SG_SH_SI_EUlSV_E_NS1_11comp_targetILNS1_3genE0ELNS1_11target_archE4294967295ELNS1_3gpuE0ELNS1_3repE0EEENS1_48merge_mergepath_partition_config_static_selectorELNS0_4arch9wavefront6targetE1EEEvSH_, .Lfunc_end744-_ZN7rocprim17ROCPRIM_400000_NS6detail17trampoline_kernelINS0_14default_configENS1_38merge_sort_block_merge_config_selectorIilEEZZNS1_27merge_sort_block_merge_implIS3_PiN6thrust23THRUST_200600_302600_NS10device_ptrIlEEjNS1_19radix_merge_compareILb0ELb0EiNS0_19identity_decomposerEEEEE10hipError_tT0_T1_T2_jT3_P12ihipStream_tbPNSt15iterator_traitsISG_E10value_typeEPNSM_ISH_E10value_typeEPSI_NS1_7vsmem_tEENKUlT_SG_SH_SI_E_clIS7_S7_PlSB_EESF_SV_SG_SH_SI_EUlSV_E_NS1_11comp_targetILNS1_3genE0ELNS1_11target_archE4294967295ELNS1_3gpuE0ELNS1_3repE0EEENS1_48merge_mergepath_partition_config_static_selectorELNS0_4arch9wavefront6targetE1EEEvSH_
                                        ; -- End function
	.section	.AMDGPU.csdata,"",@progbits
; Kernel info:
; codeLenInByte = 0
; NumSgprs: 4
; NumVgprs: 0
; NumAgprs: 0
; TotalNumVgprs: 0
; ScratchSize: 0
; MemoryBound: 0
; FloatMode: 240
; IeeeMode: 1
; LDSByteSize: 0 bytes/workgroup (compile time only)
; SGPRBlocks: 0
; VGPRBlocks: 0
; NumSGPRsForWavesPerEU: 4
; NumVGPRsForWavesPerEU: 1
; AccumOffset: 4
; Occupancy: 8
; WaveLimiterHint : 0
; COMPUTE_PGM_RSRC2:SCRATCH_EN: 0
; COMPUTE_PGM_RSRC2:USER_SGPR: 6
; COMPUTE_PGM_RSRC2:TRAP_HANDLER: 0
; COMPUTE_PGM_RSRC2:TGID_X_EN: 1
; COMPUTE_PGM_RSRC2:TGID_Y_EN: 0
; COMPUTE_PGM_RSRC2:TGID_Z_EN: 0
; COMPUTE_PGM_RSRC2:TIDIG_COMP_CNT: 0
; COMPUTE_PGM_RSRC3_GFX90A:ACCUM_OFFSET: 0
; COMPUTE_PGM_RSRC3_GFX90A:TG_SPLIT: 0
	.section	.text._ZN7rocprim17ROCPRIM_400000_NS6detail17trampoline_kernelINS0_14default_configENS1_38merge_sort_block_merge_config_selectorIilEEZZNS1_27merge_sort_block_merge_implIS3_PiN6thrust23THRUST_200600_302600_NS10device_ptrIlEEjNS1_19radix_merge_compareILb0ELb0EiNS0_19identity_decomposerEEEEE10hipError_tT0_T1_T2_jT3_P12ihipStream_tbPNSt15iterator_traitsISG_E10value_typeEPNSM_ISH_E10value_typeEPSI_NS1_7vsmem_tEENKUlT_SG_SH_SI_E_clIS7_S7_PlSB_EESF_SV_SG_SH_SI_EUlSV_E_NS1_11comp_targetILNS1_3genE10ELNS1_11target_archE1201ELNS1_3gpuE5ELNS1_3repE0EEENS1_48merge_mergepath_partition_config_static_selectorELNS0_4arch9wavefront6targetE1EEEvSH_,"axG",@progbits,_ZN7rocprim17ROCPRIM_400000_NS6detail17trampoline_kernelINS0_14default_configENS1_38merge_sort_block_merge_config_selectorIilEEZZNS1_27merge_sort_block_merge_implIS3_PiN6thrust23THRUST_200600_302600_NS10device_ptrIlEEjNS1_19radix_merge_compareILb0ELb0EiNS0_19identity_decomposerEEEEE10hipError_tT0_T1_T2_jT3_P12ihipStream_tbPNSt15iterator_traitsISG_E10value_typeEPNSM_ISH_E10value_typeEPSI_NS1_7vsmem_tEENKUlT_SG_SH_SI_E_clIS7_S7_PlSB_EESF_SV_SG_SH_SI_EUlSV_E_NS1_11comp_targetILNS1_3genE10ELNS1_11target_archE1201ELNS1_3gpuE5ELNS1_3repE0EEENS1_48merge_mergepath_partition_config_static_selectorELNS0_4arch9wavefront6targetE1EEEvSH_,comdat
	.protected	_ZN7rocprim17ROCPRIM_400000_NS6detail17trampoline_kernelINS0_14default_configENS1_38merge_sort_block_merge_config_selectorIilEEZZNS1_27merge_sort_block_merge_implIS3_PiN6thrust23THRUST_200600_302600_NS10device_ptrIlEEjNS1_19radix_merge_compareILb0ELb0EiNS0_19identity_decomposerEEEEE10hipError_tT0_T1_T2_jT3_P12ihipStream_tbPNSt15iterator_traitsISG_E10value_typeEPNSM_ISH_E10value_typeEPSI_NS1_7vsmem_tEENKUlT_SG_SH_SI_E_clIS7_S7_PlSB_EESF_SV_SG_SH_SI_EUlSV_E_NS1_11comp_targetILNS1_3genE10ELNS1_11target_archE1201ELNS1_3gpuE5ELNS1_3repE0EEENS1_48merge_mergepath_partition_config_static_selectorELNS0_4arch9wavefront6targetE1EEEvSH_ ; -- Begin function _ZN7rocprim17ROCPRIM_400000_NS6detail17trampoline_kernelINS0_14default_configENS1_38merge_sort_block_merge_config_selectorIilEEZZNS1_27merge_sort_block_merge_implIS3_PiN6thrust23THRUST_200600_302600_NS10device_ptrIlEEjNS1_19radix_merge_compareILb0ELb0EiNS0_19identity_decomposerEEEEE10hipError_tT0_T1_T2_jT3_P12ihipStream_tbPNSt15iterator_traitsISG_E10value_typeEPNSM_ISH_E10value_typeEPSI_NS1_7vsmem_tEENKUlT_SG_SH_SI_E_clIS7_S7_PlSB_EESF_SV_SG_SH_SI_EUlSV_E_NS1_11comp_targetILNS1_3genE10ELNS1_11target_archE1201ELNS1_3gpuE5ELNS1_3repE0EEENS1_48merge_mergepath_partition_config_static_selectorELNS0_4arch9wavefront6targetE1EEEvSH_
	.globl	_ZN7rocprim17ROCPRIM_400000_NS6detail17trampoline_kernelINS0_14default_configENS1_38merge_sort_block_merge_config_selectorIilEEZZNS1_27merge_sort_block_merge_implIS3_PiN6thrust23THRUST_200600_302600_NS10device_ptrIlEEjNS1_19radix_merge_compareILb0ELb0EiNS0_19identity_decomposerEEEEE10hipError_tT0_T1_T2_jT3_P12ihipStream_tbPNSt15iterator_traitsISG_E10value_typeEPNSM_ISH_E10value_typeEPSI_NS1_7vsmem_tEENKUlT_SG_SH_SI_E_clIS7_S7_PlSB_EESF_SV_SG_SH_SI_EUlSV_E_NS1_11comp_targetILNS1_3genE10ELNS1_11target_archE1201ELNS1_3gpuE5ELNS1_3repE0EEENS1_48merge_mergepath_partition_config_static_selectorELNS0_4arch9wavefront6targetE1EEEvSH_
	.p2align	8
	.type	_ZN7rocprim17ROCPRIM_400000_NS6detail17trampoline_kernelINS0_14default_configENS1_38merge_sort_block_merge_config_selectorIilEEZZNS1_27merge_sort_block_merge_implIS3_PiN6thrust23THRUST_200600_302600_NS10device_ptrIlEEjNS1_19radix_merge_compareILb0ELb0EiNS0_19identity_decomposerEEEEE10hipError_tT0_T1_T2_jT3_P12ihipStream_tbPNSt15iterator_traitsISG_E10value_typeEPNSM_ISH_E10value_typeEPSI_NS1_7vsmem_tEENKUlT_SG_SH_SI_E_clIS7_S7_PlSB_EESF_SV_SG_SH_SI_EUlSV_E_NS1_11comp_targetILNS1_3genE10ELNS1_11target_archE1201ELNS1_3gpuE5ELNS1_3repE0EEENS1_48merge_mergepath_partition_config_static_selectorELNS0_4arch9wavefront6targetE1EEEvSH_,@function
_ZN7rocprim17ROCPRIM_400000_NS6detail17trampoline_kernelINS0_14default_configENS1_38merge_sort_block_merge_config_selectorIilEEZZNS1_27merge_sort_block_merge_implIS3_PiN6thrust23THRUST_200600_302600_NS10device_ptrIlEEjNS1_19radix_merge_compareILb0ELb0EiNS0_19identity_decomposerEEEEE10hipError_tT0_T1_T2_jT3_P12ihipStream_tbPNSt15iterator_traitsISG_E10value_typeEPNSM_ISH_E10value_typeEPSI_NS1_7vsmem_tEENKUlT_SG_SH_SI_E_clIS7_S7_PlSB_EESF_SV_SG_SH_SI_EUlSV_E_NS1_11comp_targetILNS1_3genE10ELNS1_11target_archE1201ELNS1_3gpuE5ELNS1_3repE0EEENS1_48merge_mergepath_partition_config_static_selectorELNS0_4arch9wavefront6targetE1EEEvSH_: ; @_ZN7rocprim17ROCPRIM_400000_NS6detail17trampoline_kernelINS0_14default_configENS1_38merge_sort_block_merge_config_selectorIilEEZZNS1_27merge_sort_block_merge_implIS3_PiN6thrust23THRUST_200600_302600_NS10device_ptrIlEEjNS1_19radix_merge_compareILb0ELb0EiNS0_19identity_decomposerEEEEE10hipError_tT0_T1_T2_jT3_P12ihipStream_tbPNSt15iterator_traitsISG_E10value_typeEPNSM_ISH_E10value_typeEPSI_NS1_7vsmem_tEENKUlT_SG_SH_SI_E_clIS7_S7_PlSB_EESF_SV_SG_SH_SI_EUlSV_E_NS1_11comp_targetILNS1_3genE10ELNS1_11target_archE1201ELNS1_3gpuE5ELNS1_3repE0EEENS1_48merge_mergepath_partition_config_static_selectorELNS0_4arch9wavefront6targetE1EEEvSH_
; %bb.0:
	.section	.rodata,"a",@progbits
	.p2align	6, 0x0
	.amdhsa_kernel _ZN7rocprim17ROCPRIM_400000_NS6detail17trampoline_kernelINS0_14default_configENS1_38merge_sort_block_merge_config_selectorIilEEZZNS1_27merge_sort_block_merge_implIS3_PiN6thrust23THRUST_200600_302600_NS10device_ptrIlEEjNS1_19radix_merge_compareILb0ELb0EiNS0_19identity_decomposerEEEEE10hipError_tT0_T1_T2_jT3_P12ihipStream_tbPNSt15iterator_traitsISG_E10value_typeEPNSM_ISH_E10value_typeEPSI_NS1_7vsmem_tEENKUlT_SG_SH_SI_E_clIS7_S7_PlSB_EESF_SV_SG_SH_SI_EUlSV_E_NS1_11comp_targetILNS1_3genE10ELNS1_11target_archE1201ELNS1_3gpuE5ELNS1_3repE0EEENS1_48merge_mergepath_partition_config_static_selectorELNS0_4arch9wavefront6targetE1EEEvSH_
		.amdhsa_group_segment_fixed_size 0
		.amdhsa_private_segment_fixed_size 0
		.amdhsa_kernarg_size 40
		.amdhsa_user_sgpr_count 6
		.amdhsa_user_sgpr_private_segment_buffer 1
		.amdhsa_user_sgpr_dispatch_ptr 0
		.amdhsa_user_sgpr_queue_ptr 0
		.amdhsa_user_sgpr_kernarg_segment_ptr 1
		.amdhsa_user_sgpr_dispatch_id 0
		.amdhsa_user_sgpr_flat_scratch_init 0
		.amdhsa_user_sgpr_kernarg_preload_length 0
		.amdhsa_user_sgpr_kernarg_preload_offset 0
		.amdhsa_user_sgpr_private_segment_size 0
		.amdhsa_uses_dynamic_stack 0
		.amdhsa_system_sgpr_private_segment_wavefront_offset 0
		.amdhsa_system_sgpr_workgroup_id_x 1
		.amdhsa_system_sgpr_workgroup_id_y 0
		.amdhsa_system_sgpr_workgroup_id_z 0
		.amdhsa_system_sgpr_workgroup_info 0
		.amdhsa_system_vgpr_workitem_id 0
		.amdhsa_next_free_vgpr 1
		.amdhsa_next_free_sgpr 0
		.amdhsa_accum_offset 4
		.amdhsa_reserve_vcc 0
		.amdhsa_reserve_flat_scratch 0
		.amdhsa_float_round_mode_32 0
		.amdhsa_float_round_mode_16_64 0
		.amdhsa_float_denorm_mode_32 3
		.amdhsa_float_denorm_mode_16_64 3
		.amdhsa_dx10_clamp 1
		.amdhsa_ieee_mode 1
		.amdhsa_fp16_overflow 0
		.amdhsa_tg_split 0
		.amdhsa_exception_fp_ieee_invalid_op 0
		.amdhsa_exception_fp_denorm_src 0
		.amdhsa_exception_fp_ieee_div_zero 0
		.amdhsa_exception_fp_ieee_overflow 0
		.amdhsa_exception_fp_ieee_underflow 0
		.amdhsa_exception_fp_ieee_inexact 0
		.amdhsa_exception_int_div_zero 0
	.end_amdhsa_kernel
	.section	.text._ZN7rocprim17ROCPRIM_400000_NS6detail17trampoline_kernelINS0_14default_configENS1_38merge_sort_block_merge_config_selectorIilEEZZNS1_27merge_sort_block_merge_implIS3_PiN6thrust23THRUST_200600_302600_NS10device_ptrIlEEjNS1_19radix_merge_compareILb0ELb0EiNS0_19identity_decomposerEEEEE10hipError_tT0_T1_T2_jT3_P12ihipStream_tbPNSt15iterator_traitsISG_E10value_typeEPNSM_ISH_E10value_typeEPSI_NS1_7vsmem_tEENKUlT_SG_SH_SI_E_clIS7_S7_PlSB_EESF_SV_SG_SH_SI_EUlSV_E_NS1_11comp_targetILNS1_3genE10ELNS1_11target_archE1201ELNS1_3gpuE5ELNS1_3repE0EEENS1_48merge_mergepath_partition_config_static_selectorELNS0_4arch9wavefront6targetE1EEEvSH_,"axG",@progbits,_ZN7rocprim17ROCPRIM_400000_NS6detail17trampoline_kernelINS0_14default_configENS1_38merge_sort_block_merge_config_selectorIilEEZZNS1_27merge_sort_block_merge_implIS3_PiN6thrust23THRUST_200600_302600_NS10device_ptrIlEEjNS1_19radix_merge_compareILb0ELb0EiNS0_19identity_decomposerEEEEE10hipError_tT0_T1_T2_jT3_P12ihipStream_tbPNSt15iterator_traitsISG_E10value_typeEPNSM_ISH_E10value_typeEPSI_NS1_7vsmem_tEENKUlT_SG_SH_SI_E_clIS7_S7_PlSB_EESF_SV_SG_SH_SI_EUlSV_E_NS1_11comp_targetILNS1_3genE10ELNS1_11target_archE1201ELNS1_3gpuE5ELNS1_3repE0EEENS1_48merge_mergepath_partition_config_static_selectorELNS0_4arch9wavefront6targetE1EEEvSH_,comdat
.Lfunc_end745:
	.size	_ZN7rocprim17ROCPRIM_400000_NS6detail17trampoline_kernelINS0_14default_configENS1_38merge_sort_block_merge_config_selectorIilEEZZNS1_27merge_sort_block_merge_implIS3_PiN6thrust23THRUST_200600_302600_NS10device_ptrIlEEjNS1_19radix_merge_compareILb0ELb0EiNS0_19identity_decomposerEEEEE10hipError_tT0_T1_T2_jT3_P12ihipStream_tbPNSt15iterator_traitsISG_E10value_typeEPNSM_ISH_E10value_typeEPSI_NS1_7vsmem_tEENKUlT_SG_SH_SI_E_clIS7_S7_PlSB_EESF_SV_SG_SH_SI_EUlSV_E_NS1_11comp_targetILNS1_3genE10ELNS1_11target_archE1201ELNS1_3gpuE5ELNS1_3repE0EEENS1_48merge_mergepath_partition_config_static_selectorELNS0_4arch9wavefront6targetE1EEEvSH_, .Lfunc_end745-_ZN7rocprim17ROCPRIM_400000_NS6detail17trampoline_kernelINS0_14default_configENS1_38merge_sort_block_merge_config_selectorIilEEZZNS1_27merge_sort_block_merge_implIS3_PiN6thrust23THRUST_200600_302600_NS10device_ptrIlEEjNS1_19radix_merge_compareILb0ELb0EiNS0_19identity_decomposerEEEEE10hipError_tT0_T1_T2_jT3_P12ihipStream_tbPNSt15iterator_traitsISG_E10value_typeEPNSM_ISH_E10value_typeEPSI_NS1_7vsmem_tEENKUlT_SG_SH_SI_E_clIS7_S7_PlSB_EESF_SV_SG_SH_SI_EUlSV_E_NS1_11comp_targetILNS1_3genE10ELNS1_11target_archE1201ELNS1_3gpuE5ELNS1_3repE0EEENS1_48merge_mergepath_partition_config_static_selectorELNS0_4arch9wavefront6targetE1EEEvSH_
                                        ; -- End function
	.section	.AMDGPU.csdata,"",@progbits
; Kernel info:
; codeLenInByte = 0
; NumSgprs: 4
; NumVgprs: 0
; NumAgprs: 0
; TotalNumVgprs: 0
; ScratchSize: 0
; MemoryBound: 0
; FloatMode: 240
; IeeeMode: 1
; LDSByteSize: 0 bytes/workgroup (compile time only)
; SGPRBlocks: 0
; VGPRBlocks: 0
; NumSGPRsForWavesPerEU: 4
; NumVGPRsForWavesPerEU: 1
; AccumOffset: 4
; Occupancy: 8
; WaveLimiterHint : 0
; COMPUTE_PGM_RSRC2:SCRATCH_EN: 0
; COMPUTE_PGM_RSRC2:USER_SGPR: 6
; COMPUTE_PGM_RSRC2:TRAP_HANDLER: 0
; COMPUTE_PGM_RSRC2:TGID_X_EN: 1
; COMPUTE_PGM_RSRC2:TGID_Y_EN: 0
; COMPUTE_PGM_RSRC2:TGID_Z_EN: 0
; COMPUTE_PGM_RSRC2:TIDIG_COMP_CNT: 0
; COMPUTE_PGM_RSRC3_GFX90A:ACCUM_OFFSET: 0
; COMPUTE_PGM_RSRC3_GFX90A:TG_SPLIT: 0
	.section	.text._ZN7rocprim17ROCPRIM_400000_NS6detail17trampoline_kernelINS0_14default_configENS1_38merge_sort_block_merge_config_selectorIilEEZZNS1_27merge_sort_block_merge_implIS3_PiN6thrust23THRUST_200600_302600_NS10device_ptrIlEEjNS1_19radix_merge_compareILb0ELb0EiNS0_19identity_decomposerEEEEE10hipError_tT0_T1_T2_jT3_P12ihipStream_tbPNSt15iterator_traitsISG_E10value_typeEPNSM_ISH_E10value_typeEPSI_NS1_7vsmem_tEENKUlT_SG_SH_SI_E_clIS7_S7_PlSB_EESF_SV_SG_SH_SI_EUlSV_E_NS1_11comp_targetILNS1_3genE5ELNS1_11target_archE942ELNS1_3gpuE9ELNS1_3repE0EEENS1_48merge_mergepath_partition_config_static_selectorELNS0_4arch9wavefront6targetE1EEEvSH_,"axG",@progbits,_ZN7rocprim17ROCPRIM_400000_NS6detail17trampoline_kernelINS0_14default_configENS1_38merge_sort_block_merge_config_selectorIilEEZZNS1_27merge_sort_block_merge_implIS3_PiN6thrust23THRUST_200600_302600_NS10device_ptrIlEEjNS1_19radix_merge_compareILb0ELb0EiNS0_19identity_decomposerEEEEE10hipError_tT0_T1_T2_jT3_P12ihipStream_tbPNSt15iterator_traitsISG_E10value_typeEPNSM_ISH_E10value_typeEPSI_NS1_7vsmem_tEENKUlT_SG_SH_SI_E_clIS7_S7_PlSB_EESF_SV_SG_SH_SI_EUlSV_E_NS1_11comp_targetILNS1_3genE5ELNS1_11target_archE942ELNS1_3gpuE9ELNS1_3repE0EEENS1_48merge_mergepath_partition_config_static_selectorELNS0_4arch9wavefront6targetE1EEEvSH_,comdat
	.protected	_ZN7rocprim17ROCPRIM_400000_NS6detail17trampoline_kernelINS0_14default_configENS1_38merge_sort_block_merge_config_selectorIilEEZZNS1_27merge_sort_block_merge_implIS3_PiN6thrust23THRUST_200600_302600_NS10device_ptrIlEEjNS1_19radix_merge_compareILb0ELb0EiNS0_19identity_decomposerEEEEE10hipError_tT0_T1_T2_jT3_P12ihipStream_tbPNSt15iterator_traitsISG_E10value_typeEPNSM_ISH_E10value_typeEPSI_NS1_7vsmem_tEENKUlT_SG_SH_SI_E_clIS7_S7_PlSB_EESF_SV_SG_SH_SI_EUlSV_E_NS1_11comp_targetILNS1_3genE5ELNS1_11target_archE942ELNS1_3gpuE9ELNS1_3repE0EEENS1_48merge_mergepath_partition_config_static_selectorELNS0_4arch9wavefront6targetE1EEEvSH_ ; -- Begin function _ZN7rocprim17ROCPRIM_400000_NS6detail17trampoline_kernelINS0_14default_configENS1_38merge_sort_block_merge_config_selectorIilEEZZNS1_27merge_sort_block_merge_implIS3_PiN6thrust23THRUST_200600_302600_NS10device_ptrIlEEjNS1_19radix_merge_compareILb0ELb0EiNS0_19identity_decomposerEEEEE10hipError_tT0_T1_T2_jT3_P12ihipStream_tbPNSt15iterator_traitsISG_E10value_typeEPNSM_ISH_E10value_typeEPSI_NS1_7vsmem_tEENKUlT_SG_SH_SI_E_clIS7_S7_PlSB_EESF_SV_SG_SH_SI_EUlSV_E_NS1_11comp_targetILNS1_3genE5ELNS1_11target_archE942ELNS1_3gpuE9ELNS1_3repE0EEENS1_48merge_mergepath_partition_config_static_selectorELNS0_4arch9wavefront6targetE1EEEvSH_
	.globl	_ZN7rocprim17ROCPRIM_400000_NS6detail17trampoline_kernelINS0_14default_configENS1_38merge_sort_block_merge_config_selectorIilEEZZNS1_27merge_sort_block_merge_implIS3_PiN6thrust23THRUST_200600_302600_NS10device_ptrIlEEjNS1_19radix_merge_compareILb0ELb0EiNS0_19identity_decomposerEEEEE10hipError_tT0_T1_T2_jT3_P12ihipStream_tbPNSt15iterator_traitsISG_E10value_typeEPNSM_ISH_E10value_typeEPSI_NS1_7vsmem_tEENKUlT_SG_SH_SI_E_clIS7_S7_PlSB_EESF_SV_SG_SH_SI_EUlSV_E_NS1_11comp_targetILNS1_3genE5ELNS1_11target_archE942ELNS1_3gpuE9ELNS1_3repE0EEENS1_48merge_mergepath_partition_config_static_selectorELNS0_4arch9wavefront6targetE1EEEvSH_
	.p2align	8
	.type	_ZN7rocprim17ROCPRIM_400000_NS6detail17trampoline_kernelINS0_14default_configENS1_38merge_sort_block_merge_config_selectorIilEEZZNS1_27merge_sort_block_merge_implIS3_PiN6thrust23THRUST_200600_302600_NS10device_ptrIlEEjNS1_19radix_merge_compareILb0ELb0EiNS0_19identity_decomposerEEEEE10hipError_tT0_T1_T2_jT3_P12ihipStream_tbPNSt15iterator_traitsISG_E10value_typeEPNSM_ISH_E10value_typeEPSI_NS1_7vsmem_tEENKUlT_SG_SH_SI_E_clIS7_S7_PlSB_EESF_SV_SG_SH_SI_EUlSV_E_NS1_11comp_targetILNS1_3genE5ELNS1_11target_archE942ELNS1_3gpuE9ELNS1_3repE0EEENS1_48merge_mergepath_partition_config_static_selectorELNS0_4arch9wavefront6targetE1EEEvSH_,@function
_ZN7rocprim17ROCPRIM_400000_NS6detail17trampoline_kernelINS0_14default_configENS1_38merge_sort_block_merge_config_selectorIilEEZZNS1_27merge_sort_block_merge_implIS3_PiN6thrust23THRUST_200600_302600_NS10device_ptrIlEEjNS1_19radix_merge_compareILb0ELb0EiNS0_19identity_decomposerEEEEE10hipError_tT0_T1_T2_jT3_P12ihipStream_tbPNSt15iterator_traitsISG_E10value_typeEPNSM_ISH_E10value_typeEPSI_NS1_7vsmem_tEENKUlT_SG_SH_SI_E_clIS7_S7_PlSB_EESF_SV_SG_SH_SI_EUlSV_E_NS1_11comp_targetILNS1_3genE5ELNS1_11target_archE942ELNS1_3gpuE9ELNS1_3repE0EEENS1_48merge_mergepath_partition_config_static_selectorELNS0_4arch9wavefront6targetE1EEEvSH_: ; @_ZN7rocprim17ROCPRIM_400000_NS6detail17trampoline_kernelINS0_14default_configENS1_38merge_sort_block_merge_config_selectorIilEEZZNS1_27merge_sort_block_merge_implIS3_PiN6thrust23THRUST_200600_302600_NS10device_ptrIlEEjNS1_19radix_merge_compareILb0ELb0EiNS0_19identity_decomposerEEEEE10hipError_tT0_T1_T2_jT3_P12ihipStream_tbPNSt15iterator_traitsISG_E10value_typeEPNSM_ISH_E10value_typeEPSI_NS1_7vsmem_tEENKUlT_SG_SH_SI_E_clIS7_S7_PlSB_EESF_SV_SG_SH_SI_EUlSV_E_NS1_11comp_targetILNS1_3genE5ELNS1_11target_archE942ELNS1_3gpuE9ELNS1_3repE0EEENS1_48merge_mergepath_partition_config_static_selectorELNS0_4arch9wavefront6targetE1EEEvSH_
; %bb.0:
	.section	.rodata,"a",@progbits
	.p2align	6, 0x0
	.amdhsa_kernel _ZN7rocprim17ROCPRIM_400000_NS6detail17trampoline_kernelINS0_14default_configENS1_38merge_sort_block_merge_config_selectorIilEEZZNS1_27merge_sort_block_merge_implIS3_PiN6thrust23THRUST_200600_302600_NS10device_ptrIlEEjNS1_19radix_merge_compareILb0ELb0EiNS0_19identity_decomposerEEEEE10hipError_tT0_T1_T2_jT3_P12ihipStream_tbPNSt15iterator_traitsISG_E10value_typeEPNSM_ISH_E10value_typeEPSI_NS1_7vsmem_tEENKUlT_SG_SH_SI_E_clIS7_S7_PlSB_EESF_SV_SG_SH_SI_EUlSV_E_NS1_11comp_targetILNS1_3genE5ELNS1_11target_archE942ELNS1_3gpuE9ELNS1_3repE0EEENS1_48merge_mergepath_partition_config_static_selectorELNS0_4arch9wavefront6targetE1EEEvSH_
		.amdhsa_group_segment_fixed_size 0
		.amdhsa_private_segment_fixed_size 0
		.amdhsa_kernarg_size 40
		.amdhsa_user_sgpr_count 6
		.amdhsa_user_sgpr_private_segment_buffer 1
		.amdhsa_user_sgpr_dispatch_ptr 0
		.amdhsa_user_sgpr_queue_ptr 0
		.amdhsa_user_sgpr_kernarg_segment_ptr 1
		.amdhsa_user_sgpr_dispatch_id 0
		.amdhsa_user_sgpr_flat_scratch_init 0
		.amdhsa_user_sgpr_kernarg_preload_length 0
		.amdhsa_user_sgpr_kernarg_preload_offset 0
		.amdhsa_user_sgpr_private_segment_size 0
		.amdhsa_uses_dynamic_stack 0
		.amdhsa_system_sgpr_private_segment_wavefront_offset 0
		.amdhsa_system_sgpr_workgroup_id_x 1
		.amdhsa_system_sgpr_workgroup_id_y 0
		.amdhsa_system_sgpr_workgroup_id_z 0
		.amdhsa_system_sgpr_workgroup_info 0
		.amdhsa_system_vgpr_workitem_id 0
		.amdhsa_next_free_vgpr 1
		.amdhsa_next_free_sgpr 0
		.amdhsa_accum_offset 4
		.amdhsa_reserve_vcc 0
		.amdhsa_reserve_flat_scratch 0
		.amdhsa_float_round_mode_32 0
		.amdhsa_float_round_mode_16_64 0
		.amdhsa_float_denorm_mode_32 3
		.amdhsa_float_denorm_mode_16_64 3
		.amdhsa_dx10_clamp 1
		.amdhsa_ieee_mode 1
		.amdhsa_fp16_overflow 0
		.amdhsa_tg_split 0
		.amdhsa_exception_fp_ieee_invalid_op 0
		.amdhsa_exception_fp_denorm_src 0
		.amdhsa_exception_fp_ieee_div_zero 0
		.amdhsa_exception_fp_ieee_overflow 0
		.amdhsa_exception_fp_ieee_underflow 0
		.amdhsa_exception_fp_ieee_inexact 0
		.amdhsa_exception_int_div_zero 0
	.end_amdhsa_kernel
	.section	.text._ZN7rocprim17ROCPRIM_400000_NS6detail17trampoline_kernelINS0_14default_configENS1_38merge_sort_block_merge_config_selectorIilEEZZNS1_27merge_sort_block_merge_implIS3_PiN6thrust23THRUST_200600_302600_NS10device_ptrIlEEjNS1_19radix_merge_compareILb0ELb0EiNS0_19identity_decomposerEEEEE10hipError_tT0_T1_T2_jT3_P12ihipStream_tbPNSt15iterator_traitsISG_E10value_typeEPNSM_ISH_E10value_typeEPSI_NS1_7vsmem_tEENKUlT_SG_SH_SI_E_clIS7_S7_PlSB_EESF_SV_SG_SH_SI_EUlSV_E_NS1_11comp_targetILNS1_3genE5ELNS1_11target_archE942ELNS1_3gpuE9ELNS1_3repE0EEENS1_48merge_mergepath_partition_config_static_selectorELNS0_4arch9wavefront6targetE1EEEvSH_,"axG",@progbits,_ZN7rocprim17ROCPRIM_400000_NS6detail17trampoline_kernelINS0_14default_configENS1_38merge_sort_block_merge_config_selectorIilEEZZNS1_27merge_sort_block_merge_implIS3_PiN6thrust23THRUST_200600_302600_NS10device_ptrIlEEjNS1_19radix_merge_compareILb0ELb0EiNS0_19identity_decomposerEEEEE10hipError_tT0_T1_T2_jT3_P12ihipStream_tbPNSt15iterator_traitsISG_E10value_typeEPNSM_ISH_E10value_typeEPSI_NS1_7vsmem_tEENKUlT_SG_SH_SI_E_clIS7_S7_PlSB_EESF_SV_SG_SH_SI_EUlSV_E_NS1_11comp_targetILNS1_3genE5ELNS1_11target_archE942ELNS1_3gpuE9ELNS1_3repE0EEENS1_48merge_mergepath_partition_config_static_selectorELNS0_4arch9wavefront6targetE1EEEvSH_,comdat
.Lfunc_end746:
	.size	_ZN7rocprim17ROCPRIM_400000_NS6detail17trampoline_kernelINS0_14default_configENS1_38merge_sort_block_merge_config_selectorIilEEZZNS1_27merge_sort_block_merge_implIS3_PiN6thrust23THRUST_200600_302600_NS10device_ptrIlEEjNS1_19radix_merge_compareILb0ELb0EiNS0_19identity_decomposerEEEEE10hipError_tT0_T1_T2_jT3_P12ihipStream_tbPNSt15iterator_traitsISG_E10value_typeEPNSM_ISH_E10value_typeEPSI_NS1_7vsmem_tEENKUlT_SG_SH_SI_E_clIS7_S7_PlSB_EESF_SV_SG_SH_SI_EUlSV_E_NS1_11comp_targetILNS1_3genE5ELNS1_11target_archE942ELNS1_3gpuE9ELNS1_3repE0EEENS1_48merge_mergepath_partition_config_static_selectorELNS0_4arch9wavefront6targetE1EEEvSH_, .Lfunc_end746-_ZN7rocprim17ROCPRIM_400000_NS6detail17trampoline_kernelINS0_14default_configENS1_38merge_sort_block_merge_config_selectorIilEEZZNS1_27merge_sort_block_merge_implIS3_PiN6thrust23THRUST_200600_302600_NS10device_ptrIlEEjNS1_19radix_merge_compareILb0ELb0EiNS0_19identity_decomposerEEEEE10hipError_tT0_T1_T2_jT3_P12ihipStream_tbPNSt15iterator_traitsISG_E10value_typeEPNSM_ISH_E10value_typeEPSI_NS1_7vsmem_tEENKUlT_SG_SH_SI_E_clIS7_S7_PlSB_EESF_SV_SG_SH_SI_EUlSV_E_NS1_11comp_targetILNS1_3genE5ELNS1_11target_archE942ELNS1_3gpuE9ELNS1_3repE0EEENS1_48merge_mergepath_partition_config_static_selectorELNS0_4arch9wavefront6targetE1EEEvSH_
                                        ; -- End function
	.section	.AMDGPU.csdata,"",@progbits
; Kernel info:
; codeLenInByte = 0
; NumSgprs: 4
; NumVgprs: 0
; NumAgprs: 0
; TotalNumVgprs: 0
; ScratchSize: 0
; MemoryBound: 0
; FloatMode: 240
; IeeeMode: 1
; LDSByteSize: 0 bytes/workgroup (compile time only)
; SGPRBlocks: 0
; VGPRBlocks: 0
; NumSGPRsForWavesPerEU: 4
; NumVGPRsForWavesPerEU: 1
; AccumOffset: 4
; Occupancy: 8
; WaveLimiterHint : 0
; COMPUTE_PGM_RSRC2:SCRATCH_EN: 0
; COMPUTE_PGM_RSRC2:USER_SGPR: 6
; COMPUTE_PGM_RSRC2:TRAP_HANDLER: 0
; COMPUTE_PGM_RSRC2:TGID_X_EN: 1
; COMPUTE_PGM_RSRC2:TGID_Y_EN: 0
; COMPUTE_PGM_RSRC2:TGID_Z_EN: 0
; COMPUTE_PGM_RSRC2:TIDIG_COMP_CNT: 0
; COMPUTE_PGM_RSRC3_GFX90A:ACCUM_OFFSET: 0
; COMPUTE_PGM_RSRC3_GFX90A:TG_SPLIT: 0
	.section	.text._ZN7rocprim17ROCPRIM_400000_NS6detail17trampoline_kernelINS0_14default_configENS1_38merge_sort_block_merge_config_selectorIilEEZZNS1_27merge_sort_block_merge_implIS3_PiN6thrust23THRUST_200600_302600_NS10device_ptrIlEEjNS1_19radix_merge_compareILb0ELb0EiNS0_19identity_decomposerEEEEE10hipError_tT0_T1_T2_jT3_P12ihipStream_tbPNSt15iterator_traitsISG_E10value_typeEPNSM_ISH_E10value_typeEPSI_NS1_7vsmem_tEENKUlT_SG_SH_SI_E_clIS7_S7_PlSB_EESF_SV_SG_SH_SI_EUlSV_E_NS1_11comp_targetILNS1_3genE4ELNS1_11target_archE910ELNS1_3gpuE8ELNS1_3repE0EEENS1_48merge_mergepath_partition_config_static_selectorELNS0_4arch9wavefront6targetE1EEEvSH_,"axG",@progbits,_ZN7rocprim17ROCPRIM_400000_NS6detail17trampoline_kernelINS0_14default_configENS1_38merge_sort_block_merge_config_selectorIilEEZZNS1_27merge_sort_block_merge_implIS3_PiN6thrust23THRUST_200600_302600_NS10device_ptrIlEEjNS1_19radix_merge_compareILb0ELb0EiNS0_19identity_decomposerEEEEE10hipError_tT0_T1_T2_jT3_P12ihipStream_tbPNSt15iterator_traitsISG_E10value_typeEPNSM_ISH_E10value_typeEPSI_NS1_7vsmem_tEENKUlT_SG_SH_SI_E_clIS7_S7_PlSB_EESF_SV_SG_SH_SI_EUlSV_E_NS1_11comp_targetILNS1_3genE4ELNS1_11target_archE910ELNS1_3gpuE8ELNS1_3repE0EEENS1_48merge_mergepath_partition_config_static_selectorELNS0_4arch9wavefront6targetE1EEEvSH_,comdat
	.protected	_ZN7rocprim17ROCPRIM_400000_NS6detail17trampoline_kernelINS0_14default_configENS1_38merge_sort_block_merge_config_selectorIilEEZZNS1_27merge_sort_block_merge_implIS3_PiN6thrust23THRUST_200600_302600_NS10device_ptrIlEEjNS1_19radix_merge_compareILb0ELb0EiNS0_19identity_decomposerEEEEE10hipError_tT0_T1_T2_jT3_P12ihipStream_tbPNSt15iterator_traitsISG_E10value_typeEPNSM_ISH_E10value_typeEPSI_NS1_7vsmem_tEENKUlT_SG_SH_SI_E_clIS7_S7_PlSB_EESF_SV_SG_SH_SI_EUlSV_E_NS1_11comp_targetILNS1_3genE4ELNS1_11target_archE910ELNS1_3gpuE8ELNS1_3repE0EEENS1_48merge_mergepath_partition_config_static_selectorELNS0_4arch9wavefront6targetE1EEEvSH_ ; -- Begin function _ZN7rocprim17ROCPRIM_400000_NS6detail17trampoline_kernelINS0_14default_configENS1_38merge_sort_block_merge_config_selectorIilEEZZNS1_27merge_sort_block_merge_implIS3_PiN6thrust23THRUST_200600_302600_NS10device_ptrIlEEjNS1_19radix_merge_compareILb0ELb0EiNS0_19identity_decomposerEEEEE10hipError_tT0_T1_T2_jT3_P12ihipStream_tbPNSt15iterator_traitsISG_E10value_typeEPNSM_ISH_E10value_typeEPSI_NS1_7vsmem_tEENKUlT_SG_SH_SI_E_clIS7_S7_PlSB_EESF_SV_SG_SH_SI_EUlSV_E_NS1_11comp_targetILNS1_3genE4ELNS1_11target_archE910ELNS1_3gpuE8ELNS1_3repE0EEENS1_48merge_mergepath_partition_config_static_selectorELNS0_4arch9wavefront6targetE1EEEvSH_
	.globl	_ZN7rocprim17ROCPRIM_400000_NS6detail17trampoline_kernelINS0_14default_configENS1_38merge_sort_block_merge_config_selectorIilEEZZNS1_27merge_sort_block_merge_implIS3_PiN6thrust23THRUST_200600_302600_NS10device_ptrIlEEjNS1_19radix_merge_compareILb0ELb0EiNS0_19identity_decomposerEEEEE10hipError_tT0_T1_T2_jT3_P12ihipStream_tbPNSt15iterator_traitsISG_E10value_typeEPNSM_ISH_E10value_typeEPSI_NS1_7vsmem_tEENKUlT_SG_SH_SI_E_clIS7_S7_PlSB_EESF_SV_SG_SH_SI_EUlSV_E_NS1_11comp_targetILNS1_3genE4ELNS1_11target_archE910ELNS1_3gpuE8ELNS1_3repE0EEENS1_48merge_mergepath_partition_config_static_selectorELNS0_4arch9wavefront6targetE1EEEvSH_
	.p2align	8
	.type	_ZN7rocprim17ROCPRIM_400000_NS6detail17trampoline_kernelINS0_14default_configENS1_38merge_sort_block_merge_config_selectorIilEEZZNS1_27merge_sort_block_merge_implIS3_PiN6thrust23THRUST_200600_302600_NS10device_ptrIlEEjNS1_19radix_merge_compareILb0ELb0EiNS0_19identity_decomposerEEEEE10hipError_tT0_T1_T2_jT3_P12ihipStream_tbPNSt15iterator_traitsISG_E10value_typeEPNSM_ISH_E10value_typeEPSI_NS1_7vsmem_tEENKUlT_SG_SH_SI_E_clIS7_S7_PlSB_EESF_SV_SG_SH_SI_EUlSV_E_NS1_11comp_targetILNS1_3genE4ELNS1_11target_archE910ELNS1_3gpuE8ELNS1_3repE0EEENS1_48merge_mergepath_partition_config_static_selectorELNS0_4arch9wavefront6targetE1EEEvSH_,@function
_ZN7rocprim17ROCPRIM_400000_NS6detail17trampoline_kernelINS0_14default_configENS1_38merge_sort_block_merge_config_selectorIilEEZZNS1_27merge_sort_block_merge_implIS3_PiN6thrust23THRUST_200600_302600_NS10device_ptrIlEEjNS1_19radix_merge_compareILb0ELb0EiNS0_19identity_decomposerEEEEE10hipError_tT0_T1_T2_jT3_P12ihipStream_tbPNSt15iterator_traitsISG_E10value_typeEPNSM_ISH_E10value_typeEPSI_NS1_7vsmem_tEENKUlT_SG_SH_SI_E_clIS7_S7_PlSB_EESF_SV_SG_SH_SI_EUlSV_E_NS1_11comp_targetILNS1_3genE4ELNS1_11target_archE910ELNS1_3gpuE8ELNS1_3repE0EEENS1_48merge_mergepath_partition_config_static_selectorELNS0_4arch9wavefront6targetE1EEEvSH_: ; @_ZN7rocprim17ROCPRIM_400000_NS6detail17trampoline_kernelINS0_14default_configENS1_38merge_sort_block_merge_config_selectorIilEEZZNS1_27merge_sort_block_merge_implIS3_PiN6thrust23THRUST_200600_302600_NS10device_ptrIlEEjNS1_19radix_merge_compareILb0ELb0EiNS0_19identity_decomposerEEEEE10hipError_tT0_T1_T2_jT3_P12ihipStream_tbPNSt15iterator_traitsISG_E10value_typeEPNSM_ISH_E10value_typeEPSI_NS1_7vsmem_tEENKUlT_SG_SH_SI_E_clIS7_S7_PlSB_EESF_SV_SG_SH_SI_EUlSV_E_NS1_11comp_targetILNS1_3genE4ELNS1_11target_archE910ELNS1_3gpuE8ELNS1_3repE0EEENS1_48merge_mergepath_partition_config_static_selectorELNS0_4arch9wavefront6targetE1EEEvSH_
; %bb.0:
	s_load_dword s0, s[4:5], 0x0
	v_lshl_or_b32 v0, s6, 7, v0
	s_waitcnt lgkmcnt(0)
	v_cmp_gt_u32_e32 vcc, s0, v0
	s_and_saveexec_b64 s[0:1], vcc
	s_cbranch_execz .LBB747_6
; %bb.1:
	s_load_dwordx2 s[2:3], s[4:5], 0x4
	s_load_dwordx2 s[0:1], s[4:5], 0x20
	s_waitcnt lgkmcnt(0)
	s_lshr_b32 s6, s2, 9
	s_and_b32 s6, s6, 0x7ffffe
	s_add_i32 s7, s6, -1
	s_sub_i32 s6, 0, s6
	v_and_b32_e32 v1, s6, v0
	v_lshlrev_b32_e32 v1, 10, v1
	v_min_u32_e32 v2, s3, v1
	v_add_u32_e32 v1, s2, v1
	v_min_u32_e32 v4, s3, v1
	v_add_u32_e32 v1, s2, v4
	v_and_b32_e32 v3, s7, v0
	v_min_u32_e32 v1, s3, v1
	v_sub_u32_e32 v5, v1, v2
	v_lshlrev_b32_e32 v3, 10, v3
	v_min_u32_e32 v6, v5, v3
	v_sub_u32_e32 v3, v4, v2
	v_sub_u32_e32 v1, v1, v4
	v_sub_u32_e64 v1, v6, v1 clamp
	v_min_u32_e32 v7, v6, v3
	v_cmp_lt_u32_e32 vcc, v1, v7
	s_and_saveexec_b64 s[2:3], vcc
	s_cbranch_execz .LBB747_5
; %bb.2:
	s_load_dwordx2 s[4:5], s[4:5], 0x10
	v_mov_b32_e32 v5, 0
	v_mov_b32_e32 v3, v5
	v_lshlrev_b64 v[8:9], 2, v[2:3]
	v_lshlrev_b64 v[10:11], 2, v[4:5]
	s_waitcnt lgkmcnt(0)
	v_mov_b32_e32 v12, s5
	v_add_co_u32_e32 v3, vcc, s4, v8
	v_addc_co_u32_e32 v8, vcc, v12, v9, vcc
	v_add_co_u32_e32 v9, vcc, s4, v10
	v_addc_co_u32_e32 v10, vcc, v12, v11, vcc
	s_mov_b64 s[4:5], 0
.LBB747_3:                              ; =>This Inner Loop Header: Depth=1
	v_add_u32_e32 v4, v7, v1
	v_lshrrev_b32_e32 v4, 1, v4
	v_lshlrev_b64 v[14:15], 2, v[4:5]
	v_mov_b32_e32 v13, v5
	v_xad_u32 v12, v4, -1, v6
	v_add_co_u32_e32 v14, vcc, v3, v14
	v_addc_co_u32_e32 v15, vcc, v8, v15, vcc
	v_lshlrev_b64 v[12:13], 2, v[12:13]
	v_add_co_u32_e32 v12, vcc, v9, v12
	v_addc_co_u32_e32 v13, vcc, v10, v13, vcc
	global_load_dword v11, v[14:15], off
	global_load_dword v16, v[12:13], off
	v_add_u32_e32 v12, 1, v4
	s_waitcnt vmcnt(0)
	v_cmp_gt_i32_e32 vcc, v11, v16
	v_cndmask_b32_e32 v7, v7, v4, vcc
	v_cndmask_b32_e32 v1, v12, v1, vcc
	v_cmp_ge_u32_e32 vcc, v1, v7
	s_or_b64 s[4:5], vcc, s[4:5]
	s_andn2_b64 exec, exec, s[4:5]
	s_cbranch_execnz .LBB747_3
; %bb.4:
	s_or_b64 exec, exec, s[4:5]
.LBB747_5:
	s_or_b64 exec, exec, s[2:3]
	v_add_u32_e32 v2, v1, v2
	v_mov_b32_e32 v1, 0
	v_lshlrev_b64 v[0:1], 2, v[0:1]
	v_mov_b32_e32 v3, s1
	v_add_co_u32_e32 v0, vcc, s0, v0
	v_addc_co_u32_e32 v1, vcc, v3, v1, vcc
	global_store_dword v[0:1], v2, off
.LBB747_6:
	s_endpgm
	.section	.rodata,"a",@progbits
	.p2align	6, 0x0
	.amdhsa_kernel _ZN7rocprim17ROCPRIM_400000_NS6detail17trampoline_kernelINS0_14default_configENS1_38merge_sort_block_merge_config_selectorIilEEZZNS1_27merge_sort_block_merge_implIS3_PiN6thrust23THRUST_200600_302600_NS10device_ptrIlEEjNS1_19radix_merge_compareILb0ELb0EiNS0_19identity_decomposerEEEEE10hipError_tT0_T1_T2_jT3_P12ihipStream_tbPNSt15iterator_traitsISG_E10value_typeEPNSM_ISH_E10value_typeEPSI_NS1_7vsmem_tEENKUlT_SG_SH_SI_E_clIS7_S7_PlSB_EESF_SV_SG_SH_SI_EUlSV_E_NS1_11comp_targetILNS1_3genE4ELNS1_11target_archE910ELNS1_3gpuE8ELNS1_3repE0EEENS1_48merge_mergepath_partition_config_static_selectorELNS0_4arch9wavefront6targetE1EEEvSH_
		.amdhsa_group_segment_fixed_size 0
		.amdhsa_private_segment_fixed_size 0
		.amdhsa_kernarg_size 40
		.amdhsa_user_sgpr_count 6
		.amdhsa_user_sgpr_private_segment_buffer 1
		.amdhsa_user_sgpr_dispatch_ptr 0
		.amdhsa_user_sgpr_queue_ptr 0
		.amdhsa_user_sgpr_kernarg_segment_ptr 1
		.amdhsa_user_sgpr_dispatch_id 0
		.amdhsa_user_sgpr_flat_scratch_init 0
		.amdhsa_user_sgpr_kernarg_preload_length 0
		.amdhsa_user_sgpr_kernarg_preload_offset 0
		.amdhsa_user_sgpr_private_segment_size 0
		.amdhsa_uses_dynamic_stack 0
		.amdhsa_system_sgpr_private_segment_wavefront_offset 0
		.amdhsa_system_sgpr_workgroup_id_x 1
		.amdhsa_system_sgpr_workgroup_id_y 0
		.amdhsa_system_sgpr_workgroup_id_z 0
		.amdhsa_system_sgpr_workgroup_info 0
		.amdhsa_system_vgpr_workitem_id 0
		.amdhsa_next_free_vgpr 17
		.amdhsa_next_free_sgpr 8
		.amdhsa_accum_offset 20
		.amdhsa_reserve_vcc 1
		.amdhsa_reserve_flat_scratch 0
		.amdhsa_float_round_mode_32 0
		.amdhsa_float_round_mode_16_64 0
		.amdhsa_float_denorm_mode_32 3
		.amdhsa_float_denorm_mode_16_64 3
		.amdhsa_dx10_clamp 1
		.amdhsa_ieee_mode 1
		.amdhsa_fp16_overflow 0
		.amdhsa_tg_split 0
		.amdhsa_exception_fp_ieee_invalid_op 0
		.amdhsa_exception_fp_denorm_src 0
		.amdhsa_exception_fp_ieee_div_zero 0
		.amdhsa_exception_fp_ieee_overflow 0
		.amdhsa_exception_fp_ieee_underflow 0
		.amdhsa_exception_fp_ieee_inexact 0
		.amdhsa_exception_int_div_zero 0
	.end_amdhsa_kernel
	.section	.text._ZN7rocprim17ROCPRIM_400000_NS6detail17trampoline_kernelINS0_14default_configENS1_38merge_sort_block_merge_config_selectorIilEEZZNS1_27merge_sort_block_merge_implIS3_PiN6thrust23THRUST_200600_302600_NS10device_ptrIlEEjNS1_19radix_merge_compareILb0ELb0EiNS0_19identity_decomposerEEEEE10hipError_tT0_T1_T2_jT3_P12ihipStream_tbPNSt15iterator_traitsISG_E10value_typeEPNSM_ISH_E10value_typeEPSI_NS1_7vsmem_tEENKUlT_SG_SH_SI_E_clIS7_S7_PlSB_EESF_SV_SG_SH_SI_EUlSV_E_NS1_11comp_targetILNS1_3genE4ELNS1_11target_archE910ELNS1_3gpuE8ELNS1_3repE0EEENS1_48merge_mergepath_partition_config_static_selectorELNS0_4arch9wavefront6targetE1EEEvSH_,"axG",@progbits,_ZN7rocprim17ROCPRIM_400000_NS6detail17trampoline_kernelINS0_14default_configENS1_38merge_sort_block_merge_config_selectorIilEEZZNS1_27merge_sort_block_merge_implIS3_PiN6thrust23THRUST_200600_302600_NS10device_ptrIlEEjNS1_19radix_merge_compareILb0ELb0EiNS0_19identity_decomposerEEEEE10hipError_tT0_T1_T2_jT3_P12ihipStream_tbPNSt15iterator_traitsISG_E10value_typeEPNSM_ISH_E10value_typeEPSI_NS1_7vsmem_tEENKUlT_SG_SH_SI_E_clIS7_S7_PlSB_EESF_SV_SG_SH_SI_EUlSV_E_NS1_11comp_targetILNS1_3genE4ELNS1_11target_archE910ELNS1_3gpuE8ELNS1_3repE0EEENS1_48merge_mergepath_partition_config_static_selectorELNS0_4arch9wavefront6targetE1EEEvSH_,comdat
.Lfunc_end747:
	.size	_ZN7rocprim17ROCPRIM_400000_NS6detail17trampoline_kernelINS0_14default_configENS1_38merge_sort_block_merge_config_selectorIilEEZZNS1_27merge_sort_block_merge_implIS3_PiN6thrust23THRUST_200600_302600_NS10device_ptrIlEEjNS1_19radix_merge_compareILb0ELb0EiNS0_19identity_decomposerEEEEE10hipError_tT0_T1_T2_jT3_P12ihipStream_tbPNSt15iterator_traitsISG_E10value_typeEPNSM_ISH_E10value_typeEPSI_NS1_7vsmem_tEENKUlT_SG_SH_SI_E_clIS7_S7_PlSB_EESF_SV_SG_SH_SI_EUlSV_E_NS1_11comp_targetILNS1_3genE4ELNS1_11target_archE910ELNS1_3gpuE8ELNS1_3repE0EEENS1_48merge_mergepath_partition_config_static_selectorELNS0_4arch9wavefront6targetE1EEEvSH_, .Lfunc_end747-_ZN7rocprim17ROCPRIM_400000_NS6detail17trampoline_kernelINS0_14default_configENS1_38merge_sort_block_merge_config_selectorIilEEZZNS1_27merge_sort_block_merge_implIS3_PiN6thrust23THRUST_200600_302600_NS10device_ptrIlEEjNS1_19radix_merge_compareILb0ELb0EiNS0_19identity_decomposerEEEEE10hipError_tT0_T1_T2_jT3_P12ihipStream_tbPNSt15iterator_traitsISG_E10value_typeEPNSM_ISH_E10value_typeEPSI_NS1_7vsmem_tEENKUlT_SG_SH_SI_E_clIS7_S7_PlSB_EESF_SV_SG_SH_SI_EUlSV_E_NS1_11comp_targetILNS1_3genE4ELNS1_11target_archE910ELNS1_3gpuE8ELNS1_3repE0EEENS1_48merge_mergepath_partition_config_static_selectorELNS0_4arch9wavefront6targetE1EEEvSH_
                                        ; -- End function
	.section	.AMDGPU.csdata,"",@progbits
; Kernel info:
; codeLenInByte = 360
; NumSgprs: 12
; NumVgprs: 17
; NumAgprs: 0
; TotalNumVgprs: 17
; ScratchSize: 0
; MemoryBound: 0
; FloatMode: 240
; IeeeMode: 1
; LDSByteSize: 0 bytes/workgroup (compile time only)
; SGPRBlocks: 1
; VGPRBlocks: 2
; NumSGPRsForWavesPerEU: 12
; NumVGPRsForWavesPerEU: 17
; AccumOffset: 20
; Occupancy: 8
; WaveLimiterHint : 0
; COMPUTE_PGM_RSRC2:SCRATCH_EN: 0
; COMPUTE_PGM_RSRC2:USER_SGPR: 6
; COMPUTE_PGM_RSRC2:TRAP_HANDLER: 0
; COMPUTE_PGM_RSRC2:TGID_X_EN: 1
; COMPUTE_PGM_RSRC2:TGID_Y_EN: 0
; COMPUTE_PGM_RSRC2:TGID_Z_EN: 0
; COMPUTE_PGM_RSRC2:TIDIG_COMP_CNT: 0
; COMPUTE_PGM_RSRC3_GFX90A:ACCUM_OFFSET: 4
; COMPUTE_PGM_RSRC3_GFX90A:TG_SPLIT: 0
	.section	.text._ZN7rocprim17ROCPRIM_400000_NS6detail17trampoline_kernelINS0_14default_configENS1_38merge_sort_block_merge_config_selectorIilEEZZNS1_27merge_sort_block_merge_implIS3_PiN6thrust23THRUST_200600_302600_NS10device_ptrIlEEjNS1_19radix_merge_compareILb0ELb0EiNS0_19identity_decomposerEEEEE10hipError_tT0_T1_T2_jT3_P12ihipStream_tbPNSt15iterator_traitsISG_E10value_typeEPNSM_ISH_E10value_typeEPSI_NS1_7vsmem_tEENKUlT_SG_SH_SI_E_clIS7_S7_PlSB_EESF_SV_SG_SH_SI_EUlSV_E_NS1_11comp_targetILNS1_3genE3ELNS1_11target_archE908ELNS1_3gpuE7ELNS1_3repE0EEENS1_48merge_mergepath_partition_config_static_selectorELNS0_4arch9wavefront6targetE1EEEvSH_,"axG",@progbits,_ZN7rocprim17ROCPRIM_400000_NS6detail17trampoline_kernelINS0_14default_configENS1_38merge_sort_block_merge_config_selectorIilEEZZNS1_27merge_sort_block_merge_implIS3_PiN6thrust23THRUST_200600_302600_NS10device_ptrIlEEjNS1_19radix_merge_compareILb0ELb0EiNS0_19identity_decomposerEEEEE10hipError_tT0_T1_T2_jT3_P12ihipStream_tbPNSt15iterator_traitsISG_E10value_typeEPNSM_ISH_E10value_typeEPSI_NS1_7vsmem_tEENKUlT_SG_SH_SI_E_clIS7_S7_PlSB_EESF_SV_SG_SH_SI_EUlSV_E_NS1_11comp_targetILNS1_3genE3ELNS1_11target_archE908ELNS1_3gpuE7ELNS1_3repE0EEENS1_48merge_mergepath_partition_config_static_selectorELNS0_4arch9wavefront6targetE1EEEvSH_,comdat
	.protected	_ZN7rocprim17ROCPRIM_400000_NS6detail17trampoline_kernelINS0_14default_configENS1_38merge_sort_block_merge_config_selectorIilEEZZNS1_27merge_sort_block_merge_implIS3_PiN6thrust23THRUST_200600_302600_NS10device_ptrIlEEjNS1_19radix_merge_compareILb0ELb0EiNS0_19identity_decomposerEEEEE10hipError_tT0_T1_T2_jT3_P12ihipStream_tbPNSt15iterator_traitsISG_E10value_typeEPNSM_ISH_E10value_typeEPSI_NS1_7vsmem_tEENKUlT_SG_SH_SI_E_clIS7_S7_PlSB_EESF_SV_SG_SH_SI_EUlSV_E_NS1_11comp_targetILNS1_3genE3ELNS1_11target_archE908ELNS1_3gpuE7ELNS1_3repE0EEENS1_48merge_mergepath_partition_config_static_selectorELNS0_4arch9wavefront6targetE1EEEvSH_ ; -- Begin function _ZN7rocprim17ROCPRIM_400000_NS6detail17trampoline_kernelINS0_14default_configENS1_38merge_sort_block_merge_config_selectorIilEEZZNS1_27merge_sort_block_merge_implIS3_PiN6thrust23THRUST_200600_302600_NS10device_ptrIlEEjNS1_19radix_merge_compareILb0ELb0EiNS0_19identity_decomposerEEEEE10hipError_tT0_T1_T2_jT3_P12ihipStream_tbPNSt15iterator_traitsISG_E10value_typeEPNSM_ISH_E10value_typeEPSI_NS1_7vsmem_tEENKUlT_SG_SH_SI_E_clIS7_S7_PlSB_EESF_SV_SG_SH_SI_EUlSV_E_NS1_11comp_targetILNS1_3genE3ELNS1_11target_archE908ELNS1_3gpuE7ELNS1_3repE0EEENS1_48merge_mergepath_partition_config_static_selectorELNS0_4arch9wavefront6targetE1EEEvSH_
	.globl	_ZN7rocprim17ROCPRIM_400000_NS6detail17trampoline_kernelINS0_14default_configENS1_38merge_sort_block_merge_config_selectorIilEEZZNS1_27merge_sort_block_merge_implIS3_PiN6thrust23THRUST_200600_302600_NS10device_ptrIlEEjNS1_19radix_merge_compareILb0ELb0EiNS0_19identity_decomposerEEEEE10hipError_tT0_T1_T2_jT3_P12ihipStream_tbPNSt15iterator_traitsISG_E10value_typeEPNSM_ISH_E10value_typeEPSI_NS1_7vsmem_tEENKUlT_SG_SH_SI_E_clIS7_S7_PlSB_EESF_SV_SG_SH_SI_EUlSV_E_NS1_11comp_targetILNS1_3genE3ELNS1_11target_archE908ELNS1_3gpuE7ELNS1_3repE0EEENS1_48merge_mergepath_partition_config_static_selectorELNS0_4arch9wavefront6targetE1EEEvSH_
	.p2align	8
	.type	_ZN7rocprim17ROCPRIM_400000_NS6detail17trampoline_kernelINS0_14default_configENS1_38merge_sort_block_merge_config_selectorIilEEZZNS1_27merge_sort_block_merge_implIS3_PiN6thrust23THRUST_200600_302600_NS10device_ptrIlEEjNS1_19radix_merge_compareILb0ELb0EiNS0_19identity_decomposerEEEEE10hipError_tT0_T1_T2_jT3_P12ihipStream_tbPNSt15iterator_traitsISG_E10value_typeEPNSM_ISH_E10value_typeEPSI_NS1_7vsmem_tEENKUlT_SG_SH_SI_E_clIS7_S7_PlSB_EESF_SV_SG_SH_SI_EUlSV_E_NS1_11comp_targetILNS1_3genE3ELNS1_11target_archE908ELNS1_3gpuE7ELNS1_3repE0EEENS1_48merge_mergepath_partition_config_static_selectorELNS0_4arch9wavefront6targetE1EEEvSH_,@function
_ZN7rocprim17ROCPRIM_400000_NS6detail17trampoline_kernelINS0_14default_configENS1_38merge_sort_block_merge_config_selectorIilEEZZNS1_27merge_sort_block_merge_implIS3_PiN6thrust23THRUST_200600_302600_NS10device_ptrIlEEjNS1_19radix_merge_compareILb0ELb0EiNS0_19identity_decomposerEEEEE10hipError_tT0_T1_T2_jT3_P12ihipStream_tbPNSt15iterator_traitsISG_E10value_typeEPNSM_ISH_E10value_typeEPSI_NS1_7vsmem_tEENKUlT_SG_SH_SI_E_clIS7_S7_PlSB_EESF_SV_SG_SH_SI_EUlSV_E_NS1_11comp_targetILNS1_3genE3ELNS1_11target_archE908ELNS1_3gpuE7ELNS1_3repE0EEENS1_48merge_mergepath_partition_config_static_selectorELNS0_4arch9wavefront6targetE1EEEvSH_: ; @_ZN7rocprim17ROCPRIM_400000_NS6detail17trampoline_kernelINS0_14default_configENS1_38merge_sort_block_merge_config_selectorIilEEZZNS1_27merge_sort_block_merge_implIS3_PiN6thrust23THRUST_200600_302600_NS10device_ptrIlEEjNS1_19radix_merge_compareILb0ELb0EiNS0_19identity_decomposerEEEEE10hipError_tT0_T1_T2_jT3_P12ihipStream_tbPNSt15iterator_traitsISG_E10value_typeEPNSM_ISH_E10value_typeEPSI_NS1_7vsmem_tEENKUlT_SG_SH_SI_E_clIS7_S7_PlSB_EESF_SV_SG_SH_SI_EUlSV_E_NS1_11comp_targetILNS1_3genE3ELNS1_11target_archE908ELNS1_3gpuE7ELNS1_3repE0EEENS1_48merge_mergepath_partition_config_static_selectorELNS0_4arch9wavefront6targetE1EEEvSH_
; %bb.0:
	.section	.rodata,"a",@progbits
	.p2align	6, 0x0
	.amdhsa_kernel _ZN7rocprim17ROCPRIM_400000_NS6detail17trampoline_kernelINS0_14default_configENS1_38merge_sort_block_merge_config_selectorIilEEZZNS1_27merge_sort_block_merge_implIS3_PiN6thrust23THRUST_200600_302600_NS10device_ptrIlEEjNS1_19radix_merge_compareILb0ELb0EiNS0_19identity_decomposerEEEEE10hipError_tT0_T1_T2_jT3_P12ihipStream_tbPNSt15iterator_traitsISG_E10value_typeEPNSM_ISH_E10value_typeEPSI_NS1_7vsmem_tEENKUlT_SG_SH_SI_E_clIS7_S7_PlSB_EESF_SV_SG_SH_SI_EUlSV_E_NS1_11comp_targetILNS1_3genE3ELNS1_11target_archE908ELNS1_3gpuE7ELNS1_3repE0EEENS1_48merge_mergepath_partition_config_static_selectorELNS0_4arch9wavefront6targetE1EEEvSH_
		.amdhsa_group_segment_fixed_size 0
		.amdhsa_private_segment_fixed_size 0
		.amdhsa_kernarg_size 40
		.amdhsa_user_sgpr_count 6
		.amdhsa_user_sgpr_private_segment_buffer 1
		.amdhsa_user_sgpr_dispatch_ptr 0
		.amdhsa_user_sgpr_queue_ptr 0
		.amdhsa_user_sgpr_kernarg_segment_ptr 1
		.amdhsa_user_sgpr_dispatch_id 0
		.amdhsa_user_sgpr_flat_scratch_init 0
		.amdhsa_user_sgpr_kernarg_preload_length 0
		.amdhsa_user_sgpr_kernarg_preload_offset 0
		.amdhsa_user_sgpr_private_segment_size 0
		.amdhsa_uses_dynamic_stack 0
		.amdhsa_system_sgpr_private_segment_wavefront_offset 0
		.amdhsa_system_sgpr_workgroup_id_x 1
		.amdhsa_system_sgpr_workgroup_id_y 0
		.amdhsa_system_sgpr_workgroup_id_z 0
		.amdhsa_system_sgpr_workgroup_info 0
		.amdhsa_system_vgpr_workitem_id 0
		.amdhsa_next_free_vgpr 1
		.amdhsa_next_free_sgpr 0
		.amdhsa_accum_offset 4
		.amdhsa_reserve_vcc 0
		.amdhsa_reserve_flat_scratch 0
		.amdhsa_float_round_mode_32 0
		.amdhsa_float_round_mode_16_64 0
		.amdhsa_float_denorm_mode_32 3
		.amdhsa_float_denorm_mode_16_64 3
		.amdhsa_dx10_clamp 1
		.amdhsa_ieee_mode 1
		.amdhsa_fp16_overflow 0
		.amdhsa_tg_split 0
		.amdhsa_exception_fp_ieee_invalid_op 0
		.amdhsa_exception_fp_denorm_src 0
		.amdhsa_exception_fp_ieee_div_zero 0
		.amdhsa_exception_fp_ieee_overflow 0
		.amdhsa_exception_fp_ieee_underflow 0
		.amdhsa_exception_fp_ieee_inexact 0
		.amdhsa_exception_int_div_zero 0
	.end_amdhsa_kernel
	.section	.text._ZN7rocprim17ROCPRIM_400000_NS6detail17trampoline_kernelINS0_14default_configENS1_38merge_sort_block_merge_config_selectorIilEEZZNS1_27merge_sort_block_merge_implIS3_PiN6thrust23THRUST_200600_302600_NS10device_ptrIlEEjNS1_19radix_merge_compareILb0ELb0EiNS0_19identity_decomposerEEEEE10hipError_tT0_T1_T2_jT3_P12ihipStream_tbPNSt15iterator_traitsISG_E10value_typeEPNSM_ISH_E10value_typeEPSI_NS1_7vsmem_tEENKUlT_SG_SH_SI_E_clIS7_S7_PlSB_EESF_SV_SG_SH_SI_EUlSV_E_NS1_11comp_targetILNS1_3genE3ELNS1_11target_archE908ELNS1_3gpuE7ELNS1_3repE0EEENS1_48merge_mergepath_partition_config_static_selectorELNS0_4arch9wavefront6targetE1EEEvSH_,"axG",@progbits,_ZN7rocprim17ROCPRIM_400000_NS6detail17trampoline_kernelINS0_14default_configENS1_38merge_sort_block_merge_config_selectorIilEEZZNS1_27merge_sort_block_merge_implIS3_PiN6thrust23THRUST_200600_302600_NS10device_ptrIlEEjNS1_19radix_merge_compareILb0ELb0EiNS0_19identity_decomposerEEEEE10hipError_tT0_T1_T2_jT3_P12ihipStream_tbPNSt15iterator_traitsISG_E10value_typeEPNSM_ISH_E10value_typeEPSI_NS1_7vsmem_tEENKUlT_SG_SH_SI_E_clIS7_S7_PlSB_EESF_SV_SG_SH_SI_EUlSV_E_NS1_11comp_targetILNS1_3genE3ELNS1_11target_archE908ELNS1_3gpuE7ELNS1_3repE0EEENS1_48merge_mergepath_partition_config_static_selectorELNS0_4arch9wavefront6targetE1EEEvSH_,comdat
.Lfunc_end748:
	.size	_ZN7rocprim17ROCPRIM_400000_NS6detail17trampoline_kernelINS0_14default_configENS1_38merge_sort_block_merge_config_selectorIilEEZZNS1_27merge_sort_block_merge_implIS3_PiN6thrust23THRUST_200600_302600_NS10device_ptrIlEEjNS1_19radix_merge_compareILb0ELb0EiNS0_19identity_decomposerEEEEE10hipError_tT0_T1_T2_jT3_P12ihipStream_tbPNSt15iterator_traitsISG_E10value_typeEPNSM_ISH_E10value_typeEPSI_NS1_7vsmem_tEENKUlT_SG_SH_SI_E_clIS7_S7_PlSB_EESF_SV_SG_SH_SI_EUlSV_E_NS1_11comp_targetILNS1_3genE3ELNS1_11target_archE908ELNS1_3gpuE7ELNS1_3repE0EEENS1_48merge_mergepath_partition_config_static_selectorELNS0_4arch9wavefront6targetE1EEEvSH_, .Lfunc_end748-_ZN7rocprim17ROCPRIM_400000_NS6detail17trampoline_kernelINS0_14default_configENS1_38merge_sort_block_merge_config_selectorIilEEZZNS1_27merge_sort_block_merge_implIS3_PiN6thrust23THRUST_200600_302600_NS10device_ptrIlEEjNS1_19radix_merge_compareILb0ELb0EiNS0_19identity_decomposerEEEEE10hipError_tT0_T1_T2_jT3_P12ihipStream_tbPNSt15iterator_traitsISG_E10value_typeEPNSM_ISH_E10value_typeEPSI_NS1_7vsmem_tEENKUlT_SG_SH_SI_E_clIS7_S7_PlSB_EESF_SV_SG_SH_SI_EUlSV_E_NS1_11comp_targetILNS1_3genE3ELNS1_11target_archE908ELNS1_3gpuE7ELNS1_3repE0EEENS1_48merge_mergepath_partition_config_static_selectorELNS0_4arch9wavefront6targetE1EEEvSH_
                                        ; -- End function
	.section	.AMDGPU.csdata,"",@progbits
; Kernel info:
; codeLenInByte = 0
; NumSgprs: 4
; NumVgprs: 0
; NumAgprs: 0
; TotalNumVgprs: 0
; ScratchSize: 0
; MemoryBound: 0
; FloatMode: 240
; IeeeMode: 1
; LDSByteSize: 0 bytes/workgroup (compile time only)
; SGPRBlocks: 0
; VGPRBlocks: 0
; NumSGPRsForWavesPerEU: 4
; NumVGPRsForWavesPerEU: 1
; AccumOffset: 4
; Occupancy: 8
; WaveLimiterHint : 0
; COMPUTE_PGM_RSRC2:SCRATCH_EN: 0
; COMPUTE_PGM_RSRC2:USER_SGPR: 6
; COMPUTE_PGM_RSRC2:TRAP_HANDLER: 0
; COMPUTE_PGM_RSRC2:TGID_X_EN: 1
; COMPUTE_PGM_RSRC2:TGID_Y_EN: 0
; COMPUTE_PGM_RSRC2:TGID_Z_EN: 0
; COMPUTE_PGM_RSRC2:TIDIG_COMP_CNT: 0
; COMPUTE_PGM_RSRC3_GFX90A:ACCUM_OFFSET: 0
; COMPUTE_PGM_RSRC3_GFX90A:TG_SPLIT: 0
	.section	.text._ZN7rocprim17ROCPRIM_400000_NS6detail17trampoline_kernelINS0_14default_configENS1_38merge_sort_block_merge_config_selectorIilEEZZNS1_27merge_sort_block_merge_implIS3_PiN6thrust23THRUST_200600_302600_NS10device_ptrIlEEjNS1_19radix_merge_compareILb0ELb0EiNS0_19identity_decomposerEEEEE10hipError_tT0_T1_T2_jT3_P12ihipStream_tbPNSt15iterator_traitsISG_E10value_typeEPNSM_ISH_E10value_typeEPSI_NS1_7vsmem_tEENKUlT_SG_SH_SI_E_clIS7_S7_PlSB_EESF_SV_SG_SH_SI_EUlSV_E_NS1_11comp_targetILNS1_3genE2ELNS1_11target_archE906ELNS1_3gpuE6ELNS1_3repE0EEENS1_48merge_mergepath_partition_config_static_selectorELNS0_4arch9wavefront6targetE1EEEvSH_,"axG",@progbits,_ZN7rocprim17ROCPRIM_400000_NS6detail17trampoline_kernelINS0_14default_configENS1_38merge_sort_block_merge_config_selectorIilEEZZNS1_27merge_sort_block_merge_implIS3_PiN6thrust23THRUST_200600_302600_NS10device_ptrIlEEjNS1_19radix_merge_compareILb0ELb0EiNS0_19identity_decomposerEEEEE10hipError_tT0_T1_T2_jT3_P12ihipStream_tbPNSt15iterator_traitsISG_E10value_typeEPNSM_ISH_E10value_typeEPSI_NS1_7vsmem_tEENKUlT_SG_SH_SI_E_clIS7_S7_PlSB_EESF_SV_SG_SH_SI_EUlSV_E_NS1_11comp_targetILNS1_3genE2ELNS1_11target_archE906ELNS1_3gpuE6ELNS1_3repE0EEENS1_48merge_mergepath_partition_config_static_selectorELNS0_4arch9wavefront6targetE1EEEvSH_,comdat
	.protected	_ZN7rocprim17ROCPRIM_400000_NS6detail17trampoline_kernelINS0_14default_configENS1_38merge_sort_block_merge_config_selectorIilEEZZNS1_27merge_sort_block_merge_implIS3_PiN6thrust23THRUST_200600_302600_NS10device_ptrIlEEjNS1_19radix_merge_compareILb0ELb0EiNS0_19identity_decomposerEEEEE10hipError_tT0_T1_T2_jT3_P12ihipStream_tbPNSt15iterator_traitsISG_E10value_typeEPNSM_ISH_E10value_typeEPSI_NS1_7vsmem_tEENKUlT_SG_SH_SI_E_clIS7_S7_PlSB_EESF_SV_SG_SH_SI_EUlSV_E_NS1_11comp_targetILNS1_3genE2ELNS1_11target_archE906ELNS1_3gpuE6ELNS1_3repE0EEENS1_48merge_mergepath_partition_config_static_selectorELNS0_4arch9wavefront6targetE1EEEvSH_ ; -- Begin function _ZN7rocprim17ROCPRIM_400000_NS6detail17trampoline_kernelINS0_14default_configENS1_38merge_sort_block_merge_config_selectorIilEEZZNS1_27merge_sort_block_merge_implIS3_PiN6thrust23THRUST_200600_302600_NS10device_ptrIlEEjNS1_19radix_merge_compareILb0ELb0EiNS0_19identity_decomposerEEEEE10hipError_tT0_T1_T2_jT3_P12ihipStream_tbPNSt15iterator_traitsISG_E10value_typeEPNSM_ISH_E10value_typeEPSI_NS1_7vsmem_tEENKUlT_SG_SH_SI_E_clIS7_S7_PlSB_EESF_SV_SG_SH_SI_EUlSV_E_NS1_11comp_targetILNS1_3genE2ELNS1_11target_archE906ELNS1_3gpuE6ELNS1_3repE0EEENS1_48merge_mergepath_partition_config_static_selectorELNS0_4arch9wavefront6targetE1EEEvSH_
	.globl	_ZN7rocprim17ROCPRIM_400000_NS6detail17trampoline_kernelINS0_14default_configENS1_38merge_sort_block_merge_config_selectorIilEEZZNS1_27merge_sort_block_merge_implIS3_PiN6thrust23THRUST_200600_302600_NS10device_ptrIlEEjNS1_19radix_merge_compareILb0ELb0EiNS0_19identity_decomposerEEEEE10hipError_tT0_T1_T2_jT3_P12ihipStream_tbPNSt15iterator_traitsISG_E10value_typeEPNSM_ISH_E10value_typeEPSI_NS1_7vsmem_tEENKUlT_SG_SH_SI_E_clIS7_S7_PlSB_EESF_SV_SG_SH_SI_EUlSV_E_NS1_11comp_targetILNS1_3genE2ELNS1_11target_archE906ELNS1_3gpuE6ELNS1_3repE0EEENS1_48merge_mergepath_partition_config_static_selectorELNS0_4arch9wavefront6targetE1EEEvSH_
	.p2align	8
	.type	_ZN7rocprim17ROCPRIM_400000_NS6detail17trampoline_kernelINS0_14default_configENS1_38merge_sort_block_merge_config_selectorIilEEZZNS1_27merge_sort_block_merge_implIS3_PiN6thrust23THRUST_200600_302600_NS10device_ptrIlEEjNS1_19radix_merge_compareILb0ELb0EiNS0_19identity_decomposerEEEEE10hipError_tT0_T1_T2_jT3_P12ihipStream_tbPNSt15iterator_traitsISG_E10value_typeEPNSM_ISH_E10value_typeEPSI_NS1_7vsmem_tEENKUlT_SG_SH_SI_E_clIS7_S7_PlSB_EESF_SV_SG_SH_SI_EUlSV_E_NS1_11comp_targetILNS1_3genE2ELNS1_11target_archE906ELNS1_3gpuE6ELNS1_3repE0EEENS1_48merge_mergepath_partition_config_static_selectorELNS0_4arch9wavefront6targetE1EEEvSH_,@function
_ZN7rocprim17ROCPRIM_400000_NS6detail17trampoline_kernelINS0_14default_configENS1_38merge_sort_block_merge_config_selectorIilEEZZNS1_27merge_sort_block_merge_implIS3_PiN6thrust23THRUST_200600_302600_NS10device_ptrIlEEjNS1_19radix_merge_compareILb0ELb0EiNS0_19identity_decomposerEEEEE10hipError_tT0_T1_T2_jT3_P12ihipStream_tbPNSt15iterator_traitsISG_E10value_typeEPNSM_ISH_E10value_typeEPSI_NS1_7vsmem_tEENKUlT_SG_SH_SI_E_clIS7_S7_PlSB_EESF_SV_SG_SH_SI_EUlSV_E_NS1_11comp_targetILNS1_3genE2ELNS1_11target_archE906ELNS1_3gpuE6ELNS1_3repE0EEENS1_48merge_mergepath_partition_config_static_selectorELNS0_4arch9wavefront6targetE1EEEvSH_: ; @_ZN7rocprim17ROCPRIM_400000_NS6detail17trampoline_kernelINS0_14default_configENS1_38merge_sort_block_merge_config_selectorIilEEZZNS1_27merge_sort_block_merge_implIS3_PiN6thrust23THRUST_200600_302600_NS10device_ptrIlEEjNS1_19radix_merge_compareILb0ELb0EiNS0_19identity_decomposerEEEEE10hipError_tT0_T1_T2_jT3_P12ihipStream_tbPNSt15iterator_traitsISG_E10value_typeEPNSM_ISH_E10value_typeEPSI_NS1_7vsmem_tEENKUlT_SG_SH_SI_E_clIS7_S7_PlSB_EESF_SV_SG_SH_SI_EUlSV_E_NS1_11comp_targetILNS1_3genE2ELNS1_11target_archE906ELNS1_3gpuE6ELNS1_3repE0EEENS1_48merge_mergepath_partition_config_static_selectorELNS0_4arch9wavefront6targetE1EEEvSH_
; %bb.0:
	.section	.rodata,"a",@progbits
	.p2align	6, 0x0
	.amdhsa_kernel _ZN7rocprim17ROCPRIM_400000_NS6detail17trampoline_kernelINS0_14default_configENS1_38merge_sort_block_merge_config_selectorIilEEZZNS1_27merge_sort_block_merge_implIS3_PiN6thrust23THRUST_200600_302600_NS10device_ptrIlEEjNS1_19radix_merge_compareILb0ELb0EiNS0_19identity_decomposerEEEEE10hipError_tT0_T1_T2_jT3_P12ihipStream_tbPNSt15iterator_traitsISG_E10value_typeEPNSM_ISH_E10value_typeEPSI_NS1_7vsmem_tEENKUlT_SG_SH_SI_E_clIS7_S7_PlSB_EESF_SV_SG_SH_SI_EUlSV_E_NS1_11comp_targetILNS1_3genE2ELNS1_11target_archE906ELNS1_3gpuE6ELNS1_3repE0EEENS1_48merge_mergepath_partition_config_static_selectorELNS0_4arch9wavefront6targetE1EEEvSH_
		.amdhsa_group_segment_fixed_size 0
		.amdhsa_private_segment_fixed_size 0
		.amdhsa_kernarg_size 40
		.amdhsa_user_sgpr_count 6
		.amdhsa_user_sgpr_private_segment_buffer 1
		.amdhsa_user_sgpr_dispatch_ptr 0
		.amdhsa_user_sgpr_queue_ptr 0
		.amdhsa_user_sgpr_kernarg_segment_ptr 1
		.amdhsa_user_sgpr_dispatch_id 0
		.amdhsa_user_sgpr_flat_scratch_init 0
		.amdhsa_user_sgpr_kernarg_preload_length 0
		.amdhsa_user_sgpr_kernarg_preload_offset 0
		.amdhsa_user_sgpr_private_segment_size 0
		.amdhsa_uses_dynamic_stack 0
		.amdhsa_system_sgpr_private_segment_wavefront_offset 0
		.amdhsa_system_sgpr_workgroup_id_x 1
		.amdhsa_system_sgpr_workgroup_id_y 0
		.amdhsa_system_sgpr_workgroup_id_z 0
		.amdhsa_system_sgpr_workgroup_info 0
		.amdhsa_system_vgpr_workitem_id 0
		.amdhsa_next_free_vgpr 1
		.amdhsa_next_free_sgpr 0
		.amdhsa_accum_offset 4
		.amdhsa_reserve_vcc 0
		.amdhsa_reserve_flat_scratch 0
		.amdhsa_float_round_mode_32 0
		.amdhsa_float_round_mode_16_64 0
		.amdhsa_float_denorm_mode_32 3
		.amdhsa_float_denorm_mode_16_64 3
		.amdhsa_dx10_clamp 1
		.amdhsa_ieee_mode 1
		.amdhsa_fp16_overflow 0
		.amdhsa_tg_split 0
		.amdhsa_exception_fp_ieee_invalid_op 0
		.amdhsa_exception_fp_denorm_src 0
		.amdhsa_exception_fp_ieee_div_zero 0
		.amdhsa_exception_fp_ieee_overflow 0
		.amdhsa_exception_fp_ieee_underflow 0
		.amdhsa_exception_fp_ieee_inexact 0
		.amdhsa_exception_int_div_zero 0
	.end_amdhsa_kernel
	.section	.text._ZN7rocprim17ROCPRIM_400000_NS6detail17trampoline_kernelINS0_14default_configENS1_38merge_sort_block_merge_config_selectorIilEEZZNS1_27merge_sort_block_merge_implIS3_PiN6thrust23THRUST_200600_302600_NS10device_ptrIlEEjNS1_19radix_merge_compareILb0ELb0EiNS0_19identity_decomposerEEEEE10hipError_tT0_T1_T2_jT3_P12ihipStream_tbPNSt15iterator_traitsISG_E10value_typeEPNSM_ISH_E10value_typeEPSI_NS1_7vsmem_tEENKUlT_SG_SH_SI_E_clIS7_S7_PlSB_EESF_SV_SG_SH_SI_EUlSV_E_NS1_11comp_targetILNS1_3genE2ELNS1_11target_archE906ELNS1_3gpuE6ELNS1_3repE0EEENS1_48merge_mergepath_partition_config_static_selectorELNS0_4arch9wavefront6targetE1EEEvSH_,"axG",@progbits,_ZN7rocprim17ROCPRIM_400000_NS6detail17trampoline_kernelINS0_14default_configENS1_38merge_sort_block_merge_config_selectorIilEEZZNS1_27merge_sort_block_merge_implIS3_PiN6thrust23THRUST_200600_302600_NS10device_ptrIlEEjNS1_19radix_merge_compareILb0ELb0EiNS0_19identity_decomposerEEEEE10hipError_tT0_T1_T2_jT3_P12ihipStream_tbPNSt15iterator_traitsISG_E10value_typeEPNSM_ISH_E10value_typeEPSI_NS1_7vsmem_tEENKUlT_SG_SH_SI_E_clIS7_S7_PlSB_EESF_SV_SG_SH_SI_EUlSV_E_NS1_11comp_targetILNS1_3genE2ELNS1_11target_archE906ELNS1_3gpuE6ELNS1_3repE0EEENS1_48merge_mergepath_partition_config_static_selectorELNS0_4arch9wavefront6targetE1EEEvSH_,comdat
.Lfunc_end749:
	.size	_ZN7rocprim17ROCPRIM_400000_NS6detail17trampoline_kernelINS0_14default_configENS1_38merge_sort_block_merge_config_selectorIilEEZZNS1_27merge_sort_block_merge_implIS3_PiN6thrust23THRUST_200600_302600_NS10device_ptrIlEEjNS1_19radix_merge_compareILb0ELb0EiNS0_19identity_decomposerEEEEE10hipError_tT0_T1_T2_jT3_P12ihipStream_tbPNSt15iterator_traitsISG_E10value_typeEPNSM_ISH_E10value_typeEPSI_NS1_7vsmem_tEENKUlT_SG_SH_SI_E_clIS7_S7_PlSB_EESF_SV_SG_SH_SI_EUlSV_E_NS1_11comp_targetILNS1_3genE2ELNS1_11target_archE906ELNS1_3gpuE6ELNS1_3repE0EEENS1_48merge_mergepath_partition_config_static_selectorELNS0_4arch9wavefront6targetE1EEEvSH_, .Lfunc_end749-_ZN7rocprim17ROCPRIM_400000_NS6detail17trampoline_kernelINS0_14default_configENS1_38merge_sort_block_merge_config_selectorIilEEZZNS1_27merge_sort_block_merge_implIS3_PiN6thrust23THRUST_200600_302600_NS10device_ptrIlEEjNS1_19radix_merge_compareILb0ELb0EiNS0_19identity_decomposerEEEEE10hipError_tT0_T1_T2_jT3_P12ihipStream_tbPNSt15iterator_traitsISG_E10value_typeEPNSM_ISH_E10value_typeEPSI_NS1_7vsmem_tEENKUlT_SG_SH_SI_E_clIS7_S7_PlSB_EESF_SV_SG_SH_SI_EUlSV_E_NS1_11comp_targetILNS1_3genE2ELNS1_11target_archE906ELNS1_3gpuE6ELNS1_3repE0EEENS1_48merge_mergepath_partition_config_static_selectorELNS0_4arch9wavefront6targetE1EEEvSH_
                                        ; -- End function
	.section	.AMDGPU.csdata,"",@progbits
; Kernel info:
; codeLenInByte = 0
; NumSgprs: 4
; NumVgprs: 0
; NumAgprs: 0
; TotalNumVgprs: 0
; ScratchSize: 0
; MemoryBound: 0
; FloatMode: 240
; IeeeMode: 1
; LDSByteSize: 0 bytes/workgroup (compile time only)
; SGPRBlocks: 0
; VGPRBlocks: 0
; NumSGPRsForWavesPerEU: 4
; NumVGPRsForWavesPerEU: 1
; AccumOffset: 4
; Occupancy: 8
; WaveLimiterHint : 0
; COMPUTE_PGM_RSRC2:SCRATCH_EN: 0
; COMPUTE_PGM_RSRC2:USER_SGPR: 6
; COMPUTE_PGM_RSRC2:TRAP_HANDLER: 0
; COMPUTE_PGM_RSRC2:TGID_X_EN: 1
; COMPUTE_PGM_RSRC2:TGID_Y_EN: 0
; COMPUTE_PGM_RSRC2:TGID_Z_EN: 0
; COMPUTE_PGM_RSRC2:TIDIG_COMP_CNT: 0
; COMPUTE_PGM_RSRC3_GFX90A:ACCUM_OFFSET: 0
; COMPUTE_PGM_RSRC3_GFX90A:TG_SPLIT: 0
	.section	.text._ZN7rocprim17ROCPRIM_400000_NS6detail17trampoline_kernelINS0_14default_configENS1_38merge_sort_block_merge_config_selectorIilEEZZNS1_27merge_sort_block_merge_implIS3_PiN6thrust23THRUST_200600_302600_NS10device_ptrIlEEjNS1_19radix_merge_compareILb0ELb0EiNS0_19identity_decomposerEEEEE10hipError_tT0_T1_T2_jT3_P12ihipStream_tbPNSt15iterator_traitsISG_E10value_typeEPNSM_ISH_E10value_typeEPSI_NS1_7vsmem_tEENKUlT_SG_SH_SI_E_clIS7_S7_PlSB_EESF_SV_SG_SH_SI_EUlSV_E_NS1_11comp_targetILNS1_3genE9ELNS1_11target_archE1100ELNS1_3gpuE3ELNS1_3repE0EEENS1_48merge_mergepath_partition_config_static_selectorELNS0_4arch9wavefront6targetE1EEEvSH_,"axG",@progbits,_ZN7rocprim17ROCPRIM_400000_NS6detail17trampoline_kernelINS0_14default_configENS1_38merge_sort_block_merge_config_selectorIilEEZZNS1_27merge_sort_block_merge_implIS3_PiN6thrust23THRUST_200600_302600_NS10device_ptrIlEEjNS1_19radix_merge_compareILb0ELb0EiNS0_19identity_decomposerEEEEE10hipError_tT0_T1_T2_jT3_P12ihipStream_tbPNSt15iterator_traitsISG_E10value_typeEPNSM_ISH_E10value_typeEPSI_NS1_7vsmem_tEENKUlT_SG_SH_SI_E_clIS7_S7_PlSB_EESF_SV_SG_SH_SI_EUlSV_E_NS1_11comp_targetILNS1_3genE9ELNS1_11target_archE1100ELNS1_3gpuE3ELNS1_3repE0EEENS1_48merge_mergepath_partition_config_static_selectorELNS0_4arch9wavefront6targetE1EEEvSH_,comdat
	.protected	_ZN7rocprim17ROCPRIM_400000_NS6detail17trampoline_kernelINS0_14default_configENS1_38merge_sort_block_merge_config_selectorIilEEZZNS1_27merge_sort_block_merge_implIS3_PiN6thrust23THRUST_200600_302600_NS10device_ptrIlEEjNS1_19radix_merge_compareILb0ELb0EiNS0_19identity_decomposerEEEEE10hipError_tT0_T1_T2_jT3_P12ihipStream_tbPNSt15iterator_traitsISG_E10value_typeEPNSM_ISH_E10value_typeEPSI_NS1_7vsmem_tEENKUlT_SG_SH_SI_E_clIS7_S7_PlSB_EESF_SV_SG_SH_SI_EUlSV_E_NS1_11comp_targetILNS1_3genE9ELNS1_11target_archE1100ELNS1_3gpuE3ELNS1_3repE0EEENS1_48merge_mergepath_partition_config_static_selectorELNS0_4arch9wavefront6targetE1EEEvSH_ ; -- Begin function _ZN7rocprim17ROCPRIM_400000_NS6detail17trampoline_kernelINS0_14default_configENS1_38merge_sort_block_merge_config_selectorIilEEZZNS1_27merge_sort_block_merge_implIS3_PiN6thrust23THRUST_200600_302600_NS10device_ptrIlEEjNS1_19radix_merge_compareILb0ELb0EiNS0_19identity_decomposerEEEEE10hipError_tT0_T1_T2_jT3_P12ihipStream_tbPNSt15iterator_traitsISG_E10value_typeEPNSM_ISH_E10value_typeEPSI_NS1_7vsmem_tEENKUlT_SG_SH_SI_E_clIS7_S7_PlSB_EESF_SV_SG_SH_SI_EUlSV_E_NS1_11comp_targetILNS1_3genE9ELNS1_11target_archE1100ELNS1_3gpuE3ELNS1_3repE0EEENS1_48merge_mergepath_partition_config_static_selectorELNS0_4arch9wavefront6targetE1EEEvSH_
	.globl	_ZN7rocprim17ROCPRIM_400000_NS6detail17trampoline_kernelINS0_14default_configENS1_38merge_sort_block_merge_config_selectorIilEEZZNS1_27merge_sort_block_merge_implIS3_PiN6thrust23THRUST_200600_302600_NS10device_ptrIlEEjNS1_19radix_merge_compareILb0ELb0EiNS0_19identity_decomposerEEEEE10hipError_tT0_T1_T2_jT3_P12ihipStream_tbPNSt15iterator_traitsISG_E10value_typeEPNSM_ISH_E10value_typeEPSI_NS1_7vsmem_tEENKUlT_SG_SH_SI_E_clIS7_S7_PlSB_EESF_SV_SG_SH_SI_EUlSV_E_NS1_11comp_targetILNS1_3genE9ELNS1_11target_archE1100ELNS1_3gpuE3ELNS1_3repE0EEENS1_48merge_mergepath_partition_config_static_selectorELNS0_4arch9wavefront6targetE1EEEvSH_
	.p2align	8
	.type	_ZN7rocprim17ROCPRIM_400000_NS6detail17trampoline_kernelINS0_14default_configENS1_38merge_sort_block_merge_config_selectorIilEEZZNS1_27merge_sort_block_merge_implIS3_PiN6thrust23THRUST_200600_302600_NS10device_ptrIlEEjNS1_19radix_merge_compareILb0ELb0EiNS0_19identity_decomposerEEEEE10hipError_tT0_T1_T2_jT3_P12ihipStream_tbPNSt15iterator_traitsISG_E10value_typeEPNSM_ISH_E10value_typeEPSI_NS1_7vsmem_tEENKUlT_SG_SH_SI_E_clIS7_S7_PlSB_EESF_SV_SG_SH_SI_EUlSV_E_NS1_11comp_targetILNS1_3genE9ELNS1_11target_archE1100ELNS1_3gpuE3ELNS1_3repE0EEENS1_48merge_mergepath_partition_config_static_selectorELNS0_4arch9wavefront6targetE1EEEvSH_,@function
_ZN7rocprim17ROCPRIM_400000_NS6detail17trampoline_kernelINS0_14default_configENS1_38merge_sort_block_merge_config_selectorIilEEZZNS1_27merge_sort_block_merge_implIS3_PiN6thrust23THRUST_200600_302600_NS10device_ptrIlEEjNS1_19radix_merge_compareILb0ELb0EiNS0_19identity_decomposerEEEEE10hipError_tT0_T1_T2_jT3_P12ihipStream_tbPNSt15iterator_traitsISG_E10value_typeEPNSM_ISH_E10value_typeEPSI_NS1_7vsmem_tEENKUlT_SG_SH_SI_E_clIS7_S7_PlSB_EESF_SV_SG_SH_SI_EUlSV_E_NS1_11comp_targetILNS1_3genE9ELNS1_11target_archE1100ELNS1_3gpuE3ELNS1_3repE0EEENS1_48merge_mergepath_partition_config_static_selectorELNS0_4arch9wavefront6targetE1EEEvSH_: ; @_ZN7rocprim17ROCPRIM_400000_NS6detail17trampoline_kernelINS0_14default_configENS1_38merge_sort_block_merge_config_selectorIilEEZZNS1_27merge_sort_block_merge_implIS3_PiN6thrust23THRUST_200600_302600_NS10device_ptrIlEEjNS1_19radix_merge_compareILb0ELb0EiNS0_19identity_decomposerEEEEE10hipError_tT0_T1_T2_jT3_P12ihipStream_tbPNSt15iterator_traitsISG_E10value_typeEPNSM_ISH_E10value_typeEPSI_NS1_7vsmem_tEENKUlT_SG_SH_SI_E_clIS7_S7_PlSB_EESF_SV_SG_SH_SI_EUlSV_E_NS1_11comp_targetILNS1_3genE9ELNS1_11target_archE1100ELNS1_3gpuE3ELNS1_3repE0EEENS1_48merge_mergepath_partition_config_static_selectorELNS0_4arch9wavefront6targetE1EEEvSH_
; %bb.0:
	.section	.rodata,"a",@progbits
	.p2align	6, 0x0
	.amdhsa_kernel _ZN7rocprim17ROCPRIM_400000_NS6detail17trampoline_kernelINS0_14default_configENS1_38merge_sort_block_merge_config_selectorIilEEZZNS1_27merge_sort_block_merge_implIS3_PiN6thrust23THRUST_200600_302600_NS10device_ptrIlEEjNS1_19radix_merge_compareILb0ELb0EiNS0_19identity_decomposerEEEEE10hipError_tT0_T1_T2_jT3_P12ihipStream_tbPNSt15iterator_traitsISG_E10value_typeEPNSM_ISH_E10value_typeEPSI_NS1_7vsmem_tEENKUlT_SG_SH_SI_E_clIS7_S7_PlSB_EESF_SV_SG_SH_SI_EUlSV_E_NS1_11comp_targetILNS1_3genE9ELNS1_11target_archE1100ELNS1_3gpuE3ELNS1_3repE0EEENS1_48merge_mergepath_partition_config_static_selectorELNS0_4arch9wavefront6targetE1EEEvSH_
		.amdhsa_group_segment_fixed_size 0
		.amdhsa_private_segment_fixed_size 0
		.amdhsa_kernarg_size 40
		.amdhsa_user_sgpr_count 6
		.amdhsa_user_sgpr_private_segment_buffer 1
		.amdhsa_user_sgpr_dispatch_ptr 0
		.amdhsa_user_sgpr_queue_ptr 0
		.amdhsa_user_sgpr_kernarg_segment_ptr 1
		.amdhsa_user_sgpr_dispatch_id 0
		.amdhsa_user_sgpr_flat_scratch_init 0
		.amdhsa_user_sgpr_kernarg_preload_length 0
		.amdhsa_user_sgpr_kernarg_preload_offset 0
		.amdhsa_user_sgpr_private_segment_size 0
		.amdhsa_uses_dynamic_stack 0
		.amdhsa_system_sgpr_private_segment_wavefront_offset 0
		.amdhsa_system_sgpr_workgroup_id_x 1
		.amdhsa_system_sgpr_workgroup_id_y 0
		.amdhsa_system_sgpr_workgroup_id_z 0
		.amdhsa_system_sgpr_workgroup_info 0
		.amdhsa_system_vgpr_workitem_id 0
		.amdhsa_next_free_vgpr 1
		.amdhsa_next_free_sgpr 0
		.amdhsa_accum_offset 4
		.amdhsa_reserve_vcc 0
		.amdhsa_reserve_flat_scratch 0
		.amdhsa_float_round_mode_32 0
		.amdhsa_float_round_mode_16_64 0
		.amdhsa_float_denorm_mode_32 3
		.amdhsa_float_denorm_mode_16_64 3
		.amdhsa_dx10_clamp 1
		.amdhsa_ieee_mode 1
		.amdhsa_fp16_overflow 0
		.amdhsa_tg_split 0
		.amdhsa_exception_fp_ieee_invalid_op 0
		.amdhsa_exception_fp_denorm_src 0
		.amdhsa_exception_fp_ieee_div_zero 0
		.amdhsa_exception_fp_ieee_overflow 0
		.amdhsa_exception_fp_ieee_underflow 0
		.amdhsa_exception_fp_ieee_inexact 0
		.amdhsa_exception_int_div_zero 0
	.end_amdhsa_kernel
	.section	.text._ZN7rocprim17ROCPRIM_400000_NS6detail17trampoline_kernelINS0_14default_configENS1_38merge_sort_block_merge_config_selectorIilEEZZNS1_27merge_sort_block_merge_implIS3_PiN6thrust23THRUST_200600_302600_NS10device_ptrIlEEjNS1_19radix_merge_compareILb0ELb0EiNS0_19identity_decomposerEEEEE10hipError_tT0_T1_T2_jT3_P12ihipStream_tbPNSt15iterator_traitsISG_E10value_typeEPNSM_ISH_E10value_typeEPSI_NS1_7vsmem_tEENKUlT_SG_SH_SI_E_clIS7_S7_PlSB_EESF_SV_SG_SH_SI_EUlSV_E_NS1_11comp_targetILNS1_3genE9ELNS1_11target_archE1100ELNS1_3gpuE3ELNS1_3repE0EEENS1_48merge_mergepath_partition_config_static_selectorELNS0_4arch9wavefront6targetE1EEEvSH_,"axG",@progbits,_ZN7rocprim17ROCPRIM_400000_NS6detail17trampoline_kernelINS0_14default_configENS1_38merge_sort_block_merge_config_selectorIilEEZZNS1_27merge_sort_block_merge_implIS3_PiN6thrust23THRUST_200600_302600_NS10device_ptrIlEEjNS1_19radix_merge_compareILb0ELb0EiNS0_19identity_decomposerEEEEE10hipError_tT0_T1_T2_jT3_P12ihipStream_tbPNSt15iterator_traitsISG_E10value_typeEPNSM_ISH_E10value_typeEPSI_NS1_7vsmem_tEENKUlT_SG_SH_SI_E_clIS7_S7_PlSB_EESF_SV_SG_SH_SI_EUlSV_E_NS1_11comp_targetILNS1_3genE9ELNS1_11target_archE1100ELNS1_3gpuE3ELNS1_3repE0EEENS1_48merge_mergepath_partition_config_static_selectorELNS0_4arch9wavefront6targetE1EEEvSH_,comdat
.Lfunc_end750:
	.size	_ZN7rocprim17ROCPRIM_400000_NS6detail17trampoline_kernelINS0_14default_configENS1_38merge_sort_block_merge_config_selectorIilEEZZNS1_27merge_sort_block_merge_implIS3_PiN6thrust23THRUST_200600_302600_NS10device_ptrIlEEjNS1_19radix_merge_compareILb0ELb0EiNS0_19identity_decomposerEEEEE10hipError_tT0_T1_T2_jT3_P12ihipStream_tbPNSt15iterator_traitsISG_E10value_typeEPNSM_ISH_E10value_typeEPSI_NS1_7vsmem_tEENKUlT_SG_SH_SI_E_clIS7_S7_PlSB_EESF_SV_SG_SH_SI_EUlSV_E_NS1_11comp_targetILNS1_3genE9ELNS1_11target_archE1100ELNS1_3gpuE3ELNS1_3repE0EEENS1_48merge_mergepath_partition_config_static_selectorELNS0_4arch9wavefront6targetE1EEEvSH_, .Lfunc_end750-_ZN7rocprim17ROCPRIM_400000_NS6detail17trampoline_kernelINS0_14default_configENS1_38merge_sort_block_merge_config_selectorIilEEZZNS1_27merge_sort_block_merge_implIS3_PiN6thrust23THRUST_200600_302600_NS10device_ptrIlEEjNS1_19radix_merge_compareILb0ELb0EiNS0_19identity_decomposerEEEEE10hipError_tT0_T1_T2_jT3_P12ihipStream_tbPNSt15iterator_traitsISG_E10value_typeEPNSM_ISH_E10value_typeEPSI_NS1_7vsmem_tEENKUlT_SG_SH_SI_E_clIS7_S7_PlSB_EESF_SV_SG_SH_SI_EUlSV_E_NS1_11comp_targetILNS1_3genE9ELNS1_11target_archE1100ELNS1_3gpuE3ELNS1_3repE0EEENS1_48merge_mergepath_partition_config_static_selectorELNS0_4arch9wavefront6targetE1EEEvSH_
                                        ; -- End function
	.section	.AMDGPU.csdata,"",@progbits
; Kernel info:
; codeLenInByte = 0
; NumSgprs: 4
; NumVgprs: 0
; NumAgprs: 0
; TotalNumVgprs: 0
; ScratchSize: 0
; MemoryBound: 0
; FloatMode: 240
; IeeeMode: 1
; LDSByteSize: 0 bytes/workgroup (compile time only)
; SGPRBlocks: 0
; VGPRBlocks: 0
; NumSGPRsForWavesPerEU: 4
; NumVGPRsForWavesPerEU: 1
; AccumOffset: 4
; Occupancy: 8
; WaveLimiterHint : 0
; COMPUTE_PGM_RSRC2:SCRATCH_EN: 0
; COMPUTE_PGM_RSRC2:USER_SGPR: 6
; COMPUTE_PGM_RSRC2:TRAP_HANDLER: 0
; COMPUTE_PGM_RSRC2:TGID_X_EN: 1
; COMPUTE_PGM_RSRC2:TGID_Y_EN: 0
; COMPUTE_PGM_RSRC2:TGID_Z_EN: 0
; COMPUTE_PGM_RSRC2:TIDIG_COMP_CNT: 0
; COMPUTE_PGM_RSRC3_GFX90A:ACCUM_OFFSET: 0
; COMPUTE_PGM_RSRC3_GFX90A:TG_SPLIT: 0
	.section	.text._ZN7rocprim17ROCPRIM_400000_NS6detail17trampoline_kernelINS0_14default_configENS1_38merge_sort_block_merge_config_selectorIilEEZZNS1_27merge_sort_block_merge_implIS3_PiN6thrust23THRUST_200600_302600_NS10device_ptrIlEEjNS1_19radix_merge_compareILb0ELb0EiNS0_19identity_decomposerEEEEE10hipError_tT0_T1_T2_jT3_P12ihipStream_tbPNSt15iterator_traitsISG_E10value_typeEPNSM_ISH_E10value_typeEPSI_NS1_7vsmem_tEENKUlT_SG_SH_SI_E_clIS7_S7_PlSB_EESF_SV_SG_SH_SI_EUlSV_E_NS1_11comp_targetILNS1_3genE8ELNS1_11target_archE1030ELNS1_3gpuE2ELNS1_3repE0EEENS1_48merge_mergepath_partition_config_static_selectorELNS0_4arch9wavefront6targetE1EEEvSH_,"axG",@progbits,_ZN7rocprim17ROCPRIM_400000_NS6detail17trampoline_kernelINS0_14default_configENS1_38merge_sort_block_merge_config_selectorIilEEZZNS1_27merge_sort_block_merge_implIS3_PiN6thrust23THRUST_200600_302600_NS10device_ptrIlEEjNS1_19radix_merge_compareILb0ELb0EiNS0_19identity_decomposerEEEEE10hipError_tT0_T1_T2_jT3_P12ihipStream_tbPNSt15iterator_traitsISG_E10value_typeEPNSM_ISH_E10value_typeEPSI_NS1_7vsmem_tEENKUlT_SG_SH_SI_E_clIS7_S7_PlSB_EESF_SV_SG_SH_SI_EUlSV_E_NS1_11comp_targetILNS1_3genE8ELNS1_11target_archE1030ELNS1_3gpuE2ELNS1_3repE0EEENS1_48merge_mergepath_partition_config_static_selectorELNS0_4arch9wavefront6targetE1EEEvSH_,comdat
	.protected	_ZN7rocprim17ROCPRIM_400000_NS6detail17trampoline_kernelINS0_14default_configENS1_38merge_sort_block_merge_config_selectorIilEEZZNS1_27merge_sort_block_merge_implIS3_PiN6thrust23THRUST_200600_302600_NS10device_ptrIlEEjNS1_19radix_merge_compareILb0ELb0EiNS0_19identity_decomposerEEEEE10hipError_tT0_T1_T2_jT3_P12ihipStream_tbPNSt15iterator_traitsISG_E10value_typeEPNSM_ISH_E10value_typeEPSI_NS1_7vsmem_tEENKUlT_SG_SH_SI_E_clIS7_S7_PlSB_EESF_SV_SG_SH_SI_EUlSV_E_NS1_11comp_targetILNS1_3genE8ELNS1_11target_archE1030ELNS1_3gpuE2ELNS1_3repE0EEENS1_48merge_mergepath_partition_config_static_selectorELNS0_4arch9wavefront6targetE1EEEvSH_ ; -- Begin function _ZN7rocprim17ROCPRIM_400000_NS6detail17trampoline_kernelINS0_14default_configENS1_38merge_sort_block_merge_config_selectorIilEEZZNS1_27merge_sort_block_merge_implIS3_PiN6thrust23THRUST_200600_302600_NS10device_ptrIlEEjNS1_19radix_merge_compareILb0ELb0EiNS0_19identity_decomposerEEEEE10hipError_tT0_T1_T2_jT3_P12ihipStream_tbPNSt15iterator_traitsISG_E10value_typeEPNSM_ISH_E10value_typeEPSI_NS1_7vsmem_tEENKUlT_SG_SH_SI_E_clIS7_S7_PlSB_EESF_SV_SG_SH_SI_EUlSV_E_NS1_11comp_targetILNS1_3genE8ELNS1_11target_archE1030ELNS1_3gpuE2ELNS1_3repE0EEENS1_48merge_mergepath_partition_config_static_selectorELNS0_4arch9wavefront6targetE1EEEvSH_
	.globl	_ZN7rocprim17ROCPRIM_400000_NS6detail17trampoline_kernelINS0_14default_configENS1_38merge_sort_block_merge_config_selectorIilEEZZNS1_27merge_sort_block_merge_implIS3_PiN6thrust23THRUST_200600_302600_NS10device_ptrIlEEjNS1_19radix_merge_compareILb0ELb0EiNS0_19identity_decomposerEEEEE10hipError_tT0_T1_T2_jT3_P12ihipStream_tbPNSt15iterator_traitsISG_E10value_typeEPNSM_ISH_E10value_typeEPSI_NS1_7vsmem_tEENKUlT_SG_SH_SI_E_clIS7_S7_PlSB_EESF_SV_SG_SH_SI_EUlSV_E_NS1_11comp_targetILNS1_3genE8ELNS1_11target_archE1030ELNS1_3gpuE2ELNS1_3repE0EEENS1_48merge_mergepath_partition_config_static_selectorELNS0_4arch9wavefront6targetE1EEEvSH_
	.p2align	8
	.type	_ZN7rocprim17ROCPRIM_400000_NS6detail17trampoline_kernelINS0_14default_configENS1_38merge_sort_block_merge_config_selectorIilEEZZNS1_27merge_sort_block_merge_implIS3_PiN6thrust23THRUST_200600_302600_NS10device_ptrIlEEjNS1_19radix_merge_compareILb0ELb0EiNS0_19identity_decomposerEEEEE10hipError_tT0_T1_T2_jT3_P12ihipStream_tbPNSt15iterator_traitsISG_E10value_typeEPNSM_ISH_E10value_typeEPSI_NS1_7vsmem_tEENKUlT_SG_SH_SI_E_clIS7_S7_PlSB_EESF_SV_SG_SH_SI_EUlSV_E_NS1_11comp_targetILNS1_3genE8ELNS1_11target_archE1030ELNS1_3gpuE2ELNS1_3repE0EEENS1_48merge_mergepath_partition_config_static_selectorELNS0_4arch9wavefront6targetE1EEEvSH_,@function
_ZN7rocprim17ROCPRIM_400000_NS6detail17trampoline_kernelINS0_14default_configENS1_38merge_sort_block_merge_config_selectorIilEEZZNS1_27merge_sort_block_merge_implIS3_PiN6thrust23THRUST_200600_302600_NS10device_ptrIlEEjNS1_19radix_merge_compareILb0ELb0EiNS0_19identity_decomposerEEEEE10hipError_tT0_T1_T2_jT3_P12ihipStream_tbPNSt15iterator_traitsISG_E10value_typeEPNSM_ISH_E10value_typeEPSI_NS1_7vsmem_tEENKUlT_SG_SH_SI_E_clIS7_S7_PlSB_EESF_SV_SG_SH_SI_EUlSV_E_NS1_11comp_targetILNS1_3genE8ELNS1_11target_archE1030ELNS1_3gpuE2ELNS1_3repE0EEENS1_48merge_mergepath_partition_config_static_selectorELNS0_4arch9wavefront6targetE1EEEvSH_: ; @_ZN7rocprim17ROCPRIM_400000_NS6detail17trampoline_kernelINS0_14default_configENS1_38merge_sort_block_merge_config_selectorIilEEZZNS1_27merge_sort_block_merge_implIS3_PiN6thrust23THRUST_200600_302600_NS10device_ptrIlEEjNS1_19radix_merge_compareILb0ELb0EiNS0_19identity_decomposerEEEEE10hipError_tT0_T1_T2_jT3_P12ihipStream_tbPNSt15iterator_traitsISG_E10value_typeEPNSM_ISH_E10value_typeEPSI_NS1_7vsmem_tEENKUlT_SG_SH_SI_E_clIS7_S7_PlSB_EESF_SV_SG_SH_SI_EUlSV_E_NS1_11comp_targetILNS1_3genE8ELNS1_11target_archE1030ELNS1_3gpuE2ELNS1_3repE0EEENS1_48merge_mergepath_partition_config_static_selectorELNS0_4arch9wavefront6targetE1EEEvSH_
; %bb.0:
	.section	.rodata,"a",@progbits
	.p2align	6, 0x0
	.amdhsa_kernel _ZN7rocprim17ROCPRIM_400000_NS6detail17trampoline_kernelINS0_14default_configENS1_38merge_sort_block_merge_config_selectorIilEEZZNS1_27merge_sort_block_merge_implIS3_PiN6thrust23THRUST_200600_302600_NS10device_ptrIlEEjNS1_19radix_merge_compareILb0ELb0EiNS0_19identity_decomposerEEEEE10hipError_tT0_T1_T2_jT3_P12ihipStream_tbPNSt15iterator_traitsISG_E10value_typeEPNSM_ISH_E10value_typeEPSI_NS1_7vsmem_tEENKUlT_SG_SH_SI_E_clIS7_S7_PlSB_EESF_SV_SG_SH_SI_EUlSV_E_NS1_11comp_targetILNS1_3genE8ELNS1_11target_archE1030ELNS1_3gpuE2ELNS1_3repE0EEENS1_48merge_mergepath_partition_config_static_selectorELNS0_4arch9wavefront6targetE1EEEvSH_
		.amdhsa_group_segment_fixed_size 0
		.amdhsa_private_segment_fixed_size 0
		.amdhsa_kernarg_size 40
		.amdhsa_user_sgpr_count 6
		.amdhsa_user_sgpr_private_segment_buffer 1
		.amdhsa_user_sgpr_dispatch_ptr 0
		.amdhsa_user_sgpr_queue_ptr 0
		.amdhsa_user_sgpr_kernarg_segment_ptr 1
		.amdhsa_user_sgpr_dispatch_id 0
		.amdhsa_user_sgpr_flat_scratch_init 0
		.amdhsa_user_sgpr_kernarg_preload_length 0
		.amdhsa_user_sgpr_kernarg_preload_offset 0
		.amdhsa_user_sgpr_private_segment_size 0
		.amdhsa_uses_dynamic_stack 0
		.amdhsa_system_sgpr_private_segment_wavefront_offset 0
		.amdhsa_system_sgpr_workgroup_id_x 1
		.amdhsa_system_sgpr_workgroup_id_y 0
		.amdhsa_system_sgpr_workgroup_id_z 0
		.amdhsa_system_sgpr_workgroup_info 0
		.amdhsa_system_vgpr_workitem_id 0
		.amdhsa_next_free_vgpr 1
		.amdhsa_next_free_sgpr 0
		.amdhsa_accum_offset 4
		.amdhsa_reserve_vcc 0
		.amdhsa_reserve_flat_scratch 0
		.amdhsa_float_round_mode_32 0
		.amdhsa_float_round_mode_16_64 0
		.amdhsa_float_denorm_mode_32 3
		.amdhsa_float_denorm_mode_16_64 3
		.amdhsa_dx10_clamp 1
		.amdhsa_ieee_mode 1
		.amdhsa_fp16_overflow 0
		.amdhsa_tg_split 0
		.amdhsa_exception_fp_ieee_invalid_op 0
		.amdhsa_exception_fp_denorm_src 0
		.amdhsa_exception_fp_ieee_div_zero 0
		.amdhsa_exception_fp_ieee_overflow 0
		.amdhsa_exception_fp_ieee_underflow 0
		.amdhsa_exception_fp_ieee_inexact 0
		.amdhsa_exception_int_div_zero 0
	.end_amdhsa_kernel
	.section	.text._ZN7rocprim17ROCPRIM_400000_NS6detail17trampoline_kernelINS0_14default_configENS1_38merge_sort_block_merge_config_selectorIilEEZZNS1_27merge_sort_block_merge_implIS3_PiN6thrust23THRUST_200600_302600_NS10device_ptrIlEEjNS1_19radix_merge_compareILb0ELb0EiNS0_19identity_decomposerEEEEE10hipError_tT0_T1_T2_jT3_P12ihipStream_tbPNSt15iterator_traitsISG_E10value_typeEPNSM_ISH_E10value_typeEPSI_NS1_7vsmem_tEENKUlT_SG_SH_SI_E_clIS7_S7_PlSB_EESF_SV_SG_SH_SI_EUlSV_E_NS1_11comp_targetILNS1_3genE8ELNS1_11target_archE1030ELNS1_3gpuE2ELNS1_3repE0EEENS1_48merge_mergepath_partition_config_static_selectorELNS0_4arch9wavefront6targetE1EEEvSH_,"axG",@progbits,_ZN7rocprim17ROCPRIM_400000_NS6detail17trampoline_kernelINS0_14default_configENS1_38merge_sort_block_merge_config_selectorIilEEZZNS1_27merge_sort_block_merge_implIS3_PiN6thrust23THRUST_200600_302600_NS10device_ptrIlEEjNS1_19radix_merge_compareILb0ELb0EiNS0_19identity_decomposerEEEEE10hipError_tT0_T1_T2_jT3_P12ihipStream_tbPNSt15iterator_traitsISG_E10value_typeEPNSM_ISH_E10value_typeEPSI_NS1_7vsmem_tEENKUlT_SG_SH_SI_E_clIS7_S7_PlSB_EESF_SV_SG_SH_SI_EUlSV_E_NS1_11comp_targetILNS1_3genE8ELNS1_11target_archE1030ELNS1_3gpuE2ELNS1_3repE0EEENS1_48merge_mergepath_partition_config_static_selectorELNS0_4arch9wavefront6targetE1EEEvSH_,comdat
.Lfunc_end751:
	.size	_ZN7rocprim17ROCPRIM_400000_NS6detail17trampoline_kernelINS0_14default_configENS1_38merge_sort_block_merge_config_selectorIilEEZZNS1_27merge_sort_block_merge_implIS3_PiN6thrust23THRUST_200600_302600_NS10device_ptrIlEEjNS1_19radix_merge_compareILb0ELb0EiNS0_19identity_decomposerEEEEE10hipError_tT0_T1_T2_jT3_P12ihipStream_tbPNSt15iterator_traitsISG_E10value_typeEPNSM_ISH_E10value_typeEPSI_NS1_7vsmem_tEENKUlT_SG_SH_SI_E_clIS7_S7_PlSB_EESF_SV_SG_SH_SI_EUlSV_E_NS1_11comp_targetILNS1_3genE8ELNS1_11target_archE1030ELNS1_3gpuE2ELNS1_3repE0EEENS1_48merge_mergepath_partition_config_static_selectorELNS0_4arch9wavefront6targetE1EEEvSH_, .Lfunc_end751-_ZN7rocprim17ROCPRIM_400000_NS6detail17trampoline_kernelINS0_14default_configENS1_38merge_sort_block_merge_config_selectorIilEEZZNS1_27merge_sort_block_merge_implIS3_PiN6thrust23THRUST_200600_302600_NS10device_ptrIlEEjNS1_19radix_merge_compareILb0ELb0EiNS0_19identity_decomposerEEEEE10hipError_tT0_T1_T2_jT3_P12ihipStream_tbPNSt15iterator_traitsISG_E10value_typeEPNSM_ISH_E10value_typeEPSI_NS1_7vsmem_tEENKUlT_SG_SH_SI_E_clIS7_S7_PlSB_EESF_SV_SG_SH_SI_EUlSV_E_NS1_11comp_targetILNS1_3genE8ELNS1_11target_archE1030ELNS1_3gpuE2ELNS1_3repE0EEENS1_48merge_mergepath_partition_config_static_selectorELNS0_4arch9wavefront6targetE1EEEvSH_
                                        ; -- End function
	.section	.AMDGPU.csdata,"",@progbits
; Kernel info:
; codeLenInByte = 0
; NumSgprs: 4
; NumVgprs: 0
; NumAgprs: 0
; TotalNumVgprs: 0
; ScratchSize: 0
; MemoryBound: 0
; FloatMode: 240
; IeeeMode: 1
; LDSByteSize: 0 bytes/workgroup (compile time only)
; SGPRBlocks: 0
; VGPRBlocks: 0
; NumSGPRsForWavesPerEU: 4
; NumVGPRsForWavesPerEU: 1
; AccumOffset: 4
; Occupancy: 8
; WaveLimiterHint : 0
; COMPUTE_PGM_RSRC2:SCRATCH_EN: 0
; COMPUTE_PGM_RSRC2:USER_SGPR: 6
; COMPUTE_PGM_RSRC2:TRAP_HANDLER: 0
; COMPUTE_PGM_RSRC2:TGID_X_EN: 1
; COMPUTE_PGM_RSRC2:TGID_Y_EN: 0
; COMPUTE_PGM_RSRC2:TGID_Z_EN: 0
; COMPUTE_PGM_RSRC2:TIDIG_COMP_CNT: 0
; COMPUTE_PGM_RSRC3_GFX90A:ACCUM_OFFSET: 0
; COMPUTE_PGM_RSRC3_GFX90A:TG_SPLIT: 0
	.section	.text._ZN7rocprim17ROCPRIM_400000_NS6detail17trampoline_kernelINS0_14default_configENS1_38merge_sort_block_merge_config_selectorIilEEZZNS1_27merge_sort_block_merge_implIS3_PiN6thrust23THRUST_200600_302600_NS10device_ptrIlEEjNS1_19radix_merge_compareILb0ELb0EiNS0_19identity_decomposerEEEEE10hipError_tT0_T1_T2_jT3_P12ihipStream_tbPNSt15iterator_traitsISG_E10value_typeEPNSM_ISH_E10value_typeEPSI_NS1_7vsmem_tEENKUlT_SG_SH_SI_E_clIS7_S7_PlSB_EESF_SV_SG_SH_SI_EUlSV_E0_NS1_11comp_targetILNS1_3genE0ELNS1_11target_archE4294967295ELNS1_3gpuE0ELNS1_3repE0EEENS1_38merge_mergepath_config_static_selectorELNS0_4arch9wavefront6targetE1EEEvSH_,"axG",@progbits,_ZN7rocprim17ROCPRIM_400000_NS6detail17trampoline_kernelINS0_14default_configENS1_38merge_sort_block_merge_config_selectorIilEEZZNS1_27merge_sort_block_merge_implIS3_PiN6thrust23THRUST_200600_302600_NS10device_ptrIlEEjNS1_19radix_merge_compareILb0ELb0EiNS0_19identity_decomposerEEEEE10hipError_tT0_T1_T2_jT3_P12ihipStream_tbPNSt15iterator_traitsISG_E10value_typeEPNSM_ISH_E10value_typeEPSI_NS1_7vsmem_tEENKUlT_SG_SH_SI_E_clIS7_S7_PlSB_EESF_SV_SG_SH_SI_EUlSV_E0_NS1_11comp_targetILNS1_3genE0ELNS1_11target_archE4294967295ELNS1_3gpuE0ELNS1_3repE0EEENS1_38merge_mergepath_config_static_selectorELNS0_4arch9wavefront6targetE1EEEvSH_,comdat
	.protected	_ZN7rocprim17ROCPRIM_400000_NS6detail17trampoline_kernelINS0_14default_configENS1_38merge_sort_block_merge_config_selectorIilEEZZNS1_27merge_sort_block_merge_implIS3_PiN6thrust23THRUST_200600_302600_NS10device_ptrIlEEjNS1_19radix_merge_compareILb0ELb0EiNS0_19identity_decomposerEEEEE10hipError_tT0_T1_T2_jT3_P12ihipStream_tbPNSt15iterator_traitsISG_E10value_typeEPNSM_ISH_E10value_typeEPSI_NS1_7vsmem_tEENKUlT_SG_SH_SI_E_clIS7_S7_PlSB_EESF_SV_SG_SH_SI_EUlSV_E0_NS1_11comp_targetILNS1_3genE0ELNS1_11target_archE4294967295ELNS1_3gpuE0ELNS1_3repE0EEENS1_38merge_mergepath_config_static_selectorELNS0_4arch9wavefront6targetE1EEEvSH_ ; -- Begin function _ZN7rocprim17ROCPRIM_400000_NS6detail17trampoline_kernelINS0_14default_configENS1_38merge_sort_block_merge_config_selectorIilEEZZNS1_27merge_sort_block_merge_implIS3_PiN6thrust23THRUST_200600_302600_NS10device_ptrIlEEjNS1_19radix_merge_compareILb0ELb0EiNS0_19identity_decomposerEEEEE10hipError_tT0_T1_T2_jT3_P12ihipStream_tbPNSt15iterator_traitsISG_E10value_typeEPNSM_ISH_E10value_typeEPSI_NS1_7vsmem_tEENKUlT_SG_SH_SI_E_clIS7_S7_PlSB_EESF_SV_SG_SH_SI_EUlSV_E0_NS1_11comp_targetILNS1_3genE0ELNS1_11target_archE4294967295ELNS1_3gpuE0ELNS1_3repE0EEENS1_38merge_mergepath_config_static_selectorELNS0_4arch9wavefront6targetE1EEEvSH_
	.globl	_ZN7rocprim17ROCPRIM_400000_NS6detail17trampoline_kernelINS0_14default_configENS1_38merge_sort_block_merge_config_selectorIilEEZZNS1_27merge_sort_block_merge_implIS3_PiN6thrust23THRUST_200600_302600_NS10device_ptrIlEEjNS1_19radix_merge_compareILb0ELb0EiNS0_19identity_decomposerEEEEE10hipError_tT0_T1_T2_jT3_P12ihipStream_tbPNSt15iterator_traitsISG_E10value_typeEPNSM_ISH_E10value_typeEPSI_NS1_7vsmem_tEENKUlT_SG_SH_SI_E_clIS7_S7_PlSB_EESF_SV_SG_SH_SI_EUlSV_E0_NS1_11comp_targetILNS1_3genE0ELNS1_11target_archE4294967295ELNS1_3gpuE0ELNS1_3repE0EEENS1_38merge_mergepath_config_static_selectorELNS0_4arch9wavefront6targetE1EEEvSH_
	.p2align	8
	.type	_ZN7rocprim17ROCPRIM_400000_NS6detail17trampoline_kernelINS0_14default_configENS1_38merge_sort_block_merge_config_selectorIilEEZZNS1_27merge_sort_block_merge_implIS3_PiN6thrust23THRUST_200600_302600_NS10device_ptrIlEEjNS1_19radix_merge_compareILb0ELb0EiNS0_19identity_decomposerEEEEE10hipError_tT0_T1_T2_jT3_P12ihipStream_tbPNSt15iterator_traitsISG_E10value_typeEPNSM_ISH_E10value_typeEPSI_NS1_7vsmem_tEENKUlT_SG_SH_SI_E_clIS7_S7_PlSB_EESF_SV_SG_SH_SI_EUlSV_E0_NS1_11comp_targetILNS1_3genE0ELNS1_11target_archE4294967295ELNS1_3gpuE0ELNS1_3repE0EEENS1_38merge_mergepath_config_static_selectorELNS0_4arch9wavefront6targetE1EEEvSH_,@function
_ZN7rocprim17ROCPRIM_400000_NS6detail17trampoline_kernelINS0_14default_configENS1_38merge_sort_block_merge_config_selectorIilEEZZNS1_27merge_sort_block_merge_implIS3_PiN6thrust23THRUST_200600_302600_NS10device_ptrIlEEjNS1_19radix_merge_compareILb0ELb0EiNS0_19identity_decomposerEEEEE10hipError_tT0_T1_T2_jT3_P12ihipStream_tbPNSt15iterator_traitsISG_E10value_typeEPNSM_ISH_E10value_typeEPSI_NS1_7vsmem_tEENKUlT_SG_SH_SI_E_clIS7_S7_PlSB_EESF_SV_SG_SH_SI_EUlSV_E0_NS1_11comp_targetILNS1_3genE0ELNS1_11target_archE4294967295ELNS1_3gpuE0ELNS1_3repE0EEENS1_38merge_mergepath_config_static_selectorELNS0_4arch9wavefront6targetE1EEEvSH_: ; @_ZN7rocprim17ROCPRIM_400000_NS6detail17trampoline_kernelINS0_14default_configENS1_38merge_sort_block_merge_config_selectorIilEEZZNS1_27merge_sort_block_merge_implIS3_PiN6thrust23THRUST_200600_302600_NS10device_ptrIlEEjNS1_19radix_merge_compareILb0ELb0EiNS0_19identity_decomposerEEEEE10hipError_tT0_T1_T2_jT3_P12ihipStream_tbPNSt15iterator_traitsISG_E10value_typeEPNSM_ISH_E10value_typeEPSI_NS1_7vsmem_tEENKUlT_SG_SH_SI_E_clIS7_S7_PlSB_EESF_SV_SG_SH_SI_EUlSV_E0_NS1_11comp_targetILNS1_3genE0ELNS1_11target_archE4294967295ELNS1_3gpuE0ELNS1_3repE0EEENS1_38merge_mergepath_config_static_selectorELNS0_4arch9wavefront6targetE1EEEvSH_
; %bb.0:
	.section	.rodata,"a",@progbits
	.p2align	6, 0x0
	.amdhsa_kernel _ZN7rocprim17ROCPRIM_400000_NS6detail17trampoline_kernelINS0_14default_configENS1_38merge_sort_block_merge_config_selectorIilEEZZNS1_27merge_sort_block_merge_implIS3_PiN6thrust23THRUST_200600_302600_NS10device_ptrIlEEjNS1_19radix_merge_compareILb0ELb0EiNS0_19identity_decomposerEEEEE10hipError_tT0_T1_T2_jT3_P12ihipStream_tbPNSt15iterator_traitsISG_E10value_typeEPNSM_ISH_E10value_typeEPSI_NS1_7vsmem_tEENKUlT_SG_SH_SI_E_clIS7_S7_PlSB_EESF_SV_SG_SH_SI_EUlSV_E0_NS1_11comp_targetILNS1_3genE0ELNS1_11target_archE4294967295ELNS1_3gpuE0ELNS1_3repE0EEENS1_38merge_mergepath_config_static_selectorELNS0_4arch9wavefront6targetE1EEEvSH_
		.amdhsa_group_segment_fixed_size 0
		.amdhsa_private_segment_fixed_size 0
		.amdhsa_kernarg_size 64
		.amdhsa_user_sgpr_count 6
		.amdhsa_user_sgpr_private_segment_buffer 1
		.amdhsa_user_sgpr_dispatch_ptr 0
		.amdhsa_user_sgpr_queue_ptr 0
		.amdhsa_user_sgpr_kernarg_segment_ptr 1
		.amdhsa_user_sgpr_dispatch_id 0
		.amdhsa_user_sgpr_flat_scratch_init 0
		.amdhsa_user_sgpr_kernarg_preload_length 0
		.amdhsa_user_sgpr_kernarg_preload_offset 0
		.amdhsa_user_sgpr_private_segment_size 0
		.amdhsa_uses_dynamic_stack 0
		.amdhsa_system_sgpr_private_segment_wavefront_offset 0
		.amdhsa_system_sgpr_workgroup_id_x 1
		.amdhsa_system_sgpr_workgroup_id_y 0
		.amdhsa_system_sgpr_workgroup_id_z 0
		.amdhsa_system_sgpr_workgroup_info 0
		.amdhsa_system_vgpr_workitem_id 0
		.amdhsa_next_free_vgpr 1
		.amdhsa_next_free_sgpr 0
		.amdhsa_accum_offset 4
		.amdhsa_reserve_vcc 0
		.amdhsa_reserve_flat_scratch 0
		.amdhsa_float_round_mode_32 0
		.amdhsa_float_round_mode_16_64 0
		.amdhsa_float_denorm_mode_32 3
		.amdhsa_float_denorm_mode_16_64 3
		.amdhsa_dx10_clamp 1
		.amdhsa_ieee_mode 1
		.amdhsa_fp16_overflow 0
		.amdhsa_tg_split 0
		.amdhsa_exception_fp_ieee_invalid_op 0
		.amdhsa_exception_fp_denorm_src 0
		.amdhsa_exception_fp_ieee_div_zero 0
		.amdhsa_exception_fp_ieee_overflow 0
		.amdhsa_exception_fp_ieee_underflow 0
		.amdhsa_exception_fp_ieee_inexact 0
		.amdhsa_exception_int_div_zero 0
	.end_amdhsa_kernel
	.section	.text._ZN7rocprim17ROCPRIM_400000_NS6detail17trampoline_kernelINS0_14default_configENS1_38merge_sort_block_merge_config_selectorIilEEZZNS1_27merge_sort_block_merge_implIS3_PiN6thrust23THRUST_200600_302600_NS10device_ptrIlEEjNS1_19radix_merge_compareILb0ELb0EiNS0_19identity_decomposerEEEEE10hipError_tT0_T1_T2_jT3_P12ihipStream_tbPNSt15iterator_traitsISG_E10value_typeEPNSM_ISH_E10value_typeEPSI_NS1_7vsmem_tEENKUlT_SG_SH_SI_E_clIS7_S7_PlSB_EESF_SV_SG_SH_SI_EUlSV_E0_NS1_11comp_targetILNS1_3genE0ELNS1_11target_archE4294967295ELNS1_3gpuE0ELNS1_3repE0EEENS1_38merge_mergepath_config_static_selectorELNS0_4arch9wavefront6targetE1EEEvSH_,"axG",@progbits,_ZN7rocprim17ROCPRIM_400000_NS6detail17trampoline_kernelINS0_14default_configENS1_38merge_sort_block_merge_config_selectorIilEEZZNS1_27merge_sort_block_merge_implIS3_PiN6thrust23THRUST_200600_302600_NS10device_ptrIlEEjNS1_19radix_merge_compareILb0ELb0EiNS0_19identity_decomposerEEEEE10hipError_tT0_T1_T2_jT3_P12ihipStream_tbPNSt15iterator_traitsISG_E10value_typeEPNSM_ISH_E10value_typeEPSI_NS1_7vsmem_tEENKUlT_SG_SH_SI_E_clIS7_S7_PlSB_EESF_SV_SG_SH_SI_EUlSV_E0_NS1_11comp_targetILNS1_3genE0ELNS1_11target_archE4294967295ELNS1_3gpuE0ELNS1_3repE0EEENS1_38merge_mergepath_config_static_selectorELNS0_4arch9wavefront6targetE1EEEvSH_,comdat
.Lfunc_end752:
	.size	_ZN7rocprim17ROCPRIM_400000_NS6detail17trampoline_kernelINS0_14default_configENS1_38merge_sort_block_merge_config_selectorIilEEZZNS1_27merge_sort_block_merge_implIS3_PiN6thrust23THRUST_200600_302600_NS10device_ptrIlEEjNS1_19radix_merge_compareILb0ELb0EiNS0_19identity_decomposerEEEEE10hipError_tT0_T1_T2_jT3_P12ihipStream_tbPNSt15iterator_traitsISG_E10value_typeEPNSM_ISH_E10value_typeEPSI_NS1_7vsmem_tEENKUlT_SG_SH_SI_E_clIS7_S7_PlSB_EESF_SV_SG_SH_SI_EUlSV_E0_NS1_11comp_targetILNS1_3genE0ELNS1_11target_archE4294967295ELNS1_3gpuE0ELNS1_3repE0EEENS1_38merge_mergepath_config_static_selectorELNS0_4arch9wavefront6targetE1EEEvSH_, .Lfunc_end752-_ZN7rocprim17ROCPRIM_400000_NS6detail17trampoline_kernelINS0_14default_configENS1_38merge_sort_block_merge_config_selectorIilEEZZNS1_27merge_sort_block_merge_implIS3_PiN6thrust23THRUST_200600_302600_NS10device_ptrIlEEjNS1_19radix_merge_compareILb0ELb0EiNS0_19identity_decomposerEEEEE10hipError_tT0_T1_T2_jT3_P12ihipStream_tbPNSt15iterator_traitsISG_E10value_typeEPNSM_ISH_E10value_typeEPSI_NS1_7vsmem_tEENKUlT_SG_SH_SI_E_clIS7_S7_PlSB_EESF_SV_SG_SH_SI_EUlSV_E0_NS1_11comp_targetILNS1_3genE0ELNS1_11target_archE4294967295ELNS1_3gpuE0ELNS1_3repE0EEENS1_38merge_mergepath_config_static_selectorELNS0_4arch9wavefront6targetE1EEEvSH_
                                        ; -- End function
	.section	.AMDGPU.csdata,"",@progbits
; Kernel info:
; codeLenInByte = 0
; NumSgprs: 4
; NumVgprs: 0
; NumAgprs: 0
; TotalNumVgprs: 0
; ScratchSize: 0
; MemoryBound: 0
; FloatMode: 240
; IeeeMode: 1
; LDSByteSize: 0 bytes/workgroup (compile time only)
; SGPRBlocks: 0
; VGPRBlocks: 0
; NumSGPRsForWavesPerEU: 4
; NumVGPRsForWavesPerEU: 1
; AccumOffset: 4
; Occupancy: 8
; WaveLimiterHint : 0
; COMPUTE_PGM_RSRC2:SCRATCH_EN: 0
; COMPUTE_PGM_RSRC2:USER_SGPR: 6
; COMPUTE_PGM_RSRC2:TRAP_HANDLER: 0
; COMPUTE_PGM_RSRC2:TGID_X_EN: 1
; COMPUTE_PGM_RSRC2:TGID_Y_EN: 0
; COMPUTE_PGM_RSRC2:TGID_Z_EN: 0
; COMPUTE_PGM_RSRC2:TIDIG_COMP_CNT: 0
; COMPUTE_PGM_RSRC3_GFX90A:ACCUM_OFFSET: 0
; COMPUTE_PGM_RSRC3_GFX90A:TG_SPLIT: 0
	.section	.text._ZN7rocprim17ROCPRIM_400000_NS6detail17trampoline_kernelINS0_14default_configENS1_38merge_sort_block_merge_config_selectorIilEEZZNS1_27merge_sort_block_merge_implIS3_PiN6thrust23THRUST_200600_302600_NS10device_ptrIlEEjNS1_19radix_merge_compareILb0ELb0EiNS0_19identity_decomposerEEEEE10hipError_tT0_T1_T2_jT3_P12ihipStream_tbPNSt15iterator_traitsISG_E10value_typeEPNSM_ISH_E10value_typeEPSI_NS1_7vsmem_tEENKUlT_SG_SH_SI_E_clIS7_S7_PlSB_EESF_SV_SG_SH_SI_EUlSV_E0_NS1_11comp_targetILNS1_3genE10ELNS1_11target_archE1201ELNS1_3gpuE5ELNS1_3repE0EEENS1_38merge_mergepath_config_static_selectorELNS0_4arch9wavefront6targetE1EEEvSH_,"axG",@progbits,_ZN7rocprim17ROCPRIM_400000_NS6detail17trampoline_kernelINS0_14default_configENS1_38merge_sort_block_merge_config_selectorIilEEZZNS1_27merge_sort_block_merge_implIS3_PiN6thrust23THRUST_200600_302600_NS10device_ptrIlEEjNS1_19radix_merge_compareILb0ELb0EiNS0_19identity_decomposerEEEEE10hipError_tT0_T1_T2_jT3_P12ihipStream_tbPNSt15iterator_traitsISG_E10value_typeEPNSM_ISH_E10value_typeEPSI_NS1_7vsmem_tEENKUlT_SG_SH_SI_E_clIS7_S7_PlSB_EESF_SV_SG_SH_SI_EUlSV_E0_NS1_11comp_targetILNS1_3genE10ELNS1_11target_archE1201ELNS1_3gpuE5ELNS1_3repE0EEENS1_38merge_mergepath_config_static_selectorELNS0_4arch9wavefront6targetE1EEEvSH_,comdat
	.protected	_ZN7rocprim17ROCPRIM_400000_NS6detail17trampoline_kernelINS0_14default_configENS1_38merge_sort_block_merge_config_selectorIilEEZZNS1_27merge_sort_block_merge_implIS3_PiN6thrust23THRUST_200600_302600_NS10device_ptrIlEEjNS1_19radix_merge_compareILb0ELb0EiNS0_19identity_decomposerEEEEE10hipError_tT0_T1_T2_jT3_P12ihipStream_tbPNSt15iterator_traitsISG_E10value_typeEPNSM_ISH_E10value_typeEPSI_NS1_7vsmem_tEENKUlT_SG_SH_SI_E_clIS7_S7_PlSB_EESF_SV_SG_SH_SI_EUlSV_E0_NS1_11comp_targetILNS1_3genE10ELNS1_11target_archE1201ELNS1_3gpuE5ELNS1_3repE0EEENS1_38merge_mergepath_config_static_selectorELNS0_4arch9wavefront6targetE1EEEvSH_ ; -- Begin function _ZN7rocprim17ROCPRIM_400000_NS6detail17trampoline_kernelINS0_14default_configENS1_38merge_sort_block_merge_config_selectorIilEEZZNS1_27merge_sort_block_merge_implIS3_PiN6thrust23THRUST_200600_302600_NS10device_ptrIlEEjNS1_19radix_merge_compareILb0ELb0EiNS0_19identity_decomposerEEEEE10hipError_tT0_T1_T2_jT3_P12ihipStream_tbPNSt15iterator_traitsISG_E10value_typeEPNSM_ISH_E10value_typeEPSI_NS1_7vsmem_tEENKUlT_SG_SH_SI_E_clIS7_S7_PlSB_EESF_SV_SG_SH_SI_EUlSV_E0_NS1_11comp_targetILNS1_3genE10ELNS1_11target_archE1201ELNS1_3gpuE5ELNS1_3repE0EEENS1_38merge_mergepath_config_static_selectorELNS0_4arch9wavefront6targetE1EEEvSH_
	.globl	_ZN7rocprim17ROCPRIM_400000_NS6detail17trampoline_kernelINS0_14default_configENS1_38merge_sort_block_merge_config_selectorIilEEZZNS1_27merge_sort_block_merge_implIS3_PiN6thrust23THRUST_200600_302600_NS10device_ptrIlEEjNS1_19radix_merge_compareILb0ELb0EiNS0_19identity_decomposerEEEEE10hipError_tT0_T1_T2_jT3_P12ihipStream_tbPNSt15iterator_traitsISG_E10value_typeEPNSM_ISH_E10value_typeEPSI_NS1_7vsmem_tEENKUlT_SG_SH_SI_E_clIS7_S7_PlSB_EESF_SV_SG_SH_SI_EUlSV_E0_NS1_11comp_targetILNS1_3genE10ELNS1_11target_archE1201ELNS1_3gpuE5ELNS1_3repE0EEENS1_38merge_mergepath_config_static_selectorELNS0_4arch9wavefront6targetE1EEEvSH_
	.p2align	8
	.type	_ZN7rocprim17ROCPRIM_400000_NS6detail17trampoline_kernelINS0_14default_configENS1_38merge_sort_block_merge_config_selectorIilEEZZNS1_27merge_sort_block_merge_implIS3_PiN6thrust23THRUST_200600_302600_NS10device_ptrIlEEjNS1_19radix_merge_compareILb0ELb0EiNS0_19identity_decomposerEEEEE10hipError_tT0_T1_T2_jT3_P12ihipStream_tbPNSt15iterator_traitsISG_E10value_typeEPNSM_ISH_E10value_typeEPSI_NS1_7vsmem_tEENKUlT_SG_SH_SI_E_clIS7_S7_PlSB_EESF_SV_SG_SH_SI_EUlSV_E0_NS1_11comp_targetILNS1_3genE10ELNS1_11target_archE1201ELNS1_3gpuE5ELNS1_3repE0EEENS1_38merge_mergepath_config_static_selectorELNS0_4arch9wavefront6targetE1EEEvSH_,@function
_ZN7rocprim17ROCPRIM_400000_NS6detail17trampoline_kernelINS0_14default_configENS1_38merge_sort_block_merge_config_selectorIilEEZZNS1_27merge_sort_block_merge_implIS3_PiN6thrust23THRUST_200600_302600_NS10device_ptrIlEEjNS1_19radix_merge_compareILb0ELb0EiNS0_19identity_decomposerEEEEE10hipError_tT0_T1_T2_jT3_P12ihipStream_tbPNSt15iterator_traitsISG_E10value_typeEPNSM_ISH_E10value_typeEPSI_NS1_7vsmem_tEENKUlT_SG_SH_SI_E_clIS7_S7_PlSB_EESF_SV_SG_SH_SI_EUlSV_E0_NS1_11comp_targetILNS1_3genE10ELNS1_11target_archE1201ELNS1_3gpuE5ELNS1_3repE0EEENS1_38merge_mergepath_config_static_selectorELNS0_4arch9wavefront6targetE1EEEvSH_: ; @_ZN7rocprim17ROCPRIM_400000_NS6detail17trampoline_kernelINS0_14default_configENS1_38merge_sort_block_merge_config_selectorIilEEZZNS1_27merge_sort_block_merge_implIS3_PiN6thrust23THRUST_200600_302600_NS10device_ptrIlEEjNS1_19radix_merge_compareILb0ELb0EiNS0_19identity_decomposerEEEEE10hipError_tT0_T1_T2_jT3_P12ihipStream_tbPNSt15iterator_traitsISG_E10value_typeEPNSM_ISH_E10value_typeEPSI_NS1_7vsmem_tEENKUlT_SG_SH_SI_E_clIS7_S7_PlSB_EESF_SV_SG_SH_SI_EUlSV_E0_NS1_11comp_targetILNS1_3genE10ELNS1_11target_archE1201ELNS1_3gpuE5ELNS1_3repE0EEENS1_38merge_mergepath_config_static_selectorELNS0_4arch9wavefront6targetE1EEEvSH_
; %bb.0:
	.section	.rodata,"a",@progbits
	.p2align	6, 0x0
	.amdhsa_kernel _ZN7rocprim17ROCPRIM_400000_NS6detail17trampoline_kernelINS0_14default_configENS1_38merge_sort_block_merge_config_selectorIilEEZZNS1_27merge_sort_block_merge_implIS3_PiN6thrust23THRUST_200600_302600_NS10device_ptrIlEEjNS1_19radix_merge_compareILb0ELb0EiNS0_19identity_decomposerEEEEE10hipError_tT0_T1_T2_jT3_P12ihipStream_tbPNSt15iterator_traitsISG_E10value_typeEPNSM_ISH_E10value_typeEPSI_NS1_7vsmem_tEENKUlT_SG_SH_SI_E_clIS7_S7_PlSB_EESF_SV_SG_SH_SI_EUlSV_E0_NS1_11comp_targetILNS1_3genE10ELNS1_11target_archE1201ELNS1_3gpuE5ELNS1_3repE0EEENS1_38merge_mergepath_config_static_selectorELNS0_4arch9wavefront6targetE1EEEvSH_
		.amdhsa_group_segment_fixed_size 0
		.amdhsa_private_segment_fixed_size 0
		.amdhsa_kernarg_size 64
		.amdhsa_user_sgpr_count 6
		.amdhsa_user_sgpr_private_segment_buffer 1
		.amdhsa_user_sgpr_dispatch_ptr 0
		.amdhsa_user_sgpr_queue_ptr 0
		.amdhsa_user_sgpr_kernarg_segment_ptr 1
		.amdhsa_user_sgpr_dispatch_id 0
		.amdhsa_user_sgpr_flat_scratch_init 0
		.amdhsa_user_sgpr_kernarg_preload_length 0
		.amdhsa_user_sgpr_kernarg_preload_offset 0
		.amdhsa_user_sgpr_private_segment_size 0
		.amdhsa_uses_dynamic_stack 0
		.amdhsa_system_sgpr_private_segment_wavefront_offset 0
		.amdhsa_system_sgpr_workgroup_id_x 1
		.amdhsa_system_sgpr_workgroup_id_y 0
		.amdhsa_system_sgpr_workgroup_id_z 0
		.amdhsa_system_sgpr_workgroup_info 0
		.amdhsa_system_vgpr_workitem_id 0
		.amdhsa_next_free_vgpr 1
		.amdhsa_next_free_sgpr 0
		.amdhsa_accum_offset 4
		.amdhsa_reserve_vcc 0
		.amdhsa_reserve_flat_scratch 0
		.amdhsa_float_round_mode_32 0
		.amdhsa_float_round_mode_16_64 0
		.amdhsa_float_denorm_mode_32 3
		.amdhsa_float_denorm_mode_16_64 3
		.amdhsa_dx10_clamp 1
		.amdhsa_ieee_mode 1
		.amdhsa_fp16_overflow 0
		.amdhsa_tg_split 0
		.amdhsa_exception_fp_ieee_invalid_op 0
		.amdhsa_exception_fp_denorm_src 0
		.amdhsa_exception_fp_ieee_div_zero 0
		.amdhsa_exception_fp_ieee_overflow 0
		.amdhsa_exception_fp_ieee_underflow 0
		.amdhsa_exception_fp_ieee_inexact 0
		.amdhsa_exception_int_div_zero 0
	.end_amdhsa_kernel
	.section	.text._ZN7rocprim17ROCPRIM_400000_NS6detail17trampoline_kernelINS0_14default_configENS1_38merge_sort_block_merge_config_selectorIilEEZZNS1_27merge_sort_block_merge_implIS3_PiN6thrust23THRUST_200600_302600_NS10device_ptrIlEEjNS1_19radix_merge_compareILb0ELb0EiNS0_19identity_decomposerEEEEE10hipError_tT0_T1_T2_jT3_P12ihipStream_tbPNSt15iterator_traitsISG_E10value_typeEPNSM_ISH_E10value_typeEPSI_NS1_7vsmem_tEENKUlT_SG_SH_SI_E_clIS7_S7_PlSB_EESF_SV_SG_SH_SI_EUlSV_E0_NS1_11comp_targetILNS1_3genE10ELNS1_11target_archE1201ELNS1_3gpuE5ELNS1_3repE0EEENS1_38merge_mergepath_config_static_selectorELNS0_4arch9wavefront6targetE1EEEvSH_,"axG",@progbits,_ZN7rocprim17ROCPRIM_400000_NS6detail17trampoline_kernelINS0_14default_configENS1_38merge_sort_block_merge_config_selectorIilEEZZNS1_27merge_sort_block_merge_implIS3_PiN6thrust23THRUST_200600_302600_NS10device_ptrIlEEjNS1_19radix_merge_compareILb0ELb0EiNS0_19identity_decomposerEEEEE10hipError_tT0_T1_T2_jT3_P12ihipStream_tbPNSt15iterator_traitsISG_E10value_typeEPNSM_ISH_E10value_typeEPSI_NS1_7vsmem_tEENKUlT_SG_SH_SI_E_clIS7_S7_PlSB_EESF_SV_SG_SH_SI_EUlSV_E0_NS1_11comp_targetILNS1_3genE10ELNS1_11target_archE1201ELNS1_3gpuE5ELNS1_3repE0EEENS1_38merge_mergepath_config_static_selectorELNS0_4arch9wavefront6targetE1EEEvSH_,comdat
.Lfunc_end753:
	.size	_ZN7rocprim17ROCPRIM_400000_NS6detail17trampoline_kernelINS0_14default_configENS1_38merge_sort_block_merge_config_selectorIilEEZZNS1_27merge_sort_block_merge_implIS3_PiN6thrust23THRUST_200600_302600_NS10device_ptrIlEEjNS1_19radix_merge_compareILb0ELb0EiNS0_19identity_decomposerEEEEE10hipError_tT0_T1_T2_jT3_P12ihipStream_tbPNSt15iterator_traitsISG_E10value_typeEPNSM_ISH_E10value_typeEPSI_NS1_7vsmem_tEENKUlT_SG_SH_SI_E_clIS7_S7_PlSB_EESF_SV_SG_SH_SI_EUlSV_E0_NS1_11comp_targetILNS1_3genE10ELNS1_11target_archE1201ELNS1_3gpuE5ELNS1_3repE0EEENS1_38merge_mergepath_config_static_selectorELNS0_4arch9wavefront6targetE1EEEvSH_, .Lfunc_end753-_ZN7rocprim17ROCPRIM_400000_NS6detail17trampoline_kernelINS0_14default_configENS1_38merge_sort_block_merge_config_selectorIilEEZZNS1_27merge_sort_block_merge_implIS3_PiN6thrust23THRUST_200600_302600_NS10device_ptrIlEEjNS1_19radix_merge_compareILb0ELb0EiNS0_19identity_decomposerEEEEE10hipError_tT0_T1_T2_jT3_P12ihipStream_tbPNSt15iterator_traitsISG_E10value_typeEPNSM_ISH_E10value_typeEPSI_NS1_7vsmem_tEENKUlT_SG_SH_SI_E_clIS7_S7_PlSB_EESF_SV_SG_SH_SI_EUlSV_E0_NS1_11comp_targetILNS1_3genE10ELNS1_11target_archE1201ELNS1_3gpuE5ELNS1_3repE0EEENS1_38merge_mergepath_config_static_selectorELNS0_4arch9wavefront6targetE1EEEvSH_
                                        ; -- End function
	.section	.AMDGPU.csdata,"",@progbits
; Kernel info:
; codeLenInByte = 0
; NumSgprs: 4
; NumVgprs: 0
; NumAgprs: 0
; TotalNumVgprs: 0
; ScratchSize: 0
; MemoryBound: 0
; FloatMode: 240
; IeeeMode: 1
; LDSByteSize: 0 bytes/workgroup (compile time only)
; SGPRBlocks: 0
; VGPRBlocks: 0
; NumSGPRsForWavesPerEU: 4
; NumVGPRsForWavesPerEU: 1
; AccumOffset: 4
; Occupancy: 8
; WaveLimiterHint : 0
; COMPUTE_PGM_RSRC2:SCRATCH_EN: 0
; COMPUTE_PGM_RSRC2:USER_SGPR: 6
; COMPUTE_PGM_RSRC2:TRAP_HANDLER: 0
; COMPUTE_PGM_RSRC2:TGID_X_EN: 1
; COMPUTE_PGM_RSRC2:TGID_Y_EN: 0
; COMPUTE_PGM_RSRC2:TGID_Z_EN: 0
; COMPUTE_PGM_RSRC2:TIDIG_COMP_CNT: 0
; COMPUTE_PGM_RSRC3_GFX90A:ACCUM_OFFSET: 0
; COMPUTE_PGM_RSRC3_GFX90A:TG_SPLIT: 0
	.section	.text._ZN7rocprim17ROCPRIM_400000_NS6detail17trampoline_kernelINS0_14default_configENS1_38merge_sort_block_merge_config_selectorIilEEZZNS1_27merge_sort_block_merge_implIS3_PiN6thrust23THRUST_200600_302600_NS10device_ptrIlEEjNS1_19radix_merge_compareILb0ELb0EiNS0_19identity_decomposerEEEEE10hipError_tT0_T1_T2_jT3_P12ihipStream_tbPNSt15iterator_traitsISG_E10value_typeEPNSM_ISH_E10value_typeEPSI_NS1_7vsmem_tEENKUlT_SG_SH_SI_E_clIS7_S7_PlSB_EESF_SV_SG_SH_SI_EUlSV_E0_NS1_11comp_targetILNS1_3genE5ELNS1_11target_archE942ELNS1_3gpuE9ELNS1_3repE0EEENS1_38merge_mergepath_config_static_selectorELNS0_4arch9wavefront6targetE1EEEvSH_,"axG",@progbits,_ZN7rocprim17ROCPRIM_400000_NS6detail17trampoline_kernelINS0_14default_configENS1_38merge_sort_block_merge_config_selectorIilEEZZNS1_27merge_sort_block_merge_implIS3_PiN6thrust23THRUST_200600_302600_NS10device_ptrIlEEjNS1_19radix_merge_compareILb0ELb0EiNS0_19identity_decomposerEEEEE10hipError_tT0_T1_T2_jT3_P12ihipStream_tbPNSt15iterator_traitsISG_E10value_typeEPNSM_ISH_E10value_typeEPSI_NS1_7vsmem_tEENKUlT_SG_SH_SI_E_clIS7_S7_PlSB_EESF_SV_SG_SH_SI_EUlSV_E0_NS1_11comp_targetILNS1_3genE5ELNS1_11target_archE942ELNS1_3gpuE9ELNS1_3repE0EEENS1_38merge_mergepath_config_static_selectorELNS0_4arch9wavefront6targetE1EEEvSH_,comdat
	.protected	_ZN7rocprim17ROCPRIM_400000_NS6detail17trampoline_kernelINS0_14default_configENS1_38merge_sort_block_merge_config_selectorIilEEZZNS1_27merge_sort_block_merge_implIS3_PiN6thrust23THRUST_200600_302600_NS10device_ptrIlEEjNS1_19radix_merge_compareILb0ELb0EiNS0_19identity_decomposerEEEEE10hipError_tT0_T1_T2_jT3_P12ihipStream_tbPNSt15iterator_traitsISG_E10value_typeEPNSM_ISH_E10value_typeEPSI_NS1_7vsmem_tEENKUlT_SG_SH_SI_E_clIS7_S7_PlSB_EESF_SV_SG_SH_SI_EUlSV_E0_NS1_11comp_targetILNS1_3genE5ELNS1_11target_archE942ELNS1_3gpuE9ELNS1_3repE0EEENS1_38merge_mergepath_config_static_selectorELNS0_4arch9wavefront6targetE1EEEvSH_ ; -- Begin function _ZN7rocprim17ROCPRIM_400000_NS6detail17trampoline_kernelINS0_14default_configENS1_38merge_sort_block_merge_config_selectorIilEEZZNS1_27merge_sort_block_merge_implIS3_PiN6thrust23THRUST_200600_302600_NS10device_ptrIlEEjNS1_19radix_merge_compareILb0ELb0EiNS0_19identity_decomposerEEEEE10hipError_tT0_T1_T2_jT3_P12ihipStream_tbPNSt15iterator_traitsISG_E10value_typeEPNSM_ISH_E10value_typeEPSI_NS1_7vsmem_tEENKUlT_SG_SH_SI_E_clIS7_S7_PlSB_EESF_SV_SG_SH_SI_EUlSV_E0_NS1_11comp_targetILNS1_3genE5ELNS1_11target_archE942ELNS1_3gpuE9ELNS1_3repE0EEENS1_38merge_mergepath_config_static_selectorELNS0_4arch9wavefront6targetE1EEEvSH_
	.globl	_ZN7rocprim17ROCPRIM_400000_NS6detail17trampoline_kernelINS0_14default_configENS1_38merge_sort_block_merge_config_selectorIilEEZZNS1_27merge_sort_block_merge_implIS3_PiN6thrust23THRUST_200600_302600_NS10device_ptrIlEEjNS1_19radix_merge_compareILb0ELb0EiNS0_19identity_decomposerEEEEE10hipError_tT0_T1_T2_jT3_P12ihipStream_tbPNSt15iterator_traitsISG_E10value_typeEPNSM_ISH_E10value_typeEPSI_NS1_7vsmem_tEENKUlT_SG_SH_SI_E_clIS7_S7_PlSB_EESF_SV_SG_SH_SI_EUlSV_E0_NS1_11comp_targetILNS1_3genE5ELNS1_11target_archE942ELNS1_3gpuE9ELNS1_3repE0EEENS1_38merge_mergepath_config_static_selectorELNS0_4arch9wavefront6targetE1EEEvSH_
	.p2align	8
	.type	_ZN7rocprim17ROCPRIM_400000_NS6detail17trampoline_kernelINS0_14default_configENS1_38merge_sort_block_merge_config_selectorIilEEZZNS1_27merge_sort_block_merge_implIS3_PiN6thrust23THRUST_200600_302600_NS10device_ptrIlEEjNS1_19radix_merge_compareILb0ELb0EiNS0_19identity_decomposerEEEEE10hipError_tT0_T1_T2_jT3_P12ihipStream_tbPNSt15iterator_traitsISG_E10value_typeEPNSM_ISH_E10value_typeEPSI_NS1_7vsmem_tEENKUlT_SG_SH_SI_E_clIS7_S7_PlSB_EESF_SV_SG_SH_SI_EUlSV_E0_NS1_11comp_targetILNS1_3genE5ELNS1_11target_archE942ELNS1_3gpuE9ELNS1_3repE0EEENS1_38merge_mergepath_config_static_selectorELNS0_4arch9wavefront6targetE1EEEvSH_,@function
_ZN7rocprim17ROCPRIM_400000_NS6detail17trampoline_kernelINS0_14default_configENS1_38merge_sort_block_merge_config_selectorIilEEZZNS1_27merge_sort_block_merge_implIS3_PiN6thrust23THRUST_200600_302600_NS10device_ptrIlEEjNS1_19radix_merge_compareILb0ELb0EiNS0_19identity_decomposerEEEEE10hipError_tT0_T1_T2_jT3_P12ihipStream_tbPNSt15iterator_traitsISG_E10value_typeEPNSM_ISH_E10value_typeEPSI_NS1_7vsmem_tEENKUlT_SG_SH_SI_E_clIS7_S7_PlSB_EESF_SV_SG_SH_SI_EUlSV_E0_NS1_11comp_targetILNS1_3genE5ELNS1_11target_archE942ELNS1_3gpuE9ELNS1_3repE0EEENS1_38merge_mergepath_config_static_selectorELNS0_4arch9wavefront6targetE1EEEvSH_: ; @_ZN7rocprim17ROCPRIM_400000_NS6detail17trampoline_kernelINS0_14default_configENS1_38merge_sort_block_merge_config_selectorIilEEZZNS1_27merge_sort_block_merge_implIS3_PiN6thrust23THRUST_200600_302600_NS10device_ptrIlEEjNS1_19radix_merge_compareILb0ELb0EiNS0_19identity_decomposerEEEEE10hipError_tT0_T1_T2_jT3_P12ihipStream_tbPNSt15iterator_traitsISG_E10value_typeEPNSM_ISH_E10value_typeEPSI_NS1_7vsmem_tEENKUlT_SG_SH_SI_E_clIS7_S7_PlSB_EESF_SV_SG_SH_SI_EUlSV_E0_NS1_11comp_targetILNS1_3genE5ELNS1_11target_archE942ELNS1_3gpuE9ELNS1_3repE0EEENS1_38merge_mergepath_config_static_selectorELNS0_4arch9wavefront6targetE1EEEvSH_
; %bb.0:
	.section	.rodata,"a",@progbits
	.p2align	6, 0x0
	.amdhsa_kernel _ZN7rocprim17ROCPRIM_400000_NS6detail17trampoline_kernelINS0_14default_configENS1_38merge_sort_block_merge_config_selectorIilEEZZNS1_27merge_sort_block_merge_implIS3_PiN6thrust23THRUST_200600_302600_NS10device_ptrIlEEjNS1_19radix_merge_compareILb0ELb0EiNS0_19identity_decomposerEEEEE10hipError_tT0_T1_T2_jT3_P12ihipStream_tbPNSt15iterator_traitsISG_E10value_typeEPNSM_ISH_E10value_typeEPSI_NS1_7vsmem_tEENKUlT_SG_SH_SI_E_clIS7_S7_PlSB_EESF_SV_SG_SH_SI_EUlSV_E0_NS1_11comp_targetILNS1_3genE5ELNS1_11target_archE942ELNS1_3gpuE9ELNS1_3repE0EEENS1_38merge_mergepath_config_static_selectorELNS0_4arch9wavefront6targetE1EEEvSH_
		.amdhsa_group_segment_fixed_size 0
		.amdhsa_private_segment_fixed_size 0
		.amdhsa_kernarg_size 64
		.amdhsa_user_sgpr_count 6
		.amdhsa_user_sgpr_private_segment_buffer 1
		.amdhsa_user_sgpr_dispatch_ptr 0
		.amdhsa_user_sgpr_queue_ptr 0
		.amdhsa_user_sgpr_kernarg_segment_ptr 1
		.amdhsa_user_sgpr_dispatch_id 0
		.amdhsa_user_sgpr_flat_scratch_init 0
		.amdhsa_user_sgpr_kernarg_preload_length 0
		.amdhsa_user_sgpr_kernarg_preload_offset 0
		.amdhsa_user_sgpr_private_segment_size 0
		.amdhsa_uses_dynamic_stack 0
		.amdhsa_system_sgpr_private_segment_wavefront_offset 0
		.amdhsa_system_sgpr_workgroup_id_x 1
		.amdhsa_system_sgpr_workgroup_id_y 0
		.amdhsa_system_sgpr_workgroup_id_z 0
		.amdhsa_system_sgpr_workgroup_info 0
		.amdhsa_system_vgpr_workitem_id 0
		.amdhsa_next_free_vgpr 1
		.amdhsa_next_free_sgpr 0
		.amdhsa_accum_offset 4
		.amdhsa_reserve_vcc 0
		.amdhsa_reserve_flat_scratch 0
		.amdhsa_float_round_mode_32 0
		.amdhsa_float_round_mode_16_64 0
		.amdhsa_float_denorm_mode_32 3
		.amdhsa_float_denorm_mode_16_64 3
		.amdhsa_dx10_clamp 1
		.amdhsa_ieee_mode 1
		.amdhsa_fp16_overflow 0
		.amdhsa_tg_split 0
		.amdhsa_exception_fp_ieee_invalid_op 0
		.amdhsa_exception_fp_denorm_src 0
		.amdhsa_exception_fp_ieee_div_zero 0
		.amdhsa_exception_fp_ieee_overflow 0
		.amdhsa_exception_fp_ieee_underflow 0
		.amdhsa_exception_fp_ieee_inexact 0
		.amdhsa_exception_int_div_zero 0
	.end_amdhsa_kernel
	.section	.text._ZN7rocprim17ROCPRIM_400000_NS6detail17trampoline_kernelINS0_14default_configENS1_38merge_sort_block_merge_config_selectorIilEEZZNS1_27merge_sort_block_merge_implIS3_PiN6thrust23THRUST_200600_302600_NS10device_ptrIlEEjNS1_19radix_merge_compareILb0ELb0EiNS0_19identity_decomposerEEEEE10hipError_tT0_T1_T2_jT3_P12ihipStream_tbPNSt15iterator_traitsISG_E10value_typeEPNSM_ISH_E10value_typeEPSI_NS1_7vsmem_tEENKUlT_SG_SH_SI_E_clIS7_S7_PlSB_EESF_SV_SG_SH_SI_EUlSV_E0_NS1_11comp_targetILNS1_3genE5ELNS1_11target_archE942ELNS1_3gpuE9ELNS1_3repE0EEENS1_38merge_mergepath_config_static_selectorELNS0_4arch9wavefront6targetE1EEEvSH_,"axG",@progbits,_ZN7rocprim17ROCPRIM_400000_NS6detail17trampoline_kernelINS0_14default_configENS1_38merge_sort_block_merge_config_selectorIilEEZZNS1_27merge_sort_block_merge_implIS3_PiN6thrust23THRUST_200600_302600_NS10device_ptrIlEEjNS1_19radix_merge_compareILb0ELb0EiNS0_19identity_decomposerEEEEE10hipError_tT0_T1_T2_jT3_P12ihipStream_tbPNSt15iterator_traitsISG_E10value_typeEPNSM_ISH_E10value_typeEPSI_NS1_7vsmem_tEENKUlT_SG_SH_SI_E_clIS7_S7_PlSB_EESF_SV_SG_SH_SI_EUlSV_E0_NS1_11comp_targetILNS1_3genE5ELNS1_11target_archE942ELNS1_3gpuE9ELNS1_3repE0EEENS1_38merge_mergepath_config_static_selectorELNS0_4arch9wavefront6targetE1EEEvSH_,comdat
.Lfunc_end754:
	.size	_ZN7rocprim17ROCPRIM_400000_NS6detail17trampoline_kernelINS0_14default_configENS1_38merge_sort_block_merge_config_selectorIilEEZZNS1_27merge_sort_block_merge_implIS3_PiN6thrust23THRUST_200600_302600_NS10device_ptrIlEEjNS1_19radix_merge_compareILb0ELb0EiNS0_19identity_decomposerEEEEE10hipError_tT0_T1_T2_jT3_P12ihipStream_tbPNSt15iterator_traitsISG_E10value_typeEPNSM_ISH_E10value_typeEPSI_NS1_7vsmem_tEENKUlT_SG_SH_SI_E_clIS7_S7_PlSB_EESF_SV_SG_SH_SI_EUlSV_E0_NS1_11comp_targetILNS1_3genE5ELNS1_11target_archE942ELNS1_3gpuE9ELNS1_3repE0EEENS1_38merge_mergepath_config_static_selectorELNS0_4arch9wavefront6targetE1EEEvSH_, .Lfunc_end754-_ZN7rocprim17ROCPRIM_400000_NS6detail17trampoline_kernelINS0_14default_configENS1_38merge_sort_block_merge_config_selectorIilEEZZNS1_27merge_sort_block_merge_implIS3_PiN6thrust23THRUST_200600_302600_NS10device_ptrIlEEjNS1_19radix_merge_compareILb0ELb0EiNS0_19identity_decomposerEEEEE10hipError_tT0_T1_T2_jT3_P12ihipStream_tbPNSt15iterator_traitsISG_E10value_typeEPNSM_ISH_E10value_typeEPSI_NS1_7vsmem_tEENKUlT_SG_SH_SI_E_clIS7_S7_PlSB_EESF_SV_SG_SH_SI_EUlSV_E0_NS1_11comp_targetILNS1_3genE5ELNS1_11target_archE942ELNS1_3gpuE9ELNS1_3repE0EEENS1_38merge_mergepath_config_static_selectorELNS0_4arch9wavefront6targetE1EEEvSH_
                                        ; -- End function
	.section	.AMDGPU.csdata,"",@progbits
; Kernel info:
; codeLenInByte = 0
; NumSgprs: 4
; NumVgprs: 0
; NumAgprs: 0
; TotalNumVgprs: 0
; ScratchSize: 0
; MemoryBound: 0
; FloatMode: 240
; IeeeMode: 1
; LDSByteSize: 0 bytes/workgroup (compile time only)
; SGPRBlocks: 0
; VGPRBlocks: 0
; NumSGPRsForWavesPerEU: 4
; NumVGPRsForWavesPerEU: 1
; AccumOffset: 4
; Occupancy: 8
; WaveLimiterHint : 0
; COMPUTE_PGM_RSRC2:SCRATCH_EN: 0
; COMPUTE_PGM_RSRC2:USER_SGPR: 6
; COMPUTE_PGM_RSRC2:TRAP_HANDLER: 0
; COMPUTE_PGM_RSRC2:TGID_X_EN: 1
; COMPUTE_PGM_RSRC2:TGID_Y_EN: 0
; COMPUTE_PGM_RSRC2:TGID_Z_EN: 0
; COMPUTE_PGM_RSRC2:TIDIG_COMP_CNT: 0
; COMPUTE_PGM_RSRC3_GFX90A:ACCUM_OFFSET: 0
; COMPUTE_PGM_RSRC3_GFX90A:TG_SPLIT: 0
	.section	.text._ZN7rocprim17ROCPRIM_400000_NS6detail17trampoline_kernelINS0_14default_configENS1_38merge_sort_block_merge_config_selectorIilEEZZNS1_27merge_sort_block_merge_implIS3_PiN6thrust23THRUST_200600_302600_NS10device_ptrIlEEjNS1_19radix_merge_compareILb0ELb0EiNS0_19identity_decomposerEEEEE10hipError_tT0_T1_T2_jT3_P12ihipStream_tbPNSt15iterator_traitsISG_E10value_typeEPNSM_ISH_E10value_typeEPSI_NS1_7vsmem_tEENKUlT_SG_SH_SI_E_clIS7_S7_PlSB_EESF_SV_SG_SH_SI_EUlSV_E0_NS1_11comp_targetILNS1_3genE4ELNS1_11target_archE910ELNS1_3gpuE8ELNS1_3repE0EEENS1_38merge_mergepath_config_static_selectorELNS0_4arch9wavefront6targetE1EEEvSH_,"axG",@progbits,_ZN7rocprim17ROCPRIM_400000_NS6detail17trampoline_kernelINS0_14default_configENS1_38merge_sort_block_merge_config_selectorIilEEZZNS1_27merge_sort_block_merge_implIS3_PiN6thrust23THRUST_200600_302600_NS10device_ptrIlEEjNS1_19radix_merge_compareILb0ELb0EiNS0_19identity_decomposerEEEEE10hipError_tT0_T1_T2_jT3_P12ihipStream_tbPNSt15iterator_traitsISG_E10value_typeEPNSM_ISH_E10value_typeEPSI_NS1_7vsmem_tEENKUlT_SG_SH_SI_E_clIS7_S7_PlSB_EESF_SV_SG_SH_SI_EUlSV_E0_NS1_11comp_targetILNS1_3genE4ELNS1_11target_archE910ELNS1_3gpuE8ELNS1_3repE0EEENS1_38merge_mergepath_config_static_selectorELNS0_4arch9wavefront6targetE1EEEvSH_,comdat
	.protected	_ZN7rocprim17ROCPRIM_400000_NS6detail17trampoline_kernelINS0_14default_configENS1_38merge_sort_block_merge_config_selectorIilEEZZNS1_27merge_sort_block_merge_implIS3_PiN6thrust23THRUST_200600_302600_NS10device_ptrIlEEjNS1_19radix_merge_compareILb0ELb0EiNS0_19identity_decomposerEEEEE10hipError_tT0_T1_T2_jT3_P12ihipStream_tbPNSt15iterator_traitsISG_E10value_typeEPNSM_ISH_E10value_typeEPSI_NS1_7vsmem_tEENKUlT_SG_SH_SI_E_clIS7_S7_PlSB_EESF_SV_SG_SH_SI_EUlSV_E0_NS1_11comp_targetILNS1_3genE4ELNS1_11target_archE910ELNS1_3gpuE8ELNS1_3repE0EEENS1_38merge_mergepath_config_static_selectorELNS0_4arch9wavefront6targetE1EEEvSH_ ; -- Begin function _ZN7rocprim17ROCPRIM_400000_NS6detail17trampoline_kernelINS0_14default_configENS1_38merge_sort_block_merge_config_selectorIilEEZZNS1_27merge_sort_block_merge_implIS3_PiN6thrust23THRUST_200600_302600_NS10device_ptrIlEEjNS1_19radix_merge_compareILb0ELb0EiNS0_19identity_decomposerEEEEE10hipError_tT0_T1_T2_jT3_P12ihipStream_tbPNSt15iterator_traitsISG_E10value_typeEPNSM_ISH_E10value_typeEPSI_NS1_7vsmem_tEENKUlT_SG_SH_SI_E_clIS7_S7_PlSB_EESF_SV_SG_SH_SI_EUlSV_E0_NS1_11comp_targetILNS1_3genE4ELNS1_11target_archE910ELNS1_3gpuE8ELNS1_3repE0EEENS1_38merge_mergepath_config_static_selectorELNS0_4arch9wavefront6targetE1EEEvSH_
	.globl	_ZN7rocprim17ROCPRIM_400000_NS6detail17trampoline_kernelINS0_14default_configENS1_38merge_sort_block_merge_config_selectorIilEEZZNS1_27merge_sort_block_merge_implIS3_PiN6thrust23THRUST_200600_302600_NS10device_ptrIlEEjNS1_19radix_merge_compareILb0ELb0EiNS0_19identity_decomposerEEEEE10hipError_tT0_T1_T2_jT3_P12ihipStream_tbPNSt15iterator_traitsISG_E10value_typeEPNSM_ISH_E10value_typeEPSI_NS1_7vsmem_tEENKUlT_SG_SH_SI_E_clIS7_S7_PlSB_EESF_SV_SG_SH_SI_EUlSV_E0_NS1_11comp_targetILNS1_3genE4ELNS1_11target_archE910ELNS1_3gpuE8ELNS1_3repE0EEENS1_38merge_mergepath_config_static_selectorELNS0_4arch9wavefront6targetE1EEEvSH_
	.p2align	8
	.type	_ZN7rocprim17ROCPRIM_400000_NS6detail17trampoline_kernelINS0_14default_configENS1_38merge_sort_block_merge_config_selectorIilEEZZNS1_27merge_sort_block_merge_implIS3_PiN6thrust23THRUST_200600_302600_NS10device_ptrIlEEjNS1_19radix_merge_compareILb0ELb0EiNS0_19identity_decomposerEEEEE10hipError_tT0_T1_T2_jT3_P12ihipStream_tbPNSt15iterator_traitsISG_E10value_typeEPNSM_ISH_E10value_typeEPSI_NS1_7vsmem_tEENKUlT_SG_SH_SI_E_clIS7_S7_PlSB_EESF_SV_SG_SH_SI_EUlSV_E0_NS1_11comp_targetILNS1_3genE4ELNS1_11target_archE910ELNS1_3gpuE8ELNS1_3repE0EEENS1_38merge_mergepath_config_static_selectorELNS0_4arch9wavefront6targetE1EEEvSH_,@function
_ZN7rocprim17ROCPRIM_400000_NS6detail17trampoline_kernelINS0_14default_configENS1_38merge_sort_block_merge_config_selectorIilEEZZNS1_27merge_sort_block_merge_implIS3_PiN6thrust23THRUST_200600_302600_NS10device_ptrIlEEjNS1_19radix_merge_compareILb0ELb0EiNS0_19identity_decomposerEEEEE10hipError_tT0_T1_T2_jT3_P12ihipStream_tbPNSt15iterator_traitsISG_E10value_typeEPNSM_ISH_E10value_typeEPSI_NS1_7vsmem_tEENKUlT_SG_SH_SI_E_clIS7_S7_PlSB_EESF_SV_SG_SH_SI_EUlSV_E0_NS1_11comp_targetILNS1_3genE4ELNS1_11target_archE910ELNS1_3gpuE8ELNS1_3repE0EEENS1_38merge_mergepath_config_static_selectorELNS0_4arch9wavefront6targetE1EEEvSH_: ; @_ZN7rocprim17ROCPRIM_400000_NS6detail17trampoline_kernelINS0_14default_configENS1_38merge_sort_block_merge_config_selectorIilEEZZNS1_27merge_sort_block_merge_implIS3_PiN6thrust23THRUST_200600_302600_NS10device_ptrIlEEjNS1_19radix_merge_compareILb0ELb0EiNS0_19identity_decomposerEEEEE10hipError_tT0_T1_T2_jT3_P12ihipStream_tbPNSt15iterator_traitsISG_E10value_typeEPNSM_ISH_E10value_typeEPSI_NS1_7vsmem_tEENKUlT_SG_SH_SI_E_clIS7_S7_PlSB_EESF_SV_SG_SH_SI_EUlSV_E0_NS1_11comp_targetILNS1_3genE4ELNS1_11target_archE910ELNS1_3gpuE8ELNS1_3repE0EEENS1_38merge_mergepath_config_static_selectorELNS0_4arch9wavefront6targetE1EEEvSH_
; %bb.0:
	s_load_dwordx2 s[22:23], s[4:5], 0x40
	s_load_dword s2, s[4:5], 0x30
	s_add_u32 s0, s4, 64
	s_addc_u32 s1, s5, 0
	s_waitcnt lgkmcnt(0)
	s_mul_i32 s3, s23, s8
	s_add_i32 s3, s3, s7
	s_mul_i32 s3, s3, s22
	s_add_i32 s20, s3, s6
	s_cmp_ge_u32 s20, s2
	s_cbranch_scc1 .LBB755_53
; %bb.1:
	s_load_dwordx8 s[8:15], s[4:5], 0x10
	s_load_dwordx2 s[26:27], s[4:5], 0x8
	s_load_dwordx2 s[2:3], s[4:5], 0x38
	s_mov_b32 s21, 0
	v_mov_b32_e32 v5, 0
	s_waitcnt lgkmcnt(0)
	s_lshr_b32 s7, s14, 10
	s_cmp_lg_u32 s20, s7
	s_cselect_b64 s[18:19], -1, 0
	s_lshl_b64 s[4:5], s[20:21], 2
	s_add_u32 s2, s2, s4
	s_addc_u32 s3, s3, s5
	s_lshr_b32 s4, s15, 9
	s_and_b32 s4, s4, 0x7ffffe
	s_load_dwordx2 s[2:3], s[2:3], 0x0
	s_sub_i32 s5, 0, s4
	s_and_b32 s4, s20, s5
	s_lshl_b32 s17, s4, 10
	s_lshl_b32 s16, s20, 10
	;; [unrolled: 1-line block ×3, first 2 shown]
	s_sub_i32 s23, s16, s17
	s_add_i32 s24, s4, s15
	s_add_i32 s23, s24, s23
	s_waitcnt lgkmcnt(0)
	s_sub_i32 s4, s23, s2
	s_sub_i32 s23, s23, s3
	;; [unrolled: 1-line block ×3, first 2 shown]
	s_min_u32 s4, s14, s4
	s_addk_i32 s23, 0x400
	s_or_b32 s5, s20, s5
	s_min_u32 s24, s14, s17
	s_add_i32 s17, s17, s15
	s_cmp_eq_u32 s5, -1
	s_cselect_b32 s3, s24, s3
	s_cselect_b32 s5, s17, s23
	s_sub_i32 s15, s3, s2
	s_mov_b32 s3, s21
	s_min_u32 s17, s5, s14
	s_lshl_b64 s[24:25], s[2:3], 2
	s_add_u32 s24, s26, s24
	s_mov_b32 s5, s21
	s_addc_u32 s25, s27, s25
	s_lshl_b64 s[28:29], s[4:5], 2
	s_add_u32 s21, s26, s28
	s_addc_u32 s23, s27, s29
	s_cmp_lt_u32 s6, s22
	s_cselect_b32 s6, 12, 18
	global_load_dword v1, v5, s[0:1] offset:14
	s_add_u32 s0, s0, s6
	s_addc_u32 s1, s1, 0
	global_load_ushort v2, v5, s[0:1]
	s_cmp_eq_u32 s20, s7
	s_waitcnt vmcnt(1)
	v_lshrrev_b32_e32 v3, 16, v1
	v_and_b32_e32 v1, 0xffff, v1
	v_mul_lo_u32 v1, v1, v3
	s_waitcnt vmcnt(0)
	v_mul_lo_u32 v19, v1, v2
	v_add_u32_e32 v8, v19, v0
	v_lshlrev_b32_e32 v1, 2, v0
	v_add_u32_e32 v6, v8, v19
	s_cbranch_scc1 .LBB755_3
; %bb.2:
	v_mov_b32_e32 v2, s25
	v_add_co_u32_e32 v7, vcc, s24, v1
	v_subrev_u32_e32 v4, s15, v0
	v_addc_co_u32_e32 v9, vcc, 0, v2, vcc
	v_lshlrev_b64 v[2:3], 2, v[4:5]
	v_mov_b32_e32 v4, s23
	v_add_co_u32_e32 v2, vcc, s21, v2
	v_addc_co_u32_e32 v3, vcc, v4, v3, vcc
	v_cmp_gt_u32_e32 vcc, s15, v0
	v_cndmask_b32_e32 v3, v3, v9, vcc
	v_mov_b32_e32 v9, v5
	v_cndmask_b32_e32 v2, v2, v7, vcc
	v_lshlrev_b64 v[10:11], 2, v[8:9]
	global_load_dword v2, v[2:3], off
	v_mov_b32_e32 v3, s25
	v_add_co_u32_e32 v7, vcc, s24, v10
	v_subrev_u32_e32 v4, s15, v8
	v_addc_co_u32_e32 v3, vcc, v3, v11, vcc
	v_lshlrev_b64 v[10:11], 2, v[4:5]
	v_mov_b32_e32 v4, s23
	v_add_co_u32_e32 v9, vcc, s21, v10
	v_addc_co_u32_e32 v4, vcc, v4, v11, vcc
	v_cmp_gt_u32_e32 vcc, s15, v8
	v_cndmask_b32_e32 v11, v4, v3, vcc
	v_cndmask_b32_e32 v10, v9, v7, vcc
	v_mov_b32_e32 v7, v5
	global_load_dword v3, v[10:11], off
	v_lshlrev_b64 v[10:11], 2, v[6:7]
	v_mov_b32_e32 v4, s25
	v_add_co_u32_e32 v7, vcc, s24, v10
	v_addc_co_u32_e32 v9, vcc, v4, v11, vcc
	v_subrev_u32_e32 v4, s15, v6
	v_lshlrev_b64 v[4:5], 2, v[4:5]
	v_mov_b32_e32 v10, s23
	v_add_co_u32_e32 v4, vcc, s21, v4
	v_addc_co_u32_e32 v5, vcc, v10, v5, vcc
	v_cmp_gt_u32_e32 vcc, s15, v6
	v_cndmask_b32_e32 v5, v5, v9, vcc
	v_cndmask_b32_e32 v4, v4, v7, vcc
	global_load_dword v4, v[4:5], off
	v_add_u32_e32 v10, v6, v19
	s_mov_b64 s[0:1], -1
	s_sub_i32 s17, s17, s4
	s_cbranch_execz .LBB755_4
	s_branch .LBB755_9
.LBB755_3:
	s_mov_b64 s[0:1], 0
                                        ; implicit-def: $vgpr2_vgpr3_vgpr4_vgpr5
                                        ; implicit-def: $vgpr10
	s_sub_i32 s17, s17, s4
.LBB755_4:
	s_add_i32 s6, s17, s15
	v_cmp_gt_u32_e32 vcc, s6, v0
                                        ; implicit-def: $vgpr2_vgpr3_vgpr4_vgpr5
	s_and_saveexec_b64 s[0:1], vcc
	s_cbranch_execz .LBB755_13
; %bb.5:
	s_waitcnt vmcnt(2)
	v_mov_b32_e32 v2, s25
	s_waitcnt vmcnt(0)
	v_add_co_u32_e32 v4, vcc, s24, v1
	v_mov_b32_e32 v3, 0
	v_addc_co_u32_e32 v5, vcc, 0, v2, vcc
	v_subrev_u32_e32 v2, s15, v0
	v_lshlrev_b64 v[2:3], 2, v[2:3]
	v_mov_b32_e32 v7, s23
	v_add_co_u32_e32 v2, vcc, s21, v2
	v_addc_co_u32_e32 v3, vcc, v7, v3, vcc
	v_cmp_gt_u32_e32 vcc, s15, v0
	v_cndmask_b32_e32 v3, v3, v5, vcc
	v_cndmask_b32_e32 v2, v2, v4, vcc
	global_load_dword v2, v[2:3], off
	s_or_b64 exec, exec, s[0:1]
	v_cmp_gt_u32_e32 vcc, s6, v8
	s_and_saveexec_b64 s[0:1], vcc
	s_cbranch_execnz .LBB755_14
.LBB755_6:
	s_or_b64 exec, exec, s[0:1]
	v_cmp_gt_u32_e32 vcc, s6, v6
	s_and_saveexec_b64 s[0:1], vcc
	s_cbranch_execz .LBB755_8
.LBB755_7:
	v_mov_b32_e32 v7, 0
	v_lshlrev_b64 v[10:11], 2, v[6:7]
	s_waitcnt vmcnt(0)
	v_mov_b32_e32 v4, s25
	v_add_co_u32_e32 v9, vcc, s24, v10
	v_addc_co_u32_e32 v4, vcc, v4, v11, vcc
	v_subrev_u32_e32 v10, s15, v6
	v_mov_b32_e32 v11, v7
	v_lshlrev_b64 v[10:11], 2, v[10:11]
	v_mov_b32_e32 v7, s23
	v_add_co_u32_e32 v10, vcc, s21, v10
	v_addc_co_u32_e32 v7, vcc, v7, v11, vcc
	v_cmp_gt_u32_e32 vcc, s15, v6
	v_cndmask_b32_e32 v11, v7, v4, vcc
	v_cndmask_b32_e32 v10, v10, v9, vcc
	global_load_dword v4, v[10:11], off
.LBB755_8:
	s_or_b64 exec, exec, s[0:1]
	v_add_u32_e32 v10, v6, v19
	v_cmp_gt_u32_e64 s[0:1], s6, v10
.LBB755_9:
	s_and_saveexec_b64 s[6:7], s[0:1]
	s_cbranch_execz .LBB755_11
; %bb.10:
	v_mov_b32_e32 v11, 0
	v_lshlrev_b64 v[12:13], 2, v[10:11]
	v_mov_b32_e32 v5, s25
	v_add_co_u32_e32 v7, vcc, s24, v12
	v_addc_co_u32_e32 v5, vcc, v5, v13, vcc
	v_cmp_gt_u32_e32 vcc, s15, v10
	v_subrev_u32_e32 v10, s15, v10
	v_lshlrev_b64 v[10:11], 2, v[10:11]
	v_mov_b32_e32 v9, s23
	v_add_co_u32_e64 v10, s[0:1], s21, v10
	v_addc_co_u32_e64 v9, s[0:1], v9, v11, s[0:1]
	v_cndmask_b32_e32 v11, v9, v5, vcc
	v_cndmask_b32_e32 v10, v10, v7, vcc
	global_load_dword v5, v[10:11], off
.LBB755_11:
	s_or_b64 exec, exec, s[6:7]
	s_lshl_b64 s[0:1], s[2:3], 3
	s_add_u32 s6, s10, s0
	s_addc_u32 s7, s11, s1
	s_lshl_b64 s[0:1], s[4:5], 3
	s_add_u32 s4, s10, s0
	s_addc_u32 s5, s11, s1
	s_andn2_b64 vcc, exec, s[18:19]
	v_lshlrev_b32_e32 v18, 3, v0
	s_waitcnt vmcnt(0)
	ds_write2st64_b32 v1, v2, v3 offset1:4
	ds_write2st64_b32 v1, v4, v5 offset0:8 offset1:12
	s_cbranch_vccnz .LBB755_15
; %bb.12:
	v_mov_b32_e32 v17, 0
	v_mov_b32_e32 v7, s7
	v_add_co_u32_e32 v9, vcc, s6, v18
	v_subrev_u32_e32 v16, s15, v0
	v_addc_co_u32_e32 v7, vcc, 0, v7, vcc
	v_lshlrev_b64 v[10:11], 3, v[16:17]
	v_mov_b32_e32 v12, s5
	v_add_co_u32_e32 v10, vcc, s4, v10
	v_addc_co_u32_e32 v11, vcc, v12, v11, vcc
	v_cmp_gt_u32_e32 vcc, s15, v0
	v_cndmask_b32_e32 v10, v10, v9, vcc
	v_mov_b32_e32 v9, v17
	v_lshlrev_b64 v[12:13], 3, v[8:9]
	v_cndmask_b32_e32 v11, v11, v7, vcc
	v_mov_b32_e32 v7, s7
	v_add_co_u32_e32 v9, vcc, s6, v12
	v_subrev_u32_e32 v16, s15, v8
	v_addc_co_u32_e32 v7, vcc, v7, v13, vcc
	v_lshlrev_b64 v[12:13], 3, v[16:17]
	v_mov_b32_e32 v14, s5
	v_add_co_u32_e32 v12, vcc, s4, v12
	v_addc_co_u32_e32 v13, vcc, v14, v13, vcc
	v_cmp_gt_u32_e32 vcc, s15, v8
	v_cndmask_b32_e32 v13, v13, v7, vcc
	v_mov_b32_e32 v7, v17
	v_lshlrev_b64 v[14:15], 3, v[6:7]
	v_cndmask_b32_e32 v12, v12, v9, vcc
	v_mov_b32_e32 v7, s7
	v_add_co_u32_e32 v9, vcc, s6, v14
	v_subrev_u32_e32 v16, s15, v6
	v_addc_co_u32_e32 v7, vcc, v7, v15, vcc
	v_lshlrev_b64 v[14:15], 3, v[16:17]
	v_mov_b32_e32 v16, s5
	v_add_co_u32_e32 v14, vcc, s4, v14
	v_addc_co_u32_e32 v15, vcc, v16, v15, vcc
	v_add_u32_e32 v16, v6, v19
	v_cmp_gt_u32_e32 vcc, s15, v6
	v_lshlrev_b64 v[20:21], 3, v[16:17]
	v_cndmask_b32_e32 v15, v15, v7, vcc
	v_cndmask_b32_e32 v14, v14, v9, vcc
	v_mov_b32_e32 v7, s7
	v_add_co_u32_e32 v9, vcc, s6, v20
	v_addc_co_u32_e32 v7, vcc, v7, v21, vcc
	v_cmp_gt_u32_e32 vcc, s15, v16
	v_subrev_u32_e32 v16, s15, v16
	v_lshlrev_b64 v[16:17], 3, v[16:17]
	v_mov_b32_e32 v20, s5
	v_add_co_u32_e64 v16, s[0:1], s4, v16
	v_addc_co_u32_e64 v17, s[0:1], v20, v17, s[0:1]
	v_cndmask_b32_e32 v17, v17, v7, vcc
	v_cndmask_b32_e32 v16, v16, v9, vcc
	global_load_dwordx2 v[10:11], v[10:11], off
	s_add_i32 s20, s17, s15
	global_load_dwordx2 v[12:13], v[12:13], off
	s_nop 0
	global_load_dwordx2 v[14:15], v[14:15], off
	s_nop 0
	global_load_dwordx2 v[16:17], v[16:17], off
	s_cbranch_execz .LBB755_16
	s_branch .LBB755_25
.LBB755_13:
	s_or_b64 exec, exec, s[0:1]
	v_cmp_gt_u32_e32 vcc, s6, v8
	s_and_saveexec_b64 s[0:1], vcc
	s_cbranch_execz .LBB755_6
.LBB755_14:
	v_mov_b32_e32 v9, 0
	v_lshlrev_b64 v[10:11], 2, v[8:9]
	s_waitcnt vmcnt(1)
	v_mov_b32_e32 v3, s25
	v_add_co_u32_e32 v7, vcc, s24, v10
	v_addc_co_u32_e32 v3, vcc, v3, v11, vcc
	v_subrev_u32_e32 v10, s15, v8
	v_mov_b32_e32 v11, v9
	v_lshlrev_b64 v[10:11], 2, v[10:11]
	v_mov_b32_e32 v9, s23
	v_add_co_u32_e32 v10, vcc, s21, v10
	v_addc_co_u32_e32 v9, vcc, v9, v11, vcc
	v_cmp_gt_u32_e32 vcc, s15, v8
	v_cndmask_b32_e32 v11, v9, v3, vcc
	v_cndmask_b32_e32 v10, v10, v7, vcc
	global_load_dword v3, v[10:11], off
	s_or_b64 exec, exec, s[0:1]
	v_cmp_gt_u32_e32 vcc, s6, v6
	s_and_saveexec_b64 s[0:1], vcc
	s_cbranch_execnz .LBB755_7
	s_branch .LBB755_8
.LBB755_15:
                                        ; implicit-def: $vgpr10_vgpr11
                                        ; implicit-def: $vgpr12_vgpr13
                                        ; implicit-def: $vgpr14_vgpr15
                                        ; implicit-def: $vgpr16_vgpr17
                                        ; implicit-def: $sgpr20
.LBB755_16:
	s_add_i32 s20, s17, s15
	v_cmp_gt_u32_e32 vcc, s20, v0
                                        ; implicit-def: $vgpr10_vgpr11
	s_and_saveexec_b64 s[0:1], vcc
	s_cbranch_execz .LBB755_18
; %bb.17:
	s_waitcnt vmcnt(3)
	v_mov_b32_e32 v11, 0
	v_mov_b32_e32 v7, s7
	v_add_co_u32_e32 v9, vcc, s6, v18
	v_subrev_u32_e32 v10, s15, v0
	v_addc_co_u32_e32 v7, vcc, 0, v7, vcc
	v_lshlrev_b64 v[10:11], 3, v[10:11]
	s_waitcnt vmcnt(2)
	v_mov_b32_e32 v12, s5
	v_add_co_u32_e32 v10, vcc, s4, v10
	v_addc_co_u32_e32 v11, vcc, v12, v11, vcc
	v_cmp_gt_u32_e32 vcc, s15, v0
	v_cndmask_b32_e32 v11, v11, v7, vcc
	v_cndmask_b32_e32 v10, v10, v9, vcc
	global_load_dwordx2 v[10:11], v[10:11], off
.LBB755_18:
	s_or_b64 exec, exec, s[0:1]
	v_cmp_gt_u32_e32 vcc, s20, v8
                                        ; implicit-def: $vgpr12_vgpr13
	s_and_saveexec_b64 s[2:3], vcc
	s_cbranch_execz .LBB755_20
; %bb.19:
	v_mov_b32_e32 v9, 0
	s_waitcnt vmcnt(2)
	v_lshlrev_b64 v[12:13], 3, v[8:9]
	v_mov_b32_e32 v7, s7
	v_add_co_u32_e32 v12, vcc, s6, v12
	v_addc_co_u32_e32 v7, vcc, v7, v13, vcc
	v_cmp_gt_u32_e32 vcc, s15, v8
	v_subrev_u32_e32 v8, s15, v8
	v_lshlrev_b64 v[8:9], 3, v[8:9]
	v_mov_b32_e32 v13, s5
	v_add_co_u32_e64 v8, s[0:1], s4, v8
	v_addc_co_u32_e64 v9, s[0:1], v13, v9, s[0:1]
	v_cndmask_b32_e32 v9, v9, v7, vcc
	v_cndmask_b32_e32 v8, v8, v12, vcc
	global_load_dwordx2 v[12:13], v[8:9], off
.LBB755_20:
	s_or_b64 exec, exec, s[2:3]
	v_cmp_gt_u32_e32 vcc, s20, v6
                                        ; implicit-def: $vgpr14_vgpr15
	s_and_saveexec_b64 s[0:1], vcc
	s_cbranch_execz .LBB755_22
; %bb.21:
	v_mov_b32_e32 v7, 0
	v_lshlrev_b64 v[8:9], 3, v[6:7]
	s_waitcnt vmcnt(1)
	v_mov_b32_e32 v14, s7
	v_add_co_u32_e32 v15, vcc, s6, v8
	v_addc_co_u32_e32 v14, vcc, v14, v9, vcc
	v_subrev_u32_e32 v8, s15, v6
	v_mov_b32_e32 v9, v7
	v_lshlrev_b64 v[8:9], 3, v[8:9]
	v_mov_b32_e32 v7, s5
	v_add_co_u32_e32 v8, vcc, s4, v8
	v_addc_co_u32_e32 v7, vcc, v7, v9, vcc
	v_cmp_gt_u32_e32 vcc, s15, v6
	v_cndmask_b32_e32 v9, v7, v14, vcc
	v_cndmask_b32_e32 v8, v8, v15, vcc
	global_load_dwordx2 v[14:15], v[8:9], off
.LBB755_22:
	s_or_b64 exec, exec, s[0:1]
	v_add_u32_e32 v6, v6, v19
	v_cmp_gt_u32_e32 vcc, s20, v6
                                        ; implicit-def: $vgpr16_vgpr17
	s_and_saveexec_b64 s[2:3], vcc
	s_cbranch_execz .LBB755_24
; %bb.23:
	v_mov_b32_e32 v7, 0
	v_lshlrev_b64 v[8:9], 3, v[6:7]
	s_waitcnt vmcnt(0)
	v_mov_b32_e32 v16, s7
	v_add_co_u32_e32 v8, vcc, s6, v8
	v_addc_co_u32_e32 v9, vcc, v16, v9, vcc
	v_cmp_gt_u32_e32 vcc, s15, v6
	v_subrev_u32_e32 v6, s15, v6
	v_lshlrev_b64 v[6:7], 3, v[6:7]
	v_mov_b32_e32 v16, s5
	v_add_co_u32_e64 v6, s[0:1], s4, v6
	v_addc_co_u32_e64 v7, s[0:1], v16, v7, s[0:1]
	v_cndmask_b32_e32 v7, v7, v9, vcc
	v_cndmask_b32_e32 v6, v6, v8, vcc
	global_load_dwordx2 v[16:17], v[6:7], off
.LBB755_24:
	s_or_b64 exec, exec, s[2:3]
.LBB755_25:
	v_min_u32_e32 v7, s20, v1
	v_sub_u32_e64 v6, v7, s17 clamp
	v_min_u32_e32 v8, s15, v7
	v_cmp_lt_u32_e32 vcc, v6, v8
	s_waitcnt lgkmcnt(0)
	s_barrier
	s_and_saveexec_b64 s[0:1], vcc
	s_cbranch_execz .LBB755_29
; %bb.26:
	v_lshlrev_b32_e32 v9, 2, v7
	v_lshl_add_u32 v9, s15, 2, v9
	s_mov_b64 s[2:3], 0
.LBB755_27:                             ; =>This Inner Loop Header: Depth=1
	v_add_u32_e32 v19, v8, v6
	v_lshrrev_b32_e32 v19, 1, v19
	v_not_b32_e32 v20, v19
	v_lshlrev_b32_e32 v21, 2, v19
	v_lshl_add_u32 v20, v20, 2, v9
	ds_read_b32 v21, v21
	ds_read_b32 v20, v20
	v_add_u32_e32 v22, 1, v19
	s_waitcnt lgkmcnt(0)
	v_cmp_gt_i32_e32 vcc, v21, v20
	v_cndmask_b32_e32 v8, v8, v19, vcc
	v_cndmask_b32_e32 v6, v22, v6, vcc
	v_cmp_ge_u32_e32 vcc, v6, v8
	s_or_b64 s[2:3], vcc, s[2:3]
	s_andn2_b64 exec, exec, s[2:3]
	s_cbranch_execnz .LBB755_27
; %bb.28:
	s_or_b64 exec, exec, s[2:3]
.LBB755_29:
	s_or_b64 exec, exec, s[0:1]
	v_sub_u32_e32 v7, v7, v6
	v_add_u32_e32 v19, s15, v7
	v_cmp_ge_u32_e32 vcc, s15, v6
	v_cmp_ge_u32_e64 s[0:1], s20, v19
	s_or_b64 s[0:1], vcc, s[0:1]
                                        ; implicit-def: $vgpr20
                                        ; implicit-def: $vgpr9
                                        ; implicit-def: $vgpr8
                                        ; implicit-def: $vgpr7
	s_and_saveexec_b64 s[10:11], s[0:1]
	s_cbranch_execz .LBB755_35
; %bb.30:
	v_cmp_gt_u32_e32 vcc, s15, v6
                                        ; implicit-def: $vgpr2
	s_and_saveexec_b64 s[0:1], vcc
	s_cbranch_execz .LBB755_32
; %bb.31:
	v_lshlrev_b32_e32 v2, 2, v6
	ds_read_b32 v2, v2
.LBB755_32:
	s_or_b64 exec, exec, s[0:1]
	v_cmp_le_u32_e64 s[0:1], s20, v19
	v_cmp_gt_u32_e64 s[2:3], s20, v19
                                        ; implicit-def: $vgpr3
	s_and_saveexec_b64 s[4:5], s[2:3]
	s_cbranch_execz .LBB755_34
; %bb.33:
	v_lshlrev_b32_e32 v3, 2, v19
	ds_read_b32 v3, v3
.LBB755_34:
	s_or_b64 exec, exec, s[4:5]
	s_waitcnt lgkmcnt(0)
	v_cmp_le_i32_e64 s[2:3], v2, v3
	s_and_b64 s[2:3], vcc, s[2:3]
	s_or_b64 vcc, s[0:1], s[2:3]
	v_mov_b32_e32 v4, s20
	v_mov_b32_e32 v5, s15
	v_cndmask_b32_e32 v7, v19, v6, vcc
	v_cndmask_b32_e32 v8, v4, v5, vcc
	v_add_u32_e32 v9, 1, v7
	v_add_u32_e32 v8, -1, v8
	v_min_u32_e32 v8, v9, v8
	v_lshlrev_b32_e32 v8, 2, v8
	ds_read_b32 v8, v8
	v_cndmask_b32_e32 v6, v6, v9, vcc
	v_cndmask_b32_e32 v19, v9, v19, vcc
	v_cmp_gt_u32_e64 s[2:3], s15, v6
	v_cmp_le_u32_e64 s[0:1], s20, v19
	s_waitcnt lgkmcnt(0)
	v_cndmask_b32_e32 v20, v8, v3, vcc
	v_cndmask_b32_e32 v21, v2, v8, vcc
	v_cmp_le_i32_e64 s[4:5], v21, v20
	s_and_b64 s[2:3], s[2:3], s[4:5]
	s_or_b64 s[0:1], s[0:1], s[2:3]
	v_cndmask_b32_e64 v8, v19, v6, s[0:1]
	v_cndmask_b32_e64 v9, v4, v5, s[0:1]
	v_add_u32_e32 v22, 1, v8
	v_add_u32_e32 v9, -1, v9
	v_min_u32_e32 v9, v22, v9
	v_lshlrev_b32_e32 v9, 2, v9
	ds_read_b32 v9, v9
	v_cndmask_b32_e64 v6, v6, v22, s[0:1]
	v_cndmask_b32_e64 v19, v22, v19, s[0:1]
	v_cmp_gt_u32_e64 s[4:5], s15, v6
	v_cmp_le_u32_e64 s[2:3], s20, v19
	s_waitcnt lgkmcnt(0)
	v_cndmask_b32_e64 v23, v9, v20, s[0:1]
	v_cndmask_b32_e64 v24, v21, v9, s[0:1]
	v_cmp_le_i32_e64 s[6:7], v24, v23
	s_and_b64 s[4:5], s[4:5], s[6:7]
	s_or_b64 s[2:3], s[2:3], s[4:5]
	v_cndmask_b32_e64 v9, v19, v6, s[2:3]
	v_cndmask_b32_e64 v4, v4, v5, s[2:3]
	v_add_u32_e32 v5, 1, v9
	v_add_u32_e32 v4, -1, v4
	v_min_u32_e32 v4, v5, v4
	v_lshlrev_b32_e32 v4, 2, v4
	ds_read_b32 v22, v4
	v_cndmask_b32_e32 v2, v3, v2, vcc
	v_cndmask_b32_e64 v3, v20, v21, s[0:1]
	v_cndmask_b32_e64 v19, v5, v19, s[2:3]
	v_cndmask_b32_e64 v5, v6, v5, s[2:3]
	s_waitcnt lgkmcnt(0)
	v_cndmask_b32_e64 v21, v22, v23, s[2:3]
	v_cndmask_b32_e64 v22, v24, v22, s[2:3]
	;; [unrolled: 1-line block ×3, first 2 shown]
	v_cmp_gt_u32_e64 s[0:1], s15, v5
	v_cmp_le_i32_e64 s[2:3], v22, v21
	v_cmp_le_u32_e32 vcc, s20, v19
	s_and_b64 s[0:1], s[0:1], s[2:3]
	s_or_b64 vcc, vcc, s[0:1]
	v_cndmask_b32_e32 v20, v19, v5, vcc
	v_cndmask_b32_e32 v5, v21, v22, vcc
.LBB755_35:
	s_or_b64 exec, exec, s[10:11]
	v_add_u32_e32 v27, v1, v1
	v_lshlrev_b32_e32 v6, 3, v7
	v_lshlrev_b32_e32 v7, 3, v8
	;; [unrolled: 1-line block ×4, first 2 shown]
	s_barrier
	s_waitcnt vmcnt(0)
	ds_write2st64_b64 v27, v[10:11], v[12:13] offset1:4
	ds_write2st64_b64 v27, v[14:15], v[16:17] offset0:8 offset1:12
	s_waitcnt lgkmcnt(0)
	s_barrier
	ds_read_b64 v[10:11], v6
	ds_read_b64 v[12:13], v7
	;; [unrolled: 1-line block ×4, first 2 shown]
	s_mov_b32 s17, 0
	s_lshl_b64 s[0:1], s[16:17], 2
	v_lshrrev_b32_e32 v14, 3, v0
	s_add_u32 s0, s8, s0
	v_add_u32_e32 v16, v14, v1
	s_addc_u32 s1, s9, s1
	v_lshlrev_b32_e32 v17, 2, v16
	s_waitcnt lgkmcnt(0)
	s_barrier
	s_barrier
	ds_write2_b32 v17, v2, v3 offset1:1
	ds_write2_b32 v17, v4, v5 offset0:2 offset1:3
	v_or_b32_e32 v23, 0x100, v0
	v_or_b32_e32 v22, 0x200, v0
	;; [unrolled: 1-line block ×3, first 2 shown]
	v_mov_b32_e32 v3, s1
	v_add_co_u32_e32 v2, vcc, s0, v1
	v_lshrrev_b32_e32 v14, 5, v0
	v_lshrrev_b32_e32 v4, 5, v23
	;; [unrolled: 1-line block ×4, first 2 shown]
	v_addc_co_u32_e32 v3, vcc, 0, v3, vcc
	v_lshl_add_u32 v15, v14, 2, v1
	v_lshl_add_u32 v24, v4, 2, v1
	;; [unrolled: 1-line block ×4, first 2 shown]
	s_and_b64 vcc, exec, s[18:19]
	v_lshl_add_u32 v1, v4, 3, v27
	v_lshl_add_u32 v19, v5, 3, v27
	;; [unrolled: 1-line block ×3, first 2 shown]
	s_waitcnt lgkmcnt(0)
	s_cbranch_vccz .LBB755_37
; %bb.36:
	s_barrier
	ds_read_b32 v4, v15
	ds_read_b32 v5, v24 offset:1024
	ds_read_b32 v28, v25 offset:2048
	;; [unrolled: 1-line block ×3, first 2 shown]
	s_lshl_b64 s[0:1], s[16:17], 3
	s_add_u32 s0, s12, s0
	s_waitcnt lgkmcnt(3)
	global_store_dword v[2:3], v4, off
	s_waitcnt lgkmcnt(2)
	global_store_dword v[2:3], v5, off offset:1024
	s_waitcnt lgkmcnt(1)
	global_store_dword v[2:3], v28, off offset:2048
	;; [unrolled: 2-line block ×3, first 2 shown]
	v_lshlrev_b32_e32 v4, 3, v16
	s_barrier
	ds_write2_b64 v4, v[10:11], v[12:13] offset1:1
	ds_write2_b64 v4, v[6:7], v[8:9] offset0:2 offset1:3
	v_lshl_add_u32 v4, v14, 3, v27
	s_addc_u32 s1, s13, s1
	s_waitcnt lgkmcnt(0)
	s_barrier
	ds_read_b64 v[28:29], v4
	ds_read_b64 v[30:31], v1 offset:2048
	ds_read_b64 v[32:33], v19 offset:4096
	;; [unrolled: 1-line block ×3, first 2 shown]
	v_mov_b32_e32 v27, s1
	v_add_co_u32_e32 v34, vcc, s0, v18
	v_addc_co_u32_e32 v27, vcc, 0, v27, vcc
	s_waitcnt lgkmcnt(3)
	global_store_dwordx2 v18, v[28:29], s[0:1]
	s_waitcnt lgkmcnt(2)
	global_store_dwordx2 v18, v[30:31], s[0:1] offset:2048
	v_add_co_u32_e32 v28, vcc, 0x1000, v34
	v_addc_co_u32_e32 v29, vcc, 0, v27, vcc
	s_waitcnt lgkmcnt(1)
	global_store_dwordx2 v[28:29], v[32:33], off
	s_mov_b64 s[6:7], -1
	s_cbranch_execz .LBB755_38
	s_branch .LBB755_51
.LBB755_37:
	s_mov_b64 s[6:7], 0
                                        ; implicit-def: $vgpr4_vgpr5
.LBB755_38:
	s_barrier
	s_waitcnt lgkmcnt(0)
	ds_read_b32 v24, v24 offset:1024
	ds_read_b32 v5, v25 offset:2048
	;; [unrolled: 1-line block ×3, first 2 shown]
	s_sub_i32 s6, s14, s16
	v_cmp_gt_u32_e32 vcc, s6, v0
	s_and_saveexec_b64 s[0:1], vcc
	s_cbranch_execz .LBB755_42
; %bb.39:
	ds_read_b32 v25, v15
	s_waitcnt lgkmcnt(0)
	global_store_dword v[2:3], v25, off
	s_or_b64 exec, exec, s[0:1]
	v_cmp_gt_u32_e64 s[0:1], s6, v23
	s_and_saveexec_b64 s[2:3], s[0:1]
	s_cbranch_execnz .LBB755_43
.LBB755_40:
	s_or_b64 exec, exec, s[2:3]
	v_cmp_gt_u32_e64 s[2:3], s6, v22
	s_and_saveexec_b64 s[4:5], s[2:3]
	s_cbranch_execz .LBB755_44
.LBB755_41:
	s_waitcnt lgkmcnt(1)
	global_store_dword v[2:3], v5, off offset:2048
	s_or_b64 exec, exec, s[4:5]
	v_cmp_gt_u32_e64 s[6:7], s6, v21
	s_and_saveexec_b64 s[4:5], s[6:7]
	s_cbranch_execnz .LBB755_45
	s_branch .LBB755_46
.LBB755_42:
	s_or_b64 exec, exec, s[0:1]
	v_cmp_gt_u32_e64 s[0:1], s6, v23
	s_and_saveexec_b64 s[2:3], s[0:1]
	s_cbranch_execz .LBB755_40
.LBB755_43:
	s_waitcnt lgkmcnt(2)
	global_store_dword v[2:3], v24, off offset:1024
	s_or_b64 exec, exec, s[2:3]
	v_cmp_gt_u32_e64 s[2:3], s6, v22
	s_and_saveexec_b64 s[4:5], s[2:3]
	s_cbranch_execnz .LBB755_41
.LBB755_44:
	s_or_b64 exec, exec, s[4:5]
	v_cmp_gt_u32_e64 s[6:7], s6, v21
	s_and_saveexec_b64 s[4:5], s[6:7]
	s_cbranch_execz .LBB755_46
.LBB755_45:
	s_waitcnt lgkmcnt(0)
	global_store_dword v[2:3], v4, off offset:3072
.LBB755_46:
	s_or_b64 exec, exec, s[4:5]
	v_lshl_add_u32 v2, v16, 2, v17
	s_waitcnt lgkmcnt(0)
	s_barrier
	ds_write2_b64 v2, v[10:11], v[12:13] offset1:1
	ds_write2_b64 v2, v[6:7], v[8:9] offset0:2 offset1:3
	s_waitcnt lgkmcnt(0)
	s_barrier
	ds_read_b64 v[8:9], v1 offset:2048
	ds_read_b64 v[2:3], v19 offset:4096
	;; [unrolled: 1-line block ×3, first 2 shown]
	s_lshl_b64 s[4:5], s[16:17], 3
	s_add_u32 s4, s12, s4
	s_addc_u32 s5, s13, s5
	v_mov_b32_e32 v1, s5
	v_add_co_u32_e64 v6, s[4:5], s4, v18
	v_addc_co_u32_e64 v7, s[4:5], 0, v1, s[4:5]
	s_and_saveexec_b64 s[4:5], vcc
	s_cbranch_execz .LBB755_54
; %bb.47:
	v_add_u32_e32 v0, v14, v0
	v_lshl_add_u32 v0, v0, 2, v15
	ds_read_b64 v[0:1], v0
	s_waitcnt lgkmcnt(0)
	global_store_dwordx2 v[6:7], v[0:1], off
	s_or_b64 exec, exec, s[4:5]
	s_and_saveexec_b64 s[4:5], s[0:1]
	s_cbranch_execnz .LBB755_55
.LBB755_48:
	s_or_b64 exec, exec, s[4:5]
	s_and_saveexec_b64 s[0:1], s[2:3]
	s_cbranch_execz .LBB755_50
.LBB755_49:
	v_add_co_u32_e32 v0, vcc, 0x1000, v6
	v_addc_co_u32_e32 v1, vcc, 0, v7, vcc
	s_waitcnt lgkmcnt(1)
	global_store_dwordx2 v[0:1], v[2:3], off
.LBB755_50:
	s_or_b64 exec, exec, s[0:1]
.LBB755_51:
	s_and_saveexec_b64 s[0:1], s[6:7]
	s_cbranch_execz .LBB755_53
; %bb.52:
	s_lshl_b64 s[0:1], s[16:17], 3
	s_add_u32 s0, s12, s0
	s_addc_u32 s1, s13, s1
	v_mov_b32_e32 v0, s1
	v_add_co_u32_e32 v1, vcc, s0, v18
	s_waitcnt lgkmcnt(1)
	v_addc_co_u32_e32 v2, vcc, 0, v0, vcc
	v_add_co_u32_e32 v0, vcc, 0x1000, v1
	v_addc_co_u32_e32 v1, vcc, 0, v2, vcc
	s_waitcnt lgkmcnt(0)
	global_store_dwordx2 v[0:1], v[4:5], off offset:2048
.LBB755_53:
	s_endpgm
.LBB755_54:
	s_or_b64 exec, exec, s[4:5]
	s_and_saveexec_b64 s[4:5], s[0:1]
	s_cbranch_execz .LBB755_48
.LBB755_55:
	s_waitcnt lgkmcnt(2)
	global_store_dwordx2 v[6:7], v[8:9], off offset:2048
	s_or_b64 exec, exec, s[4:5]
	s_and_saveexec_b64 s[0:1], s[2:3]
	s_cbranch_execnz .LBB755_49
	s_branch .LBB755_50
	.section	.rodata,"a",@progbits
	.p2align	6, 0x0
	.amdhsa_kernel _ZN7rocprim17ROCPRIM_400000_NS6detail17trampoline_kernelINS0_14default_configENS1_38merge_sort_block_merge_config_selectorIilEEZZNS1_27merge_sort_block_merge_implIS3_PiN6thrust23THRUST_200600_302600_NS10device_ptrIlEEjNS1_19radix_merge_compareILb0ELb0EiNS0_19identity_decomposerEEEEE10hipError_tT0_T1_T2_jT3_P12ihipStream_tbPNSt15iterator_traitsISG_E10value_typeEPNSM_ISH_E10value_typeEPSI_NS1_7vsmem_tEENKUlT_SG_SH_SI_E_clIS7_S7_PlSB_EESF_SV_SG_SH_SI_EUlSV_E0_NS1_11comp_targetILNS1_3genE4ELNS1_11target_archE910ELNS1_3gpuE8ELNS1_3repE0EEENS1_38merge_mergepath_config_static_selectorELNS0_4arch9wavefront6targetE1EEEvSH_
		.amdhsa_group_segment_fixed_size 8448
		.amdhsa_private_segment_fixed_size 0
		.amdhsa_kernarg_size 320
		.amdhsa_user_sgpr_count 6
		.amdhsa_user_sgpr_private_segment_buffer 1
		.amdhsa_user_sgpr_dispatch_ptr 0
		.amdhsa_user_sgpr_queue_ptr 0
		.amdhsa_user_sgpr_kernarg_segment_ptr 1
		.amdhsa_user_sgpr_dispatch_id 0
		.amdhsa_user_sgpr_flat_scratch_init 0
		.amdhsa_user_sgpr_kernarg_preload_length 0
		.amdhsa_user_sgpr_kernarg_preload_offset 0
		.amdhsa_user_sgpr_private_segment_size 0
		.amdhsa_uses_dynamic_stack 0
		.amdhsa_system_sgpr_private_segment_wavefront_offset 0
		.amdhsa_system_sgpr_workgroup_id_x 1
		.amdhsa_system_sgpr_workgroup_id_y 1
		.amdhsa_system_sgpr_workgroup_id_z 1
		.amdhsa_system_sgpr_workgroup_info 0
		.amdhsa_system_vgpr_workitem_id 0
		.amdhsa_next_free_vgpr 35
		.amdhsa_next_free_sgpr 30
		.amdhsa_accum_offset 36
		.amdhsa_reserve_vcc 1
		.amdhsa_reserve_flat_scratch 0
		.amdhsa_float_round_mode_32 0
		.amdhsa_float_round_mode_16_64 0
		.amdhsa_float_denorm_mode_32 3
		.amdhsa_float_denorm_mode_16_64 3
		.amdhsa_dx10_clamp 1
		.amdhsa_ieee_mode 1
		.amdhsa_fp16_overflow 0
		.amdhsa_tg_split 0
		.amdhsa_exception_fp_ieee_invalid_op 0
		.amdhsa_exception_fp_denorm_src 0
		.amdhsa_exception_fp_ieee_div_zero 0
		.amdhsa_exception_fp_ieee_overflow 0
		.amdhsa_exception_fp_ieee_underflow 0
		.amdhsa_exception_fp_ieee_inexact 0
		.amdhsa_exception_int_div_zero 0
	.end_amdhsa_kernel
	.section	.text._ZN7rocprim17ROCPRIM_400000_NS6detail17trampoline_kernelINS0_14default_configENS1_38merge_sort_block_merge_config_selectorIilEEZZNS1_27merge_sort_block_merge_implIS3_PiN6thrust23THRUST_200600_302600_NS10device_ptrIlEEjNS1_19radix_merge_compareILb0ELb0EiNS0_19identity_decomposerEEEEE10hipError_tT0_T1_T2_jT3_P12ihipStream_tbPNSt15iterator_traitsISG_E10value_typeEPNSM_ISH_E10value_typeEPSI_NS1_7vsmem_tEENKUlT_SG_SH_SI_E_clIS7_S7_PlSB_EESF_SV_SG_SH_SI_EUlSV_E0_NS1_11comp_targetILNS1_3genE4ELNS1_11target_archE910ELNS1_3gpuE8ELNS1_3repE0EEENS1_38merge_mergepath_config_static_selectorELNS0_4arch9wavefront6targetE1EEEvSH_,"axG",@progbits,_ZN7rocprim17ROCPRIM_400000_NS6detail17trampoline_kernelINS0_14default_configENS1_38merge_sort_block_merge_config_selectorIilEEZZNS1_27merge_sort_block_merge_implIS3_PiN6thrust23THRUST_200600_302600_NS10device_ptrIlEEjNS1_19radix_merge_compareILb0ELb0EiNS0_19identity_decomposerEEEEE10hipError_tT0_T1_T2_jT3_P12ihipStream_tbPNSt15iterator_traitsISG_E10value_typeEPNSM_ISH_E10value_typeEPSI_NS1_7vsmem_tEENKUlT_SG_SH_SI_E_clIS7_S7_PlSB_EESF_SV_SG_SH_SI_EUlSV_E0_NS1_11comp_targetILNS1_3genE4ELNS1_11target_archE910ELNS1_3gpuE8ELNS1_3repE0EEENS1_38merge_mergepath_config_static_selectorELNS0_4arch9wavefront6targetE1EEEvSH_,comdat
.Lfunc_end755:
	.size	_ZN7rocprim17ROCPRIM_400000_NS6detail17trampoline_kernelINS0_14default_configENS1_38merge_sort_block_merge_config_selectorIilEEZZNS1_27merge_sort_block_merge_implIS3_PiN6thrust23THRUST_200600_302600_NS10device_ptrIlEEjNS1_19radix_merge_compareILb0ELb0EiNS0_19identity_decomposerEEEEE10hipError_tT0_T1_T2_jT3_P12ihipStream_tbPNSt15iterator_traitsISG_E10value_typeEPNSM_ISH_E10value_typeEPSI_NS1_7vsmem_tEENKUlT_SG_SH_SI_E_clIS7_S7_PlSB_EESF_SV_SG_SH_SI_EUlSV_E0_NS1_11comp_targetILNS1_3genE4ELNS1_11target_archE910ELNS1_3gpuE8ELNS1_3repE0EEENS1_38merge_mergepath_config_static_selectorELNS0_4arch9wavefront6targetE1EEEvSH_, .Lfunc_end755-_ZN7rocprim17ROCPRIM_400000_NS6detail17trampoline_kernelINS0_14default_configENS1_38merge_sort_block_merge_config_selectorIilEEZZNS1_27merge_sort_block_merge_implIS3_PiN6thrust23THRUST_200600_302600_NS10device_ptrIlEEjNS1_19radix_merge_compareILb0ELb0EiNS0_19identity_decomposerEEEEE10hipError_tT0_T1_T2_jT3_P12ihipStream_tbPNSt15iterator_traitsISG_E10value_typeEPNSM_ISH_E10value_typeEPSI_NS1_7vsmem_tEENKUlT_SG_SH_SI_E_clIS7_S7_PlSB_EESF_SV_SG_SH_SI_EUlSV_E0_NS1_11comp_targetILNS1_3genE4ELNS1_11target_archE910ELNS1_3gpuE8ELNS1_3repE0EEENS1_38merge_mergepath_config_static_selectorELNS0_4arch9wavefront6targetE1EEEvSH_
                                        ; -- End function
	.section	.AMDGPU.csdata,"",@progbits
; Kernel info:
; codeLenInByte = 3312
; NumSgprs: 34
; NumVgprs: 35
; NumAgprs: 0
; TotalNumVgprs: 35
; ScratchSize: 0
; MemoryBound: 0
; FloatMode: 240
; IeeeMode: 1
; LDSByteSize: 8448 bytes/workgroup (compile time only)
; SGPRBlocks: 4
; VGPRBlocks: 4
; NumSGPRsForWavesPerEU: 34
; NumVGPRsForWavesPerEU: 35
; AccumOffset: 36
; Occupancy: 7
; WaveLimiterHint : 1
; COMPUTE_PGM_RSRC2:SCRATCH_EN: 0
; COMPUTE_PGM_RSRC2:USER_SGPR: 6
; COMPUTE_PGM_RSRC2:TRAP_HANDLER: 0
; COMPUTE_PGM_RSRC2:TGID_X_EN: 1
; COMPUTE_PGM_RSRC2:TGID_Y_EN: 1
; COMPUTE_PGM_RSRC2:TGID_Z_EN: 1
; COMPUTE_PGM_RSRC2:TIDIG_COMP_CNT: 0
; COMPUTE_PGM_RSRC3_GFX90A:ACCUM_OFFSET: 8
; COMPUTE_PGM_RSRC3_GFX90A:TG_SPLIT: 0
	.section	.text._ZN7rocprim17ROCPRIM_400000_NS6detail17trampoline_kernelINS0_14default_configENS1_38merge_sort_block_merge_config_selectorIilEEZZNS1_27merge_sort_block_merge_implIS3_PiN6thrust23THRUST_200600_302600_NS10device_ptrIlEEjNS1_19radix_merge_compareILb0ELb0EiNS0_19identity_decomposerEEEEE10hipError_tT0_T1_T2_jT3_P12ihipStream_tbPNSt15iterator_traitsISG_E10value_typeEPNSM_ISH_E10value_typeEPSI_NS1_7vsmem_tEENKUlT_SG_SH_SI_E_clIS7_S7_PlSB_EESF_SV_SG_SH_SI_EUlSV_E0_NS1_11comp_targetILNS1_3genE3ELNS1_11target_archE908ELNS1_3gpuE7ELNS1_3repE0EEENS1_38merge_mergepath_config_static_selectorELNS0_4arch9wavefront6targetE1EEEvSH_,"axG",@progbits,_ZN7rocprim17ROCPRIM_400000_NS6detail17trampoline_kernelINS0_14default_configENS1_38merge_sort_block_merge_config_selectorIilEEZZNS1_27merge_sort_block_merge_implIS3_PiN6thrust23THRUST_200600_302600_NS10device_ptrIlEEjNS1_19radix_merge_compareILb0ELb0EiNS0_19identity_decomposerEEEEE10hipError_tT0_T1_T2_jT3_P12ihipStream_tbPNSt15iterator_traitsISG_E10value_typeEPNSM_ISH_E10value_typeEPSI_NS1_7vsmem_tEENKUlT_SG_SH_SI_E_clIS7_S7_PlSB_EESF_SV_SG_SH_SI_EUlSV_E0_NS1_11comp_targetILNS1_3genE3ELNS1_11target_archE908ELNS1_3gpuE7ELNS1_3repE0EEENS1_38merge_mergepath_config_static_selectorELNS0_4arch9wavefront6targetE1EEEvSH_,comdat
	.protected	_ZN7rocprim17ROCPRIM_400000_NS6detail17trampoline_kernelINS0_14default_configENS1_38merge_sort_block_merge_config_selectorIilEEZZNS1_27merge_sort_block_merge_implIS3_PiN6thrust23THRUST_200600_302600_NS10device_ptrIlEEjNS1_19radix_merge_compareILb0ELb0EiNS0_19identity_decomposerEEEEE10hipError_tT0_T1_T2_jT3_P12ihipStream_tbPNSt15iterator_traitsISG_E10value_typeEPNSM_ISH_E10value_typeEPSI_NS1_7vsmem_tEENKUlT_SG_SH_SI_E_clIS7_S7_PlSB_EESF_SV_SG_SH_SI_EUlSV_E0_NS1_11comp_targetILNS1_3genE3ELNS1_11target_archE908ELNS1_3gpuE7ELNS1_3repE0EEENS1_38merge_mergepath_config_static_selectorELNS0_4arch9wavefront6targetE1EEEvSH_ ; -- Begin function _ZN7rocprim17ROCPRIM_400000_NS6detail17trampoline_kernelINS0_14default_configENS1_38merge_sort_block_merge_config_selectorIilEEZZNS1_27merge_sort_block_merge_implIS3_PiN6thrust23THRUST_200600_302600_NS10device_ptrIlEEjNS1_19radix_merge_compareILb0ELb0EiNS0_19identity_decomposerEEEEE10hipError_tT0_T1_T2_jT3_P12ihipStream_tbPNSt15iterator_traitsISG_E10value_typeEPNSM_ISH_E10value_typeEPSI_NS1_7vsmem_tEENKUlT_SG_SH_SI_E_clIS7_S7_PlSB_EESF_SV_SG_SH_SI_EUlSV_E0_NS1_11comp_targetILNS1_3genE3ELNS1_11target_archE908ELNS1_3gpuE7ELNS1_3repE0EEENS1_38merge_mergepath_config_static_selectorELNS0_4arch9wavefront6targetE1EEEvSH_
	.globl	_ZN7rocprim17ROCPRIM_400000_NS6detail17trampoline_kernelINS0_14default_configENS1_38merge_sort_block_merge_config_selectorIilEEZZNS1_27merge_sort_block_merge_implIS3_PiN6thrust23THRUST_200600_302600_NS10device_ptrIlEEjNS1_19radix_merge_compareILb0ELb0EiNS0_19identity_decomposerEEEEE10hipError_tT0_T1_T2_jT3_P12ihipStream_tbPNSt15iterator_traitsISG_E10value_typeEPNSM_ISH_E10value_typeEPSI_NS1_7vsmem_tEENKUlT_SG_SH_SI_E_clIS7_S7_PlSB_EESF_SV_SG_SH_SI_EUlSV_E0_NS1_11comp_targetILNS1_3genE3ELNS1_11target_archE908ELNS1_3gpuE7ELNS1_3repE0EEENS1_38merge_mergepath_config_static_selectorELNS0_4arch9wavefront6targetE1EEEvSH_
	.p2align	8
	.type	_ZN7rocprim17ROCPRIM_400000_NS6detail17trampoline_kernelINS0_14default_configENS1_38merge_sort_block_merge_config_selectorIilEEZZNS1_27merge_sort_block_merge_implIS3_PiN6thrust23THRUST_200600_302600_NS10device_ptrIlEEjNS1_19radix_merge_compareILb0ELb0EiNS0_19identity_decomposerEEEEE10hipError_tT0_T1_T2_jT3_P12ihipStream_tbPNSt15iterator_traitsISG_E10value_typeEPNSM_ISH_E10value_typeEPSI_NS1_7vsmem_tEENKUlT_SG_SH_SI_E_clIS7_S7_PlSB_EESF_SV_SG_SH_SI_EUlSV_E0_NS1_11comp_targetILNS1_3genE3ELNS1_11target_archE908ELNS1_3gpuE7ELNS1_3repE0EEENS1_38merge_mergepath_config_static_selectorELNS0_4arch9wavefront6targetE1EEEvSH_,@function
_ZN7rocprim17ROCPRIM_400000_NS6detail17trampoline_kernelINS0_14default_configENS1_38merge_sort_block_merge_config_selectorIilEEZZNS1_27merge_sort_block_merge_implIS3_PiN6thrust23THRUST_200600_302600_NS10device_ptrIlEEjNS1_19radix_merge_compareILb0ELb0EiNS0_19identity_decomposerEEEEE10hipError_tT0_T1_T2_jT3_P12ihipStream_tbPNSt15iterator_traitsISG_E10value_typeEPNSM_ISH_E10value_typeEPSI_NS1_7vsmem_tEENKUlT_SG_SH_SI_E_clIS7_S7_PlSB_EESF_SV_SG_SH_SI_EUlSV_E0_NS1_11comp_targetILNS1_3genE3ELNS1_11target_archE908ELNS1_3gpuE7ELNS1_3repE0EEENS1_38merge_mergepath_config_static_selectorELNS0_4arch9wavefront6targetE1EEEvSH_: ; @_ZN7rocprim17ROCPRIM_400000_NS6detail17trampoline_kernelINS0_14default_configENS1_38merge_sort_block_merge_config_selectorIilEEZZNS1_27merge_sort_block_merge_implIS3_PiN6thrust23THRUST_200600_302600_NS10device_ptrIlEEjNS1_19radix_merge_compareILb0ELb0EiNS0_19identity_decomposerEEEEE10hipError_tT0_T1_T2_jT3_P12ihipStream_tbPNSt15iterator_traitsISG_E10value_typeEPNSM_ISH_E10value_typeEPSI_NS1_7vsmem_tEENKUlT_SG_SH_SI_E_clIS7_S7_PlSB_EESF_SV_SG_SH_SI_EUlSV_E0_NS1_11comp_targetILNS1_3genE3ELNS1_11target_archE908ELNS1_3gpuE7ELNS1_3repE0EEENS1_38merge_mergepath_config_static_selectorELNS0_4arch9wavefront6targetE1EEEvSH_
; %bb.0:
	.section	.rodata,"a",@progbits
	.p2align	6, 0x0
	.amdhsa_kernel _ZN7rocprim17ROCPRIM_400000_NS6detail17trampoline_kernelINS0_14default_configENS1_38merge_sort_block_merge_config_selectorIilEEZZNS1_27merge_sort_block_merge_implIS3_PiN6thrust23THRUST_200600_302600_NS10device_ptrIlEEjNS1_19radix_merge_compareILb0ELb0EiNS0_19identity_decomposerEEEEE10hipError_tT0_T1_T2_jT3_P12ihipStream_tbPNSt15iterator_traitsISG_E10value_typeEPNSM_ISH_E10value_typeEPSI_NS1_7vsmem_tEENKUlT_SG_SH_SI_E_clIS7_S7_PlSB_EESF_SV_SG_SH_SI_EUlSV_E0_NS1_11comp_targetILNS1_3genE3ELNS1_11target_archE908ELNS1_3gpuE7ELNS1_3repE0EEENS1_38merge_mergepath_config_static_selectorELNS0_4arch9wavefront6targetE1EEEvSH_
		.amdhsa_group_segment_fixed_size 0
		.amdhsa_private_segment_fixed_size 0
		.amdhsa_kernarg_size 64
		.amdhsa_user_sgpr_count 6
		.amdhsa_user_sgpr_private_segment_buffer 1
		.amdhsa_user_sgpr_dispatch_ptr 0
		.amdhsa_user_sgpr_queue_ptr 0
		.amdhsa_user_sgpr_kernarg_segment_ptr 1
		.amdhsa_user_sgpr_dispatch_id 0
		.amdhsa_user_sgpr_flat_scratch_init 0
		.amdhsa_user_sgpr_kernarg_preload_length 0
		.amdhsa_user_sgpr_kernarg_preload_offset 0
		.amdhsa_user_sgpr_private_segment_size 0
		.amdhsa_uses_dynamic_stack 0
		.amdhsa_system_sgpr_private_segment_wavefront_offset 0
		.amdhsa_system_sgpr_workgroup_id_x 1
		.amdhsa_system_sgpr_workgroup_id_y 0
		.amdhsa_system_sgpr_workgroup_id_z 0
		.amdhsa_system_sgpr_workgroup_info 0
		.amdhsa_system_vgpr_workitem_id 0
		.amdhsa_next_free_vgpr 1
		.amdhsa_next_free_sgpr 0
		.amdhsa_accum_offset 4
		.amdhsa_reserve_vcc 0
		.amdhsa_reserve_flat_scratch 0
		.amdhsa_float_round_mode_32 0
		.amdhsa_float_round_mode_16_64 0
		.amdhsa_float_denorm_mode_32 3
		.amdhsa_float_denorm_mode_16_64 3
		.amdhsa_dx10_clamp 1
		.amdhsa_ieee_mode 1
		.amdhsa_fp16_overflow 0
		.amdhsa_tg_split 0
		.amdhsa_exception_fp_ieee_invalid_op 0
		.amdhsa_exception_fp_denorm_src 0
		.amdhsa_exception_fp_ieee_div_zero 0
		.amdhsa_exception_fp_ieee_overflow 0
		.amdhsa_exception_fp_ieee_underflow 0
		.amdhsa_exception_fp_ieee_inexact 0
		.amdhsa_exception_int_div_zero 0
	.end_amdhsa_kernel
	.section	.text._ZN7rocprim17ROCPRIM_400000_NS6detail17trampoline_kernelINS0_14default_configENS1_38merge_sort_block_merge_config_selectorIilEEZZNS1_27merge_sort_block_merge_implIS3_PiN6thrust23THRUST_200600_302600_NS10device_ptrIlEEjNS1_19radix_merge_compareILb0ELb0EiNS0_19identity_decomposerEEEEE10hipError_tT0_T1_T2_jT3_P12ihipStream_tbPNSt15iterator_traitsISG_E10value_typeEPNSM_ISH_E10value_typeEPSI_NS1_7vsmem_tEENKUlT_SG_SH_SI_E_clIS7_S7_PlSB_EESF_SV_SG_SH_SI_EUlSV_E0_NS1_11comp_targetILNS1_3genE3ELNS1_11target_archE908ELNS1_3gpuE7ELNS1_3repE0EEENS1_38merge_mergepath_config_static_selectorELNS0_4arch9wavefront6targetE1EEEvSH_,"axG",@progbits,_ZN7rocprim17ROCPRIM_400000_NS6detail17trampoline_kernelINS0_14default_configENS1_38merge_sort_block_merge_config_selectorIilEEZZNS1_27merge_sort_block_merge_implIS3_PiN6thrust23THRUST_200600_302600_NS10device_ptrIlEEjNS1_19radix_merge_compareILb0ELb0EiNS0_19identity_decomposerEEEEE10hipError_tT0_T1_T2_jT3_P12ihipStream_tbPNSt15iterator_traitsISG_E10value_typeEPNSM_ISH_E10value_typeEPSI_NS1_7vsmem_tEENKUlT_SG_SH_SI_E_clIS7_S7_PlSB_EESF_SV_SG_SH_SI_EUlSV_E0_NS1_11comp_targetILNS1_3genE3ELNS1_11target_archE908ELNS1_3gpuE7ELNS1_3repE0EEENS1_38merge_mergepath_config_static_selectorELNS0_4arch9wavefront6targetE1EEEvSH_,comdat
.Lfunc_end756:
	.size	_ZN7rocprim17ROCPRIM_400000_NS6detail17trampoline_kernelINS0_14default_configENS1_38merge_sort_block_merge_config_selectorIilEEZZNS1_27merge_sort_block_merge_implIS3_PiN6thrust23THRUST_200600_302600_NS10device_ptrIlEEjNS1_19radix_merge_compareILb0ELb0EiNS0_19identity_decomposerEEEEE10hipError_tT0_T1_T2_jT3_P12ihipStream_tbPNSt15iterator_traitsISG_E10value_typeEPNSM_ISH_E10value_typeEPSI_NS1_7vsmem_tEENKUlT_SG_SH_SI_E_clIS7_S7_PlSB_EESF_SV_SG_SH_SI_EUlSV_E0_NS1_11comp_targetILNS1_3genE3ELNS1_11target_archE908ELNS1_3gpuE7ELNS1_3repE0EEENS1_38merge_mergepath_config_static_selectorELNS0_4arch9wavefront6targetE1EEEvSH_, .Lfunc_end756-_ZN7rocprim17ROCPRIM_400000_NS6detail17trampoline_kernelINS0_14default_configENS1_38merge_sort_block_merge_config_selectorIilEEZZNS1_27merge_sort_block_merge_implIS3_PiN6thrust23THRUST_200600_302600_NS10device_ptrIlEEjNS1_19radix_merge_compareILb0ELb0EiNS0_19identity_decomposerEEEEE10hipError_tT0_T1_T2_jT3_P12ihipStream_tbPNSt15iterator_traitsISG_E10value_typeEPNSM_ISH_E10value_typeEPSI_NS1_7vsmem_tEENKUlT_SG_SH_SI_E_clIS7_S7_PlSB_EESF_SV_SG_SH_SI_EUlSV_E0_NS1_11comp_targetILNS1_3genE3ELNS1_11target_archE908ELNS1_3gpuE7ELNS1_3repE0EEENS1_38merge_mergepath_config_static_selectorELNS0_4arch9wavefront6targetE1EEEvSH_
                                        ; -- End function
	.section	.AMDGPU.csdata,"",@progbits
; Kernel info:
; codeLenInByte = 0
; NumSgprs: 4
; NumVgprs: 0
; NumAgprs: 0
; TotalNumVgprs: 0
; ScratchSize: 0
; MemoryBound: 0
; FloatMode: 240
; IeeeMode: 1
; LDSByteSize: 0 bytes/workgroup (compile time only)
; SGPRBlocks: 0
; VGPRBlocks: 0
; NumSGPRsForWavesPerEU: 4
; NumVGPRsForWavesPerEU: 1
; AccumOffset: 4
; Occupancy: 8
; WaveLimiterHint : 0
; COMPUTE_PGM_RSRC2:SCRATCH_EN: 0
; COMPUTE_PGM_RSRC2:USER_SGPR: 6
; COMPUTE_PGM_RSRC2:TRAP_HANDLER: 0
; COMPUTE_PGM_RSRC2:TGID_X_EN: 1
; COMPUTE_PGM_RSRC2:TGID_Y_EN: 0
; COMPUTE_PGM_RSRC2:TGID_Z_EN: 0
; COMPUTE_PGM_RSRC2:TIDIG_COMP_CNT: 0
; COMPUTE_PGM_RSRC3_GFX90A:ACCUM_OFFSET: 0
; COMPUTE_PGM_RSRC3_GFX90A:TG_SPLIT: 0
	.section	.text._ZN7rocprim17ROCPRIM_400000_NS6detail17trampoline_kernelINS0_14default_configENS1_38merge_sort_block_merge_config_selectorIilEEZZNS1_27merge_sort_block_merge_implIS3_PiN6thrust23THRUST_200600_302600_NS10device_ptrIlEEjNS1_19radix_merge_compareILb0ELb0EiNS0_19identity_decomposerEEEEE10hipError_tT0_T1_T2_jT3_P12ihipStream_tbPNSt15iterator_traitsISG_E10value_typeEPNSM_ISH_E10value_typeEPSI_NS1_7vsmem_tEENKUlT_SG_SH_SI_E_clIS7_S7_PlSB_EESF_SV_SG_SH_SI_EUlSV_E0_NS1_11comp_targetILNS1_3genE2ELNS1_11target_archE906ELNS1_3gpuE6ELNS1_3repE0EEENS1_38merge_mergepath_config_static_selectorELNS0_4arch9wavefront6targetE1EEEvSH_,"axG",@progbits,_ZN7rocprim17ROCPRIM_400000_NS6detail17trampoline_kernelINS0_14default_configENS1_38merge_sort_block_merge_config_selectorIilEEZZNS1_27merge_sort_block_merge_implIS3_PiN6thrust23THRUST_200600_302600_NS10device_ptrIlEEjNS1_19radix_merge_compareILb0ELb0EiNS0_19identity_decomposerEEEEE10hipError_tT0_T1_T2_jT3_P12ihipStream_tbPNSt15iterator_traitsISG_E10value_typeEPNSM_ISH_E10value_typeEPSI_NS1_7vsmem_tEENKUlT_SG_SH_SI_E_clIS7_S7_PlSB_EESF_SV_SG_SH_SI_EUlSV_E0_NS1_11comp_targetILNS1_3genE2ELNS1_11target_archE906ELNS1_3gpuE6ELNS1_3repE0EEENS1_38merge_mergepath_config_static_selectorELNS0_4arch9wavefront6targetE1EEEvSH_,comdat
	.protected	_ZN7rocprim17ROCPRIM_400000_NS6detail17trampoline_kernelINS0_14default_configENS1_38merge_sort_block_merge_config_selectorIilEEZZNS1_27merge_sort_block_merge_implIS3_PiN6thrust23THRUST_200600_302600_NS10device_ptrIlEEjNS1_19radix_merge_compareILb0ELb0EiNS0_19identity_decomposerEEEEE10hipError_tT0_T1_T2_jT3_P12ihipStream_tbPNSt15iterator_traitsISG_E10value_typeEPNSM_ISH_E10value_typeEPSI_NS1_7vsmem_tEENKUlT_SG_SH_SI_E_clIS7_S7_PlSB_EESF_SV_SG_SH_SI_EUlSV_E0_NS1_11comp_targetILNS1_3genE2ELNS1_11target_archE906ELNS1_3gpuE6ELNS1_3repE0EEENS1_38merge_mergepath_config_static_selectorELNS0_4arch9wavefront6targetE1EEEvSH_ ; -- Begin function _ZN7rocprim17ROCPRIM_400000_NS6detail17trampoline_kernelINS0_14default_configENS1_38merge_sort_block_merge_config_selectorIilEEZZNS1_27merge_sort_block_merge_implIS3_PiN6thrust23THRUST_200600_302600_NS10device_ptrIlEEjNS1_19radix_merge_compareILb0ELb0EiNS0_19identity_decomposerEEEEE10hipError_tT0_T1_T2_jT3_P12ihipStream_tbPNSt15iterator_traitsISG_E10value_typeEPNSM_ISH_E10value_typeEPSI_NS1_7vsmem_tEENKUlT_SG_SH_SI_E_clIS7_S7_PlSB_EESF_SV_SG_SH_SI_EUlSV_E0_NS1_11comp_targetILNS1_3genE2ELNS1_11target_archE906ELNS1_3gpuE6ELNS1_3repE0EEENS1_38merge_mergepath_config_static_selectorELNS0_4arch9wavefront6targetE1EEEvSH_
	.globl	_ZN7rocprim17ROCPRIM_400000_NS6detail17trampoline_kernelINS0_14default_configENS1_38merge_sort_block_merge_config_selectorIilEEZZNS1_27merge_sort_block_merge_implIS3_PiN6thrust23THRUST_200600_302600_NS10device_ptrIlEEjNS1_19radix_merge_compareILb0ELb0EiNS0_19identity_decomposerEEEEE10hipError_tT0_T1_T2_jT3_P12ihipStream_tbPNSt15iterator_traitsISG_E10value_typeEPNSM_ISH_E10value_typeEPSI_NS1_7vsmem_tEENKUlT_SG_SH_SI_E_clIS7_S7_PlSB_EESF_SV_SG_SH_SI_EUlSV_E0_NS1_11comp_targetILNS1_3genE2ELNS1_11target_archE906ELNS1_3gpuE6ELNS1_3repE0EEENS1_38merge_mergepath_config_static_selectorELNS0_4arch9wavefront6targetE1EEEvSH_
	.p2align	8
	.type	_ZN7rocprim17ROCPRIM_400000_NS6detail17trampoline_kernelINS0_14default_configENS1_38merge_sort_block_merge_config_selectorIilEEZZNS1_27merge_sort_block_merge_implIS3_PiN6thrust23THRUST_200600_302600_NS10device_ptrIlEEjNS1_19radix_merge_compareILb0ELb0EiNS0_19identity_decomposerEEEEE10hipError_tT0_T1_T2_jT3_P12ihipStream_tbPNSt15iterator_traitsISG_E10value_typeEPNSM_ISH_E10value_typeEPSI_NS1_7vsmem_tEENKUlT_SG_SH_SI_E_clIS7_S7_PlSB_EESF_SV_SG_SH_SI_EUlSV_E0_NS1_11comp_targetILNS1_3genE2ELNS1_11target_archE906ELNS1_3gpuE6ELNS1_3repE0EEENS1_38merge_mergepath_config_static_selectorELNS0_4arch9wavefront6targetE1EEEvSH_,@function
_ZN7rocprim17ROCPRIM_400000_NS6detail17trampoline_kernelINS0_14default_configENS1_38merge_sort_block_merge_config_selectorIilEEZZNS1_27merge_sort_block_merge_implIS3_PiN6thrust23THRUST_200600_302600_NS10device_ptrIlEEjNS1_19radix_merge_compareILb0ELb0EiNS0_19identity_decomposerEEEEE10hipError_tT0_T1_T2_jT3_P12ihipStream_tbPNSt15iterator_traitsISG_E10value_typeEPNSM_ISH_E10value_typeEPSI_NS1_7vsmem_tEENKUlT_SG_SH_SI_E_clIS7_S7_PlSB_EESF_SV_SG_SH_SI_EUlSV_E0_NS1_11comp_targetILNS1_3genE2ELNS1_11target_archE906ELNS1_3gpuE6ELNS1_3repE0EEENS1_38merge_mergepath_config_static_selectorELNS0_4arch9wavefront6targetE1EEEvSH_: ; @_ZN7rocprim17ROCPRIM_400000_NS6detail17trampoline_kernelINS0_14default_configENS1_38merge_sort_block_merge_config_selectorIilEEZZNS1_27merge_sort_block_merge_implIS3_PiN6thrust23THRUST_200600_302600_NS10device_ptrIlEEjNS1_19radix_merge_compareILb0ELb0EiNS0_19identity_decomposerEEEEE10hipError_tT0_T1_T2_jT3_P12ihipStream_tbPNSt15iterator_traitsISG_E10value_typeEPNSM_ISH_E10value_typeEPSI_NS1_7vsmem_tEENKUlT_SG_SH_SI_E_clIS7_S7_PlSB_EESF_SV_SG_SH_SI_EUlSV_E0_NS1_11comp_targetILNS1_3genE2ELNS1_11target_archE906ELNS1_3gpuE6ELNS1_3repE0EEENS1_38merge_mergepath_config_static_selectorELNS0_4arch9wavefront6targetE1EEEvSH_
; %bb.0:
	.section	.rodata,"a",@progbits
	.p2align	6, 0x0
	.amdhsa_kernel _ZN7rocprim17ROCPRIM_400000_NS6detail17trampoline_kernelINS0_14default_configENS1_38merge_sort_block_merge_config_selectorIilEEZZNS1_27merge_sort_block_merge_implIS3_PiN6thrust23THRUST_200600_302600_NS10device_ptrIlEEjNS1_19radix_merge_compareILb0ELb0EiNS0_19identity_decomposerEEEEE10hipError_tT0_T1_T2_jT3_P12ihipStream_tbPNSt15iterator_traitsISG_E10value_typeEPNSM_ISH_E10value_typeEPSI_NS1_7vsmem_tEENKUlT_SG_SH_SI_E_clIS7_S7_PlSB_EESF_SV_SG_SH_SI_EUlSV_E0_NS1_11comp_targetILNS1_3genE2ELNS1_11target_archE906ELNS1_3gpuE6ELNS1_3repE0EEENS1_38merge_mergepath_config_static_selectorELNS0_4arch9wavefront6targetE1EEEvSH_
		.amdhsa_group_segment_fixed_size 0
		.amdhsa_private_segment_fixed_size 0
		.amdhsa_kernarg_size 64
		.amdhsa_user_sgpr_count 6
		.amdhsa_user_sgpr_private_segment_buffer 1
		.amdhsa_user_sgpr_dispatch_ptr 0
		.amdhsa_user_sgpr_queue_ptr 0
		.amdhsa_user_sgpr_kernarg_segment_ptr 1
		.amdhsa_user_sgpr_dispatch_id 0
		.amdhsa_user_sgpr_flat_scratch_init 0
		.amdhsa_user_sgpr_kernarg_preload_length 0
		.amdhsa_user_sgpr_kernarg_preload_offset 0
		.amdhsa_user_sgpr_private_segment_size 0
		.amdhsa_uses_dynamic_stack 0
		.amdhsa_system_sgpr_private_segment_wavefront_offset 0
		.amdhsa_system_sgpr_workgroup_id_x 1
		.amdhsa_system_sgpr_workgroup_id_y 0
		.amdhsa_system_sgpr_workgroup_id_z 0
		.amdhsa_system_sgpr_workgroup_info 0
		.amdhsa_system_vgpr_workitem_id 0
		.amdhsa_next_free_vgpr 1
		.amdhsa_next_free_sgpr 0
		.amdhsa_accum_offset 4
		.amdhsa_reserve_vcc 0
		.amdhsa_reserve_flat_scratch 0
		.amdhsa_float_round_mode_32 0
		.amdhsa_float_round_mode_16_64 0
		.amdhsa_float_denorm_mode_32 3
		.amdhsa_float_denorm_mode_16_64 3
		.amdhsa_dx10_clamp 1
		.amdhsa_ieee_mode 1
		.amdhsa_fp16_overflow 0
		.amdhsa_tg_split 0
		.amdhsa_exception_fp_ieee_invalid_op 0
		.amdhsa_exception_fp_denorm_src 0
		.amdhsa_exception_fp_ieee_div_zero 0
		.amdhsa_exception_fp_ieee_overflow 0
		.amdhsa_exception_fp_ieee_underflow 0
		.amdhsa_exception_fp_ieee_inexact 0
		.amdhsa_exception_int_div_zero 0
	.end_amdhsa_kernel
	.section	.text._ZN7rocprim17ROCPRIM_400000_NS6detail17trampoline_kernelINS0_14default_configENS1_38merge_sort_block_merge_config_selectorIilEEZZNS1_27merge_sort_block_merge_implIS3_PiN6thrust23THRUST_200600_302600_NS10device_ptrIlEEjNS1_19radix_merge_compareILb0ELb0EiNS0_19identity_decomposerEEEEE10hipError_tT0_T1_T2_jT3_P12ihipStream_tbPNSt15iterator_traitsISG_E10value_typeEPNSM_ISH_E10value_typeEPSI_NS1_7vsmem_tEENKUlT_SG_SH_SI_E_clIS7_S7_PlSB_EESF_SV_SG_SH_SI_EUlSV_E0_NS1_11comp_targetILNS1_3genE2ELNS1_11target_archE906ELNS1_3gpuE6ELNS1_3repE0EEENS1_38merge_mergepath_config_static_selectorELNS0_4arch9wavefront6targetE1EEEvSH_,"axG",@progbits,_ZN7rocprim17ROCPRIM_400000_NS6detail17trampoline_kernelINS0_14default_configENS1_38merge_sort_block_merge_config_selectorIilEEZZNS1_27merge_sort_block_merge_implIS3_PiN6thrust23THRUST_200600_302600_NS10device_ptrIlEEjNS1_19radix_merge_compareILb0ELb0EiNS0_19identity_decomposerEEEEE10hipError_tT0_T1_T2_jT3_P12ihipStream_tbPNSt15iterator_traitsISG_E10value_typeEPNSM_ISH_E10value_typeEPSI_NS1_7vsmem_tEENKUlT_SG_SH_SI_E_clIS7_S7_PlSB_EESF_SV_SG_SH_SI_EUlSV_E0_NS1_11comp_targetILNS1_3genE2ELNS1_11target_archE906ELNS1_3gpuE6ELNS1_3repE0EEENS1_38merge_mergepath_config_static_selectorELNS0_4arch9wavefront6targetE1EEEvSH_,comdat
.Lfunc_end757:
	.size	_ZN7rocprim17ROCPRIM_400000_NS6detail17trampoline_kernelINS0_14default_configENS1_38merge_sort_block_merge_config_selectorIilEEZZNS1_27merge_sort_block_merge_implIS3_PiN6thrust23THRUST_200600_302600_NS10device_ptrIlEEjNS1_19radix_merge_compareILb0ELb0EiNS0_19identity_decomposerEEEEE10hipError_tT0_T1_T2_jT3_P12ihipStream_tbPNSt15iterator_traitsISG_E10value_typeEPNSM_ISH_E10value_typeEPSI_NS1_7vsmem_tEENKUlT_SG_SH_SI_E_clIS7_S7_PlSB_EESF_SV_SG_SH_SI_EUlSV_E0_NS1_11comp_targetILNS1_3genE2ELNS1_11target_archE906ELNS1_3gpuE6ELNS1_3repE0EEENS1_38merge_mergepath_config_static_selectorELNS0_4arch9wavefront6targetE1EEEvSH_, .Lfunc_end757-_ZN7rocprim17ROCPRIM_400000_NS6detail17trampoline_kernelINS0_14default_configENS1_38merge_sort_block_merge_config_selectorIilEEZZNS1_27merge_sort_block_merge_implIS3_PiN6thrust23THRUST_200600_302600_NS10device_ptrIlEEjNS1_19radix_merge_compareILb0ELb0EiNS0_19identity_decomposerEEEEE10hipError_tT0_T1_T2_jT3_P12ihipStream_tbPNSt15iterator_traitsISG_E10value_typeEPNSM_ISH_E10value_typeEPSI_NS1_7vsmem_tEENKUlT_SG_SH_SI_E_clIS7_S7_PlSB_EESF_SV_SG_SH_SI_EUlSV_E0_NS1_11comp_targetILNS1_3genE2ELNS1_11target_archE906ELNS1_3gpuE6ELNS1_3repE0EEENS1_38merge_mergepath_config_static_selectorELNS0_4arch9wavefront6targetE1EEEvSH_
                                        ; -- End function
	.section	.AMDGPU.csdata,"",@progbits
; Kernel info:
; codeLenInByte = 0
; NumSgprs: 4
; NumVgprs: 0
; NumAgprs: 0
; TotalNumVgprs: 0
; ScratchSize: 0
; MemoryBound: 0
; FloatMode: 240
; IeeeMode: 1
; LDSByteSize: 0 bytes/workgroup (compile time only)
; SGPRBlocks: 0
; VGPRBlocks: 0
; NumSGPRsForWavesPerEU: 4
; NumVGPRsForWavesPerEU: 1
; AccumOffset: 4
; Occupancy: 8
; WaveLimiterHint : 0
; COMPUTE_PGM_RSRC2:SCRATCH_EN: 0
; COMPUTE_PGM_RSRC2:USER_SGPR: 6
; COMPUTE_PGM_RSRC2:TRAP_HANDLER: 0
; COMPUTE_PGM_RSRC2:TGID_X_EN: 1
; COMPUTE_PGM_RSRC2:TGID_Y_EN: 0
; COMPUTE_PGM_RSRC2:TGID_Z_EN: 0
; COMPUTE_PGM_RSRC2:TIDIG_COMP_CNT: 0
; COMPUTE_PGM_RSRC3_GFX90A:ACCUM_OFFSET: 0
; COMPUTE_PGM_RSRC3_GFX90A:TG_SPLIT: 0
	.section	.text._ZN7rocprim17ROCPRIM_400000_NS6detail17trampoline_kernelINS0_14default_configENS1_38merge_sort_block_merge_config_selectorIilEEZZNS1_27merge_sort_block_merge_implIS3_PiN6thrust23THRUST_200600_302600_NS10device_ptrIlEEjNS1_19radix_merge_compareILb0ELb0EiNS0_19identity_decomposerEEEEE10hipError_tT0_T1_T2_jT3_P12ihipStream_tbPNSt15iterator_traitsISG_E10value_typeEPNSM_ISH_E10value_typeEPSI_NS1_7vsmem_tEENKUlT_SG_SH_SI_E_clIS7_S7_PlSB_EESF_SV_SG_SH_SI_EUlSV_E0_NS1_11comp_targetILNS1_3genE9ELNS1_11target_archE1100ELNS1_3gpuE3ELNS1_3repE0EEENS1_38merge_mergepath_config_static_selectorELNS0_4arch9wavefront6targetE1EEEvSH_,"axG",@progbits,_ZN7rocprim17ROCPRIM_400000_NS6detail17trampoline_kernelINS0_14default_configENS1_38merge_sort_block_merge_config_selectorIilEEZZNS1_27merge_sort_block_merge_implIS3_PiN6thrust23THRUST_200600_302600_NS10device_ptrIlEEjNS1_19radix_merge_compareILb0ELb0EiNS0_19identity_decomposerEEEEE10hipError_tT0_T1_T2_jT3_P12ihipStream_tbPNSt15iterator_traitsISG_E10value_typeEPNSM_ISH_E10value_typeEPSI_NS1_7vsmem_tEENKUlT_SG_SH_SI_E_clIS7_S7_PlSB_EESF_SV_SG_SH_SI_EUlSV_E0_NS1_11comp_targetILNS1_3genE9ELNS1_11target_archE1100ELNS1_3gpuE3ELNS1_3repE0EEENS1_38merge_mergepath_config_static_selectorELNS0_4arch9wavefront6targetE1EEEvSH_,comdat
	.protected	_ZN7rocprim17ROCPRIM_400000_NS6detail17trampoline_kernelINS0_14default_configENS1_38merge_sort_block_merge_config_selectorIilEEZZNS1_27merge_sort_block_merge_implIS3_PiN6thrust23THRUST_200600_302600_NS10device_ptrIlEEjNS1_19radix_merge_compareILb0ELb0EiNS0_19identity_decomposerEEEEE10hipError_tT0_T1_T2_jT3_P12ihipStream_tbPNSt15iterator_traitsISG_E10value_typeEPNSM_ISH_E10value_typeEPSI_NS1_7vsmem_tEENKUlT_SG_SH_SI_E_clIS7_S7_PlSB_EESF_SV_SG_SH_SI_EUlSV_E0_NS1_11comp_targetILNS1_3genE9ELNS1_11target_archE1100ELNS1_3gpuE3ELNS1_3repE0EEENS1_38merge_mergepath_config_static_selectorELNS0_4arch9wavefront6targetE1EEEvSH_ ; -- Begin function _ZN7rocprim17ROCPRIM_400000_NS6detail17trampoline_kernelINS0_14default_configENS1_38merge_sort_block_merge_config_selectorIilEEZZNS1_27merge_sort_block_merge_implIS3_PiN6thrust23THRUST_200600_302600_NS10device_ptrIlEEjNS1_19radix_merge_compareILb0ELb0EiNS0_19identity_decomposerEEEEE10hipError_tT0_T1_T2_jT3_P12ihipStream_tbPNSt15iterator_traitsISG_E10value_typeEPNSM_ISH_E10value_typeEPSI_NS1_7vsmem_tEENKUlT_SG_SH_SI_E_clIS7_S7_PlSB_EESF_SV_SG_SH_SI_EUlSV_E0_NS1_11comp_targetILNS1_3genE9ELNS1_11target_archE1100ELNS1_3gpuE3ELNS1_3repE0EEENS1_38merge_mergepath_config_static_selectorELNS0_4arch9wavefront6targetE1EEEvSH_
	.globl	_ZN7rocprim17ROCPRIM_400000_NS6detail17trampoline_kernelINS0_14default_configENS1_38merge_sort_block_merge_config_selectorIilEEZZNS1_27merge_sort_block_merge_implIS3_PiN6thrust23THRUST_200600_302600_NS10device_ptrIlEEjNS1_19radix_merge_compareILb0ELb0EiNS0_19identity_decomposerEEEEE10hipError_tT0_T1_T2_jT3_P12ihipStream_tbPNSt15iterator_traitsISG_E10value_typeEPNSM_ISH_E10value_typeEPSI_NS1_7vsmem_tEENKUlT_SG_SH_SI_E_clIS7_S7_PlSB_EESF_SV_SG_SH_SI_EUlSV_E0_NS1_11comp_targetILNS1_3genE9ELNS1_11target_archE1100ELNS1_3gpuE3ELNS1_3repE0EEENS1_38merge_mergepath_config_static_selectorELNS0_4arch9wavefront6targetE1EEEvSH_
	.p2align	8
	.type	_ZN7rocprim17ROCPRIM_400000_NS6detail17trampoline_kernelINS0_14default_configENS1_38merge_sort_block_merge_config_selectorIilEEZZNS1_27merge_sort_block_merge_implIS3_PiN6thrust23THRUST_200600_302600_NS10device_ptrIlEEjNS1_19radix_merge_compareILb0ELb0EiNS0_19identity_decomposerEEEEE10hipError_tT0_T1_T2_jT3_P12ihipStream_tbPNSt15iterator_traitsISG_E10value_typeEPNSM_ISH_E10value_typeEPSI_NS1_7vsmem_tEENKUlT_SG_SH_SI_E_clIS7_S7_PlSB_EESF_SV_SG_SH_SI_EUlSV_E0_NS1_11comp_targetILNS1_3genE9ELNS1_11target_archE1100ELNS1_3gpuE3ELNS1_3repE0EEENS1_38merge_mergepath_config_static_selectorELNS0_4arch9wavefront6targetE1EEEvSH_,@function
_ZN7rocprim17ROCPRIM_400000_NS6detail17trampoline_kernelINS0_14default_configENS1_38merge_sort_block_merge_config_selectorIilEEZZNS1_27merge_sort_block_merge_implIS3_PiN6thrust23THRUST_200600_302600_NS10device_ptrIlEEjNS1_19radix_merge_compareILb0ELb0EiNS0_19identity_decomposerEEEEE10hipError_tT0_T1_T2_jT3_P12ihipStream_tbPNSt15iterator_traitsISG_E10value_typeEPNSM_ISH_E10value_typeEPSI_NS1_7vsmem_tEENKUlT_SG_SH_SI_E_clIS7_S7_PlSB_EESF_SV_SG_SH_SI_EUlSV_E0_NS1_11comp_targetILNS1_3genE9ELNS1_11target_archE1100ELNS1_3gpuE3ELNS1_3repE0EEENS1_38merge_mergepath_config_static_selectorELNS0_4arch9wavefront6targetE1EEEvSH_: ; @_ZN7rocprim17ROCPRIM_400000_NS6detail17trampoline_kernelINS0_14default_configENS1_38merge_sort_block_merge_config_selectorIilEEZZNS1_27merge_sort_block_merge_implIS3_PiN6thrust23THRUST_200600_302600_NS10device_ptrIlEEjNS1_19radix_merge_compareILb0ELb0EiNS0_19identity_decomposerEEEEE10hipError_tT0_T1_T2_jT3_P12ihipStream_tbPNSt15iterator_traitsISG_E10value_typeEPNSM_ISH_E10value_typeEPSI_NS1_7vsmem_tEENKUlT_SG_SH_SI_E_clIS7_S7_PlSB_EESF_SV_SG_SH_SI_EUlSV_E0_NS1_11comp_targetILNS1_3genE9ELNS1_11target_archE1100ELNS1_3gpuE3ELNS1_3repE0EEENS1_38merge_mergepath_config_static_selectorELNS0_4arch9wavefront6targetE1EEEvSH_
; %bb.0:
	.section	.rodata,"a",@progbits
	.p2align	6, 0x0
	.amdhsa_kernel _ZN7rocprim17ROCPRIM_400000_NS6detail17trampoline_kernelINS0_14default_configENS1_38merge_sort_block_merge_config_selectorIilEEZZNS1_27merge_sort_block_merge_implIS3_PiN6thrust23THRUST_200600_302600_NS10device_ptrIlEEjNS1_19radix_merge_compareILb0ELb0EiNS0_19identity_decomposerEEEEE10hipError_tT0_T1_T2_jT3_P12ihipStream_tbPNSt15iterator_traitsISG_E10value_typeEPNSM_ISH_E10value_typeEPSI_NS1_7vsmem_tEENKUlT_SG_SH_SI_E_clIS7_S7_PlSB_EESF_SV_SG_SH_SI_EUlSV_E0_NS1_11comp_targetILNS1_3genE9ELNS1_11target_archE1100ELNS1_3gpuE3ELNS1_3repE0EEENS1_38merge_mergepath_config_static_selectorELNS0_4arch9wavefront6targetE1EEEvSH_
		.amdhsa_group_segment_fixed_size 0
		.amdhsa_private_segment_fixed_size 0
		.amdhsa_kernarg_size 64
		.amdhsa_user_sgpr_count 6
		.amdhsa_user_sgpr_private_segment_buffer 1
		.amdhsa_user_sgpr_dispatch_ptr 0
		.amdhsa_user_sgpr_queue_ptr 0
		.amdhsa_user_sgpr_kernarg_segment_ptr 1
		.amdhsa_user_sgpr_dispatch_id 0
		.amdhsa_user_sgpr_flat_scratch_init 0
		.amdhsa_user_sgpr_kernarg_preload_length 0
		.amdhsa_user_sgpr_kernarg_preload_offset 0
		.amdhsa_user_sgpr_private_segment_size 0
		.amdhsa_uses_dynamic_stack 0
		.amdhsa_system_sgpr_private_segment_wavefront_offset 0
		.amdhsa_system_sgpr_workgroup_id_x 1
		.amdhsa_system_sgpr_workgroup_id_y 0
		.amdhsa_system_sgpr_workgroup_id_z 0
		.amdhsa_system_sgpr_workgroup_info 0
		.amdhsa_system_vgpr_workitem_id 0
		.amdhsa_next_free_vgpr 1
		.amdhsa_next_free_sgpr 0
		.amdhsa_accum_offset 4
		.amdhsa_reserve_vcc 0
		.amdhsa_reserve_flat_scratch 0
		.amdhsa_float_round_mode_32 0
		.amdhsa_float_round_mode_16_64 0
		.amdhsa_float_denorm_mode_32 3
		.amdhsa_float_denorm_mode_16_64 3
		.amdhsa_dx10_clamp 1
		.amdhsa_ieee_mode 1
		.amdhsa_fp16_overflow 0
		.amdhsa_tg_split 0
		.amdhsa_exception_fp_ieee_invalid_op 0
		.amdhsa_exception_fp_denorm_src 0
		.amdhsa_exception_fp_ieee_div_zero 0
		.amdhsa_exception_fp_ieee_overflow 0
		.amdhsa_exception_fp_ieee_underflow 0
		.amdhsa_exception_fp_ieee_inexact 0
		.amdhsa_exception_int_div_zero 0
	.end_amdhsa_kernel
	.section	.text._ZN7rocprim17ROCPRIM_400000_NS6detail17trampoline_kernelINS0_14default_configENS1_38merge_sort_block_merge_config_selectorIilEEZZNS1_27merge_sort_block_merge_implIS3_PiN6thrust23THRUST_200600_302600_NS10device_ptrIlEEjNS1_19radix_merge_compareILb0ELb0EiNS0_19identity_decomposerEEEEE10hipError_tT0_T1_T2_jT3_P12ihipStream_tbPNSt15iterator_traitsISG_E10value_typeEPNSM_ISH_E10value_typeEPSI_NS1_7vsmem_tEENKUlT_SG_SH_SI_E_clIS7_S7_PlSB_EESF_SV_SG_SH_SI_EUlSV_E0_NS1_11comp_targetILNS1_3genE9ELNS1_11target_archE1100ELNS1_3gpuE3ELNS1_3repE0EEENS1_38merge_mergepath_config_static_selectorELNS0_4arch9wavefront6targetE1EEEvSH_,"axG",@progbits,_ZN7rocprim17ROCPRIM_400000_NS6detail17trampoline_kernelINS0_14default_configENS1_38merge_sort_block_merge_config_selectorIilEEZZNS1_27merge_sort_block_merge_implIS3_PiN6thrust23THRUST_200600_302600_NS10device_ptrIlEEjNS1_19radix_merge_compareILb0ELb0EiNS0_19identity_decomposerEEEEE10hipError_tT0_T1_T2_jT3_P12ihipStream_tbPNSt15iterator_traitsISG_E10value_typeEPNSM_ISH_E10value_typeEPSI_NS1_7vsmem_tEENKUlT_SG_SH_SI_E_clIS7_S7_PlSB_EESF_SV_SG_SH_SI_EUlSV_E0_NS1_11comp_targetILNS1_3genE9ELNS1_11target_archE1100ELNS1_3gpuE3ELNS1_3repE0EEENS1_38merge_mergepath_config_static_selectorELNS0_4arch9wavefront6targetE1EEEvSH_,comdat
.Lfunc_end758:
	.size	_ZN7rocprim17ROCPRIM_400000_NS6detail17trampoline_kernelINS0_14default_configENS1_38merge_sort_block_merge_config_selectorIilEEZZNS1_27merge_sort_block_merge_implIS3_PiN6thrust23THRUST_200600_302600_NS10device_ptrIlEEjNS1_19radix_merge_compareILb0ELb0EiNS0_19identity_decomposerEEEEE10hipError_tT0_T1_T2_jT3_P12ihipStream_tbPNSt15iterator_traitsISG_E10value_typeEPNSM_ISH_E10value_typeEPSI_NS1_7vsmem_tEENKUlT_SG_SH_SI_E_clIS7_S7_PlSB_EESF_SV_SG_SH_SI_EUlSV_E0_NS1_11comp_targetILNS1_3genE9ELNS1_11target_archE1100ELNS1_3gpuE3ELNS1_3repE0EEENS1_38merge_mergepath_config_static_selectorELNS0_4arch9wavefront6targetE1EEEvSH_, .Lfunc_end758-_ZN7rocprim17ROCPRIM_400000_NS6detail17trampoline_kernelINS0_14default_configENS1_38merge_sort_block_merge_config_selectorIilEEZZNS1_27merge_sort_block_merge_implIS3_PiN6thrust23THRUST_200600_302600_NS10device_ptrIlEEjNS1_19radix_merge_compareILb0ELb0EiNS0_19identity_decomposerEEEEE10hipError_tT0_T1_T2_jT3_P12ihipStream_tbPNSt15iterator_traitsISG_E10value_typeEPNSM_ISH_E10value_typeEPSI_NS1_7vsmem_tEENKUlT_SG_SH_SI_E_clIS7_S7_PlSB_EESF_SV_SG_SH_SI_EUlSV_E0_NS1_11comp_targetILNS1_3genE9ELNS1_11target_archE1100ELNS1_3gpuE3ELNS1_3repE0EEENS1_38merge_mergepath_config_static_selectorELNS0_4arch9wavefront6targetE1EEEvSH_
                                        ; -- End function
	.section	.AMDGPU.csdata,"",@progbits
; Kernel info:
; codeLenInByte = 0
; NumSgprs: 4
; NumVgprs: 0
; NumAgprs: 0
; TotalNumVgprs: 0
; ScratchSize: 0
; MemoryBound: 0
; FloatMode: 240
; IeeeMode: 1
; LDSByteSize: 0 bytes/workgroup (compile time only)
; SGPRBlocks: 0
; VGPRBlocks: 0
; NumSGPRsForWavesPerEU: 4
; NumVGPRsForWavesPerEU: 1
; AccumOffset: 4
; Occupancy: 8
; WaveLimiterHint : 0
; COMPUTE_PGM_RSRC2:SCRATCH_EN: 0
; COMPUTE_PGM_RSRC2:USER_SGPR: 6
; COMPUTE_PGM_RSRC2:TRAP_HANDLER: 0
; COMPUTE_PGM_RSRC2:TGID_X_EN: 1
; COMPUTE_PGM_RSRC2:TGID_Y_EN: 0
; COMPUTE_PGM_RSRC2:TGID_Z_EN: 0
; COMPUTE_PGM_RSRC2:TIDIG_COMP_CNT: 0
; COMPUTE_PGM_RSRC3_GFX90A:ACCUM_OFFSET: 0
; COMPUTE_PGM_RSRC3_GFX90A:TG_SPLIT: 0
	.section	.text._ZN7rocprim17ROCPRIM_400000_NS6detail17trampoline_kernelINS0_14default_configENS1_38merge_sort_block_merge_config_selectorIilEEZZNS1_27merge_sort_block_merge_implIS3_PiN6thrust23THRUST_200600_302600_NS10device_ptrIlEEjNS1_19radix_merge_compareILb0ELb0EiNS0_19identity_decomposerEEEEE10hipError_tT0_T1_T2_jT3_P12ihipStream_tbPNSt15iterator_traitsISG_E10value_typeEPNSM_ISH_E10value_typeEPSI_NS1_7vsmem_tEENKUlT_SG_SH_SI_E_clIS7_S7_PlSB_EESF_SV_SG_SH_SI_EUlSV_E0_NS1_11comp_targetILNS1_3genE8ELNS1_11target_archE1030ELNS1_3gpuE2ELNS1_3repE0EEENS1_38merge_mergepath_config_static_selectorELNS0_4arch9wavefront6targetE1EEEvSH_,"axG",@progbits,_ZN7rocprim17ROCPRIM_400000_NS6detail17trampoline_kernelINS0_14default_configENS1_38merge_sort_block_merge_config_selectorIilEEZZNS1_27merge_sort_block_merge_implIS3_PiN6thrust23THRUST_200600_302600_NS10device_ptrIlEEjNS1_19radix_merge_compareILb0ELb0EiNS0_19identity_decomposerEEEEE10hipError_tT0_T1_T2_jT3_P12ihipStream_tbPNSt15iterator_traitsISG_E10value_typeEPNSM_ISH_E10value_typeEPSI_NS1_7vsmem_tEENKUlT_SG_SH_SI_E_clIS7_S7_PlSB_EESF_SV_SG_SH_SI_EUlSV_E0_NS1_11comp_targetILNS1_3genE8ELNS1_11target_archE1030ELNS1_3gpuE2ELNS1_3repE0EEENS1_38merge_mergepath_config_static_selectorELNS0_4arch9wavefront6targetE1EEEvSH_,comdat
	.protected	_ZN7rocprim17ROCPRIM_400000_NS6detail17trampoline_kernelINS0_14default_configENS1_38merge_sort_block_merge_config_selectorIilEEZZNS1_27merge_sort_block_merge_implIS3_PiN6thrust23THRUST_200600_302600_NS10device_ptrIlEEjNS1_19radix_merge_compareILb0ELb0EiNS0_19identity_decomposerEEEEE10hipError_tT0_T1_T2_jT3_P12ihipStream_tbPNSt15iterator_traitsISG_E10value_typeEPNSM_ISH_E10value_typeEPSI_NS1_7vsmem_tEENKUlT_SG_SH_SI_E_clIS7_S7_PlSB_EESF_SV_SG_SH_SI_EUlSV_E0_NS1_11comp_targetILNS1_3genE8ELNS1_11target_archE1030ELNS1_3gpuE2ELNS1_3repE0EEENS1_38merge_mergepath_config_static_selectorELNS0_4arch9wavefront6targetE1EEEvSH_ ; -- Begin function _ZN7rocprim17ROCPRIM_400000_NS6detail17trampoline_kernelINS0_14default_configENS1_38merge_sort_block_merge_config_selectorIilEEZZNS1_27merge_sort_block_merge_implIS3_PiN6thrust23THRUST_200600_302600_NS10device_ptrIlEEjNS1_19radix_merge_compareILb0ELb0EiNS0_19identity_decomposerEEEEE10hipError_tT0_T1_T2_jT3_P12ihipStream_tbPNSt15iterator_traitsISG_E10value_typeEPNSM_ISH_E10value_typeEPSI_NS1_7vsmem_tEENKUlT_SG_SH_SI_E_clIS7_S7_PlSB_EESF_SV_SG_SH_SI_EUlSV_E0_NS1_11comp_targetILNS1_3genE8ELNS1_11target_archE1030ELNS1_3gpuE2ELNS1_3repE0EEENS1_38merge_mergepath_config_static_selectorELNS0_4arch9wavefront6targetE1EEEvSH_
	.globl	_ZN7rocprim17ROCPRIM_400000_NS6detail17trampoline_kernelINS0_14default_configENS1_38merge_sort_block_merge_config_selectorIilEEZZNS1_27merge_sort_block_merge_implIS3_PiN6thrust23THRUST_200600_302600_NS10device_ptrIlEEjNS1_19radix_merge_compareILb0ELb0EiNS0_19identity_decomposerEEEEE10hipError_tT0_T1_T2_jT3_P12ihipStream_tbPNSt15iterator_traitsISG_E10value_typeEPNSM_ISH_E10value_typeEPSI_NS1_7vsmem_tEENKUlT_SG_SH_SI_E_clIS7_S7_PlSB_EESF_SV_SG_SH_SI_EUlSV_E0_NS1_11comp_targetILNS1_3genE8ELNS1_11target_archE1030ELNS1_3gpuE2ELNS1_3repE0EEENS1_38merge_mergepath_config_static_selectorELNS0_4arch9wavefront6targetE1EEEvSH_
	.p2align	8
	.type	_ZN7rocprim17ROCPRIM_400000_NS6detail17trampoline_kernelINS0_14default_configENS1_38merge_sort_block_merge_config_selectorIilEEZZNS1_27merge_sort_block_merge_implIS3_PiN6thrust23THRUST_200600_302600_NS10device_ptrIlEEjNS1_19radix_merge_compareILb0ELb0EiNS0_19identity_decomposerEEEEE10hipError_tT0_T1_T2_jT3_P12ihipStream_tbPNSt15iterator_traitsISG_E10value_typeEPNSM_ISH_E10value_typeEPSI_NS1_7vsmem_tEENKUlT_SG_SH_SI_E_clIS7_S7_PlSB_EESF_SV_SG_SH_SI_EUlSV_E0_NS1_11comp_targetILNS1_3genE8ELNS1_11target_archE1030ELNS1_3gpuE2ELNS1_3repE0EEENS1_38merge_mergepath_config_static_selectorELNS0_4arch9wavefront6targetE1EEEvSH_,@function
_ZN7rocprim17ROCPRIM_400000_NS6detail17trampoline_kernelINS0_14default_configENS1_38merge_sort_block_merge_config_selectorIilEEZZNS1_27merge_sort_block_merge_implIS3_PiN6thrust23THRUST_200600_302600_NS10device_ptrIlEEjNS1_19radix_merge_compareILb0ELb0EiNS0_19identity_decomposerEEEEE10hipError_tT0_T1_T2_jT3_P12ihipStream_tbPNSt15iterator_traitsISG_E10value_typeEPNSM_ISH_E10value_typeEPSI_NS1_7vsmem_tEENKUlT_SG_SH_SI_E_clIS7_S7_PlSB_EESF_SV_SG_SH_SI_EUlSV_E0_NS1_11comp_targetILNS1_3genE8ELNS1_11target_archE1030ELNS1_3gpuE2ELNS1_3repE0EEENS1_38merge_mergepath_config_static_selectorELNS0_4arch9wavefront6targetE1EEEvSH_: ; @_ZN7rocprim17ROCPRIM_400000_NS6detail17trampoline_kernelINS0_14default_configENS1_38merge_sort_block_merge_config_selectorIilEEZZNS1_27merge_sort_block_merge_implIS3_PiN6thrust23THRUST_200600_302600_NS10device_ptrIlEEjNS1_19radix_merge_compareILb0ELb0EiNS0_19identity_decomposerEEEEE10hipError_tT0_T1_T2_jT3_P12ihipStream_tbPNSt15iterator_traitsISG_E10value_typeEPNSM_ISH_E10value_typeEPSI_NS1_7vsmem_tEENKUlT_SG_SH_SI_E_clIS7_S7_PlSB_EESF_SV_SG_SH_SI_EUlSV_E0_NS1_11comp_targetILNS1_3genE8ELNS1_11target_archE1030ELNS1_3gpuE2ELNS1_3repE0EEENS1_38merge_mergepath_config_static_selectorELNS0_4arch9wavefront6targetE1EEEvSH_
; %bb.0:
	.section	.rodata,"a",@progbits
	.p2align	6, 0x0
	.amdhsa_kernel _ZN7rocprim17ROCPRIM_400000_NS6detail17trampoline_kernelINS0_14default_configENS1_38merge_sort_block_merge_config_selectorIilEEZZNS1_27merge_sort_block_merge_implIS3_PiN6thrust23THRUST_200600_302600_NS10device_ptrIlEEjNS1_19radix_merge_compareILb0ELb0EiNS0_19identity_decomposerEEEEE10hipError_tT0_T1_T2_jT3_P12ihipStream_tbPNSt15iterator_traitsISG_E10value_typeEPNSM_ISH_E10value_typeEPSI_NS1_7vsmem_tEENKUlT_SG_SH_SI_E_clIS7_S7_PlSB_EESF_SV_SG_SH_SI_EUlSV_E0_NS1_11comp_targetILNS1_3genE8ELNS1_11target_archE1030ELNS1_3gpuE2ELNS1_3repE0EEENS1_38merge_mergepath_config_static_selectorELNS0_4arch9wavefront6targetE1EEEvSH_
		.amdhsa_group_segment_fixed_size 0
		.amdhsa_private_segment_fixed_size 0
		.amdhsa_kernarg_size 64
		.amdhsa_user_sgpr_count 6
		.amdhsa_user_sgpr_private_segment_buffer 1
		.amdhsa_user_sgpr_dispatch_ptr 0
		.amdhsa_user_sgpr_queue_ptr 0
		.amdhsa_user_sgpr_kernarg_segment_ptr 1
		.amdhsa_user_sgpr_dispatch_id 0
		.amdhsa_user_sgpr_flat_scratch_init 0
		.amdhsa_user_sgpr_kernarg_preload_length 0
		.amdhsa_user_sgpr_kernarg_preload_offset 0
		.amdhsa_user_sgpr_private_segment_size 0
		.amdhsa_uses_dynamic_stack 0
		.amdhsa_system_sgpr_private_segment_wavefront_offset 0
		.amdhsa_system_sgpr_workgroup_id_x 1
		.amdhsa_system_sgpr_workgroup_id_y 0
		.amdhsa_system_sgpr_workgroup_id_z 0
		.amdhsa_system_sgpr_workgroup_info 0
		.amdhsa_system_vgpr_workitem_id 0
		.amdhsa_next_free_vgpr 1
		.amdhsa_next_free_sgpr 0
		.amdhsa_accum_offset 4
		.amdhsa_reserve_vcc 0
		.amdhsa_reserve_flat_scratch 0
		.amdhsa_float_round_mode_32 0
		.amdhsa_float_round_mode_16_64 0
		.amdhsa_float_denorm_mode_32 3
		.amdhsa_float_denorm_mode_16_64 3
		.amdhsa_dx10_clamp 1
		.amdhsa_ieee_mode 1
		.amdhsa_fp16_overflow 0
		.amdhsa_tg_split 0
		.amdhsa_exception_fp_ieee_invalid_op 0
		.amdhsa_exception_fp_denorm_src 0
		.amdhsa_exception_fp_ieee_div_zero 0
		.amdhsa_exception_fp_ieee_overflow 0
		.amdhsa_exception_fp_ieee_underflow 0
		.amdhsa_exception_fp_ieee_inexact 0
		.amdhsa_exception_int_div_zero 0
	.end_amdhsa_kernel
	.section	.text._ZN7rocprim17ROCPRIM_400000_NS6detail17trampoline_kernelINS0_14default_configENS1_38merge_sort_block_merge_config_selectorIilEEZZNS1_27merge_sort_block_merge_implIS3_PiN6thrust23THRUST_200600_302600_NS10device_ptrIlEEjNS1_19radix_merge_compareILb0ELb0EiNS0_19identity_decomposerEEEEE10hipError_tT0_T1_T2_jT3_P12ihipStream_tbPNSt15iterator_traitsISG_E10value_typeEPNSM_ISH_E10value_typeEPSI_NS1_7vsmem_tEENKUlT_SG_SH_SI_E_clIS7_S7_PlSB_EESF_SV_SG_SH_SI_EUlSV_E0_NS1_11comp_targetILNS1_3genE8ELNS1_11target_archE1030ELNS1_3gpuE2ELNS1_3repE0EEENS1_38merge_mergepath_config_static_selectorELNS0_4arch9wavefront6targetE1EEEvSH_,"axG",@progbits,_ZN7rocprim17ROCPRIM_400000_NS6detail17trampoline_kernelINS0_14default_configENS1_38merge_sort_block_merge_config_selectorIilEEZZNS1_27merge_sort_block_merge_implIS3_PiN6thrust23THRUST_200600_302600_NS10device_ptrIlEEjNS1_19radix_merge_compareILb0ELb0EiNS0_19identity_decomposerEEEEE10hipError_tT0_T1_T2_jT3_P12ihipStream_tbPNSt15iterator_traitsISG_E10value_typeEPNSM_ISH_E10value_typeEPSI_NS1_7vsmem_tEENKUlT_SG_SH_SI_E_clIS7_S7_PlSB_EESF_SV_SG_SH_SI_EUlSV_E0_NS1_11comp_targetILNS1_3genE8ELNS1_11target_archE1030ELNS1_3gpuE2ELNS1_3repE0EEENS1_38merge_mergepath_config_static_selectorELNS0_4arch9wavefront6targetE1EEEvSH_,comdat
.Lfunc_end759:
	.size	_ZN7rocprim17ROCPRIM_400000_NS6detail17trampoline_kernelINS0_14default_configENS1_38merge_sort_block_merge_config_selectorIilEEZZNS1_27merge_sort_block_merge_implIS3_PiN6thrust23THRUST_200600_302600_NS10device_ptrIlEEjNS1_19radix_merge_compareILb0ELb0EiNS0_19identity_decomposerEEEEE10hipError_tT0_T1_T2_jT3_P12ihipStream_tbPNSt15iterator_traitsISG_E10value_typeEPNSM_ISH_E10value_typeEPSI_NS1_7vsmem_tEENKUlT_SG_SH_SI_E_clIS7_S7_PlSB_EESF_SV_SG_SH_SI_EUlSV_E0_NS1_11comp_targetILNS1_3genE8ELNS1_11target_archE1030ELNS1_3gpuE2ELNS1_3repE0EEENS1_38merge_mergepath_config_static_selectorELNS0_4arch9wavefront6targetE1EEEvSH_, .Lfunc_end759-_ZN7rocprim17ROCPRIM_400000_NS6detail17trampoline_kernelINS0_14default_configENS1_38merge_sort_block_merge_config_selectorIilEEZZNS1_27merge_sort_block_merge_implIS3_PiN6thrust23THRUST_200600_302600_NS10device_ptrIlEEjNS1_19radix_merge_compareILb0ELb0EiNS0_19identity_decomposerEEEEE10hipError_tT0_T1_T2_jT3_P12ihipStream_tbPNSt15iterator_traitsISG_E10value_typeEPNSM_ISH_E10value_typeEPSI_NS1_7vsmem_tEENKUlT_SG_SH_SI_E_clIS7_S7_PlSB_EESF_SV_SG_SH_SI_EUlSV_E0_NS1_11comp_targetILNS1_3genE8ELNS1_11target_archE1030ELNS1_3gpuE2ELNS1_3repE0EEENS1_38merge_mergepath_config_static_selectorELNS0_4arch9wavefront6targetE1EEEvSH_
                                        ; -- End function
	.section	.AMDGPU.csdata,"",@progbits
; Kernel info:
; codeLenInByte = 0
; NumSgprs: 4
; NumVgprs: 0
; NumAgprs: 0
; TotalNumVgprs: 0
; ScratchSize: 0
; MemoryBound: 0
; FloatMode: 240
; IeeeMode: 1
; LDSByteSize: 0 bytes/workgroup (compile time only)
; SGPRBlocks: 0
; VGPRBlocks: 0
; NumSGPRsForWavesPerEU: 4
; NumVGPRsForWavesPerEU: 1
; AccumOffset: 4
; Occupancy: 8
; WaveLimiterHint : 0
; COMPUTE_PGM_RSRC2:SCRATCH_EN: 0
; COMPUTE_PGM_RSRC2:USER_SGPR: 6
; COMPUTE_PGM_RSRC2:TRAP_HANDLER: 0
; COMPUTE_PGM_RSRC2:TGID_X_EN: 1
; COMPUTE_PGM_RSRC2:TGID_Y_EN: 0
; COMPUTE_PGM_RSRC2:TGID_Z_EN: 0
; COMPUTE_PGM_RSRC2:TIDIG_COMP_CNT: 0
; COMPUTE_PGM_RSRC3_GFX90A:ACCUM_OFFSET: 0
; COMPUTE_PGM_RSRC3_GFX90A:TG_SPLIT: 0
	.section	.text._ZN7rocprim17ROCPRIM_400000_NS6detail17trampoline_kernelINS0_14default_configENS1_38merge_sort_block_merge_config_selectorIilEEZZNS1_27merge_sort_block_merge_implIS3_PiN6thrust23THRUST_200600_302600_NS10device_ptrIlEEjNS1_19radix_merge_compareILb0ELb0EiNS0_19identity_decomposerEEEEE10hipError_tT0_T1_T2_jT3_P12ihipStream_tbPNSt15iterator_traitsISG_E10value_typeEPNSM_ISH_E10value_typeEPSI_NS1_7vsmem_tEENKUlT_SG_SH_SI_E_clIS7_S7_PlSB_EESF_SV_SG_SH_SI_EUlSV_E1_NS1_11comp_targetILNS1_3genE0ELNS1_11target_archE4294967295ELNS1_3gpuE0ELNS1_3repE0EEENS1_36merge_oddeven_config_static_selectorELNS0_4arch9wavefront6targetE1EEEvSH_,"axG",@progbits,_ZN7rocprim17ROCPRIM_400000_NS6detail17trampoline_kernelINS0_14default_configENS1_38merge_sort_block_merge_config_selectorIilEEZZNS1_27merge_sort_block_merge_implIS3_PiN6thrust23THRUST_200600_302600_NS10device_ptrIlEEjNS1_19radix_merge_compareILb0ELb0EiNS0_19identity_decomposerEEEEE10hipError_tT0_T1_T2_jT3_P12ihipStream_tbPNSt15iterator_traitsISG_E10value_typeEPNSM_ISH_E10value_typeEPSI_NS1_7vsmem_tEENKUlT_SG_SH_SI_E_clIS7_S7_PlSB_EESF_SV_SG_SH_SI_EUlSV_E1_NS1_11comp_targetILNS1_3genE0ELNS1_11target_archE4294967295ELNS1_3gpuE0ELNS1_3repE0EEENS1_36merge_oddeven_config_static_selectorELNS0_4arch9wavefront6targetE1EEEvSH_,comdat
	.protected	_ZN7rocprim17ROCPRIM_400000_NS6detail17trampoline_kernelINS0_14default_configENS1_38merge_sort_block_merge_config_selectorIilEEZZNS1_27merge_sort_block_merge_implIS3_PiN6thrust23THRUST_200600_302600_NS10device_ptrIlEEjNS1_19radix_merge_compareILb0ELb0EiNS0_19identity_decomposerEEEEE10hipError_tT0_T1_T2_jT3_P12ihipStream_tbPNSt15iterator_traitsISG_E10value_typeEPNSM_ISH_E10value_typeEPSI_NS1_7vsmem_tEENKUlT_SG_SH_SI_E_clIS7_S7_PlSB_EESF_SV_SG_SH_SI_EUlSV_E1_NS1_11comp_targetILNS1_3genE0ELNS1_11target_archE4294967295ELNS1_3gpuE0ELNS1_3repE0EEENS1_36merge_oddeven_config_static_selectorELNS0_4arch9wavefront6targetE1EEEvSH_ ; -- Begin function _ZN7rocprim17ROCPRIM_400000_NS6detail17trampoline_kernelINS0_14default_configENS1_38merge_sort_block_merge_config_selectorIilEEZZNS1_27merge_sort_block_merge_implIS3_PiN6thrust23THRUST_200600_302600_NS10device_ptrIlEEjNS1_19radix_merge_compareILb0ELb0EiNS0_19identity_decomposerEEEEE10hipError_tT0_T1_T2_jT3_P12ihipStream_tbPNSt15iterator_traitsISG_E10value_typeEPNSM_ISH_E10value_typeEPSI_NS1_7vsmem_tEENKUlT_SG_SH_SI_E_clIS7_S7_PlSB_EESF_SV_SG_SH_SI_EUlSV_E1_NS1_11comp_targetILNS1_3genE0ELNS1_11target_archE4294967295ELNS1_3gpuE0ELNS1_3repE0EEENS1_36merge_oddeven_config_static_selectorELNS0_4arch9wavefront6targetE1EEEvSH_
	.globl	_ZN7rocprim17ROCPRIM_400000_NS6detail17trampoline_kernelINS0_14default_configENS1_38merge_sort_block_merge_config_selectorIilEEZZNS1_27merge_sort_block_merge_implIS3_PiN6thrust23THRUST_200600_302600_NS10device_ptrIlEEjNS1_19radix_merge_compareILb0ELb0EiNS0_19identity_decomposerEEEEE10hipError_tT0_T1_T2_jT3_P12ihipStream_tbPNSt15iterator_traitsISG_E10value_typeEPNSM_ISH_E10value_typeEPSI_NS1_7vsmem_tEENKUlT_SG_SH_SI_E_clIS7_S7_PlSB_EESF_SV_SG_SH_SI_EUlSV_E1_NS1_11comp_targetILNS1_3genE0ELNS1_11target_archE4294967295ELNS1_3gpuE0ELNS1_3repE0EEENS1_36merge_oddeven_config_static_selectorELNS0_4arch9wavefront6targetE1EEEvSH_
	.p2align	8
	.type	_ZN7rocprim17ROCPRIM_400000_NS6detail17trampoline_kernelINS0_14default_configENS1_38merge_sort_block_merge_config_selectorIilEEZZNS1_27merge_sort_block_merge_implIS3_PiN6thrust23THRUST_200600_302600_NS10device_ptrIlEEjNS1_19radix_merge_compareILb0ELb0EiNS0_19identity_decomposerEEEEE10hipError_tT0_T1_T2_jT3_P12ihipStream_tbPNSt15iterator_traitsISG_E10value_typeEPNSM_ISH_E10value_typeEPSI_NS1_7vsmem_tEENKUlT_SG_SH_SI_E_clIS7_S7_PlSB_EESF_SV_SG_SH_SI_EUlSV_E1_NS1_11comp_targetILNS1_3genE0ELNS1_11target_archE4294967295ELNS1_3gpuE0ELNS1_3repE0EEENS1_36merge_oddeven_config_static_selectorELNS0_4arch9wavefront6targetE1EEEvSH_,@function
_ZN7rocprim17ROCPRIM_400000_NS6detail17trampoline_kernelINS0_14default_configENS1_38merge_sort_block_merge_config_selectorIilEEZZNS1_27merge_sort_block_merge_implIS3_PiN6thrust23THRUST_200600_302600_NS10device_ptrIlEEjNS1_19radix_merge_compareILb0ELb0EiNS0_19identity_decomposerEEEEE10hipError_tT0_T1_T2_jT3_P12ihipStream_tbPNSt15iterator_traitsISG_E10value_typeEPNSM_ISH_E10value_typeEPSI_NS1_7vsmem_tEENKUlT_SG_SH_SI_E_clIS7_S7_PlSB_EESF_SV_SG_SH_SI_EUlSV_E1_NS1_11comp_targetILNS1_3genE0ELNS1_11target_archE4294967295ELNS1_3gpuE0ELNS1_3repE0EEENS1_36merge_oddeven_config_static_selectorELNS0_4arch9wavefront6targetE1EEEvSH_: ; @_ZN7rocprim17ROCPRIM_400000_NS6detail17trampoline_kernelINS0_14default_configENS1_38merge_sort_block_merge_config_selectorIilEEZZNS1_27merge_sort_block_merge_implIS3_PiN6thrust23THRUST_200600_302600_NS10device_ptrIlEEjNS1_19radix_merge_compareILb0ELb0EiNS0_19identity_decomposerEEEEE10hipError_tT0_T1_T2_jT3_P12ihipStream_tbPNSt15iterator_traitsISG_E10value_typeEPNSM_ISH_E10value_typeEPSI_NS1_7vsmem_tEENKUlT_SG_SH_SI_E_clIS7_S7_PlSB_EESF_SV_SG_SH_SI_EUlSV_E1_NS1_11comp_targetILNS1_3genE0ELNS1_11target_archE4294967295ELNS1_3gpuE0ELNS1_3repE0EEENS1_36merge_oddeven_config_static_selectorELNS0_4arch9wavefront6targetE1EEEvSH_
; %bb.0:
	.section	.rodata,"a",@progbits
	.p2align	6, 0x0
	.amdhsa_kernel _ZN7rocprim17ROCPRIM_400000_NS6detail17trampoline_kernelINS0_14default_configENS1_38merge_sort_block_merge_config_selectorIilEEZZNS1_27merge_sort_block_merge_implIS3_PiN6thrust23THRUST_200600_302600_NS10device_ptrIlEEjNS1_19radix_merge_compareILb0ELb0EiNS0_19identity_decomposerEEEEE10hipError_tT0_T1_T2_jT3_P12ihipStream_tbPNSt15iterator_traitsISG_E10value_typeEPNSM_ISH_E10value_typeEPSI_NS1_7vsmem_tEENKUlT_SG_SH_SI_E_clIS7_S7_PlSB_EESF_SV_SG_SH_SI_EUlSV_E1_NS1_11comp_targetILNS1_3genE0ELNS1_11target_archE4294967295ELNS1_3gpuE0ELNS1_3repE0EEENS1_36merge_oddeven_config_static_selectorELNS0_4arch9wavefront6targetE1EEEvSH_
		.amdhsa_group_segment_fixed_size 0
		.amdhsa_private_segment_fixed_size 0
		.amdhsa_kernarg_size 48
		.amdhsa_user_sgpr_count 6
		.amdhsa_user_sgpr_private_segment_buffer 1
		.amdhsa_user_sgpr_dispatch_ptr 0
		.amdhsa_user_sgpr_queue_ptr 0
		.amdhsa_user_sgpr_kernarg_segment_ptr 1
		.amdhsa_user_sgpr_dispatch_id 0
		.amdhsa_user_sgpr_flat_scratch_init 0
		.amdhsa_user_sgpr_kernarg_preload_length 0
		.amdhsa_user_sgpr_kernarg_preload_offset 0
		.amdhsa_user_sgpr_private_segment_size 0
		.amdhsa_uses_dynamic_stack 0
		.amdhsa_system_sgpr_private_segment_wavefront_offset 0
		.amdhsa_system_sgpr_workgroup_id_x 1
		.amdhsa_system_sgpr_workgroup_id_y 0
		.amdhsa_system_sgpr_workgroup_id_z 0
		.amdhsa_system_sgpr_workgroup_info 0
		.amdhsa_system_vgpr_workitem_id 0
		.amdhsa_next_free_vgpr 1
		.amdhsa_next_free_sgpr 0
		.amdhsa_accum_offset 4
		.amdhsa_reserve_vcc 0
		.amdhsa_reserve_flat_scratch 0
		.amdhsa_float_round_mode_32 0
		.amdhsa_float_round_mode_16_64 0
		.amdhsa_float_denorm_mode_32 3
		.amdhsa_float_denorm_mode_16_64 3
		.amdhsa_dx10_clamp 1
		.amdhsa_ieee_mode 1
		.amdhsa_fp16_overflow 0
		.amdhsa_tg_split 0
		.amdhsa_exception_fp_ieee_invalid_op 0
		.amdhsa_exception_fp_denorm_src 0
		.amdhsa_exception_fp_ieee_div_zero 0
		.amdhsa_exception_fp_ieee_overflow 0
		.amdhsa_exception_fp_ieee_underflow 0
		.amdhsa_exception_fp_ieee_inexact 0
		.amdhsa_exception_int_div_zero 0
	.end_amdhsa_kernel
	.section	.text._ZN7rocprim17ROCPRIM_400000_NS6detail17trampoline_kernelINS0_14default_configENS1_38merge_sort_block_merge_config_selectorIilEEZZNS1_27merge_sort_block_merge_implIS3_PiN6thrust23THRUST_200600_302600_NS10device_ptrIlEEjNS1_19radix_merge_compareILb0ELb0EiNS0_19identity_decomposerEEEEE10hipError_tT0_T1_T2_jT3_P12ihipStream_tbPNSt15iterator_traitsISG_E10value_typeEPNSM_ISH_E10value_typeEPSI_NS1_7vsmem_tEENKUlT_SG_SH_SI_E_clIS7_S7_PlSB_EESF_SV_SG_SH_SI_EUlSV_E1_NS1_11comp_targetILNS1_3genE0ELNS1_11target_archE4294967295ELNS1_3gpuE0ELNS1_3repE0EEENS1_36merge_oddeven_config_static_selectorELNS0_4arch9wavefront6targetE1EEEvSH_,"axG",@progbits,_ZN7rocprim17ROCPRIM_400000_NS6detail17trampoline_kernelINS0_14default_configENS1_38merge_sort_block_merge_config_selectorIilEEZZNS1_27merge_sort_block_merge_implIS3_PiN6thrust23THRUST_200600_302600_NS10device_ptrIlEEjNS1_19radix_merge_compareILb0ELb0EiNS0_19identity_decomposerEEEEE10hipError_tT0_T1_T2_jT3_P12ihipStream_tbPNSt15iterator_traitsISG_E10value_typeEPNSM_ISH_E10value_typeEPSI_NS1_7vsmem_tEENKUlT_SG_SH_SI_E_clIS7_S7_PlSB_EESF_SV_SG_SH_SI_EUlSV_E1_NS1_11comp_targetILNS1_3genE0ELNS1_11target_archE4294967295ELNS1_3gpuE0ELNS1_3repE0EEENS1_36merge_oddeven_config_static_selectorELNS0_4arch9wavefront6targetE1EEEvSH_,comdat
.Lfunc_end760:
	.size	_ZN7rocprim17ROCPRIM_400000_NS6detail17trampoline_kernelINS0_14default_configENS1_38merge_sort_block_merge_config_selectorIilEEZZNS1_27merge_sort_block_merge_implIS3_PiN6thrust23THRUST_200600_302600_NS10device_ptrIlEEjNS1_19radix_merge_compareILb0ELb0EiNS0_19identity_decomposerEEEEE10hipError_tT0_T1_T2_jT3_P12ihipStream_tbPNSt15iterator_traitsISG_E10value_typeEPNSM_ISH_E10value_typeEPSI_NS1_7vsmem_tEENKUlT_SG_SH_SI_E_clIS7_S7_PlSB_EESF_SV_SG_SH_SI_EUlSV_E1_NS1_11comp_targetILNS1_3genE0ELNS1_11target_archE4294967295ELNS1_3gpuE0ELNS1_3repE0EEENS1_36merge_oddeven_config_static_selectorELNS0_4arch9wavefront6targetE1EEEvSH_, .Lfunc_end760-_ZN7rocprim17ROCPRIM_400000_NS6detail17trampoline_kernelINS0_14default_configENS1_38merge_sort_block_merge_config_selectorIilEEZZNS1_27merge_sort_block_merge_implIS3_PiN6thrust23THRUST_200600_302600_NS10device_ptrIlEEjNS1_19radix_merge_compareILb0ELb0EiNS0_19identity_decomposerEEEEE10hipError_tT0_T1_T2_jT3_P12ihipStream_tbPNSt15iterator_traitsISG_E10value_typeEPNSM_ISH_E10value_typeEPSI_NS1_7vsmem_tEENKUlT_SG_SH_SI_E_clIS7_S7_PlSB_EESF_SV_SG_SH_SI_EUlSV_E1_NS1_11comp_targetILNS1_3genE0ELNS1_11target_archE4294967295ELNS1_3gpuE0ELNS1_3repE0EEENS1_36merge_oddeven_config_static_selectorELNS0_4arch9wavefront6targetE1EEEvSH_
                                        ; -- End function
	.section	.AMDGPU.csdata,"",@progbits
; Kernel info:
; codeLenInByte = 0
; NumSgprs: 4
; NumVgprs: 0
; NumAgprs: 0
; TotalNumVgprs: 0
; ScratchSize: 0
; MemoryBound: 0
; FloatMode: 240
; IeeeMode: 1
; LDSByteSize: 0 bytes/workgroup (compile time only)
; SGPRBlocks: 0
; VGPRBlocks: 0
; NumSGPRsForWavesPerEU: 4
; NumVGPRsForWavesPerEU: 1
; AccumOffset: 4
; Occupancy: 8
; WaveLimiterHint : 0
; COMPUTE_PGM_RSRC2:SCRATCH_EN: 0
; COMPUTE_PGM_RSRC2:USER_SGPR: 6
; COMPUTE_PGM_RSRC2:TRAP_HANDLER: 0
; COMPUTE_PGM_RSRC2:TGID_X_EN: 1
; COMPUTE_PGM_RSRC2:TGID_Y_EN: 0
; COMPUTE_PGM_RSRC2:TGID_Z_EN: 0
; COMPUTE_PGM_RSRC2:TIDIG_COMP_CNT: 0
; COMPUTE_PGM_RSRC3_GFX90A:ACCUM_OFFSET: 0
; COMPUTE_PGM_RSRC3_GFX90A:TG_SPLIT: 0
	.section	.text._ZN7rocprim17ROCPRIM_400000_NS6detail17trampoline_kernelINS0_14default_configENS1_38merge_sort_block_merge_config_selectorIilEEZZNS1_27merge_sort_block_merge_implIS3_PiN6thrust23THRUST_200600_302600_NS10device_ptrIlEEjNS1_19radix_merge_compareILb0ELb0EiNS0_19identity_decomposerEEEEE10hipError_tT0_T1_T2_jT3_P12ihipStream_tbPNSt15iterator_traitsISG_E10value_typeEPNSM_ISH_E10value_typeEPSI_NS1_7vsmem_tEENKUlT_SG_SH_SI_E_clIS7_S7_PlSB_EESF_SV_SG_SH_SI_EUlSV_E1_NS1_11comp_targetILNS1_3genE10ELNS1_11target_archE1201ELNS1_3gpuE5ELNS1_3repE0EEENS1_36merge_oddeven_config_static_selectorELNS0_4arch9wavefront6targetE1EEEvSH_,"axG",@progbits,_ZN7rocprim17ROCPRIM_400000_NS6detail17trampoline_kernelINS0_14default_configENS1_38merge_sort_block_merge_config_selectorIilEEZZNS1_27merge_sort_block_merge_implIS3_PiN6thrust23THRUST_200600_302600_NS10device_ptrIlEEjNS1_19radix_merge_compareILb0ELb0EiNS0_19identity_decomposerEEEEE10hipError_tT0_T1_T2_jT3_P12ihipStream_tbPNSt15iterator_traitsISG_E10value_typeEPNSM_ISH_E10value_typeEPSI_NS1_7vsmem_tEENKUlT_SG_SH_SI_E_clIS7_S7_PlSB_EESF_SV_SG_SH_SI_EUlSV_E1_NS1_11comp_targetILNS1_3genE10ELNS1_11target_archE1201ELNS1_3gpuE5ELNS1_3repE0EEENS1_36merge_oddeven_config_static_selectorELNS0_4arch9wavefront6targetE1EEEvSH_,comdat
	.protected	_ZN7rocprim17ROCPRIM_400000_NS6detail17trampoline_kernelINS0_14default_configENS1_38merge_sort_block_merge_config_selectorIilEEZZNS1_27merge_sort_block_merge_implIS3_PiN6thrust23THRUST_200600_302600_NS10device_ptrIlEEjNS1_19radix_merge_compareILb0ELb0EiNS0_19identity_decomposerEEEEE10hipError_tT0_T1_T2_jT3_P12ihipStream_tbPNSt15iterator_traitsISG_E10value_typeEPNSM_ISH_E10value_typeEPSI_NS1_7vsmem_tEENKUlT_SG_SH_SI_E_clIS7_S7_PlSB_EESF_SV_SG_SH_SI_EUlSV_E1_NS1_11comp_targetILNS1_3genE10ELNS1_11target_archE1201ELNS1_3gpuE5ELNS1_3repE0EEENS1_36merge_oddeven_config_static_selectorELNS0_4arch9wavefront6targetE1EEEvSH_ ; -- Begin function _ZN7rocprim17ROCPRIM_400000_NS6detail17trampoline_kernelINS0_14default_configENS1_38merge_sort_block_merge_config_selectorIilEEZZNS1_27merge_sort_block_merge_implIS3_PiN6thrust23THRUST_200600_302600_NS10device_ptrIlEEjNS1_19radix_merge_compareILb0ELb0EiNS0_19identity_decomposerEEEEE10hipError_tT0_T1_T2_jT3_P12ihipStream_tbPNSt15iterator_traitsISG_E10value_typeEPNSM_ISH_E10value_typeEPSI_NS1_7vsmem_tEENKUlT_SG_SH_SI_E_clIS7_S7_PlSB_EESF_SV_SG_SH_SI_EUlSV_E1_NS1_11comp_targetILNS1_3genE10ELNS1_11target_archE1201ELNS1_3gpuE5ELNS1_3repE0EEENS1_36merge_oddeven_config_static_selectorELNS0_4arch9wavefront6targetE1EEEvSH_
	.globl	_ZN7rocprim17ROCPRIM_400000_NS6detail17trampoline_kernelINS0_14default_configENS1_38merge_sort_block_merge_config_selectorIilEEZZNS1_27merge_sort_block_merge_implIS3_PiN6thrust23THRUST_200600_302600_NS10device_ptrIlEEjNS1_19radix_merge_compareILb0ELb0EiNS0_19identity_decomposerEEEEE10hipError_tT0_T1_T2_jT3_P12ihipStream_tbPNSt15iterator_traitsISG_E10value_typeEPNSM_ISH_E10value_typeEPSI_NS1_7vsmem_tEENKUlT_SG_SH_SI_E_clIS7_S7_PlSB_EESF_SV_SG_SH_SI_EUlSV_E1_NS1_11comp_targetILNS1_3genE10ELNS1_11target_archE1201ELNS1_3gpuE5ELNS1_3repE0EEENS1_36merge_oddeven_config_static_selectorELNS0_4arch9wavefront6targetE1EEEvSH_
	.p2align	8
	.type	_ZN7rocprim17ROCPRIM_400000_NS6detail17trampoline_kernelINS0_14default_configENS1_38merge_sort_block_merge_config_selectorIilEEZZNS1_27merge_sort_block_merge_implIS3_PiN6thrust23THRUST_200600_302600_NS10device_ptrIlEEjNS1_19radix_merge_compareILb0ELb0EiNS0_19identity_decomposerEEEEE10hipError_tT0_T1_T2_jT3_P12ihipStream_tbPNSt15iterator_traitsISG_E10value_typeEPNSM_ISH_E10value_typeEPSI_NS1_7vsmem_tEENKUlT_SG_SH_SI_E_clIS7_S7_PlSB_EESF_SV_SG_SH_SI_EUlSV_E1_NS1_11comp_targetILNS1_3genE10ELNS1_11target_archE1201ELNS1_3gpuE5ELNS1_3repE0EEENS1_36merge_oddeven_config_static_selectorELNS0_4arch9wavefront6targetE1EEEvSH_,@function
_ZN7rocprim17ROCPRIM_400000_NS6detail17trampoline_kernelINS0_14default_configENS1_38merge_sort_block_merge_config_selectorIilEEZZNS1_27merge_sort_block_merge_implIS3_PiN6thrust23THRUST_200600_302600_NS10device_ptrIlEEjNS1_19radix_merge_compareILb0ELb0EiNS0_19identity_decomposerEEEEE10hipError_tT0_T1_T2_jT3_P12ihipStream_tbPNSt15iterator_traitsISG_E10value_typeEPNSM_ISH_E10value_typeEPSI_NS1_7vsmem_tEENKUlT_SG_SH_SI_E_clIS7_S7_PlSB_EESF_SV_SG_SH_SI_EUlSV_E1_NS1_11comp_targetILNS1_3genE10ELNS1_11target_archE1201ELNS1_3gpuE5ELNS1_3repE0EEENS1_36merge_oddeven_config_static_selectorELNS0_4arch9wavefront6targetE1EEEvSH_: ; @_ZN7rocprim17ROCPRIM_400000_NS6detail17trampoline_kernelINS0_14default_configENS1_38merge_sort_block_merge_config_selectorIilEEZZNS1_27merge_sort_block_merge_implIS3_PiN6thrust23THRUST_200600_302600_NS10device_ptrIlEEjNS1_19radix_merge_compareILb0ELb0EiNS0_19identity_decomposerEEEEE10hipError_tT0_T1_T2_jT3_P12ihipStream_tbPNSt15iterator_traitsISG_E10value_typeEPNSM_ISH_E10value_typeEPSI_NS1_7vsmem_tEENKUlT_SG_SH_SI_E_clIS7_S7_PlSB_EESF_SV_SG_SH_SI_EUlSV_E1_NS1_11comp_targetILNS1_3genE10ELNS1_11target_archE1201ELNS1_3gpuE5ELNS1_3repE0EEENS1_36merge_oddeven_config_static_selectorELNS0_4arch9wavefront6targetE1EEEvSH_
; %bb.0:
	.section	.rodata,"a",@progbits
	.p2align	6, 0x0
	.amdhsa_kernel _ZN7rocprim17ROCPRIM_400000_NS6detail17trampoline_kernelINS0_14default_configENS1_38merge_sort_block_merge_config_selectorIilEEZZNS1_27merge_sort_block_merge_implIS3_PiN6thrust23THRUST_200600_302600_NS10device_ptrIlEEjNS1_19radix_merge_compareILb0ELb0EiNS0_19identity_decomposerEEEEE10hipError_tT0_T1_T2_jT3_P12ihipStream_tbPNSt15iterator_traitsISG_E10value_typeEPNSM_ISH_E10value_typeEPSI_NS1_7vsmem_tEENKUlT_SG_SH_SI_E_clIS7_S7_PlSB_EESF_SV_SG_SH_SI_EUlSV_E1_NS1_11comp_targetILNS1_3genE10ELNS1_11target_archE1201ELNS1_3gpuE5ELNS1_3repE0EEENS1_36merge_oddeven_config_static_selectorELNS0_4arch9wavefront6targetE1EEEvSH_
		.amdhsa_group_segment_fixed_size 0
		.amdhsa_private_segment_fixed_size 0
		.amdhsa_kernarg_size 48
		.amdhsa_user_sgpr_count 6
		.amdhsa_user_sgpr_private_segment_buffer 1
		.amdhsa_user_sgpr_dispatch_ptr 0
		.amdhsa_user_sgpr_queue_ptr 0
		.amdhsa_user_sgpr_kernarg_segment_ptr 1
		.amdhsa_user_sgpr_dispatch_id 0
		.amdhsa_user_sgpr_flat_scratch_init 0
		.amdhsa_user_sgpr_kernarg_preload_length 0
		.amdhsa_user_sgpr_kernarg_preload_offset 0
		.amdhsa_user_sgpr_private_segment_size 0
		.amdhsa_uses_dynamic_stack 0
		.amdhsa_system_sgpr_private_segment_wavefront_offset 0
		.amdhsa_system_sgpr_workgroup_id_x 1
		.amdhsa_system_sgpr_workgroup_id_y 0
		.amdhsa_system_sgpr_workgroup_id_z 0
		.amdhsa_system_sgpr_workgroup_info 0
		.amdhsa_system_vgpr_workitem_id 0
		.amdhsa_next_free_vgpr 1
		.amdhsa_next_free_sgpr 0
		.amdhsa_accum_offset 4
		.amdhsa_reserve_vcc 0
		.amdhsa_reserve_flat_scratch 0
		.amdhsa_float_round_mode_32 0
		.amdhsa_float_round_mode_16_64 0
		.amdhsa_float_denorm_mode_32 3
		.amdhsa_float_denorm_mode_16_64 3
		.amdhsa_dx10_clamp 1
		.amdhsa_ieee_mode 1
		.amdhsa_fp16_overflow 0
		.amdhsa_tg_split 0
		.amdhsa_exception_fp_ieee_invalid_op 0
		.amdhsa_exception_fp_denorm_src 0
		.amdhsa_exception_fp_ieee_div_zero 0
		.amdhsa_exception_fp_ieee_overflow 0
		.amdhsa_exception_fp_ieee_underflow 0
		.amdhsa_exception_fp_ieee_inexact 0
		.amdhsa_exception_int_div_zero 0
	.end_amdhsa_kernel
	.section	.text._ZN7rocprim17ROCPRIM_400000_NS6detail17trampoline_kernelINS0_14default_configENS1_38merge_sort_block_merge_config_selectorIilEEZZNS1_27merge_sort_block_merge_implIS3_PiN6thrust23THRUST_200600_302600_NS10device_ptrIlEEjNS1_19radix_merge_compareILb0ELb0EiNS0_19identity_decomposerEEEEE10hipError_tT0_T1_T2_jT3_P12ihipStream_tbPNSt15iterator_traitsISG_E10value_typeEPNSM_ISH_E10value_typeEPSI_NS1_7vsmem_tEENKUlT_SG_SH_SI_E_clIS7_S7_PlSB_EESF_SV_SG_SH_SI_EUlSV_E1_NS1_11comp_targetILNS1_3genE10ELNS1_11target_archE1201ELNS1_3gpuE5ELNS1_3repE0EEENS1_36merge_oddeven_config_static_selectorELNS0_4arch9wavefront6targetE1EEEvSH_,"axG",@progbits,_ZN7rocprim17ROCPRIM_400000_NS6detail17trampoline_kernelINS0_14default_configENS1_38merge_sort_block_merge_config_selectorIilEEZZNS1_27merge_sort_block_merge_implIS3_PiN6thrust23THRUST_200600_302600_NS10device_ptrIlEEjNS1_19radix_merge_compareILb0ELb0EiNS0_19identity_decomposerEEEEE10hipError_tT0_T1_T2_jT3_P12ihipStream_tbPNSt15iterator_traitsISG_E10value_typeEPNSM_ISH_E10value_typeEPSI_NS1_7vsmem_tEENKUlT_SG_SH_SI_E_clIS7_S7_PlSB_EESF_SV_SG_SH_SI_EUlSV_E1_NS1_11comp_targetILNS1_3genE10ELNS1_11target_archE1201ELNS1_3gpuE5ELNS1_3repE0EEENS1_36merge_oddeven_config_static_selectorELNS0_4arch9wavefront6targetE1EEEvSH_,comdat
.Lfunc_end761:
	.size	_ZN7rocprim17ROCPRIM_400000_NS6detail17trampoline_kernelINS0_14default_configENS1_38merge_sort_block_merge_config_selectorIilEEZZNS1_27merge_sort_block_merge_implIS3_PiN6thrust23THRUST_200600_302600_NS10device_ptrIlEEjNS1_19radix_merge_compareILb0ELb0EiNS0_19identity_decomposerEEEEE10hipError_tT0_T1_T2_jT3_P12ihipStream_tbPNSt15iterator_traitsISG_E10value_typeEPNSM_ISH_E10value_typeEPSI_NS1_7vsmem_tEENKUlT_SG_SH_SI_E_clIS7_S7_PlSB_EESF_SV_SG_SH_SI_EUlSV_E1_NS1_11comp_targetILNS1_3genE10ELNS1_11target_archE1201ELNS1_3gpuE5ELNS1_3repE0EEENS1_36merge_oddeven_config_static_selectorELNS0_4arch9wavefront6targetE1EEEvSH_, .Lfunc_end761-_ZN7rocprim17ROCPRIM_400000_NS6detail17trampoline_kernelINS0_14default_configENS1_38merge_sort_block_merge_config_selectorIilEEZZNS1_27merge_sort_block_merge_implIS3_PiN6thrust23THRUST_200600_302600_NS10device_ptrIlEEjNS1_19radix_merge_compareILb0ELb0EiNS0_19identity_decomposerEEEEE10hipError_tT0_T1_T2_jT3_P12ihipStream_tbPNSt15iterator_traitsISG_E10value_typeEPNSM_ISH_E10value_typeEPSI_NS1_7vsmem_tEENKUlT_SG_SH_SI_E_clIS7_S7_PlSB_EESF_SV_SG_SH_SI_EUlSV_E1_NS1_11comp_targetILNS1_3genE10ELNS1_11target_archE1201ELNS1_3gpuE5ELNS1_3repE0EEENS1_36merge_oddeven_config_static_selectorELNS0_4arch9wavefront6targetE1EEEvSH_
                                        ; -- End function
	.section	.AMDGPU.csdata,"",@progbits
; Kernel info:
; codeLenInByte = 0
; NumSgprs: 4
; NumVgprs: 0
; NumAgprs: 0
; TotalNumVgprs: 0
; ScratchSize: 0
; MemoryBound: 0
; FloatMode: 240
; IeeeMode: 1
; LDSByteSize: 0 bytes/workgroup (compile time only)
; SGPRBlocks: 0
; VGPRBlocks: 0
; NumSGPRsForWavesPerEU: 4
; NumVGPRsForWavesPerEU: 1
; AccumOffset: 4
; Occupancy: 8
; WaveLimiterHint : 0
; COMPUTE_PGM_RSRC2:SCRATCH_EN: 0
; COMPUTE_PGM_RSRC2:USER_SGPR: 6
; COMPUTE_PGM_RSRC2:TRAP_HANDLER: 0
; COMPUTE_PGM_RSRC2:TGID_X_EN: 1
; COMPUTE_PGM_RSRC2:TGID_Y_EN: 0
; COMPUTE_PGM_RSRC2:TGID_Z_EN: 0
; COMPUTE_PGM_RSRC2:TIDIG_COMP_CNT: 0
; COMPUTE_PGM_RSRC3_GFX90A:ACCUM_OFFSET: 0
; COMPUTE_PGM_RSRC3_GFX90A:TG_SPLIT: 0
	.section	.text._ZN7rocprim17ROCPRIM_400000_NS6detail17trampoline_kernelINS0_14default_configENS1_38merge_sort_block_merge_config_selectorIilEEZZNS1_27merge_sort_block_merge_implIS3_PiN6thrust23THRUST_200600_302600_NS10device_ptrIlEEjNS1_19radix_merge_compareILb0ELb0EiNS0_19identity_decomposerEEEEE10hipError_tT0_T1_T2_jT3_P12ihipStream_tbPNSt15iterator_traitsISG_E10value_typeEPNSM_ISH_E10value_typeEPSI_NS1_7vsmem_tEENKUlT_SG_SH_SI_E_clIS7_S7_PlSB_EESF_SV_SG_SH_SI_EUlSV_E1_NS1_11comp_targetILNS1_3genE5ELNS1_11target_archE942ELNS1_3gpuE9ELNS1_3repE0EEENS1_36merge_oddeven_config_static_selectorELNS0_4arch9wavefront6targetE1EEEvSH_,"axG",@progbits,_ZN7rocprim17ROCPRIM_400000_NS6detail17trampoline_kernelINS0_14default_configENS1_38merge_sort_block_merge_config_selectorIilEEZZNS1_27merge_sort_block_merge_implIS3_PiN6thrust23THRUST_200600_302600_NS10device_ptrIlEEjNS1_19radix_merge_compareILb0ELb0EiNS0_19identity_decomposerEEEEE10hipError_tT0_T1_T2_jT3_P12ihipStream_tbPNSt15iterator_traitsISG_E10value_typeEPNSM_ISH_E10value_typeEPSI_NS1_7vsmem_tEENKUlT_SG_SH_SI_E_clIS7_S7_PlSB_EESF_SV_SG_SH_SI_EUlSV_E1_NS1_11comp_targetILNS1_3genE5ELNS1_11target_archE942ELNS1_3gpuE9ELNS1_3repE0EEENS1_36merge_oddeven_config_static_selectorELNS0_4arch9wavefront6targetE1EEEvSH_,comdat
	.protected	_ZN7rocprim17ROCPRIM_400000_NS6detail17trampoline_kernelINS0_14default_configENS1_38merge_sort_block_merge_config_selectorIilEEZZNS1_27merge_sort_block_merge_implIS3_PiN6thrust23THRUST_200600_302600_NS10device_ptrIlEEjNS1_19radix_merge_compareILb0ELb0EiNS0_19identity_decomposerEEEEE10hipError_tT0_T1_T2_jT3_P12ihipStream_tbPNSt15iterator_traitsISG_E10value_typeEPNSM_ISH_E10value_typeEPSI_NS1_7vsmem_tEENKUlT_SG_SH_SI_E_clIS7_S7_PlSB_EESF_SV_SG_SH_SI_EUlSV_E1_NS1_11comp_targetILNS1_3genE5ELNS1_11target_archE942ELNS1_3gpuE9ELNS1_3repE0EEENS1_36merge_oddeven_config_static_selectorELNS0_4arch9wavefront6targetE1EEEvSH_ ; -- Begin function _ZN7rocprim17ROCPRIM_400000_NS6detail17trampoline_kernelINS0_14default_configENS1_38merge_sort_block_merge_config_selectorIilEEZZNS1_27merge_sort_block_merge_implIS3_PiN6thrust23THRUST_200600_302600_NS10device_ptrIlEEjNS1_19radix_merge_compareILb0ELb0EiNS0_19identity_decomposerEEEEE10hipError_tT0_T1_T2_jT3_P12ihipStream_tbPNSt15iterator_traitsISG_E10value_typeEPNSM_ISH_E10value_typeEPSI_NS1_7vsmem_tEENKUlT_SG_SH_SI_E_clIS7_S7_PlSB_EESF_SV_SG_SH_SI_EUlSV_E1_NS1_11comp_targetILNS1_3genE5ELNS1_11target_archE942ELNS1_3gpuE9ELNS1_3repE0EEENS1_36merge_oddeven_config_static_selectorELNS0_4arch9wavefront6targetE1EEEvSH_
	.globl	_ZN7rocprim17ROCPRIM_400000_NS6detail17trampoline_kernelINS0_14default_configENS1_38merge_sort_block_merge_config_selectorIilEEZZNS1_27merge_sort_block_merge_implIS3_PiN6thrust23THRUST_200600_302600_NS10device_ptrIlEEjNS1_19radix_merge_compareILb0ELb0EiNS0_19identity_decomposerEEEEE10hipError_tT0_T1_T2_jT3_P12ihipStream_tbPNSt15iterator_traitsISG_E10value_typeEPNSM_ISH_E10value_typeEPSI_NS1_7vsmem_tEENKUlT_SG_SH_SI_E_clIS7_S7_PlSB_EESF_SV_SG_SH_SI_EUlSV_E1_NS1_11comp_targetILNS1_3genE5ELNS1_11target_archE942ELNS1_3gpuE9ELNS1_3repE0EEENS1_36merge_oddeven_config_static_selectorELNS0_4arch9wavefront6targetE1EEEvSH_
	.p2align	8
	.type	_ZN7rocprim17ROCPRIM_400000_NS6detail17trampoline_kernelINS0_14default_configENS1_38merge_sort_block_merge_config_selectorIilEEZZNS1_27merge_sort_block_merge_implIS3_PiN6thrust23THRUST_200600_302600_NS10device_ptrIlEEjNS1_19radix_merge_compareILb0ELb0EiNS0_19identity_decomposerEEEEE10hipError_tT0_T1_T2_jT3_P12ihipStream_tbPNSt15iterator_traitsISG_E10value_typeEPNSM_ISH_E10value_typeEPSI_NS1_7vsmem_tEENKUlT_SG_SH_SI_E_clIS7_S7_PlSB_EESF_SV_SG_SH_SI_EUlSV_E1_NS1_11comp_targetILNS1_3genE5ELNS1_11target_archE942ELNS1_3gpuE9ELNS1_3repE0EEENS1_36merge_oddeven_config_static_selectorELNS0_4arch9wavefront6targetE1EEEvSH_,@function
_ZN7rocprim17ROCPRIM_400000_NS6detail17trampoline_kernelINS0_14default_configENS1_38merge_sort_block_merge_config_selectorIilEEZZNS1_27merge_sort_block_merge_implIS3_PiN6thrust23THRUST_200600_302600_NS10device_ptrIlEEjNS1_19radix_merge_compareILb0ELb0EiNS0_19identity_decomposerEEEEE10hipError_tT0_T1_T2_jT3_P12ihipStream_tbPNSt15iterator_traitsISG_E10value_typeEPNSM_ISH_E10value_typeEPSI_NS1_7vsmem_tEENKUlT_SG_SH_SI_E_clIS7_S7_PlSB_EESF_SV_SG_SH_SI_EUlSV_E1_NS1_11comp_targetILNS1_3genE5ELNS1_11target_archE942ELNS1_3gpuE9ELNS1_3repE0EEENS1_36merge_oddeven_config_static_selectorELNS0_4arch9wavefront6targetE1EEEvSH_: ; @_ZN7rocprim17ROCPRIM_400000_NS6detail17trampoline_kernelINS0_14default_configENS1_38merge_sort_block_merge_config_selectorIilEEZZNS1_27merge_sort_block_merge_implIS3_PiN6thrust23THRUST_200600_302600_NS10device_ptrIlEEjNS1_19radix_merge_compareILb0ELb0EiNS0_19identity_decomposerEEEEE10hipError_tT0_T1_T2_jT3_P12ihipStream_tbPNSt15iterator_traitsISG_E10value_typeEPNSM_ISH_E10value_typeEPSI_NS1_7vsmem_tEENKUlT_SG_SH_SI_E_clIS7_S7_PlSB_EESF_SV_SG_SH_SI_EUlSV_E1_NS1_11comp_targetILNS1_3genE5ELNS1_11target_archE942ELNS1_3gpuE9ELNS1_3repE0EEENS1_36merge_oddeven_config_static_selectorELNS0_4arch9wavefront6targetE1EEEvSH_
; %bb.0:
	.section	.rodata,"a",@progbits
	.p2align	6, 0x0
	.amdhsa_kernel _ZN7rocprim17ROCPRIM_400000_NS6detail17trampoline_kernelINS0_14default_configENS1_38merge_sort_block_merge_config_selectorIilEEZZNS1_27merge_sort_block_merge_implIS3_PiN6thrust23THRUST_200600_302600_NS10device_ptrIlEEjNS1_19radix_merge_compareILb0ELb0EiNS0_19identity_decomposerEEEEE10hipError_tT0_T1_T2_jT3_P12ihipStream_tbPNSt15iterator_traitsISG_E10value_typeEPNSM_ISH_E10value_typeEPSI_NS1_7vsmem_tEENKUlT_SG_SH_SI_E_clIS7_S7_PlSB_EESF_SV_SG_SH_SI_EUlSV_E1_NS1_11comp_targetILNS1_3genE5ELNS1_11target_archE942ELNS1_3gpuE9ELNS1_3repE0EEENS1_36merge_oddeven_config_static_selectorELNS0_4arch9wavefront6targetE1EEEvSH_
		.amdhsa_group_segment_fixed_size 0
		.amdhsa_private_segment_fixed_size 0
		.amdhsa_kernarg_size 48
		.amdhsa_user_sgpr_count 6
		.amdhsa_user_sgpr_private_segment_buffer 1
		.amdhsa_user_sgpr_dispatch_ptr 0
		.amdhsa_user_sgpr_queue_ptr 0
		.amdhsa_user_sgpr_kernarg_segment_ptr 1
		.amdhsa_user_sgpr_dispatch_id 0
		.amdhsa_user_sgpr_flat_scratch_init 0
		.amdhsa_user_sgpr_kernarg_preload_length 0
		.amdhsa_user_sgpr_kernarg_preload_offset 0
		.amdhsa_user_sgpr_private_segment_size 0
		.amdhsa_uses_dynamic_stack 0
		.amdhsa_system_sgpr_private_segment_wavefront_offset 0
		.amdhsa_system_sgpr_workgroup_id_x 1
		.amdhsa_system_sgpr_workgroup_id_y 0
		.amdhsa_system_sgpr_workgroup_id_z 0
		.amdhsa_system_sgpr_workgroup_info 0
		.amdhsa_system_vgpr_workitem_id 0
		.amdhsa_next_free_vgpr 1
		.amdhsa_next_free_sgpr 0
		.amdhsa_accum_offset 4
		.amdhsa_reserve_vcc 0
		.amdhsa_reserve_flat_scratch 0
		.amdhsa_float_round_mode_32 0
		.amdhsa_float_round_mode_16_64 0
		.amdhsa_float_denorm_mode_32 3
		.amdhsa_float_denorm_mode_16_64 3
		.amdhsa_dx10_clamp 1
		.amdhsa_ieee_mode 1
		.amdhsa_fp16_overflow 0
		.amdhsa_tg_split 0
		.amdhsa_exception_fp_ieee_invalid_op 0
		.amdhsa_exception_fp_denorm_src 0
		.amdhsa_exception_fp_ieee_div_zero 0
		.amdhsa_exception_fp_ieee_overflow 0
		.amdhsa_exception_fp_ieee_underflow 0
		.amdhsa_exception_fp_ieee_inexact 0
		.amdhsa_exception_int_div_zero 0
	.end_amdhsa_kernel
	.section	.text._ZN7rocprim17ROCPRIM_400000_NS6detail17trampoline_kernelINS0_14default_configENS1_38merge_sort_block_merge_config_selectorIilEEZZNS1_27merge_sort_block_merge_implIS3_PiN6thrust23THRUST_200600_302600_NS10device_ptrIlEEjNS1_19radix_merge_compareILb0ELb0EiNS0_19identity_decomposerEEEEE10hipError_tT0_T1_T2_jT3_P12ihipStream_tbPNSt15iterator_traitsISG_E10value_typeEPNSM_ISH_E10value_typeEPSI_NS1_7vsmem_tEENKUlT_SG_SH_SI_E_clIS7_S7_PlSB_EESF_SV_SG_SH_SI_EUlSV_E1_NS1_11comp_targetILNS1_3genE5ELNS1_11target_archE942ELNS1_3gpuE9ELNS1_3repE0EEENS1_36merge_oddeven_config_static_selectorELNS0_4arch9wavefront6targetE1EEEvSH_,"axG",@progbits,_ZN7rocprim17ROCPRIM_400000_NS6detail17trampoline_kernelINS0_14default_configENS1_38merge_sort_block_merge_config_selectorIilEEZZNS1_27merge_sort_block_merge_implIS3_PiN6thrust23THRUST_200600_302600_NS10device_ptrIlEEjNS1_19radix_merge_compareILb0ELb0EiNS0_19identity_decomposerEEEEE10hipError_tT0_T1_T2_jT3_P12ihipStream_tbPNSt15iterator_traitsISG_E10value_typeEPNSM_ISH_E10value_typeEPSI_NS1_7vsmem_tEENKUlT_SG_SH_SI_E_clIS7_S7_PlSB_EESF_SV_SG_SH_SI_EUlSV_E1_NS1_11comp_targetILNS1_3genE5ELNS1_11target_archE942ELNS1_3gpuE9ELNS1_3repE0EEENS1_36merge_oddeven_config_static_selectorELNS0_4arch9wavefront6targetE1EEEvSH_,comdat
.Lfunc_end762:
	.size	_ZN7rocprim17ROCPRIM_400000_NS6detail17trampoline_kernelINS0_14default_configENS1_38merge_sort_block_merge_config_selectorIilEEZZNS1_27merge_sort_block_merge_implIS3_PiN6thrust23THRUST_200600_302600_NS10device_ptrIlEEjNS1_19radix_merge_compareILb0ELb0EiNS0_19identity_decomposerEEEEE10hipError_tT0_T1_T2_jT3_P12ihipStream_tbPNSt15iterator_traitsISG_E10value_typeEPNSM_ISH_E10value_typeEPSI_NS1_7vsmem_tEENKUlT_SG_SH_SI_E_clIS7_S7_PlSB_EESF_SV_SG_SH_SI_EUlSV_E1_NS1_11comp_targetILNS1_3genE5ELNS1_11target_archE942ELNS1_3gpuE9ELNS1_3repE0EEENS1_36merge_oddeven_config_static_selectorELNS0_4arch9wavefront6targetE1EEEvSH_, .Lfunc_end762-_ZN7rocprim17ROCPRIM_400000_NS6detail17trampoline_kernelINS0_14default_configENS1_38merge_sort_block_merge_config_selectorIilEEZZNS1_27merge_sort_block_merge_implIS3_PiN6thrust23THRUST_200600_302600_NS10device_ptrIlEEjNS1_19radix_merge_compareILb0ELb0EiNS0_19identity_decomposerEEEEE10hipError_tT0_T1_T2_jT3_P12ihipStream_tbPNSt15iterator_traitsISG_E10value_typeEPNSM_ISH_E10value_typeEPSI_NS1_7vsmem_tEENKUlT_SG_SH_SI_E_clIS7_S7_PlSB_EESF_SV_SG_SH_SI_EUlSV_E1_NS1_11comp_targetILNS1_3genE5ELNS1_11target_archE942ELNS1_3gpuE9ELNS1_3repE0EEENS1_36merge_oddeven_config_static_selectorELNS0_4arch9wavefront6targetE1EEEvSH_
                                        ; -- End function
	.section	.AMDGPU.csdata,"",@progbits
; Kernel info:
; codeLenInByte = 0
; NumSgprs: 4
; NumVgprs: 0
; NumAgprs: 0
; TotalNumVgprs: 0
; ScratchSize: 0
; MemoryBound: 0
; FloatMode: 240
; IeeeMode: 1
; LDSByteSize: 0 bytes/workgroup (compile time only)
; SGPRBlocks: 0
; VGPRBlocks: 0
; NumSGPRsForWavesPerEU: 4
; NumVGPRsForWavesPerEU: 1
; AccumOffset: 4
; Occupancy: 8
; WaveLimiterHint : 0
; COMPUTE_PGM_RSRC2:SCRATCH_EN: 0
; COMPUTE_PGM_RSRC2:USER_SGPR: 6
; COMPUTE_PGM_RSRC2:TRAP_HANDLER: 0
; COMPUTE_PGM_RSRC2:TGID_X_EN: 1
; COMPUTE_PGM_RSRC2:TGID_Y_EN: 0
; COMPUTE_PGM_RSRC2:TGID_Z_EN: 0
; COMPUTE_PGM_RSRC2:TIDIG_COMP_CNT: 0
; COMPUTE_PGM_RSRC3_GFX90A:ACCUM_OFFSET: 0
; COMPUTE_PGM_RSRC3_GFX90A:TG_SPLIT: 0
	.section	.text._ZN7rocprim17ROCPRIM_400000_NS6detail17trampoline_kernelINS0_14default_configENS1_38merge_sort_block_merge_config_selectorIilEEZZNS1_27merge_sort_block_merge_implIS3_PiN6thrust23THRUST_200600_302600_NS10device_ptrIlEEjNS1_19radix_merge_compareILb0ELb0EiNS0_19identity_decomposerEEEEE10hipError_tT0_T1_T2_jT3_P12ihipStream_tbPNSt15iterator_traitsISG_E10value_typeEPNSM_ISH_E10value_typeEPSI_NS1_7vsmem_tEENKUlT_SG_SH_SI_E_clIS7_S7_PlSB_EESF_SV_SG_SH_SI_EUlSV_E1_NS1_11comp_targetILNS1_3genE4ELNS1_11target_archE910ELNS1_3gpuE8ELNS1_3repE0EEENS1_36merge_oddeven_config_static_selectorELNS0_4arch9wavefront6targetE1EEEvSH_,"axG",@progbits,_ZN7rocprim17ROCPRIM_400000_NS6detail17trampoline_kernelINS0_14default_configENS1_38merge_sort_block_merge_config_selectorIilEEZZNS1_27merge_sort_block_merge_implIS3_PiN6thrust23THRUST_200600_302600_NS10device_ptrIlEEjNS1_19radix_merge_compareILb0ELb0EiNS0_19identity_decomposerEEEEE10hipError_tT0_T1_T2_jT3_P12ihipStream_tbPNSt15iterator_traitsISG_E10value_typeEPNSM_ISH_E10value_typeEPSI_NS1_7vsmem_tEENKUlT_SG_SH_SI_E_clIS7_S7_PlSB_EESF_SV_SG_SH_SI_EUlSV_E1_NS1_11comp_targetILNS1_3genE4ELNS1_11target_archE910ELNS1_3gpuE8ELNS1_3repE0EEENS1_36merge_oddeven_config_static_selectorELNS0_4arch9wavefront6targetE1EEEvSH_,comdat
	.protected	_ZN7rocprim17ROCPRIM_400000_NS6detail17trampoline_kernelINS0_14default_configENS1_38merge_sort_block_merge_config_selectorIilEEZZNS1_27merge_sort_block_merge_implIS3_PiN6thrust23THRUST_200600_302600_NS10device_ptrIlEEjNS1_19radix_merge_compareILb0ELb0EiNS0_19identity_decomposerEEEEE10hipError_tT0_T1_T2_jT3_P12ihipStream_tbPNSt15iterator_traitsISG_E10value_typeEPNSM_ISH_E10value_typeEPSI_NS1_7vsmem_tEENKUlT_SG_SH_SI_E_clIS7_S7_PlSB_EESF_SV_SG_SH_SI_EUlSV_E1_NS1_11comp_targetILNS1_3genE4ELNS1_11target_archE910ELNS1_3gpuE8ELNS1_3repE0EEENS1_36merge_oddeven_config_static_selectorELNS0_4arch9wavefront6targetE1EEEvSH_ ; -- Begin function _ZN7rocprim17ROCPRIM_400000_NS6detail17trampoline_kernelINS0_14default_configENS1_38merge_sort_block_merge_config_selectorIilEEZZNS1_27merge_sort_block_merge_implIS3_PiN6thrust23THRUST_200600_302600_NS10device_ptrIlEEjNS1_19radix_merge_compareILb0ELb0EiNS0_19identity_decomposerEEEEE10hipError_tT0_T1_T2_jT3_P12ihipStream_tbPNSt15iterator_traitsISG_E10value_typeEPNSM_ISH_E10value_typeEPSI_NS1_7vsmem_tEENKUlT_SG_SH_SI_E_clIS7_S7_PlSB_EESF_SV_SG_SH_SI_EUlSV_E1_NS1_11comp_targetILNS1_3genE4ELNS1_11target_archE910ELNS1_3gpuE8ELNS1_3repE0EEENS1_36merge_oddeven_config_static_selectorELNS0_4arch9wavefront6targetE1EEEvSH_
	.globl	_ZN7rocprim17ROCPRIM_400000_NS6detail17trampoline_kernelINS0_14default_configENS1_38merge_sort_block_merge_config_selectorIilEEZZNS1_27merge_sort_block_merge_implIS3_PiN6thrust23THRUST_200600_302600_NS10device_ptrIlEEjNS1_19radix_merge_compareILb0ELb0EiNS0_19identity_decomposerEEEEE10hipError_tT0_T1_T2_jT3_P12ihipStream_tbPNSt15iterator_traitsISG_E10value_typeEPNSM_ISH_E10value_typeEPSI_NS1_7vsmem_tEENKUlT_SG_SH_SI_E_clIS7_S7_PlSB_EESF_SV_SG_SH_SI_EUlSV_E1_NS1_11comp_targetILNS1_3genE4ELNS1_11target_archE910ELNS1_3gpuE8ELNS1_3repE0EEENS1_36merge_oddeven_config_static_selectorELNS0_4arch9wavefront6targetE1EEEvSH_
	.p2align	8
	.type	_ZN7rocprim17ROCPRIM_400000_NS6detail17trampoline_kernelINS0_14default_configENS1_38merge_sort_block_merge_config_selectorIilEEZZNS1_27merge_sort_block_merge_implIS3_PiN6thrust23THRUST_200600_302600_NS10device_ptrIlEEjNS1_19radix_merge_compareILb0ELb0EiNS0_19identity_decomposerEEEEE10hipError_tT0_T1_T2_jT3_P12ihipStream_tbPNSt15iterator_traitsISG_E10value_typeEPNSM_ISH_E10value_typeEPSI_NS1_7vsmem_tEENKUlT_SG_SH_SI_E_clIS7_S7_PlSB_EESF_SV_SG_SH_SI_EUlSV_E1_NS1_11comp_targetILNS1_3genE4ELNS1_11target_archE910ELNS1_3gpuE8ELNS1_3repE0EEENS1_36merge_oddeven_config_static_selectorELNS0_4arch9wavefront6targetE1EEEvSH_,@function
_ZN7rocprim17ROCPRIM_400000_NS6detail17trampoline_kernelINS0_14default_configENS1_38merge_sort_block_merge_config_selectorIilEEZZNS1_27merge_sort_block_merge_implIS3_PiN6thrust23THRUST_200600_302600_NS10device_ptrIlEEjNS1_19radix_merge_compareILb0ELb0EiNS0_19identity_decomposerEEEEE10hipError_tT0_T1_T2_jT3_P12ihipStream_tbPNSt15iterator_traitsISG_E10value_typeEPNSM_ISH_E10value_typeEPSI_NS1_7vsmem_tEENKUlT_SG_SH_SI_E_clIS7_S7_PlSB_EESF_SV_SG_SH_SI_EUlSV_E1_NS1_11comp_targetILNS1_3genE4ELNS1_11target_archE910ELNS1_3gpuE8ELNS1_3repE0EEENS1_36merge_oddeven_config_static_selectorELNS0_4arch9wavefront6targetE1EEEvSH_: ; @_ZN7rocprim17ROCPRIM_400000_NS6detail17trampoline_kernelINS0_14default_configENS1_38merge_sort_block_merge_config_selectorIilEEZZNS1_27merge_sort_block_merge_implIS3_PiN6thrust23THRUST_200600_302600_NS10device_ptrIlEEjNS1_19radix_merge_compareILb0ELb0EiNS0_19identity_decomposerEEEEE10hipError_tT0_T1_T2_jT3_P12ihipStream_tbPNSt15iterator_traitsISG_E10value_typeEPNSM_ISH_E10value_typeEPSI_NS1_7vsmem_tEENKUlT_SG_SH_SI_E_clIS7_S7_PlSB_EESF_SV_SG_SH_SI_EUlSV_E1_NS1_11comp_targetILNS1_3genE4ELNS1_11target_archE910ELNS1_3gpuE8ELNS1_3repE0EEENS1_36merge_oddeven_config_static_selectorELNS0_4arch9wavefront6targetE1EEEvSH_
; %bb.0:
	s_load_dword s20, s[4:5], 0x20
	s_waitcnt lgkmcnt(0)
	s_lshr_b32 s2, s20, 8
	s_cmp_lg_u32 s6, s2
	s_cselect_b64 s[0:1], -1, 0
	s_cmp_eq_u32 s6, s2
	s_cselect_b64 s[16:17], -1, 0
	s_lshl_b32 s18, s6, 8
	s_sub_i32 s2, s20, s18
	v_cmp_gt_u32_e64 s[2:3], s2, v0
	s_or_b64 s[0:1], s[0:1], s[2:3]
	s_and_saveexec_b64 s[8:9], s[0:1]
	s_cbranch_execz .LBB763_26
; %bb.1:
	s_load_dwordx8 s[8:15], s[4:5], 0x0
	s_mov_b32 s19, 0
	s_lshl_b64 s[0:1], s[18:19], 2
	v_lshlrev_b32_e32 v4, 3, v0
	v_lshlrev_b32_e32 v1, 2, v0
	s_waitcnt lgkmcnt(0)
	s_add_u32 s0, s8, s0
	s_addc_u32 s1, s9, s1
	s_lshl_b64 s[22:23], s[18:19], 3
	s_add_u32 s12, s12, s22
	s_addc_u32 s13, s13, s23
	global_load_dwordx2 v[2:3], v4, s[12:13]
	global_load_dword v6, v1, s[0:1]
	s_load_dword s21, s[4:5], 0x24
	v_add_u32_e32 v4, s18, v0
	s_waitcnt lgkmcnt(0)
	s_lshr_b32 s0, s21, 8
	s_sub_i32 s1, 0, s0
	s_and_b32 s1, s6, s1
	s_and_b32 s0, s1, s0
	s_lshl_b32 s22, s1, 8
	s_sub_i32 s6, 0, s21
	s_cmp_eq_u32 s0, 0
	s_cselect_b64 s[0:1], -1, 0
	s_and_b64 s[4:5], s[0:1], exec
	s_cselect_b32 s19, s21, s6
	s_add_i32 s19, s19, s22
	s_cmp_lt_u32 s19, s20
	s_cbranch_scc1 .LBB763_6
; %bb.2:
	s_and_b64 vcc, exec, s[16:17]
	s_cbranch_vccz .LBB763_7
; %bb.3:
	v_cmp_gt_u32_e32 vcc, s20, v4
	s_mov_b64 s[6:7], 0
	s_mov_b64 s[4:5], 0
                                        ; implicit-def: $vgpr0_vgpr1
	s_and_saveexec_b64 s[12:13], vcc
	s_cbranch_execz .LBB763_5
; %bb.4:
	v_mov_b32_e32 v5, 0
	v_lshlrev_b64 v[0:1], 3, v[4:5]
	v_mov_b32_e32 v7, s15
	v_add_co_u32_e32 v0, vcc, s14, v0
	v_addc_co_u32_e32 v1, vcc, v7, v1, vcc
	v_lshlrev_b64 v[8:9], 2, v[4:5]
	v_mov_b32_e32 v5, s11
	v_add_co_u32_e32 v8, vcc, s10, v8
	s_mov_b64 s[4:5], exec
	v_addc_co_u32_e32 v9, vcc, v5, v9, vcc
	s_waitcnt vmcnt(0)
	global_store_dword v[8:9], v6, off
.LBB763_5:
	s_or_b64 exec, exec, s[12:13]
	s_and_b64 vcc, exec, s[6:7]
	s_cbranch_vccnz .LBB763_8
	s_branch .LBB763_9
.LBB763_6:
	s_mov_b64 s[4:5], 0
                                        ; implicit-def: $vgpr0_vgpr1
	s_cbranch_execnz .LBB763_10
	s_branch .LBB763_24
.LBB763_7:
	s_mov_b64 s[4:5], 0
                                        ; implicit-def: $vgpr0_vgpr1
	s_cbranch_execz .LBB763_9
.LBB763_8:
	v_mov_b32_e32 v5, 0
	v_lshlrev_b64 v[0:1], 2, v[4:5]
	v_mov_b32_e32 v7, s11
	v_add_co_u32_e32 v0, vcc, s10, v0
	v_addc_co_u32_e32 v1, vcc, v7, v1, vcc
	s_waitcnt vmcnt(0)
	global_store_dword v[0:1], v6, off
	v_lshlrev_b64 v[0:1], 3, v[4:5]
	v_mov_b32_e32 v5, s15
	v_add_co_u32_e32 v0, vcc, s14, v0
	v_addc_co_u32_e32 v1, vcc, v5, v1, vcc
	s_or_b64 s[4:5], s[4:5], exec
.LBB763_9:
	s_branch .LBB763_24
.LBB763_10:
	s_min_u32 s12, s19, s20
	s_add_i32 s6, s12, s21
	s_min_u32 s13, s6, s20
	s_min_u32 s6, s22, s12
	s_add_i32 s22, s22, s12
	v_subrev_u32_e32 v0, s22, v4
	v_add_u32_e32 v4, s6, v0
	s_and_b64 vcc, exec, s[16:17]
	s_cbranch_vccz .LBB763_18
; %bb.11:
                                        ; implicit-def: $vgpr0_vgpr1
	s_and_saveexec_b64 s[6:7], s[2:3]
	s_cbranch_execz .LBB763_17
; %bb.12:
	s_cmp_ge_u32 s19, s13
	v_mov_b32_e32 v5, s12
	s_cbranch_scc1 .LBB763_16
; %bb.13:
	s_mov_b64 s[2:3], 0
	v_mov_b32_e32 v7, s13
	v_mov_b32_e32 v5, s12
	;; [unrolled: 1-line block ×4, first 2 shown]
.LBB763_14:                             ; =>This Inner Loop Header: Depth=1
	v_add_u32_e32 v0, v5, v7
	v_lshrrev_b32_e32 v0, 1, v0
	v_lshlrev_b64 v[10:11], 2, v[0:1]
	v_add_co_u32_e32 v10, vcc, s8, v10
	v_addc_co_u32_e32 v11, vcc, v8, v11, vcc
	global_load_dword v9, v[10:11], off
	v_add_u32_e32 v10, 1, v0
	s_waitcnt vmcnt(0)
	v_cmp_gt_i32_e32 vcc, v6, v9
	v_cndmask_b32_e64 v11, 0, 1, vcc
	v_cmp_le_i32_e32 vcc, v9, v6
	v_cndmask_b32_e64 v9, 0, 1, vcc
	v_cndmask_b32_e64 v9, v9, v11, s[0:1]
	v_and_b32_e32 v9, 1, v9
	v_cmp_eq_u32_e32 vcc, 1, v9
	v_cndmask_b32_e32 v7, v0, v7, vcc
	v_cndmask_b32_e32 v5, v5, v10, vcc
	v_cmp_ge_u32_e32 vcc, v5, v7
	s_or_b64 s[2:3], vcc, s[2:3]
	s_andn2_b64 exec, exec, s[2:3]
	s_cbranch_execnz .LBB763_14
; %bb.15:
	s_or_b64 exec, exec, s[2:3]
.LBB763_16:
	v_add_u32_e32 v0, v5, v4
	v_mov_b32_e32 v1, 0
	v_lshlrev_b64 v[8:9], 2, v[0:1]
	v_mov_b32_e32 v5, s11
	v_add_co_u32_e32 v8, vcc, s10, v8
	v_addc_co_u32_e32 v9, vcc, v5, v9, vcc
	v_lshlrev_b64 v[0:1], 3, v[0:1]
	v_mov_b32_e32 v5, s15
	v_add_co_u32_e32 v0, vcc, s14, v0
	s_waitcnt vmcnt(0)
	global_store_dword v[8:9], v6, off
	v_addc_co_u32_e32 v1, vcc, v5, v1, vcc
	s_or_b64 s[4:5], s[4:5], exec
.LBB763_17:
	s_or_b64 exec, exec, s[6:7]
	s_branch .LBB763_24
.LBB763_18:
                                        ; implicit-def: $vgpr0_vgpr1
	s_cbranch_execz .LBB763_24
; %bb.19:
	s_cmp_ge_u32 s19, s13
	v_mov_b32_e32 v5, s12
	s_cbranch_scc1 .LBB763_23
; %bb.20:
	s_mov_b64 s[2:3], 0
	v_mov_b32_e32 v7, s13
	v_mov_b32_e32 v5, s12
	;; [unrolled: 1-line block ×4, first 2 shown]
.LBB763_21:                             ; =>This Inner Loop Header: Depth=1
	v_add_u32_e32 v0, v5, v7
	v_lshrrev_b32_e32 v0, 1, v0
	v_lshlrev_b64 v[10:11], 2, v[0:1]
	v_add_co_u32_e32 v10, vcc, s8, v10
	v_addc_co_u32_e32 v11, vcc, v8, v11, vcc
	global_load_dword v9, v[10:11], off
	v_add_u32_e32 v10, 1, v0
	s_waitcnt vmcnt(0)
	v_cmp_gt_i32_e32 vcc, v6, v9
	v_cndmask_b32_e64 v11, 0, 1, vcc
	v_cmp_le_i32_e32 vcc, v9, v6
	v_cndmask_b32_e64 v9, 0, 1, vcc
	v_cndmask_b32_e64 v9, v9, v11, s[0:1]
	v_and_b32_e32 v9, 1, v9
	v_cmp_eq_u32_e32 vcc, 1, v9
	v_cndmask_b32_e32 v7, v0, v7, vcc
	v_cndmask_b32_e32 v5, v5, v10, vcc
	v_cmp_ge_u32_e32 vcc, v5, v7
	s_or_b64 s[2:3], vcc, s[2:3]
	s_andn2_b64 exec, exec, s[2:3]
	s_cbranch_execnz .LBB763_21
; %bb.22:
	s_or_b64 exec, exec, s[2:3]
.LBB763_23:
	v_add_u32_e32 v0, v5, v4
	v_mov_b32_e32 v1, 0
	v_lshlrev_b64 v[4:5], 2, v[0:1]
	v_mov_b32_e32 v7, s11
	v_add_co_u32_e32 v4, vcc, s10, v4
	v_addc_co_u32_e32 v5, vcc, v7, v5, vcc
	v_lshlrev_b64 v[0:1], 3, v[0:1]
	s_waitcnt vmcnt(0)
	global_store_dword v[4:5], v6, off
	v_mov_b32_e32 v4, s15
	v_add_co_u32_e32 v0, vcc, s14, v0
	v_addc_co_u32_e32 v1, vcc, v4, v1, vcc
	s_mov_b64 s[4:5], -1
.LBB763_24:
	s_and_b64 exec, exec, s[4:5]
	s_cbranch_execz .LBB763_26
; %bb.25:
	s_waitcnt vmcnt(1)
	global_store_dwordx2 v[0:1], v[2:3], off
.LBB763_26:
	s_endpgm
	.section	.rodata,"a",@progbits
	.p2align	6, 0x0
	.amdhsa_kernel _ZN7rocprim17ROCPRIM_400000_NS6detail17trampoline_kernelINS0_14default_configENS1_38merge_sort_block_merge_config_selectorIilEEZZNS1_27merge_sort_block_merge_implIS3_PiN6thrust23THRUST_200600_302600_NS10device_ptrIlEEjNS1_19radix_merge_compareILb0ELb0EiNS0_19identity_decomposerEEEEE10hipError_tT0_T1_T2_jT3_P12ihipStream_tbPNSt15iterator_traitsISG_E10value_typeEPNSM_ISH_E10value_typeEPSI_NS1_7vsmem_tEENKUlT_SG_SH_SI_E_clIS7_S7_PlSB_EESF_SV_SG_SH_SI_EUlSV_E1_NS1_11comp_targetILNS1_3genE4ELNS1_11target_archE910ELNS1_3gpuE8ELNS1_3repE0EEENS1_36merge_oddeven_config_static_selectorELNS0_4arch9wavefront6targetE1EEEvSH_
		.amdhsa_group_segment_fixed_size 0
		.amdhsa_private_segment_fixed_size 0
		.amdhsa_kernarg_size 48
		.amdhsa_user_sgpr_count 6
		.amdhsa_user_sgpr_private_segment_buffer 1
		.amdhsa_user_sgpr_dispatch_ptr 0
		.amdhsa_user_sgpr_queue_ptr 0
		.amdhsa_user_sgpr_kernarg_segment_ptr 1
		.amdhsa_user_sgpr_dispatch_id 0
		.amdhsa_user_sgpr_flat_scratch_init 0
		.amdhsa_user_sgpr_kernarg_preload_length 0
		.amdhsa_user_sgpr_kernarg_preload_offset 0
		.amdhsa_user_sgpr_private_segment_size 0
		.amdhsa_uses_dynamic_stack 0
		.amdhsa_system_sgpr_private_segment_wavefront_offset 0
		.amdhsa_system_sgpr_workgroup_id_x 1
		.amdhsa_system_sgpr_workgroup_id_y 0
		.amdhsa_system_sgpr_workgroup_id_z 0
		.amdhsa_system_sgpr_workgroup_info 0
		.amdhsa_system_vgpr_workitem_id 0
		.amdhsa_next_free_vgpr 12
		.amdhsa_next_free_sgpr 24
		.amdhsa_accum_offset 12
		.amdhsa_reserve_vcc 1
		.amdhsa_reserve_flat_scratch 0
		.amdhsa_float_round_mode_32 0
		.amdhsa_float_round_mode_16_64 0
		.amdhsa_float_denorm_mode_32 3
		.amdhsa_float_denorm_mode_16_64 3
		.amdhsa_dx10_clamp 1
		.amdhsa_ieee_mode 1
		.amdhsa_fp16_overflow 0
		.amdhsa_tg_split 0
		.amdhsa_exception_fp_ieee_invalid_op 0
		.amdhsa_exception_fp_denorm_src 0
		.amdhsa_exception_fp_ieee_div_zero 0
		.amdhsa_exception_fp_ieee_overflow 0
		.amdhsa_exception_fp_ieee_underflow 0
		.amdhsa_exception_fp_ieee_inexact 0
		.amdhsa_exception_int_div_zero 0
	.end_amdhsa_kernel
	.section	.text._ZN7rocprim17ROCPRIM_400000_NS6detail17trampoline_kernelINS0_14default_configENS1_38merge_sort_block_merge_config_selectorIilEEZZNS1_27merge_sort_block_merge_implIS3_PiN6thrust23THRUST_200600_302600_NS10device_ptrIlEEjNS1_19radix_merge_compareILb0ELb0EiNS0_19identity_decomposerEEEEE10hipError_tT0_T1_T2_jT3_P12ihipStream_tbPNSt15iterator_traitsISG_E10value_typeEPNSM_ISH_E10value_typeEPSI_NS1_7vsmem_tEENKUlT_SG_SH_SI_E_clIS7_S7_PlSB_EESF_SV_SG_SH_SI_EUlSV_E1_NS1_11comp_targetILNS1_3genE4ELNS1_11target_archE910ELNS1_3gpuE8ELNS1_3repE0EEENS1_36merge_oddeven_config_static_selectorELNS0_4arch9wavefront6targetE1EEEvSH_,"axG",@progbits,_ZN7rocprim17ROCPRIM_400000_NS6detail17trampoline_kernelINS0_14default_configENS1_38merge_sort_block_merge_config_selectorIilEEZZNS1_27merge_sort_block_merge_implIS3_PiN6thrust23THRUST_200600_302600_NS10device_ptrIlEEjNS1_19radix_merge_compareILb0ELb0EiNS0_19identity_decomposerEEEEE10hipError_tT0_T1_T2_jT3_P12ihipStream_tbPNSt15iterator_traitsISG_E10value_typeEPNSM_ISH_E10value_typeEPSI_NS1_7vsmem_tEENKUlT_SG_SH_SI_E_clIS7_S7_PlSB_EESF_SV_SG_SH_SI_EUlSV_E1_NS1_11comp_targetILNS1_3genE4ELNS1_11target_archE910ELNS1_3gpuE8ELNS1_3repE0EEENS1_36merge_oddeven_config_static_selectorELNS0_4arch9wavefront6targetE1EEEvSH_,comdat
.Lfunc_end763:
	.size	_ZN7rocprim17ROCPRIM_400000_NS6detail17trampoline_kernelINS0_14default_configENS1_38merge_sort_block_merge_config_selectorIilEEZZNS1_27merge_sort_block_merge_implIS3_PiN6thrust23THRUST_200600_302600_NS10device_ptrIlEEjNS1_19radix_merge_compareILb0ELb0EiNS0_19identity_decomposerEEEEE10hipError_tT0_T1_T2_jT3_P12ihipStream_tbPNSt15iterator_traitsISG_E10value_typeEPNSM_ISH_E10value_typeEPSI_NS1_7vsmem_tEENKUlT_SG_SH_SI_E_clIS7_S7_PlSB_EESF_SV_SG_SH_SI_EUlSV_E1_NS1_11comp_targetILNS1_3genE4ELNS1_11target_archE910ELNS1_3gpuE8ELNS1_3repE0EEENS1_36merge_oddeven_config_static_selectorELNS0_4arch9wavefront6targetE1EEEvSH_, .Lfunc_end763-_ZN7rocprim17ROCPRIM_400000_NS6detail17trampoline_kernelINS0_14default_configENS1_38merge_sort_block_merge_config_selectorIilEEZZNS1_27merge_sort_block_merge_implIS3_PiN6thrust23THRUST_200600_302600_NS10device_ptrIlEEjNS1_19radix_merge_compareILb0ELb0EiNS0_19identity_decomposerEEEEE10hipError_tT0_T1_T2_jT3_P12ihipStream_tbPNSt15iterator_traitsISG_E10value_typeEPNSM_ISH_E10value_typeEPSI_NS1_7vsmem_tEENKUlT_SG_SH_SI_E_clIS7_S7_PlSB_EESF_SV_SG_SH_SI_EUlSV_E1_NS1_11comp_targetILNS1_3genE4ELNS1_11target_archE910ELNS1_3gpuE8ELNS1_3repE0EEENS1_36merge_oddeven_config_static_selectorELNS0_4arch9wavefront6targetE1EEEvSH_
                                        ; -- End function
	.section	.AMDGPU.csdata,"",@progbits
; Kernel info:
; codeLenInByte = 868
; NumSgprs: 28
; NumVgprs: 12
; NumAgprs: 0
; TotalNumVgprs: 12
; ScratchSize: 0
; MemoryBound: 0
; FloatMode: 240
; IeeeMode: 1
; LDSByteSize: 0 bytes/workgroup (compile time only)
; SGPRBlocks: 3
; VGPRBlocks: 1
; NumSGPRsForWavesPerEU: 28
; NumVGPRsForWavesPerEU: 12
; AccumOffset: 12
; Occupancy: 8
; WaveLimiterHint : 0
; COMPUTE_PGM_RSRC2:SCRATCH_EN: 0
; COMPUTE_PGM_RSRC2:USER_SGPR: 6
; COMPUTE_PGM_RSRC2:TRAP_HANDLER: 0
; COMPUTE_PGM_RSRC2:TGID_X_EN: 1
; COMPUTE_PGM_RSRC2:TGID_Y_EN: 0
; COMPUTE_PGM_RSRC2:TGID_Z_EN: 0
; COMPUTE_PGM_RSRC2:TIDIG_COMP_CNT: 0
; COMPUTE_PGM_RSRC3_GFX90A:ACCUM_OFFSET: 2
; COMPUTE_PGM_RSRC3_GFX90A:TG_SPLIT: 0
	.section	.text._ZN7rocprim17ROCPRIM_400000_NS6detail17trampoline_kernelINS0_14default_configENS1_38merge_sort_block_merge_config_selectorIilEEZZNS1_27merge_sort_block_merge_implIS3_PiN6thrust23THRUST_200600_302600_NS10device_ptrIlEEjNS1_19radix_merge_compareILb0ELb0EiNS0_19identity_decomposerEEEEE10hipError_tT0_T1_T2_jT3_P12ihipStream_tbPNSt15iterator_traitsISG_E10value_typeEPNSM_ISH_E10value_typeEPSI_NS1_7vsmem_tEENKUlT_SG_SH_SI_E_clIS7_S7_PlSB_EESF_SV_SG_SH_SI_EUlSV_E1_NS1_11comp_targetILNS1_3genE3ELNS1_11target_archE908ELNS1_3gpuE7ELNS1_3repE0EEENS1_36merge_oddeven_config_static_selectorELNS0_4arch9wavefront6targetE1EEEvSH_,"axG",@progbits,_ZN7rocprim17ROCPRIM_400000_NS6detail17trampoline_kernelINS0_14default_configENS1_38merge_sort_block_merge_config_selectorIilEEZZNS1_27merge_sort_block_merge_implIS3_PiN6thrust23THRUST_200600_302600_NS10device_ptrIlEEjNS1_19radix_merge_compareILb0ELb0EiNS0_19identity_decomposerEEEEE10hipError_tT0_T1_T2_jT3_P12ihipStream_tbPNSt15iterator_traitsISG_E10value_typeEPNSM_ISH_E10value_typeEPSI_NS1_7vsmem_tEENKUlT_SG_SH_SI_E_clIS7_S7_PlSB_EESF_SV_SG_SH_SI_EUlSV_E1_NS1_11comp_targetILNS1_3genE3ELNS1_11target_archE908ELNS1_3gpuE7ELNS1_3repE0EEENS1_36merge_oddeven_config_static_selectorELNS0_4arch9wavefront6targetE1EEEvSH_,comdat
	.protected	_ZN7rocprim17ROCPRIM_400000_NS6detail17trampoline_kernelINS0_14default_configENS1_38merge_sort_block_merge_config_selectorIilEEZZNS1_27merge_sort_block_merge_implIS3_PiN6thrust23THRUST_200600_302600_NS10device_ptrIlEEjNS1_19radix_merge_compareILb0ELb0EiNS0_19identity_decomposerEEEEE10hipError_tT0_T1_T2_jT3_P12ihipStream_tbPNSt15iterator_traitsISG_E10value_typeEPNSM_ISH_E10value_typeEPSI_NS1_7vsmem_tEENKUlT_SG_SH_SI_E_clIS7_S7_PlSB_EESF_SV_SG_SH_SI_EUlSV_E1_NS1_11comp_targetILNS1_3genE3ELNS1_11target_archE908ELNS1_3gpuE7ELNS1_3repE0EEENS1_36merge_oddeven_config_static_selectorELNS0_4arch9wavefront6targetE1EEEvSH_ ; -- Begin function _ZN7rocprim17ROCPRIM_400000_NS6detail17trampoline_kernelINS0_14default_configENS1_38merge_sort_block_merge_config_selectorIilEEZZNS1_27merge_sort_block_merge_implIS3_PiN6thrust23THRUST_200600_302600_NS10device_ptrIlEEjNS1_19radix_merge_compareILb0ELb0EiNS0_19identity_decomposerEEEEE10hipError_tT0_T1_T2_jT3_P12ihipStream_tbPNSt15iterator_traitsISG_E10value_typeEPNSM_ISH_E10value_typeEPSI_NS1_7vsmem_tEENKUlT_SG_SH_SI_E_clIS7_S7_PlSB_EESF_SV_SG_SH_SI_EUlSV_E1_NS1_11comp_targetILNS1_3genE3ELNS1_11target_archE908ELNS1_3gpuE7ELNS1_3repE0EEENS1_36merge_oddeven_config_static_selectorELNS0_4arch9wavefront6targetE1EEEvSH_
	.globl	_ZN7rocprim17ROCPRIM_400000_NS6detail17trampoline_kernelINS0_14default_configENS1_38merge_sort_block_merge_config_selectorIilEEZZNS1_27merge_sort_block_merge_implIS3_PiN6thrust23THRUST_200600_302600_NS10device_ptrIlEEjNS1_19radix_merge_compareILb0ELb0EiNS0_19identity_decomposerEEEEE10hipError_tT0_T1_T2_jT3_P12ihipStream_tbPNSt15iterator_traitsISG_E10value_typeEPNSM_ISH_E10value_typeEPSI_NS1_7vsmem_tEENKUlT_SG_SH_SI_E_clIS7_S7_PlSB_EESF_SV_SG_SH_SI_EUlSV_E1_NS1_11comp_targetILNS1_3genE3ELNS1_11target_archE908ELNS1_3gpuE7ELNS1_3repE0EEENS1_36merge_oddeven_config_static_selectorELNS0_4arch9wavefront6targetE1EEEvSH_
	.p2align	8
	.type	_ZN7rocprim17ROCPRIM_400000_NS6detail17trampoline_kernelINS0_14default_configENS1_38merge_sort_block_merge_config_selectorIilEEZZNS1_27merge_sort_block_merge_implIS3_PiN6thrust23THRUST_200600_302600_NS10device_ptrIlEEjNS1_19radix_merge_compareILb0ELb0EiNS0_19identity_decomposerEEEEE10hipError_tT0_T1_T2_jT3_P12ihipStream_tbPNSt15iterator_traitsISG_E10value_typeEPNSM_ISH_E10value_typeEPSI_NS1_7vsmem_tEENKUlT_SG_SH_SI_E_clIS7_S7_PlSB_EESF_SV_SG_SH_SI_EUlSV_E1_NS1_11comp_targetILNS1_3genE3ELNS1_11target_archE908ELNS1_3gpuE7ELNS1_3repE0EEENS1_36merge_oddeven_config_static_selectorELNS0_4arch9wavefront6targetE1EEEvSH_,@function
_ZN7rocprim17ROCPRIM_400000_NS6detail17trampoline_kernelINS0_14default_configENS1_38merge_sort_block_merge_config_selectorIilEEZZNS1_27merge_sort_block_merge_implIS3_PiN6thrust23THRUST_200600_302600_NS10device_ptrIlEEjNS1_19radix_merge_compareILb0ELb0EiNS0_19identity_decomposerEEEEE10hipError_tT0_T1_T2_jT3_P12ihipStream_tbPNSt15iterator_traitsISG_E10value_typeEPNSM_ISH_E10value_typeEPSI_NS1_7vsmem_tEENKUlT_SG_SH_SI_E_clIS7_S7_PlSB_EESF_SV_SG_SH_SI_EUlSV_E1_NS1_11comp_targetILNS1_3genE3ELNS1_11target_archE908ELNS1_3gpuE7ELNS1_3repE0EEENS1_36merge_oddeven_config_static_selectorELNS0_4arch9wavefront6targetE1EEEvSH_: ; @_ZN7rocprim17ROCPRIM_400000_NS6detail17trampoline_kernelINS0_14default_configENS1_38merge_sort_block_merge_config_selectorIilEEZZNS1_27merge_sort_block_merge_implIS3_PiN6thrust23THRUST_200600_302600_NS10device_ptrIlEEjNS1_19radix_merge_compareILb0ELb0EiNS0_19identity_decomposerEEEEE10hipError_tT0_T1_T2_jT3_P12ihipStream_tbPNSt15iterator_traitsISG_E10value_typeEPNSM_ISH_E10value_typeEPSI_NS1_7vsmem_tEENKUlT_SG_SH_SI_E_clIS7_S7_PlSB_EESF_SV_SG_SH_SI_EUlSV_E1_NS1_11comp_targetILNS1_3genE3ELNS1_11target_archE908ELNS1_3gpuE7ELNS1_3repE0EEENS1_36merge_oddeven_config_static_selectorELNS0_4arch9wavefront6targetE1EEEvSH_
; %bb.0:
	.section	.rodata,"a",@progbits
	.p2align	6, 0x0
	.amdhsa_kernel _ZN7rocprim17ROCPRIM_400000_NS6detail17trampoline_kernelINS0_14default_configENS1_38merge_sort_block_merge_config_selectorIilEEZZNS1_27merge_sort_block_merge_implIS3_PiN6thrust23THRUST_200600_302600_NS10device_ptrIlEEjNS1_19radix_merge_compareILb0ELb0EiNS0_19identity_decomposerEEEEE10hipError_tT0_T1_T2_jT3_P12ihipStream_tbPNSt15iterator_traitsISG_E10value_typeEPNSM_ISH_E10value_typeEPSI_NS1_7vsmem_tEENKUlT_SG_SH_SI_E_clIS7_S7_PlSB_EESF_SV_SG_SH_SI_EUlSV_E1_NS1_11comp_targetILNS1_3genE3ELNS1_11target_archE908ELNS1_3gpuE7ELNS1_3repE0EEENS1_36merge_oddeven_config_static_selectorELNS0_4arch9wavefront6targetE1EEEvSH_
		.amdhsa_group_segment_fixed_size 0
		.amdhsa_private_segment_fixed_size 0
		.amdhsa_kernarg_size 48
		.amdhsa_user_sgpr_count 6
		.amdhsa_user_sgpr_private_segment_buffer 1
		.amdhsa_user_sgpr_dispatch_ptr 0
		.amdhsa_user_sgpr_queue_ptr 0
		.amdhsa_user_sgpr_kernarg_segment_ptr 1
		.amdhsa_user_sgpr_dispatch_id 0
		.amdhsa_user_sgpr_flat_scratch_init 0
		.amdhsa_user_sgpr_kernarg_preload_length 0
		.amdhsa_user_sgpr_kernarg_preload_offset 0
		.amdhsa_user_sgpr_private_segment_size 0
		.amdhsa_uses_dynamic_stack 0
		.amdhsa_system_sgpr_private_segment_wavefront_offset 0
		.amdhsa_system_sgpr_workgroup_id_x 1
		.amdhsa_system_sgpr_workgroup_id_y 0
		.amdhsa_system_sgpr_workgroup_id_z 0
		.amdhsa_system_sgpr_workgroup_info 0
		.amdhsa_system_vgpr_workitem_id 0
		.amdhsa_next_free_vgpr 1
		.amdhsa_next_free_sgpr 0
		.amdhsa_accum_offset 4
		.amdhsa_reserve_vcc 0
		.amdhsa_reserve_flat_scratch 0
		.amdhsa_float_round_mode_32 0
		.amdhsa_float_round_mode_16_64 0
		.amdhsa_float_denorm_mode_32 3
		.amdhsa_float_denorm_mode_16_64 3
		.amdhsa_dx10_clamp 1
		.amdhsa_ieee_mode 1
		.amdhsa_fp16_overflow 0
		.amdhsa_tg_split 0
		.amdhsa_exception_fp_ieee_invalid_op 0
		.amdhsa_exception_fp_denorm_src 0
		.amdhsa_exception_fp_ieee_div_zero 0
		.amdhsa_exception_fp_ieee_overflow 0
		.amdhsa_exception_fp_ieee_underflow 0
		.amdhsa_exception_fp_ieee_inexact 0
		.amdhsa_exception_int_div_zero 0
	.end_amdhsa_kernel
	.section	.text._ZN7rocprim17ROCPRIM_400000_NS6detail17trampoline_kernelINS0_14default_configENS1_38merge_sort_block_merge_config_selectorIilEEZZNS1_27merge_sort_block_merge_implIS3_PiN6thrust23THRUST_200600_302600_NS10device_ptrIlEEjNS1_19radix_merge_compareILb0ELb0EiNS0_19identity_decomposerEEEEE10hipError_tT0_T1_T2_jT3_P12ihipStream_tbPNSt15iterator_traitsISG_E10value_typeEPNSM_ISH_E10value_typeEPSI_NS1_7vsmem_tEENKUlT_SG_SH_SI_E_clIS7_S7_PlSB_EESF_SV_SG_SH_SI_EUlSV_E1_NS1_11comp_targetILNS1_3genE3ELNS1_11target_archE908ELNS1_3gpuE7ELNS1_3repE0EEENS1_36merge_oddeven_config_static_selectorELNS0_4arch9wavefront6targetE1EEEvSH_,"axG",@progbits,_ZN7rocprim17ROCPRIM_400000_NS6detail17trampoline_kernelINS0_14default_configENS1_38merge_sort_block_merge_config_selectorIilEEZZNS1_27merge_sort_block_merge_implIS3_PiN6thrust23THRUST_200600_302600_NS10device_ptrIlEEjNS1_19radix_merge_compareILb0ELb0EiNS0_19identity_decomposerEEEEE10hipError_tT0_T1_T2_jT3_P12ihipStream_tbPNSt15iterator_traitsISG_E10value_typeEPNSM_ISH_E10value_typeEPSI_NS1_7vsmem_tEENKUlT_SG_SH_SI_E_clIS7_S7_PlSB_EESF_SV_SG_SH_SI_EUlSV_E1_NS1_11comp_targetILNS1_3genE3ELNS1_11target_archE908ELNS1_3gpuE7ELNS1_3repE0EEENS1_36merge_oddeven_config_static_selectorELNS0_4arch9wavefront6targetE1EEEvSH_,comdat
.Lfunc_end764:
	.size	_ZN7rocprim17ROCPRIM_400000_NS6detail17trampoline_kernelINS0_14default_configENS1_38merge_sort_block_merge_config_selectorIilEEZZNS1_27merge_sort_block_merge_implIS3_PiN6thrust23THRUST_200600_302600_NS10device_ptrIlEEjNS1_19radix_merge_compareILb0ELb0EiNS0_19identity_decomposerEEEEE10hipError_tT0_T1_T2_jT3_P12ihipStream_tbPNSt15iterator_traitsISG_E10value_typeEPNSM_ISH_E10value_typeEPSI_NS1_7vsmem_tEENKUlT_SG_SH_SI_E_clIS7_S7_PlSB_EESF_SV_SG_SH_SI_EUlSV_E1_NS1_11comp_targetILNS1_3genE3ELNS1_11target_archE908ELNS1_3gpuE7ELNS1_3repE0EEENS1_36merge_oddeven_config_static_selectorELNS0_4arch9wavefront6targetE1EEEvSH_, .Lfunc_end764-_ZN7rocprim17ROCPRIM_400000_NS6detail17trampoline_kernelINS0_14default_configENS1_38merge_sort_block_merge_config_selectorIilEEZZNS1_27merge_sort_block_merge_implIS3_PiN6thrust23THRUST_200600_302600_NS10device_ptrIlEEjNS1_19radix_merge_compareILb0ELb0EiNS0_19identity_decomposerEEEEE10hipError_tT0_T1_T2_jT3_P12ihipStream_tbPNSt15iterator_traitsISG_E10value_typeEPNSM_ISH_E10value_typeEPSI_NS1_7vsmem_tEENKUlT_SG_SH_SI_E_clIS7_S7_PlSB_EESF_SV_SG_SH_SI_EUlSV_E1_NS1_11comp_targetILNS1_3genE3ELNS1_11target_archE908ELNS1_3gpuE7ELNS1_3repE0EEENS1_36merge_oddeven_config_static_selectorELNS0_4arch9wavefront6targetE1EEEvSH_
                                        ; -- End function
	.section	.AMDGPU.csdata,"",@progbits
; Kernel info:
; codeLenInByte = 0
; NumSgprs: 4
; NumVgprs: 0
; NumAgprs: 0
; TotalNumVgprs: 0
; ScratchSize: 0
; MemoryBound: 0
; FloatMode: 240
; IeeeMode: 1
; LDSByteSize: 0 bytes/workgroup (compile time only)
; SGPRBlocks: 0
; VGPRBlocks: 0
; NumSGPRsForWavesPerEU: 4
; NumVGPRsForWavesPerEU: 1
; AccumOffset: 4
; Occupancy: 8
; WaveLimiterHint : 0
; COMPUTE_PGM_RSRC2:SCRATCH_EN: 0
; COMPUTE_PGM_RSRC2:USER_SGPR: 6
; COMPUTE_PGM_RSRC2:TRAP_HANDLER: 0
; COMPUTE_PGM_RSRC2:TGID_X_EN: 1
; COMPUTE_PGM_RSRC2:TGID_Y_EN: 0
; COMPUTE_PGM_RSRC2:TGID_Z_EN: 0
; COMPUTE_PGM_RSRC2:TIDIG_COMP_CNT: 0
; COMPUTE_PGM_RSRC3_GFX90A:ACCUM_OFFSET: 0
; COMPUTE_PGM_RSRC3_GFX90A:TG_SPLIT: 0
	.section	.text._ZN7rocprim17ROCPRIM_400000_NS6detail17trampoline_kernelINS0_14default_configENS1_38merge_sort_block_merge_config_selectorIilEEZZNS1_27merge_sort_block_merge_implIS3_PiN6thrust23THRUST_200600_302600_NS10device_ptrIlEEjNS1_19radix_merge_compareILb0ELb0EiNS0_19identity_decomposerEEEEE10hipError_tT0_T1_T2_jT3_P12ihipStream_tbPNSt15iterator_traitsISG_E10value_typeEPNSM_ISH_E10value_typeEPSI_NS1_7vsmem_tEENKUlT_SG_SH_SI_E_clIS7_S7_PlSB_EESF_SV_SG_SH_SI_EUlSV_E1_NS1_11comp_targetILNS1_3genE2ELNS1_11target_archE906ELNS1_3gpuE6ELNS1_3repE0EEENS1_36merge_oddeven_config_static_selectorELNS0_4arch9wavefront6targetE1EEEvSH_,"axG",@progbits,_ZN7rocprim17ROCPRIM_400000_NS6detail17trampoline_kernelINS0_14default_configENS1_38merge_sort_block_merge_config_selectorIilEEZZNS1_27merge_sort_block_merge_implIS3_PiN6thrust23THRUST_200600_302600_NS10device_ptrIlEEjNS1_19radix_merge_compareILb0ELb0EiNS0_19identity_decomposerEEEEE10hipError_tT0_T1_T2_jT3_P12ihipStream_tbPNSt15iterator_traitsISG_E10value_typeEPNSM_ISH_E10value_typeEPSI_NS1_7vsmem_tEENKUlT_SG_SH_SI_E_clIS7_S7_PlSB_EESF_SV_SG_SH_SI_EUlSV_E1_NS1_11comp_targetILNS1_3genE2ELNS1_11target_archE906ELNS1_3gpuE6ELNS1_3repE0EEENS1_36merge_oddeven_config_static_selectorELNS0_4arch9wavefront6targetE1EEEvSH_,comdat
	.protected	_ZN7rocprim17ROCPRIM_400000_NS6detail17trampoline_kernelINS0_14default_configENS1_38merge_sort_block_merge_config_selectorIilEEZZNS1_27merge_sort_block_merge_implIS3_PiN6thrust23THRUST_200600_302600_NS10device_ptrIlEEjNS1_19radix_merge_compareILb0ELb0EiNS0_19identity_decomposerEEEEE10hipError_tT0_T1_T2_jT3_P12ihipStream_tbPNSt15iterator_traitsISG_E10value_typeEPNSM_ISH_E10value_typeEPSI_NS1_7vsmem_tEENKUlT_SG_SH_SI_E_clIS7_S7_PlSB_EESF_SV_SG_SH_SI_EUlSV_E1_NS1_11comp_targetILNS1_3genE2ELNS1_11target_archE906ELNS1_3gpuE6ELNS1_3repE0EEENS1_36merge_oddeven_config_static_selectorELNS0_4arch9wavefront6targetE1EEEvSH_ ; -- Begin function _ZN7rocprim17ROCPRIM_400000_NS6detail17trampoline_kernelINS0_14default_configENS1_38merge_sort_block_merge_config_selectorIilEEZZNS1_27merge_sort_block_merge_implIS3_PiN6thrust23THRUST_200600_302600_NS10device_ptrIlEEjNS1_19radix_merge_compareILb0ELb0EiNS0_19identity_decomposerEEEEE10hipError_tT0_T1_T2_jT3_P12ihipStream_tbPNSt15iterator_traitsISG_E10value_typeEPNSM_ISH_E10value_typeEPSI_NS1_7vsmem_tEENKUlT_SG_SH_SI_E_clIS7_S7_PlSB_EESF_SV_SG_SH_SI_EUlSV_E1_NS1_11comp_targetILNS1_3genE2ELNS1_11target_archE906ELNS1_3gpuE6ELNS1_3repE0EEENS1_36merge_oddeven_config_static_selectorELNS0_4arch9wavefront6targetE1EEEvSH_
	.globl	_ZN7rocprim17ROCPRIM_400000_NS6detail17trampoline_kernelINS0_14default_configENS1_38merge_sort_block_merge_config_selectorIilEEZZNS1_27merge_sort_block_merge_implIS3_PiN6thrust23THRUST_200600_302600_NS10device_ptrIlEEjNS1_19radix_merge_compareILb0ELb0EiNS0_19identity_decomposerEEEEE10hipError_tT0_T1_T2_jT3_P12ihipStream_tbPNSt15iterator_traitsISG_E10value_typeEPNSM_ISH_E10value_typeEPSI_NS1_7vsmem_tEENKUlT_SG_SH_SI_E_clIS7_S7_PlSB_EESF_SV_SG_SH_SI_EUlSV_E1_NS1_11comp_targetILNS1_3genE2ELNS1_11target_archE906ELNS1_3gpuE6ELNS1_3repE0EEENS1_36merge_oddeven_config_static_selectorELNS0_4arch9wavefront6targetE1EEEvSH_
	.p2align	8
	.type	_ZN7rocprim17ROCPRIM_400000_NS6detail17trampoline_kernelINS0_14default_configENS1_38merge_sort_block_merge_config_selectorIilEEZZNS1_27merge_sort_block_merge_implIS3_PiN6thrust23THRUST_200600_302600_NS10device_ptrIlEEjNS1_19radix_merge_compareILb0ELb0EiNS0_19identity_decomposerEEEEE10hipError_tT0_T1_T2_jT3_P12ihipStream_tbPNSt15iterator_traitsISG_E10value_typeEPNSM_ISH_E10value_typeEPSI_NS1_7vsmem_tEENKUlT_SG_SH_SI_E_clIS7_S7_PlSB_EESF_SV_SG_SH_SI_EUlSV_E1_NS1_11comp_targetILNS1_3genE2ELNS1_11target_archE906ELNS1_3gpuE6ELNS1_3repE0EEENS1_36merge_oddeven_config_static_selectorELNS0_4arch9wavefront6targetE1EEEvSH_,@function
_ZN7rocprim17ROCPRIM_400000_NS6detail17trampoline_kernelINS0_14default_configENS1_38merge_sort_block_merge_config_selectorIilEEZZNS1_27merge_sort_block_merge_implIS3_PiN6thrust23THRUST_200600_302600_NS10device_ptrIlEEjNS1_19radix_merge_compareILb0ELb0EiNS0_19identity_decomposerEEEEE10hipError_tT0_T1_T2_jT3_P12ihipStream_tbPNSt15iterator_traitsISG_E10value_typeEPNSM_ISH_E10value_typeEPSI_NS1_7vsmem_tEENKUlT_SG_SH_SI_E_clIS7_S7_PlSB_EESF_SV_SG_SH_SI_EUlSV_E1_NS1_11comp_targetILNS1_3genE2ELNS1_11target_archE906ELNS1_3gpuE6ELNS1_3repE0EEENS1_36merge_oddeven_config_static_selectorELNS0_4arch9wavefront6targetE1EEEvSH_: ; @_ZN7rocprim17ROCPRIM_400000_NS6detail17trampoline_kernelINS0_14default_configENS1_38merge_sort_block_merge_config_selectorIilEEZZNS1_27merge_sort_block_merge_implIS3_PiN6thrust23THRUST_200600_302600_NS10device_ptrIlEEjNS1_19radix_merge_compareILb0ELb0EiNS0_19identity_decomposerEEEEE10hipError_tT0_T1_T2_jT3_P12ihipStream_tbPNSt15iterator_traitsISG_E10value_typeEPNSM_ISH_E10value_typeEPSI_NS1_7vsmem_tEENKUlT_SG_SH_SI_E_clIS7_S7_PlSB_EESF_SV_SG_SH_SI_EUlSV_E1_NS1_11comp_targetILNS1_3genE2ELNS1_11target_archE906ELNS1_3gpuE6ELNS1_3repE0EEENS1_36merge_oddeven_config_static_selectorELNS0_4arch9wavefront6targetE1EEEvSH_
; %bb.0:
	.section	.rodata,"a",@progbits
	.p2align	6, 0x0
	.amdhsa_kernel _ZN7rocprim17ROCPRIM_400000_NS6detail17trampoline_kernelINS0_14default_configENS1_38merge_sort_block_merge_config_selectorIilEEZZNS1_27merge_sort_block_merge_implIS3_PiN6thrust23THRUST_200600_302600_NS10device_ptrIlEEjNS1_19radix_merge_compareILb0ELb0EiNS0_19identity_decomposerEEEEE10hipError_tT0_T1_T2_jT3_P12ihipStream_tbPNSt15iterator_traitsISG_E10value_typeEPNSM_ISH_E10value_typeEPSI_NS1_7vsmem_tEENKUlT_SG_SH_SI_E_clIS7_S7_PlSB_EESF_SV_SG_SH_SI_EUlSV_E1_NS1_11comp_targetILNS1_3genE2ELNS1_11target_archE906ELNS1_3gpuE6ELNS1_3repE0EEENS1_36merge_oddeven_config_static_selectorELNS0_4arch9wavefront6targetE1EEEvSH_
		.amdhsa_group_segment_fixed_size 0
		.amdhsa_private_segment_fixed_size 0
		.amdhsa_kernarg_size 48
		.amdhsa_user_sgpr_count 6
		.amdhsa_user_sgpr_private_segment_buffer 1
		.amdhsa_user_sgpr_dispatch_ptr 0
		.amdhsa_user_sgpr_queue_ptr 0
		.amdhsa_user_sgpr_kernarg_segment_ptr 1
		.amdhsa_user_sgpr_dispatch_id 0
		.amdhsa_user_sgpr_flat_scratch_init 0
		.amdhsa_user_sgpr_kernarg_preload_length 0
		.amdhsa_user_sgpr_kernarg_preload_offset 0
		.amdhsa_user_sgpr_private_segment_size 0
		.amdhsa_uses_dynamic_stack 0
		.amdhsa_system_sgpr_private_segment_wavefront_offset 0
		.amdhsa_system_sgpr_workgroup_id_x 1
		.amdhsa_system_sgpr_workgroup_id_y 0
		.amdhsa_system_sgpr_workgroup_id_z 0
		.amdhsa_system_sgpr_workgroup_info 0
		.amdhsa_system_vgpr_workitem_id 0
		.amdhsa_next_free_vgpr 1
		.amdhsa_next_free_sgpr 0
		.amdhsa_accum_offset 4
		.amdhsa_reserve_vcc 0
		.amdhsa_reserve_flat_scratch 0
		.amdhsa_float_round_mode_32 0
		.amdhsa_float_round_mode_16_64 0
		.amdhsa_float_denorm_mode_32 3
		.amdhsa_float_denorm_mode_16_64 3
		.amdhsa_dx10_clamp 1
		.amdhsa_ieee_mode 1
		.amdhsa_fp16_overflow 0
		.amdhsa_tg_split 0
		.amdhsa_exception_fp_ieee_invalid_op 0
		.amdhsa_exception_fp_denorm_src 0
		.amdhsa_exception_fp_ieee_div_zero 0
		.amdhsa_exception_fp_ieee_overflow 0
		.amdhsa_exception_fp_ieee_underflow 0
		.amdhsa_exception_fp_ieee_inexact 0
		.amdhsa_exception_int_div_zero 0
	.end_amdhsa_kernel
	.section	.text._ZN7rocprim17ROCPRIM_400000_NS6detail17trampoline_kernelINS0_14default_configENS1_38merge_sort_block_merge_config_selectorIilEEZZNS1_27merge_sort_block_merge_implIS3_PiN6thrust23THRUST_200600_302600_NS10device_ptrIlEEjNS1_19radix_merge_compareILb0ELb0EiNS0_19identity_decomposerEEEEE10hipError_tT0_T1_T2_jT3_P12ihipStream_tbPNSt15iterator_traitsISG_E10value_typeEPNSM_ISH_E10value_typeEPSI_NS1_7vsmem_tEENKUlT_SG_SH_SI_E_clIS7_S7_PlSB_EESF_SV_SG_SH_SI_EUlSV_E1_NS1_11comp_targetILNS1_3genE2ELNS1_11target_archE906ELNS1_3gpuE6ELNS1_3repE0EEENS1_36merge_oddeven_config_static_selectorELNS0_4arch9wavefront6targetE1EEEvSH_,"axG",@progbits,_ZN7rocprim17ROCPRIM_400000_NS6detail17trampoline_kernelINS0_14default_configENS1_38merge_sort_block_merge_config_selectorIilEEZZNS1_27merge_sort_block_merge_implIS3_PiN6thrust23THRUST_200600_302600_NS10device_ptrIlEEjNS1_19radix_merge_compareILb0ELb0EiNS0_19identity_decomposerEEEEE10hipError_tT0_T1_T2_jT3_P12ihipStream_tbPNSt15iterator_traitsISG_E10value_typeEPNSM_ISH_E10value_typeEPSI_NS1_7vsmem_tEENKUlT_SG_SH_SI_E_clIS7_S7_PlSB_EESF_SV_SG_SH_SI_EUlSV_E1_NS1_11comp_targetILNS1_3genE2ELNS1_11target_archE906ELNS1_3gpuE6ELNS1_3repE0EEENS1_36merge_oddeven_config_static_selectorELNS0_4arch9wavefront6targetE1EEEvSH_,comdat
.Lfunc_end765:
	.size	_ZN7rocprim17ROCPRIM_400000_NS6detail17trampoline_kernelINS0_14default_configENS1_38merge_sort_block_merge_config_selectorIilEEZZNS1_27merge_sort_block_merge_implIS3_PiN6thrust23THRUST_200600_302600_NS10device_ptrIlEEjNS1_19radix_merge_compareILb0ELb0EiNS0_19identity_decomposerEEEEE10hipError_tT0_T1_T2_jT3_P12ihipStream_tbPNSt15iterator_traitsISG_E10value_typeEPNSM_ISH_E10value_typeEPSI_NS1_7vsmem_tEENKUlT_SG_SH_SI_E_clIS7_S7_PlSB_EESF_SV_SG_SH_SI_EUlSV_E1_NS1_11comp_targetILNS1_3genE2ELNS1_11target_archE906ELNS1_3gpuE6ELNS1_3repE0EEENS1_36merge_oddeven_config_static_selectorELNS0_4arch9wavefront6targetE1EEEvSH_, .Lfunc_end765-_ZN7rocprim17ROCPRIM_400000_NS6detail17trampoline_kernelINS0_14default_configENS1_38merge_sort_block_merge_config_selectorIilEEZZNS1_27merge_sort_block_merge_implIS3_PiN6thrust23THRUST_200600_302600_NS10device_ptrIlEEjNS1_19radix_merge_compareILb0ELb0EiNS0_19identity_decomposerEEEEE10hipError_tT0_T1_T2_jT3_P12ihipStream_tbPNSt15iterator_traitsISG_E10value_typeEPNSM_ISH_E10value_typeEPSI_NS1_7vsmem_tEENKUlT_SG_SH_SI_E_clIS7_S7_PlSB_EESF_SV_SG_SH_SI_EUlSV_E1_NS1_11comp_targetILNS1_3genE2ELNS1_11target_archE906ELNS1_3gpuE6ELNS1_3repE0EEENS1_36merge_oddeven_config_static_selectorELNS0_4arch9wavefront6targetE1EEEvSH_
                                        ; -- End function
	.section	.AMDGPU.csdata,"",@progbits
; Kernel info:
; codeLenInByte = 0
; NumSgprs: 4
; NumVgprs: 0
; NumAgprs: 0
; TotalNumVgprs: 0
; ScratchSize: 0
; MemoryBound: 0
; FloatMode: 240
; IeeeMode: 1
; LDSByteSize: 0 bytes/workgroup (compile time only)
; SGPRBlocks: 0
; VGPRBlocks: 0
; NumSGPRsForWavesPerEU: 4
; NumVGPRsForWavesPerEU: 1
; AccumOffset: 4
; Occupancy: 8
; WaveLimiterHint : 0
; COMPUTE_PGM_RSRC2:SCRATCH_EN: 0
; COMPUTE_PGM_RSRC2:USER_SGPR: 6
; COMPUTE_PGM_RSRC2:TRAP_HANDLER: 0
; COMPUTE_PGM_RSRC2:TGID_X_EN: 1
; COMPUTE_PGM_RSRC2:TGID_Y_EN: 0
; COMPUTE_PGM_RSRC2:TGID_Z_EN: 0
; COMPUTE_PGM_RSRC2:TIDIG_COMP_CNT: 0
; COMPUTE_PGM_RSRC3_GFX90A:ACCUM_OFFSET: 0
; COMPUTE_PGM_RSRC3_GFX90A:TG_SPLIT: 0
	.section	.text._ZN7rocprim17ROCPRIM_400000_NS6detail17trampoline_kernelINS0_14default_configENS1_38merge_sort_block_merge_config_selectorIilEEZZNS1_27merge_sort_block_merge_implIS3_PiN6thrust23THRUST_200600_302600_NS10device_ptrIlEEjNS1_19radix_merge_compareILb0ELb0EiNS0_19identity_decomposerEEEEE10hipError_tT0_T1_T2_jT3_P12ihipStream_tbPNSt15iterator_traitsISG_E10value_typeEPNSM_ISH_E10value_typeEPSI_NS1_7vsmem_tEENKUlT_SG_SH_SI_E_clIS7_S7_PlSB_EESF_SV_SG_SH_SI_EUlSV_E1_NS1_11comp_targetILNS1_3genE9ELNS1_11target_archE1100ELNS1_3gpuE3ELNS1_3repE0EEENS1_36merge_oddeven_config_static_selectorELNS0_4arch9wavefront6targetE1EEEvSH_,"axG",@progbits,_ZN7rocprim17ROCPRIM_400000_NS6detail17trampoline_kernelINS0_14default_configENS1_38merge_sort_block_merge_config_selectorIilEEZZNS1_27merge_sort_block_merge_implIS3_PiN6thrust23THRUST_200600_302600_NS10device_ptrIlEEjNS1_19radix_merge_compareILb0ELb0EiNS0_19identity_decomposerEEEEE10hipError_tT0_T1_T2_jT3_P12ihipStream_tbPNSt15iterator_traitsISG_E10value_typeEPNSM_ISH_E10value_typeEPSI_NS1_7vsmem_tEENKUlT_SG_SH_SI_E_clIS7_S7_PlSB_EESF_SV_SG_SH_SI_EUlSV_E1_NS1_11comp_targetILNS1_3genE9ELNS1_11target_archE1100ELNS1_3gpuE3ELNS1_3repE0EEENS1_36merge_oddeven_config_static_selectorELNS0_4arch9wavefront6targetE1EEEvSH_,comdat
	.protected	_ZN7rocprim17ROCPRIM_400000_NS6detail17trampoline_kernelINS0_14default_configENS1_38merge_sort_block_merge_config_selectorIilEEZZNS1_27merge_sort_block_merge_implIS3_PiN6thrust23THRUST_200600_302600_NS10device_ptrIlEEjNS1_19radix_merge_compareILb0ELb0EiNS0_19identity_decomposerEEEEE10hipError_tT0_T1_T2_jT3_P12ihipStream_tbPNSt15iterator_traitsISG_E10value_typeEPNSM_ISH_E10value_typeEPSI_NS1_7vsmem_tEENKUlT_SG_SH_SI_E_clIS7_S7_PlSB_EESF_SV_SG_SH_SI_EUlSV_E1_NS1_11comp_targetILNS1_3genE9ELNS1_11target_archE1100ELNS1_3gpuE3ELNS1_3repE0EEENS1_36merge_oddeven_config_static_selectorELNS0_4arch9wavefront6targetE1EEEvSH_ ; -- Begin function _ZN7rocprim17ROCPRIM_400000_NS6detail17trampoline_kernelINS0_14default_configENS1_38merge_sort_block_merge_config_selectorIilEEZZNS1_27merge_sort_block_merge_implIS3_PiN6thrust23THRUST_200600_302600_NS10device_ptrIlEEjNS1_19radix_merge_compareILb0ELb0EiNS0_19identity_decomposerEEEEE10hipError_tT0_T1_T2_jT3_P12ihipStream_tbPNSt15iterator_traitsISG_E10value_typeEPNSM_ISH_E10value_typeEPSI_NS1_7vsmem_tEENKUlT_SG_SH_SI_E_clIS7_S7_PlSB_EESF_SV_SG_SH_SI_EUlSV_E1_NS1_11comp_targetILNS1_3genE9ELNS1_11target_archE1100ELNS1_3gpuE3ELNS1_3repE0EEENS1_36merge_oddeven_config_static_selectorELNS0_4arch9wavefront6targetE1EEEvSH_
	.globl	_ZN7rocprim17ROCPRIM_400000_NS6detail17trampoline_kernelINS0_14default_configENS1_38merge_sort_block_merge_config_selectorIilEEZZNS1_27merge_sort_block_merge_implIS3_PiN6thrust23THRUST_200600_302600_NS10device_ptrIlEEjNS1_19radix_merge_compareILb0ELb0EiNS0_19identity_decomposerEEEEE10hipError_tT0_T1_T2_jT3_P12ihipStream_tbPNSt15iterator_traitsISG_E10value_typeEPNSM_ISH_E10value_typeEPSI_NS1_7vsmem_tEENKUlT_SG_SH_SI_E_clIS7_S7_PlSB_EESF_SV_SG_SH_SI_EUlSV_E1_NS1_11comp_targetILNS1_3genE9ELNS1_11target_archE1100ELNS1_3gpuE3ELNS1_3repE0EEENS1_36merge_oddeven_config_static_selectorELNS0_4arch9wavefront6targetE1EEEvSH_
	.p2align	8
	.type	_ZN7rocprim17ROCPRIM_400000_NS6detail17trampoline_kernelINS0_14default_configENS1_38merge_sort_block_merge_config_selectorIilEEZZNS1_27merge_sort_block_merge_implIS3_PiN6thrust23THRUST_200600_302600_NS10device_ptrIlEEjNS1_19radix_merge_compareILb0ELb0EiNS0_19identity_decomposerEEEEE10hipError_tT0_T1_T2_jT3_P12ihipStream_tbPNSt15iterator_traitsISG_E10value_typeEPNSM_ISH_E10value_typeEPSI_NS1_7vsmem_tEENKUlT_SG_SH_SI_E_clIS7_S7_PlSB_EESF_SV_SG_SH_SI_EUlSV_E1_NS1_11comp_targetILNS1_3genE9ELNS1_11target_archE1100ELNS1_3gpuE3ELNS1_3repE0EEENS1_36merge_oddeven_config_static_selectorELNS0_4arch9wavefront6targetE1EEEvSH_,@function
_ZN7rocprim17ROCPRIM_400000_NS6detail17trampoline_kernelINS0_14default_configENS1_38merge_sort_block_merge_config_selectorIilEEZZNS1_27merge_sort_block_merge_implIS3_PiN6thrust23THRUST_200600_302600_NS10device_ptrIlEEjNS1_19radix_merge_compareILb0ELb0EiNS0_19identity_decomposerEEEEE10hipError_tT0_T1_T2_jT3_P12ihipStream_tbPNSt15iterator_traitsISG_E10value_typeEPNSM_ISH_E10value_typeEPSI_NS1_7vsmem_tEENKUlT_SG_SH_SI_E_clIS7_S7_PlSB_EESF_SV_SG_SH_SI_EUlSV_E1_NS1_11comp_targetILNS1_3genE9ELNS1_11target_archE1100ELNS1_3gpuE3ELNS1_3repE0EEENS1_36merge_oddeven_config_static_selectorELNS0_4arch9wavefront6targetE1EEEvSH_: ; @_ZN7rocprim17ROCPRIM_400000_NS6detail17trampoline_kernelINS0_14default_configENS1_38merge_sort_block_merge_config_selectorIilEEZZNS1_27merge_sort_block_merge_implIS3_PiN6thrust23THRUST_200600_302600_NS10device_ptrIlEEjNS1_19radix_merge_compareILb0ELb0EiNS0_19identity_decomposerEEEEE10hipError_tT0_T1_T2_jT3_P12ihipStream_tbPNSt15iterator_traitsISG_E10value_typeEPNSM_ISH_E10value_typeEPSI_NS1_7vsmem_tEENKUlT_SG_SH_SI_E_clIS7_S7_PlSB_EESF_SV_SG_SH_SI_EUlSV_E1_NS1_11comp_targetILNS1_3genE9ELNS1_11target_archE1100ELNS1_3gpuE3ELNS1_3repE0EEENS1_36merge_oddeven_config_static_selectorELNS0_4arch9wavefront6targetE1EEEvSH_
; %bb.0:
	.section	.rodata,"a",@progbits
	.p2align	6, 0x0
	.amdhsa_kernel _ZN7rocprim17ROCPRIM_400000_NS6detail17trampoline_kernelINS0_14default_configENS1_38merge_sort_block_merge_config_selectorIilEEZZNS1_27merge_sort_block_merge_implIS3_PiN6thrust23THRUST_200600_302600_NS10device_ptrIlEEjNS1_19radix_merge_compareILb0ELb0EiNS0_19identity_decomposerEEEEE10hipError_tT0_T1_T2_jT3_P12ihipStream_tbPNSt15iterator_traitsISG_E10value_typeEPNSM_ISH_E10value_typeEPSI_NS1_7vsmem_tEENKUlT_SG_SH_SI_E_clIS7_S7_PlSB_EESF_SV_SG_SH_SI_EUlSV_E1_NS1_11comp_targetILNS1_3genE9ELNS1_11target_archE1100ELNS1_3gpuE3ELNS1_3repE0EEENS1_36merge_oddeven_config_static_selectorELNS0_4arch9wavefront6targetE1EEEvSH_
		.amdhsa_group_segment_fixed_size 0
		.amdhsa_private_segment_fixed_size 0
		.amdhsa_kernarg_size 48
		.amdhsa_user_sgpr_count 6
		.amdhsa_user_sgpr_private_segment_buffer 1
		.amdhsa_user_sgpr_dispatch_ptr 0
		.amdhsa_user_sgpr_queue_ptr 0
		.amdhsa_user_sgpr_kernarg_segment_ptr 1
		.amdhsa_user_sgpr_dispatch_id 0
		.amdhsa_user_sgpr_flat_scratch_init 0
		.amdhsa_user_sgpr_kernarg_preload_length 0
		.amdhsa_user_sgpr_kernarg_preload_offset 0
		.amdhsa_user_sgpr_private_segment_size 0
		.amdhsa_uses_dynamic_stack 0
		.amdhsa_system_sgpr_private_segment_wavefront_offset 0
		.amdhsa_system_sgpr_workgroup_id_x 1
		.amdhsa_system_sgpr_workgroup_id_y 0
		.amdhsa_system_sgpr_workgroup_id_z 0
		.amdhsa_system_sgpr_workgroup_info 0
		.amdhsa_system_vgpr_workitem_id 0
		.amdhsa_next_free_vgpr 1
		.amdhsa_next_free_sgpr 0
		.amdhsa_accum_offset 4
		.amdhsa_reserve_vcc 0
		.amdhsa_reserve_flat_scratch 0
		.amdhsa_float_round_mode_32 0
		.amdhsa_float_round_mode_16_64 0
		.amdhsa_float_denorm_mode_32 3
		.amdhsa_float_denorm_mode_16_64 3
		.amdhsa_dx10_clamp 1
		.amdhsa_ieee_mode 1
		.amdhsa_fp16_overflow 0
		.amdhsa_tg_split 0
		.amdhsa_exception_fp_ieee_invalid_op 0
		.amdhsa_exception_fp_denorm_src 0
		.amdhsa_exception_fp_ieee_div_zero 0
		.amdhsa_exception_fp_ieee_overflow 0
		.amdhsa_exception_fp_ieee_underflow 0
		.amdhsa_exception_fp_ieee_inexact 0
		.amdhsa_exception_int_div_zero 0
	.end_amdhsa_kernel
	.section	.text._ZN7rocprim17ROCPRIM_400000_NS6detail17trampoline_kernelINS0_14default_configENS1_38merge_sort_block_merge_config_selectorIilEEZZNS1_27merge_sort_block_merge_implIS3_PiN6thrust23THRUST_200600_302600_NS10device_ptrIlEEjNS1_19radix_merge_compareILb0ELb0EiNS0_19identity_decomposerEEEEE10hipError_tT0_T1_T2_jT3_P12ihipStream_tbPNSt15iterator_traitsISG_E10value_typeEPNSM_ISH_E10value_typeEPSI_NS1_7vsmem_tEENKUlT_SG_SH_SI_E_clIS7_S7_PlSB_EESF_SV_SG_SH_SI_EUlSV_E1_NS1_11comp_targetILNS1_3genE9ELNS1_11target_archE1100ELNS1_3gpuE3ELNS1_3repE0EEENS1_36merge_oddeven_config_static_selectorELNS0_4arch9wavefront6targetE1EEEvSH_,"axG",@progbits,_ZN7rocprim17ROCPRIM_400000_NS6detail17trampoline_kernelINS0_14default_configENS1_38merge_sort_block_merge_config_selectorIilEEZZNS1_27merge_sort_block_merge_implIS3_PiN6thrust23THRUST_200600_302600_NS10device_ptrIlEEjNS1_19radix_merge_compareILb0ELb0EiNS0_19identity_decomposerEEEEE10hipError_tT0_T1_T2_jT3_P12ihipStream_tbPNSt15iterator_traitsISG_E10value_typeEPNSM_ISH_E10value_typeEPSI_NS1_7vsmem_tEENKUlT_SG_SH_SI_E_clIS7_S7_PlSB_EESF_SV_SG_SH_SI_EUlSV_E1_NS1_11comp_targetILNS1_3genE9ELNS1_11target_archE1100ELNS1_3gpuE3ELNS1_3repE0EEENS1_36merge_oddeven_config_static_selectorELNS0_4arch9wavefront6targetE1EEEvSH_,comdat
.Lfunc_end766:
	.size	_ZN7rocprim17ROCPRIM_400000_NS6detail17trampoline_kernelINS0_14default_configENS1_38merge_sort_block_merge_config_selectorIilEEZZNS1_27merge_sort_block_merge_implIS3_PiN6thrust23THRUST_200600_302600_NS10device_ptrIlEEjNS1_19radix_merge_compareILb0ELb0EiNS0_19identity_decomposerEEEEE10hipError_tT0_T1_T2_jT3_P12ihipStream_tbPNSt15iterator_traitsISG_E10value_typeEPNSM_ISH_E10value_typeEPSI_NS1_7vsmem_tEENKUlT_SG_SH_SI_E_clIS7_S7_PlSB_EESF_SV_SG_SH_SI_EUlSV_E1_NS1_11comp_targetILNS1_3genE9ELNS1_11target_archE1100ELNS1_3gpuE3ELNS1_3repE0EEENS1_36merge_oddeven_config_static_selectorELNS0_4arch9wavefront6targetE1EEEvSH_, .Lfunc_end766-_ZN7rocprim17ROCPRIM_400000_NS6detail17trampoline_kernelINS0_14default_configENS1_38merge_sort_block_merge_config_selectorIilEEZZNS1_27merge_sort_block_merge_implIS3_PiN6thrust23THRUST_200600_302600_NS10device_ptrIlEEjNS1_19radix_merge_compareILb0ELb0EiNS0_19identity_decomposerEEEEE10hipError_tT0_T1_T2_jT3_P12ihipStream_tbPNSt15iterator_traitsISG_E10value_typeEPNSM_ISH_E10value_typeEPSI_NS1_7vsmem_tEENKUlT_SG_SH_SI_E_clIS7_S7_PlSB_EESF_SV_SG_SH_SI_EUlSV_E1_NS1_11comp_targetILNS1_3genE9ELNS1_11target_archE1100ELNS1_3gpuE3ELNS1_3repE0EEENS1_36merge_oddeven_config_static_selectorELNS0_4arch9wavefront6targetE1EEEvSH_
                                        ; -- End function
	.section	.AMDGPU.csdata,"",@progbits
; Kernel info:
; codeLenInByte = 0
; NumSgprs: 4
; NumVgprs: 0
; NumAgprs: 0
; TotalNumVgprs: 0
; ScratchSize: 0
; MemoryBound: 0
; FloatMode: 240
; IeeeMode: 1
; LDSByteSize: 0 bytes/workgroup (compile time only)
; SGPRBlocks: 0
; VGPRBlocks: 0
; NumSGPRsForWavesPerEU: 4
; NumVGPRsForWavesPerEU: 1
; AccumOffset: 4
; Occupancy: 8
; WaveLimiterHint : 0
; COMPUTE_PGM_RSRC2:SCRATCH_EN: 0
; COMPUTE_PGM_RSRC2:USER_SGPR: 6
; COMPUTE_PGM_RSRC2:TRAP_HANDLER: 0
; COMPUTE_PGM_RSRC2:TGID_X_EN: 1
; COMPUTE_PGM_RSRC2:TGID_Y_EN: 0
; COMPUTE_PGM_RSRC2:TGID_Z_EN: 0
; COMPUTE_PGM_RSRC2:TIDIG_COMP_CNT: 0
; COMPUTE_PGM_RSRC3_GFX90A:ACCUM_OFFSET: 0
; COMPUTE_PGM_RSRC3_GFX90A:TG_SPLIT: 0
	.section	.text._ZN7rocprim17ROCPRIM_400000_NS6detail17trampoline_kernelINS0_14default_configENS1_38merge_sort_block_merge_config_selectorIilEEZZNS1_27merge_sort_block_merge_implIS3_PiN6thrust23THRUST_200600_302600_NS10device_ptrIlEEjNS1_19radix_merge_compareILb0ELb0EiNS0_19identity_decomposerEEEEE10hipError_tT0_T1_T2_jT3_P12ihipStream_tbPNSt15iterator_traitsISG_E10value_typeEPNSM_ISH_E10value_typeEPSI_NS1_7vsmem_tEENKUlT_SG_SH_SI_E_clIS7_S7_PlSB_EESF_SV_SG_SH_SI_EUlSV_E1_NS1_11comp_targetILNS1_3genE8ELNS1_11target_archE1030ELNS1_3gpuE2ELNS1_3repE0EEENS1_36merge_oddeven_config_static_selectorELNS0_4arch9wavefront6targetE1EEEvSH_,"axG",@progbits,_ZN7rocprim17ROCPRIM_400000_NS6detail17trampoline_kernelINS0_14default_configENS1_38merge_sort_block_merge_config_selectorIilEEZZNS1_27merge_sort_block_merge_implIS3_PiN6thrust23THRUST_200600_302600_NS10device_ptrIlEEjNS1_19radix_merge_compareILb0ELb0EiNS0_19identity_decomposerEEEEE10hipError_tT0_T1_T2_jT3_P12ihipStream_tbPNSt15iterator_traitsISG_E10value_typeEPNSM_ISH_E10value_typeEPSI_NS1_7vsmem_tEENKUlT_SG_SH_SI_E_clIS7_S7_PlSB_EESF_SV_SG_SH_SI_EUlSV_E1_NS1_11comp_targetILNS1_3genE8ELNS1_11target_archE1030ELNS1_3gpuE2ELNS1_3repE0EEENS1_36merge_oddeven_config_static_selectorELNS0_4arch9wavefront6targetE1EEEvSH_,comdat
	.protected	_ZN7rocprim17ROCPRIM_400000_NS6detail17trampoline_kernelINS0_14default_configENS1_38merge_sort_block_merge_config_selectorIilEEZZNS1_27merge_sort_block_merge_implIS3_PiN6thrust23THRUST_200600_302600_NS10device_ptrIlEEjNS1_19radix_merge_compareILb0ELb0EiNS0_19identity_decomposerEEEEE10hipError_tT0_T1_T2_jT3_P12ihipStream_tbPNSt15iterator_traitsISG_E10value_typeEPNSM_ISH_E10value_typeEPSI_NS1_7vsmem_tEENKUlT_SG_SH_SI_E_clIS7_S7_PlSB_EESF_SV_SG_SH_SI_EUlSV_E1_NS1_11comp_targetILNS1_3genE8ELNS1_11target_archE1030ELNS1_3gpuE2ELNS1_3repE0EEENS1_36merge_oddeven_config_static_selectorELNS0_4arch9wavefront6targetE1EEEvSH_ ; -- Begin function _ZN7rocprim17ROCPRIM_400000_NS6detail17trampoline_kernelINS0_14default_configENS1_38merge_sort_block_merge_config_selectorIilEEZZNS1_27merge_sort_block_merge_implIS3_PiN6thrust23THRUST_200600_302600_NS10device_ptrIlEEjNS1_19radix_merge_compareILb0ELb0EiNS0_19identity_decomposerEEEEE10hipError_tT0_T1_T2_jT3_P12ihipStream_tbPNSt15iterator_traitsISG_E10value_typeEPNSM_ISH_E10value_typeEPSI_NS1_7vsmem_tEENKUlT_SG_SH_SI_E_clIS7_S7_PlSB_EESF_SV_SG_SH_SI_EUlSV_E1_NS1_11comp_targetILNS1_3genE8ELNS1_11target_archE1030ELNS1_3gpuE2ELNS1_3repE0EEENS1_36merge_oddeven_config_static_selectorELNS0_4arch9wavefront6targetE1EEEvSH_
	.globl	_ZN7rocprim17ROCPRIM_400000_NS6detail17trampoline_kernelINS0_14default_configENS1_38merge_sort_block_merge_config_selectorIilEEZZNS1_27merge_sort_block_merge_implIS3_PiN6thrust23THRUST_200600_302600_NS10device_ptrIlEEjNS1_19radix_merge_compareILb0ELb0EiNS0_19identity_decomposerEEEEE10hipError_tT0_T1_T2_jT3_P12ihipStream_tbPNSt15iterator_traitsISG_E10value_typeEPNSM_ISH_E10value_typeEPSI_NS1_7vsmem_tEENKUlT_SG_SH_SI_E_clIS7_S7_PlSB_EESF_SV_SG_SH_SI_EUlSV_E1_NS1_11comp_targetILNS1_3genE8ELNS1_11target_archE1030ELNS1_3gpuE2ELNS1_3repE0EEENS1_36merge_oddeven_config_static_selectorELNS0_4arch9wavefront6targetE1EEEvSH_
	.p2align	8
	.type	_ZN7rocprim17ROCPRIM_400000_NS6detail17trampoline_kernelINS0_14default_configENS1_38merge_sort_block_merge_config_selectorIilEEZZNS1_27merge_sort_block_merge_implIS3_PiN6thrust23THRUST_200600_302600_NS10device_ptrIlEEjNS1_19radix_merge_compareILb0ELb0EiNS0_19identity_decomposerEEEEE10hipError_tT0_T1_T2_jT3_P12ihipStream_tbPNSt15iterator_traitsISG_E10value_typeEPNSM_ISH_E10value_typeEPSI_NS1_7vsmem_tEENKUlT_SG_SH_SI_E_clIS7_S7_PlSB_EESF_SV_SG_SH_SI_EUlSV_E1_NS1_11comp_targetILNS1_3genE8ELNS1_11target_archE1030ELNS1_3gpuE2ELNS1_3repE0EEENS1_36merge_oddeven_config_static_selectorELNS0_4arch9wavefront6targetE1EEEvSH_,@function
_ZN7rocprim17ROCPRIM_400000_NS6detail17trampoline_kernelINS0_14default_configENS1_38merge_sort_block_merge_config_selectorIilEEZZNS1_27merge_sort_block_merge_implIS3_PiN6thrust23THRUST_200600_302600_NS10device_ptrIlEEjNS1_19radix_merge_compareILb0ELb0EiNS0_19identity_decomposerEEEEE10hipError_tT0_T1_T2_jT3_P12ihipStream_tbPNSt15iterator_traitsISG_E10value_typeEPNSM_ISH_E10value_typeEPSI_NS1_7vsmem_tEENKUlT_SG_SH_SI_E_clIS7_S7_PlSB_EESF_SV_SG_SH_SI_EUlSV_E1_NS1_11comp_targetILNS1_3genE8ELNS1_11target_archE1030ELNS1_3gpuE2ELNS1_3repE0EEENS1_36merge_oddeven_config_static_selectorELNS0_4arch9wavefront6targetE1EEEvSH_: ; @_ZN7rocprim17ROCPRIM_400000_NS6detail17trampoline_kernelINS0_14default_configENS1_38merge_sort_block_merge_config_selectorIilEEZZNS1_27merge_sort_block_merge_implIS3_PiN6thrust23THRUST_200600_302600_NS10device_ptrIlEEjNS1_19radix_merge_compareILb0ELb0EiNS0_19identity_decomposerEEEEE10hipError_tT0_T1_T2_jT3_P12ihipStream_tbPNSt15iterator_traitsISG_E10value_typeEPNSM_ISH_E10value_typeEPSI_NS1_7vsmem_tEENKUlT_SG_SH_SI_E_clIS7_S7_PlSB_EESF_SV_SG_SH_SI_EUlSV_E1_NS1_11comp_targetILNS1_3genE8ELNS1_11target_archE1030ELNS1_3gpuE2ELNS1_3repE0EEENS1_36merge_oddeven_config_static_selectorELNS0_4arch9wavefront6targetE1EEEvSH_
; %bb.0:
	.section	.rodata,"a",@progbits
	.p2align	6, 0x0
	.amdhsa_kernel _ZN7rocprim17ROCPRIM_400000_NS6detail17trampoline_kernelINS0_14default_configENS1_38merge_sort_block_merge_config_selectorIilEEZZNS1_27merge_sort_block_merge_implIS3_PiN6thrust23THRUST_200600_302600_NS10device_ptrIlEEjNS1_19radix_merge_compareILb0ELb0EiNS0_19identity_decomposerEEEEE10hipError_tT0_T1_T2_jT3_P12ihipStream_tbPNSt15iterator_traitsISG_E10value_typeEPNSM_ISH_E10value_typeEPSI_NS1_7vsmem_tEENKUlT_SG_SH_SI_E_clIS7_S7_PlSB_EESF_SV_SG_SH_SI_EUlSV_E1_NS1_11comp_targetILNS1_3genE8ELNS1_11target_archE1030ELNS1_3gpuE2ELNS1_3repE0EEENS1_36merge_oddeven_config_static_selectorELNS0_4arch9wavefront6targetE1EEEvSH_
		.amdhsa_group_segment_fixed_size 0
		.amdhsa_private_segment_fixed_size 0
		.amdhsa_kernarg_size 48
		.amdhsa_user_sgpr_count 6
		.amdhsa_user_sgpr_private_segment_buffer 1
		.amdhsa_user_sgpr_dispatch_ptr 0
		.amdhsa_user_sgpr_queue_ptr 0
		.amdhsa_user_sgpr_kernarg_segment_ptr 1
		.amdhsa_user_sgpr_dispatch_id 0
		.amdhsa_user_sgpr_flat_scratch_init 0
		.amdhsa_user_sgpr_kernarg_preload_length 0
		.amdhsa_user_sgpr_kernarg_preload_offset 0
		.amdhsa_user_sgpr_private_segment_size 0
		.amdhsa_uses_dynamic_stack 0
		.amdhsa_system_sgpr_private_segment_wavefront_offset 0
		.amdhsa_system_sgpr_workgroup_id_x 1
		.amdhsa_system_sgpr_workgroup_id_y 0
		.amdhsa_system_sgpr_workgroup_id_z 0
		.amdhsa_system_sgpr_workgroup_info 0
		.amdhsa_system_vgpr_workitem_id 0
		.amdhsa_next_free_vgpr 1
		.amdhsa_next_free_sgpr 0
		.amdhsa_accum_offset 4
		.amdhsa_reserve_vcc 0
		.amdhsa_reserve_flat_scratch 0
		.amdhsa_float_round_mode_32 0
		.amdhsa_float_round_mode_16_64 0
		.amdhsa_float_denorm_mode_32 3
		.amdhsa_float_denorm_mode_16_64 3
		.amdhsa_dx10_clamp 1
		.amdhsa_ieee_mode 1
		.amdhsa_fp16_overflow 0
		.amdhsa_tg_split 0
		.amdhsa_exception_fp_ieee_invalid_op 0
		.amdhsa_exception_fp_denorm_src 0
		.amdhsa_exception_fp_ieee_div_zero 0
		.amdhsa_exception_fp_ieee_overflow 0
		.amdhsa_exception_fp_ieee_underflow 0
		.amdhsa_exception_fp_ieee_inexact 0
		.amdhsa_exception_int_div_zero 0
	.end_amdhsa_kernel
	.section	.text._ZN7rocprim17ROCPRIM_400000_NS6detail17trampoline_kernelINS0_14default_configENS1_38merge_sort_block_merge_config_selectorIilEEZZNS1_27merge_sort_block_merge_implIS3_PiN6thrust23THRUST_200600_302600_NS10device_ptrIlEEjNS1_19radix_merge_compareILb0ELb0EiNS0_19identity_decomposerEEEEE10hipError_tT0_T1_T2_jT3_P12ihipStream_tbPNSt15iterator_traitsISG_E10value_typeEPNSM_ISH_E10value_typeEPSI_NS1_7vsmem_tEENKUlT_SG_SH_SI_E_clIS7_S7_PlSB_EESF_SV_SG_SH_SI_EUlSV_E1_NS1_11comp_targetILNS1_3genE8ELNS1_11target_archE1030ELNS1_3gpuE2ELNS1_3repE0EEENS1_36merge_oddeven_config_static_selectorELNS0_4arch9wavefront6targetE1EEEvSH_,"axG",@progbits,_ZN7rocprim17ROCPRIM_400000_NS6detail17trampoline_kernelINS0_14default_configENS1_38merge_sort_block_merge_config_selectorIilEEZZNS1_27merge_sort_block_merge_implIS3_PiN6thrust23THRUST_200600_302600_NS10device_ptrIlEEjNS1_19radix_merge_compareILb0ELb0EiNS0_19identity_decomposerEEEEE10hipError_tT0_T1_T2_jT3_P12ihipStream_tbPNSt15iterator_traitsISG_E10value_typeEPNSM_ISH_E10value_typeEPSI_NS1_7vsmem_tEENKUlT_SG_SH_SI_E_clIS7_S7_PlSB_EESF_SV_SG_SH_SI_EUlSV_E1_NS1_11comp_targetILNS1_3genE8ELNS1_11target_archE1030ELNS1_3gpuE2ELNS1_3repE0EEENS1_36merge_oddeven_config_static_selectorELNS0_4arch9wavefront6targetE1EEEvSH_,comdat
.Lfunc_end767:
	.size	_ZN7rocprim17ROCPRIM_400000_NS6detail17trampoline_kernelINS0_14default_configENS1_38merge_sort_block_merge_config_selectorIilEEZZNS1_27merge_sort_block_merge_implIS3_PiN6thrust23THRUST_200600_302600_NS10device_ptrIlEEjNS1_19radix_merge_compareILb0ELb0EiNS0_19identity_decomposerEEEEE10hipError_tT0_T1_T2_jT3_P12ihipStream_tbPNSt15iterator_traitsISG_E10value_typeEPNSM_ISH_E10value_typeEPSI_NS1_7vsmem_tEENKUlT_SG_SH_SI_E_clIS7_S7_PlSB_EESF_SV_SG_SH_SI_EUlSV_E1_NS1_11comp_targetILNS1_3genE8ELNS1_11target_archE1030ELNS1_3gpuE2ELNS1_3repE0EEENS1_36merge_oddeven_config_static_selectorELNS0_4arch9wavefront6targetE1EEEvSH_, .Lfunc_end767-_ZN7rocprim17ROCPRIM_400000_NS6detail17trampoline_kernelINS0_14default_configENS1_38merge_sort_block_merge_config_selectorIilEEZZNS1_27merge_sort_block_merge_implIS3_PiN6thrust23THRUST_200600_302600_NS10device_ptrIlEEjNS1_19radix_merge_compareILb0ELb0EiNS0_19identity_decomposerEEEEE10hipError_tT0_T1_T2_jT3_P12ihipStream_tbPNSt15iterator_traitsISG_E10value_typeEPNSM_ISH_E10value_typeEPSI_NS1_7vsmem_tEENKUlT_SG_SH_SI_E_clIS7_S7_PlSB_EESF_SV_SG_SH_SI_EUlSV_E1_NS1_11comp_targetILNS1_3genE8ELNS1_11target_archE1030ELNS1_3gpuE2ELNS1_3repE0EEENS1_36merge_oddeven_config_static_selectorELNS0_4arch9wavefront6targetE1EEEvSH_
                                        ; -- End function
	.section	.AMDGPU.csdata,"",@progbits
; Kernel info:
; codeLenInByte = 0
; NumSgprs: 4
; NumVgprs: 0
; NumAgprs: 0
; TotalNumVgprs: 0
; ScratchSize: 0
; MemoryBound: 0
; FloatMode: 240
; IeeeMode: 1
; LDSByteSize: 0 bytes/workgroup (compile time only)
; SGPRBlocks: 0
; VGPRBlocks: 0
; NumSGPRsForWavesPerEU: 4
; NumVGPRsForWavesPerEU: 1
; AccumOffset: 4
; Occupancy: 8
; WaveLimiterHint : 0
; COMPUTE_PGM_RSRC2:SCRATCH_EN: 0
; COMPUTE_PGM_RSRC2:USER_SGPR: 6
; COMPUTE_PGM_RSRC2:TRAP_HANDLER: 0
; COMPUTE_PGM_RSRC2:TGID_X_EN: 1
; COMPUTE_PGM_RSRC2:TGID_Y_EN: 0
; COMPUTE_PGM_RSRC2:TGID_Z_EN: 0
; COMPUTE_PGM_RSRC2:TIDIG_COMP_CNT: 0
; COMPUTE_PGM_RSRC3_GFX90A:ACCUM_OFFSET: 0
; COMPUTE_PGM_RSRC3_GFX90A:TG_SPLIT: 0
	.section	.text._ZN7rocprim17ROCPRIM_400000_NS6detail17trampoline_kernelINS0_14default_configENS1_38merge_sort_block_merge_config_selectorIilEEZZNS1_27merge_sort_block_merge_implIS3_PiN6thrust23THRUST_200600_302600_NS10device_ptrIlEEjNS1_19radix_merge_compareILb0ELb0EiNS0_19identity_decomposerEEEEE10hipError_tT0_T1_T2_jT3_P12ihipStream_tbPNSt15iterator_traitsISG_E10value_typeEPNSM_ISH_E10value_typeEPSI_NS1_7vsmem_tEENKUlT_SG_SH_SI_E_clIS7_S7_SB_PlEESF_SV_SG_SH_SI_EUlSV_E_NS1_11comp_targetILNS1_3genE0ELNS1_11target_archE4294967295ELNS1_3gpuE0ELNS1_3repE0EEENS1_48merge_mergepath_partition_config_static_selectorELNS0_4arch9wavefront6targetE1EEEvSH_,"axG",@progbits,_ZN7rocprim17ROCPRIM_400000_NS6detail17trampoline_kernelINS0_14default_configENS1_38merge_sort_block_merge_config_selectorIilEEZZNS1_27merge_sort_block_merge_implIS3_PiN6thrust23THRUST_200600_302600_NS10device_ptrIlEEjNS1_19radix_merge_compareILb0ELb0EiNS0_19identity_decomposerEEEEE10hipError_tT0_T1_T2_jT3_P12ihipStream_tbPNSt15iterator_traitsISG_E10value_typeEPNSM_ISH_E10value_typeEPSI_NS1_7vsmem_tEENKUlT_SG_SH_SI_E_clIS7_S7_SB_PlEESF_SV_SG_SH_SI_EUlSV_E_NS1_11comp_targetILNS1_3genE0ELNS1_11target_archE4294967295ELNS1_3gpuE0ELNS1_3repE0EEENS1_48merge_mergepath_partition_config_static_selectorELNS0_4arch9wavefront6targetE1EEEvSH_,comdat
	.protected	_ZN7rocprim17ROCPRIM_400000_NS6detail17trampoline_kernelINS0_14default_configENS1_38merge_sort_block_merge_config_selectorIilEEZZNS1_27merge_sort_block_merge_implIS3_PiN6thrust23THRUST_200600_302600_NS10device_ptrIlEEjNS1_19radix_merge_compareILb0ELb0EiNS0_19identity_decomposerEEEEE10hipError_tT0_T1_T2_jT3_P12ihipStream_tbPNSt15iterator_traitsISG_E10value_typeEPNSM_ISH_E10value_typeEPSI_NS1_7vsmem_tEENKUlT_SG_SH_SI_E_clIS7_S7_SB_PlEESF_SV_SG_SH_SI_EUlSV_E_NS1_11comp_targetILNS1_3genE0ELNS1_11target_archE4294967295ELNS1_3gpuE0ELNS1_3repE0EEENS1_48merge_mergepath_partition_config_static_selectorELNS0_4arch9wavefront6targetE1EEEvSH_ ; -- Begin function _ZN7rocprim17ROCPRIM_400000_NS6detail17trampoline_kernelINS0_14default_configENS1_38merge_sort_block_merge_config_selectorIilEEZZNS1_27merge_sort_block_merge_implIS3_PiN6thrust23THRUST_200600_302600_NS10device_ptrIlEEjNS1_19radix_merge_compareILb0ELb0EiNS0_19identity_decomposerEEEEE10hipError_tT0_T1_T2_jT3_P12ihipStream_tbPNSt15iterator_traitsISG_E10value_typeEPNSM_ISH_E10value_typeEPSI_NS1_7vsmem_tEENKUlT_SG_SH_SI_E_clIS7_S7_SB_PlEESF_SV_SG_SH_SI_EUlSV_E_NS1_11comp_targetILNS1_3genE0ELNS1_11target_archE4294967295ELNS1_3gpuE0ELNS1_3repE0EEENS1_48merge_mergepath_partition_config_static_selectorELNS0_4arch9wavefront6targetE1EEEvSH_
	.globl	_ZN7rocprim17ROCPRIM_400000_NS6detail17trampoline_kernelINS0_14default_configENS1_38merge_sort_block_merge_config_selectorIilEEZZNS1_27merge_sort_block_merge_implIS3_PiN6thrust23THRUST_200600_302600_NS10device_ptrIlEEjNS1_19radix_merge_compareILb0ELb0EiNS0_19identity_decomposerEEEEE10hipError_tT0_T1_T2_jT3_P12ihipStream_tbPNSt15iterator_traitsISG_E10value_typeEPNSM_ISH_E10value_typeEPSI_NS1_7vsmem_tEENKUlT_SG_SH_SI_E_clIS7_S7_SB_PlEESF_SV_SG_SH_SI_EUlSV_E_NS1_11comp_targetILNS1_3genE0ELNS1_11target_archE4294967295ELNS1_3gpuE0ELNS1_3repE0EEENS1_48merge_mergepath_partition_config_static_selectorELNS0_4arch9wavefront6targetE1EEEvSH_
	.p2align	8
	.type	_ZN7rocprim17ROCPRIM_400000_NS6detail17trampoline_kernelINS0_14default_configENS1_38merge_sort_block_merge_config_selectorIilEEZZNS1_27merge_sort_block_merge_implIS3_PiN6thrust23THRUST_200600_302600_NS10device_ptrIlEEjNS1_19radix_merge_compareILb0ELb0EiNS0_19identity_decomposerEEEEE10hipError_tT0_T1_T2_jT3_P12ihipStream_tbPNSt15iterator_traitsISG_E10value_typeEPNSM_ISH_E10value_typeEPSI_NS1_7vsmem_tEENKUlT_SG_SH_SI_E_clIS7_S7_SB_PlEESF_SV_SG_SH_SI_EUlSV_E_NS1_11comp_targetILNS1_3genE0ELNS1_11target_archE4294967295ELNS1_3gpuE0ELNS1_3repE0EEENS1_48merge_mergepath_partition_config_static_selectorELNS0_4arch9wavefront6targetE1EEEvSH_,@function
_ZN7rocprim17ROCPRIM_400000_NS6detail17trampoline_kernelINS0_14default_configENS1_38merge_sort_block_merge_config_selectorIilEEZZNS1_27merge_sort_block_merge_implIS3_PiN6thrust23THRUST_200600_302600_NS10device_ptrIlEEjNS1_19radix_merge_compareILb0ELb0EiNS0_19identity_decomposerEEEEE10hipError_tT0_T1_T2_jT3_P12ihipStream_tbPNSt15iterator_traitsISG_E10value_typeEPNSM_ISH_E10value_typeEPSI_NS1_7vsmem_tEENKUlT_SG_SH_SI_E_clIS7_S7_SB_PlEESF_SV_SG_SH_SI_EUlSV_E_NS1_11comp_targetILNS1_3genE0ELNS1_11target_archE4294967295ELNS1_3gpuE0ELNS1_3repE0EEENS1_48merge_mergepath_partition_config_static_selectorELNS0_4arch9wavefront6targetE1EEEvSH_: ; @_ZN7rocprim17ROCPRIM_400000_NS6detail17trampoline_kernelINS0_14default_configENS1_38merge_sort_block_merge_config_selectorIilEEZZNS1_27merge_sort_block_merge_implIS3_PiN6thrust23THRUST_200600_302600_NS10device_ptrIlEEjNS1_19radix_merge_compareILb0ELb0EiNS0_19identity_decomposerEEEEE10hipError_tT0_T1_T2_jT3_P12ihipStream_tbPNSt15iterator_traitsISG_E10value_typeEPNSM_ISH_E10value_typeEPSI_NS1_7vsmem_tEENKUlT_SG_SH_SI_E_clIS7_S7_SB_PlEESF_SV_SG_SH_SI_EUlSV_E_NS1_11comp_targetILNS1_3genE0ELNS1_11target_archE4294967295ELNS1_3gpuE0ELNS1_3repE0EEENS1_48merge_mergepath_partition_config_static_selectorELNS0_4arch9wavefront6targetE1EEEvSH_
; %bb.0:
	.section	.rodata,"a",@progbits
	.p2align	6, 0x0
	.amdhsa_kernel _ZN7rocprim17ROCPRIM_400000_NS6detail17trampoline_kernelINS0_14default_configENS1_38merge_sort_block_merge_config_selectorIilEEZZNS1_27merge_sort_block_merge_implIS3_PiN6thrust23THRUST_200600_302600_NS10device_ptrIlEEjNS1_19radix_merge_compareILb0ELb0EiNS0_19identity_decomposerEEEEE10hipError_tT0_T1_T2_jT3_P12ihipStream_tbPNSt15iterator_traitsISG_E10value_typeEPNSM_ISH_E10value_typeEPSI_NS1_7vsmem_tEENKUlT_SG_SH_SI_E_clIS7_S7_SB_PlEESF_SV_SG_SH_SI_EUlSV_E_NS1_11comp_targetILNS1_3genE0ELNS1_11target_archE4294967295ELNS1_3gpuE0ELNS1_3repE0EEENS1_48merge_mergepath_partition_config_static_selectorELNS0_4arch9wavefront6targetE1EEEvSH_
		.amdhsa_group_segment_fixed_size 0
		.amdhsa_private_segment_fixed_size 0
		.amdhsa_kernarg_size 40
		.amdhsa_user_sgpr_count 6
		.amdhsa_user_sgpr_private_segment_buffer 1
		.amdhsa_user_sgpr_dispatch_ptr 0
		.amdhsa_user_sgpr_queue_ptr 0
		.amdhsa_user_sgpr_kernarg_segment_ptr 1
		.amdhsa_user_sgpr_dispatch_id 0
		.amdhsa_user_sgpr_flat_scratch_init 0
		.amdhsa_user_sgpr_kernarg_preload_length 0
		.amdhsa_user_sgpr_kernarg_preload_offset 0
		.amdhsa_user_sgpr_private_segment_size 0
		.amdhsa_uses_dynamic_stack 0
		.amdhsa_system_sgpr_private_segment_wavefront_offset 0
		.amdhsa_system_sgpr_workgroup_id_x 1
		.amdhsa_system_sgpr_workgroup_id_y 0
		.amdhsa_system_sgpr_workgroup_id_z 0
		.amdhsa_system_sgpr_workgroup_info 0
		.amdhsa_system_vgpr_workitem_id 0
		.amdhsa_next_free_vgpr 1
		.amdhsa_next_free_sgpr 0
		.amdhsa_accum_offset 4
		.amdhsa_reserve_vcc 0
		.amdhsa_reserve_flat_scratch 0
		.amdhsa_float_round_mode_32 0
		.amdhsa_float_round_mode_16_64 0
		.amdhsa_float_denorm_mode_32 3
		.amdhsa_float_denorm_mode_16_64 3
		.amdhsa_dx10_clamp 1
		.amdhsa_ieee_mode 1
		.amdhsa_fp16_overflow 0
		.amdhsa_tg_split 0
		.amdhsa_exception_fp_ieee_invalid_op 0
		.amdhsa_exception_fp_denorm_src 0
		.amdhsa_exception_fp_ieee_div_zero 0
		.amdhsa_exception_fp_ieee_overflow 0
		.amdhsa_exception_fp_ieee_underflow 0
		.amdhsa_exception_fp_ieee_inexact 0
		.amdhsa_exception_int_div_zero 0
	.end_amdhsa_kernel
	.section	.text._ZN7rocprim17ROCPRIM_400000_NS6detail17trampoline_kernelINS0_14default_configENS1_38merge_sort_block_merge_config_selectorIilEEZZNS1_27merge_sort_block_merge_implIS3_PiN6thrust23THRUST_200600_302600_NS10device_ptrIlEEjNS1_19radix_merge_compareILb0ELb0EiNS0_19identity_decomposerEEEEE10hipError_tT0_T1_T2_jT3_P12ihipStream_tbPNSt15iterator_traitsISG_E10value_typeEPNSM_ISH_E10value_typeEPSI_NS1_7vsmem_tEENKUlT_SG_SH_SI_E_clIS7_S7_SB_PlEESF_SV_SG_SH_SI_EUlSV_E_NS1_11comp_targetILNS1_3genE0ELNS1_11target_archE4294967295ELNS1_3gpuE0ELNS1_3repE0EEENS1_48merge_mergepath_partition_config_static_selectorELNS0_4arch9wavefront6targetE1EEEvSH_,"axG",@progbits,_ZN7rocprim17ROCPRIM_400000_NS6detail17trampoline_kernelINS0_14default_configENS1_38merge_sort_block_merge_config_selectorIilEEZZNS1_27merge_sort_block_merge_implIS3_PiN6thrust23THRUST_200600_302600_NS10device_ptrIlEEjNS1_19radix_merge_compareILb0ELb0EiNS0_19identity_decomposerEEEEE10hipError_tT0_T1_T2_jT3_P12ihipStream_tbPNSt15iterator_traitsISG_E10value_typeEPNSM_ISH_E10value_typeEPSI_NS1_7vsmem_tEENKUlT_SG_SH_SI_E_clIS7_S7_SB_PlEESF_SV_SG_SH_SI_EUlSV_E_NS1_11comp_targetILNS1_3genE0ELNS1_11target_archE4294967295ELNS1_3gpuE0ELNS1_3repE0EEENS1_48merge_mergepath_partition_config_static_selectorELNS0_4arch9wavefront6targetE1EEEvSH_,comdat
.Lfunc_end768:
	.size	_ZN7rocprim17ROCPRIM_400000_NS6detail17trampoline_kernelINS0_14default_configENS1_38merge_sort_block_merge_config_selectorIilEEZZNS1_27merge_sort_block_merge_implIS3_PiN6thrust23THRUST_200600_302600_NS10device_ptrIlEEjNS1_19radix_merge_compareILb0ELb0EiNS0_19identity_decomposerEEEEE10hipError_tT0_T1_T2_jT3_P12ihipStream_tbPNSt15iterator_traitsISG_E10value_typeEPNSM_ISH_E10value_typeEPSI_NS1_7vsmem_tEENKUlT_SG_SH_SI_E_clIS7_S7_SB_PlEESF_SV_SG_SH_SI_EUlSV_E_NS1_11comp_targetILNS1_3genE0ELNS1_11target_archE4294967295ELNS1_3gpuE0ELNS1_3repE0EEENS1_48merge_mergepath_partition_config_static_selectorELNS0_4arch9wavefront6targetE1EEEvSH_, .Lfunc_end768-_ZN7rocprim17ROCPRIM_400000_NS6detail17trampoline_kernelINS0_14default_configENS1_38merge_sort_block_merge_config_selectorIilEEZZNS1_27merge_sort_block_merge_implIS3_PiN6thrust23THRUST_200600_302600_NS10device_ptrIlEEjNS1_19radix_merge_compareILb0ELb0EiNS0_19identity_decomposerEEEEE10hipError_tT0_T1_T2_jT3_P12ihipStream_tbPNSt15iterator_traitsISG_E10value_typeEPNSM_ISH_E10value_typeEPSI_NS1_7vsmem_tEENKUlT_SG_SH_SI_E_clIS7_S7_SB_PlEESF_SV_SG_SH_SI_EUlSV_E_NS1_11comp_targetILNS1_3genE0ELNS1_11target_archE4294967295ELNS1_3gpuE0ELNS1_3repE0EEENS1_48merge_mergepath_partition_config_static_selectorELNS0_4arch9wavefront6targetE1EEEvSH_
                                        ; -- End function
	.section	.AMDGPU.csdata,"",@progbits
; Kernel info:
; codeLenInByte = 0
; NumSgprs: 4
; NumVgprs: 0
; NumAgprs: 0
; TotalNumVgprs: 0
; ScratchSize: 0
; MemoryBound: 0
; FloatMode: 240
; IeeeMode: 1
; LDSByteSize: 0 bytes/workgroup (compile time only)
; SGPRBlocks: 0
; VGPRBlocks: 0
; NumSGPRsForWavesPerEU: 4
; NumVGPRsForWavesPerEU: 1
; AccumOffset: 4
; Occupancy: 8
; WaveLimiterHint : 0
; COMPUTE_PGM_RSRC2:SCRATCH_EN: 0
; COMPUTE_PGM_RSRC2:USER_SGPR: 6
; COMPUTE_PGM_RSRC2:TRAP_HANDLER: 0
; COMPUTE_PGM_RSRC2:TGID_X_EN: 1
; COMPUTE_PGM_RSRC2:TGID_Y_EN: 0
; COMPUTE_PGM_RSRC2:TGID_Z_EN: 0
; COMPUTE_PGM_RSRC2:TIDIG_COMP_CNT: 0
; COMPUTE_PGM_RSRC3_GFX90A:ACCUM_OFFSET: 0
; COMPUTE_PGM_RSRC3_GFX90A:TG_SPLIT: 0
	.section	.text._ZN7rocprim17ROCPRIM_400000_NS6detail17trampoline_kernelINS0_14default_configENS1_38merge_sort_block_merge_config_selectorIilEEZZNS1_27merge_sort_block_merge_implIS3_PiN6thrust23THRUST_200600_302600_NS10device_ptrIlEEjNS1_19radix_merge_compareILb0ELb0EiNS0_19identity_decomposerEEEEE10hipError_tT0_T1_T2_jT3_P12ihipStream_tbPNSt15iterator_traitsISG_E10value_typeEPNSM_ISH_E10value_typeEPSI_NS1_7vsmem_tEENKUlT_SG_SH_SI_E_clIS7_S7_SB_PlEESF_SV_SG_SH_SI_EUlSV_E_NS1_11comp_targetILNS1_3genE10ELNS1_11target_archE1201ELNS1_3gpuE5ELNS1_3repE0EEENS1_48merge_mergepath_partition_config_static_selectorELNS0_4arch9wavefront6targetE1EEEvSH_,"axG",@progbits,_ZN7rocprim17ROCPRIM_400000_NS6detail17trampoline_kernelINS0_14default_configENS1_38merge_sort_block_merge_config_selectorIilEEZZNS1_27merge_sort_block_merge_implIS3_PiN6thrust23THRUST_200600_302600_NS10device_ptrIlEEjNS1_19radix_merge_compareILb0ELb0EiNS0_19identity_decomposerEEEEE10hipError_tT0_T1_T2_jT3_P12ihipStream_tbPNSt15iterator_traitsISG_E10value_typeEPNSM_ISH_E10value_typeEPSI_NS1_7vsmem_tEENKUlT_SG_SH_SI_E_clIS7_S7_SB_PlEESF_SV_SG_SH_SI_EUlSV_E_NS1_11comp_targetILNS1_3genE10ELNS1_11target_archE1201ELNS1_3gpuE5ELNS1_3repE0EEENS1_48merge_mergepath_partition_config_static_selectorELNS0_4arch9wavefront6targetE1EEEvSH_,comdat
	.protected	_ZN7rocprim17ROCPRIM_400000_NS6detail17trampoline_kernelINS0_14default_configENS1_38merge_sort_block_merge_config_selectorIilEEZZNS1_27merge_sort_block_merge_implIS3_PiN6thrust23THRUST_200600_302600_NS10device_ptrIlEEjNS1_19radix_merge_compareILb0ELb0EiNS0_19identity_decomposerEEEEE10hipError_tT0_T1_T2_jT3_P12ihipStream_tbPNSt15iterator_traitsISG_E10value_typeEPNSM_ISH_E10value_typeEPSI_NS1_7vsmem_tEENKUlT_SG_SH_SI_E_clIS7_S7_SB_PlEESF_SV_SG_SH_SI_EUlSV_E_NS1_11comp_targetILNS1_3genE10ELNS1_11target_archE1201ELNS1_3gpuE5ELNS1_3repE0EEENS1_48merge_mergepath_partition_config_static_selectorELNS0_4arch9wavefront6targetE1EEEvSH_ ; -- Begin function _ZN7rocprim17ROCPRIM_400000_NS6detail17trampoline_kernelINS0_14default_configENS1_38merge_sort_block_merge_config_selectorIilEEZZNS1_27merge_sort_block_merge_implIS3_PiN6thrust23THRUST_200600_302600_NS10device_ptrIlEEjNS1_19radix_merge_compareILb0ELb0EiNS0_19identity_decomposerEEEEE10hipError_tT0_T1_T2_jT3_P12ihipStream_tbPNSt15iterator_traitsISG_E10value_typeEPNSM_ISH_E10value_typeEPSI_NS1_7vsmem_tEENKUlT_SG_SH_SI_E_clIS7_S7_SB_PlEESF_SV_SG_SH_SI_EUlSV_E_NS1_11comp_targetILNS1_3genE10ELNS1_11target_archE1201ELNS1_3gpuE5ELNS1_3repE0EEENS1_48merge_mergepath_partition_config_static_selectorELNS0_4arch9wavefront6targetE1EEEvSH_
	.globl	_ZN7rocprim17ROCPRIM_400000_NS6detail17trampoline_kernelINS0_14default_configENS1_38merge_sort_block_merge_config_selectorIilEEZZNS1_27merge_sort_block_merge_implIS3_PiN6thrust23THRUST_200600_302600_NS10device_ptrIlEEjNS1_19radix_merge_compareILb0ELb0EiNS0_19identity_decomposerEEEEE10hipError_tT0_T1_T2_jT3_P12ihipStream_tbPNSt15iterator_traitsISG_E10value_typeEPNSM_ISH_E10value_typeEPSI_NS1_7vsmem_tEENKUlT_SG_SH_SI_E_clIS7_S7_SB_PlEESF_SV_SG_SH_SI_EUlSV_E_NS1_11comp_targetILNS1_3genE10ELNS1_11target_archE1201ELNS1_3gpuE5ELNS1_3repE0EEENS1_48merge_mergepath_partition_config_static_selectorELNS0_4arch9wavefront6targetE1EEEvSH_
	.p2align	8
	.type	_ZN7rocprim17ROCPRIM_400000_NS6detail17trampoline_kernelINS0_14default_configENS1_38merge_sort_block_merge_config_selectorIilEEZZNS1_27merge_sort_block_merge_implIS3_PiN6thrust23THRUST_200600_302600_NS10device_ptrIlEEjNS1_19radix_merge_compareILb0ELb0EiNS0_19identity_decomposerEEEEE10hipError_tT0_T1_T2_jT3_P12ihipStream_tbPNSt15iterator_traitsISG_E10value_typeEPNSM_ISH_E10value_typeEPSI_NS1_7vsmem_tEENKUlT_SG_SH_SI_E_clIS7_S7_SB_PlEESF_SV_SG_SH_SI_EUlSV_E_NS1_11comp_targetILNS1_3genE10ELNS1_11target_archE1201ELNS1_3gpuE5ELNS1_3repE0EEENS1_48merge_mergepath_partition_config_static_selectorELNS0_4arch9wavefront6targetE1EEEvSH_,@function
_ZN7rocprim17ROCPRIM_400000_NS6detail17trampoline_kernelINS0_14default_configENS1_38merge_sort_block_merge_config_selectorIilEEZZNS1_27merge_sort_block_merge_implIS3_PiN6thrust23THRUST_200600_302600_NS10device_ptrIlEEjNS1_19radix_merge_compareILb0ELb0EiNS0_19identity_decomposerEEEEE10hipError_tT0_T1_T2_jT3_P12ihipStream_tbPNSt15iterator_traitsISG_E10value_typeEPNSM_ISH_E10value_typeEPSI_NS1_7vsmem_tEENKUlT_SG_SH_SI_E_clIS7_S7_SB_PlEESF_SV_SG_SH_SI_EUlSV_E_NS1_11comp_targetILNS1_3genE10ELNS1_11target_archE1201ELNS1_3gpuE5ELNS1_3repE0EEENS1_48merge_mergepath_partition_config_static_selectorELNS0_4arch9wavefront6targetE1EEEvSH_: ; @_ZN7rocprim17ROCPRIM_400000_NS6detail17trampoline_kernelINS0_14default_configENS1_38merge_sort_block_merge_config_selectorIilEEZZNS1_27merge_sort_block_merge_implIS3_PiN6thrust23THRUST_200600_302600_NS10device_ptrIlEEjNS1_19radix_merge_compareILb0ELb0EiNS0_19identity_decomposerEEEEE10hipError_tT0_T1_T2_jT3_P12ihipStream_tbPNSt15iterator_traitsISG_E10value_typeEPNSM_ISH_E10value_typeEPSI_NS1_7vsmem_tEENKUlT_SG_SH_SI_E_clIS7_S7_SB_PlEESF_SV_SG_SH_SI_EUlSV_E_NS1_11comp_targetILNS1_3genE10ELNS1_11target_archE1201ELNS1_3gpuE5ELNS1_3repE0EEENS1_48merge_mergepath_partition_config_static_selectorELNS0_4arch9wavefront6targetE1EEEvSH_
; %bb.0:
	.section	.rodata,"a",@progbits
	.p2align	6, 0x0
	.amdhsa_kernel _ZN7rocprim17ROCPRIM_400000_NS6detail17trampoline_kernelINS0_14default_configENS1_38merge_sort_block_merge_config_selectorIilEEZZNS1_27merge_sort_block_merge_implIS3_PiN6thrust23THRUST_200600_302600_NS10device_ptrIlEEjNS1_19radix_merge_compareILb0ELb0EiNS0_19identity_decomposerEEEEE10hipError_tT0_T1_T2_jT3_P12ihipStream_tbPNSt15iterator_traitsISG_E10value_typeEPNSM_ISH_E10value_typeEPSI_NS1_7vsmem_tEENKUlT_SG_SH_SI_E_clIS7_S7_SB_PlEESF_SV_SG_SH_SI_EUlSV_E_NS1_11comp_targetILNS1_3genE10ELNS1_11target_archE1201ELNS1_3gpuE5ELNS1_3repE0EEENS1_48merge_mergepath_partition_config_static_selectorELNS0_4arch9wavefront6targetE1EEEvSH_
		.amdhsa_group_segment_fixed_size 0
		.amdhsa_private_segment_fixed_size 0
		.amdhsa_kernarg_size 40
		.amdhsa_user_sgpr_count 6
		.amdhsa_user_sgpr_private_segment_buffer 1
		.amdhsa_user_sgpr_dispatch_ptr 0
		.amdhsa_user_sgpr_queue_ptr 0
		.amdhsa_user_sgpr_kernarg_segment_ptr 1
		.amdhsa_user_sgpr_dispatch_id 0
		.amdhsa_user_sgpr_flat_scratch_init 0
		.amdhsa_user_sgpr_kernarg_preload_length 0
		.amdhsa_user_sgpr_kernarg_preload_offset 0
		.amdhsa_user_sgpr_private_segment_size 0
		.amdhsa_uses_dynamic_stack 0
		.amdhsa_system_sgpr_private_segment_wavefront_offset 0
		.amdhsa_system_sgpr_workgroup_id_x 1
		.amdhsa_system_sgpr_workgroup_id_y 0
		.amdhsa_system_sgpr_workgroup_id_z 0
		.amdhsa_system_sgpr_workgroup_info 0
		.amdhsa_system_vgpr_workitem_id 0
		.amdhsa_next_free_vgpr 1
		.amdhsa_next_free_sgpr 0
		.amdhsa_accum_offset 4
		.amdhsa_reserve_vcc 0
		.amdhsa_reserve_flat_scratch 0
		.amdhsa_float_round_mode_32 0
		.amdhsa_float_round_mode_16_64 0
		.amdhsa_float_denorm_mode_32 3
		.amdhsa_float_denorm_mode_16_64 3
		.amdhsa_dx10_clamp 1
		.amdhsa_ieee_mode 1
		.amdhsa_fp16_overflow 0
		.amdhsa_tg_split 0
		.amdhsa_exception_fp_ieee_invalid_op 0
		.amdhsa_exception_fp_denorm_src 0
		.amdhsa_exception_fp_ieee_div_zero 0
		.amdhsa_exception_fp_ieee_overflow 0
		.amdhsa_exception_fp_ieee_underflow 0
		.amdhsa_exception_fp_ieee_inexact 0
		.amdhsa_exception_int_div_zero 0
	.end_amdhsa_kernel
	.section	.text._ZN7rocprim17ROCPRIM_400000_NS6detail17trampoline_kernelINS0_14default_configENS1_38merge_sort_block_merge_config_selectorIilEEZZNS1_27merge_sort_block_merge_implIS3_PiN6thrust23THRUST_200600_302600_NS10device_ptrIlEEjNS1_19radix_merge_compareILb0ELb0EiNS0_19identity_decomposerEEEEE10hipError_tT0_T1_T2_jT3_P12ihipStream_tbPNSt15iterator_traitsISG_E10value_typeEPNSM_ISH_E10value_typeEPSI_NS1_7vsmem_tEENKUlT_SG_SH_SI_E_clIS7_S7_SB_PlEESF_SV_SG_SH_SI_EUlSV_E_NS1_11comp_targetILNS1_3genE10ELNS1_11target_archE1201ELNS1_3gpuE5ELNS1_3repE0EEENS1_48merge_mergepath_partition_config_static_selectorELNS0_4arch9wavefront6targetE1EEEvSH_,"axG",@progbits,_ZN7rocprim17ROCPRIM_400000_NS6detail17trampoline_kernelINS0_14default_configENS1_38merge_sort_block_merge_config_selectorIilEEZZNS1_27merge_sort_block_merge_implIS3_PiN6thrust23THRUST_200600_302600_NS10device_ptrIlEEjNS1_19radix_merge_compareILb0ELb0EiNS0_19identity_decomposerEEEEE10hipError_tT0_T1_T2_jT3_P12ihipStream_tbPNSt15iterator_traitsISG_E10value_typeEPNSM_ISH_E10value_typeEPSI_NS1_7vsmem_tEENKUlT_SG_SH_SI_E_clIS7_S7_SB_PlEESF_SV_SG_SH_SI_EUlSV_E_NS1_11comp_targetILNS1_3genE10ELNS1_11target_archE1201ELNS1_3gpuE5ELNS1_3repE0EEENS1_48merge_mergepath_partition_config_static_selectorELNS0_4arch9wavefront6targetE1EEEvSH_,comdat
.Lfunc_end769:
	.size	_ZN7rocprim17ROCPRIM_400000_NS6detail17trampoline_kernelINS0_14default_configENS1_38merge_sort_block_merge_config_selectorIilEEZZNS1_27merge_sort_block_merge_implIS3_PiN6thrust23THRUST_200600_302600_NS10device_ptrIlEEjNS1_19radix_merge_compareILb0ELb0EiNS0_19identity_decomposerEEEEE10hipError_tT0_T1_T2_jT3_P12ihipStream_tbPNSt15iterator_traitsISG_E10value_typeEPNSM_ISH_E10value_typeEPSI_NS1_7vsmem_tEENKUlT_SG_SH_SI_E_clIS7_S7_SB_PlEESF_SV_SG_SH_SI_EUlSV_E_NS1_11comp_targetILNS1_3genE10ELNS1_11target_archE1201ELNS1_3gpuE5ELNS1_3repE0EEENS1_48merge_mergepath_partition_config_static_selectorELNS0_4arch9wavefront6targetE1EEEvSH_, .Lfunc_end769-_ZN7rocprim17ROCPRIM_400000_NS6detail17trampoline_kernelINS0_14default_configENS1_38merge_sort_block_merge_config_selectorIilEEZZNS1_27merge_sort_block_merge_implIS3_PiN6thrust23THRUST_200600_302600_NS10device_ptrIlEEjNS1_19radix_merge_compareILb0ELb0EiNS0_19identity_decomposerEEEEE10hipError_tT0_T1_T2_jT3_P12ihipStream_tbPNSt15iterator_traitsISG_E10value_typeEPNSM_ISH_E10value_typeEPSI_NS1_7vsmem_tEENKUlT_SG_SH_SI_E_clIS7_S7_SB_PlEESF_SV_SG_SH_SI_EUlSV_E_NS1_11comp_targetILNS1_3genE10ELNS1_11target_archE1201ELNS1_3gpuE5ELNS1_3repE0EEENS1_48merge_mergepath_partition_config_static_selectorELNS0_4arch9wavefront6targetE1EEEvSH_
                                        ; -- End function
	.section	.AMDGPU.csdata,"",@progbits
; Kernel info:
; codeLenInByte = 0
; NumSgprs: 4
; NumVgprs: 0
; NumAgprs: 0
; TotalNumVgprs: 0
; ScratchSize: 0
; MemoryBound: 0
; FloatMode: 240
; IeeeMode: 1
; LDSByteSize: 0 bytes/workgroup (compile time only)
; SGPRBlocks: 0
; VGPRBlocks: 0
; NumSGPRsForWavesPerEU: 4
; NumVGPRsForWavesPerEU: 1
; AccumOffset: 4
; Occupancy: 8
; WaveLimiterHint : 0
; COMPUTE_PGM_RSRC2:SCRATCH_EN: 0
; COMPUTE_PGM_RSRC2:USER_SGPR: 6
; COMPUTE_PGM_RSRC2:TRAP_HANDLER: 0
; COMPUTE_PGM_RSRC2:TGID_X_EN: 1
; COMPUTE_PGM_RSRC2:TGID_Y_EN: 0
; COMPUTE_PGM_RSRC2:TGID_Z_EN: 0
; COMPUTE_PGM_RSRC2:TIDIG_COMP_CNT: 0
; COMPUTE_PGM_RSRC3_GFX90A:ACCUM_OFFSET: 0
; COMPUTE_PGM_RSRC3_GFX90A:TG_SPLIT: 0
	.section	.text._ZN7rocprim17ROCPRIM_400000_NS6detail17trampoline_kernelINS0_14default_configENS1_38merge_sort_block_merge_config_selectorIilEEZZNS1_27merge_sort_block_merge_implIS3_PiN6thrust23THRUST_200600_302600_NS10device_ptrIlEEjNS1_19radix_merge_compareILb0ELb0EiNS0_19identity_decomposerEEEEE10hipError_tT0_T1_T2_jT3_P12ihipStream_tbPNSt15iterator_traitsISG_E10value_typeEPNSM_ISH_E10value_typeEPSI_NS1_7vsmem_tEENKUlT_SG_SH_SI_E_clIS7_S7_SB_PlEESF_SV_SG_SH_SI_EUlSV_E_NS1_11comp_targetILNS1_3genE5ELNS1_11target_archE942ELNS1_3gpuE9ELNS1_3repE0EEENS1_48merge_mergepath_partition_config_static_selectorELNS0_4arch9wavefront6targetE1EEEvSH_,"axG",@progbits,_ZN7rocprim17ROCPRIM_400000_NS6detail17trampoline_kernelINS0_14default_configENS1_38merge_sort_block_merge_config_selectorIilEEZZNS1_27merge_sort_block_merge_implIS3_PiN6thrust23THRUST_200600_302600_NS10device_ptrIlEEjNS1_19radix_merge_compareILb0ELb0EiNS0_19identity_decomposerEEEEE10hipError_tT0_T1_T2_jT3_P12ihipStream_tbPNSt15iterator_traitsISG_E10value_typeEPNSM_ISH_E10value_typeEPSI_NS1_7vsmem_tEENKUlT_SG_SH_SI_E_clIS7_S7_SB_PlEESF_SV_SG_SH_SI_EUlSV_E_NS1_11comp_targetILNS1_3genE5ELNS1_11target_archE942ELNS1_3gpuE9ELNS1_3repE0EEENS1_48merge_mergepath_partition_config_static_selectorELNS0_4arch9wavefront6targetE1EEEvSH_,comdat
	.protected	_ZN7rocprim17ROCPRIM_400000_NS6detail17trampoline_kernelINS0_14default_configENS1_38merge_sort_block_merge_config_selectorIilEEZZNS1_27merge_sort_block_merge_implIS3_PiN6thrust23THRUST_200600_302600_NS10device_ptrIlEEjNS1_19radix_merge_compareILb0ELb0EiNS0_19identity_decomposerEEEEE10hipError_tT0_T1_T2_jT3_P12ihipStream_tbPNSt15iterator_traitsISG_E10value_typeEPNSM_ISH_E10value_typeEPSI_NS1_7vsmem_tEENKUlT_SG_SH_SI_E_clIS7_S7_SB_PlEESF_SV_SG_SH_SI_EUlSV_E_NS1_11comp_targetILNS1_3genE5ELNS1_11target_archE942ELNS1_3gpuE9ELNS1_3repE0EEENS1_48merge_mergepath_partition_config_static_selectorELNS0_4arch9wavefront6targetE1EEEvSH_ ; -- Begin function _ZN7rocprim17ROCPRIM_400000_NS6detail17trampoline_kernelINS0_14default_configENS1_38merge_sort_block_merge_config_selectorIilEEZZNS1_27merge_sort_block_merge_implIS3_PiN6thrust23THRUST_200600_302600_NS10device_ptrIlEEjNS1_19radix_merge_compareILb0ELb0EiNS0_19identity_decomposerEEEEE10hipError_tT0_T1_T2_jT3_P12ihipStream_tbPNSt15iterator_traitsISG_E10value_typeEPNSM_ISH_E10value_typeEPSI_NS1_7vsmem_tEENKUlT_SG_SH_SI_E_clIS7_S7_SB_PlEESF_SV_SG_SH_SI_EUlSV_E_NS1_11comp_targetILNS1_3genE5ELNS1_11target_archE942ELNS1_3gpuE9ELNS1_3repE0EEENS1_48merge_mergepath_partition_config_static_selectorELNS0_4arch9wavefront6targetE1EEEvSH_
	.globl	_ZN7rocprim17ROCPRIM_400000_NS6detail17trampoline_kernelINS0_14default_configENS1_38merge_sort_block_merge_config_selectorIilEEZZNS1_27merge_sort_block_merge_implIS3_PiN6thrust23THRUST_200600_302600_NS10device_ptrIlEEjNS1_19radix_merge_compareILb0ELb0EiNS0_19identity_decomposerEEEEE10hipError_tT0_T1_T2_jT3_P12ihipStream_tbPNSt15iterator_traitsISG_E10value_typeEPNSM_ISH_E10value_typeEPSI_NS1_7vsmem_tEENKUlT_SG_SH_SI_E_clIS7_S7_SB_PlEESF_SV_SG_SH_SI_EUlSV_E_NS1_11comp_targetILNS1_3genE5ELNS1_11target_archE942ELNS1_3gpuE9ELNS1_3repE0EEENS1_48merge_mergepath_partition_config_static_selectorELNS0_4arch9wavefront6targetE1EEEvSH_
	.p2align	8
	.type	_ZN7rocprim17ROCPRIM_400000_NS6detail17trampoline_kernelINS0_14default_configENS1_38merge_sort_block_merge_config_selectorIilEEZZNS1_27merge_sort_block_merge_implIS3_PiN6thrust23THRUST_200600_302600_NS10device_ptrIlEEjNS1_19radix_merge_compareILb0ELb0EiNS0_19identity_decomposerEEEEE10hipError_tT0_T1_T2_jT3_P12ihipStream_tbPNSt15iterator_traitsISG_E10value_typeEPNSM_ISH_E10value_typeEPSI_NS1_7vsmem_tEENKUlT_SG_SH_SI_E_clIS7_S7_SB_PlEESF_SV_SG_SH_SI_EUlSV_E_NS1_11comp_targetILNS1_3genE5ELNS1_11target_archE942ELNS1_3gpuE9ELNS1_3repE0EEENS1_48merge_mergepath_partition_config_static_selectorELNS0_4arch9wavefront6targetE1EEEvSH_,@function
_ZN7rocprim17ROCPRIM_400000_NS6detail17trampoline_kernelINS0_14default_configENS1_38merge_sort_block_merge_config_selectorIilEEZZNS1_27merge_sort_block_merge_implIS3_PiN6thrust23THRUST_200600_302600_NS10device_ptrIlEEjNS1_19radix_merge_compareILb0ELb0EiNS0_19identity_decomposerEEEEE10hipError_tT0_T1_T2_jT3_P12ihipStream_tbPNSt15iterator_traitsISG_E10value_typeEPNSM_ISH_E10value_typeEPSI_NS1_7vsmem_tEENKUlT_SG_SH_SI_E_clIS7_S7_SB_PlEESF_SV_SG_SH_SI_EUlSV_E_NS1_11comp_targetILNS1_3genE5ELNS1_11target_archE942ELNS1_3gpuE9ELNS1_3repE0EEENS1_48merge_mergepath_partition_config_static_selectorELNS0_4arch9wavefront6targetE1EEEvSH_: ; @_ZN7rocprim17ROCPRIM_400000_NS6detail17trampoline_kernelINS0_14default_configENS1_38merge_sort_block_merge_config_selectorIilEEZZNS1_27merge_sort_block_merge_implIS3_PiN6thrust23THRUST_200600_302600_NS10device_ptrIlEEjNS1_19radix_merge_compareILb0ELb0EiNS0_19identity_decomposerEEEEE10hipError_tT0_T1_T2_jT3_P12ihipStream_tbPNSt15iterator_traitsISG_E10value_typeEPNSM_ISH_E10value_typeEPSI_NS1_7vsmem_tEENKUlT_SG_SH_SI_E_clIS7_S7_SB_PlEESF_SV_SG_SH_SI_EUlSV_E_NS1_11comp_targetILNS1_3genE5ELNS1_11target_archE942ELNS1_3gpuE9ELNS1_3repE0EEENS1_48merge_mergepath_partition_config_static_selectorELNS0_4arch9wavefront6targetE1EEEvSH_
; %bb.0:
	.section	.rodata,"a",@progbits
	.p2align	6, 0x0
	.amdhsa_kernel _ZN7rocprim17ROCPRIM_400000_NS6detail17trampoline_kernelINS0_14default_configENS1_38merge_sort_block_merge_config_selectorIilEEZZNS1_27merge_sort_block_merge_implIS3_PiN6thrust23THRUST_200600_302600_NS10device_ptrIlEEjNS1_19radix_merge_compareILb0ELb0EiNS0_19identity_decomposerEEEEE10hipError_tT0_T1_T2_jT3_P12ihipStream_tbPNSt15iterator_traitsISG_E10value_typeEPNSM_ISH_E10value_typeEPSI_NS1_7vsmem_tEENKUlT_SG_SH_SI_E_clIS7_S7_SB_PlEESF_SV_SG_SH_SI_EUlSV_E_NS1_11comp_targetILNS1_3genE5ELNS1_11target_archE942ELNS1_3gpuE9ELNS1_3repE0EEENS1_48merge_mergepath_partition_config_static_selectorELNS0_4arch9wavefront6targetE1EEEvSH_
		.amdhsa_group_segment_fixed_size 0
		.amdhsa_private_segment_fixed_size 0
		.amdhsa_kernarg_size 40
		.amdhsa_user_sgpr_count 6
		.amdhsa_user_sgpr_private_segment_buffer 1
		.amdhsa_user_sgpr_dispatch_ptr 0
		.amdhsa_user_sgpr_queue_ptr 0
		.amdhsa_user_sgpr_kernarg_segment_ptr 1
		.amdhsa_user_sgpr_dispatch_id 0
		.amdhsa_user_sgpr_flat_scratch_init 0
		.amdhsa_user_sgpr_kernarg_preload_length 0
		.amdhsa_user_sgpr_kernarg_preload_offset 0
		.amdhsa_user_sgpr_private_segment_size 0
		.amdhsa_uses_dynamic_stack 0
		.amdhsa_system_sgpr_private_segment_wavefront_offset 0
		.amdhsa_system_sgpr_workgroup_id_x 1
		.amdhsa_system_sgpr_workgroup_id_y 0
		.amdhsa_system_sgpr_workgroup_id_z 0
		.amdhsa_system_sgpr_workgroup_info 0
		.amdhsa_system_vgpr_workitem_id 0
		.amdhsa_next_free_vgpr 1
		.amdhsa_next_free_sgpr 0
		.amdhsa_accum_offset 4
		.amdhsa_reserve_vcc 0
		.amdhsa_reserve_flat_scratch 0
		.amdhsa_float_round_mode_32 0
		.amdhsa_float_round_mode_16_64 0
		.amdhsa_float_denorm_mode_32 3
		.amdhsa_float_denorm_mode_16_64 3
		.amdhsa_dx10_clamp 1
		.amdhsa_ieee_mode 1
		.amdhsa_fp16_overflow 0
		.amdhsa_tg_split 0
		.amdhsa_exception_fp_ieee_invalid_op 0
		.amdhsa_exception_fp_denorm_src 0
		.amdhsa_exception_fp_ieee_div_zero 0
		.amdhsa_exception_fp_ieee_overflow 0
		.amdhsa_exception_fp_ieee_underflow 0
		.amdhsa_exception_fp_ieee_inexact 0
		.amdhsa_exception_int_div_zero 0
	.end_amdhsa_kernel
	.section	.text._ZN7rocprim17ROCPRIM_400000_NS6detail17trampoline_kernelINS0_14default_configENS1_38merge_sort_block_merge_config_selectorIilEEZZNS1_27merge_sort_block_merge_implIS3_PiN6thrust23THRUST_200600_302600_NS10device_ptrIlEEjNS1_19radix_merge_compareILb0ELb0EiNS0_19identity_decomposerEEEEE10hipError_tT0_T1_T2_jT3_P12ihipStream_tbPNSt15iterator_traitsISG_E10value_typeEPNSM_ISH_E10value_typeEPSI_NS1_7vsmem_tEENKUlT_SG_SH_SI_E_clIS7_S7_SB_PlEESF_SV_SG_SH_SI_EUlSV_E_NS1_11comp_targetILNS1_3genE5ELNS1_11target_archE942ELNS1_3gpuE9ELNS1_3repE0EEENS1_48merge_mergepath_partition_config_static_selectorELNS0_4arch9wavefront6targetE1EEEvSH_,"axG",@progbits,_ZN7rocprim17ROCPRIM_400000_NS6detail17trampoline_kernelINS0_14default_configENS1_38merge_sort_block_merge_config_selectorIilEEZZNS1_27merge_sort_block_merge_implIS3_PiN6thrust23THRUST_200600_302600_NS10device_ptrIlEEjNS1_19radix_merge_compareILb0ELb0EiNS0_19identity_decomposerEEEEE10hipError_tT0_T1_T2_jT3_P12ihipStream_tbPNSt15iterator_traitsISG_E10value_typeEPNSM_ISH_E10value_typeEPSI_NS1_7vsmem_tEENKUlT_SG_SH_SI_E_clIS7_S7_SB_PlEESF_SV_SG_SH_SI_EUlSV_E_NS1_11comp_targetILNS1_3genE5ELNS1_11target_archE942ELNS1_3gpuE9ELNS1_3repE0EEENS1_48merge_mergepath_partition_config_static_selectorELNS0_4arch9wavefront6targetE1EEEvSH_,comdat
.Lfunc_end770:
	.size	_ZN7rocprim17ROCPRIM_400000_NS6detail17trampoline_kernelINS0_14default_configENS1_38merge_sort_block_merge_config_selectorIilEEZZNS1_27merge_sort_block_merge_implIS3_PiN6thrust23THRUST_200600_302600_NS10device_ptrIlEEjNS1_19radix_merge_compareILb0ELb0EiNS0_19identity_decomposerEEEEE10hipError_tT0_T1_T2_jT3_P12ihipStream_tbPNSt15iterator_traitsISG_E10value_typeEPNSM_ISH_E10value_typeEPSI_NS1_7vsmem_tEENKUlT_SG_SH_SI_E_clIS7_S7_SB_PlEESF_SV_SG_SH_SI_EUlSV_E_NS1_11comp_targetILNS1_3genE5ELNS1_11target_archE942ELNS1_3gpuE9ELNS1_3repE0EEENS1_48merge_mergepath_partition_config_static_selectorELNS0_4arch9wavefront6targetE1EEEvSH_, .Lfunc_end770-_ZN7rocprim17ROCPRIM_400000_NS6detail17trampoline_kernelINS0_14default_configENS1_38merge_sort_block_merge_config_selectorIilEEZZNS1_27merge_sort_block_merge_implIS3_PiN6thrust23THRUST_200600_302600_NS10device_ptrIlEEjNS1_19radix_merge_compareILb0ELb0EiNS0_19identity_decomposerEEEEE10hipError_tT0_T1_T2_jT3_P12ihipStream_tbPNSt15iterator_traitsISG_E10value_typeEPNSM_ISH_E10value_typeEPSI_NS1_7vsmem_tEENKUlT_SG_SH_SI_E_clIS7_S7_SB_PlEESF_SV_SG_SH_SI_EUlSV_E_NS1_11comp_targetILNS1_3genE5ELNS1_11target_archE942ELNS1_3gpuE9ELNS1_3repE0EEENS1_48merge_mergepath_partition_config_static_selectorELNS0_4arch9wavefront6targetE1EEEvSH_
                                        ; -- End function
	.section	.AMDGPU.csdata,"",@progbits
; Kernel info:
; codeLenInByte = 0
; NumSgprs: 4
; NumVgprs: 0
; NumAgprs: 0
; TotalNumVgprs: 0
; ScratchSize: 0
; MemoryBound: 0
; FloatMode: 240
; IeeeMode: 1
; LDSByteSize: 0 bytes/workgroup (compile time only)
; SGPRBlocks: 0
; VGPRBlocks: 0
; NumSGPRsForWavesPerEU: 4
; NumVGPRsForWavesPerEU: 1
; AccumOffset: 4
; Occupancy: 8
; WaveLimiterHint : 0
; COMPUTE_PGM_RSRC2:SCRATCH_EN: 0
; COMPUTE_PGM_RSRC2:USER_SGPR: 6
; COMPUTE_PGM_RSRC2:TRAP_HANDLER: 0
; COMPUTE_PGM_RSRC2:TGID_X_EN: 1
; COMPUTE_PGM_RSRC2:TGID_Y_EN: 0
; COMPUTE_PGM_RSRC2:TGID_Z_EN: 0
; COMPUTE_PGM_RSRC2:TIDIG_COMP_CNT: 0
; COMPUTE_PGM_RSRC3_GFX90A:ACCUM_OFFSET: 0
; COMPUTE_PGM_RSRC3_GFX90A:TG_SPLIT: 0
	.section	.text._ZN7rocprim17ROCPRIM_400000_NS6detail17trampoline_kernelINS0_14default_configENS1_38merge_sort_block_merge_config_selectorIilEEZZNS1_27merge_sort_block_merge_implIS3_PiN6thrust23THRUST_200600_302600_NS10device_ptrIlEEjNS1_19radix_merge_compareILb0ELb0EiNS0_19identity_decomposerEEEEE10hipError_tT0_T1_T2_jT3_P12ihipStream_tbPNSt15iterator_traitsISG_E10value_typeEPNSM_ISH_E10value_typeEPSI_NS1_7vsmem_tEENKUlT_SG_SH_SI_E_clIS7_S7_SB_PlEESF_SV_SG_SH_SI_EUlSV_E_NS1_11comp_targetILNS1_3genE4ELNS1_11target_archE910ELNS1_3gpuE8ELNS1_3repE0EEENS1_48merge_mergepath_partition_config_static_selectorELNS0_4arch9wavefront6targetE1EEEvSH_,"axG",@progbits,_ZN7rocprim17ROCPRIM_400000_NS6detail17trampoline_kernelINS0_14default_configENS1_38merge_sort_block_merge_config_selectorIilEEZZNS1_27merge_sort_block_merge_implIS3_PiN6thrust23THRUST_200600_302600_NS10device_ptrIlEEjNS1_19radix_merge_compareILb0ELb0EiNS0_19identity_decomposerEEEEE10hipError_tT0_T1_T2_jT3_P12ihipStream_tbPNSt15iterator_traitsISG_E10value_typeEPNSM_ISH_E10value_typeEPSI_NS1_7vsmem_tEENKUlT_SG_SH_SI_E_clIS7_S7_SB_PlEESF_SV_SG_SH_SI_EUlSV_E_NS1_11comp_targetILNS1_3genE4ELNS1_11target_archE910ELNS1_3gpuE8ELNS1_3repE0EEENS1_48merge_mergepath_partition_config_static_selectorELNS0_4arch9wavefront6targetE1EEEvSH_,comdat
	.protected	_ZN7rocprim17ROCPRIM_400000_NS6detail17trampoline_kernelINS0_14default_configENS1_38merge_sort_block_merge_config_selectorIilEEZZNS1_27merge_sort_block_merge_implIS3_PiN6thrust23THRUST_200600_302600_NS10device_ptrIlEEjNS1_19radix_merge_compareILb0ELb0EiNS0_19identity_decomposerEEEEE10hipError_tT0_T1_T2_jT3_P12ihipStream_tbPNSt15iterator_traitsISG_E10value_typeEPNSM_ISH_E10value_typeEPSI_NS1_7vsmem_tEENKUlT_SG_SH_SI_E_clIS7_S7_SB_PlEESF_SV_SG_SH_SI_EUlSV_E_NS1_11comp_targetILNS1_3genE4ELNS1_11target_archE910ELNS1_3gpuE8ELNS1_3repE0EEENS1_48merge_mergepath_partition_config_static_selectorELNS0_4arch9wavefront6targetE1EEEvSH_ ; -- Begin function _ZN7rocprim17ROCPRIM_400000_NS6detail17trampoline_kernelINS0_14default_configENS1_38merge_sort_block_merge_config_selectorIilEEZZNS1_27merge_sort_block_merge_implIS3_PiN6thrust23THRUST_200600_302600_NS10device_ptrIlEEjNS1_19radix_merge_compareILb0ELb0EiNS0_19identity_decomposerEEEEE10hipError_tT0_T1_T2_jT3_P12ihipStream_tbPNSt15iterator_traitsISG_E10value_typeEPNSM_ISH_E10value_typeEPSI_NS1_7vsmem_tEENKUlT_SG_SH_SI_E_clIS7_S7_SB_PlEESF_SV_SG_SH_SI_EUlSV_E_NS1_11comp_targetILNS1_3genE4ELNS1_11target_archE910ELNS1_3gpuE8ELNS1_3repE0EEENS1_48merge_mergepath_partition_config_static_selectorELNS0_4arch9wavefront6targetE1EEEvSH_
	.globl	_ZN7rocprim17ROCPRIM_400000_NS6detail17trampoline_kernelINS0_14default_configENS1_38merge_sort_block_merge_config_selectorIilEEZZNS1_27merge_sort_block_merge_implIS3_PiN6thrust23THRUST_200600_302600_NS10device_ptrIlEEjNS1_19radix_merge_compareILb0ELb0EiNS0_19identity_decomposerEEEEE10hipError_tT0_T1_T2_jT3_P12ihipStream_tbPNSt15iterator_traitsISG_E10value_typeEPNSM_ISH_E10value_typeEPSI_NS1_7vsmem_tEENKUlT_SG_SH_SI_E_clIS7_S7_SB_PlEESF_SV_SG_SH_SI_EUlSV_E_NS1_11comp_targetILNS1_3genE4ELNS1_11target_archE910ELNS1_3gpuE8ELNS1_3repE0EEENS1_48merge_mergepath_partition_config_static_selectorELNS0_4arch9wavefront6targetE1EEEvSH_
	.p2align	8
	.type	_ZN7rocprim17ROCPRIM_400000_NS6detail17trampoline_kernelINS0_14default_configENS1_38merge_sort_block_merge_config_selectorIilEEZZNS1_27merge_sort_block_merge_implIS3_PiN6thrust23THRUST_200600_302600_NS10device_ptrIlEEjNS1_19radix_merge_compareILb0ELb0EiNS0_19identity_decomposerEEEEE10hipError_tT0_T1_T2_jT3_P12ihipStream_tbPNSt15iterator_traitsISG_E10value_typeEPNSM_ISH_E10value_typeEPSI_NS1_7vsmem_tEENKUlT_SG_SH_SI_E_clIS7_S7_SB_PlEESF_SV_SG_SH_SI_EUlSV_E_NS1_11comp_targetILNS1_3genE4ELNS1_11target_archE910ELNS1_3gpuE8ELNS1_3repE0EEENS1_48merge_mergepath_partition_config_static_selectorELNS0_4arch9wavefront6targetE1EEEvSH_,@function
_ZN7rocprim17ROCPRIM_400000_NS6detail17trampoline_kernelINS0_14default_configENS1_38merge_sort_block_merge_config_selectorIilEEZZNS1_27merge_sort_block_merge_implIS3_PiN6thrust23THRUST_200600_302600_NS10device_ptrIlEEjNS1_19radix_merge_compareILb0ELb0EiNS0_19identity_decomposerEEEEE10hipError_tT0_T1_T2_jT3_P12ihipStream_tbPNSt15iterator_traitsISG_E10value_typeEPNSM_ISH_E10value_typeEPSI_NS1_7vsmem_tEENKUlT_SG_SH_SI_E_clIS7_S7_SB_PlEESF_SV_SG_SH_SI_EUlSV_E_NS1_11comp_targetILNS1_3genE4ELNS1_11target_archE910ELNS1_3gpuE8ELNS1_3repE0EEENS1_48merge_mergepath_partition_config_static_selectorELNS0_4arch9wavefront6targetE1EEEvSH_: ; @_ZN7rocprim17ROCPRIM_400000_NS6detail17trampoline_kernelINS0_14default_configENS1_38merge_sort_block_merge_config_selectorIilEEZZNS1_27merge_sort_block_merge_implIS3_PiN6thrust23THRUST_200600_302600_NS10device_ptrIlEEjNS1_19radix_merge_compareILb0ELb0EiNS0_19identity_decomposerEEEEE10hipError_tT0_T1_T2_jT3_P12ihipStream_tbPNSt15iterator_traitsISG_E10value_typeEPNSM_ISH_E10value_typeEPSI_NS1_7vsmem_tEENKUlT_SG_SH_SI_E_clIS7_S7_SB_PlEESF_SV_SG_SH_SI_EUlSV_E_NS1_11comp_targetILNS1_3genE4ELNS1_11target_archE910ELNS1_3gpuE8ELNS1_3repE0EEENS1_48merge_mergepath_partition_config_static_selectorELNS0_4arch9wavefront6targetE1EEEvSH_
; %bb.0:
	s_load_dword s0, s[4:5], 0x0
	v_lshl_or_b32 v0, s6, 7, v0
	s_waitcnt lgkmcnt(0)
	v_cmp_gt_u32_e32 vcc, s0, v0
	s_and_saveexec_b64 s[0:1], vcc
	s_cbranch_execz .LBB771_6
; %bb.1:
	s_load_dwordx2 s[2:3], s[4:5], 0x4
	s_load_dwordx2 s[0:1], s[4:5], 0x20
	s_waitcnt lgkmcnt(0)
	s_lshr_b32 s6, s2, 9
	s_and_b32 s6, s6, 0x7ffffe
	s_add_i32 s7, s6, -1
	s_sub_i32 s6, 0, s6
	v_and_b32_e32 v1, s6, v0
	v_lshlrev_b32_e32 v1, 10, v1
	v_min_u32_e32 v2, s3, v1
	v_add_u32_e32 v1, s2, v1
	v_min_u32_e32 v4, s3, v1
	v_add_u32_e32 v1, s2, v4
	v_and_b32_e32 v3, s7, v0
	v_min_u32_e32 v1, s3, v1
	v_sub_u32_e32 v5, v1, v2
	v_lshlrev_b32_e32 v3, 10, v3
	v_min_u32_e32 v6, v5, v3
	v_sub_u32_e32 v3, v4, v2
	v_sub_u32_e32 v1, v1, v4
	v_sub_u32_e64 v1, v6, v1 clamp
	v_min_u32_e32 v7, v6, v3
	v_cmp_lt_u32_e32 vcc, v1, v7
	s_and_saveexec_b64 s[2:3], vcc
	s_cbranch_execz .LBB771_5
; %bb.2:
	s_load_dwordx2 s[4:5], s[4:5], 0x10
	v_mov_b32_e32 v5, 0
	v_mov_b32_e32 v3, v5
	v_lshlrev_b64 v[8:9], 2, v[2:3]
	v_lshlrev_b64 v[10:11], 2, v[4:5]
	s_waitcnt lgkmcnt(0)
	v_mov_b32_e32 v12, s5
	v_add_co_u32_e32 v3, vcc, s4, v8
	v_addc_co_u32_e32 v8, vcc, v12, v9, vcc
	v_add_co_u32_e32 v9, vcc, s4, v10
	v_addc_co_u32_e32 v10, vcc, v12, v11, vcc
	s_mov_b64 s[4:5], 0
.LBB771_3:                              ; =>This Inner Loop Header: Depth=1
	v_add_u32_e32 v4, v7, v1
	v_lshrrev_b32_e32 v4, 1, v4
	v_lshlrev_b64 v[14:15], 2, v[4:5]
	v_mov_b32_e32 v13, v5
	v_xad_u32 v12, v4, -1, v6
	v_add_co_u32_e32 v14, vcc, v3, v14
	v_addc_co_u32_e32 v15, vcc, v8, v15, vcc
	v_lshlrev_b64 v[12:13], 2, v[12:13]
	v_add_co_u32_e32 v12, vcc, v9, v12
	v_addc_co_u32_e32 v13, vcc, v10, v13, vcc
	global_load_dword v11, v[14:15], off
	global_load_dword v16, v[12:13], off
	v_add_u32_e32 v12, 1, v4
	s_waitcnt vmcnt(0)
	v_cmp_gt_i32_e32 vcc, v11, v16
	v_cndmask_b32_e32 v7, v7, v4, vcc
	v_cndmask_b32_e32 v1, v12, v1, vcc
	v_cmp_ge_u32_e32 vcc, v1, v7
	s_or_b64 s[4:5], vcc, s[4:5]
	s_andn2_b64 exec, exec, s[4:5]
	s_cbranch_execnz .LBB771_3
; %bb.4:
	s_or_b64 exec, exec, s[4:5]
.LBB771_5:
	s_or_b64 exec, exec, s[2:3]
	v_add_u32_e32 v2, v1, v2
	v_mov_b32_e32 v1, 0
	v_lshlrev_b64 v[0:1], 2, v[0:1]
	v_mov_b32_e32 v3, s1
	v_add_co_u32_e32 v0, vcc, s0, v0
	v_addc_co_u32_e32 v1, vcc, v3, v1, vcc
	global_store_dword v[0:1], v2, off
.LBB771_6:
	s_endpgm
	.section	.rodata,"a",@progbits
	.p2align	6, 0x0
	.amdhsa_kernel _ZN7rocprim17ROCPRIM_400000_NS6detail17trampoline_kernelINS0_14default_configENS1_38merge_sort_block_merge_config_selectorIilEEZZNS1_27merge_sort_block_merge_implIS3_PiN6thrust23THRUST_200600_302600_NS10device_ptrIlEEjNS1_19radix_merge_compareILb0ELb0EiNS0_19identity_decomposerEEEEE10hipError_tT0_T1_T2_jT3_P12ihipStream_tbPNSt15iterator_traitsISG_E10value_typeEPNSM_ISH_E10value_typeEPSI_NS1_7vsmem_tEENKUlT_SG_SH_SI_E_clIS7_S7_SB_PlEESF_SV_SG_SH_SI_EUlSV_E_NS1_11comp_targetILNS1_3genE4ELNS1_11target_archE910ELNS1_3gpuE8ELNS1_3repE0EEENS1_48merge_mergepath_partition_config_static_selectorELNS0_4arch9wavefront6targetE1EEEvSH_
		.amdhsa_group_segment_fixed_size 0
		.amdhsa_private_segment_fixed_size 0
		.amdhsa_kernarg_size 40
		.amdhsa_user_sgpr_count 6
		.amdhsa_user_sgpr_private_segment_buffer 1
		.amdhsa_user_sgpr_dispatch_ptr 0
		.amdhsa_user_sgpr_queue_ptr 0
		.amdhsa_user_sgpr_kernarg_segment_ptr 1
		.amdhsa_user_sgpr_dispatch_id 0
		.amdhsa_user_sgpr_flat_scratch_init 0
		.amdhsa_user_sgpr_kernarg_preload_length 0
		.amdhsa_user_sgpr_kernarg_preload_offset 0
		.amdhsa_user_sgpr_private_segment_size 0
		.amdhsa_uses_dynamic_stack 0
		.amdhsa_system_sgpr_private_segment_wavefront_offset 0
		.amdhsa_system_sgpr_workgroup_id_x 1
		.amdhsa_system_sgpr_workgroup_id_y 0
		.amdhsa_system_sgpr_workgroup_id_z 0
		.amdhsa_system_sgpr_workgroup_info 0
		.amdhsa_system_vgpr_workitem_id 0
		.amdhsa_next_free_vgpr 17
		.amdhsa_next_free_sgpr 8
		.amdhsa_accum_offset 20
		.amdhsa_reserve_vcc 1
		.amdhsa_reserve_flat_scratch 0
		.amdhsa_float_round_mode_32 0
		.amdhsa_float_round_mode_16_64 0
		.amdhsa_float_denorm_mode_32 3
		.amdhsa_float_denorm_mode_16_64 3
		.amdhsa_dx10_clamp 1
		.amdhsa_ieee_mode 1
		.amdhsa_fp16_overflow 0
		.amdhsa_tg_split 0
		.amdhsa_exception_fp_ieee_invalid_op 0
		.amdhsa_exception_fp_denorm_src 0
		.amdhsa_exception_fp_ieee_div_zero 0
		.amdhsa_exception_fp_ieee_overflow 0
		.amdhsa_exception_fp_ieee_underflow 0
		.amdhsa_exception_fp_ieee_inexact 0
		.amdhsa_exception_int_div_zero 0
	.end_amdhsa_kernel
	.section	.text._ZN7rocprim17ROCPRIM_400000_NS6detail17trampoline_kernelINS0_14default_configENS1_38merge_sort_block_merge_config_selectorIilEEZZNS1_27merge_sort_block_merge_implIS3_PiN6thrust23THRUST_200600_302600_NS10device_ptrIlEEjNS1_19radix_merge_compareILb0ELb0EiNS0_19identity_decomposerEEEEE10hipError_tT0_T1_T2_jT3_P12ihipStream_tbPNSt15iterator_traitsISG_E10value_typeEPNSM_ISH_E10value_typeEPSI_NS1_7vsmem_tEENKUlT_SG_SH_SI_E_clIS7_S7_SB_PlEESF_SV_SG_SH_SI_EUlSV_E_NS1_11comp_targetILNS1_3genE4ELNS1_11target_archE910ELNS1_3gpuE8ELNS1_3repE0EEENS1_48merge_mergepath_partition_config_static_selectorELNS0_4arch9wavefront6targetE1EEEvSH_,"axG",@progbits,_ZN7rocprim17ROCPRIM_400000_NS6detail17trampoline_kernelINS0_14default_configENS1_38merge_sort_block_merge_config_selectorIilEEZZNS1_27merge_sort_block_merge_implIS3_PiN6thrust23THRUST_200600_302600_NS10device_ptrIlEEjNS1_19radix_merge_compareILb0ELb0EiNS0_19identity_decomposerEEEEE10hipError_tT0_T1_T2_jT3_P12ihipStream_tbPNSt15iterator_traitsISG_E10value_typeEPNSM_ISH_E10value_typeEPSI_NS1_7vsmem_tEENKUlT_SG_SH_SI_E_clIS7_S7_SB_PlEESF_SV_SG_SH_SI_EUlSV_E_NS1_11comp_targetILNS1_3genE4ELNS1_11target_archE910ELNS1_3gpuE8ELNS1_3repE0EEENS1_48merge_mergepath_partition_config_static_selectorELNS0_4arch9wavefront6targetE1EEEvSH_,comdat
.Lfunc_end771:
	.size	_ZN7rocprim17ROCPRIM_400000_NS6detail17trampoline_kernelINS0_14default_configENS1_38merge_sort_block_merge_config_selectorIilEEZZNS1_27merge_sort_block_merge_implIS3_PiN6thrust23THRUST_200600_302600_NS10device_ptrIlEEjNS1_19radix_merge_compareILb0ELb0EiNS0_19identity_decomposerEEEEE10hipError_tT0_T1_T2_jT3_P12ihipStream_tbPNSt15iterator_traitsISG_E10value_typeEPNSM_ISH_E10value_typeEPSI_NS1_7vsmem_tEENKUlT_SG_SH_SI_E_clIS7_S7_SB_PlEESF_SV_SG_SH_SI_EUlSV_E_NS1_11comp_targetILNS1_3genE4ELNS1_11target_archE910ELNS1_3gpuE8ELNS1_3repE0EEENS1_48merge_mergepath_partition_config_static_selectorELNS0_4arch9wavefront6targetE1EEEvSH_, .Lfunc_end771-_ZN7rocprim17ROCPRIM_400000_NS6detail17trampoline_kernelINS0_14default_configENS1_38merge_sort_block_merge_config_selectorIilEEZZNS1_27merge_sort_block_merge_implIS3_PiN6thrust23THRUST_200600_302600_NS10device_ptrIlEEjNS1_19radix_merge_compareILb0ELb0EiNS0_19identity_decomposerEEEEE10hipError_tT0_T1_T2_jT3_P12ihipStream_tbPNSt15iterator_traitsISG_E10value_typeEPNSM_ISH_E10value_typeEPSI_NS1_7vsmem_tEENKUlT_SG_SH_SI_E_clIS7_S7_SB_PlEESF_SV_SG_SH_SI_EUlSV_E_NS1_11comp_targetILNS1_3genE4ELNS1_11target_archE910ELNS1_3gpuE8ELNS1_3repE0EEENS1_48merge_mergepath_partition_config_static_selectorELNS0_4arch9wavefront6targetE1EEEvSH_
                                        ; -- End function
	.section	.AMDGPU.csdata,"",@progbits
; Kernel info:
; codeLenInByte = 360
; NumSgprs: 12
; NumVgprs: 17
; NumAgprs: 0
; TotalNumVgprs: 17
; ScratchSize: 0
; MemoryBound: 0
; FloatMode: 240
; IeeeMode: 1
; LDSByteSize: 0 bytes/workgroup (compile time only)
; SGPRBlocks: 1
; VGPRBlocks: 2
; NumSGPRsForWavesPerEU: 12
; NumVGPRsForWavesPerEU: 17
; AccumOffset: 20
; Occupancy: 8
; WaveLimiterHint : 0
; COMPUTE_PGM_RSRC2:SCRATCH_EN: 0
; COMPUTE_PGM_RSRC2:USER_SGPR: 6
; COMPUTE_PGM_RSRC2:TRAP_HANDLER: 0
; COMPUTE_PGM_RSRC2:TGID_X_EN: 1
; COMPUTE_PGM_RSRC2:TGID_Y_EN: 0
; COMPUTE_PGM_RSRC2:TGID_Z_EN: 0
; COMPUTE_PGM_RSRC2:TIDIG_COMP_CNT: 0
; COMPUTE_PGM_RSRC3_GFX90A:ACCUM_OFFSET: 4
; COMPUTE_PGM_RSRC3_GFX90A:TG_SPLIT: 0
	.section	.text._ZN7rocprim17ROCPRIM_400000_NS6detail17trampoline_kernelINS0_14default_configENS1_38merge_sort_block_merge_config_selectorIilEEZZNS1_27merge_sort_block_merge_implIS3_PiN6thrust23THRUST_200600_302600_NS10device_ptrIlEEjNS1_19radix_merge_compareILb0ELb0EiNS0_19identity_decomposerEEEEE10hipError_tT0_T1_T2_jT3_P12ihipStream_tbPNSt15iterator_traitsISG_E10value_typeEPNSM_ISH_E10value_typeEPSI_NS1_7vsmem_tEENKUlT_SG_SH_SI_E_clIS7_S7_SB_PlEESF_SV_SG_SH_SI_EUlSV_E_NS1_11comp_targetILNS1_3genE3ELNS1_11target_archE908ELNS1_3gpuE7ELNS1_3repE0EEENS1_48merge_mergepath_partition_config_static_selectorELNS0_4arch9wavefront6targetE1EEEvSH_,"axG",@progbits,_ZN7rocprim17ROCPRIM_400000_NS6detail17trampoline_kernelINS0_14default_configENS1_38merge_sort_block_merge_config_selectorIilEEZZNS1_27merge_sort_block_merge_implIS3_PiN6thrust23THRUST_200600_302600_NS10device_ptrIlEEjNS1_19radix_merge_compareILb0ELb0EiNS0_19identity_decomposerEEEEE10hipError_tT0_T1_T2_jT3_P12ihipStream_tbPNSt15iterator_traitsISG_E10value_typeEPNSM_ISH_E10value_typeEPSI_NS1_7vsmem_tEENKUlT_SG_SH_SI_E_clIS7_S7_SB_PlEESF_SV_SG_SH_SI_EUlSV_E_NS1_11comp_targetILNS1_3genE3ELNS1_11target_archE908ELNS1_3gpuE7ELNS1_3repE0EEENS1_48merge_mergepath_partition_config_static_selectorELNS0_4arch9wavefront6targetE1EEEvSH_,comdat
	.protected	_ZN7rocprim17ROCPRIM_400000_NS6detail17trampoline_kernelINS0_14default_configENS1_38merge_sort_block_merge_config_selectorIilEEZZNS1_27merge_sort_block_merge_implIS3_PiN6thrust23THRUST_200600_302600_NS10device_ptrIlEEjNS1_19radix_merge_compareILb0ELb0EiNS0_19identity_decomposerEEEEE10hipError_tT0_T1_T2_jT3_P12ihipStream_tbPNSt15iterator_traitsISG_E10value_typeEPNSM_ISH_E10value_typeEPSI_NS1_7vsmem_tEENKUlT_SG_SH_SI_E_clIS7_S7_SB_PlEESF_SV_SG_SH_SI_EUlSV_E_NS1_11comp_targetILNS1_3genE3ELNS1_11target_archE908ELNS1_3gpuE7ELNS1_3repE0EEENS1_48merge_mergepath_partition_config_static_selectorELNS0_4arch9wavefront6targetE1EEEvSH_ ; -- Begin function _ZN7rocprim17ROCPRIM_400000_NS6detail17trampoline_kernelINS0_14default_configENS1_38merge_sort_block_merge_config_selectorIilEEZZNS1_27merge_sort_block_merge_implIS3_PiN6thrust23THRUST_200600_302600_NS10device_ptrIlEEjNS1_19radix_merge_compareILb0ELb0EiNS0_19identity_decomposerEEEEE10hipError_tT0_T1_T2_jT3_P12ihipStream_tbPNSt15iterator_traitsISG_E10value_typeEPNSM_ISH_E10value_typeEPSI_NS1_7vsmem_tEENKUlT_SG_SH_SI_E_clIS7_S7_SB_PlEESF_SV_SG_SH_SI_EUlSV_E_NS1_11comp_targetILNS1_3genE3ELNS1_11target_archE908ELNS1_3gpuE7ELNS1_3repE0EEENS1_48merge_mergepath_partition_config_static_selectorELNS0_4arch9wavefront6targetE1EEEvSH_
	.globl	_ZN7rocprim17ROCPRIM_400000_NS6detail17trampoline_kernelINS0_14default_configENS1_38merge_sort_block_merge_config_selectorIilEEZZNS1_27merge_sort_block_merge_implIS3_PiN6thrust23THRUST_200600_302600_NS10device_ptrIlEEjNS1_19radix_merge_compareILb0ELb0EiNS0_19identity_decomposerEEEEE10hipError_tT0_T1_T2_jT3_P12ihipStream_tbPNSt15iterator_traitsISG_E10value_typeEPNSM_ISH_E10value_typeEPSI_NS1_7vsmem_tEENKUlT_SG_SH_SI_E_clIS7_S7_SB_PlEESF_SV_SG_SH_SI_EUlSV_E_NS1_11comp_targetILNS1_3genE3ELNS1_11target_archE908ELNS1_3gpuE7ELNS1_3repE0EEENS1_48merge_mergepath_partition_config_static_selectorELNS0_4arch9wavefront6targetE1EEEvSH_
	.p2align	8
	.type	_ZN7rocprim17ROCPRIM_400000_NS6detail17trampoline_kernelINS0_14default_configENS1_38merge_sort_block_merge_config_selectorIilEEZZNS1_27merge_sort_block_merge_implIS3_PiN6thrust23THRUST_200600_302600_NS10device_ptrIlEEjNS1_19radix_merge_compareILb0ELb0EiNS0_19identity_decomposerEEEEE10hipError_tT0_T1_T2_jT3_P12ihipStream_tbPNSt15iterator_traitsISG_E10value_typeEPNSM_ISH_E10value_typeEPSI_NS1_7vsmem_tEENKUlT_SG_SH_SI_E_clIS7_S7_SB_PlEESF_SV_SG_SH_SI_EUlSV_E_NS1_11comp_targetILNS1_3genE3ELNS1_11target_archE908ELNS1_3gpuE7ELNS1_3repE0EEENS1_48merge_mergepath_partition_config_static_selectorELNS0_4arch9wavefront6targetE1EEEvSH_,@function
_ZN7rocprim17ROCPRIM_400000_NS6detail17trampoline_kernelINS0_14default_configENS1_38merge_sort_block_merge_config_selectorIilEEZZNS1_27merge_sort_block_merge_implIS3_PiN6thrust23THRUST_200600_302600_NS10device_ptrIlEEjNS1_19radix_merge_compareILb0ELb0EiNS0_19identity_decomposerEEEEE10hipError_tT0_T1_T2_jT3_P12ihipStream_tbPNSt15iterator_traitsISG_E10value_typeEPNSM_ISH_E10value_typeEPSI_NS1_7vsmem_tEENKUlT_SG_SH_SI_E_clIS7_S7_SB_PlEESF_SV_SG_SH_SI_EUlSV_E_NS1_11comp_targetILNS1_3genE3ELNS1_11target_archE908ELNS1_3gpuE7ELNS1_3repE0EEENS1_48merge_mergepath_partition_config_static_selectorELNS0_4arch9wavefront6targetE1EEEvSH_: ; @_ZN7rocprim17ROCPRIM_400000_NS6detail17trampoline_kernelINS0_14default_configENS1_38merge_sort_block_merge_config_selectorIilEEZZNS1_27merge_sort_block_merge_implIS3_PiN6thrust23THRUST_200600_302600_NS10device_ptrIlEEjNS1_19radix_merge_compareILb0ELb0EiNS0_19identity_decomposerEEEEE10hipError_tT0_T1_T2_jT3_P12ihipStream_tbPNSt15iterator_traitsISG_E10value_typeEPNSM_ISH_E10value_typeEPSI_NS1_7vsmem_tEENKUlT_SG_SH_SI_E_clIS7_S7_SB_PlEESF_SV_SG_SH_SI_EUlSV_E_NS1_11comp_targetILNS1_3genE3ELNS1_11target_archE908ELNS1_3gpuE7ELNS1_3repE0EEENS1_48merge_mergepath_partition_config_static_selectorELNS0_4arch9wavefront6targetE1EEEvSH_
; %bb.0:
	.section	.rodata,"a",@progbits
	.p2align	6, 0x0
	.amdhsa_kernel _ZN7rocprim17ROCPRIM_400000_NS6detail17trampoline_kernelINS0_14default_configENS1_38merge_sort_block_merge_config_selectorIilEEZZNS1_27merge_sort_block_merge_implIS3_PiN6thrust23THRUST_200600_302600_NS10device_ptrIlEEjNS1_19radix_merge_compareILb0ELb0EiNS0_19identity_decomposerEEEEE10hipError_tT0_T1_T2_jT3_P12ihipStream_tbPNSt15iterator_traitsISG_E10value_typeEPNSM_ISH_E10value_typeEPSI_NS1_7vsmem_tEENKUlT_SG_SH_SI_E_clIS7_S7_SB_PlEESF_SV_SG_SH_SI_EUlSV_E_NS1_11comp_targetILNS1_3genE3ELNS1_11target_archE908ELNS1_3gpuE7ELNS1_3repE0EEENS1_48merge_mergepath_partition_config_static_selectorELNS0_4arch9wavefront6targetE1EEEvSH_
		.amdhsa_group_segment_fixed_size 0
		.amdhsa_private_segment_fixed_size 0
		.amdhsa_kernarg_size 40
		.amdhsa_user_sgpr_count 6
		.amdhsa_user_sgpr_private_segment_buffer 1
		.amdhsa_user_sgpr_dispatch_ptr 0
		.amdhsa_user_sgpr_queue_ptr 0
		.amdhsa_user_sgpr_kernarg_segment_ptr 1
		.amdhsa_user_sgpr_dispatch_id 0
		.amdhsa_user_sgpr_flat_scratch_init 0
		.amdhsa_user_sgpr_kernarg_preload_length 0
		.amdhsa_user_sgpr_kernarg_preload_offset 0
		.amdhsa_user_sgpr_private_segment_size 0
		.amdhsa_uses_dynamic_stack 0
		.amdhsa_system_sgpr_private_segment_wavefront_offset 0
		.amdhsa_system_sgpr_workgroup_id_x 1
		.amdhsa_system_sgpr_workgroup_id_y 0
		.amdhsa_system_sgpr_workgroup_id_z 0
		.amdhsa_system_sgpr_workgroup_info 0
		.amdhsa_system_vgpr_workitem_id 0
		.amdhsa_next_free_vgpr 1
		.amdhsa_next_free_sgpr 0
		.amdhsa_accum_offset 4
		.amdhsa_reserve_vcc 0
		.amdhsa_reserve_flat_scratch 0
		.amdhsa_float_round_mode_32 0
		.amdhsa_float_round_mode_16_64 0
		.amdhsa_float_denorm_mode_32 3
		.amdhsa_float_denorm_mode_16_64 3
		.amdhsa_dx10_clamp 1
		.amdhsa_ieee_mode 1
		.amdhsa_fp16_overflow 0
		.amdhsa_tg_split 0
		.amdhsa_exception_fp_ieee_invalid_op 0
		.amdhsa_exception_fp_denorm_src 0
		.amdhsa_exception_fp_ieee_div_zero 0
		.amdhsa_exception_fp_ieee_overflow 0
		.amdhsa_exception_fp_ieee_underflow 0
		.amdhsa_exception_fp_ieee_inexact 0
		.amdhsa_exception_int_div_zero 0
	.end_amdhsa_kernel
	.section	.text._ZN7rocprim17ROCPRIM_400000_NS6detail17trampoline_kernelINS0_14default_configENS1_38merge_sort_block_merge_config_selectorIilEEZZNS1_27merge_sort_block_merge_implIS3_PiN6thrust23THRUST_200600_302600_NS10device_ptrIlEEjNS1_19radix_merge_compareILb0ELb0EiNS0_19identity_decomposerEEEEE10hipError_tT0_T1_T2_jT3_P12ihipStream_tbPNSt15iterator_traitsISG_E10value_typeEPNSM_ISH_E10value_typeEPSI_NS1_7vsmem_tEENKUlT_SG_SH_SI_E_clIS7_S7_SB_PlEESF_SV_SG_SH_SI_EUlSV_E_NS1_11comp_targetILNS1_3genE3ELNS1_11target_archE908ELNS1_3gpuE7ELNS1_3repE0EEENS1_48merge_mergepath_partition_config_static_selectorELNS0_4arch9wavefront6targetE1EEEvSH_,"axG",@progbits,_ZN7rocprim17ROCPRIM_400000_NS6detail17trampoline_kernelINS0_14default_configENS1_38merge_sort_block_merge_config_selectorIilEEZZNS1_27merge_sort_block_merge_implIS3_PiN6thrust23THRUST_200600_302600_NS10device_ptrIlEEjNS1_19radix_merge_compareILb0ELb0EiNS0_19identity_decomposerEEEEE10hipError_tT0_T1_T2_jT3_P12ihipStream_tbPNSt15iterator_traitsISG_E10value_typeEPNSM_ISH_E10value_typeEPSI_NS1_7vsmem_tEENKUlT_SG_SH_SI_E_clIS7_S7_SB_PlEESF_SV_SG_SH_SI_EUlSV_E_NS1_11comp_targetILNS1_3genE3ELNS1_11target_archE908ELNS1_3gpuE7ELNS1_3repE0EEENS1_48merge_mergepath_partition_config_static_selectorELNS0_4arch9wavefront6targetE1EEEvSH_,comdat
.Lfunc_end772:
	.size	_ZN7rocprim17ROCPRIM_400000_NS6detail17trampoline_kernelINS0_14default_configENS1_38merge_sort_block_merge_config_selectorIilEEZZNS1_27merge_sort_block_merge_implIS3_PiN6thrust23THRUST_200600_302600_NS10device_ptrIlEEjNS1_19radix_merge_compareILb0ELb0EiNS0_19identity_decomposerEEEEE10hipError_tT0_T1_T2_jT3_P12ihipStream_tbPNSt15iterator_traitsISG_E10value_typeEPNSM_ISH_E10value_typeEPSI_NS1_7vsmem_tEENKUlT_SG_SH_SI_E_clIS7_S7_SB_PlEESF_SV_SG_SH_SI_EUlSV_E_NS1_11comp_targetILNS1_3genE3ELNS1_11target_archE908ELNS1_3gpuE7ELNS1_3repE0EEENS1_48merge_mergepath_partition_config_static_selectorELNS0_4arch9wavefront6targetE1EEEvSH_, .Lfunc_end772-_ZN7rocprim17ROCPRIM_400000_NS6detail17trampoline_kernelINS0_14default_configENS1_38merge_sort_block_merge_config_selectorIilEEZZNS1_27merge_sort_block_merge_implIS3_PiN6thrust23THRUST_200600_302600_NS10device_ptrIlEEjNS1_19radix_merge_compareILb0ELb0EiNS0_19identity_decomposerEEEEE10hipError_tT0_T1_T2_jT3_P12ihipStream_tbPNSt15iterator_traitsISG_E10value_typeEPNSM_ISH_E10value_typeEPSI_NS1_7vsmem_tEENKUlT_SG_SH_SI_E_clIS7_S7_SB_PlEESF_SV_SG_SH_SI_EUlSV_E_NS1_11comp_targetILNS1_3genE3ELNS1_11target_archE908ELNS1_3gpuE7ELNS1_3repE0EEENS1_48merge_mergepath_partition_config_static_selectorELNS0_4arch9wavefront6targetE1EEEvSH_
                                        ; -- End function
	.section	.AMDGPU.csdata,"",@progbits
; Kernel info:
; codeLenInByte = 0
; NumSgprs: 4
; NumVgprs: 0
; NumAgprs: 0
; TotalNumVgprs: 0
; ScratchSize: 0
; MemoryBound: 0
; FloatMode: 240
; IeeeMode: 1
; LDSByteSize: 0 bytes/workgroup (compile time only)
; SGPRBlocks: 0
; VGPRBlocks: 0
; NumSGPRsForWavesPerEU: 4
; NumVGPRsForWavesPerEU: 1
; AccumOffset: 4
; Occupancy: 8
; WaveLimiterHint : 0
; COMPUTE_PGM_RSRC2:SCRATCH_EN: 0
; COMPUTE_PGM_RSRC2:USER_SGPR: 6
; COMPUTE_PGM_RSRC2:TRAP_HANDLER: 0
; COMPUTE_PGM_RSRC2:TGID_X_EN: 1
; COMPUTE_PGM_RSRC2:TGID_Y_EN: 0
; COMPUTE_PGM_RSRC2:TGID_Z_EN: 0
; COMPUTE_PGM_RSRC2:TIDIG_COMP_CNT: 0
; COMPUTE_PGM_RSRC3_GFX90A:ACCUM_OFFSET: 0
; COMPUTE_PGM_RSRC3_GFX90A:TG_SPLIT: 0
	.section	.text._ZN7rocprim17ROCPRIM_400000_NS6detail17trampoline_kernelINS0_14default_configENS1_38merge_sort_block_merge_config_selectorIilEEZZNS1_27merge_sort_block_merge_implIS3_PiN6thrust23THRUST_200600_302600_NS10device_ptrIlEEjNS1_19radix_merge_compareILb0ELb0EiNS0_19identity_decomposerEEEEE10hipError_tT0_T1_T2_jT3_P12ihipStream_tbPNSt15iterator_traitsISG_E10value_typeEPNSM_ISH_E10value_typeEPSI_NS1_7vsmem_tEENKUlT_SG_SH_SI_E_clIS7_S7_SB_PlEESF_SV_SG_SH_SI_EUlSV_E_NS1_11comp_targetILNS1_3genE2ELNS1_11target_archE906ELNS1_3gpuE6ELNS1_3repE0EEENS1_48merge_mergepath_partition_config_static_selectorELNS0_4arch9wavefront6targetE1EEEvSH_,"axG",@progbits,_ZN7rocprim17ROCPRIM_400000_NS6detail17trampoline_kernelINS0_14default_configENS1_38merge_sort_block_merge_config_selectorIilEEZZNS1_27merge_sort_block_merge_implIS3_PiN6thrust23THRUST_200600_302600_NS10device_ptrIlEEjNS1_19radix_merge_compareILb0ELb0EiNS0_19identity_decomposerEEEEE10hipError_tT0_T1_T2_jT3_P12ihipStream_tbPNSt15iterator_traitsISG_E10value_typeEPNSM_ISH_E10value_typeEPSI_NS1_7vsmem_tEENKUlT_SG_SH_SI_E_clIS7_S7_SB_PlEESF_SV_SG_SH_SI_EUlSV_E_NS1_11comp_targetILNS1_3genE2ELNS1_11target_archE906ELNS1_3gpuE6ELNS1_3repE0EEENS1_48merge_mergepath_partition_config_static_selectorELNS0_4arch9wavefront6targetE1EEEvSH_,comdat
	.protected	_ZN7rocprim17ROCPRIM_400000_NS6detail17trampoline_kernelINS0_14default_configENS1_38merge_sort_block_merge_config_selectorIilEEZZNS1_27merge_sort_block_merge_implIS3_PiN6thrust23THRUST_200600_302600_NS10device_ptrIlEEjNS1_19radix_merge_compareILb0ELb0EiNS0_19identity_decomposerEEEEE10hipError_tT0_T1_T2_jT3_P12ihipStream_tbPNSt15iterator_traitsISG_E10value_typeEPNSM_ISH_E10value_typeEPSI_NS1_7vsmem_tEENKUlT_SG_SH_SI_E_clIS7_S7_SB_PlEESF_SV_SG_SH_SI_EUlSV_E_NS1_11comp_targetILNS1_3genE2ELNS1_11target_archE906ELNS1_3gpuE6ELNS1_3repE0EEENS1_48merge_mergepath_partition_config_static_selectorELNS0_4arch9wavefront6targetE1EEEvSH_ ; -- Begin function _ZN7rocprim17ROCPRIM_400000_NS6detail17trampoline_kernelINS0_14default_configENS1_38merge_sort_block_merge_config_selectorIilEEZZNS1_27merge_sort_block_merge_implIS3_PiN6thrust23THRUST_200600_302600_NS10device_ptrIlEEjNS1_19radix_merge_compareILb0ELb0EiNS0_19identity_decomposerEEEEE10hipError_tT0_T1_T2_jT3_P12ihipStream_tbPNSt15iterator_traitsISG_E10value_typeEPNSM_ISH_E10value_typeEPSI_NS1_7vsmem_tEENKUlT_SG_SH_SI_E_clIS7_S7_SB_PlEESF_SV_SG_SH_SI_EUlSV_E_NS1_11comp_targetILNS1_3genE2ELNS1_11target_archE906ELNS1_3gpuE6ELNS1_3repE0EEENS1_48merge_mergepath_partition_config_static_selectorELNS0_4arch9wavefront6targetE1EEEvSH_
	.globl	_ZN7rocprim17ROCPRIM_400000_NS6detail17trampoline_kernelINS0_14default_configENS1_38merge_sort_block_merge_config_selectorIilEEZZNS1_27merge_sort_block_merge_implIS3_PiN6thrust23THRUST_200600_302600_NS10device_ptrIlEEjNS1_19radix_merge_compareILb0ELb0EiNS0_19identity_decomposerEEEEE10hipError_tT0_T1_T2_jT3_P12ihipStream_tbPNSt15iterator_traitsISG_E10value_typeEPNSM_ISH_E10value_typeEPSI_NS1_7vsmem_tEENKUlT_SG_SH_SI_E_clIS7_S7_SB_PlEESF_SV_SG_SH_SI_EUlSV_E_NS1_11comp_targetILNS1_3genE2ELNS1_11target_archE906ELNS1_3gpuE6ELNS1_3repE0EEENS1_48merge_mergepath_partition_config_static_selectorELNS0_4arch9wavefront6targetE1EEEvSH_
	.p2align	8
	.type	_ZN7rocprim17ROCPRIM_400000_NS6detail17trampoline_kernelINS0_14default_configENS1_38merge_sort_block_merge_config_selectorIilEEZZNS1_27merge_sort_block_merge_implIS3_PiN6thrust23THRUST_200600_302600_NS10device_ptrIlEEjNS1_19radix_merge_compareILb0ELb0EiNS0_19identity_decomposerEEEEE10hipError_tT0_T1_T2_jT3_P12ihipStream_tbPNSt15iterator_traitsISG_E10value_typeEPNSM_ISH_E10value_typeEPSI_NS1_7vsmem_tEENKUlT_SG_SH_SI_E_clIS7_S7_SB_PlEESF_SV_SG_SH_SI_EUlSV_E_NS1_11comp_targetILNS1_3genE2ELNS1_11target_archE906ELNS1_3gpuE6ELNS1_3repE0EEENS1_48merge_mergepath_partition_config_static_selectorELNS0_4arch9wavefront6targetE1EEEvSH_,@function
_ZN7rocprim17ROCPRIM_400000_NS6detail17trampoline_kernelINS0_14default_configENS1_38merge_sort_block_merge_config_selectorIilEEZZNS1_27merge_sort_block_merge_implIS3_PiN6thrust23THRUST_200600_302600_NS10device_ptrIlEEjNS1_19radix_merge_compareILb0ELb0EiNS0_19identity_decomposerEEEEE10hipError_tT0_T1_T2_jT3_P12ihipStream_tbPNSt15iterator_traitsISG_E10value_typeEPNSM_ISH_E10value_typeEPSI_NS1_7vsmem_tEENKUlT_SG_SH_SI_E_clIS7_S7_SB_PlEESF_SV_SG_SH_SI_EUlSV_E_NS1_11comp_targetILNS1_3genE2ELNS1_11target_archE906ELNS1_3gpuE6ELNS1_3repE0EEENS1_48merge_mergepath_partition_config_static_selectorELNS0_4arch9wavefront6targetE1EEEvSH_: ; @_ZN7rocprim17ROCPRIM_400000_NS6detail17trampoline_kernelINS0_14default_configENS1_38merge_sort_block_merge_config_selectorIilEEZZNS1_27merge_sort_block_merge_implIS3_PiN6thrust23THRUST_200600_302600_NS10device_ptrIlEEjNS1_19radix_merge_compareILb0ELb0EiNS0_19identity_decomposerEEEEE10hipError_tT0_T1_T2_jT3_P12ihipStream_tbPNSt15iterator_traitsISG_E10value_typeEPNSM_ISH_E10value_typeEPSI_NS1_7vsmem_tEENKUlT_SG_SH_SI_E_clIS7_S7_SB_PlEESF_SV_SG_SH_SI_EUlSV_E_NS1_11comp_targetILNS1_3genE2ELNS1_11target_archE906ELNS1_3gpuE6ELNS1_3repE0EEENS1_48merge_mergepath_partition_config_static_selectorELNS0_4arch9wavefront6targetE1EEEvSH_
; %bb.0:
	.section	.rodata,"a",@progbits
	.p2align	6, 0x0
	.amdhsa_kernel _ZN7rocprim17ROCPRIM_400000_NS6detail17trampoline_kernelINS0_14default_configENS1_38merge_sort_block_merge_config_selectorIilEEZZNS1_27merge_sort_block_merge_implIS3_PiN6thrust23THRUST_200600_302600_NS10device_ptrIlEEjNS1_19radix_merge_compareILb0ELb0EiNS0_19identity_decomposerEEEEE10hipError_tT0_T1_T2_jT3_P12ihipStream_tbPNSt15iterator_traitsISG_E10value_typeEPNSM_ISH_E10value_typeEPSI_NS1_7vsmem_tEENKUlT_SG_SH_SI_E_clIS7_S7_SB_PlEESF_SV_SG_SH_SI_EUlSV_E_NS1_11comp_targetILNS1_3genE2ELNS1_11target_archE906ELNS1_3gpuE6ELNS1_3repE0EEENS1_48merge_mergepath_partition_config_static_selectorELNS0_4arch9wavefront6targetE1EEEvSH_
		.amdhsa_group_segment_fixed_size 0
		.amdhsa_private_segment_fixed_size 0
		.amdhsa_kernarg_size 40
		.amdhsa_user_sgpr_count 6
		.amdhsa_user_sgpr_private_segment_buffer 1
		.amdhsa_user_sgpr_dispatch_ptr 0
		.amdhsa_user_sgpr_queue_ptr 0
		.amdhsa_user_sgpr_kernarg_segment_ptr 1
		.amdhsa_user_sgpr_dispatch_id 0
		.amdhsa_user_sgpr_flat_scratch_init 0
		.amdhsa_user_sgpr_kernarg_preload_length 0
		.amdhsa_user_sgpr_kernarg_preload_offset 0
		.amdhsa_user_sgpr_private_segment_size 0
		.amdhsa_uses_dynamic_stack 0
		.amdhsa_system_sgpr_private_segment_wavefront_offset 0
		.amdhsa_system_sgpr_workgroup_id_x 1
		.amdhsa_system_sgpr_workgroup_id_y 0
		.amdhsa_system_sgpr_workgroup_id_z 0
		.amdhsa_system_sgpr_workgroup_info 0
		.amdhsa_system_vgpr_workitem_id 0
		.amdhsa_next_free_vgpr 1
		.amdhsa_next_free_sgpr 0
		.amdhsa_accum_offset 4
		.amdhsa_reserve_vcc 0
		.amdhsa_reserve_flat_scratch 0
		.amdhsa_float_round_mode_32 0
		.amdhsa_float_round_mode_16_64 0
		.amdhsa_float_denorm_mode_32 3
		.amdhsa_float_denorm_mode_16_64 3
		.amdhsa_dx10_clamp 1
		.amdhsa_ieee_mode 1
		.amdhsa_fp16_overflow 0
		.amdhsa_tg_split 0
		.amdhsa_exception_fp_ieee_invalid_op 0
		.amdhsa_exception_fp_denorm_src 0
		.amdhsa_exception_fp_ieee_div_zero 0
		.amdhsa_exception_fp_ieee_overflow 0
		.amdhsa_exception_fp_ieee_underflow 0
		.amdhsa_exception_fp_ieee_inexact 0
		.amdhsa_exception_int_div_zero 0
	.end_amdhsa_kernel
	.section	.text._ZN7rocprim17ROCPRIM_400000_NS6detail17trampoline_kernelINS0_14default_configENS1_38merge_sort_block_merge_config_selectorIilEEZZNS1_27merge_sort_block_merge_implIS3_PiN6thrust23THRUST_200600_302600_NS10device_ptrIlEEjNS1_19radix_merge_compareILb0ELb0EiNS0_19identity_decomposerEEEEE10hipError_tT0_T1_T2_jT3_P12ihipStream_tbPNSt15iterator_traitsISG_E10value_typeEPNSM_ISH_E10value_typeEPSI_NS1_7vsmem_tEENKUlT_SG_SH_SI_E_clIS7_S7_SB_PlEESF_SV_SG_SH_SI_EUlSV_E_NS1_11comp_targetILNS1_3genE2ELNS1_11target_archE906ELNS1_3gpuE6ELNS1_3repE0EEENS1_48merge_mergepath_partition_config_static_selectorELNS0_4arch9wavefront6targetE1EEEvSH_,"axG",@progbits,_ZN7rocprim17ROCPRIM_400000_NS6detail17trampoline_kernelINS0_14default_configENS1_38merge_sort_block_merge_config_selectorIilEEZZNS1_27merge_sort_block_merge_implIS3_PiN6thrust23THRUST_200600_302600_NS10device_ptrIlEEjNS1_19radix_merge_compareILb0ELb0EiNS0_19identity_decomposerEEEEE10hipError_tT0_T1_T2_jT3_P12ihipStream_tbPNSt15iterator_traitsISG_E10value_typeEPNSM_ISH_E10value_typeEPSI_NS1_7vsmem_tEENKUlT_SG_SH_SI_E_clIS7_S7_SB_PlEESF_SV_SG_SH_SI_EUlSV_E_NS1_11comp_targetILNS1_3genE2ELNS1_11target_archE906ELNS1_3gpuE6ELNS1_3repE0EEENS1_48merge_mergepath_partition_config_static_selectorELNS0_4arch9wavefront6targetE1EEEvSH_,comdat
.Lfunc_end773:
	.size	_ZN7rocprim17ROCPRIM_400000_NS6detail17trampoline_kernelINS0_14default_configENS1_38merge_sort_block_merge_config_selectorIilEEZZNS1_27merge_sort_block_merge_implIS3_PiN6thrust23THRUST_200600_302600_NS10device_ptrIlEEjNS1_19radix_merge_compareILb0ELb0EiNS0_19identity_decomposerEEEEE10hipError_tT0_T1_T2_jT3_P12ihipStream_tbPNSt15iterator_traitsISG_E10value_typeEPNSM_ISH_E10value_typeEPSI_NS1_7vsmem_tEENKUlT_SG_SH_SI_E_clIS7_S7_SB_PlEESF_SV_SG_SH_SI_EUlSV_E_NS1_11comp_targetILNS1_3genE2ELNS1_11target_archE906ELNS1_3gpuE6ELNS1_3repE0EEENS1_48merge_mergepath_partition_config_static_selectorELNS0_4arch9wavefront6targetE1EEEvSH_, .Lfunc_end773-_ZN7rocprim17ROCPRIM_400000_NS6detail17trampoline_kernelINS0_14default_configENS1_38merge_sort_block_merge_config_selectorIilEEZZNS1_27merge_sort_block_merge_implIS3_PiN6thrust23THRUST_200600_302600_NS10device_ptrIlEEjNS1_19radix_merge_compareILb0ELb0EiNS0_19identity_decomposerEEEEE10hipError_tT0_T1_T2_jT3_P12ihipStream_tbPNSt15iterator_traitsISG_E10value_typeEPNSM_ISH_E10value_typeEPSI_NS1_7vsmem_tEENKUlT_SG_SH_SI_E_clIS7_S7_SB_PlEESF_SV_SG_SH_SI_EUlSV_E_NS1_11comp_targetILNS1_3genE2ELNS1_11target_archE906ELNS1_3gpuE6ELNS1_3repE0EEENS1_48merge_mergepath_partition_config_static_selectorELNS0_4arch9wavefront6targetE1EEEvSH_
                                        ; -- End function
	.section	.AMDGPU.csdata,"",@progbits
; Kernel info:
; codeLenInByte = 0
; NumSgprs: 4
; NumVgprs: 0
; NumAgprs: 0
; TotalNumVgprs: 0
; ScratchSize: 0
; MemoryBound: 0
; FloatMode: 240
; IeeeMode: 1
; LDSByteSize: 0 bytes/workgroup (compile time only)
; SGPRBlocks: 0
; VGPRBlocks: 0
; NumSGPRsForWavesPerEU: 4
; NumVGPRsForWavesPerEU: 1
; AccumOffset: 4
; Occupancy: 8
; WaveLimiterHint : 0
; COMPUTE_PGM_RSRC2:SCRATCH_EN: 0
; COMPUTE_PGM_RSRC2:USER_SGPR: 6
; COMPUTE_PGM_RSRC2:TRAP_HANDLER: 0
; COMPUTE_PGM_RSRC2:TGID_X_EN: 1
; COMPUTE_PGM_RSRC2:TGID_Y_EN: 0
; COMPUTE_PGM_RSRC2:TGID_Z_EN: 0
; COMPUTE_PGM_RSRC2:TIDIG_COMP_CNT: 0
; COMPUTE_PGM_RSRC3_GFX90A:ACCUM_OFFSET: 0
; COMPUTE_PGM_RSRC3_GFX90A:TG_SPLIT: 0
	.section	.text._ZN7rocprim17ROCPRIM_400000_NS6detail17trampoline_kernelINS0_14default_configENS1_38merge_sort_block_merge_config_selectorIilEEZZNS1_27merge_sort_block_merge_implIS3_PiN6thrust23THRUST_200600_302600_NS10device_ptrIlEEjNS1_19radix_merge_compareILb0ELb0EiNS0_19identity_decomposerEEEEE10hipError_tT0_T1_T2_jT3_P12ihipStream_tbPNSt15iterator_traitsISG_E10value_typeEPNSM_ISH_E10value_typeEPSI_NS1_7vsmem_tEENKUlT_SG_SH_SI_E_clIS7_S7_SB_PlEESF_SV_SG_SH_SI_EUlSV_E_NS1_11comp_targetILNS1_3genE9ELNS1_11target_archE1100ELNS1_3gpuE3ELNS1_3repE0EEENS1_48merge_mergepath_partition_config_static_selectorELNS0_4arch9wavefront6targetE1EEEvSH_,"axG",@progbits,_ZN7rocprim17ROCPRIM_400000_NS6detail17trampoline_kernelINS0_14default_configENS1_38merge_sort_block_merge_config_selectorIilEEZZNS1_27merge_sort_block_merge_implIS3_PiN6thrust23THRUST_200600_302600_NS10device_ptrIlEEjNS1_19radix_merge_compareILb0ELb0EiNS0_19identity_decomposerEEEEE10hipError_tT0_T1_T2_jT3_P12ihipStream_tbPNSt15iterator_traitsISG_E10value_typeEPNSM_ISH_E10value_typeEPSI_NS1_7vsmem_tEENKUlT_SG_SH_SI_E_clIS7_S7_SB_PlEESF_SV_SG_SH_SI_EUlSV_E_NS1_11comp_targetILNS1_3genE9ELNS1_11target_archE1100ELNS1_3gpuE3ELNS1_3repE0EEENS1_48merge_mergepath_partition_config_static_selectorELNS0_4arch9wavefront6targetE1EEEvSH_,comdat
	.protected	_ZN7rocprim17ROCPRIM_400000_NS6detail17trampoline_kernelINS0_14default_configENS1_38merge_sort_block_merge_config_selectorIilEEZZNS1_27merge_sort_block_merge_implIS3_PiN6thrust23THRUST_200600_302600_NS10device_ptrIlEEjNS1_19radix_merge_compareILb0ELb0EiNS0_19identity_decomposerEEEEE10hipError_tT0_T1_T2_jT3_P12ihipStream_tbPNSt15iterator_traitsISG_E10value_typeEPNSM_ISH_E10value_typeEPSI_NS1_7vsmem_tEENKUlT_SG_SH_SI_E_clIS7_S7_SB_PlEESF_SV_SG_SH_SI_EUlSV_E_NS1_11comp_targetILNS1_3genE9ELNS1_11target_archE1100ELNS1_3gpuE3ELNS1_3repE0EEENS1_48merge_mergepath_partition_config_static_selectorELNS0_4arch9wavefront6targetE1EEEvSH_ ; -- Begin function _ZN7rocprim17ROCPRIM_400000_NS6detail17trampoline_kernelINS0_14default_configENS1_38merge_sort_block_merge_config_selectorIilEEZZNS1_27merge_sort_block_merge_implIS3_PiN6thrust23THRUST_200600_302600_NS10device_ptrIlEEjNS1_19radix_merge_compareILb0ELb0EiNS0_19identity_decomposerEEEEE10hipError_tT0_T1_T2_jT3_P12ihipStream_tbPNSt15iterator_traitsISG_E10value_typeEPNSM_ISH_E10value_typeEPSI_NS1_7vsmem_tEENKUlT_SG_SH_SI_E_clIS7_S7_SB_PlEESF_SV_SG_SH_SI_EUlSV_E_NS1_11comp_targetILNS1_3genE9ELNS1_11target_archE1100ELNS1_3gpuE3ELNS1_3repE0EEENS1_48merge_mergepath_partition_config_static_selectorELNS0_4arch9wavefront6targetE1EEEvSH_
	.globl	_ZN7rocprim17ROCPRIM_400000_NS6detail17trampoline_kernelINS0_14default_configENS1_38merge_sort_block_merge_config_selectorIilEEZZNS1_27merge_sort_block_merge_implIS3_PiN6thrust23THRUST_200600_302600_NS10device_ptrIlEEjNS1_19radix_merge_compareILb0ELb0EiNS0_19identity_decomposerEEEEE10hipError_tT0_T1_T2_jT3_P12ihipStream_tbPNSt15iterator_traitsISG_E10value_typeEPNSM_ISH_E10value_typeEPSI_NS1_7vsmem_tEENKUlT_SG_SH_SI_E_clIS7_S7_SB_PlEESF_SV_SG_SH_SI_EUlSV_E_NS1_11comp_targetILNS1_3genE9ELNS1_11target_archE1100ELNS1_3gpuE3ELNS1_3repE0EEENS1_48merge_mergepath_partition_config_static_selectorELNS0_4arch9wavefront6targetE1EEEvSH_
	.p2align	8
	.type	_ZN7rocprim17ROCPRIM_400000_NS6detail17trampoline_kernelINS0_14default_configENS1_38merge_sort_block_merge_config_selectorIilEEZZNS1_27merge_sort_block_merge_implIS3_PiN6thrust23THRUST_200600_302600_NS10device_ptrIlEEjNS1_19radix_merge_compareILb0ELb0EiNS0_19identity_decomposerEEEEE10hipError_tT0_T1_T2_jT3_P12ihipStream_tbPNSt15iterator_traitsISG_E10value_typeEPNSM_ISH_E10value_typeEPSI_NS1_7vsmem_tEENKUlT_SG_SH_SI_E_clIS7_S7_SB_PlEESF_SV_SG_SH_SI_EUlSV_E_NS1_11comp_targetILNS1_3genE9ELNS1_11target_archE1100ELNS1_3gpuE3ELNS1_3repE0EEENS1_48merge_mergepath_partition_config_static_selectorELNS0_4arch9wavefront6targetE1EEEvSH_,@function
_ZN7rocprim17ROCPRIM_400000_NS6detail17trampoline_kernelINS0_14default_configENS1_38merge_sort_block_merge_config_selectorIilEEZZNS1_27merge_sort_block_merge_implIS3_PiN6thrust23THRUST_200600_302600_NS10device_ptrIlEEjNS1_19radix_merge_compareILb0ELb0EiNS0_19identity_decomposerEEEEE10hipError_tT0_T1_T2_jT3_P12ihipStream_tbPNSt15iterator_traitsISG_E10value_typeEPNSM_ISH_E10value_typeEPSI_NS1_7vsmem_tEENKUlT_SG_SH_SI_E_clIS7_S7_SB_PlEESF_SV_SG_SH_SI_EUlSV_E_NS1_11comp_targetILNS1_3genE9ELNS1_11target_archE1100ELNS1_3gpuE3ELNS1_3repE0EEENS1_48merge_mergepath_partition_config_static_selectorELNS0_4arch9wavefront6targetE1EEEvSH_: ; @_ZN7rocprim17ROCPRIM_400000_NS6detail17trampoline_kernelINS0_14default_configENS1_38merge_sort_block_merge_config_selectorIilEEZZNS1_27merge_sort_block_merge_implIS3_PiN6thrust23THRUST_200600_302600_NS10device_ptrIlEEjNS1_19radix_merge_compareILb0ELb0EiNS0_19identity_decomposerEEEEE10hipError_tT0_T1_T2_jT3_P12ihipStream_tbPNSt15iterator_traitsISG_E10value_typeEPNSM_ISH_E10value_typeEPSI_NS1_7vsmem_tEENKUlT_SG_SH_SI_E_clIS7_S7_SB_PlEESF_SV_SG_SH_SI_EUlSV_E_NS1_11comp_targetILNS1_3genE9ELNS1_11target_archE1100ELNS1_3gpuE3ELNS1_3repE0EEENS1_48merge_mergepath_partition_config_static_selectorELNS0_4arch9wavefront6targetE1EEEvSH_
; %bb.0:
	.section	.rodata,"a",@progbits
	.p2align	6, 0x0
	.amdhsa_kernel _ZN7rocprim17ROCPRIM_400000_NS6detail17trampoline_kernelINS0_14default_configENS1_38merge_sort_block_merge_config_selectorIilEEZZNS1_27merge_sort_block_merge_implIS3_PiN6thrust23THRUST_200600_302600_NS10device_ptrIlEEjNS1_19radix_merge_compareILb0ELb0EiNS0_19identity_decomposerEEEEE10hipError_tT0_T1_T2_jT3_P12ihipStream_tbPNSt15iterator_traitsISG_E10value_typeEPNSM_ISH_E10value_typeEPSI_NS1_7vsmem_tEENKUlT_SG_SH_SI_E_clIS7_S7_SB_PlEESF_SV_SG_SH_SI_EUlSV_E_NS1_11comp_targetILNS1_3genE9ELNS1_11target_archE1100ELNS1_3gpuE3ELNS1_3repE0EEENS1_48merge_mergepath_partition_config_static_selectorELNS0_4arch9wavefront6targetE1EEEvSH_
		.amdhsa_group_segment_fixed_size 0
		.amdhsa_private_segment_fixed_size 0
		.amdhsa_kernarg_size 40
		.amdhsa_user_sgpr_count 6
		.amdhsa_user_sgpr_private_segment_buffer 1
		.amdhsa_user_sgpr_dispatch_ptr 0
		.amdhsa_user_sgpr_queue_ptr 0
		.amdhsa_user_sgpr_kernarg_segment_ptr 1
		.amdhsa_user_sgpr_dispatch_id 0
		.amdhsa_user_sgpr_flat_scratch_init 0
		.amdhsa_user_sgpr_kernarg_preload_length 0
		.amdhsa_user_sgpr_kernarg_preload_offset 0
		.amdhsa_user_sgpr_private_segment_size 0
		.amdhsa_uses_dynamic_stack 0
		.amdhsa_system_sgpr_private_segment_wavefront_offset 0
		.amdhsa_system_sgpr_workgroup_id_x 1
		.amdhsa_system_sgpr_workgroup_id_y 0
		.amdhsa_system_sgpr_workgroup_id_z 0
		.amdhsa_system_sgpr_workgroup_info 0
		.amdhsa_system_vgpr_workitem_id 0
		.amdhsa_next_free_vgpr 1
		.amdhsa_next_free_sgpr 0
		.amdhsa_accum_offset 4
		.amdhsa_reserve_vcc 0
		.amdhsa_reserve_flat_scratch 0
		.amdhsa_float_round_mode_32 0
		.amdhsa_float_round_mode_16_64 0
		.amdhsa_float_denorm_mode_32 3
		.amdhsa_float_denorm_mode_16_64 3
		.amdhsa_dx10_clamp 1
		.amdhsa_ieee_mode 1
		.amdhsa_fp16_overflow 0
		.amdhsa_tg_split 0
		.amdhsa_exception_fp_ieee_invalid_op 0
		.amdhsa_exception_fp_denorm_src 0
		.amdhsa_exception_fp_ieee_div_zero 0
		.amdhsa_exception_fp_ieee_overflow 0
		.amdhsa_exception_fp_ieee_underflow 0
		.amdhsa_exception_fp_ieee_inexact 0
		.amdhsa_exception_int_div_zero 0
	.end_amdhsa_kernel
	.section	.text._ZN7rocprim17ROCPRIM_400000_NS6detail17trampoline_kernelINS0_14default_configENS1_38merge_sort_block_merge_config_selectorIilEEZZNS1_27merge_sort_block_merge_implIS3_PiN6thrust23THRUST_200600_302600_NS10device_ptrIlEEjNS1_19radix_merge_compareILb0ELb0EiNS0_19identity_decomposerEEEEE10hipError_tT0_T1_T2_jT3_P12ihipStream_tbPNSt15iterator_traitsISG_E10value_typeEPNSM_ISH_E10value_typeEPSI_NS1_7vsmem_tEENKUlT_SG_SH_SI_E_clIS7_S7_SB_PlEESF_SV_SG_SH_SI_EUlSV_E_NS1_11comp_targetILNS1_3genE9ELNS1_11target_archE1100ELNS1_3gpuE3ELNS1_3repE0EEENS1_48merge_mergepath_partition_config_static_selectorELNS0_4arch9wavefront6targetE1EEEvSH_,"axG",@progbits,_ZN7rocprim17ROCPRIM_400000_NS6detail17trampoline_kernelINS0_14default_configENS1_38merge_sort_block_merge_config_selectorIilEEZZNS1_27merge_sort_block_merge_implIS3_PiN6thrust23THRUST_200600_302600_NS10device_ptrIlEEjNS1_19radix_merge_compareILb0ELb0EiNS0_19identity_decomposerEEEEE10hipError_tT0_T1_T2_jT3_P12ihipStream_tbPNSt15iterator_traitsISG_E10value_typeEPNSM_ISH_E10value_typeEPSI_NS1_7vsmem_tEENKUlT_SG_SH_SI_E_clIS7_S7_SB_PlEESF_SV_SG_SH_SI_EUlSV_E_NS1_11comp_targetILNS1_3genE9ELNS1_11target_archE1100ELNS1_3gpuE3ELNS1_3repE0EEENS1_48merge_mergepath_partition_config_static_selectorELNS0_4arch9wavefront6targetE1EEEvSH_,comdat
.Lfunc_end774:
	.size	_ZN7rocprim17ROCPRIM_400000_NS6detail17trampoline_kernelINS0_14default_configENS1_38merge_sort_block_merge_config_selectorIilEEZZNS1_27merge_sort_block_merge_implIS3_PiN6thrust23THRUST_200600_302600_NS10device_ptrIlEEjNS1_19radix_merge_compareILb0ELb0EiNS0_19identity_decomposerEEEEE10hipError_tT0_T1_T2_jT3_P12ihipStream_tbPNSt15iterator_traitsISG_E10value_typeEPNSM_ISH_E10value_typeEPSI_NS1_7vsmem_tEENKUlT_SG_SH_SI_E_clIS7_S7_SB_PlEESF_SV_SG_SH_SI_EUlSV_E_NS1_11comp_targetILNS1_3genE9ELNS1_11target_archE1100ELNS1_3gpuE3ELNS1_3repE0EEENS1_48merge_mergepath_partition_config_static_selectorELNS0_4arch9wavefront6targetE1EEEvSH_, .Lfunc_end774-_ZN7rocprim17ROCPRIM_400000_NS6detail17trampoline_kernelINS0_14default_configENS1_38merge_sort_block_merge_config_selectorIilEEZZNS1_27merge_sort_block_merge_implIS3_PiN6thrust23THRUST_200600_302600_NS10device_ptrIlEEjNS1_19radix_merge_compareILb0ELb0EiNS0_19identity_decomposerEEEEE10hipError_tT0_T1_T2_jT3_P12ihipStream_tbPNSt15iterator_traitsISG_E10value_typeEPNSM_ISH_E10value_typeEPSI_NS1_7vsmem_tEENKUlT_SG_SH_SI_E_clIS7_S7_SB_PlEESF_SV_SG_SH_SI_EUlSV_E_NS1_11comp_targetILNS1_3genE9ELNS1_11target_archE1100ELNS1_3gpuE3ELNS1_3repE0EEENS1_48merge_mergepath_partition_config_static_selectorELNS0_4arch9wavefront6targetE1EEEvSH_
                                        ; -- End function
	.section	.AMDGPU.csdata,"",@progbits
; Kernel info:
; codeLenInByte = 0
; NumSgprs: 4
; NumVgprs: 0
; NumAgprs: 0
; TotalNumVgprs: 0
; ScratchSize: 0
; MemoryBound: 0
; FloatMode: 240
; IeeeMode: 1
; LDSByteSize: 0 bytes/workgroup (compile time only)
; SGPRBlocks: 0
; VGPRBlocks: 0
; NumSGPRsForWavesPerEU: 4
; NumVGPRsForWavesPerEU: 1
; AccumOffset: 4
; Occupancy: 8
; WaveLimiterHint : 0
; COMPUTE_PGM_RSRC2:SCRATCH_EN: 0
; COMPUTE_PGM_RSRC2:USER_SGPR: 6
; COMPUTE_PGM_RSRC2:TRAP_HANDLER: 0
; COMPUTE_PGM_RSRC2:TGID_X_EN: 1
; COMPUTE_PGM_RSRC2:TGID_Y_EN: 0
; COMPUTE_PGM_RSRC2:TGID_Z_EN: 0
; COMPUTE_PGM_RSRC2:TIDIG_COMP_CNT: 0
; COMPUTE_PGM_RSRC3_GFX90A:ACCUM_OFFSET: 0
; COMPUTE_PGM_RSRC3_GFX90A:TG_SPLIT: 0
	.section	.text._ZN7rocprim17ROCPRIM_400000_NS6detail17trampoline_kernelINS0_14default_configENS1_38merge_sort_block_merge_config_selectorIilEEZZNS1_27merge_sort_block_merge_implIS3_PiN6thrust23THRUST_200600_302600_NS10device_ptrIlEEjNS1_19radix_merge_compareILb0ELb0EiNS0_19identity_decomposerEEEEE10hipError_tT0_T1_T2_jT3_P12ihipStream_tbPNSt15iterator_traitsISG_E10value_typeEPNSM_ISH_E10value_typeEPSI_NS1_7vsmem_tEENKUlT_SG_SH_SI_E_clIS7_S7_SB_PlEESF_SV_SG_SH_SI_EUlSV_E_NS1_11comp_targetILNS1_3genE8ELNS1_11target_archE1030ELNS1_3gpuE2ELNS1_3repE0EEENS1_48merge_mergepath_partition_config_static_selectorELNS0_4arch9wavefront6targetE1EEEvSH_,"axG",@progbits,_ZN7rocprim17ROCPRIM_400000_NS6detail17trampoline_kernelINS0_14default_configENS1_38merge_sort_block_merge_config_selectorIilEEZZNS1_27merge_sort_block_merge_implIS3_PiN6thrust23THRUST_200600_302600_NS10device_ptrIlEEjNS1_19radix_merge_compareILb0ELb0EiNS0_19identity_decomposerEEEEE10hipError_tT0_T1_T2_jT3_P12ihipStream_tbPNSt15iterator_traitsISG_E10value_typeEPNSM_ISH_E10value_typeEPSI_NS1_7vsmem_tEENKUlT_SG_SH_SI_E_clIS7_S7_SB_PlEESF_SV_SG_SH_SI_EUlSV_E_NS1_11comp_targetILNS1_3genE8ELNS1_11target_archE1030ELNS1_3gpuE2ELNS1_3repE0EEENS1_48merge_mergepath_partition_config_static_selectorELNS0_4arch9wavefront6targetE1EEEvSH_,comdat
	.protected	_ZN7rocprim17ROCPRIM_400000_NS6detail17trampoline_kernelINS0_14default_configENS1_38merge_sort_block_merge_config_selectorIilEEZZNS1_27merge_sort_block_merge_implIS3_PiN6thrust23THRUST_200600_302600_NS10device_ptrIlEEjNS1_19radix_merge_compareILb0ELb0EiNS0_19identity_decomposerEEEEE10hipError_tT0_T1_T2_jT3_P12ihipStream_tbPNSt15iterator_traitsISG_E10value_typeEPNSM_ISH_E10value_typeEPSI_NS1_7vsmem_tEENKUlT_SG_SH_SI_E_clIS7_S7_SB_PlEESF_SV_SG_SH_SI_EUlSV_E_NS1_11comp_targetILNS1_3genE8ELNS1_11target_archE1030ELNS1_3gpuE2ELNS1_3repE0EEENS1_48merge_mergepath_partition_config_static_selectorELNS0_4arch9wavefront6targetE1EEEvSH_ ; -- Begin function _ZN7rocprim17ROCPRIM_400000_NS6detail17trampoline_kernelINS0_14default_configENS1_38merge_sort_block_merge_config_selectorIilEEZZNS1_27merge_sort_block_merge_implIS3_PiN6thrust23THRUST_200600_302600_NS10device_ptrIlEEjNS1_19radix_merge_compareILb0ELb0EiNS0_19identity_decomposerEEEEE10hipError_tT0_T1_T2_jT3_P12ihipStream_tbPNSt15iterator_traitsISG_E10value_typeEPNSM_ISH_E10value_typeEPSI_NS1_7vsmem_tEENKUlT_SG_SH_SI_E_clIS7_S7_SB_PlEESF_SV_SG_SH_SI_EUlSV_E_NS1_11comp_targetILNS1_3genE8ELNS1_11target_archE1030ELNS1_3gpuE2ELNS1_3repE0EEENS1_48merge_mergepath_partition_config_static_selectorELNS0_4arch9wavefront6targetE1EEEvSH_
	.globl	_ZN7rocprim17ROCPRIM_400000_NS6detail17trampoline_kernelINS0_14default_configENS1_38merge_sort_block_merge_config_selectorIilEEZZNS1_27merge_sort_block_merge_implIS3_PiN6thrust23THRUST_200600_302600_NS10device_ptrIlEEjNS1_19radix_merge_compareILb0ELb0EiNS0_19identity_decomposerEEEEE10hipError_tT0_T1_T2_jT3_P12ihipStream_tbPNSt15iterator_traitsISG_E10value_typeEPNSM_ISH_E10value_typeEPSI_NS1_7vsmem_tEENKUlT_SG_SH_SI_E_clIS7_S7_SB_PlEESF_SV_SG_SH_SI_EUlSV_E_NS1_11comp_targetILNS1_3genE8ELNS1_11target_archE1030ELNS1_3gpuE2ELNS1_3repE0EEENS1_48merge_mergepath_partition_config_static_selectorELNS0_4arch9wavefront6targetE1EEEvSH_
	.p2align	8
	.type	_ZN7rocprim17ROCPRIM_400000_NS6detail17trampoline_kernelINS0_14default_configENS1_38merge_sort_block_merge_config_selectorIilEEZZNS1_27merge_sort_block_merge_implIS3_PiN6thrust23THRUST_200600_302600_NS10device_ptrIlEEjNS1_19radix_merge_compareILb0ELb0EiNS0_19identity_decomposerEEEEE10hipError_tT0_T1_T2_jT3_P12ihipStream_tbPNSt15iterator_traitsISG_E10value_typeEPNSM_ISH_E10value_typeEPSI_NS1_7vsmem_tEENKUlT_SG_SH_SI_E_clIS7_S7_SB_PlEESF_SV_SG_SH_SI_EUlSV_E_NS1_11comp_targetILNS1_3genE8ELNS1_11target_archE1030ELNS1_3gpuE2ELNS1_3repE0EEENS1_48merge_mergepath_partition_config_static_selectorELNS0_4arch9wavefront6targetE1EEEvSH_,@function
_ZN7rocprim17ROCPRIM_400000_NS6detail17trampoline_kernelINS0_14default_configENS1_38merge_sort_block_merge_config_selectorIilEEZZNS1_27merge_sort_block_merge_implIS3_PiN6thrust23THRUST_200600_302600_NS10device_ptrIlEEjNS1_19radix_merge_compareILb0ELb0EiNS0_19identity_decomposerEEEEE10hipError_tT0_T1_T2_jT3_P12ihipStream_tbPNSt15iterator_traitsISG_E10value_typeEPNSM_ISH_E10value_typeEPSI_NS1_7vsmem_tEENKUlT_SG_SH_SI_E_clIS7_S7_SB_PlEESF_SV_SG_SH_SI_EUlSV_E_NS1_11comp_targetILNS1_3genE8ELNS1_11target_archE1030ELNS1_3gpuE2ELNS1_3repE0EEENS1_48merge_mergepath_partition_config_static_selectorELNS0_4arch9wavefront6targetE1EEEvSH_: ; @_ZN7rocprim17ROCPRIM_400000_NS6detail17trampoline_kernelINS0_14default_configENS1_38merge_sort_block_merge_config_selectorIilEEZZNS1_27merge_sort_block_merge_implIS3_PiN6thrust23THRUST_200600_302600_NS10device_ptrIlEEjNS1_19radix_merge_compareILb0ELb0EiNS0_19identity_decomposerEEEEE10hipError_tT0_T1_T2_jT3_P12ihipStream_tbPNSt15iterator_traitsISG_E10value_typeEPNSM_ISH_E10value_typeEPSI_NS1_7vsmem_tEENKUlT_SG_SH_SI_E_clIS7_S7_SB_PlEESF_SV_SG_SH_SI_EUlSV_E_NS1_11comp_targetILNS1_3genE8ELNS1_11target_archE1030ELNS1_3gpuE2ELNS1_3repE0EEENS1_48merge_mergepath_partition_config_static_selectorELNS0_4arch9wavefront6targetE1EEEvSH_
; %bb.0:
	.section	.rodata,"a",@progbits
	.p2align	6, 0x0
	.amdhsa_kernel _ZN7rocprim17ROCPRIM_400000_NS6detail17trampoline_kernelINS0_14default_configENS1_38merge_sort_block_merge_config_selectorIilEEZZNS1_27merge_sort_block_merge_implIS3_PiN6thrust23THRUST_200600_302600_NS10device_ptrIlEEjNS1_19radix_merge_compareILb0ELb0EiNS0_19identity_decomposerEEEEE10hipError_tT0_T1_T2_jT3_P12ihipStream_tbPNSt15iterator_traitsISG_E10value_typeEPNSM_ISH_E10value_typeEPSI_NS1_7vsmem_tEENKUlT_SG_SH_SI_E_clIS7_S7_SB_PlEESF_SV_SG_SH_SI_EUlSV_E_NS1_11comp_targetILNS1_3genE8ELNS1_11target_archE1030ELNS1_3gpuE2ELNS1_3repE0EEENS1_48merge_mergepath_partition_config_static_selectorELNS0_4arch9wavefront6targetE1EEEvSH_
		.amdhsa_group_segment_fixed_size 0
		.amdhsa_private_segment_fixed_size 0
		.amdhsa_kernarg_size 40
		.amdhsa_user_sgpr_count 6
		.amdhsa_user_sgpr_private_segment_buffer 1
		.amdhsa_user_sgpr_dispatch_ptr 0
		.amdhsa_user_sgpr_queue_ptr 0
		.amdhsa_user_sgpr_kernarg_segment_ptr 1
		.amdhsa_user_sgpr_dispatch_id 0
		.amdhsa_user_sgpr_flat_scratch_init 0
		.amdhsa_user_sgpr_kernarg_preload_length 0
		.amdhsa_user_sgpr_kernarg_preload_offset 0
		.amdhsa_user_sgpr_private_segment_size 0
		.amdhsa_uses_dynamic_stack 0
		.amdhsa_system_sgpr_private_segment_wavefront_offset 0
		.amdhsa_system_sgpr_workgroup_id_x 1
		.amdhsa_system_sgpr_workgroup_id_y 0
		.amdhsa_system_sgpr_workgroup_id_z 0
		.amdhsa_system_sgpr_workgroup_info 0
		.amdhsa_system_vgpr_workitem_id 0
		.amdhsa_next_free_vgpr 1
		.amdhsa_next_free_sgpr 0
		.amdhsa_accum_offset 4
		.amdhsa_reserve_vcc 0
		.amdhsa_reserve_flat_scratch 0
		.amdhsa_float_round_mode_32 0
		.amdhsa_float_round_mode_16_64 0
		.amdhsa_float_denorm_mode_32 3
		.amdhsa_float_denorm_mode_16_64 3
		.amdhsa_dx10_clamp 1
		.amdhsa_ieee_mode 1
		.amdhsa_fp16_overflow 0
		.amdhsa_tg_split 0
		.amdhsa_exception_fp_ieee_invalid_op 0
		.amdhsa_exception_fp_denorm_src 0
		.amdhsa_exception_fp_ieee_div_zero 0
		.amdhsa_exception_fp_ieee_overflow 0
		.amdhsa_exception_fp_ieee_underflow 0
		.amdhsa_exception_fp_ieee_inexact 0
		.amdhsa_exception_int_div_zero 0
	.end_amdhsa_kernel
	.section	.text._ZN7rocprim17ROCPRIM_400000_NS6detail17trampoline_kernelINS0_14default_configENS1_38merge_sort_block_merge_config_selectorIilEEZZNS1_27merge_sort_block_merge_implIS3_PiN6thrust23THRUST_200600_302600_NS10device_ptrIlEEjNS1_19radix_merge_compareILb0ELb0EiNS0_19identity_decomposerEEEEE10hipError_tT0_T1_T2_jT3_P12ihipStream_tbPNSt15iterator_traitsISG_E10value_typeEPNSM_ISH_E10value_typeEPSI_NS1_7vsmem_tEENKUlT_SG_SH_SI_E_clIS7_S7_SB_PlEESF_SV_SG_SH_SI_EUlSV_E_NS1_11comp_targetILNS1_3genE8ELNS1_11target_archE1030ELNS1_3gpuE2ELNS1_3repE0EEENS1_48merge_mergepath_partition_config_static_selectorELNS0_4arch9wavefront6targetE1EEEvSH_,"axG",@progbits,_ZN7rocprim17ROCPRIM_400000_NS6detail17trampoline_kernelINS0_14default_configENS1_38merge_sort_block_merge_config_selectorIilEEZZNS1_27merge_sort_block_merge_implIS3_PiN6thrust23THRUST_200600_302600_NS10device_ptrIlEEjNS1_19radix_merge_compareILb0ELb0EiNS0_19identity_decomposerEEEEE10hipError_tT0_T1_T2_jT3_P12ihipStream_tbPNSt15iterator_traitsISG_E10value_typeEPNSM_ISH_E10value_typeEPSI_NS1_7vsmem_tEENKUlT_SG_SH_SI_E_clIS7_S7_SB_PlEESF_SV_SG_SH_SI_EUlSV_E_NS1_11comp_targetILNS1_3genE8ELNS1_11target_archE1030ELNS1_3gpuE2ELNS1_3repE0EEENS1_48merge_mergepath_partition_config_static_selectorELNS0_4arch9wavefront6targetE1EEEvSH_,comdat
.Lfunc_end775:
	.size	_ZN7rocprim17ROCPRIM_400000_NS6detail17trampoline_kernelINS0_14default_configENS1_38merge_sort_block_merge_config_selectorIilEEZZNS1_27merge_sort_block_merge_implIS3_PiN6thrust23THRUST_200600_302600_NS10device_ptrIlEEjNS1_19radix_merge_compareILb0ELb0EiNS0_19identity_decomposerEEEEE10hipError_tT0_T1_T2_jT3_P12ihipStream_tbPNSt15iterator_traitsISG_E10value_typeEPNSM_ISH_E10value_typeEPSI_NS1_7vsmem_tEENKUlT_SG_SH_SI_E_clIS7_S7_SB_PlEESF_SV_SG_SH_SI_EUlSV_E_NS1_11comp_targetILNS1_3genE8ELNS1_11target_archE1030ELNS1_3gpuE2ELNS1_3repE0EEENS1_48merge_mergepath_partition_config_static_selectorELNS0_4arch9wavefront6targetE1EEEvSH_, .Lfunc_end775-_ZN7rocprim17ROCPRIM_400000_NS6detail17trampoline_kernelINS0_14default_configENS1_38merge_sort_block_merge_config_selectorIilEEZZNS1_27merge_sort_block_merge_implIS3_PiN6thrust23THRUST_200600_302600_NS10device_ptrIlEEjNS1_19radix_merge_compareILb0ELb0EiNS0_19identity_decomposerEEEEE10hipError_tT0_T1_T2_jT3_P12ihipStream_tbPNSt15iterator_traitsISG_E10value_typeEPNSM_ISH_E10value_typeEPSI_NS1_7vsmem_tEENKUlT_SG_SH_SI_E_clIS7_S7_SB_PlEESF_SV_SG_SH_SI_EUlSV_E_NS1_11comp_targetILNS1_3genE8ELNS1_11target_archE1030ELNS1_3gpuE2ELNS1_3repE0EEENS1_48merge_mergepath_partition_config_static_selectorELNS0_4arch9wavefront6targetE1EEEvSH_
                                        ; -- End function
	.section	.AMDGPU.csdata,"",@progbits
; Kernel info:
; codeLenInByte = 0
; NumSgprs: 4
; NumVgprs: 0
; NumAgprs: 0
; TotalNumVgprs: 0
; ScratchSize: 0
; MemoryBound: 0
; FloatMode: 240
; IeeeMode: 1
; LDSByteSize: 0 bytes/workgroup (compile time only)
; SGPRBlocks: 0
; VGPRBlocks: 0
; NumSGPRsForWavesPerEU: 4
; NumVGPRsForWavesPerEU: 1
; AccumOffset: 4
; Occupancy: 8
; WaveLimiterHint : 0
; COMPUTE_PGM_RSRC2:SCRATCH_EN: 0
; COMPUTE_PGM_RSRC2:USER_SGPR: 6
; COMPUTE_PGM_RSRC2:TRAP_HANDLER: 0
; COMPUTE_PGM_RSRC2:TGID_X_EN: 1
; COMPUTE_PGM_RSRC2:TGID_Y_EN: 0
; COMPUTE_PGM_RSRC2:TGID_Z_EN: 0
; COMPUTE_PGM_RSRC2:TIDIG_COMP_CNT: 0
; COMPUTE_PGM_RSRC3_GFX90A:ACCUM_OFFSET: 0
; COMPUTE_PGM_RSRC3_GFX90A:TG_SPLIT: 0
	.section	.text._ZN7rocprim17ROCPRIM_400000_NS6detail17trampoline_kernelINS0_14default_configENS1_38merge_sort_block_merge_config_selectorIilEEZZNS1_27merge_sort_block_merge_implIS3_PiN6thrust23THRUST_200600_302600_NS10device_ptrIlEEjNS1_19radix_merge_compareILb0ELb0EiNS0_19identity_decomposerEEEEE10hipError_tT0_T1_T2_jT3_P12ihipStream_tbPNSt15iterator_traitsISG_E10value_typeEPNSM_ISH_E10value_typeEPSI_NS1_7vsmem_tEENKUlT_SG_SH_SI_E_clIS7_S7_SB_PlEESF_SV_SG_SH_SI_EUlSV_E0_NS1_11comp_targetILNS1_3genE0ELNS1_11target_archE4294967295ELNS1_3gpuE0ELNS1_3repE0EEENS1_38merge_mergepath_config_static_selectorELNS0_4arch9wavefront6targetE1EEEvSH_,"axG",@progbits,_ZN7rocprim17ROCPRIM_400000_NS6detail17trampoline_kernelINS0_14default_configENS1_38merge_sort_block_merge_config_selectorIilEEZZNS1_27merge_sort_block_merge_implIS3_PiN6thrust23THRUST_200600_302600_NS10device_ptrIlEEjNS1_19radix_merge_compareILb0ELb0EiNS0_19identity_decomposerEEEEE10hipError_tT0_T1_T2_jT3_P12ihipStream_tbPNSt15iterator_traitsISG_E10value_typeEPNSM_ISH_E10value_typeEPSI_NS1_7vsmem_tEENKUlT_SG_SH_SI_E_clIS7_S7_SB_PlEESF_SV_SG_SH_SI_EUlSV_E0_NS1_11comp_targetILNS1_3genE0ELNS1_11target_archE4294967295ELNS1_3gpuE0ELNS1_3repE0EEENS1_38merge_mergepath_config_static_selectorELNS0_4arch9wavefront6targetE1EEEvSH_,comdat
	.protected	_ZN7rocprim17ROCPRIM_400000_NS6detail17trampoline_kernelINS0_14default_configENS1_38merge_sort_block_merge_config_selectorIilEEZZNS1_27merge_sort_block_merge_implIS3_PiN6thrust23THRUST_200600_302600_NS10device_ptrIlEEjNS1_19radix_merge_compareILb0ELb0EiNS0_19identity_decomposerEEEEE10hipError_tT0_T1_T2_jT3_P12ihipStream_tbPNSt15iterator_traitsISG_E10value_typeEPNSM_ISH_E10value_typeEPSI_NS1_7vsmem_tEENKUlT_SG_SH_SI_E_clIS7_S7_SB_PlEESF_SV_SG_SH_SI_EUlSV_E0_NS1_11comp_targetILNS1_3genE0ELNS1_11target_archE4294967295ELNS1_3gpuE0ELNS1_3repE0EEENS1_38merge_mergepath_config_static_selectorELNS0_4arch9wavefront6targetE1EEEvSH_ ; -- Begin function _ZN7rocprim17ROCPRIM_400000_NS6detail17trampoline_kernelINS0_14default_configENS1_38merge_sort_block_merge_config_selectorIilEEZZNS1_27merge_sort_block_merge_implIS3_PiN6thrust23THRUST_200600_302600_NS10device_ptrIlEEjNS1_19radix_merge_compareILb0ELb0EiNS0_19identity_decomposerEEEEE10hipError_tT0_T1_T2_jT3_P12ihipStream_tbPNSt15iterator_traitsISG_E10value_typeEPNSM_ISH_E10value_typeEPSI_NS1_7vsmem_tEENKUlT_SG_SH_SI_E_clIS7_S7_SB_PlEESF_SV_SG_SH_SI_EUlSV_E0_NS1_11comp_targetILNS1_3genE0ELNS1_11target_archE4294967295ELNS1_3gpuE0ELNS1_3repE0EEENS1_38merge_mergepath_config_static_selectorELNS0_4arch9wavefront6targetE1EEEvSH_
	.globl	_ZN7rocprim17ROCPRIM_400000_NS6detail17trampoline_kernelINS0_14default_configENS1_38merge_sort_block_merge_config_selectorIilEEZZNS1_27merge_sort_block_merge_implIS3_PiN6thrust23THRUST_200600_302600_NS10device_ptrIlEEjNS1_19radix_merge_compareILb0ELb0EiNS0_19identity_decomposerEEEEE10hipError_tT0_T1_T2_jT3_P12ihipStream_tbPNSt15iterator_traitsISG_E10value_typeEPNSM_ISH_E10value_typeEPSI_NS1_7vsmem_tEENKUlT_SG_SH_SI_E_clIS7_S7_SB_PlEESF_SV_SG_SH_SI_EUlSV_E0_NS1_11comp_targetILNS1_3genE0ELNS1_11target_archE4294967295ELNS1_3gpuE0ELNS1_3repE0EEENS1_38merge_mergepath_config_static_selectorELNS0_4arch9wavefront6targetE1EEEvSH_
	.p2align	8
	.type	_ZN7rocprim17ROCPRIM_400000_NS6detail17trampoline_kernelINS0_14default_configENS1_38merge_sort_block_merge_config_selectorIilEEZZNS1_27merge_sort_block_merge_implIS3_PiN6thrust23THRUST_200600_302600_NS10device_ptrIlEEjNS1_19radix_merge_compareILb0ELb0EiNS0_19identity_decomposerEEEEE10hipError_tT0_T1_T2_jT3_P12ihipStream_tbPNSt15iterator_traitsISG_E10value_typeEPNSM_ISH_E10value_typeEPSI_NS1_7vsmem_tEENKUlT_SG_SH_SI_E_clIS7_S7_SB_PlEESF_SV_SG_SH_SI_EUlSV_E0_NS1_11comp_targetILNS1_3genE0ELNS1_11target_archE4294967295ELNS1_3gpuE0ELNS1_3repE0EEENS1_38merge_mergepath_config_static_selectorELNS0_4arch9wavefront6targetE1EEEvSH_,@function
_ZN7rocprim17ROCPRIM_400000_NS6detail17trampoline_kernelINS0_14default_configENS1_38merge_sort_block_merge_config_selectorIilEEZZNS1_27merge_sort_block_merge_implIS3_PiN6thrust23THRUST_200600_302600_NS10device_ptrIlEEjNS1_19radix_merge_compareILb0ELb0EiNS0_19identity_decomposerEEEEE10hipError_tT0_T1_T2_jT3_P12ihipStream_tbPNSt15iterator_traitsISG_E10value_typeEPNSM_ISH_E10value_typeEPSI_NS1_7vsmem_tEENKUlT_SG_SH_SI_E_clIS7_S7_SB_PlEESF_SV_SG_SH_SI_EUlSV_E0_NS1_11comp_targetILNS1_3genE0ELNS1_11target_archE4294967295ELNS1_3gpuE0ELNS1_3repE0EEENS1_38merge_mergepath_config_static_selectorELNS0_4arch9wavefront6targetE1EEEvSH_: ; @_ZN7rocprim17ROCPRIM_400000_NS6detail17trampoline_kernelINS0_14default_configENS1_38merge_sort_block_merge_config_selectorIilEEZZNS1_27merge_sort_block_merge_implIS3_PiN6thrust23THRUST_200600_302600_NS10device_ptrIlEEjNS1_19radix_merge_compareILb0ELb0EiNS0_19identity_decomposerEEEEE10hipError_tT0_T1_T2_jT3_P12ihipStream_tbPNSt15iterator_traitsISG_E10value_typeEPNSM_ISH_E10value_typeEPSI_NS1_7vsmem_tEENKUlT_SG_SH_SI_E_clIS7_S7_SB_PlEESF_SV_SG_SH_SI_EUlSV_E0_NS1_11comp_targetILNS1_3genE0ELNS1_11target_archE4294967295ELNS1_3gpuE0ELNS1_3repE0EEENS1_38merge_mergepath_config_static_selectorELNS0_4arch9wavefront6targetE1EEEvSH_
; %bb.0:
	.section	.rodata,"a",@progbits
	.p2align	6, 0x0
	.amdhsa_kernel _ZN7rocprim17ROCPRIM_400000_NS6detail17trampoline_kernelINS0_14default_configENS1_38merge_sort_block_merge_config_selectorIilEEZZNS1_27merge_sort_block_merge_implIS3_PiN6thrust23THRUST_200600_302600_NS10device_ptrIlEEjNS1_19radix_merge_compareILb0ELb0EiNS0_19identity_decomposerEEEEE10hipError_tT0_T1_T2_jT3_P12ihipStream_tbPNSt15iterator_traitsISG_E10value_typeEPNSM_ISH_E10value_typeEPSI_NS1_7vsmem_tEENKUlT_SG_SH_SI_E_clIS7_S7_SB_PlEESF_SV_SG_SH_SI_EUlSV_E0_NS1_11comp_targetILNS1_3genE0ELNS1_11target_archE4294967295ELNS1_3gpuE0ELNS1_3repE0EEENS1_38merge_mergepath_config_static_selectorELNS0_4arch9wavefront6targetE1EEEvSH_
		.amdhsa_group_segment_fixed_size 0
		.amdhsa_private_segment_fixed_size 0
		.amdhsa_kernarg_size 64
		.amdhsa_user_sgpr_count 6
		.amdhsa_user_sgpr_private_segment_buffer 1
		.amdhsa_user_sgpr_dispatch_ptr 0
		.amdhsa_user_sgpr_queue_ptr 0
		.amdhsa_user_sgpr_kernarg_segment_ptr 1
		.amdhsa_user_sgpr_dispatch_id 0
		.amdhsa_user_sgpr_flat_scratch_init 0
		.amdhsa_user_sgpr_kernarg_preload_length 0
		.amdhsa_user_sgpr_kernarg_preload_offset 0
		.amdhsa_user_sgpr_private_segment_size 0
		.amdhsa_uses_dynamic_stack 0
		.amdhsa_system_sgpr_private_segment_wavefront_offset 0
		.amdhsa_system_sgpr_workgroup_id_x 1
		.amdhsa_system_sgpr_workgroup_id_y 0
		.amdhsa_system_sgpr_workgroup_id_z 0
		.amdhsa_system_sgpr_workgroup_info 0
		.amdhsa_system_vgpr_workitem_id 0
		.amdhsa_next_free_vgpr 1
		.amdhsa_next_free_sgpr 0
		.amdhsa_accum_offset 4
		.amdhsa_reserve_vcc 0
		.amdhsa_reserve_flat_scratch 0
		.amdhsa_float_round_mode_32 0
		.amdhsa_float_round_mode_16_64 0
		.amdhsa_float_denorm_mode_32 3
		.amdhsa_float_denorm_mode_16_64 3
		.amdhsa_dx10_clamp 1
		.amdhsa_ieee_mode 1
		.amdhsa_fp16_overflow 0
		.amdhsa_tg_split 0
		.amdhsa_exception_fp_ieee_invalid_op 0
		.amdhsa_exception_fp_denorm_src 0
		.amdhsa_exception_fp_ieee_div_zero 0
		.amdhsa_exception_fp_ieee_overflow 0
		.amdhsa_exception_fp_ieee_underflow 0
		.amdhsa_exception_fp_ieee_inexact 0
		.amdhsa_exception_int_div_zero 0
	.end_amdhsa_kernel
	.section	.text._ZN7rocprim17ROCPRIM_400000_NS6detail17trampoline_kernelINS0_14default_configENS1_38merge_sort_block_merge_config_selectorIilEEZZNS1_27merge_sort_block_merge_implIS3_PiN6thrust23THRUST_200600_302600_NS10device_ptrIlEEjNS1_19radix_merge_compareILb0ELb0EiNS0_19identity_decomposerEEEEE10hipError_tT0_T1_T2_jT3_P12ihipStream_tbPNSt15iterator_traitsISG_E10value_typeEPNSM_ISH_E10value_typeEPSI_NS1_7vsmem_tEENKUlT_SG_SH_SI_E_clIS7_S7_SB_PlEESF_SV_SG_SH_SI_EUlSV_E0_NS1_11comp_targetILNS1_3genE0ELNS1_11target_archE4294967295ELNS1_3gpuE0ELNS1_3repE0EEENS1_38merge_mergepath_config_static_selectorELNS0_4arch9wavefront6targetE1EEEvSH_,"axG",@progbits,_ZN7rocprim17ROCPRIM_400000_NS6detail17trampoline_kernelINS0_14default_configENS1_38merge_sort_block_merge_config_selectorIilEEZZNS1_27merge_sort_block_merge_implIS3_PiN6thrust23THRUST_200600_302600_NS10device_ptrIlEEjNS1_19radix_merge_compareILb0ELb0EiNS0_19identity_decomposerEEEEE10hipError_tT0_T1_T2_jT3_P12ihipStream_tbPNSt15iterator_traitsISG_E10value_typeEPNSM_ISH_E10value_typeEPSI_NS1_7vsmem_tEENKUlT_SG_SH_SI_E_clIS7_S7_SB_PlEESF_SV_SG_SH_SI_EUlSV_E0_NS1_11comp_targetILNS1_3genE0ELNS1_11target_archE4294967295ELNS1_3gpuE0ELNS1_3repE0EEENS1_38merge_mergepath_config_static_selectorELNS0_4arch9wavefront6targetE1EEEvSH_,comdat
.Lfunc_end776:
	.size	_ZN7rocprim17ROCPRIM_400000_NS6detail17trampoline_kernelINS0_14default_configENS1_38merge_sort_block_merge_config_selectorIilEEZZNS1_27merge_sort_block_merge_implIS3_PiN6thrust23THRUST_200600_302600_NS10device_ptrIlEEjNS1_19radix_merge_compareILb0ELb0EiNS0_19identity_decomposerEEEEE10hipError_tT0_T1_T2_jT3_P12ihipStream_tbPNSt15iterator_traitsISG_E10value_typeEPNSM_ISH_E10value_typeEPSI_NS1_7vsmem_tEENKUlT_SG_SH_SI_E_clIS7_S7_SB_PlEESF_SV_SG_SH_SI_EUlSV_E0_NS1_11comp_targetILNS1_3genE0ELNS1_11target_archE4294967295ELNS1_3gpuE0ELNS1_3repE0EEENS1_38merge_mergepath_config_static_selectorELNS0_4arch9wavefront6targetE1EEEvSH_, .Lfunc_end776-_ZN7rocprim17ROCPRIM_400000_NS6detail17trampoline_kernelINS0_14default_configENS1_38merge_sort_block_merge_config_selectorIilEEZZNS1_27merge_sort_block_merge_implIS3_PiN6thrust23THRUST_200600_302600_NS10device_ptrIlEEjNS1_19radix_merge_compareILb0ELb0EiNS0_19identity_decomposerEEEEE10hipError_tT0_T1_T2_jT3_P12ihipStream_tbPNSt15iterator_traitsISG_E10value_typeEPNSM_ISH_E10value_typeEPSI_NS1_7vsmem_tEENKUlT_SG_SH_SI_E_clIS7_S7_SB_PlEESF_SV_SG_SH_SI_EUlSV_E0_NS1_11comp_targetILNS1_3genE0ELNS1_11target_archE4294967295ELNS1_3gpuE0ELNS1_3repE0EEENS1_38merge_mergepath_config_static_selectorELNS0_4arch9wavefront6targetE1EEEvSH_
                                        ; -- End function
	.section	.AMDGPU.csdata,"",@progbits
; Kernel info:
; codeLenInByte = 0
; NumSgprs: 4
; NumVgprs: 0
; NumAgprs: 0
; TotalNumVgprs: 0
; ScratchSize: 0
; MemoryBound: 0
; FloatMode: 240
; IeeeMode: 1
; LDSByteSize: 0 bytes/workgroup (compile time only)
; SGPRBlocks: 0
; VGPRBlocks: 0
; NumSGPRsForWavesPerEU: 4
; NumVGPRsForWavesPerEU: 1
; AccumOffset: 4
; Occupancy: 8
; WaveLimiterHint : 0
; COMPUTE_PGM_RSRC2:SCRATCH_EN: 0
; COMPUTE_PGM_RSRC2:USER_SGPR: 6
; COMPUTE_PGM_RSRC2:TRAP_HANDLER: 0
; COMPUTE_PGM_RSRC2:TGID_X_EN: 1
; COMPUTE_PGM_RSRC2:TGID_Y_EN: 0
; COMPUTE_PGM_RSRC2:TGID_Z_EN: 0
; COMPUTE_PGM_RSRC2:TIDIG_COMP_CNT: 0
; COMPUTE_PGM_RSRC3_GFX90A:ACCUM_OFFSET: 0
; COMPUTE_PGM_RSRC3_GFX90A:TG_SPLIT: 0
	.section	.text._ZN7rocprim17ROCPRIM_400000_NS6detail17trampoline_kernelINS0_14default_configENS1_38merge_sort_block_merge_config_selectorIilEEZZNS1_27merge_sort_block_merge_implIS3_PiN6thrust23THRUST_200600_302600_NS10device_ptrIlEEjNS1_19radix_merge_compareILb0ELb0EiNS0_19identity_decomposerEEEEE10hipError_tT0_T1_T2_jT3_P12ihipStream_tbPNSt15iterator_traitsISG_E10value_typeEPNSM_ISH_E10value_typeEPSI_NS1_7vsmem_tEENKUlT_SG_SH_SI_E_clIS7_S7_SB_PlEESF_SV_SG_SH_SI_EUlSV_E0_NS1_11comp_targetILNS1_3genE10ELNS1_11target_archE1201ELNS1_3gpuE5ELNS1_3repE0EEENS1_38merge_mergepath_config_static_selectorELNS0_4arch9wavefront6targetE1EEEvSH_,"axG",@progbits,_ZN7rocprim17ROCPRIM_400000_NS6detail17trampoline_kernelINS0_14default_configENS1_38merge_sort_block_merge_config_selectorIilEEZZNS1_27merge_sort_block_merge_implIS3_PiN6thrust23THRUST_200600_302600_NS10device_ptrIlEEjNS1_19radix_merge_compareILb0ELb0EiNS0_19identity_decomposerEEEEE10hipError_tT0_T1_T2_jT3_P12ihipStream_tbPNSt15iterator_traitsISG_E10value_typeEPNSM_ISH_E10value_typeEPSI_NS1_7vsmem_tEENKUlT_SG_SH_SI_E_clIS7_S7_SB_PlEESF_SV_SG_SH_SI_EUlSV_E0_NS1_11comp_targetILNS1_3genE10ELNS1_11target_archE1201ELNS1_3gpuE5ELNS1_3repE0EEENS1_38merge_mergepath_config_static_selectorELNS0_4arch9wavefront6targetE1EEEvSH_,comdat
	.protected	_ZN7rocprim17ROCPRIM_400000_NS6detail17trampoline_kernelINS0_14default_configENS1_38merge_sort_block_merge_config_selectorIilEEZZNS1_27merge_sort_block_merge_implIS3_PiN6thrust23THRUST_200600_302600_NS10device_ptrIlEEjNS1_19radix_merge_compareILb0ELb0EiNS0_19identity_decomposerEEEEE10hipError_tT0_T1_T2_jT3_P12ihipStream_tbPNSt15iterator_traitsISG_E10value_typeEPNSM_ISH_E10value_typeEPSI_NS1_7vsmem_tEENKUlT_SG_SH_SI_E_clIS7_S7_SB_PlEESF_SV_SG_SH_SI_EUlSV_E0_NS1_11comp_targetILNS1_3genE10ELNS1_11target_archE1201ELNS1_3gpuE5ELNS1_3repE0EEENS1_38merge_mergepath_config_static_selectorELNS0_4arch9wavefront6targetE1EEEvSH_ ; -- Begin function _ZN7rocprim17ROCPRIM_400000_NS6detail17trampoline_kernelINS0_14default_configENS1_38merge_sort_block_merge_config_selectorIilEEZZNS1_27merge_sort_block_merge_implIS3_PiN6thrust23THRUST_200600_302600_NS10device_ptrIlEEjNS1_19radix_merge_compareILb0ELb0EiNS0_19identity_decomposerEEEEE10hipError_tT0_T1_T2_jT3_P12ihipStream_tbPNSt15iterator_traitsISG_E10value_typeEPNSM_ISH_E10value_typeEPSI_NS1_7vsmem_tEENKUlT_SG_SH_SI_E_clIS7_S7_SB_PlEESF_SV_SG_SH_SI_EUlSV_E0_NS1_11comp_targetILNS1_3genE10ELNS1_11target_archE1201ELNS1_3gpuE5ELNS1_3repE0EEENS1_38merge_mergepath_config_static_selectorELNS0_4arch9wavefront6targetE1EEEvSH_
	.globl	_ZN7rocprim17ROCPRIM_400000_NS6detail17trampoline_kernelINS0_14default_configENS1_38merge_sort_block_merge_config_selectorIilEEZZNS1_27merge_sort_block_merge_implIS3_PiN6thrust23THRUST_200600_302600_NS10device_ptrIlEEjNS1_19radix_merge_compareILb0ELb0EiNS0_19identity_decomposerEEEEE10hipError_tT0_T1_T2_jT3_P12ihipStream_tbPNSt15iterator_traitsISG_E10value_typeEPNSM_ISH_E10value_typeEPSI_NS1_7vsmem_tEENKUlT_SG_SH_SI_E_clIS7_S7_SB_PlEESF_SV_SG_SH_SI_EUlSV_E0_NS1_11comp_targetILNS1_3genE10ELNS1_11target_archE1201ELNS1_3gpuE5ELNS1_3repE0EEENS1_38merge_mergepath_config_static_selectorELNS0_4arch9wavefront6targetE1EEEvSH_
	.p2align	8
	.type	_ZN7rocprim17ROCPRIM_400000_NS6detail17trampoline_kernelINS0_14default_configENS1_38merge_sort_block_merge_config_selectorIilEEZZNS1_27merge_sort_block_merge_implIS3_PiN6thrust23THRUST_200600_302600_NS10device_ptrIlEEjNS1_19radix_merge_compareILb0ELb0EiNS0_19identity_decomposerEEEEE10hipError_tT0_T1_T2_jT3_P12ihipStream_tbPNSt15iterator_traitsISG_E10value_typeEPNSM_ISH_E10value_typeEPSI_NS1_7vsmem_tEENKUlT_SG_SH_SI_E_clIS7_S7_SB_PlEESF_SV_SG_SH_SI_EUlSV_E0_NS1_11comp_targetILNS1_3genE10ELNS1_11target_archE1201ELNS1_3gpuE5ELNS1_3repE0EEENS1_38merge_mergepath_config_static_selectorELNS0_4arch9wavefront6targetE1EEEvSH_,@function
_ZN7rocprim17ROCPRIM_400000_NS6detail17trampoline_kernelINS0_14default_configENS1_38merge_sort_block_merge_config_selectorIilEEZZNS1_27merge_sort_block_merge_implIS3_PiN6thrust23THRUST_200600_302600_NS10device_ptrIlEEjNS1_19radix_merge_compareILb0ELb0EiNS0_19identity_decomposerEEEEE10hipError_tT0_T1_T2_jT3_P12ihipStream_tbPNSt15iterator_traitsISG_E10value_typeEPNSM_ISH_E10value_typeEPSI_NS1_7vsmem_tEENKUlT_SG_SH_SI_E_clIS7_S7_SB_PlEESF_SV_SG_SH_SI_EUlSV_E0_NS1_11comp_targetILNS1_3genE10ELNS1_11target_archE1201ELNS1_3gpuE5ELNS1_3repE0EEENS1_38merge_mergepath_config_static_selectorELNS0_4arch9wavefront6targetE1EEEvSH_: ; @_ZN7rocprim17ROCPRIM_400000_NS6detail17trampoline_kernelINS0_14default_configENS1_38merge_sort_block_merge_config_selectorIilEEZZNS1_27merge_sort_block_merge_implIS3_PiN6thrust23THRUST_200600_302600_NS10device_ptrIlEEjNS1_19radix_merge_compareILb0ELb0EiNS0_19identity_decomposerEEEEE10hipError_tT0_T1_T2_jT3_P12ihipStream_tbPNSt15iterator_traitsISG_E10value_typeEPNSM_ISH_E10value_typeEPSI_NS1_7vsmem_tEENKUlT_SG_SH_SI_E_clIS7_S7_SB_PlEESF_SV_SG_SH_SI_EUlSV_E0_NS1_11comp_targetILNS1_3genE10ELNS1_11target_archE1201ELNS1_3gpuE5ELNS1_3repE0EEENS1_38merge_mergepath_config_static_selectorELNS0_4arch9wavefront6targetE1EEEvSH_
; %bb.0:
	.section	.rodata,"a",@progbits
	.p2align	6, 0x0
	.amdhsa_kernel _ZN7rocprim17ROCPRIM_400000_NS6detail17trampoline_kernelINS0_14default_configENS1_38merge_sort_block_merge_config_selectorIilEEZZNS1_27merge_sort_block_merge_implIS3_PiN6thrust23THRUST_200600_302600_NS10device_ptrIlEEjNS1_19radix_merge_compareILb0ELb0EiNS0_19identity_decomposerEEEEE10hipError_tT0_T1_T2_jT3_P12ihipStream_tbPNSt15iterator_traitsISG_E10value_typeEPNSM_ISH_E10value_typeEPSI_NS1_7vsmem_tEENKUlT_SG_SH_SI_E_clIS7_S7_SB_PlEESF_SV_SG_SH_SI_EUlSV_E0_NS1_11comp_targetILNS1_3genE10ELNS1_11target_archE1201ELNS1_3gpuE5ELNS1_3repE0EEENS1_38merge_mergepath_config_static_selectorELNS0_4arch9wavefront6targetE1EEEvSH_
		.amdhsa_group_segment_fixed_size 0
		.amdhsa_private_segment_fixed_size 0
		.amdhsa_kernarg_size 64
		.amdhsa_user_sgpr_count 6
		.amdhsa_user_sgpr_private_segment_buffer 1
		.amdhsa_user_sgpr_dispatch_ptr 0
		.amdhsa_user_sgpr_queue_ptr 0
		.amdhsa_user_sgpr_kernarg_segment_ptr 1
		.amdhsa_user_sgpr_dispatch_id 0
		.amdhsa_user_sgpr_flat_scratch_init 0
		.amdhsa_user_sgpr_kernarg_preload_length 0
		.amdhsa_user_sgpr_kernarg_preload_offset 0
		.amdhsa_user_sgpr_private_segment_size 0
		.amdhsa_uses_dynamic_stack 0
		.amdhsa_system_sgpr_private_segment_wavefront_offset 0
		.amdhsa_system_sgpr_workgroup_id_x 1
		.amdhsa_system_sgpr_workgroup_id_y 0
		.amdhsa_system_sgpr_workgroup_id_z 0
		.amdhsa_system_sgpr_workgroup_info 0
		.amdhsa_system_vgpr_workitem_id 0
		.amdhsa_next_free_vgpr 1
		.amdhsa_next_free_sgpr 0
		.amdhsa_accum_offset 4
		.amdhsa_reserve_vcc 0
		.amdhsa_reserve_flat_scratch 0
		.amdhsa_float_round_mode_32 0
		.amdhsa_float_round_mode_16_64 0
		.amdhsa_float_denorm_mode_32 3
		.amdhsa_float_denorm_mode_16_64 3
		.amdhsa_dx10_clamp 1
		.amdhsa_ieee_mode 1
		.amdhsa_fp16_overflow 0
		.amdhsa_tg_split 0
		.amdhsa_exception_fp_ieee_invalid_op 0
		.amdhsa_exception_fp_denorm_src 0
		.amdhsa_exception_fp_ieee_div_zero 0
		.amdhsa_exception_fp_ieee_overflow 0
		.amdhsa_exception_fp_ieee_underflow 0
		.amdhsa_exception_fp_ieee_inexact 0
		.amdhsa_exception_int_div_zero 0
	.end_amdhsa_kernel
	.section	.text._ZN7rocprim17ROCPRIM_400000_NS6detail17trampoline_kernelINS0_14default_configENS1_38merge_sort_block_merge_config_selectorIilEEZZNS1_27merge_sort_block_merge_implIS3_PiN6thrust23THRUST_200600_302600_NS10device_ptrIlEEjNS1_19radix_merge_compareILb0ELb0EiNS0_19identity_decomposerEEEEE10hipError_tT0_T1_T2_jT3_P12ihipStream_tbPNSt15iterator_traitsISG_E10value_typeEPNSM_ISH_E10value_typeEPSI_NS1_7vsmem_tEENKUlT_SG_SH_SI_E_clIS7_S7_SB_PlEESF_SV_SG_SH_SI_EUlSV_E0_NS1_11comp_targetILNS1_3genE10ELNS1_11target_archE1201ELNS1_3gpuE5ELNS1_3repE0EEENS1_38merge_mergepath_config_static_selectorELNS0_4arch9wavefront6targetE1EEEvSH_,"axG",@progbits,_ZN7rocprim17ROCPRIM_400000_NS6detail17trampoline_kernelINS0_14default_configENS1_38merge_sort_block_merge_config_selectorIilEEZZNS1_27merge_sort_block_merge_implIS3_PiN6thrust23THRUST_200600_302600_NS10device_ptrIlEEjNS1_19radix_merge_compareILb0ELb0EiNS0_19identity_decomposerEEEEE10hipError_tT0_T1_T2_jT3_P12ihipStream_tbPNSt15iterator_traitsISG_E10value_typeEPNSM_ISH_E10value_typeEPSI_NS1_7vsmem_tEENKUlT_SG_SH_SI_E_clIS7_S7_SB_PlEESF_SV_SG_SH_SI_EUlSV_E0_NS1_11comp_targetILNS1_3genE10ELNS1_11target_archE1201ELNS1_3gpuE5ELNS1_3repE0EEENS1_38merge_mergepath_config_static_selectorELNS0_4arch9wavefront6targetE1EEEvSH_,comdat
.Lfunc_end777:
	.size	_ZN7rocprim17ROCPRIM_400000_NS6detail17trampoline_kernelINS0_14default_configENS1_38merge_sort_block_merge_config_selectorIilEEZZNS1_27merge_sort_block_merge_implIS3_PiN6thrust23THRUST_200600_302600_NS10device_ptrIlEEjNS1_19radix_merge_compareILb0ELb0EiNS0_19identity_decomposerEEEEE10hipError_tT0_T1_T2_jT3_P12ihipStream_tbPNSt15iterator_traitsISG_E10value_typeEPNSM_ISH_E10value_typeEPSI_NS1_7vsmem_tEENKUlT_SG_SH_SI_E_clIS7_S7_SB_PlEESF_SV_SG_SH_SI_EUlSV_E0_NS1_11comp_targetILNS1_3genE10ELNS1_11target_archE1201ELNS1_3gpuE5ELNS1_3repE0EEENS1_38merge_mergepath_config_static_selectorELNS0_4arch9wavefront6targetE1EEEvSH_, .Lfunc_end777-_ZN7rocprim17ROCPRIM_400000_NS6detail17trampoline_kernelINS0_14default_configENS1_38merge_sort_block_merge_config_selectorIilEEZZNS1_27merge_sort_block_merge_implIS3_PiN6thrust23THRUST_200600_302600_NS10device_ptrIlEEjNS1_19radix_merge_compareILb0ELb0EiNS0_19identity_decomposerEEEEE10hipError_tT0_T1_T2_jT3_P12ihipStream_tbPNSt15iterator_traitsISG_E10value_typeEPNSM_ISH_E10value_typeEPSI_NS1_7vsmem_tEENKUlT_SG_SH_SI_E_clIS7_S7_SB_PlEESF_SV_SG_SH_SI_EUlSV_E0_NS1_11comp_targetILNS1_3genE10ELNS1_11target_archE1201ELNS1_3gpuE5ELNS1_3repE0EEENS1_38merge_mergepath_config_static_selectorELNS0_4arch9wavefront6targetE1EEEvSH_
                                        ; -- End function
	.section	.AMDGPU.csdata,"",@progbits
; Kernel info:
; codeLenInByte = 0
; NumSgprs: 4
; NumVgprs: 0
; NumAgprs: 0
; TotalNumVgprs: 0
; ScratchSize: 0
; MemoryBound: 0
; FloatMode: 240
; IeeeMode: 1
; LDSByteSize: 0 bytes/workgroup (compile time only)
; SGPRBlocks: 0
; VGPRBlocks: 0
; NumSGPRsForWavesPerEU: 4
; NumVGPRsForWavesPerEU: 1
; AccumOffset: 4
; Occupancy: 8
; WaveLimiterHint : 0
; COMPUTE_PGM_RSRC2:SCRATCH_EN: 0
; COMPUTE_PGM_RSRC2:USER_SGPR: 6
; COMPUTE_PGM_RSRC2:TRAP_HANDLER: 0
; COMPUTE_PGM_RSRC2:TGID_X_EN: 1
; COMPUTE_PGM_RSRC2:TGID_Y_EN: 0
; COMPUTE_PGM_RSRC2:TGID_Z_EN: 0
; COMPUTE_PGM_RSRC2:TIDIG_COMP_CNT: 0
; COMPUTE_PGM_RSRC3_GFX90A:ACCUM_OFFSET: 0
; COMPUTE_PGM_RSRC3_GFX90A:TG_SPLIT: 0
	.section	.text._ZN7rocprim17ROCPRIM_400000_NS6detail17trampoline_kernelINS0_14default_configENS1_38merge_sort_block_merge_config_selectorIilEEZZNS1_27merge_sort_block_merge_implIS3_PiN6thrust23THRUST_200600_302600_NS10device_ptrIlEEjNS1_19radix_merge_compareILb0ELb0EiNS0_19identity_decomposerEEEEE10hipError_tT0_T1_T2_jT3_P12ihipStream_tbPNSt15iterator_traitsISG_E10value_typeEPNSM_ISH_E10value_typeEPSI_NS1_7vsmem_tEENKUlT_SG_SH_SI_E_clIS7_S7_SB_PlEESF_SV_SG_SH_SI_EUlSV_E0_NS1_11comp_targetILNS1_3genE5ELNS1_11target_archE942ELNS1_3gpuE9ELNS1_3repE0EEENS1_38merge_mergepath_config_static_selectorELNS0_4arch9wavefront6targetE1EEEvSH_,"axG",@progbits,_ZN7rocprim17ROCPRIM_400000_NS6detail17trampoline_kernelINS0_14default_configENS1_38merge_sort_block_merge_config_selectorIilEEZZNS1_27merge_sort_block_merge_implIS3_PiN6thrust23THRUST_200600_302600_NS10device_ptrIlEEjNS1_19radix_merge_compareILb0ELb0EiNS0_19identity_decomposerEEEEE10hipError_tT0_T1_T2_jT3_P12ihipStream_tbPNSt15iterator_traitsISG_E10value_typeEPNSM_ISH_E10value_typeEPSI_NS1_7vsmem_tEENKUlT_SG_SH_SI_E_clIS7_S7_SB_PlEESF_SV_SG_SH_SI_EUlSV_E0_NS1_11comp_targetILNS1_3genE5ELNS1_11target_archE942ELNS1_3gpuE9ELNS1_3repE0EEENS1_38merge_mergepath_config_static_selectorELNS0_4arch9wavefront6targetE1EEEvSH_,comdat
	.protected	_ZN7rocprim17ROCPRIM_400000_NS6detail17trampoline_kernelINS0_14default_configENS1_38merge_sort_block_merge_config_selectorIilEEZZNS1_27merge_sort_block_merge_implIS3_PiN6thrust23THRUST_200600_302600_NS10device_ptrIlEEjNS1_19radix_merge_compareILb0ELb0EiNS0_19identity_decomposerEEEEE10hipError_tT0_T1_T2_jT3_P12ihipStream_tbPNSt15iterator_traitsISG_E10value_typeEPNSM_ISH_E10value_typeEPSI_NS1_7vsmem_tEENKUlT_SG_SH_SI_E_clIS7_S7_SB_PlEESF_SV_SG_SH_SI_EUlSV_E0_NS1_11comp_targetILNS1_3genE5ELNS1_11target_archE942ELNS1_3gpuE9ELNS1_3repE0EEENS1_38merge_mergepath_config_static_selectorELNS0_4arch9wavefront6targetE1EEEvSH_ ; -- Begin function _ZN7rocprim17ROCPRIM_400000_NS6detail17trampoline_kernelINS0_14default_configENS1_38merge_sort_block_merge_config_selectorIilEEZZNS1_27merge_sort_block_merge_implIS3_PiN6thrust23THRUST_200600_302600_NS10device_ptrIlEEjNS1_19radix_merge_compareILb0ELb0EiNS0_19identity_decomposerEEEEE10hipError_tT0_T1_T2_jT3_P12ihipStream_tbPNSt15iterator_traitsISG_E10value_typeEPNSM_ISH_E10value_typeEPSI_NS1_7vsmem_tEENKUlT_SG_SH_SI_E_clIS7_S7_SB_PlEESF_SV_SG_SH_SI_EUlSV_E0_NS1_11comp_targetILNS1_3genE5ELNS1_11target_archE942ELNS1_3gpuE9ELNS1_3repE0EEENS1_38merge_mergepath_config_static_selectorELNS0_4arch9wavefront6targetE1EEEvSH_
	.globl	_ZN7rocprim17ROCPRIM_400000_NS6detail17trampoline_kernelINS0_14default_configENS1_38merge_sort_block_merge_config_selectorIilEEZZNS1_27merge_sort_block_merge_implIS3_PiN6thrust23THRUST_200600_302600_NS10device_ptrIlEEjNS1_19radix_merge_compareILb0ELb0EiNS0_19identity_decomposerEEEEE10hipError_tT0_T1_T2_jT3_P12ihipStream_tbPNSt15iterator_traitsISG_E10value_typeEPNSM_ISH_E10value_typeEPSI_NS1_7vsmem_tEENKUlT_SG_SH_SI_E_clIS7_S7_SB_PlEESF_SV_SG_SH_SI_EUlSV_E0_NS1_11comp_targetILNS1_3genE5ELNS1_11target_archE942ELNS1_3gpuE9ELNS1_3repE0EEENS1_38merge_mergepath_config_static_selectorELNS0_4arch9wavefront6targetE1EEEvSH_
	.p2align	8
	.type	_ZN7rocprim17ROCPRIM_400000_NS6detail17trampoline_kernelINS0_14default_configENS1_38merge_sort_block_merge_config_selectorIilEEZZNS1_27merge_sort_block_merge_implIS3_PiN6thrust23THRUST_200600_302600_NS10device_ptrIlEEjNS1_19radix_merge_compareILb0ELb0EiNS0_19identity_decomposerEEEEE10hipError_tT0_T1_T2_jT3_P12ihipStream_tbPNSt15iterator_traitsISG_E10value_typeEPNSM_ISH_E10value_typeEPSI_NS1_7vsmem_tEENKUlT_SG_SH_SI_E_clIS7_S7_SB_PlEESF_SV_SG_SH_SI_EUlSV_E0_NS1_11comp_targetILNS1_3genE5ELNS1_11target_archE942ELNS1_3gpuE9ELNS1_3repE0EEENS1_38merge_mergepath_config_static_selectorELNS0_4arch9wavefront6targetE1EEEvSH_,@function
_ZN7rocprim17ROCPRIM_400000_NS6detail17trampoline_kernelINS0_14default_configENS1_38merge_sort_block_merge_config_selectorIilEEZZNS1_27merge_sort_block_merge_implIS3_PiN6thrust23THRUST_200600_302600_NS10device_ptrIlEEjNS1_19radix_merge_compareILb0ELb0EiNS0_19identity_decomposerEEEEE10hipError_tT0_T1_T2_jT3_P12ihipStream_tbPNSt15iterator_traitsISG_E10value_typeEPNSM_ISH_E10value_typeEPSI_NS1_7vsmem_tEENKUlT_SG_SH_SI_E_clIS7_S7_SB_PlEESF_SV_SG_SH_SI_EUlSV_E0_NS1_11comp_targetILNS1_3genE5ELNS1_11target_archE942ELNS1_3gpuE9ELNS1_3repE0EEENS1_38merge_mergepath_config_static_selectorELNS0_4arch9wavefront6targetE1EEEvSH_: ; @_ZN7rocprim17ROCPRIM_400000_NS6detail17trampoline_kernelINS0_14default_configENS1_38merge_sort_block_merge_config_selectorIilEEZZNS1_27merge_sort_block_merge_implIS3_PiN6thrust23THRUST_200600_302600_NS10device_ptrIlEEjNS1_19radix_merge_compareILb0ELb0EiNS0_19identity_decomposerEEEEE10hipError_tT0_T1_T2_jT3_P12ihipStream_tbPNSt15iterator_traitsISG_E10value_typeEPNSM_ISH_E10value_typeEPSI_NS1_7vsmem_tEENKUlT_SG_SH_SI_E_clIS7_S7_SB_PlEESF_SV_SG_SH_SI_EUlSV_E0_NS1_11comp_targetILNS1_3genE5ELNS1_11target_archE942ELNS1_3gpuE9ELNS1_3repE0EEENS1_38merge_mergepath_config_static_selectorELNS0_4arch9wavefront6targetE1EEEvSH_
; %bb.0:
	.section	.rodata,"a",@progbits
	.p2align	6, 0x0
	.amdhsa_kernel _ZN7rocprim17ROCPRIM_400000_NS6detail17trampoline_kernelINS0_14default_configENS1_38merge_sort_block_merge_config_selectorIilEEZZNS1_27merge_sort_block_merge_implIS3_PiN6thrust23THRUST_200600_302600_NS10device_ptrIlEEjNS1_19radix_merge_compareILb0ELb0EiNS0_19identity_decomposerEEEEE10hipError_tT0_T1_T2_jT3_P12ihipStream_tbPNSt15iterator_traitsISG_E10value_typeEPNSM_ISH_E10value_typeEPSI_NS1_7vsmem_tEENKUlT_SG_SH_SI_E_clIS7_S7_SB_PlEESF_SV_SG_SH_SI_EUlSV_E0_NS1_11comp_targetILNS1_3genE5ELNS1_11target_archE942ELNS1_3gpuE9ELNS1_3repE0EEENS1_38merge_mergepath_config_static_selectorELNS0_4arch9wavefront6targetE1EEEvSH_
		.amdhsa_group_segment_fixed_size 0
		.amdhsa_private_segment_fixed_size 0
		.amdhsa_kernarg_size 64
		.amdhsa_user_sgpr_count 6
		.amdhsa_user_sgpr_private_segment_buffer 1
		.amdhsa_user_sgpr_dispatch_ptr 0
		.amdhsa_user_sgpr_queue_ptr 0
		.amdhsa_user_sgpr_kernarg_segment_ptr 1
		.amdhsa_user_sgpr_dispatch_id 0
		.amdhsa_user_sgpr_flat_scratch_init 0
		.amdhsa_user_sgpr_kernarg_preload_length 0
		.amdhsa_user_sgpr_kernarg_preload_offset 0
		.amdhsa_user_sgpr_private_segment_size 0
		.amdhsa_uses_dynamic_stack 0
		.amdhsa_system_sgpr_private_segment_wavefront_offset 0
		.amdhsa_system_sgpr_workgroup_id_x 1
		.amdhsa_system_sgpr_workgroup_id_y 0
		.amdhsa_system_sgpr_workgroup_id_z 0
		.amdhsa_system_sgpr_workgroup_info 0
		.amdhsa_system_vgpr_workitem_id 0
		.amdhsa_next_free_vgpr 1
		.amdhsa_next_free_sgpr 0
		.amdhsa_accum_offset 4
		.amdhsa_reserve_vcc 0
		.amdhsa_reserve_flat_scratch 0
		.amdhsa_float_round_mode_32 0
		.amdhsa_float_round_mode_16_64 0
		.amdhsa_float_denorm_mode_32 3
		.amdhsa_float_denorm_mode_16_64 3
		.amdhsa_dx10_clamp 1
		.amdhsa_ieee_mode 1
		.amdhsa_fp16_overflow 0
		.amdhsa_tg_split 0
		.amdhsa_exception_fp_ieee_invalid_op 0
		.amdhsa_exception_fp_denorm_src 0
		.amdhsa_exception_fp_ieee_div_zero 0
		.amdhsa_exception_fp_ieee_overflow 0
		.amdhsa_exception_fp_ieee_underflow 0
		.amdhsa_exception_fp_ieee_inexact 0
		.amdhsa_exception_int_div_zero 0
	.end_amdhsa_kernel
	.section	.text._ZN7rocprim17ROCPRIM_400000_NS6detail17trampoline_kernelINS0_14default_configENS1_38merge_sort_block_merge_config_selectorIilEEZZNS1_27merge_sort_block_merge_implIS3_PiN6thrust23THRUST_200600_302600_NS10device_ptrIlEEjNS1_19radix_merge_compareILb0ELb0EiNS0_19identity_decomposerEEEEE10hipError_tT0_T1_T2_jT3_P12ihipStream_tbPNSt15iterator_traitsISG_E10value_typeEPNSM_ISH_E10value_typeEPSI_NS1_7vsmem_tEENKUlT_SG_SH_SI_E_clIS7_S7_SB_PlEESF_SV_SG_SH_SI_EUlSV_E0_NS1_11comp_targetILNS1_3genE5ELNS1_11target_archE942ELNS1_3gpuE9ELNS1_3repE0EEENS1_38merge_mergepath_config_static_selectorELNS0_4arch9wavefront6targetE1EEEvSH_,"axG",@progbits,_ZN7rocprim17ROCPRIM_400000_NS6detail17trampoline_kernelINS0_14default_configENS1_38merge_sort_block_merge_config_selectorIilEEZZNS1_27merge_sort_block_merge_implIS3_PiN6thrust23THRUST_200600_302600_NS10device_ptrIlEEjNS1_19radix_merge_compareILb0ELb0EiNS0_19identity_decomposerEEEEE10hipError_tT0_T1_T2_jT3_P12ihipStream_tbPNSt15iterator_traitsISG_E10value_typeEPNSM_ISH_E10value_typeEPSI_NS1_7vsmem_tEENKUlT_SG_SH_SI_E_clIS7_S7_SB_PlEESF_SV_SG_SH_SI_EUlSV_E0_NS1_11comp_targetILNS1_3genE5ELNS1_11target_archE942ELNS1_3gpuE9ELNS1_3repE0EEENS1_38merge_mergepath_config_static_selectorELNS0_4arch9wavefront6targetE1EEEvSH_,comdat
.Lfunc_end778:
	.size	_ZN7rocprim17ROCPRIM_400000_NS6detail17trampoline_kernelINS0_14default_configENS1_38merge_sort_block_merge_config_selectorIilEEZZNS1_27merge_sort_block_merge_implIS3_PiN6thrust23THRUST_200600_302600_NS10device_ptrIlEEjNS1_19radix_merge_compareILb0ELb0EiNS0_19identity_decomposerEEEEE10hipError_tT0_T1_T2_jT3_P12ihipStream_tbPNSt15iterator_traitsISG_E10value_typeEPNSM_ISH_E10value_typeEPSI_NS1_7vsmem_tEENKUlT_SG_SH_SI_E_clIS7_S7_SB_PlEESF_SV_SG_SH_SI_EUlSV_E0_NS1_11comp_targetILNS1_3genE5ELNS1_11target_archE942ELNS1_3gpuE9ELNS1_3repE0EEENS1_38merge_mergepath_config_static_selectorELNS0_4arch9wavefront6targetE1EEEvSH_, .Lfunc_end778-_ZN7rocprim17ROCPRIM_400000_NS6detail17trampoline_kernelINS0_14default_configENS1_38merge_sort_block_merge_config_selectorIilEEZZNS1_27merge_sort_block_merge_implIS3_PiN6thrust23THRUST_200600_302600_NS10device_ptrIlEEjNS1_19radix_merge_compareILb0ELb0EiNS0_19identity_decomposerEEEEE10hipError_tT0_T1_T2_jT3_P12ihipStream_tbPNSt15iterator_traitsISG_E10value_typeEPNSM_ISH_E10value_typeEPSI_NS1_7vsmem_tEENKUlT_SG_SH_SI_E_clIS7_S7_SB_PlEESF_SV_SG_SH_SI_EUlSV_E0_NS1_11comp_targetILNS1_3genE5ELNS1_11target_archE942ELNS1_3gpuE9ELNS1_3repE0EEENS1_38merge_mergepath_config_static_selectorELNS0_4arch9wavefront6targetE1EEEvSH_
                                        ; -- End function
	.section	.AMDGPU.csdata,"",@progbits
; Kernel info:
; codeLenInByte = 0
; NumSgprs: 4
; NumVgprs: 0
; NumAgprs: 0
; TotalNumVgprs: 0
; ScratchSize: 0
; MemoryBound: 0
; FloatMode: 240
; IeeeMode: 1
; LDSByteSize: 0 bytes/workgroup (compile time only)
; SGPRBlocks: 0
; VGPRBlocks: 0
; NumSGPRsForWavesPerEU: 4
; NumVGPRsForWavesPerEU: 1
; AccumOffset: 4
; Occupancy: 8
; WaveLimiterHint : 0
; COMPUTE_PGM_RSRC2:SCRATCH_EN: 0
; COMPUTE_PGM_RSRC2:USER_SGPR: 6
; COMPUTE_PGM_RSRC2:TRAP_HANDLER: 0
; COMPUTE_PGM_RSRC2:TGID_X_EN: 1
; COMPUTE_PGM_RSRC2:TGID_Y_EN: 0
; COMPUTE_PGM_RSRC2:TGID_Z_EN: 0
; COMPUTE_PGM_RSRC2:TIDIG_COMP_CNT: 0
; COMPUTE_PGM_RSRC3_GFX90A:ACCUM_OFFSET: 0
; COMPUTE_PGM_RSRC3_GFX90A:TG_SPLIT: 0
	.section	.text._ZN7rocprim17ROCPRIM_400000_NS6detail17trampoline_kernelINS0_14default_configENS1_38merge_sort_block_merge_config_selectorIilEEZZNS1_27merge_sort_block_merge_implIS3_PiN6thrust23THRUST_200600_302600_NS10device_ptrIlEEjNS1_19radix_merge_compareILb0ELb0EiNS0_19identity_decomposerEEEEE10hipError_tT0_T1_T2_jT3_P12ihipStream_tbPNSt15iterator_traitsISG_E10value_typeEPNSM_ISH_E10value_typeEPSI_NS1_7vsmem_tEENKUlT_SG_SH_SI_E_clIS7_S7_SB_PlEESF_SV_SG_SH_SI_EUlSV_E0_NS1_11comp_targetILNS1_3genE4ELNS1_11target_archE910ELNS1_3gpuE8ELNS1_3repE0EEENS1_38merge_mergepath_config_static_selectorELNS0_4arch9wavefront6targetE1EEEvSH_,"axG",@progbits,_ZN7rocprim17ROCPRIM_400000_NS6detail17trampoline_kernelINS0_14default_configENS1_38merge_sort_block_merge_config_selectorIilEEZZNS1_27merge_sort_block_merge_implIS3_PiN6thrust23THRUST_200600_302600_NS10device_ptrIlEEjNS1_19radix_merge_compareILb0ELb0EiNS0_19identity_decomposerEEEEE10hipError_tT0_T1_T2_jT3_P12ihipStream_tbPNSt15iterator_traitsISG_E10value_typeEPNSM_ISH_E10value_typeEPSI_NS1_7vsmem_tEENKUlT_SG_SH_SI_E_clIS7_S7_SB_PlEESF_SV_SG_SH_SI_EUlSV_E0_NS1_11comp_targetILNS1_3genE4ELNS1_11target_archE910ELNS1_3gpuE8ELNS1_3repE0EEENS1_38merge_mergepath_config_static_selectorELNS0_4arch9wavefront6targetE1EEEvSH_,comdat
	.protected	_ZN7rocprim17ROCPRIM_400000_NS6detail17trampoline_kernelINS0_14default_configENS1_38merge_sort_block_merge_config_selectorIilEEZZNS1_27merge_sort_block_merge_implIS3_PiN6thrust23THRUST_200600_302600_NS10device_ptrIlEEjNS1_19radix_merge_compareILb0ELb0EiNS0_19identity_decomposerEEEEE10hipError_tT0_T1_T2_jT3_P12ihipStream_tbPNSt15iterator_traitsISG_E10value_typeEPNSM_ISH_E10value_typeEPSI_NS1_7vsmem_tEENKUlT_SG_SH_SI_E_clIS7_S7_SB_PlEESF_SV_SG_SH_SI_EUlSV_E0_NS1_11comp_targetILNS1_3genE4ELNS1_11target_archE910ELNS1_3gpuE8ELNS1_3repE0EEENS1_38merge_mergepath_config_static_selectorELNS0_4arch9wavefront6targetE1EEEvSH_ ; -- Begin function _ZN7rocprim17ROCPRIM_400000_NS6detail17trampoline_kernelINS0_14default_configENS1_38merge_sort_block_merge_config_selectorIilEEZZNS1_27merge_sort_block_merge_implIS3_PiN6thrust23THRUST_200600_302600_NS10device_ptrIlEEjNS1_19radix_merge_compareILb0ELb0EiNS0_19identity_decomposerEEEEE10hipError_tT0_T1_T2_jT3_P12ihipStream_tbPNSt15iterator_traitsISG_E10value_typeEPNSM_ISH_E10value_typeEPSI_NS1_7vsmem_tEENKUlT_SG_SH_SI_E_clIS7_S7_SB_PlEESF_SV_SG_SH_SI_EUlSV_E0_NS1_11comp_targetILNS1_3genE4ELNS1_11target_archE910ELNS1_3gpuE8ELNS1_3repE0EEENS1_38merge_mergepath_config_static_selectorELNS0_4arch9wavefront6targetE1EEEvSH_
	.globl	_ZN7rocprim17ROCPRIM_400000_NS6detail17trampoline_kernelINS0_14default_configENS1_38merge_sort_block_merge_config_selectorIilEEZZNS1_27merge_sort_block_merge_implIS3_PiN6thrust23THRUST_200600_302600_NS10device_ptrIlEEjNS1_19radix_merge_compareILb0ELb0EiNS0_19identity_decomposerEEEEE10hipError_tT0_T1_T2_jT3_P12ihipStream_tbPNSt15iterator_traitsISG_E10value_typeEPNSM_ISH_E10value_typeEPSI_NS1_7vsmem_tEENKUlT_SG_SH_SI_E_clIS7_S7_SB_PlEESF_SV_SG_SH_SI_EUlSV_E0_NS1_11comp_targetILNS1_3genE4ELNS1_11target_archE910ELNS1_3gpuE8ELNS1_3repE0EEENS1_38merge_mergepath_config_static_selectorELNS0_4arch9wavefront6targetE1EEEvSH_
	.p2align	8
	.type	_ZN7rocprim17ROCPRIM_400000_NS6detail17trampoline_kernelINS0_14default_configENS1_38merge_sort_block_merge_config_selectorIilEEZZNS1_27merge_sort_block_merge_implIS3_PiN6thrust23THRUST_200600_302600_NS10device_ptrIlEEjNS1_19radix_merge_compareILb0ELb0EiNS0_19identity_decomposerEEEEE10hipError_tT0_T1_T2_jT3_P12ihipStream_tbPNSt15iterator_traitsISG_E10value_typeEPNSM_ISH_E10value_typeEPSI_NS1_7vsmem_tEENKUlT_SG_SH_SI_E_clIS7_S7_SB_PlEESF_SV_SG_SH_SI_EUlSV_E0_NS1_11comp_targetILNS1_3genE4ELNS1_11target_archE910ELNS1_3gpuE8ELNS1_3repE0EEENS1_38merge_mergepath_config_static_selectorELNS0_4arch9wavefront6targetE1EEEvSH_,@function
_ZN7rocprim17ROCPRIM_400000_NS6detail17trampoline_kernelINS0_14default_configENS1_38merge_sort_block_merge_config_selectorIilEEZZNS1_27merge_sort_block_merge_implIS3_PiN6thrust23THRUST_200600_302600_NS10device_ptrIlEEjNS1_19radix_merge_compareILb0ELb0EiNS0_19identity_decomposerEEEEE10hipError_tT0_T1_T2_jT3_P12ihipStream_tbPNSt15iterator_traitsISG_E10value_typeEPNSM_ISH_E10value_typeEPSI_NS1_7vsmem_tEENKUlT_SG_SH_SI_E_clIS7_S7_SB_PlEESF_SV_SG_SH_SI_EUlSV_E0_NS1_11comp_targetILNS1_3genE4ELNS1_11target_archE910ELNS1_3gpuE8ELNS1_3repE0EEENS1_38merge_mergepath_config_static_selectorELNS0_4arch9wavefront6targetE1EEEvSH_: ; @_ZN7rocprim17ROCPRIM_400000_NS6detail17trampoline_kernelINS0_14default_configENS1_38merge_sort_block_merge_config_selectorIilEEZZNS1_27merge_sort_block_merge_implIS3_PiN6thrust23THRUST_200600_302600_NS10device_ptrIlEEjNS1_19radix_merge_compareILb0ELb0EiNS0_19identity_decomposerEEEEE10hipError_tT0_T1_T2_jT3_P12ihipStream_tbPNSt15iterator_traitsISG_E10value_typeEPNSM_ISH_E10value_typeEPSI_NS1_7vsmem_tEENKUlT_SG_SH_SI_E_clIS7_S7_SB_PlEESF_SV_SG_SH_SI_EUlSV_E0_NS1_11comp_targetILNS1_3genE4ELNS1_11target_archE910ELNS1_3gpuE8ELNS1_3repE0EEENS1_38merge_mergepath_config_static_selectorELNS0_4arch9wavefront6targetE1EEEvSH_
; %bb.0:
	s_load_dwordx2 s[22:23], s[4:5], 0x40
	s_load_dword s2, s[4:5], 0x30
	s_add_u32 s0, s4, 64
	s_addc_u32 s1, s5, 0
	s_waitcnt lgkmcnt(0)
	s_mul_i32 s3, s23, s8
	s_add_i32 s3, s3, s7
	s_mul_i32 s3, s3, s22
	s_add_i32 s20, s3, s6
	s_cmp_ge_u32 s20, s2
	s_cbranch_scc1 .LBB779_46
; %bb.1:
	s_load_dwordx8 s[8:15], s[4:5], 0x10
	s_load_dwordx2 s[26:27], s[4:5], 0x8
	s_load_dwordx2 s[2:3], s[4:5], 0x38
	s_mov_b32 s21, 0
	v_mov_b32_e32 v3, 0
	s_waitcnt lgkmcnt(0)
	s_lshr_b32 s7, s14, 10
	s_cmp_lg_u32 s20, s7
	s_cselect_b64 s[18:19], -1, 0
	s_lshl_b64 s[4:5], s[20:21], 2
	s_add_u32 s2, s2, s4
	s_addc_u32 s3, s3, s5
	s_lshr_b32 s4, s15, 9
	s_and_b32 s4, s4, 0x7ffffe
	s_load_dwordx2 s[2:3], s[2:3], 0x0
	s_sub_i32 s5, 0, s4
	s_and_b32 s4, s20, s5
	s_lshl_b32 s17, s4, 10
	s_lshl_b32 s16, s20, 10
	;; [unrolled: 1-line block ×3, first 2 shown]
	s_sub_i32 s23, s16, s17
	s_add_i32 s24, s4, s15
	s_add_i32 s23, s24, s23
	s_waitcnt lgkmcnt(0)
	s_sub_i32 s4, s23, s2
	s_sub_i32 s23, s23, s3
	;; [unrolled: 1-line block ×3, first 2 shown]
	s_min_u32 s4, s14, s4
	s_addk_i32 s23, 0x400
	s_or_b32 s5, s20, s5
	s_min_u32 s24, s14, s17
	s_add_i32 s17, s17, s15
	s_cmp_eq_u32 s5, -1
	s_cselect_b32 s3, s24, s3
	s_cselect_b32 s5, s17, s23
	s_sub_i32 s15, s3, s2
	s_mov_b32 s3, s21
	s_min_u32 s17, s5, s14
	s_lshl_b64 s[24:25], s[2:3], 2
	s_add_u32 s24, s26, s24
	s_mov_b32 s5, s21
	s_addc_u32 s25, s27, s25
	s_lshl_b64 s[28:29], s[4:5], 2
	s_add_u32 s21, s26, s28
	s_addc_u32 s23, s27, s29
	s_cmp_lt_u32 s6, s22
	s_cselect_b32 s6, 12, 18
	global_load_dword v1, v3, s[0:1] offset:14
	s_add_u32 s0, s0, s6
	s_addc_u32 s1, s1, 0
	global_load_ushort v2, v3, s[0:1]
	s_cmp_eq_u32 s20, s7
	s_waitcnt vmcnt(1)
	v_lshrrev_b32_e32 v4, 16, v1
	v_and_b32_e32 v1, 0xffff, v1
	v_mul_lo_u32 v1, v1, v4
	s_waitcnt vmcnt(0)
	v_mul_lo_u32 v19, v1, v2
	v_add_u32_e32 v16, v19, v0
	v_lshlrev_b32_e32 v1, 2, v0
	v_add_u32_e32 v14, v16, v19
	s_cbranch_scc1 .LBB779_3
; %bb.2:
	v_mov_b32_e32 v2, s25
	v_add_co_u32_e32 v6, vcc, s24, v1
	v_addc_co_u32_e32 v7, vcc, 0, v2, vcc
	v_subrev_u32_e32 v2, s15, v0
	v_lshlrev_b64 v[4:5], 2, v[2:3]
	v_mov_b32_e32 v2, s23
	v_add_co_u32_e32 v4, vcc, s21, v4
	v_addc_co_u32_e32 v2, vcc, v2, v5, vcc
	v_cmp_gt_u32_e32 vcc, s15, v0
	v_cndmask_b32_e32 v5, v2, v7, vcc
	v_cndmask_b32_e32 v4, v4, v6, vcc
	v_mov_b32_e32 v17, v3
	global_load_dword v10, v[4:5], off
	v_lshlrev_b64 v[4:5], 2, v[16:17]
	v_mov_b32_e32 v2, s25
	v_add_co_u32_e32 v6, vcc, s24, v4
	v_addc_co_u32_e32 v7, vcc, v2, v5, vcc
	v_subrev_u32_e32 v2, s15, v16
	v_lshlrev_b64 v[4:5], 2, v[2:3]
	v_mov_b32_e32 v2, s23
	v_add_co_u32_e32 v4, vcc, s21, v4
	v_addc_co_u32_e32 v2, vcc, v2, v5, vcc
	v_cmp_gt_u32_e32 vcc, s15, v16
	v_cndmask_b32_e32 v5, v2, v7, vcc
	v_cndmask_b32_e32 v4, v4, v6, vcc
	v_mov_b32_e32 v15, v3
	global_load_dword v11, v[4:5], off
	v_lshlrev_b64 v[4:5], 2, v[14:15]
	v_mov_b32_e32 v2, s25
	v_add_co_u32_e32 v4, vcc, s24, v4
	v_addc_co_u32_e32 v5, vcc, v2, v5, vcc
	v_subrev_u32_e32 v2, s15, v14
	v_lshlrev_b64 v[2:3], 2, v[2:3]
	v_mov_b32_e32 v6, s23
	v_add_co_u32_e32 v2, vcc, s21, v2
	v_addc_co_u32_e32 v3, vcc, v6, v3, vcc
	v_cmp_gt_u32_e32 vcc, s15, v14
	v_cndmask_b32_e32 v3, v3, v5, vcc
	v_cndmask_b32_e32 v2, v2, v4, vcc
	global_load_dword v12, v[2:3], off
	v_add_u32_e32 v2, v14, v19
	s_mov_b64 s[0:1], -1
	s_sub_i32 s17, s17, s4
	s_cbranch_execz .LBB779_4
	s_branch .LBB779_9
.LBB779_3:
	s_mov_b64 s[0:1], 0
                                        ; implicit-def: $vgpr10_vgpr11_vgpr12_vgpr13
                                        ; implicit-def: $vgpr2
	s_sub_i32 s17, s17, s4
.LBB779_4:
	s_add_i32 s6, s17, s15
	v_cmp_gt_u32_e32 vcc, s6, v0
                                        ; implicit-def: $vgpr10_vgpr11_vgpr12_vgpr13
	s_and_saveexec_b64 s[0:1], vcc
	s_cbranch_execnz .LBB779_47
; %bb.5:
	s_or_b64 exec, exec, s[0:1]
	v_cmp_gt_u32_e32 vcc, s6, v16
	s_and_saveexec_b64 s[0:1], vcc
	s_cbranch_execnz .LBB779_48
.LBB779_6:
	s_or_b64 exec, exec, s[0:1]
	v_cmp_gt_u32_e32 vcc, s6, v14
	s_and_saveexec_b64 s[0:1], vcc
	s_cbranch_execz .LBB779_8
.LBB779_7:
	v_mov_b32_e32 v15, 0
	v_lshlrev_b64 v[2:3], 2, v[14:15]
	v_mov_b32_e32 v4, s25
	v_add_co_u32_e32 v5, vcc, s24, v2
	v_addc_co_u32_e32 v4, vcc, v4, v3, vcc
	v_subrev_u32_e32 v2, s15, v14
	v_mov_b32_e32 v3, v15
	v_lshlrev_b64 v[2:3], 2, v[2:3]
	v_mov_b32_e32 v6, s23
	v_add_co_u32_e32 v2, vcc, s21, v2
	v_addc_co_u32_e32 v3, vcc, v6, v3, vcc
	v_cmp_gt_u32_e32 vcc, s15, v14
	v_cndmask_b32_e32 v3, v3, v4, vcc
	v_cndmask_b32_e32 v2, v2, v5, vcc
	global_load_dword v12, v[2:3], off
.LBB779_8:
	s_or_b64 exec, exec, s[0:1]
	v_add_u32_e32 v2, v14, v19
	v_cmp_gt_u32_e64 s[0:1], s6, v2
.LBB779_9:
	s_and_saveexec_b64 s[6:7], s[0:1]
	s_cbranch_execz .LBB779_11
; %bb.10:
	v_mov_b32_e32 v3, 0
	v_lshlrev_b64 v[4:5], 2, v[2:3]
	v_mov_b32_e32 v6, s25
	v_add_co_u32_e32 v4, vcc, s24, v4
	v_addc_co_u32_e32 v5, vcc, v6, v5, vcc
	v_cmp_gt_u32_e32 vcc, s15, v2
	v_subrev_u32_e32 v2, s15, v2
	v_lshlrev_b64 v[2:3], 2, v[2:3]
	v_mov_b32_e32 v6, s23
	v_add_co_u32_e64 v2, s[0:1], s21, v2
	v_addc_co_u32_e64 v3, s[0:1], v6, v3, s[0:1]
	v_cndmask_b32_e32 v3, v3, v5, vcc
	v_cndmask_b32_e32 v2, v2, v4, vcc
	global_load_dword v13, v[2:3], off
.LBB779_11:
	s_or_b64 exec, exec, s[6:7]
	s_lshl_b64 s[0:1], s[2:3], 3
	s_add_u32 s6, s10, s0
	s_addc_u32 s7, s11, s1
	s_lshl_b64 s[0:1], s[4:5], 3
	s_add_u32 s4, s10, s0
	s_addc_u32 s5, s11, s1
	s_andn2_b64 vcc, exec, s[18:19]
	v_lshlrev_b32_e32 v20, 3, v0
	s_waitcnt vmcnt(0)
	ds_write2st64_b32 v1, v10, v11 offset1:4
	ds_write2st64_b32 v1, v12, v13 offset0:8 offset1:12
	s_cbranch_vccnz .LBB779_13
; %bb.12:
	v_subrev_u32_e32 v6, s15, v0
	v_mov_b32_e32 v7, 0
	v_lshlrev_b64 v[2:3], 3, v[6:7]
	v_mov_b32_e32 v4, s5
	v_add_co_u32_e32 v2, vcc, s4, v2
	v_addc_co_u32_e32 v3, vcc, v4, v3, vcc
	v_mov_b32_e32 v4, s7
	v_add_co_u32_e32 v5, vcc, s6, v20
	v_addc_co_u32_e32 v4, vcc, 0, v4, vcc
	v_cmp_gt_u32_e32 vcc, s15, v0
	v_subrev_u32_e32 v6, s15, v16
	v_cndmask_b32_e32 v3, v3, v4, vcc
	v_cndmask_b32_e32 v2, v2, v5, vcc
	v_lshlrev_b64 v[4:5], 3, v[6:7]
	v_mov_b32_e32 v6, s5
	v_add_co_u32_e32 v8, vcc, s4, v4
	v_mov_b32_e32 v17, v7
	v_addc_co_u32_e32 v6, vcc, v6, v5, vcc
	v_lshlrev_b64 v[4:5], 3, v[16:17]
	v_mov_b32_e32 v9, s7
	v_add_co_u32_e32 v4, vcc, s6, v4
	v_addc_co_u32_e32 v5, vcc, v9, v5, vcc
	v_cmp_gt_u32_e32 vcc, s15, v16
	v_cndmask_b32_e32 v5, v6, v5, vcc
	v_subrev_u32_e32 v6, s15, v14
	v_cndmask_b32_e32 v4, v8, v4, vcc
	v_lshlrev_b64 v[8:9], 3, v[6:7]
	v_mov_b32_e32 v6, s5
	v_add_co_u32_e32 v8, vcc, s4, v8
	v_mov_b32_e32 v15, v7
	v_addc_co_u32_e32 v9, vcc, v6, v9, vcc
	v_lshlrev_b64 v[6:7], 3, v[14:15]
	v_mov_b32_e32 v15, s7
	v_add_co_u32_e32 v6, vcc, s6, v6
	v_addc_co_u32_e32 v7, vcc, v15, v7, vcc
	v_cmp_gt_u32_e32 vcc, s15, v14
	v_cndmask_b32_e32 v7, v9, v7, vcc
	v_cndmask_b32_e32 v6, v8, v6, vcc
	global_load_dwordx2 v[2:3], v[2:3], off
	v_add_u32_e32 v18, v14, v19
	global_load_dwordx2 v[4:5], v[4:5], off
	s_add_i32 s10, s17, s15
	global_load_dwordx2 v[6:7], v[6:7], off
	s_mov_b64 s[0:1], -1
	s_cbranch_execz .LBB779_14
	s_branch .LBB779_19
.LBB779_13:
	s_mov_b64 s[0:1], 0
                                        ; implicit-def: $vgpr18
                                        ; implicit-def: $vgpr2_vgpr3_vgpr4_vgpr5_vgpr6_vgpr7_vgpr8_vgpr9
                                        ; implicit-def: $sgpr10
.LBB779_14:
	s_add_i32 s10, s17, s15
	v_cmp_gt_u32_e32 vcc, s10, v0
                                        ; implicit-def: $vgpr2_vgpr3_vgpr4_vgpr5_vgpr6_vgpr7_vgpr8_vgpr9
	s_and_saveexec_b64 s[0:1], vcc
	s_cbranch_execnz .LBB779_49
; %bb.15:
	s_or_b64 exec, exec, s[0:1]
	v_cmp_gt_u32_e32 vcc, s10, v16
	s_and_saveexec_b64 s[2:3], vcc
	s_cbranch_execnz .LBB779_50
.LBB779_16:
	s_or_b64 exec, exec, s[2:3]
	v_cmp_gt_u32_e32 vcc, s10, v14
	s_and_saveexec_b64 s[0:1], vcc
	s_cbranch_execz .LBB779_18
.LBB779_17:
	v_mov_b32_e32 v15, 0
	s_waitcnt vmcnt(0)
	v_lshlrev_b64 v[6:7], 3, v[14:15]
	v_mov_b32_e32 v16, s7
	v_add_co_u32_e32 v17, vcc, s6, v6
	v_addc_co_u32_e32 v16, vcc, v16, v7, vcc
	v_subrev_u32_e32 v6, s15, v14
	v_mov_b32_e32 v7, v15
	v_lshlrev_b64 v[6:7], 3, v[6:7]
	v_mov_b32_e32 v15, s5
	v_add_co_u32_e32 v6, vcc, s4, v6
	v_addc_co_u32_e32 v7, vcc, v15, v7, vcc
	v_cmp_gt_u32_e32 vcc, s15, v14
	v_cndmask_b32_e32 v7, v7, v16, vcc
	v_cndmask_b32_e32 v6, v6, v17, vcc
	global_load_dwordx2 v[6:7], v[6:7], off
.LBB779_18:
	s_or_b64 exec, exec, s[0:1]
	v_add_u32_e32 v18, v14, v19
	v_cmp_gt_u32_e64 s[0:1], s10, v18
.LBB779_19:
	v_mov_b32_e32 v14, s10
	s_and_saveexec_b64 s[2:3], s[0:1]
	s_cbranch_execz .LBB779_21
; %bb.20:
	v_subrev_u32_e32 v8, s15, v18
	v_mov_b32_e32 v9, 0
	v_lshlrev_b64 v[14:15], 3, v[8:9]
	v_mov_b32_e32 v8, s5
	v_add_co_u32_e32 v14, vcc, s4, v14
	v_mov_b32_e32 v19, v9
	v_addc_co_u32_e32 v15, vcc, v8, v15, vcc
	v_lshlrev_b64 v[8:9], 3, v[18:19]
	v_mov_b32_e32 v16, s7
	v_add_co_u32_e32 v8, vcc, s6, v8
	v_addc_co_u32_e32 v9, vcc, v16, v9, vcc
	v_cmp_gt_u32_e32 vcc, s15, v18
	v_cndmask_b32_e32 v9, v15, v9, vcc
	v_cndmask_b32_e32 v8, v14, v8, vcc
	global_load_dwordx2 v[8:9], v[8:9], off
	v_mov_b32_e32 v14, s10
.LBB779_21:
	s_or_b64 exec, exec, s[2:3]
	v_min_u32_e32 v16, v14, v1
	v_sub_u32_e64 v15, v16, s17 clamp
	v_min_u32_e32 v17, s15, v16
	v_cmp_lt_u32_e32 vcc, v15, v17
	s_waitcnt lgkmcnt(0)
	s_barrier
	s_and_saveexec_b64 s[0:1], vcc
	s_cbranch_execz .LBB779_25
; %bb.22:
	v_lshlrev_b32_e32 v18, 2, v16
	v_lshl_add_u32 v18, s15, 2, v18
	s_mov_b64 s[2:3], 0
.LBB779_23:                             ; =>This Inner Loop Header: Depth=1
	v_add_u32_e32 v19, v17, v15
	v_lshrrev_b32_e32 v19, 1, v19
	v_not_b32_e32 v21, v19
	v_lshlrev_b32_e32 v22, 2, v19
	v_lshl_add_u32 v21, v21, 2, v18
	ds_read_b32 v22, v22
	ds_read_b32 v21, v21
	v_add_u32_e32 v23, 1, v19
	s_waitcnt lgkmcnt(0)
	v_cmp_gt_i32_e32 vcc, v22, v21
	v_cndmask_b32_e32 v17, v17, v19, vcc
	v_cndmask_b32_e32 v15, v23, v15, vcc
	v_cmp_ge_u32_e32 vcc, v15, v17
	s_or_b64 s[2:3], vcc, s[2:3]
	s_andn2_b64 exec, exec, s[2:3]
	s_cbranch_execnz .LBB779_23
; %bb.24:
	s_or_b64 exec, exec, s[2:3]
.LBB779_25:
	s_or_b64 exec, exec, s[0:1]
	v_sub_u32_e32 v16, v16, v15
	v_add_u32_e32 v21, s15, v16
	v_cmp_ge_u32_e32 vcc, s15, v15
	v_cmp_le_u32_e64 s[0:1], v21, v14
	s_or_b64 s[0:1], vcc, s[0:1]
                                        ; implicit-def: $vgpr19
                                        ; implicit-def: $vgpr18
                                        ; implicit-def: $vgpr17
                                        ; implicit-def: $vgpr16
	s_and_saveexec_b64 s[10:11], s[0:1]
	s_cbranch_execz .LBB779_31
; %bb.26:
	v_cmp_gt_u32_e32 vcc, s15, v15
                                        ; implicit-def: $vgpr10
	s_and_saveexec_b64 s[0:1], vcc
	s_cbranch_execz .LBB779_28
; %bb.27:
	v_lshlrev_b32_e32 v10, 2, v15
	ds_read_b32 v10, v10
.LBB779_28:
	s_or_b64 exec, exec, s[0:1]
	v_cmp_ge_u32_e64 s[0:1], v21, v14
	v_cmp_lt_u32_e64 s[2:3], v21, v14
                                        ; implicit-def: $vgpr11
	s_and_saveexec_b64 s[4:5], s[2:3]
	s_cbranch_execz .LBB779_30
; %bb.29:
	v_lshlrev_b32_e32 v11, 2, v21
	ds_read_b32 v11, v11
.LBB779_30:
	s_or_b64 exec, exec, s[4:5]
	s_waitcnt lgkmcnt(0)
	v_cmp_le_i32_e64 s[2:3], v10, v11
	s_and_b64 s[2:3], vcc, s[2:3]
	s_or_b64 vcc, s[0:1], s[2:3]
	v_mov_b32_e32 v12, s15
	v_cndmask_b32_e32 v16, v21, v15, vcc
	v_cndmask_b32_e32 v13, v14, v12, vcc
	v_add_u32_e32 v17, 1, v16
	v_add_u32_e32 v13, -1, v13
	v_min_u32_e32 v13, v17, v13
	v_lshlrev_b32_e32 v13, 2, v13
	ds_read_b32 v13, v13
	v_cndmask_b32_e32 v15, v15, v17, vcc
	v_cndmask_b32_e32 v18, v17, v21, vcc
	v_cmp_gt_u32_e64 s[2:3], s15, v15
	v_cmp_ge_u32_e64 s[0:1], v18, v14
	s_waitcnt lgkmcnt(0)
	v_cndmask_b32_e32 v19, v13, v11, vcc
	v_cndmask_b32_e32 v13, v10, v13, vcc
	v_cmp_le_i32_e64 s[4:5], v13, v19
	s_and_b64 s[2:3], s[2:3], s[4:5]
	s_or_b64 s[0:1], s[0:1], s[2:3]
	v_cndmask_b32_e64 v17, v18, v15, s[0:1]
	v_cndmask_b32_e64 v21, v14, v12, s[0:1]
	v_add_u32_e32 v22, 1, v17
	v_add_u32_e32 v21, -1, v21
	v_min_u32_e32 v21, v22, v21
	v_lshlrev_b32_e32 v21, 2, v21
	ds_read_b32 v21, v21
	v_cndmask_b32_e64 v15, v15, v22, s[0:1]
	v_cndmask_b32_e64 v24, v22, v18, s[0:1]
	v_cmp_gt_u32_e64 s[4:5], s15, v15
	v_cmp_ge_u32_e64 s[2:3], v24, v14
	s_waitcnt lgkmcnt(0)
	v_cndmask_b32_e64 v23, v21, v19, s[0:1]
	v_cndmask_b32_e64 v21, v13, v21, s[0:1]
	v_cmp_le_i32_e64 s[6:7], v21, v23
	s_and_b64 s[4:5], s[4:5], s[6:7]
	s_or_b64 s[2:3], s[2:3], s[4:5]
	v_cndmask_b32_e64 v18, v24, v15, s[2:3]
	v_cndmask_b32_e64 v12, v14, v12, s[2:3]
	v_add_u32_e32 v22, 1, v18
	v_add_u32_e32 v12, -1, v12
	v_min_u32_e32 v12, v22, v12
	v_lshlrev_b32_e32 v12, 2, v12
	ds_read_b32 v25, v12
	v_cndmask_b32_e32 v10, v11, v10, vcc
	v_cndmask_b32_e64 v11, v19, v13, s[0:1]
	v_cndmask_b32_e64 v12, v23, v21, s[2:3]
	;; [unrolled: 1-line block ×3, first 2 shown]
	s_waitcnt lgkmcnt(0)
	v_cndmask_b32_e64 v13, v25, v23, s[2:3]
	v_cndmask_b32_e64 v21, v21, v25, s[2:3]
	;; [unrolled: 1-line block ×3, first 2 shown]
	v_cmp_gt_u32_e64 s[0:1], s15, v15
	v_cmp_le_i32_e64 s[2:3], v21, v13
	v_cmp_ge_u32_e32 vcc, v19, v14
	s_and_b64 s[0:1], s[0:1], s[2:3]
	s_or_b64 vcc, vcc, s[0:1]
	v_cndmask_b32_e32 v19, v19, v15, vcc
	v_cndmask_b32_e32 v13, v13, v21, vcc
.LBB779_31:
	s_or_b64 exec, exec, s[10:11]
	v_add_u32_e32 v24, v1, v1
	s_barrier
	s_waitcnt vmcnt(0)
	ds_write2st64_b64 v24, v[2:3], v[4:5] offset1:4
	ds_write2st64_b64 v24, v[6:7], v[8:9] offset0:8 offset1:12
	v_lshlrev_b32_e32 v2, 3, v16
	v_lshlrev_b32_e32 v3, 3, v17
	;; [unrolled: 1-line block ×4, first 2 shown]
	s_waitcnt lgkmcnt(0)
	s_barrier
	ds_read_b64 v[6:7], v2
	ds_read_b64 v[8:9], v3
	;; [unrolled: 1-line block ×4, first 2 shown]
	s_mov_b32 s17, 0
	s_lshl_b64 s[0:1], s[16:17], 2
	v_lshrrev_b32_e32 v14, 3, v0
	s_add_u32 s0, s8, s0
	v_add_u32_e32 v16, v14, v1
	s_addc_u32 s1, s9, s1
	v_lshlrev_b32_e32 v17, 2, v16
	s_waitcnt lgkmcnt(0)
	s_barrier
	s_barrier
	ds_write2_b32 v17, v10, v11 offset1:1
	ds_write2_b32 v17, v12, v13 offset0:2 offset1:3
	v_or_b32_e32 v23, 0x100, v0
	v_or_b32_e32 v22, 0x200, v0
	;; [unrolled: 1-line block ×3, first 2 shown]
	v_mov_b32_e32 v11, s1
	v_add_co_u32_e32 v10, vcc, s0, v1
	v_lshrrev_b32_e32 v14, 5, v0
	v_lshrrev_b32_e32 v12, 5, v23
	;; [unrolled: 1-line block ×4, first 2 shown]
	v_addc_co_u32_e32 v11, vcc, 0, v11, vcc
	v_lshl_add_u32 v15, v14, 2, v1
	v_lshl_add_u32 v25, v12, 2, v1
	;; [unrolled: 1-line block ×4, first 2 shown]
	s_and_b64 vcc, exec, s[18:19]
	v_lshl_add_u32 v1, v12, 3, v24
	v_lshl_add_u32 v18, v13, 3, v24
	;; [unrolled: 1-line block ×3, first 2 shown]
	s_waitcnt lgkmcnt(0)
	s_cbranch_vccz .LBB779_33
; %bb.32:
	s_barrier
	ds_read_b32 v12, v15
	ds_read_b32 v13, v25 offset:1024
	ds_read_b32 v28, v26 offset:2048
	;; [unrolled: 1-line block ×3, first 2 shown]
	s_lshl_b64 s[0:1], s[16:17], 3
	s_add_u32 s0, s12, s0
	s_waitcnt lgkmcnt(3)
	global_store_dword v[10:11], v12, off
	s_waitcnt lgkmcnt(2)
	global_store_dword v[10:11], v13, off offset:1024
	s_waitcnt lgkmcnt(1)
	global_store_dword v[10:11], v28, off offset:2048
	;; [unrolled: 2-line block ×3, first 2 shown]
	v_lshlrev_b32_e32 v12, 3, v16
	s_barrier
	ds_write2_b64 v12, v[6:7], v[8:9] offset1:1
	ds_write2_b64 v12, v[2:3], v[4:5] offset0:2 offset1:3
	v_lshl_add_u32 v12, v14, 3, v24
	s_addc_u32 s1, s13, s1
	s_waitcnt lgkmcnt(0)
	s_barrier
	ds_read_b64 v[28:29], v12
	ds_read_b64 v[30:31], v1 offset:2048
	ds_read_b64 v[32:33], v18 offset:4096
	;; [unrolled: 1-line block ×3, first 2 shown]
	v_mov_b32_e32 v24, s1
	v_add_co_u32_e32 v34, vcc, s0, v20
	v_addc_co_u32_e32 v24, vcc, 0, v24, vcc
	s_waitcnt lgkmcnt(3)
	global_store_dwordx2 v20, v[28:29], s[0:1]
	s_waitcnt lgkmcnt(2)
	global_store_dwordx2 v20, v[30:31], s[0:1] offset:2048
	v_add_co_u32_e32 v28, vcc, 0x1000, v34
	v_addc_co_u32_e32 v29, vcc, 0, v24, vcc
	s_waitcnt lgkmcnt(1)
	global_store_dwordx2 v[28:29], v[32:33], off
	s_mov_b64 s[6:7], -1
	s_cbranch_execz .LBB779_34
	s_branch .LBB779_44
.LBB779_33:
	s_mov_b64 s[6:7], 0
                                        ; implicit-def: $vgpr12_vgpr13
.LBB779_34:
	s_barrier
	s_waitcnt lgkmcnt(0)
	ds_read_b32 v24, v25 offset:1024
	ds_read_b32 v13, v26 offset:2048
	;; [unrolled: 1-line block ×3, first 2 shown]
	s_sub_i32 s6, s14, s16
	v_cmp_gt_u32_e32 vcc, s6, v0
	s_and_saveexec_b64 s[0:1], vcc
	s_cbranch_execnz .LBB779_51
; %bb.35:
	s_or_b64 exec, exec, s[0:1]
	v_cmp_gt_u32_e64 s[0:1], s6, v23
	s_and_saveexec_b64 s[2:3], s[0:1]
	s_cbranch_execnz .LBB779_52
.LBB779_36:
	s_or_b64 exec, exec, s[2:3]
	v_cmp_gt_u32_e64 s[2:3], s6, v22
	s_and_saveexec_b64 s[4:5], s[2:3]
	s_cbranch_execnz .LBB779_53
.LBB779_37:
	s_or_b64 exec, exec, s[4:5]
	v_cmp_gt_u32_e64 s[6:7], s6, v21
	s_and_saveexec_b64 s[4:5], s[6:7]
	s_cbranch_execz .LBB779_39
.LBB779_38:
	s_waitcnt lgkmcnt(0)
	global_store_dword v[10:11], v12, off offset:3072
.LBB779_39:
	s_or_b64 exec, exec, s[4:5]
	v_lshl_add_u32 v10, v16, 2, v17
	s_waitcnt lgkmcnt(0)
	s_barrier
	ds_write2_b64 v10, v[6:7], v[8:9] offset1:1
	ds_write2_b64 v10, v[2:3], v[4:5] offset0:2 offset1:3
	s_waitcnt lgkmcnt(0)
	s_barrier
	ds_read_b64 v[6:7], v1 offset:2048
	ds_read_b64 v[2:3], v18 offset:4096
	;; [unrolled: 1-line block ×3, first 2 shown]
	s_lshl_b64 s[4:5], s[16:17], 3
	s_add_u32 s4, s12, s4
	s_addc_u32 s5, s13, s5
	v_mov_b32_e32 v1, s5
	v_add_co_u32_e64 v4, s[4:5], s4, v20
	v_addc_co_u32_e64 v5, s[4:5], 0, v1, s[4:5]
	s_and_saveexec_b64 s[4:5], vcc
	s_cbranch_execnz .LBB779_54
; %bb.40:
	s_or_b64 exec, exec, s[4:5]
	s_and_saveexec_b64 s[4:5], s[0:1]
	s_cbranch_execnz .LBB779_55
.LBB779_41:
	s_or_b64 exec, exec, s[4:5]
	s_and_saveexec_b64 s[0:1], s[2:3]
	s_cbranch_execz .LBB779_43
.LBB779_42:
	v_add_co_u32_e32 v0, vcc, 0x1000, v4
	v_addc_co_u32_e32 v1, vcc, 0, v5, vcc
	s_waitcnt lgkmcnt(1)
	global_store_dwordx2 v[0:1], v[2:3], off
.LBB779_43:
	s_or_b64 exec, exec, s[0:1]
.LBB779_44:
	s_and_saveexec_b64 s[0:1], s[6:7]
	s_cbranch_execz .LBB779_46
; %bb.45:
	s_lshl_b64 s[0:1], s[16:17], 3
	s_add_u32 s0, s12, s0
	s_addc_u32 s1, s13, s1
	v_mov_b32_e32 v0, s1
	v_add_co_u32_e32 v1, vcc, s0, v20
	s_waitcnt lgkmcnt(1)
	v_addc_co_u32_e32 v2, vcc, 0, v0, vcc
	v_add_co_u32_e32 v0, vcc, 0x1000, v1
	v_addc_co_u32_e32 v1, vcc, 0, v2, vcc
	s_waitcnt lgkmcnt(0)
	global_store_dwordx2 v[0:1], v[12:13], off offset:2048
.LBB779_46:
	s_endpgm
.LBB779_47:
	v_mov_b32_e32 v2, s25
	v_add_co_u32_e32 v4, vcc, s24, v1
	v_mov_b32_e32 v3, 0
	v_addc_co_u32_e32 v5, vcc, 0, v2, vcc
	v_subrev_u32_e32 v2, s15, v0
	v_lshlrev_b64 v[2:3], 2, v[2:3]
	v_mov_b32_e32 v6, s23
	v_add_co_u32_e32 v2, vcc, s21, v2
	v_addc_co_u32_e32 v3, vcc, v6, v3, vcc
	v_cmp_gt_u32_e32 vcc, s15, v0
	v_cndmask_b32_e32 v3, v3, v5, vcc
	v_cndmask_b32_e32 v2, v2, v4, vcc
	global_load_dword v10, v[2:3], off
	s_or_b64 exec, exec, s[0:1]
	v_cmp_gt_u32_e32 vcc, s6, v16
	s_and_saveexec_b64 s[0:1], vcc
	s_cbranch_execz .LBB779_6
.LBB779_48:
	v_mov_b32_e32 v17, 0
	v_lshlrev_b64 v[2:3], 2, v[16:17]
	v_mov_b32_e32 v4, s25
	v_add_co_u32_e32 v5, vcc, s24, v2
	v_addc_co_u32_e32 v4, vcc, v4, v3, vcc
	v_subrev_u32_e32 v2, s15, v16
	v_mov_b32_e32 v3, v17
	v_lshlrev_b64 v[2:3], 2, v[2:3]
	v_mov_b32_e32 v6, s23
	v_add_co_u32_e32 v2, vcc, s21, v2
	v_addc_co_u32_e32 v3, vcc, v6, v3, vcc
	v_cmp_gt_u32_e32 vcc, s15, v16
	v_cndmask_b32_e32 v3, v3, v4, vcc
	v_cndmask_b32_e32 v2, v2, v5, vcc
	global_load_dword v11, v[2:3], off
	s_or_b64 exec, exec, s[0:1]
	v_cmp_gt_u32_e32 vcc, s6, v14
	s_and_saveexec_b64 s[0:1], vcc
	s_cbranch_execnz .LBB779_7
	s_branch .LBB779_8
.LBB779_49:
	s_waitcnt vmcnt(2)
	v_mov_b32_e32 v2, s7
	s_waitcnt vmcnt(1)
	v_add_co_u32_e32 v4, vcc, s6, v20
	v_mov_b32_e32 v3, 0
	v_addc_co_u32_e32 v5, vcc, 0, v2, vcc
	v_subrev_u32_e32 v2, s15, v0
	v_lshlrev_b64 v[2:3], 3, v[2:3]
	s_waitcnt vmcnt(0)
	v_mov_b32_e32 v6, s5
	v_add_co_u32_e32 v2, vcc, s4, v2
	v_addc_co_u32_e32 v3, vcc, v6, v3, vcc
	v_cmp_gt_u32_e32 vcc, s15, v0
	v_cndmask_b32_e32 v3, v3, v5, vcc
	v_cndmask_b32_e32 v2, v2, v4, vcc
	global_load_dwordx2 v[2:3], v[2:3], off
	s_or_b64 exec, exec, s[0:1]
	v_cmp_gt_u32_e32 vcc, s10, v16
	s_and_saveexec_b64 s[2:3], vcc
	s_cbranch_execz .LBB779_16
.LBB779_50:
	v_mov_b32_e32 v17, 0
	s_waitcnt vmcnt(1)
	v_lshlrev_b64 v[4:5], 3, v[16:17]
	v_mov_b32_e32 v15, s7
	v_add_co_u32_e32 v18, vcc, s6, v4
	v_addc_co_u32_e32 v15, vcc, v15, v5, vcc
	v_cmp_gt_u32_e32 vcc, s15, v16
	v_subrev_u32_e32 v16, s15, v16
	v_lshlrev_b64 v[4:5], 3, v[16:17]
	v_mov_b32_e32 v16, s5
	v_add_co_u32_e64 v4, s[0:1], s4, v4
	v_addc_co_u32_e64 v5, s[0:1], v16, v5, s[0:1]
	v_cndmask_b32_e32 v5, v5, v15, vcc
	v_cndmask_b32_e32 v4, v4, v18, vcc
	global_load_dwordx2 v[4:5], v[4:5], off
	s_or_b64 exec, exec, s[2:3]
	v_cmp_gt_u32_e32 vcc, s10, v14
	s_and_saveexec_b64 s[0:1], vcc
	s_cbranch_execnz .LBB779_17
	s_branch .LBB779_18
.LBB779_51:
	ds_read_b32 v25, v15
	s_waitcnt lgkmcnt(0)
	global_store_dword v[10:11], v25, off
	s_or_b64 exec, exec, s[0:1]
	v_cmp_gt_u32_e64 s[0:1], s6, v23
	s_and_saveexec_b64 s[2:3], s[0:1]
	s_cbranch_execz .LBB779_36
.LBB779_52:
	s_waitcnt lgkmcnt(2)
	global_store_dword v[10:11], v24, off offset:1024
	s_or_b64 exec, exec, s[2:3]
	v_cmp_gt_u32_e64 s[2:3], s6, v22
	s_and_saveexec_b64 s[4:5], s[2:3]
	s_cbranch_execz .LBB779_37
.LBB779_53:
	s_waitcnt lgkmcnt(1)
	global_store_dword v[10:11], v13, off offset:2048
	s_or_b64 exec, exec, s[4:5]
	v_cmp_gt_u32_e64 s[6:7], s6, v21
	s_and_saveexec_b64 s[4:5], s[6:7]
	s_cbranch_execnz .LBB779_38
	s_branch .LBB779_39
.LBB779_54:
	v_add_u32_e32 v0, v14, v0
	v_lshl_add_u32 v0, v0, 2, v15
	ds_read_b64 v[0:1], v0
	s_waitcnt lgkmcnt(0)
	global_store_dwordx2 v[4:5], v[0:1], off
	s_or_b64 exec, exec, s[4:5]
	s_and_saveexec_b64 s[4:5], s[0:1]
	s_cbranch_execz .LBB779_41
.LBB779_55:
	s_waitcnt lgkmcnt(2)
	global_store_dwordx2 v[4:5], v[6:7], off offset:2048
	s_or_b64 exec, exec, s[4:5]
	s_and_saveexec_b64 s[0:1], s[2:3]
	s_cbranch_execnz .LBB779_42
	s_branch .LBB779_43
	.section	.rodata,"a",@progbits
	.p2align	6, 0x0
	.amdhsa_kernel _ZN7rocprim17ROCPRIM_400000_NS6detail17trampoline_kernelINS0_14default_configENS1_38merge_sort_block_merge_config_selectorIilEEZZNS1_27merge_sort_block_merge_implIS3_PiN6thrust23THRUST_200600_302600_NS10device_ptrIlEEjNS1_19radix_merge_compareILb0ELb0EiNS0_19identity_decomposerEEEEE10hipError_tT0_T1_T2_jT3_P12ihipStream_tbPNSt15iterator_traitsISG_E10value_typeEPNSM_ISH_E10value_typeEPSI_NS1_7vsmem_tEENKUlT_SG_SH_SI_E_clIS7_S7_SB_PlEESF_SV_SG_SH_SI_EUlSV_E0_NS1_11comp_targetILNS1_3genE4ELNS1_11target_archE910ELNS1_3gpuE8ELNS1_3repE0EEENS1_38merge_mergepath_config_static_selectorELNS0_4arch9wavefront6targetE1EEEvSH_
		.amdhsa_group_segment_fixed_size 8448
		.amdhsa_private_segment_fixed_size 0
		.amdhsa_kernarg_size 320
		.amdhsa_user_sgpr_count 6
		.amdhsa_user_sgpr_private_segment_buffer 1
		.amdhsa_user_sgpr_dispatch_ptr 0
		.amdhsa_user_sgpr_queue_ptr 0
		.amdhsa_user_sgpr_kernarg_segment_ptr 1
		.amdhsa_user_sgpr_dispatch_id 0
		.amdhsa_user_sgpr_flat_scratch_init 0
		.amdhsa_user_sgpr_kernarg_preload_length 0
		.amdhsa_user_sgpr_kernarg_preload_offset 0
		.amdhsa_user_sgpr_private_segment_size 0
		.amdhsa_uses_dynamic_stack 0
		.amdhsa_system_sgpr_private_segment_wavefront_offset 0
		.amdhsa_system_sgpr_workgroup_id_x 1
		.amdhsa_system_sgpr_workgroup_id_y 1
		.amdhsa_system_sgpr_workgroup_id_z 1
		.amdhsa_system_sgpr_workgroup_info 0
		.amdhsa_system_vgpr_workitem_id 0
		.amdhsa_next_free_vgpr 35
		.amdhsa_next_free_sgpr 30
		.amdhsa_accum_offset 36
		.amdhsa_reserve_vcc 1
		.amdhsa_reserve_flat_scratch 0
		.amdhsa_float_round_mode_32 0
		.amdhsa_float_round_mode_16_64 0
		.amdhsa_float_denorm_mode_32 3
		.amdhsa_float_denorm_mode_16_64 3
		.amdhsa_dx10_clamp 1
		.amdhsa_ieee_mode 1
		.amdhsa_fp16_overflow 0
		.amdhsa_tg_split 0
		.amdhsa_exception_fp_ieee_invalid_op 0
		.amdhsa_exception_fp_denorm_src 0
		.amdhsa_exception_fp_ieee_div_zero 0
		.amdhsa_exception_fp_ieee_overflow 0
		.amdhsa_exception_fp_ieee_underflow 0
		.amdhsa_exception_fp_ieee_inexact 0
		.amdhsa_exception_int_div_zero 0
	.end_amdhsa_kernel
	.section	.text._ZN7rocprim17ROCPRIM_400000_NS6detail17trampoline_kernelINS0_14default_configENS1_38merge_sort_block_merge_config_selectorIilEEZZNS1_27merge_sort_block_merge_implIS3_PiN6thrust23THRUST_200600_302600_NS10device_ptrIlEEjNS1_19radix_merge_compareILb0ELb0EiNS0_19identity_decomposerEEEEE10hipError_tT0_T1_T2_jT3_P12ihipStream_tbPNSt15iterator_traitsISG_E10value_typeEPNSM_ISH_E10value_typeEPSI_NS1_7vsmem_tEENKUlT_SG_SH_SI_E_clIS7_S7_SB_PlEESF_SV_SG_SH_SI_EUlSV_E0_NS1_11comp_targetILNS1_3genE4ELNS1_11target_archE910ELNS1_3gpuE8ELNS1_3repE0EEENS1_38merge_mergepath_config_static_selectorELNS0_4arch9wavefront6targetE1EEEvSH_,"axG",@progbits,_ZN7rocprim17ROCPRIM_400000_NS6detail17trampoline_kernelINS0_14default_configENS1_38merge_sort_block_merge_config_selectorIilEEZZNS1_27merge_sort_block_merge_implIS3_PiN6thrust23THRUST_200600_302600_NS10device_ptrIlEEjNS1_19radix_merge_compareILb0ELb0EiNS0_19identity_decomposerEEEEE10hipError_tT0_T1_T2_jT3_P12ihipStream_tbPNSt15iterator_traitsISG_E10value_typeEPNSM_ISH_E10value_typeEPSI_NS1_7vsmem_tEENKUlT_SG_SH_SI_E_clIS7_S7_SB_PlEESF_SV_SG_SH_SI_EUlSV_E0_NS1_11comp_targetILNS1_3genE4ELNS1_11target_archE910ELNS1_3gpuE8ELNS1_3repE0EEENS1_38merge_mergepath_config_static_selectorELNS0_4arch9wavefront6targetE1EEEvSH_,comdat
.Lfunc_end779:
	.size	_ZN7rocprim17ROCPRIM_400000_NS6detail17trampoline_kernelINS0_14default_configENS1_38merge_sort_block_merge_config_selectorIilEEZZNS1_27merge_sort_block_merge_implIS3_PiN6thrust23THRUST_200600_302600_NS10device_ptrIlEEjNS1_19radix_merge_compareILb0ELb0EiNS0_19identity_decomposerEEEEE10hipError_tT0_T1_T2_jT3_P12ihipStream_tbPNSt15iterator_traitsISG_E10value_typeEPNSM_ISH_E10value_typeEPSI_NS1_7vsmem_tEENKUlT_SG_SH_SI_E_clIS7_S7_SB_PlEESF_SV_SG_SH_SI_EUlSV_E0_NS1_11comp_targetILNS1_3genE4ELNS1_11target_archE910ELNS1_3gpuE8ELNS1_3repE0EEENS1_38merge_mergepath_config_static_selectorELNS0_4arch9wavefront6targetE1EEEvSH_, .Lfunc_end779-_ZN7rocprim17ROCPRIM_400000_NS6detail17trampoline_kernelINS0_14default_configENS1_38merge_sort_block_merge_config_selectorIilEEZZNS1_27merge_sort_block_merge_implIS3_PiN6thrust23THRUST_200600_302600_NS10device_ptrIlEEjNS1_19radix_merge_compareILb0ELb0EiNS0_19identity_decomposerEEEEE10hipError_tT0_T1_T2_jT3_P12ihipStream_tbPNSt15iterator_traitsISG_E10value_typeEPNSM_ISH_E10value_typeEPSI_NS1_7vsmem_tEENKUlT_SG_SH_SI_E_clIS7_S7_SB_PlEESF_SV_SG_SH_SI_EUlSV_E0_NS1_11comp_targetILNS1_3genE4ELNS1_11target_archE910ELNS1_3gpuE8ELNS1_3repE0EEENS1_38merge_mergepath_config_static_selectorELNS0_4arch9wavefront6targetE1EEEvSH_
                                        ; -- End function
	.section	.AMDGPU.csdata,"",@progbits
; Kernel info:
; codeLenInByte = 3264
; NumSgprs: 34
; NumVgprs: 35
; NumAgprs: 0
; TotalNumVgprs: 35
; ScratchSize: 0
; MemoryBound: 0
; FloatMode: 240
; IeeeMode: 1
; LDSByteSize: 8448 bytes/workgroup (compile time only)
; SGPRBlocks: 4
; VGPRBlocks: 4
; NumSGPRsForWavesPerEU: 34
; NumVGPRsForWavesPerEU: 35
; AccumOffset: 36
; Occupancy: 7
; WaveLimiterHint : 1
; COMPUTE_PGM_RSRC2:SCRATCH_EN: 0
; COMPUTE_PGM_RSRC2:USER_SGPR: 6
; COMPUTE_PGM_RSRC2:TRAP_HANDLER: 0
; COMPUTE_PGM_RSRC2:TGID_X_EN: 1
; COMPUTE_PGM_RSRC2:TGID_Y_EN: 1
; COMPUTE_PGM_RSRC2:TGID_Z_EN: 1
; COMPUTE_PGM_RSRC2:TIDIG_COMP_CNT: 0
; COMPUTE_PGM_RSRC3_GFX90A:ACCUM_OFFSET: 8
; COMPUTE_PGM_RSRC3_GFX90A:TG_SPLIT: 0
	.section	.text._ZN7rocprim17ROCPRIM_400000_NS6detail17trampoline_kernelINS0_14default_configENS1_38merge_sort_block_merge_config_selectorIilEEZZNS1_27merge_sort_block_merge_implIS3_PiN6thrust23THRUST_200600_302600_NS10device_ptrIlEEjNS1_19radix_merge_compareILb0ELb0EiNS0_19identity_decomposerEEEEE10hipError_tT0_T1_T2_jT3_P12ihipStream_tbPNSt15iterator_traitsISG_E10value_typeEPNSM_ISH_E10value_typeEPSI_NS1_7vsmem_tEENKUlT_SG_SH_SI_E_clIS7_S7_SB_PlEESF_SV_SG_SH_SI_EUlSV_E0_NS1_11comp_targetILNS1_3genE3ELNS1_11target_archE908ELNS1_3gpuE7ELNS1_3repE0EEENS1_38merge_mergepath_config_static_selectorELNS0_4arch9wavefront6targetE1EEEvSH_,"axG",@progbits,_ZN7rocprim17ROCPRIM_400000_NS6detail17trampoline_kernelINS0_14default_configENS1_38merge_sort_block_merge_config_selectorIilEEZZNS1_27merge_sort_block_merge_implIS3_PiN6thrust23THRUST_200600_302600_NS10device_ptrIlEEjNS1_19radix_merge_compareILb0ELb0EiNS0_19identity_decomposerEEEEE10hipError_tT0_T1_T2_jT3_P12ihipStream_tbPNSt15iterator_traitsISG_E10value_typeEPNSM_ISH_E10value_typeEPSI_NS1_7vsmem_tEENKUlT_SG_SH_SI_E_clIS7_S7_SB_PlEESF_SV_SG_SH_SI_EUlSV_E0_NS1_11comp_targetILNS1_3genE3ELNS1_11target_archE908ELNS1_3gpuE7ELNS1_3repE0EEENS1_38merge_mergepath_config_static_selectorELNS0_4arch9wavefront6targetE1EEEvSH_,comdat
	.protected	_ZN7rocprim17ROCPRIM_400000_NS6detail17trampoline_kernelINS0_14default_configENS1_38merge_sort_block_merge_config_selectorIilEEZZNS1_27merge_sort_block_merge_implIS3_PiN6thrust23THRUST_200600_302600_NS10device_ptrIlEEjNS1_19radix_merge_compareILb0ELb0EiNS0_19identity_decomposerEEEEE10hipError_tT0_T1_T2_jT3_P12ihipStream_tbPNSt15iterator_traitsISG_E10value_typeEPNSM_ISH_E10value_typeEPSI_NS1_7vsmem_tEENKUlT_SG_SH_SI_E_clIS7_S7_SB_PlEESF_SV_SG_SH_SI_EUlSV_E0_NS1_11comp_targetILNS1_3genE3ELNS1_11target_archE908ELNS1_3gpuE7ELNS1_3repE0EEENS1_38merge_mergepath_config_static_selectorELNS0_4arch9wavefront6targetE1EEEvSH_ ; -- Begin function _ZN7rocprim17ROCPRIM_400000_NS6detail17trampoline_kernelINS0_14default_configENS1_38merge_sort_block_merge_config_selectorIilEEZZNS1_27merge_sort_block_merge_implIS3_PiN6thrust23THRUST_200600_302600_NS10device_ptrIlEEjNS1_19radix_merge_compareILb0ELb0EiNS0_19identity_decomposerEEEEE10hipError_tT0_T1_T2_jT3_P12ihipStream_tbPNSt15iterator_traitsISG_E10value_typeEPNSM_ISH_E10value_typeEPSI_NS1_7vsmem_tEENKUlT_SG_SH_SI_E_clIS7_S7_SB_PlEESF_SV_SG_SH_SI_EUlSV_E0_NS1_11comp_targetILNS1_3genE3ELNS1_11target_archE908ELNS1_3gpuE7ELNS1_3repE0EEENS1_38merge_mergepath_config_static_selectorELNS0_4arch9wavefront6targetE1EEEvSH_
	.globl	_ZN7rocprim17ROCPRIM_400000_NS6detail17trampoline_kernelINS0_14default_configENS1_38merge_sort_block_merge_config_selectorIilEEZZNS1_27merge_sort_block_merge_implIS3_PiN6thrust23THRUST_200600_302600_NS10device_ptrIlEEjNS1_19radix_merge_compareILb0ELb0EiNS0_19identity_decomposerEEEEE10hipError_tT0_T1_T2_jT3_P12ihipStream_tbPNSt15iterator_traitsISG_E10value_typeEPNSM_ISH_E10value_typeEPSI_NS1_7vsmem_tEENKUlT_SG_SH_SI_E_clIS7_S7_SB_PlEESF_SV_SG_SH_SI_EUlSV_E0_NS1_11comp_targetILNS1_3genE3ELNS1_11target_archE908ELNS1_3gpuE7ELNS1_3repE0EEENS1_38merge_mergepath_config_static_selectorELNS0_4arch9wavefront6targetE1EEEvSH_
	.p2align	8
	.type	_ZN7rocprim17ROCPRIM_400000_NS6detail17trampoline_kernelINS0_14default_configENS1_38merge_sort_block_merge_config_selectorIilEEZZNS1_27merge_sort_block_merge_implIS3_PiN6thrust23THRUST_200600_302600_NS10device_ptrIlEEjNS1_19radix_merge_compareILb0ELb0EiNS0_19identity_decomposerEEEEE10hipError_tT0_T1_T2_jT3_P12ihipStream_tbPNSt15iterator_traitsISG_E10value_typeEPNSM_ISH_E10value_typeEPSI_NS1_7vsmem_tEENKUlT_SG_SH_SI_E_clIS7_S7_SB_PlEESF_SV_SG_SH_SI_EUlSV_E0_NS1_11comp_targetILNS1_3genE3ELNS1_11target_archE908ELNS1_3gpuE7ELNS1_3repE0EEENS1_38merge_mergepath_config_static_selectorELNS0_4arch9wavefront6targetE1EEEvSH_,@function
_ZN7rocprim17ROCPRIM_400000_NS6detail17trampoline_kernelINS0_14default_configENS1_38merge_sort_block_merge_config_selectorIilEEZZNS1_27merge_sort_block_merge_implIS3_PiN6thrust23THRUST_200600_302600_NS10device_ptrIlEEjNS1_19radix_merge_compareILb0ELb0EiNS0_19identity_decomposerEEEEE10hipError_tT0_T1_T2_jT3_P12ihipStream_tbPNSt15iterator_traitsISG_E10value_typeEPNSM_ISH_E10value_typeEPSI_NS1_7vsmem_tEENKUlT_SG_SH_SI_E_clIS7_S7_SB_PlEESF_SV_SG_SH_SI_EUlSV_E0_NS1_11comp_targetILNS1_3genE3ELNS1_11target_archE908ELNS1_3gpuE7ELNS1_3repE0EEENS1_38merge_mergepath_config_static_selectorELNS0_4arch9wavefront6targetE1EEEvSH_: ; @_ZN7rocprim17ROCPRIM_400000_NS6detail17trampoline_kernelINS0_14default_configENS1_38merge_sort_block_merge_config_selectorIilEEZZNS1_27merge_sort_block_merge_implIS3_PiN6thrust23THRUST_200600_302600_NS10device_ptrIlEEjNS1_19radix_merge_compareILb0ELb0EiNS0_19identity_decomposerEEEEE10hipError_tT0_T1_T2_jT3_P12ihipStream_tbPNSt15iterator_traitsISG_E10value_typeEPNSM_ISH_E10value_typeEPSI_NS1_7vsmem_tEENKUlT_SG_SH_SI_E_clIS7_S7_SB_PlEESF_SV_SG_SH_SI_EUlSV_E0_NS1_11comp_targetILNS1_3genE3ELNS1_11target_archE908ELNS1_3gpuE7ELNS1_3repE0EEENS1_38merge_mergepath_config_static_selectorELNS0_4arch9wavefront6targetE1EEEvSH_
; %bb.0:
	.section	.rodata,"a",@progbits
	.p2align	6, 0x0
	.amdhsa_kernel _ZN7rocprim17ROCPRIM_400000_NS6detail17trampoline_kernelINS0_14default_configENS1_38merge_sort_block_merge_config_selectorIilEEZZNS1_27merge_sort_block_merge_implIS3_PiN6thrust23THRUST_200600_302600_NS10device_ptrIlEEjNS1_19radix_merge_compareILb0ELb0EiNS0_19identity_decomposerEEEEE10hipError_tT0_T1_T2_jT3_P12ihipStream_tbPNSt15iterator_traitsISG_E10value_typeEPNSM_ISH_E10value_typeEPSI_NS1_7vsmem_tEENKUlT_SG_SH_SI_E_clIS7_S7_SB_PlEESF_SV_SG_SH_SI_EUlSV_E0_NS1_11comp_targetILNS1_3genE3ELNS1_11target_archE908ELNS1_3gpuE7ELNS1_3repE0EEENS1_38merge_mergepath_config_static_selectorELNS0_4arch9wavefront6targetE1EEEvSH_
		.amdhsa_group_segment_fixed_size 0
		.amdhsa_private_segment_fixed_size 0
		.amdhsa_kernarg_size 64
		.amdhsa_user_sgpr_count 6
		.amdhsa_user_sgpr_private_segment_buffer 1
		.amdhsa_user_sgpr_dispatch_ptr 0
		.amdhsa_user_sgpr_queue_ptr 0
		.amdhsa_user_sgpr_kernarg_segment_ptr 1
		.amdhsa_user_sgpr_dispatch_id 0
		.amdhsa_user_sgpr_flat_scratch_init 0
		.amdhsa_user_sgpr_kernarg_preload_length 0
		.amdhsa_user_sgpr_kernarg_preload_offset 0
		.amdhsa_user_sgpr_private_segment_size 0
		.amdhsa_uses_dynamic_stack 0
		.amdhsa_system_sgpr_private_segment_wavefront_offset 0
		.amdhsa_system_sgpr_workgroup_id_x 1
		.amdhsa_system_sgpr_workgroup_id_y 0
		.amdhsa_system_sgpr_workgroup_id_z 0
		.amdhsa_system_sgpr_workgroup_info 0
		.amdhsa_system_vgpr_workitem_id 0
		.amdhsa_next_free_vgpr 1
		.amdhsa_next_free_sgpr 0
		.amdhsa_accum_offset 4
		.amdhsa_reserve_vcc 0
		.amdhsa_reserve_flat_scratch 0
		.amdhsa_float_round_mode_32 0
		.amdhsa_float_round_mode_16_64 0
		.amdhsa_float_denorm_mode_32 3
		.amdhsa_float_denorm_mode_16_64 3
		.amdhsa_dx10_clamp 1
		.amdhsa_ieee_mode 1
		.amdhsa_fp16_overflow 0
		.amdhsa_tg_split 0
		.amdhsa_exception_fp_ieee_invalid_op 0
		.amdhsa_exception_fp_denorm_src 0
		.amdhsa_exception_fp_ieee_div_zero 0
		.amdhsa_exception_fp_ieee_overflow 0
		.amdhsa_exception_fp_ieee_underflow 0
		.amdhsa_exception_fp_ieee_inexact 0
		.amdhsa_exception_int_div_zero 0
	.end_amdhsa_kernel
	.section	.text._ZN7rocprim17ROCPRIM_400000_NS6detail17trampoline_kernelINS0_14default_configENS1_38merge_sort_block_merge_config_selectorIilEEZZNS1_27merge_sort_block_merge_implIS3_PiN6thrust23THRUST_200600_302600_NS10device_ptrIlEEjNS1_19radix_merge_compareILb0ELb0EiNS0_19identity_decomposerEEEEE10hipError_tT0_T1_T2_jT3_P12ihipStream_tbPNSt15iterator_traitsISG_E10value_typeEPNSM_ISH_E10value_typeEPSI_NS1_7vsmem_tEENKUlT_SG_SH_SI_E_clIS7_S7_SB_PlEESF_SV_SG_SH_SI_EUlSV_E0_NS1_11comp_targetILNS1_3genE3ELNS1_11target_archE908ELNS1_3gpuE7ELNS1_3repE0EEENS1_38merge_mergepath_config_static_selectorELNS0_4arch9wavefront6targetE1EEEvSH_,"axG",@progbits,_ZN7rocprim17ROCPRIM_400000_NS6detail17trampoline_kernelINS0_14default_configENS1_38merge_sort_block_merge_config_selectorIilEEZZNS1_27merge_sort_block_merge_implIS3_PiN6thrust23THRUST_200600_302600_NS10device_ptrIlEEjNS1_19radix_merge_compareILb0ELb0EiNS0_19identity_decomposerEEEEE10hipError_tT0_T1_T2_jT3_P12ihipStream_tbPNSt15iterator_traitsISG_E10value_typeEPNSM_ISH_E10value_typeEPSI_NS1_7vsmem_tEENKUlT_SG_SH_SI_E_clIS7_S7_SB_PlEESF_SV_SG_SH_SI_EUlSV_E0_NS1_11comp_targetILNS1_3genE3ELNS1_11target_archE908ELNS1_3gpuE7ELNS1_3repE0EEENS1_38merge_mergepath_config_static_selectorELNS0_4arch9wavefront6targetE1EEEvSH_,comdat
.Lfunc_end780:
	.size	_ZN7rocprim17ROCPRIM_400000_NS6detail17trampoline_kernelINS0_14default_configENS1_38merge_sort_block_merge_config_selectorIilEEZZNS1_27merge_sort_block_merge_implIS3_PiN6thrust23THRUST_200600_302600_NS10device_ptrIlEEjNS1_19radix_merge_compareILb0ELb0EiNS0_19identity_decomposerEEEEE10hipError_tT0_T1_T2_jT3_P12ihipStream_tbPNSt15iterator_traitsISG_E10value_typeEPNSM_ISH_E10value_typeEPSI_NS1_7vsmem_tEENKUlT_SG_SH_SI_E_clIS7_S7_SB_PlEESF_SV_SG_SH_SI_EUlSV_E0_NS1_11comp_targetILNS1_3genE3ELNS1_11target_archE908ELNS1_3gpuE7ELNS1_3repE0EEENS1_38merge_mergepath_config_static_selectorELNS0_4arch9wavefront6targetE1EEEvSH_, .Lfunc_end780-_ZN7rocprim17ROCPRIM_400000_NS6detail17trampoline_kernelINS0_14default_configENS1_38merge_sort_block_merge_config_selectorIilEEZZNS1_27merge_sort_block_merge_implIS3_PiN6thrust23THRUST_200600_302600_NS10device_ptrIlEEjNS1_19radix_merge_compareILb0ELb0EiNS0_19identity_decomposerEEEEE10hipError_tT0_T1_T2_jT3_P12ihipStream_tbPNSt15iterator_traitsISG_E10value_typeEPNSM_ISH_E10value_typeEPSI_NS1_7vsmem_tEENKUlT_SG_SH_SI_E_clIS7_S7_SB_PlEESF_SV_SG_SH_SI_EUlSV_E0_NS1_11comp_targetILNS1_3genE3ELNS1_11target_archE908ELNS1_3gpuE7ELNS1_3repE0EEENS1_38merge_mergepath_config_static_selectorELNS0_4arch9wavefront6targetE1EEEvSH_
                                        ; -- End function
	.section	.AMDGPU.csdata,"",@progbits
; Kernel info:
; codeLenInByte = 0
; NumSgprs: 4
; NumVgprs: 0
; NumAgprs: 0
; TotalNumVgprs: 0
; ScratchSize: 0
; MemoryBound: 0
; FloatMode: 240
; IeeeMode: 1
; LDSByteSize: 0 bytes/workgroup (compile time only)
; SGPRBlocks: 0
; VGPRBlocks: 0
; NumSGPRsForWavesPerEU: 4
; NumVGPRsForWavesPerEU: 1
; AccumOffset: 4
; Occupancy: 8
; WaveLimiterHint : 0
; COMPUTE_PGM_RSRC2:SCRATCH_EN: 0
; COMPUTE_PGM_RSRC2:USER_SGPR: 6
; COMPUTE_PGM_RSRC2:TRAP_HANDLER: 0
; COMPUTE_PGM_RSRC2:TGID_X_EN: 1
; COMPUTE_PGM_RSRC2:TGID_Y_EN: 0
; COMPUTE_PGM_RSRC2:TGID_Z_EN: 0
; COMPUTE_PGM_RSRC2:TIDIG_COMP_CNT: 0
; COMPUTE_PGM_RSRC3_GFX90A:ACCUM_OFFSET: 0
; COMPUTE_PGM_RSRC3_GFX90A:TG_SPLIT: 0
	.section	.text._ZN7rocprim17ROCPRIM_400000_NS6detail17trampoline_kernelINS0_14default_configENS1_38merge_sort_block_merge_config_selectorIilEEZZNS1_27merge_sort_block_merge_implIS3_PiN6thrust23THRUST_200600_302600_NS10device_ptrIlEEjNS1_19radix_merge_compareILb0ELb0EiNS0_19identity_decomposerEEEEE10hipError_tT0_T1_T2_jT3_P12ihipStream_tbPNSt15iterator_traitsISG_E10value_typeEPNSM_ISH_E10value_typeEPSI_NS1_7vsmem_tEENKUlT_SG_SH_SI_E_clIS7_S7_SB_PlEESF_SV_SG_SH_SI_EUlSV_E0_NS1_11comp_targetILNS1_3genE2ELNS1_11target_archE906ELNS1_3gpuE6ELNS1_3repE0EEENS1_38merge_mergepath_config_static_selectorELNS0_4arch9wavefront6targetE1EEEvSH_,"axG",@progbits,_ZN7rocprim17ROCPRIM_400000_NS6detail17trampoline_kernelINS0_14default_configENS1_38merge_sort_block_merge_config_selectorIilEEZZNS1_27merge_sort_block_merge_implIS3_PiN6thrust23THRUST_200600_302600_NS10device_ptrIlEEjNS1_19radix_merge_compareILb0ELb0EiNS0_19identity_decomposerEEEEE10hipError_tT0_T1_T2_jT3_P12ihipStream_tbPNSt15iterator_traitsISG_E10value_typeEPNSM_ISH_E10value_typeEPSI_NS1_7vsmem_tEENKUlT_SG_SH_SI_E_clIS7_S7_SB_PlEESF_SV_SG_SH_SI_EUlSV_E0_NS1_11comp_targetILNS1_3genE2ELNS1_11target_archE906ELNS1_3gpuE6ELNS1_3repE0EEENS1_38merge_mergepath_config_static_selectorELNS0_4arch9wavefront6targetE1EEEvSH_,comdat
	.protected	_ZN7rocprim17ROCPRIM_400000_NS6detail17trampoline_kernelINS0_14default_configENS1_38merge_sort_block_merge_config_selectorIilEEZZNS1_27merge_sort_block_merge_implIS3_PiN6thrust23THRUST_200600_302600_NS10device_ptrIlEEjNS1_19radix_merge_compareILb0ELb0EiNS0_19identity_decomposerEEEEE10hipError_tT0_T1_T2_jT3_P12ihipStream_tbPNSt15iterator_traitsISG_E10value_typeEPNSM_ISH_E10value_typeEPSI_NS1_7vsmem_tEENKUlT_SG_SH_SI_E_clIS7_S7_SB_PlEESF_SV_SG_SH_SI_EUlSV_E0_NS1_11comp_targetILNS1_3genE2ELNS1_11target_archE906ELNS1_3gpuE6ELNS1_3repE0EEENS1_38merge_mergepath_config_static_selectorELNS0_4arch9wavefront6targetE1EEEvSH_ ; -- Begin function _ZN7rocprim17ROCPRIM_400000_NS6detail17trampoline_kernelINS0_14default_configENS1_38merge_sort_block_merge_config_selectorIilEEZZNS1_27merge_sort_block_merge_implIS3_PiN6thrust23THRUST_200600_302600_NS10device_ptrIlEEjNS1_19radix_merge_compareILb0ELb0EiNS0_19identity_decomposerEEEEE10hipError_tT0_T1_T2_jT3_P12ihipStream_tbPNSt15iterator_traitsISG_E10value_typeEPNSM_ISH_E10value_typeEPSI_NS1_7vsmem_tEENKUlT_SG_SH_SI_E_clIS7_S7_SB_PlEESF_SV_SG_SH_SI_EUlSV_E0_NS1_11comp_targetILNS1_3genE2ELNS1_11target_archE906ELNS1_3gpuE6ELNS1_3repE0EEENS1_38merge_mergepath_config_static_selectorELNS0_4arch9wavefront6targetE1EEEvSH_
	.globl	_ZN7rocprim17ROCPRIM_400000_NS6detail17trampoline_kernelINS0_14default_configENS1_38merge_sort_block_merge_config_selectorIilEEZZNS1_27merge_sort_block_merge_implIS3_PiN6thrust23THRUST_200600_302600_NS10device_ptrIlEEjNS1_19radix_merge_compareILb0ELb0EiNS0_19identity_decomposerEEEEE10hipError_tT0_T1_T2_jT3_P12ihipStream_tbPNSt15iterator_traitsISG_E10value_typeEPNSM_ISH_E10value_typeEPSI_NS1_7vsmem_tEENKUlT_SG_SH_SI_E_clIS7_S7_SB_PlEESF_SV_SG_SH_SI_EUlSV_E0_NS1_11comp_targetILNS1_3genE2ELNS1_11target_archE906ELNS1_3gpuE6ELNS1_3repE0EEENS1_38merge_mergepath_config_static_selectorELNS0_4arch9wavefront6targetE1EEEvSH_
	.p2align	8
	.type	_ZN7rocprim17ROCPRIM_400000_NS6detail17trampoline_kernelINS0_14default_configENS1_38merge_sort_block_merge_config_selectorIilEEZZNS1_27merge_sort_block_merge_implIS3_PiN6thrust23THRUST_200600_302600_NS10device_ptrIlEEjNS1_19radix_merge_compareILb0ELb0EiNS0_19identity_decomposerEEEEE10hipError_tT0_T1_T2_jT3_P12ihipStream_tbPNSt15iterator_traitsISG_E10value_typeEPNSM_ISH_E10value_typeEPSI_NS1_7vsmem_tEENKUlT_SG_SH_SI_E_clIS7_S7_SB_PlEESF_SV_SG_SH_SI_EUlSV_E0_NS1_11comp_targetILNS1_3genE2ELNS1_11target_archE906ELNS1_3gpuE6ELNS1_3repE0EEENS1_38merge_mergepath_config_static_selectorELNS0_4arch9wavefront6targetE1EEEvSH_,@function
_ZN7rocprim17ROCPRIM_400000_NS6detail17trampoline_kernelINS0_14default_configENS1_38merge_sort_block_merge_config_selectorIilEEZZNS1_27merge_sort_block_merge_implIS3_PiN6thrust23THRUST_200600_302600_NS10device_ptrIlEEjNS1_19radix_merge_compareILb0ELb0EiNS0_19identity_decomposerEEEEE10hipError_tT0_T1_T2_jT3_P12ihipStream_tbPNSt15iterator_traitsISG_E10value_typeEPNSM_ISH_E10value_typeEPSI_NS1_7vsmem_tEENKUlT_SG_SH_SI_E_clIS7_S7_SB_PlEESF_SV_SG_SH_SI_EUlSV_E0_NS1_11comp_targetILNS1_3genE2ELNS1_11target_archE906ELNS1_3gpuE6ELNS1_3repE0EEENS1_38merge_mergepath_config_static_selectorELNS0_4arch9wavefront6targetE1EEEvSH_: ; @_ZN7rocprim17ROCPRIM_400000_NS6detail17trampoline_kernelINS0_14default_configENS1_38merge_sort_block_merge_config_selectorIilEEZZNS1_27merge_sort_block_merge_implIS3_PiN6thrust23THRUST_200600_302600_NS10device_ptrIlEEjNS1_19radix_merge_compareILb0ELb0EiNS0_19identity_decomposerEEEEE10hipError_tT0_T1_T2_jT3_P12ihipStream_tbPNSt15iterator_traitsISG_E10value_typeEPNSM_ISH_E10value_typeEPSI_NS1_7vsmem_tEENKUlT_SG_SH_SI_E_clIS7_S7_SB_PlEESF_SV_SG_SH_SI_EUlSV_E0_NS1_11comp_targetILNS1_3genE2ELNS1_11target_archE906ELNS1_3gpuE6ELNS1_3repE0EEENS1_38merge_mergepath_config_static_selectorELNS0_4arch9wavefront6targetE1EEEvSH_
; %bb.0:
	.section	.rodata,"a",@progbits
	.p2align	6, 0x0
	.amdhsa_kernel _ZN7rocprim17ROCPRIM_400000_NS6detail17trampoline_kernelINS0_14default_configENS1_38merge_sort_block_merge_config_selectorIilEEZZNS1_27merge_sort_block_merge_implIS3_PiN6thrust23THRUST_200600_302600_NS10device_ptrIlEEjNS1_19radix_merge_compareILb0ELb0EiNS0_19identity_decomposerEEEEE10hipError_tT0_T1_T2_jT3_P12ihipStream_tbPNSt15iterator_traitsISG_E10value_typeEPNSM_ISH_E10value_typeEPSI_NS1_7vsmem_tEENKUlT_SG_SH_SI_E_clIS7_S7_SB_PlEESF_SV_SG_SH_SI_EUlSV_E0_NS1_11comp_targetILNS1_3genE2ELNS1_11target_archE906ELNS1_3gpuE6ELNS1_3repE0EEENS1_38merge_mergepath_config_static_selectorELNS0_4arch9wavefront6targetE1EEEvSH_
		.amdhsa_group_segment_fixed_size 0
		.amdhsa_private_segment_fixed_size 0
		.amdhsa_kernarg_size 64
		.amdhsa_user_sgpr_count 6
		.amdhsa_user_sgpr_private_segment_buffer 1
		.amdhsa_user_sgpr_dispatch_ptr 0
		.amdhsa_user_sgpr_queue_ptr 0
		.amdhsa_user_sgpr_kernarg_segment_ptr 1
		.amdhsa_user_sgpr_dispatch_id 0
		.amdhsa_user_sgpr_flat_scratch_init 0
		.amdhsa_user_sgpr_kernarg_preload_length 0
		.amdhsa_user_sgpr_kernarg_preload_offset 0
		.amdhsa_user_sgpr_private_segment_size 0
		.amdhsa_uses_dynamic_stack 0
		.amdhsa_system_sgpr_private_segment_wavefront_offset 0
		.amdhsa_system_sgpr_workgroup_id_x 1
		.amdhsa_system_sgpr_workgroup_id_y 0
		.amdhsa_system_sgpr_workgroup_id_z 0
		.amdhsa_system_sgpr_workgroup_info 0
		.amdhsa_system_vgpr_workitem_id 0
		.amdhsa_next_free_vgpr 1
		.amdhsa_next_free_sgpr 0
		.amdhsa_accum_offset 4
		.amdhsa_reserve_vcc 0
		.amdhsa_reserve_flat_scratch 0
		.amdhsa_float_round_mode_32 0
		.amdhsa_float_round_mode_16_64 0
		.amdhsa_float_denorm_mode_32 3
		.amdhsa_float_denorm_mode_16_64 3
		.amdhsa_dx10_clamp 1
		.amdhsa_ieee_mode 1
		.amdhsa_fp16_overflow 0
		.amdhsa_tg_split 0
		.amdhsa_exception_fp_ieee_invalid_op 0
		.amdhsa_exception_fp_denorm_src 0
		.amdhsa_exception_fp_ieee_div_zero 0
		.amdhsa_exception_fp_ieee_overflow 0
		.amdhsa_exception_fp_ieee_underflow 0
		.amdhsa_exception_fp_ieee_inexact 0
		.amdhsa_exception_int_div_zero 0
	.end_amdhsa_kernel
	.section	.text._ZN7rocprim17ROCPRIM_400000_NS6detail17trampoline_kernelINS0_14default_configENS1_38merge_sort_block_merge_config_selectorIilEEZZNS1_27merge_sort_block_merge_implIS3_PiN6thrust23THRUST_200600_302600_NS10device_ptrIlEEjNS1_19radix_merge_compareILb0ELb0EiNS0_19identity_decomposerEEEEE10hipError_tT0_T1_T2_jT3_P12ihipStream_tbPNSt15iterator_traitsISG_E10value_typeEPNSM_ISH_E10value_typeEPSI_NS1_7vsmem_tEENKUlT_SG_SH_SI_E_clIS7_S7_SB_PlEESF_SV_SG_SH_SI_EUlSV_E0_NS1_11comp_targetILNS1_3genE2ELNS1_11target_archE906ELNS1_3gpuE6ELNS1_3repE0EEENS1_38merge_mergepath_config_static_selectorELNS0_4arch9wavefront6targetE1EEEvSH_,"axG",@progbits,_ZN7rocprim17ROCPRIM_400000_NS6detail17trampoline_kernelINS0_14default_configENS1_38merge_sort_block_merge_config_selectorIilEEZZNS1_27merge_sort_block_merge_implIS3_PiN6thrust23THRUST_200600_302600_NS10device_ptrIlEEjNS1_19radix_merge_compareILb0ELb0EiNS0_19identity_decomposerEEEEE10hipError_tT0_T1_T2_jT3_P12ihipStream_tbPNSt15iterator_traitsISG_E10value_typeEPNSM_ISH_E10value_typeEPSI_NS1_7vsmem_tEENKUlT_SG_SH_SI_E_clIS7_S7_SB_PlEESF_SV_SG_SH_SI_EUlSV_E0_NS1_11comp_targetILNS1_3genE2ELNS1_11target_archE906ELNS1_3gpuE6ELNS1_3repE0EEENS1_38merge_mergepath_config_static_selectorELNS0_4arch9wavefront6targetE1EEEvSH_,comdat
.Lfunc_end781:
	.size	_ZN7rocprim17ROCPRIM_400000_NS6detail17trampoline_kernelINS0_14default_configENS1_38merge_sort_block_merge_config_selectorIilEEZZNS1_27merge_sort_block_merge_implIS3_PiN6thrust23THRUST_200600_302600_NS10device_ptrIlEEjNS1_19radix_merge_compareILb0ELb0EiNS0_19identity_decomposerEEEEE10hipError_tT0_T1_T2_jT3_P12ihipStream_tbPNSt15iterator_traitsISG_E10value_typeEPNSM_ISH_E10value_typeEPSI_NS1_7vsmem_tEENKUlT_SG_SH_SI_E_clIS7_S7_SB_PlEESF_SV_SG_SH_SI_EUlSV_E0_NS1_11comp_targetILNS1_3genE2ELNS1_11target_archE906ELNS1_3gpuE6ELNS1_3repE0EEENS1_38merge_mergepath_config_static_selectorELNS0_4arch9wavefront6targetE1EEEvSH_, .Lfunc_end781-_ZN7rocprim17ROCPRIM_400000_NS6detail17trampoline_kernelINS0_14default_configENS1_38merge_sort_block_merge_config_selectorIilEEZZNS1_27merge_sort_block_merge_implIS3_PiN6thrust23THRUST_200600_302600_NS10device_ptrIlEEjNS1_19radix_merge_compareILb0ELb0EiNS0_19identity_decomposerEEEEE10hipError_tT0_T1_T2_jT3_P12ihipStream_tbPNSt15iterator_traitsISG_E10value_typeEPNSM_ISH_E10value_typeEPSI_NS1_7vsmem_tEENKUlT_SG_SH_SI_E_clIS7_S7_SB_PlEESF_SV_SG_SH_SI_EUlSV_E0_NS1_11comp_targetILNS1_3genE2ELNS1_11target_archE906ELNS1_3gpuE6ELNS1_3repE0EEENS1_38merge_mergepath_config_static_selectorELNS0_4arch9wavefront6targetE1EEEvSH_
                                        ; -- End function
	.section	.AMDGPU.csdata,"",@progbits
; Kernel info:
; codeLenInByte = 0
; NumSgprs: 4
; NumVgprs: 0
; NumAgprs: 0
; TotalNumVgprs: 0
; ScratchSize: 0
; MemoryBound: 0
; FloatMode: 240
; IeeeMode: 1
; LDSByteSize: 0 bytes/workgroup (compile time only)
; SGPRBlocks: 0
; VGPRBlocks: 0
; NumSGPRsForWavesPerEU: 4
; NumVGPRsForWavesPerEU: 1
; AccumOffset: 4
; Occupancy: 8
; WaveLimiterHint : 0
; COMPUTE_PGM_RSRC2:SCRATCH_EN: 0
; COMPUTE_PGM_RSRC2:USER_SGPR: 6
; COMPUTE_PGM_RSRC2:TRAP_HANDLER: 0
; COMPUTE_PGM_RSRC2:TGID_X_EN: 1
; COMPUTE_PGM_RSRC2:TGID_Y_EN: 0
; COMPUTE_PGM_RSRC2:TGID_Z_EN: 0
; COMPUTE_PGM_RSRC2:TIDIG_COMP_CNT: 0
; COMPUTE_PGM_RSRC3_GFX90A:ACCUM_OFFSET: 0
; COMPUTE_PGM_RSRC3_GFX90A:TG_SPLIT: 0
	.section	.text._ZN7rocprim17ROCPRIM_400000_NS6detail17trampoline_kernelINS0_14default_configENS1_38merge_sort_block_merge_config_selectorIilEEZZNS1_27merge_sort_block_merge_implIS3_PiN6thrust23THRUST_200600_302600_NS10device_ptrIlEEjNS1_19radix_merge_compareILb0ELb0EiNS0_19identity_decomposerEEEEE10hipError_tT0_T1_T2_jT3_P12ihipStream_tbPNSt15iterator_traitsISG_E10value_typeEPNSM_ISH_E10value_typeEPSI_NS1_7vsmem_tEENKUlT_SG_SH_SI_E_clIS7_S7_SB_PlEESF_SV_SG_SH_SI_EUlSV_E0_NS1_11comp_targetILNS1_3genE9ELNS1_11target_archE1100ELNS1_3gpuE3ELNS1_3repE0EEENS1_38merge_mergepath_config_static_selectorELNS0_4arch9wavefront6targetE1EEEvSH_,"axG",@progbits,_ZN7rocprim17ROCPRIM_400000_NS6detail17trampoline_kernelINS0_14default_configENS1_38merge_sort_block_merge_config_selectorIilEEZZNS1_27merge_sort_block_merge_implIS3_PiN6thrust23THRUST_200600_302600_NS10device_ptrIlEEjNS1_19radix_merge_compareILb0ELb0EiNS0_19identity_decomposerEEEEE10hipError_tT0_T1_T2_jT3_P12ihipStream_tbPNSt15iterator_traitsISG_E10value_typeEPNSM_ISH_E10value_typeEPSI_NS1_7vsmem_tEENKUlT_SG_SH_SI_E_clIS7_S7_SB_PlEESF_SV_SG_SH_SI_EUlSV_E0_NS1_11comp_targetILNS1_3genE9ELNS1_11target_archE1100ELNS1_3gpuE3ELNS1_3repE0EEENS1_38merge_mergepath_config_static_selectorELNS0_4arch9wavefront6targetE1EEEvSH_,comdat
	.protected	_ZN7rocprim17ROCPRIM_400000_NS6detail17trampoline_kernelINS0_14default_configENS1_38merge_sort_block_merge_config_selectorIilEEZZNS1_27merge_sort_block_merge_implIS3_PiN6thrust23THRUST_200600_302600_NS10device_ptrIlEEjNS1_19radix_merge_compareILb0ELb0EiNS0_19identity_decomposerEEEEE10hipError_tT0_T1_T2_jT3_P12ihipStream_tbPNSt15iterator_traitsISG_E10value_typeEPNSM_ISH_E10value_typeEPSI_NS1_7vsmem_tEENKUlT_SG_SH_SI_E_clIS7_S7_SB_PlEESF_SV_SG_SH_SI_EUlSV_E0_NS1_11comp_targetILNS1_3genE9ELNS1_11target_archE1100ELNS1_3gpuE3ELNS1_3repE0EEENS1_38merge_mergepath_config_static_selectorELNS0_4arch9wavefront6targetE1EEEvSH_ ; -- Begin function _ZN7rocprim17ROCPRIM_400000_NS6detail17trampoline_kernelINS0_14default_configENS1_38merge_sort_block_merge_config_selectorIilEEZZNS1_27merge_sort_block_merge_implIS3_PiN6thrust23THRUST_200600_302600_NS10device_ptrIlEEjNS1_19radix_merge_compareILb0ELb0EiNS0_19identity_decomposerEEEEE10hipError_tT0_T1_T2_jT3_P12ihipStream_tbPNSt15iterator_traitsISG_E10value_typeEPNSM_ISH_E10value_typeEPSI_NS1_7vsmem_tEENKUlT_SG_SH_SI_E_clIS7_S7_SB_PlEESF_SV_SG_SH_SI_EUlSV_E0_NS1_11comp_targetILNS1_3genE9ELNS1_11target_archE1100ELNS1_3gpuE3ELNS1_3repE0EEENS1_38merge_mergepath_config_static_selectorELNS0_4arch9wavefront6targetE1EEEvSH_
	.globl	_ZN7rocprim17ROCPRIM_400000_NS6detail17trampoline_kernelINS0_14default_configENS1_38merge_sort_block_merge_config_selectorIilEEZZNS1_27merge_sort_block_merge_implIS3_PiN6thrust23THRUST_200600_302600_NS10device_ptrIlEEjNS1_19radix_merge_compareILb0ELb0EiNS0_19identity_decomposerEEEEE10hipError_tT0_T1_T2_jT3_P12ihipStream_tbPNSt15iterator_traitsISG_E10value_typeEPNSM_ISH_E10value_typeEPSI_NS1_7vsmem_tEENKUlT_SG_SH_SI_E_clIS7_S7_SB_PlEESF_SV_SG_SH_SI_EUlSV_E0_NS1_11comp_targetILNS1_3genE9ELNS1_11target_archE1100ELNS1_3gpuE3ELNS1_3repE0EEENS1_38merge_mergepath_config_static_selectorELNS0_4arch9wavefront6targetE1EEEvSH_
	.p2align	8
	.type	_ZN7rocprim17ROCPRIM_400000_NS6detail17trampoline_kernelINS0_14default_configENS1_38merge_sort_block_merge_config_selectorIilEEZZNS1_27merge_sort_block_merge_implIS3_PiN6thrust23THRUST_200600_302600_NS10device_ptrIlEEjNS1_19radix_merge_compareILb0ELb0EiNS0_19identity_decomposerEEEEE10hipError_tT0_T1_T2_jT3_P12ihipStream_tbPNSt15iterator_traitsISG_E10value_typeEPNSM_ISH_E10value_typeEPSI_NS1_7vsmem_tEENKUlT_SG_SH_SI_E_clIS7_S7_SB_PlEESF_SV_SG_SH_SI_EUlSV_E0_NS1_11comp_targetILNS1_3genE9ELNS1_11target_archE1100ELNS1_3gpuE3ELNS1_3repE0EEENS1_38merge_mergepath_config_static_selectorELNS0_4arch9wavefront6targetE1EEEvSH_,@function
_ZN7rocprim17ROCPRIM_400000_NS6detail17trampoline_kernelINS0_14default_configENS1_38merge_sort_block_merge_config_selectorIilEEZZNS1_27merge_sort_block_merge_implIS3_PiN6thrust23THRUST_200600_302600_NS10device_ptrIlEEjNS1_19radix_merge_compareILb0ELb0EiNS0_19identity_decomposerEEEEE10hipError_tT0_T1_T2_jT3_P12ihipStream_tbPNSt15iterator_traitsISG_E10value_typeEPNSM_ISH_E10value_typeEPSI_NS1_7vsmem_tEENKUlT_SG_SH_SI_E_clIS7_S7_SB_PlEESF_SV_SG_SH_SI_EUlSV_E0_NS1_11comp_targetILNS1_3genE9ELNS1_11target_archE1100ELNS1_3gpuE3ELNS1_3repE0EEENS1_38merge_mergepath_config_static_selectorELNS0_4arch9wavefront6targetE1EEEvSH_: ; @_ZN7rocprim17ROCPRIM_400000_NS6detail17trampoline_kernelINS0_14default_configENS1_38merge_sort_block_merge_config_selectorIilEEZZNS1_27merge_sort_block_merge_implIS3_PiN6thrust23THRUST_200600_302600_NS10device_ptrIlEEjNS1_19radix_merge_compareILb0ELb0EiNS0_19identity_decomposerEEEEE10hipError_tT0_T1_T2_jT3_P12ihipStream_tbPNSt15iterator_traitsISG_E10value_typeEPNSM_ISH_E10value_typeEPSI_NS1_7vsmem_tEENKUlT_SG_SH_SI_E_clIS7_S7_SB_PlEESF_SV_SG_SH_SI_EUlSV_E0_NS1_11comp_targetILNS1_3genE9ELNS1_11target_archE1100ELNS1_3gpuE3ELNS1_3repE0EEENS1_38merge_mergepath_config_static_selectorELNS0_4arch9wavefront6targetE1EEEvSH_
; %bb.0:
	.section	.rodata,"a",@progbits
	.p2align	6, 0x0
	.amdhsa_kernel _ZN7rocprim17ROCPRIM_400000_NS6detail17trampoline_kernelINS0_14default_configENS1_38merge_sort_block_merge_config_selectorIilEEZZNS1_27merge_sort_block_merge_implIS3_PiN6thrust23THRUST_200600_302600_NS10device_ptrIlEEjNS1_19radix_merge_compareILb0ELb0EiNS0_19identity_decomposerEEEEE10hipError_tT0_T1_T2_jT3_P12ihipStream_tbPNSt15iterator_traitsISG_E10value_typeEPNSM_ISH_E10value_typeEPSI_NS1_7vsmem_tEENKUlT_SG_SH_SI_E_clIS7_S7_SB_PlEESF_SV_SG_SH_SI_EUlSV_E0_NS1_11comp_targetILNS1_3genE9ELNS1_11target_archE1100ELNS1_3gpuE3ELNS1_3repE0EEENS1_38merge_mergepath_config_static_selectorELNS0_4arch9wavefront6targetE1EEEvSH_
		.amdhsa_group_segment_fixed_size 0
		.amdhsa_private_segment_fixed_size 0
		.amdhsa_kernarg_size 64
		.amdhsa_user_sgpr_count 6
		.amdhsa_user_sgpr_private_segment_buffer 1
		.amdhsa_user_sgpr_dispatch_ptr 0
		.amdhsa_user_sgpr_queue_ptr 0
		.amdhsa_user_sgpr_kernarg_segment_ptr 1
		.amdhsa_user_sgpr_dispatch_id 0
		.amdhsa_user_sgpr_flat_scratch_init 0
		.amdhsa_user_sgpr_kernarg_preload_length 0
		.amdhsa_user_sgpr_kernarg_preload_offset 0
		.amdhsa_user_sgpr_private_segment_size 0
		.amdhsa_uses_dynamic_stack 0
		.amdhsa_system_sgpr_private_segment_wavefront_offset 0
		.amdhsa_system_sgpr_workgroup_id_x 1
		.amdhsa_system_sgpr_workgroup_id_y 0
		.amdhsa_system_sgpr_workgroup_id_z 0
		.amdhsa_system_sgpr_workgroup_info 0
		.amdhsa_system_vgpr_workitem_id 0
		.amdhsa_next_free_vgpr 1
		.amdhsa_next_free_sgpr 0
		.amdhsa_accum_offset 4
		.amdhsa_reserve_vcc 0
		.amdhsa_reserve_flat_scratch 0
		.amdhsa_float_round_mode_32 0
		.amdhsa_float_round_mode_16_64 0
		.amdhsa_float_denorm_mode_32 3
		.amdhsa_float_denorm_mode_16_64 3
		.amdhsa_dx10_clamp 1
		.amdhsa_ieee_mode 1
		.amdhsa_fp16_overflow 0
		.amdhsa_tg_split 0
		.amdhsa_exception_fp_ieee_invalid_op 0
		.amdhsa_exception_fp_denorm_src 0
		.amdhsa_exception_fp_ieee_div_zero 0
		.amdhsa_exception_fp_ieee_overflow 0
		.amdhsa_exception_fp_ieee_underflow 0
		.amdhsa_exception_fp_ieee_inexact 0
		.amdhsa_exception_int_div_zero 0
	.end_amdhsa_kernel
	.section	.text._ZN7rocprim17ROCPRIM_400000_NS6detail17trampoline_kernelINS0_14default_configENS1_38merge_sort_block_merge_config_selectorIilEEZZNS1_27merge_sort_block_merge_implIS3_PiN6thrust23THRUST_200600_302600_NS10device_ptrIlEEjNS1_19radix_merge_compareILb0ELb0EiNS0_19identity_decomposerEEEEE10hipError_tT0_T1_T2_jT3_P12ihipStream_tbPNSt15iterator_traitsISG_E10value_typeEPNSM_ISH_E10value_typeEPSI_NS1_7vsmem_tEENKUlT_SG_SH_SI_E_clIS7_S7_SB_PlEESF_SV_SG_SH_SI_EUlSV_E0_NS1_11comp_targetILNS1_3genE9ELNS1_11target_archE1100ELNS1_3gpuE3ELNS1_3repE0EEENS1_38merge_mergepath_config_static_selectorELNS0_4arch9wavefront6targetE1EEEvSH_,"axG",@progbits,_ZN7rocprim17ROCPRIM_400000_NS6detail17trampoline_kernelINS0_14default_configENS1_38merge_sort_block_merge_config_selectorIilEEZZNS1_27merge_sort_block_merge_implIS3_PiN6thrust23THRUST_200600_302600_NS10device_ptrIlEEjNS1_19radix_merge_compareILb0ELb0EiNS0_19identity_decomposerEEEEE10hipError_tT0_T1_T2_jT3_P12ihipStream_tbPNSt15iterator_traitsISG_E10value_typeEPNSM_ISH_E10value_typeEPSI_NS1_7vsmem_tEENKUlT_SG_SH_SI_E_clIS7_S7_SB_PlEESF_SV_SG_SH_SI_EUlSV_E0_NS1_11comp_targetILNS1_3genE9ELNS1_11target_archE1100ELNS1_3gpuE3ELNS1_3repE0EEENS1_38merge_mergepath_config_static_selectorELNS0_4arch9wavefront6targetE1EEEvSH_,comdat
.Lfunc_end782:
	.size	_ZN7rocprim17ROCPRIM_400000_NS6detail17trampoline_kernelINS0_14default_configENS1_38merge_sort_block_merge_config_selectorIilEEZZNS1_27merge_sort_block_merge_implIS3_PiN6thrust23THRUST_200600_302600_NS10device_ptrIlEEjNS1_19radix_merge_compareILb0ELb0EiNS0_19identity_decomposerEEEEE10hipError_tT0_T1_T2_jT3_P12ihipStream_tbPNSt15iterator_traitsISG_E10value_typeEPNSM_ISH_E10value_typeEPSI_NS1_7vsmem_tEENKUlT_SG_SH_SI_E_clIS7_S7_SB_PlEESF_SV_SG_SH_SI_EUlSV_E0_NS1_11comp_targetILNS1_3genE9ELNS1_11target_archE1100ELNS1_3gpuE3ELNS1_3repE0EEENS1_38merge_mergepath_config_static_selectorELNS0_4arch9wavefront6targetE1EEEvSH_, .Lfunc_end782-_ZN7rocprim17ROCPRIM_400000_NS6detail17trampoline_kernelINS0_14default_configENS1_38merge_sort_block_merge_config_selectorIilEEZZNS1_27merge_sort_block_merge_implIS3_PiN6thrust23THRUST_200600_302600_NS10device_ptrIlEEjNS1_19radix_merge_compareILb0ELb0EiNS0_19identity_decomposerEEEEE10hipError_tT0_T1_T2_jT3_P12ihipStream_tbPNSt15iterator_traitsISG_E10value_typeEPNSM_ISH_E10value_typeEPSI_NS1_7vsmem_tEENKUlT_SG_SH_SI_E_clIS7_S7_SB_PlEESF_SV_SG_SH_SI_EUlSV_E0_NS1_11comp_targetILNS1_3genE9ELNS1_11target_archE1100ELNS1_3gpuE3ELNS1_3repE0EEENS1_38merge_mergepath_config_static_selectorELNS0_4arch9wavefront6targetE1EEEvSH_
                                        ; -- End function
	.section	.AMDGPU.csdata,"",@progbits
; Kernel info:
; codeLenInByte = 0
; NumSgprs: 4
; NumVgprs: 0
; NumAgprs: 0
; TotalNumVgprs: 0
; ScratchSize: 0
; MemoryBound: 0
; FloatMode: 240
; IeeeMode: 1
; LDSByteSize: 0 bytes/workgroup (compile time only)
; SGPRBlocks: 0
; VGPRBlocks: 0
; NumSGPRsForWavesPerEU: 4
; NumVGPRsForWavesPerEU: 1
; AccumOffset: 4
; Occupancy: 8
; WaveLimiterHint : 0
; COMPUTE_PGM_RSRC2:SCRATCH_EN: 0
; COMPUTE_PGM_RSRC2:USER_SGPR: 6
; COMPUTE_PGM_RSRC2:TRAP_HANDLER: 0
; COMPUTE_PGM_RSRC2:TGID_X_EN: 1
; COMPUTE_PGM_RSRC2:TGID_Y_EN: 0
; COMPUTE_PGM_RSRC2:TGID_Z_EN: 0
; COMPUTE_PGM_RSRC2:TIDIG_COMP_CNT: 0
; COMPUTE_PGM_RSRC3_GFX90A:ACCUM_OFFSET: 0
; COMPUTE_PGM_RSRC3_GFX90A:TG_SPLIT: 0
	.section	.text._ZN7rocprim17ROCPRIM_400000_NS6detail17trampoline_kernelINS0_14default_configENS1_38merge_sort_block_merge_config_selectorIilEEZZNS1_27merge_sort_block_merge_implIS3_PiN6thrust23THRUST_200600_302600_NS10device_ptrIlEEjNS1_19radix_merge_compareILb0ELb0EiNS0_19identity_decomposerEEEEE10hipError_tT0_T1_T2_jT3_P12ihipStream_tbPNSt15iterator_traitsISG_E10value_typeEPNSM_ISH_E10value_typeEPSI_NS1_7vsmem_tEENKUlT_SG_SH_SI_E_clIS7_S7_SB_PlEESF_SV_SG_SH_SI_EUlSV_E0_NS1_11comp_targetILNS1_3genE8ELNS1_11target_archE1030ELNS1_3gpuE2ELNS1_3repE0EEENS1_38merge_mergepath_config_static_selectorELNS0_4arch9wavefront6targetE1EEEvSH_,"axG",@progbits,_ZN7rocprim17ROCPRIM_400000_NS6detail17trampoline_kernelINS0_14default_configENS1_38merge_sort_block_merge_config_selectorIilEEZZNS1_27merge_sort_block_merge_implIS3_PiN6thrust23THRUST_200600_302600_NS10device_ptrIlEEjNS1_19radix_merge_compareILb0ELb0EiNS0_19identity_decomposerEEEEE10hipError_tT0_T1_T2_jT3_P12ihipStream_tbPNSt15iterator_traitsISG_E10value_typeEPNSM_ISH_E10value_typeEPSI_NS1_7vsmem_tEENKUlT_SG_SH_SI_E_clIS7_S7_SB_PlEESF_SV_SG_SH_SI_EUlSV_E0_NS1_11comp_targetILNS1_3genE8ELNS1_11target_archE1030ELNS1_3gpuE2ELNS1_3repE0EEENS1_38merge_mergepath_config_static_selectorELNS0_4arch9wavefront6targetE1EEEvSH_,comdat
	.protected	_ZN7rocprim17ROCPRIM_400000_NS6detail17trampoline_kernelINS0_14default_configENS1_38merge_sort_block_merge_config_selectorIilEEZZNS1_27merge_sort_block_merge_implIS3_PiN6thrust23THRUST_200600_302600_NS10device_ptrIlEEjNS1_19radix_merge_compareILb0ELb0EiNS0_19identity_decomposerEEEEE10hipError_tT0_T1_T2_jT3_P12ihipStream_tbPNSt15iterator_traitsISG_E10value_typeEPNSM_ISH_E10value_typeEPSI_NS1_7vsmem_tEENKUlT_SG_SH_SI_E_clIS7_S7_SB_PlEESF_SV_SG_SH_SI_EUlSV_E0_NS1_11comp_targetILNS1_3genE8ELNS1_11target_archE1030ELNS1_3gpuE2ELNS1_3repE0EEENS1_38merge_mergepath_config_static_selectorELNS0_4arch9wavefront6targetE1EEEvSH_ ; -- Begin function _ZN7rocprim17ROCPRIM_400000_NS6detail17trampoline_kernelINS0_14default_configENS1_38merge_sort_block_merge_config_selectorIilEEZZNS1_27merge_sort_block_merge_implIS3_PiN6thrust23THRUST_200600_302600_NS10device_ptrIlEEjNS1_19radix_merge_compareILb0ELb0EiNS0_19identity_decomposerEEEEE10hipError_tT0_T1_T2_jT3_P12ihipStream_tbPNSt15iterator_traitsISG_E10value_typeEPNSM_ISH_E10value_typeEPSI_NS1_7vsmem_tEENKUlT_SG_SH_SI_E_clIS7_S7_SB_PlEESF_SV_SG_SH_SI_EUlSV_E0_NS1_11comp_targetILNS1_3genE8ELNS1_11target_archE1030ELNS1_3gpuE2ELNS1_3repE0EEENS1_38merge_mergepath_config_static_selectorELNS0_4arch9wavefront6targetE1EEEvSH_
	.globl	_ZN7rocprim17ROCPRIM_400000_NS6detail17trampoline_kernelINS0_14default_configENS1_38merge_sort_block_merge_config_selectorIilEEZZNS1_27merge_sort_block_merge_implIS3_PiN6thrust23THRUST_200600_302600_NS10device_ptrIlEEjNS1_19radix_merge_compareILb0ELb0EiNS0_19identity_decomposerEEEEE10hipError_tT0_T1_T2_jT3_P12ihipStream_tbPNSt15iterator_traitsISG_E10value_typeEPNSM_ISH_E10value_typeEPSI_NS1_7vsmem_tEENKUlT_SG_SH_SI_E_clIS7_S7_SB_PlEESF_SV_SG_SH_SI_EUlSV_E0_NS1_11comp_targetILNS1_3genE8ELNS1_11target_archE1030ELNS1_3gpuE2ELNS1_3repE0EEENS1_38merge_mergepath_config_static_selectorELNS0_4arch9wavefront6targetE1EEEvSH_
	.p2align	8
	.type	_ZN7rocprim17ROCPRIM_400000_NS6detail17trampoline_kernelINS0_14default_configENS1_38merge_sort_block_merge_config_selectorIilEEZZNS1_27merge_sort_block_merge_implIS3_PiN6thrust23THRUST_200600_302600_NS10device_ptrIlEEjNS1_19radix_merge_compareILb0ELb0EiNS0_19identity_decomposerEEEEE10hipError_tT0_T1_T2_jT3_P12ihipStream_tbPNSt15iterator_traitsISG_E10value_typeEPNSM_ISH_E10value_typeEPSI_NS1_7vsmem_tEENKUlT_SG_SH_SI_E_clIS7_S7_SB_PlEESF_SV_SG_SH_SI_EUlSV_E0_NS1_11comp_targetILNS1_3genE8ELNS1_11target_archE1030ELNS1_3gpuE2ELNS1_3repE0EEENS1_38merge_mergepath_config_static_selectorELNS0_4arch9wavefront6targetE1EEEvSH_,@function
_ZN7rocprim17ROCPRIM_400000_NS6detail17trampoline_kernelINS0_14default_configENS1_38merge_sort_block_merge_config_selectorIilEEZZNS1_27merge_sort_block_merge_implIS3_PiN6thrust23THRUST_200600_302600_NS10device_ptrIlEEjNS1_19radix_merge_compareILb0ELb0EiNS0_19identity_decomposerEEEEE10hipError_tT0_T1_T2_jT3_P12ihipStream_tbPNSt15iterator_traitsISG_E10value_typeEPNSM_ISH_E10value_typeEPSI_NS1_7vsmem_tEENKUlT_SG_SH_SI_E_clIS7_S7_SB_PlEESF_SV_SG_SH_SI_EUlSV_E0_NS1_11comp_targetILNS1_3genE8ELNS1_11target_archE1030ELNS1_3gpuE2ELNS1_3repE0EEENS1_38merge_mergepath_config_static_selectorELNS0_4arch9wavefront6targetE1EEEvSH_: ; @_ZN7rocprim17ROCPRIM_400000_NS6detail17trampoline_kernelINS0_14default_configENS1_38merge_sort_block_merge_config_selectorIilEEZZNS1_27merge_sort_block_merge_implIS3_PiN6thrust23THRUST_200600_302600_NS10device_ptrIlEEjNS1_19radix_merge_compareILb0ELb0EiNS0_19identity_decomposerEEEEE10hipError_tT0_T1_T2_jT3_P12ihipStream_tbPNSt15iterator_traitsISG_E10value_typeEPNSM_ISH_E10value_typeEPSI_NS1_7vsmem_tEENKUlT_SG_SH_SI_E_clIS7_S7_SB_PlEESF_SV_SG_SH_SI_EUlSV_E0_NS1_11comp_targetILNS1_3genE8ELNS1_11target_archE1030ELNS1_3gpuE2ELNS1_3repE0EEENS1_38merge_mergepath_config_static_selectorELNS0_4arch9wavefront6targetE1EEEvSH_
; %bb.0:
	.section	.rodata,"a",@progbits
	.p2align	6, 0x0
	.amdhsa_kernel _ZN7rocprim17ROCPRIM_400000_NS6detail17trampoline_kernelINS0_14default_configENS1_38merge_sort_block_merge_config_selectorIilEEZZNS1_27merge_sort_block_merge_implIS3_PiN6thrust23THRUST_200600_302600_NS10device_ptrIlEEjNS1_19radix_merge_compareILb0ELb0EiNS0_19identity_decomposerEEEEE10hipError_tT0_T1_T2_jT3_P12ihipStream_tbPNSt15iterator_traitsISG_E10value_typeEPNSM_ISH_E10value_typeEPSI_NS1_7vsmem_tEENKUlT_SG_SH_SI_E_clIS7_S7_SB_PlEESF_SV_SG_SH_SI_EUlSV_E0_NS1_11comp_targetILNS1_3genE8ELNS1_11target_archE1030ELNS1_3gpuE2ELNS1_3repE0EEENS1_38merge_mergepath_config_static_selectorELNS0_4arch9wavefront6targetE1EEEvSH_
		.amdhsa_group_segment_fixed_size 0
		.amdhsa_private_segment_fixed_size 0
		.amdhsa_kernarg_size 64
		.amdhsa_user_sgpr_count 6
		.amdhsa_user_sgpr_private_segment_buffer 1
		.amdhsa_user_sgpr_dispatch_ptr 0
		.amdhsa_user_sgpr_queue_ptr 0
		.amdhsa_user_sgpr_kernarg_segment_ptr 1
		.amdhsa_user_sgpr_dispatch_id 0
		.amdhsa_user_sgpr_flat_scratch_init 0
		.amdhsa_user_sgpr_kernarg_preload_length 0
		.amdhsa_user_sgpr_kernarg_preload_offset 0
		.amdhsa_user_sgpr_private_segment_size 0
		.amdhsa_uses_dynamic_stack 0
		.amdhsa_system_sgpr_private_segment_wavefront_offset 0
		.amdhsa_system_sgpr_workgroup_id_x 1
		.amdhsa_system_sgpr_workgroup_id_y 0
		.amdhsa_system_sgpr_workgroup_id_z 0
		.amdhsa_system_sgpr_workgroup_info 0
		.amdhsa_system_vgpr_workitem_id 0
		.amdhsa_next_free_vgpr 1
		.amdhsa_next_free_sgpr 0
		.amdhsa_accum_offset 4
		.amdhsa_reserve_vcc 0
		.amdhsa_reserve_flat_scratch 0
		.amdhsa_float_round_mode_32 0
		.amdhsa_float_round_mode_16_64 0
		.amdhsa_float_denorm_mode_32 3
		.amdhsa_float_denorm_mode_16_64 3
		.amdhsa_dx10_clamp 1
		.amdhsa_ieee_mode 1
		.amdhsa_fp16_overflow 0
		.amdhsa_tg_split 0
		.amdhsa_exception_fp_ieee_invalid_op 0
		.amdhsa_exception_fp_denorm_src 0
		.amdhsa_exception_fp_ieee_div_zero 0
		.amdhsa_exception_fp_ieee_overflow 0
		.amdhsa_exception_fp_ieee_underflow 0
		.amdhsa_exception_fp_ieee_inexact 0
		.amdhsa_exception_int_div_zero 0
	.end_amdhsa_kernel
	.section	.text._ZN7rocprim17ROCPRIM_400000_NS6detail17trampoline_kernelINS0_14default_configENS1_38merge_sort_block_merge_config_selectorIilEEZZNS1_27merge_sort_block_merge_implIS3_PiN6thrust23THRUST_200600_302600_NS10device_ptrIlEEjNS1_19radix_merge_compareILb0ELb0EiNS0_19identity_decomposerEEEEE10hipError_tT0_T1_T2_jT3_P12ihipStream_tbPNSt15iterator_traitsISG_E10value_typeEPNSM_ISH_E10value_typeEPSI_NS1_7vsmem_tEENKUlT_SG_SH_SI_E_clIS7_S7_SB_PlEESF_SV_SG_SH_SI_EUlSV_E0_NS1_11comp_targetILNS1_3genE8ELNS1_11target_archE1030ELNS1_3gpuE2ELNS1_3repE0EEENS1_38merge_mergepath_config_static_selectorELNS0_4arch9wavefront6targetE1EEEvSH_,"axG",@progbits,_ZN7rocprim17ROCPRIM_400000_NS6detail17trampoline_kernelINS0_14default_configENS1_38merge_sort_block_merge_config_selectorIilEEZZNS1_27merge_sort_block_merge_implIS3_PiN6thrust23THRUST_200600_302600_NS10device_ptrIlEEjNS1_19radix_merge_compareILb0ELb0EiNS0_19identity_decomposerEEEEE10hipError_tT0_T1_T2_jT3_P12ihipStream_tbPNSt15iterator_traitsISG_E10value_typeEPNSM_ISH_E10value_typeEPSI_NS1_7vsmem_tEENKUlT_SG_SH_SI_E_clIS7_S7_SB_PlEESF_SV_SG_SH_SI_EUlSV_E0_NS1_11comp_targetILNS1_3genE8ELNS1_11target_archE1030ELNS1_3gpuE2ELNS1_3repE0EEENS1_38merge_mergepath_config_static_selectorELNS0_4arch9wavefront6targetE1EEEvSH_,comdat
.Lfunc_end783:
	.size	_ZN7rocprim17ROCPRIM_400000_NS6detail17trampoline_kernelINS0_14default_configENS1_38merge_sort_block_merge_config_selectorIilEEZZNS1_27merge_sort_block_merge_implIS3_PiN6thrust23THRUST_200600_302600_NS10device_ptrIlEEjNS1_19radix_merge_compareILb0ELb0EiNS0_19identity_decomposerEEEEE10hipError_tT0_T1_T2_jT3_P12ihipStream_tbPNSt15iterator_traitsISG_E10value_typeEPNSM_ISH_E10value_typeEPSI_NS1_7vsmem_tEENKUlT_SG_SH_SI_E_clIS7_S7_SB_PlEESF_SV_SG_SH_SI_EUlSV_E0_NS1_11comp_targetILNS1_3genE8ELNS1_11target_archE1030ELNS1_3gpuE2ELNS1_3repE0EEENS1_38merge_mergepath_config_static_selectorELNS0_4arch9wavefront6targetE1EEEvSH_, .Lfunc_end783-_ZN7rocprim17ROCPRIM_400000_NS6detail17trampoline_kernelINS0_14default_configENS1_38merge_sort_block_merge_config_selectorIilEEZZNS1_27merge_sort_block_merge_implIS3_PiN6thrust23THRUST_200600_302600_NS10device_ptrIlEEjNS1_19radix_merge_compareILb0ELb0EiNS0_19identity_decomposerEEEEE10hipError_tT0_T1_T2_jT3_P12ihipStream_tbPNSt15iterator_traitsISG_E10value_typeEPNSM_ISH_E10value_typeEPSI_NS1_7vsmem_tEENKUlT_SG_SH_SI_E_clIS7_S7_SB_PlEESF_SV_SG_SH_SI_EUlSV_E0_NS1_11comp_targetILNS1_3genE8ELNS1_11target_archE1030ELNS1_3gpuE2ELNS1_3repE0EEENS1_38merge_mergepath_config_static_selectorELNS0_4arch9wavefront6targetE1EEEvSH_
                                        ; -- End function
	.section	.AMDGPU.csdata,"",@progbits
; Kernel info:
; codeLenInByte = 0
; NumSgprs: 4
; NumVgprs: 0
; NumAgprs: 0
; TotalNumVgprs: 0
; ScratchSize: 0
; MemoryBound: 0
; FloatMode: 240
; IeeeMode: 1
; LDSByteSize: 0 bytes/workgroup (compile time only)
; SGPRBlocks: 0
; VGPRBlocks: 0
; NumSGPRsForWavesPerEU: 4
; NumVGPRsForWavesPerEU: 1
; AccumOffset: 4
; Occupancy: 8
; WaveLimiterHint : 0
; COMPUTE_PGM_RSRC2:SCRATCH_EN: 0
; COMPUTE_PGM_RSRC2:USER_SGPR: 6
; COMPUTE_PGM_RSRC2:TRAP_HANDLER: 0
; COMPUTE_PGM_RSRC2:TGID_X_EN: 1
; COMPUTE_PGM_RSRC2:TGID_Y_EN: 0
; COMPUTE_PGM_RSRC2:TGID_Z_EN: 0
; COMPUTE_PGM_RSRC2:TIDIG_COMP_CNT: 0
; COMPUTE_PGM_RSRC3_GFX90A:ACCUM_OFFSET: 0
; COMPUTE_PGM_RSRC3_GFX90A:TG_SPLIT: 0
	.section	.text._ZN7rocprim17ROCPRIM_400000_NS6detail17trampoline_kernelINS0_14default_configENS1_38merge_sort_block_merge_config_selectorIilEEZZNS1_27merge_sort_block_merge_implIS3_PiN6thrust23THRUST_200600_302600_NS10device_ptrIlEEjNS1_19radix_merge_compareILb0ELb0EiNS0_19identity_decomposerEEEEE10hipError_tT0_T1_T2_jT3_P12ihipStream_tbPNSt15iterator_traitsISG_E10value_typeEPNSM_ISH_E10value_typeEPSI_NS1_7vsmem_tEENKUlT_SG_SH_SI_E_clIS7_S7_SB_PlEESF_SV_SG_SH_SI_EUlSV_E1_NS1_11comp_targetILNS1_3genE0ELNS1_11target_archE4294967295ELNS1_3gpuE0ELNS1_3repE0EEENS1_36merge_oddeven_config_static_selectorELNS0_4arch9wavefront6targetE1EEEvSH_,"axG",@progbits,_ZN7rocprim17ROCPRIM_400000_NS6detail17trampoline_kernelINS0_14default_configENS1_38merge_sort_block_merge_config_selectorIilEEZZNS1_27merge_sort_block_merge_implIS3_PiN6thrust23THRUST_200600_302600_NS10device_ptrIlEEjNS1_19radix_merge_compareILb0ELb0EiNS0_19identity_decomposerEEEEE10hipError_tT0_T1_T2_jT3_P12ihipStream_tbPNSt15iterator_traitsISG_E10value_typeEPNSM_ISH_E10value_typeEPSI_NS1_7vsmem_tEENKUlT_SG_SH_SI_E_clIS7_S7_SB_PlEESF_SV_SG_SH_SI_EUlSV_E1_NS1_11comp_targetILNS1_3genE0ELNS1_11target_archE4294967295ELNS1_3gpuE0ELNS1_3repE0EEENS1_36merge_oddeven_config_static_selectorELNS0_4arch9wavefront6targetE1EEEvSH_,comdat
	.protected	_ZN7rocprim17ROCPRIM_400000_NS6detail17trampoline_kernelINS0_14default_configENS1_38merge_sort_block_merge_config_selectorIilEEZZNS1_27merge_sort_block_merge_implIS3_PiN6thrust23THRUST_200600_302600_NS10device_ptrIlEEjNS1_19radix_merge_compareILb0ELb0EiNS0_19identity_decomposerEEEEE10hipError_tT0_T1_T2_jT3_P12ihipStream_tbPNSt15iterator_traitsISG_E10value_typeEPNSM_ISH_E10value_typeEPSI_NS1_7vsmem_tEENKUlT_SG_SH_SI_E_clIS7_S7_SB_PlEESF_SV_SG_SH_SI_EUlSV_E1_NS1_11comp_targetILNS1_3genE0ELNS1_11target_archE4294967295ELNS1_3gpuE0ELNS1_3repE0EEENS1_36merge_oddeven_config_static_selectorELNS0_4arch9wavefront6targetE1EEEvSH_ ; -- Begin function _ZN7rocprim17ROCPRIM_400000_NS6detail17trampoline_kernelINS0_14default_configENS1_38merge_sort_block_merge_config_selectorIilEEZZNS1_27merge_sort_block_merge_implIS3_PiN6thrust23THRUST_200600_302600_NS10device_ptrIlEEjNS1_19radix_merge_compareILb0ELb0EiNS0_19identity_decomposerEEEEE10hipError_tT0_T1_T2_jT3_P12ihipStream_tbPNSt15iterator_traitsISG_E10value_typeEPNSM_ISH_E10value_typeEPSI_NS1_7vsmem_tEENKUlT_SG_SH_SI_E_clIS7_S7_SB_PlEESF_SV_SG_SH_SI_EUlSV_E1_NS1_11comp_targetILNS1_3genE0ELNS1_11target_archE4294967295ELNS1_3gpuE0ELNS1_3repE0EEENS1_36merge_oddeven_config_static_selectorELNS0_4arch9wavefront6targetE1EEEvSH_
	.globl	_ZN7rocprim17ROCPRIM_400000_NS6detail17trampoline_kernelINS0_14default_configENS1_38merge_sort_block_merge_config_selectorIilEEZZNS1_27merge_sort_block_merge_implIS3_PiN6thrust23THRUST_200600_302600_NS10device_ptrIlEEjNS1_19radix_merge_compareILb0ELb0EiNS0_19identity_decomposerEEEEE10hipError_tT0_T1_T2_jT3_P12ihipStream_tbPNSt15iterator_traitsISG_E10value_typeEPNSM_ISH_E10value_typeEPSI_NS1_7vsmem_tEENKUlT_SG_SH_SI_E_clIS7_S7_SB_PlEESF_SV_SG_SH_SI_EUlSV_E1_NS1_11comp_targetILNS1_3genE0ELNS1_11target_archE4294967295ELNS1_3gpuE0ELNS1_3repE0EEENS1_36merge_oddeven_config_static_selectorELNS0_4arch9wavefront6targetE1EEEvSH_
	.p2align	8
	.type	_ZN7rocprim17ROCPRIM_400000_NS6detail17trampoline_kernelINS0_14default_configENS1_38merge_sort_block_merge_config_selectorIilEEZZNS1_27merge_sort_block_merge_implIS3_PiN6thrust23THRUST_200600_302600_NS10device_ptrIlEEjNS1_19radix_merge_compareILb0ELb0EiNS0_19identity_decomposerEEEEE10hipError_tT0_T1_T2_jT3_P12ihipStream_tbPNSt15iterator_traitsISG_E10value_typeEPNSM_ISH_E10value_typeEPSI_NS1_7vsmem_tEENKUlT_SG_SH_SI_E_clIS7_S7_SB_PlEESF_SV_SG_SH_SI_EUlSV_E1_NS1_11comp_targetILNS1_3genE0ELNS1_11target_archE4294967295ELNS1_3gpuE0ELNS1_3repE0EEENS1_36merge_oddeven_config_static_selectorELNS0_4arch9wavefront6targetE1EEEvSH_,@function
_ZN7rocprim17ROCPRIM_400000_NS6detail17trampoline_kernelINS0_14default_configENS1_38merge_sort_block_merge_config_selectorIilEEZZNS1_27merge_sort_block_merge_implIS3_PiN6thrust23THRUST_200600_302600_NS10device_ptrIlEEjNS1_19radix_merge_compareILb0ELb0EiNS0_19identity_decomposerEEEEE10hipError_tT0_T1_T2_jT3_P12ihipStream_tbPNSt15iterator_traitsISG_E10value_typeEPNSM_ISH_E10value_typeEPSI_NS1_7vsmem_tEENKUlT_SG_SH_SI_E_clIS7_S7_SB_PlEESF_SV_SG_SH_SI_EUlSV_E1_NS1_11comp_targetILNS1_3genE0ELNS1_11target_archE4294967295ELNS1_3gpuE0ELNS1_3repE0EEENS1_36merge_oddeven_config_static_selectorELNS0_4arch9wavefront6targetE1EEEvSH_: ; @_ZN7rocprim17ROCPRIM_400000_NS6detail17trampoline_kernelINS0_14default_configENS1_38merge_sort_block_merge_config_selectorIilEEZZNS1_27merge_sort_block_merge_implIS3_PiN6thrust23THRUST_200600_302600_NS10device_ptrIlEEjNS1_19radix_merge_compareILb0ELb0EiNS0_19identity_decomposerEEEEE10hipError_tT0_T1_T2_jT3_P12ihipStream_tbPNSt15iterator_traitsISG_E10value_typeEPNSM_ISH_E10value_typeEPSI_NS1_7vsmem_tEENKUlT_SG_SH_SI_E_clIS7_S7_SB_PlEESF_SV_SG_SH_SI_EUlSV_E1_NS1_11comp_targetILNS1_3genE0ELNS1_11target_archE4294967295ELNS1_3gpuE0ELNS1_3repE0EEENS1_36merge_oddeven_config_static_selectorELNS0_4arch9wavefront6targetE1EEEvSH_
; %bb.0:
	.section	.rodata,"a",@progbits
	.p2align	6, 0x0
	.amdhsa_kernel _ZN7rocprim17ROCPRIM_400000_NS6detail17trampoline_kernelINS0_14default_configENS1_38merge_sort_block_merge_config_selectorIilEEZZNS1_27merge_sort_block_merge_implIS3_PiN6thrust23THRUST_200600_302600_NS10device_ptrIlEEjNS1_19radix_merge_compareILb0ELb0EiNS0_19identity_decomposerEEEEE10hipError_tT0_T1_T2_jT3_P12ihipStream_tbPNSt15iterator_traitsISG_E10value_typeEPNSM_ISH_E10value_typeEPSI_NS1_7vsmem_tEENKUlT_SG_SH_SI_E_clIS7_S7_SB_PlEESF_SV_SG_SH_SI_EUlSV_E1_NS1_11comp_targetILNS1_3genE0ELNS1_11target_archE4294967295ELNS1_3gpuE0ELNS1_3repE0EEENS1_36merge_oddeven_config_static_selectorELNS0_4arch9wavefront6targetE1EEEvSH_
		.amdhsa_group_segment_fixed_size 0
		.amdhsa_private_segment_fixed_size 0
		.amdhsa_kernarg_size 48
		.amdhsa_user_sgpr_count 6
		.amdhsa_user_sgpr_private_segment_buffer 1
		.amdhsa_user_sgpr_dispatch_ptr 0
		.amdhsa_user_sgpr_queue_ptr 0
		.amdhsa_user_sgpr_kernarg_segment_ptr 1
		.amdhsa_user_sgpr_dispatch_id 0
		.amdhsa_user_sgpr_flat_scratch_init 0
		.amdhsa_user_sgpr_kernarg_preload_length 0
		.amdhsa_user_sgpr_kernarg_preload_offset 0
		.amdhsa_user_sgpr_private_segment_size 0
		.amdhsa_uses_dynamic_stack 0
		.amdhsa_system_sgpr_private_segment_wavefront_offset 0
		.amdhsa_system_sgpr_workgroup_id_x 1
		.amdhsa_system_sgpr_workgroup_id_y 0
		.amdhsa_system_sgpr_workgroup_id_z 0
		.amdhsa_system_sgpr_workgroup_info 0
		.amdhsa_system_vgpr_workitem_id 0
		.amdhsa_next_free_vgpr 1
		.amdhsa_next_free_sgpr 0
		.amdhsa_accum_offset 4
		.amdhsa_reserve_vcc 0
		.amdhsa_reserve_flat_scratch 0
		.amdhsa_float_round_mode_32 0
		.amdhsa_float_round_mode_16_64 0
		.amdhsa_float_denorm_mode_32 3
		.amdhsa_float_denorm_mode_16_64 3
		.amdhsa_dx10_clamp 1
		.amdhsa_ieee_mode 1
		.amdhsa_fp16_overflow 0
		.amdhsa_tg_split 0
		.amdhsa_exception_fp_ieee_invalid_op 0
		.amdhsa_exception_fp_denorm_src 0
		.amdhsa_exception_fp_ieee_div_zero 0
		.amdhsa_exception_fp_ieee_overflow 0
		.amdhsa_exception_fp_ieee_underflow 0
		.amdhsa_exception_fp_ieee_inexact 0
		.amdhsa_exception_int_div_zero 0
	.end_amdhsa_kernel
	.section	.text._ZN7rocprim17ROCPRIM_400000_NS6detail17trampoline_kernelINS0_14default_configENS1_38merge_sort_block_merge_config_selectorIilEEZZNS1_27merge_sort_block_merge_implIS3_PiN6thrust23THRUST_200600_302600_NS10device_ptrIlEEjNS1_19radix_merge_compareILb0ELb0EiNS0_19identity_decomposerEEEEE10hipError_tT0_T1_T2_jT3_P12ihipStream_tbPNSt15iterator_traitsISG_E10value_typeEPNSM_ISH_E10value_typeEPSI_NS1_7vsmem_tEENKUlT_SG_SH_SI_E_clIS7_S7_SB_PlEESF_SV_SG_SH_SI_EUlSV_E1_NS1_11comp_targetILNS1_3genE0ELNS1_11target_archE4294967295ELNS1_3gpuE0ELNS1_3repE0EEENS1_36merge_oddeven_config_static_selectorELNS0_4arch9wavefront6targetE1EEEvSH_,"axG",@progbits,_ZN7rocprim17ROCPRIM_400000_NS6detail17trampoline_kernelINS0_14default_configENS1_38merge_sort_block_merge_config_selectorIilEEZZNS1_27merge_sort_block_merge_implIS3_PiN6thrust23THRUST_200600_302600_NS10device_ptrIlEEjNS1_19radix_merge_compareILb0ELb0EiNS0_19identity_decomposerEEEEE10hipError_tT0_T1_T2_jT3_P12ihipStream_tbPNSt15iterator_traitsISG_E10value_typeEPNSM_ISH_E10value_typeEPSI_NS1_7vsmem_tEENKUlT_SG_SH_SI_E_clIS7_S7_SB_PlEESF_SV_SG_SH_SI_EUlSV_E1_NS1_11comp_targetILNS1_3genE0ELNS1_11target_archE4294967295ELNS1_3gpuE0ELNS1_3repE0EEENS1_36merge_oddeven_config_static_selectorELNS0_4arch9wavefront6targetE1EEEvSH_,comdat
.Lfunc_end784:
	.size	_ZN7rocprim17ROCPRIM_400000_NS6detail17trampoline_kernelINS0_14default_configENS1_38merge_sort_block_merge_config_selectorIilEEZZNS1_27merge_sort_block_merge_implIS3_PiN6thrust23THRUST_200600_302600_NS10device_ptrIlEEjNS1_19radix_merge_compareILb0ELb0EiNS0_19identity_decomposerEEEEE10hipError_tT0_T1_T2_jT3_P12ihipStream_tbPNSt15iterator_traitsISG_E10value_typeEPNSM_ISH_E10value_typeEPSI_NS1_7vsmem_tEENKUlT_SG_SH_SI_E_clIS7_S7_SB_PlEESF_SV_SG_SH_SI_EUlSV_E1_NS1_11comp_targetILNS1_3genE0ELNS1_11target_archE4294967295ELNS1_3gpuE0ELNS1_3repE0EEENS1_36merge_oddeven_config_static_selectorELNS0_4arch9wavefront6targetE1EEEvSH_, .Lfunc_end784-_ZN7rocprim17ROCPRIM_400000_NS6detail17trampoline_kernelINS0_14default_configENS1_38merge_sort_block_merge_config_selectorIilEEZZNS1_27merge_sort_block_merge_implIS3_PiN6thrust23THRUST_200600_302600_NS10device_ptrIlEEjNS1_19radix_merge_compareILb0ELb0EiNS0_19identity_decomposerEEEEE10hipError_tT0_T1_T2_jT3_P12ihipStream_tbPNSt15iterator_traitsISG_E10value_typeEPNSM_ISH_E10value_typeEPSI_NS1_7vsmem_tEENKUlT_SG_SH_SI_E_clIS7_S7_SB_PlEESF_SV_SG_SH_SI_EUlSV_E1_NS1_11comp_targetILNS1_3genE0ELNS1_11target_archE4294967295ELNS1_3gpuE0ELNS1_3repE0EEENS1_36merge_oddeven_config_static_selectorELNS0_4arch9wavefront6targetE1EEEvSH_
                                        ; -- End function
	.section	.AMDGPU.csdata,"",@progbits
; Kernel info:
; codeLenInByte = 0
; NumSgprs: 4
; NumVgprs: 0
; NumAgprs: 0
; TotalNumVgprs: 0
; ScratchSize: 0
; MemoryBound: 0
; FloatMode: 240
; IeeeMode: 1
; LDSByteSize: 0 bytes/workgroup (compile time only)
; SGPRBlocks: 0
; VGPRBlocks: 0
; NumSGPRsForWavesPerEU: 4
; NumVGPRsForWavesPerEU: 1
; AccumOffset: 4
; Occupancy: 8
; WaveLimiterHint : 0
; COMPUTE_PGM_RSRC2:SCRATCH_EN: 0
; COMPUTE_PGM_RSRC2:USER_SGPR: 6
; COMPUTE_PGM_RSRC2:TRAP_HANDLER: 0
; COMPUTE_PGM_RSRC2:TGID_X_EN: 1
; COMPUTE_PGM_RSRC2:TGID_Y_EN: 0
; COMPUTE_PGM_RSRC2:TGID_Z_EN: 0
; COMPUTE_PGM_RSRC2:TIDIG_COMP_CNT: 0
; COMPUTE_PGM_RSRC3_GFX90A:ACCUM_OFFSET: 0
; COMPUTE_PGM_RSRC3_GFX90A:TG_SPLIT: 0
	.section	.text._ZN7rocprim17ROCPRIM_400000_NS6detail17trampoline_kernelINS0_14default_configENS1_38merge_sort_block_merge_config_selectorIilEEZZNS1_27merge_sort_block_merge_implIS3_PiN6thrust23THRUST_200600_302600_NS10device_ptrIlEEjNS1_19radix_merge_compareILb0ELb0EiNS0_19identity_decomposerEEEEE10hipError_tT0_T1_T2_jT3_P12ihipStream_tbPNSt15iterator_traitsISG_E10value_typeEPNSM_ISH_E10value_typeEPSI_NS1_7vsmem_tEENKUlT_SG_SH_SI_E_clIS7_S7_SB_PlEESF_SV_SG_SH_SI_EUlSV_E1_NS1_11comp_targetILNS1_3genE10ELNS1_11target_archE1201ELNS1_3gpuE5ELNS1_3repE0EEENS1_36merge_oddeven_config_static_selectorELNS0_4arch9wavefront6targetE1EEEvSH_,"axG",@progbits,_ZN7rocprim17ROCPRIM_400000_NS6detail17trampoline_kernelINS0_14default_configENS1_38merge_sort_block_merge_config_selectorIilEEZZNS1_27merge_sort_block_merge_implIS3_PiN6thrust23THRUST_200600_302600_NS10device_ptrIlEEjNS1_19radix_merge_compareILb0ELb0EiNS0_19identity_decomposerEEEEE10hipError_tT0_T1_T2_jT3_P12ihipStream_tbPNSt15iterator_traitsISG_E10value_typeEPNSM_ISH_E10value_typeEPSI_NS1_7vsmem_tEENKUlT_SG_SH_SI_E_clIS7_S7_SB_PlEESF_SV_SG_SH_SI_EUlSV_E1_NS1_11comp_targetILNS1_3genE10ELNS1_11target_archE1201ELNS1_3gpuE5ELNS1_3repE0EEENS1_36merge_oddeven_config_static_selectorELNS0_4arch9wavefront6targetE1EEEvSH_,comdat
	.protected	_ZN7rocprim17ROCPRIM_400000_NS6detail17trampoline_kernelINS0_14default_configENS1_38merge_sort_block_merge_config_selectorIilEEZZNS1_27merge_sort_block_merge_implIS3_PiN6thrust23THRUST_200600_302600_NS10device_ptrIlEEjNS1_19radix_merge_compareILb0ELb0EiNS0_19identity_decomposerEEEEE10hipError_tT0_T1_T2_jT3_P12ihipStream_tbPNSt15iterator_traitsISG_E10value_typeEPNSM_ISH_E10value_typeEPSI_NS1_7vsmem_tEENKUlT_SG_SH_SI_E_clIS7_S7_SB_PlEESF_SV_SG_SH_SI_EUlSV_E1_NS1_11comp_targetILNS1_3genE10ELNS1_11target_archE1201ELNS1_3gpuE5ELNS1_3repE0EEENS1_36merge_oddeven_config_static_selectorELNS0_4arch9wavefront6targetE1EEEvSH_ ; -- Begin function _ZN7rocprim17ROCPRIM_400000_NS6detail17trampoline_kernelINS0_14default_configENS1_38merge_sort_block_merge_config_selectorIilEEZZNS1_27merge_sort_block_merge_implIS3_PiN6thrust23THRUST_200600_302600_NS10device_ptrIlEEjNS1_19radix_merge_compareILb0ELb0EiNS0_19identity_decomposerEEEEE10hipError_tT0_T1_T2_jT3_P12ihipStream_tbPNSt15iterator_traitsISG_E10value_typeEPNSM_ISH_E10value_typeEPSI_NS1_7vsmem_tEENKUlT_SG_SH_SI_E_clIS7_S7_SB_PlEESF_SV_SG_SH_SI_EUlSV_E1_NS1_11comp_targetILNS1_3genE10ELNS1_11target_archE1201ELNS1_3gpuE5ELNS1_3repE0EEENS1_36merge_oddeven_config_static_selectorELNS0_4arch9wavefront6targetE1EEEvSH_
	.globl	_ZN7rocprim17ROCPRIM_400000_NS6detail17trampoline_kernelINS0_14default_configENS1_38merge_sort_block_merge_config_selectorIilEEZZNS1_27merge_sort_block_merge_implIS3_PiN6thrust23THRUST_200600_302600_NS10device_ptrIlEEjNS1_19radix_merge_compareILb0ELb0EiNS0_19identity_decomposerEEEEE10hipError_tT0_T1_T2_jT3_P12ihipStream_tbPNSt15iterator_traitsISG_E10value_typeEPNSM_ISH_E10value_typeEPSI_NS1_7vsmem_tEENKUlT_SG_SH_SI_E_clIS7_S7_SB_PlEESF_SV_SG_SH_SI_EUlSV_E1_NS1_11comp_targetILNS1_3genE10ELNS1_11target_archE1201ELNS1_3gpuE5ELNS1_3repE0EEENS1_36merge_oddeven_config_static_selectorELNS0_4arch9wavefront6targetE1EEEvSH_
	.p2align	8
	.type	_ZN7rocprim17ROCPRIM_400000_NS6detail17trampoline_kernelINS0_14default_configENS1_38merge_sort_block_merge_config_selectorIilEEZZNS1_27merge_sort_block_merge_implIS3_PiN6thrust23THRUST_200600_302600_NS10device_ptrIlEEjNS1_19radix_merge_compareILb0ELb0EiNS0_19identity_decomposerEEEEE10hipError_tT0_T1_T2_jT3_P12ihipStream_tbPNSt15iterator_traitsISG_E10value_typeEPNSM_ISH_E10value_typeEPSI_NS1_7vsmem_tEENKUlT_SG_SH_SI_E_clIS7_S7_SB_PlEESF_SV_SG_SH_SI_EUlSV_E1_NS1_11comp_targetILNS1_3genE10ELNS1_11target_archE1201ELNS1_3gpuE5ELNS1_3repE0EEENS1_36merge_oddeven_config_static_selectorELNS0_4arch9wavefront6targetE1EEEvSH_,@function
_ZN7rocprim17ROCPRIM_400000_NS6detail17trampoline_kernelINS0_14default_configENS1_38merge_sort_block_merge_config_selectorIilEEZZNS1_27merge_sort_block_merge_implIS3_PiN6thrust23THRUST_200600_302600_NS10device_ptrIlEEjNS1_19radix_merge_compareILb0ELb0EiNS0_19identity_decomposerEEEEE10hipError_tT0_T1_T2_jT3_P12ihipStream_tbPNSt15iterator_traitsISG_E10value_typeEPNSM_ISH_E10value_typeEPSI_NS1_7vsmem_tEENKUlT_SG_SH_SI_E_clIS7_S7_SB_PlEESF_SV_SG_SH_SI_EUlSV_E1_NS1_11comp_targetILNS1_3genE10ELNS1_11target_archE1201ELNS1_3gpuE5ELNS1_3repE0EEENS1_36merge_oddeven_config_static_selectorELNS0_4arch9wavefront6targetE1EEEvSH_: ; @_ZN7rocprim17ROCPRIM_400000_NS6detail17trampoline_kernelINS0_14default_configENS1_38merge_sort_block_merge_config_selectorIilEEZZNS1_27merge_sort_block_merge_implIS3_PiN6thrust23THRUST_200600_302600_NS10device_ptrIlEEjNS1_19radix_merge_compareILb0ELb0EiNS0_19identity_decomposerEEEEE10hipError_tT0_T1_T2_jT3_P12ihipStream_tbPNSt15iterator_traitsISG_E10value_typeEPNSM_ISH_E10value_typeEPSI_NS1_7vsmem_tEENKUlT_SG_SH_SI_E_clIS7_S7_SB_PlEESF_SV_SG_SH_SI_EUlSV_E1_NS1_11comp_targetILNS1_3genE10ELNS1_11target_archE1201ELNS1_3gpuE5ELNS1_3repE0EEENS1_36merge_oddeven_config_static_selectorELNS0_4arch9wavefront6targetE1EEEvSH_
; %bb.0:
	.section	.rodata,"a",@progbits
	.p2align	6, 0x0
	.amdhsa_kernel _ZN7rocprim17ROCPRIM_400000_NS6detail17trampoline_kernelINS0_14default_configENS1_38merge_sort_block_merge_config_selectorIilEEZZNS1_27merge_sort_block_merge_implIS3_PiN6thrust23THRUST_200600_302600_NS10device_ptrIlEEjNS1_19radix_merge_compareILb0ELb0EiNS0_19identity_decomposerEEEEE10hipError_tT0_T1_T2_jT3_P12ihipStream_tbPNSt15iterator_traitsISG_E10value_typeEPNSM_ISH_E10value_typeEPSI_NS1_7vsmem_tEENKUlT_SG_SH_SI_E_clIS7_S7_SB_PlEESF_SV_SG_SH_SI_EUlSV_E1_NS1_11comp_targetILNS1_3genE10ELNS1_11target_archE1201ELNS1_3gpuE5ELNS1_3repE0EEENS1_36merge_oddeven_config_static_selectorELNS0_4arch9wavefront6targetE1EEEvSH_
		.amdhsa_group_segment_fixed_size 0
		.amdhsa_private_segment_fixed_size 0
		.amdhsa_kernarg_size 48
		.amdhsa_user_sgpr_count 6
		.amdhsa_user_sgpr_private_segment_buffer 1
		.amdhsa_user_sgpr_dispatch_ptr 0
		.amdhsa_user_sgpr_queue_ptr 0
		.amdhsa_user_sgpr_kernarg_segment_ptr 1
		.amdhsa_user_sgpr_dispatch_id 0
		.amdhsa_user_sgpr_flat_scratch_init 0
		.amdhsa_user_sgpr_kernarg_preload_length 0
		.amdhsa_user_sgpr_kernarg_preload_offset 0
		.amdhsa_user_sgpr_private_segment_size 0
		.amdhsa_uses_dynamic_stack 0
		.amdhsa_system_sgpr_private_segment_wavefront_offset 0
		.amdhsa_system_sgpr_workgroup_id_x 1
		.amdhsa_system_sgpr_workgroup_id_y 0
		.amdhsa_system_sgpr_workgroup_id_z 0
		.amdhsa_system_sgpr_workgroup_info 0
		.amdhsa_system_vgpr_workitem_id 0
		.amdhsa_next_free_vgpr 1
		.amdhsa_next_free_sgpr 0
		.amdhsa_accum_offset 4
		.amdhsa_reserve_vcc 0
		.amdhsa_reserve_flat_scratch 0
		.amdhsa_float_round_mode_32 0
		.amdhsa_float_round_mode_16_64 0
		.amdhsa_float_denorm_mode_32 3
		.amdhsa_float_denorm_mode_16_64 3
		.amdhsa_dx10_clamp 1
		.amdhsa_ieee_mode 1
		.amdhsa_fp16_overflow 0
		.amdhsa_tg_split 0
		.amdhsa_exception_fp_ieee_invalid_op 0
		.amdhsa_exception_fp_denorm_src 0
		.amdhsa_exception_fp_ieee_div_zero 0
		.amdhsa_exception_fp_ieee_overflow 0
		.amdhsa_exception_fp_ieee_underflow 0
		.amdhsa_exception_fp_ieee_inexact 0
		.amdhsa_exception_int_div_zero 0
	.end_amdhsa_kernel
	.section	.text._ZN7rocprim17ROCPRIM_400000_NS6detail17trampoline_kernelINS0_14default_configENS1_38merge_sort_block_merge_config_selectorIilEEZZNS1_27merge_sort_block_merge_implIS3_PiN6thrust23THRUST_200600_302600_NS10device_ptrIlEEjNS1_19radix_merge_compareILb0ELb0EiNS0_19identity_decomposerEEEEE10hipError_tT0_T1_T2_jT3_P12ihipStream_tbPNSt15iterator_traitsISG_E10value_typeEPNSM_ISH_E10value_typeEPSI_NS1_7vsmem_tEENKUlT_SG_SH_SI_E_clIS7_S7_SB_PlEESF_SV_SG_SH_SI_EUlSV_E1_NS1_11comp_targetILNS1_3genE10ELNS1_11target_archE1201ELNS1_3gpuE5ELNS1_3repE0EEENS1_36merge_oddeven_config_static_selectorELNS0_4arch9wavefront6targetE1EEEvSH_,"axG",@progbits,_ZN7rocprim17ROCPRIM_400000_NS6detail17trampoline_kernelINS0_14default_configENS1_38merge_sort_block_merge_config_selectorIilEEZZNS1_27merge_sort_block_merge_implIS3_PiN6thrust23THRUST_200600_302600_NS10device_ptrIlEEjNS1_19radix_merge_compareILb0ELb0EiNS0_19identity_decomposerEEEEE10hipError_tT0_T1_T2_jT3_P12ihipStream_tbPNSt15iterator_traitsISG_E10value_typeEPNSM_ISH_E10value_typeEPSI_NS1_7vsmem_tEENKUlT_SG_SH_SI_E_clIS7_S7_SB_PlEESF_SV_SG_SH_SI_EUlSV_E1_NS1_11comp_targetILNS1_3genE10ELNS1_11target_archE1201ELNS1_3gpuE5ELNS1_3repE0EEENS1_36merge_oddeven_config_static_selectorELNS0_4arch9wavefront6targetE1EEEvSH_,comdat
.Lfunc_end785:
	.size	_ZN7rocprim17ROCPRIM_400000_NS6detail17trampoline_kernelINS0_14default_configENS1_38merge_sort_block_merge_config_selectorIilEEZZNS1_27merge_sort_block_merge_implIS3_PiN6thrust23THRUST_200600_302600_NS10device_ptrIlEEjNS1_19radix_merge_compareILb0ELb0EiNS0_19identity_decomposerEEEEE10hipError_tT0_T1_T2_jT3_P12ihipStream_tbPNSt15iterator_traitsISG_E10value_typeEPNSM_ISH_E10value_typeEPSI_NS1_7vsmem_tEENKUlT_SG_SH_SI_E_clIS7_S7_SB_PlEESF_SV_SG_SH_SI_EUlSV_E1_NS1_11comp_targetILNS1_3genE10ELNS1_11target_archE1201ELNS1_3gpuE5ELNS1_3repE0EEENS1_36merge_oddeven_config_static_selectorELNS0_4arch9wavefront6targetE1EEEvSH_, .Lfunc_end785-_ZN7rocprim17ROCPRIM_400000_NS6detail17trampoline_kernelINS0_14default_configENS1_38merge_sort_block_merge_config_selectorIilEEZZNS1_27merge_sort_block_merge_implIS3_PiN6thrust23THRUST_200600_302600_NS10device_ptrIlEEjNS1_19radix_merge_compareILb0ELb0EiNS0_19identity_decomposerEEEEE10hipError_tT0_T1_T2_jT3_P12ihipStream_tbPNSt15iterator_traitsISG_E10value_typeEPNSM_ISH_E10value_typeEPSI_NS1_7vsmem_tEENKUlT_SG_SH_SI_E_clIS7_S7_SB_PlEESF_SV_SG_SH_SI_EUlSV_E1_NS1_11comp_targetILNS1_3genE10ELNS1_11target_archE1201ELNS1_3gpuE5ELNS1_3repE0EEENS1_36merge_oddeven_config_static_selectorELNS0_4arch9wavefront6targetE1EEEvSH_
                                        ; -- End function
	.section	.AMDGPU.csdata,"",@progbits
; Kernel info:
; codeLenInByte = 0
; NumSgprs: 4
; NumVgprs: 0
; NumAgprs: 0
; TotalNumVgprs: 0
; ScratchSize: 0
; MemoryBound: 0
; FloatMode: 240
; IeeeMode: 1
; LDSByteSize: 0 bytes/workgroup (compile time only)
; SGPRBlocks: 0
; VGPRBlocks: 0
; NumSGPRsForWavesPerEU: 4
; NumVGPRsForWavesPerEU: 1
; AccumOffset: 4
; Occupancy: 8
; WaveLimiterHint : 0
; COMPUTE_PGM_RSRC2:SCRATCH_EN: 0
; COMPUTE_PGM_RSRC2:USER_SGPR: 6
; COMPUTE_PGM_RSRC2:TRAP_HANDLER: 0
; COMPUTE_PGM_RSRC2:TGID_X_EN: 1
; COMPUTE_PGM_RSRC2:TGID_Y_EN: 0
; COMPUTE_PGM_RSRC2:TGID_Z_EN: 0
; COMPUTE_PGM_RSRC2:TIDIG_COMP_CNT: 0
; COMPUTE_PGM_RSRC3_GFX90A:ACCUM_OFFSET: 0
; COMPUTE_PGM_RSRC3_GFX90A:TG_SPLIT: 0
	.section	.text._ZN7rocprim17ROCPRIM_400000_NS6detail17trampoline_kernelINS0_14default_configENS1_38merge_sort_block_merge_config_selectorIilEEZZNS1_27merge_sort_block_merge_implIS3_PiN6thrust23THRUST_200600_302600_NS10device_ptrIlEEjNS1_19radix_merge_compareILb0ELb0EiNS0_19identity_decomposerEEEEE10hipError_tT0_T1_T2_jT3_P12ihipStream_tbPNSt15iterator_traitsISG_E10value_typeEPNSM_ISH_E10value_typeEPSI_NS1_7vsmem_tEENKUlT_SG_SH_SI_E_clIS7_S7_SB_PlEESF_SV_SG_SH_SI_EUlSV_E1_NS1_11comp_targetILNS1_3genE5ELNS1_11target_archE942ELNS1_3gpuE9ELNS1_3repE0EEENS1_36merge_oddeven_config_static_selectorELNS0_4arch9wavefront6targetE1EEEvSH_,"axG",@progbits,_ZN7rocprim17ROCPRIM_400000_NS6detail17trampoline_kernelINS0_14default_configENS1_38merge_sort_block_merge_config_selectorIilEEZZNS1_27merge_sort_block_merge_implIS3_PiN6thrust23THRUST_200600_302600_NS10device_ptrIlEEjNS1_19radix_merge_compareILb0ELb0EiNS0_19identity_decomposerEEEEE10hipError_tT0_T1_T2_jT3_P12ihipStream_tbPNSt15iterator_traitsISG_E10value_typeEPNSM_ISH_E10value_typeEPSI_NS1_7vsmem_tEENKUlT_SG_SH_SI_E_clIS7_S7_SB_PlEESF_SV_SG_SH_SI_EUlSV_E1_NS1_11comp_targetILNS1_3genE5ELNS1_11target_archE942ELNS1_3gpuE9ELNS1_3repE0EEENS1_36merge_oddeven_config_static_selectorELNS0_4arch9wavefront6targetE1EEEvSH_,comdat
	.protected	_ZN7rocprim17ROCPRIM_400000_NS6detail17trampoline_kernelINS0_14default_configENS1_38merge_sort_block_merge_config_selectorIilEEZZNS1_27merge_sort_block_merge_implIS3_PiN6thrust23THRUST_200600_302600_NS10device_ptrIlEEjNS1_19radix_merge_compareILb0ELb0EiNS0_19identity_decomposerEEEEE10hipError_tT0_T1_T2_jT3_P12ihipStream_tbPNSt15iterator_traitsISG_E10value_typeEPNSM_ISH_E10value_typeEPSI_NS1_7vsmem_tEENKUlT_SG_SH_SI_E_clIS7_S7_SB_PlEESF_SV_SG_SH_SI_EUlSV_E1_NS1_11comp_targetILNS1_3genE5ELNS1_11target_archE942ELNS1_3gpuE9ELNS1_3repE0EEENS1_36merge_oddeven_config_static_selectorELNS0_4arch9wavefront6targetE1EEEvSH_ ; -- Begin function _ZN7rocprim17ROCPRIM_400000_NS6detail17trampoline_kernelINS0_14default_configENS1_38merge_sort_block_merge_config_selectorIilEEZZNS1_27merge_sort_block_merge_implIS3_PiN6thrust23THRUST_200600_302600_NS10device_ptrIlEEjNS1_19radix_merge_compareILb0ELb0EiNS0_19identity_decomposerEEEEE10hipError_tT0_T1_T2_jT3_P12ihipStream_tbPNSt15iterator_traitsISG_E10value_typeEPNSM_ISH_E10value_typeEPSI_NS1_7vsmem_tEENKUlT_SG_SH_SI_E_clIS7_S7_SB_PlEESF_SV_SG_SH_SI_EUlSV_E1_NS1_11comp_targetILNS1_3genE5ELNS1_11target_archE942ELNS1_3gpuE9ELNS1_3repE0EEENS1_36merge_oddeven_config_static_selectorELNS0_4arch9wavefront6targetE1EEEvSH_
	.globl	_ZN7rocprim17ROCPRIM_400000_NS6detail17trampoline_kernelINS0_14default_configENS1_38merge_sort_block_merge_config_selectorIilEEZZNS1_27merge_sort_block_merge_implIS3_PiN6thrust23THRUST_200600_302600_NS10device_ptrIlEEjNS1_19radix_merge_compareILb0ELb0EiNS0_19identity_decomposerEEEEE10hipError_tT0_T1_T2_jT3_P12ihipStream_tbPNSt15iterator_traitsISG_E10value_typeEPNSM_ISH_E10value_typeEPSI_NS1_7vsmem_tEENKUlT_SG_SH_SI_E_clIS7_S7_SB_PlEESF_SV_SG_SH_SI_EUlSV_E1_NS1_11comp_targetILNS1_3genE5ELNS1_11target_archE942ELNS1_3gpuE9ELNS1_3repE0EEENS1_36merge_oddeven_config_static_selectorELNS0_4arch9wavefront6targetE1EEEvSH_
	.p2align	8
	.type	_ZN7rocprim17ROCPRIM_400000_NS6detail17trampoline_kernelINS0_14default_configENS1_38merge_sort_block_merge_config_selectorIilEEZZNS1_27merge_sort_block_merge_implIS3_PiN6thrust23THRUST_200600_302600_NS10device_ptrIlEEjNS1_19radix_merge_compareILb0ELb0EiNS0_19identity_decomposerEEEEE10hipError_tT0_T1_T2_jT3_P12ihipStream_tbPNSt15iterator_traitsISG_E10value_typeEPNSM_ISH_E10value_typeEPSI_NS1_7vsmem_tEENKUlT_SG_SH_SI_E_clIS7_S7_SB_PlEESF_SV_SG_SH_SI_EUlSV_E1_NS1_11comp_targetILNS1_3genE5ELNS1_11target_archE942ELNS1_3gpuE9ELNS1_3repE0EEENS1_36merge_oddeven_config_static_selectorELNS0_4arch9wavefront6targetE1EEEvSH_,@function
_ZN7rocprim17ROCPRIM_400000_NS6detail17trampoline_kernelINS0_14default_configENS1_38merge_sort_block_merge_config_selectorIilEEZZNS1_27merge_sort_block_merge_implIS3_PiN6thrust23THRUST_200600_302600_NS10device_ptrIlEEjNS1_19radix_merge_compareILb0ELb0EiNS0_19identity_decomposerEEEEE10hipError_tT0_T1_T2_jT3_P12ihipStream_tbPNSt15iterator_traitsISG_E10value_typeEPNSM_ISH_E10value_typeEPSI_NS1_7vsmem_tEENKUlT_SG_SH_SI_E_clIS7_S7_SB_PlEESF_SV_SG_SH_SI_EUlSV_E1_NS1_11comp_targetILNS1_3genE5ELNS1_11target_archE942ELNS1_3gpuE9ELNS1_3repE0EEENS1_36merge_oddeven_config_static_selectorELNS0_4arch9wavefront6targetE1EEEvSH_: ; @_ZN7rocprim17ROCPRIM_400000_NS6detail17trampoline_kernelINS0_14default_configENS1_38merge_sort_block_merge_config_selectorIilEEZZNS1_27merge_sort_block_merge_implIS3_PiN6thrust23THRUST_200600_302600_NS10device_ptrIlEEjNS1_19radix_merge_compareILb0ELb0EiNS0_19identity_decomposerEEEEE10hipError_tT0_T1_T2_jT3_P12ihipStream_tbPNSt15iterator_traitsISG_E10value_typeEPNSM_ISH_E10value_typeEPSI_NS1_7vsmem_tEENKUlT_SG_SH_SI_E_clIS7_S7_SB_PlEESF_SV_SG_SH_SI_EUlSV_E1_NS1_11comp_targetILNS1_3genE5ELNS1_11target_archE942ELNS1_3gpuE9ELNS1_3repE0EEENS1_36merge_oddeven_config_static_selectorELNS0_4arch9wavefront6targetE1EEEvSH_
; %bb.0:
	.section	.rodata,"a",@progbits
	.p2align	6, 0x0
	.amdhsa_kernel _ZN7rocprim17ROCPRIM_400000_NS6detail17trampoline_kernelINS0_14default_configENS1_38merge_sort_block_merge_config_selectorIilEEZZNS1_27merge_sort_block_merge_implIS3_PiN6thrust23THRUST_200600_302600_NS10device_ptrIlEEjNS1_19radix_merge_compareILb0ELb0EiNS0_19identity_decomposerEEEEE10hipError_tT0_T1_T2_jT3_P12ihipStream_tbPNSt15iterator_traitsISG_E10value_typeEPNSM_ISH_E10value_typeEPSI_NS1_7vsmem_tEENKUlT_SG_SH_SI_E_clIS7_S7_SB_PlEESF_SV_SG_SH_SI_EUlSV_E1_NS1_11comp_targetILNS1_3genE5ELNS1_11target_archE942ELNS1_3gpuE9ELNS1_3repE0EEENS1_36merge_oddeven_config_static_selectorELNS0_4arch9wavefront6targetE1EEEvSH_
		.amdhsa_group_segment_fixed_size 0
		.amdhsa_private_segment_fixed_size 0
		.amdhsa_kernarg_size 48
		.amdhsa_user_sgpr_count 6
		.amdhsa_user_sgpr_private_segment_buffer 1
		.amdhsa_user_sgpr_dispatch_ptr 0
		.amdhsa_user_sgpr_queue_ptr 0
		.amdhsa_user_sgpr_kernarg_segment_ptr 1
		.amdhsa_user_sgpr_dispatch_id 0
		.amdhsa_user_sgpr_flat_scratch_init 0
		.amdhsa_user_sgpr_kernarg_preload_length 0
		.amdhsa_user_sgpr_kernarg_preload_offset 0
		.amdhsa_user_sgpr_private_segment_size 0
		.amdhsa_uses_dynamic_stack 0
		.amdhsa_system_sgpr_private_segment_wavefront_offset 0
		.amdhsa_system_sgpr_workgroup_id_x 1
		.amdhsa_system_sgpr_workgroup_id_y 0
		.amdhsa_system_sgpr_workgroup_id_z 0
		.amdhsa_system_sgpr_workgroup_info 0
		.amdhsa_system_vgpr_workitem_id 0
		.amdhsa_next_free_vgpr 1
		.amdhsa_next_free_sgpr 0
		.amdhsa_accum_offset 4
		.amdhsa_reserve_vcc 0
		.amdhsa_reserve_flat_scratch 0
		.amdhsa_float_round_mode_32 0
		.amdhsa_float_round_mode_16_64 0
		.amdhsa_float_denorm_mode_32 3
		.amdhsa_float_denorm_mode_16_64 3
		.amdhsa_dx10_clamp 1
		.amdhsa_ieee_mode 1
		.amdhsa_fp16_overflow 0
		.amdhsa_tg_split 0
		.amdhsa_exception_fp_ieee_invalid_op 0
		.amdhsa_exception_fp_denorm_src 0
		.amdhsa_exception_fp_ieee_div_zero 0
		.amdhsa_exception_fp_ieee_overflow 0
		.amdhsa_exception_fp_ieee_underflow 0
		.amdhsa_exception_fp_ieee_inexact 0
		.amdhsa_exception_int_div_zero 0
	.end_amdhsa_kernel
	.section	.text._ZN7rocprim17ROCPRIM_400000_NS6detail17trampoline_kernelINS0_14default_configENS1_38merge_sort_block_merge_config_selectorIilEEZZNS1_27merge_sort_block_merge_implIS3_PiN6thrust23THRUST_200600_302600_NS10device_ptrIlEEjNS1_19radix_merge_compareILb0ELb0EiNS0_19identity_decomposerEEEEE10hipError_tT0_T1_T2_jT3_P12ihipStream_tbPNSt15iterator_traitsISG_E10value_typeEPNSM_ISH_E10value_typeEPSI_NS1_7vsmem_tEENKUlT_SG_SH_SI_E_clIS7_S7_SB_PlEESF_SV_SG_SH_SI_EUlSV_E1_NS1_11comp_targetILNS1_3genE5ELNS1_11target_archE942ELNS1_3gpuE9ELNS1_3repE0EEENS1_36merge_oddeven_config_static_selectorELNS0_4arch9wavefront6targetE1EEEvSH_,"axG",@progbits,_ZN7rocprim17ROCPRIM_400000_NS6detail17trampoline_kernelINS0_14default_configENS1_38merge_sort_block_merge_config_selectorIilEEZZNS1_27merge_sort_block_merge_implIS3_PiN6thrust23THRUST_200600_302600_NS10device_ptrIlEEjNS1_19radix_merge_compareILb0ELb0EiNS0_19identity_decomposerEEEEE10hipError_tT0_T1_T2_jT3_P12ihipStream_tbPNSt15iterator_traitsISG_E10value_typeEPNSM_ISH_E10value_typeEPSI_NS1_7vsmem_tEENKUlT_SG_SH_SI_E_clIS7_S7_SB_PlEESF_SV_SG_SH_SI_EUlSV_E1_NS1_11comp_targetILNS1_3genE5ELNS1_11target_archE942ELNS1_3gpuE9ELNS1_3repE0EEENS1_36merge_oddeven_config_static_selectorELNS0_4arch9wavefront6targetE1EEEvSH_,comdat
.Lfunc_end786:
	.size	_ZN7rocprim17ROCPRIM_400000_NS6detail17trampoline_kernelINS0_14default_configENS1_38merge_sort_block_merge_config_selectorIilEEZZNS1_27merge_sort_block_merge_implIS3_PiN6thrust23THRUST_200600_302600_NS10device_ptrIlEEjNS1_19radix_merge_compareILb0ELb0EiNS0_19identity_decomposerEEEEE10hipError_tT0_T1_T2_jT3_P12ihipStream_tbPNSt15iterator_traitsISG_E10value_typeEPNSM_ISH_E10value_typeEPSI_NS1_7vsmem_tEENKUlT_SG_SH_SI_E_clIS7_S7_SB_PlEESF_SV_SG_SH_SI_EUlSV_E1_NS1_11comp_targetILNS1_3genE5ELNS1_11target_archE942ELNS1_3gpuE9ELNS1_3repE0EEENS1_36merge_oddeven_config_static_selectorELNS0_4arch9wavefront6targetE1EEEvSH_, .Lfunc_end786-_ZN7rocprim17ROCPRIM_400000_NS6detail17trampoline_kernelINS0_14default_configENS1_38merge_sort_block_merge_config_selectorIilEEZZNS1_27merge_sort_block_merge_implIS3_PiN6thrust23THRUST_200600_302600_NS10device_ptrIlEEjNS1_19radix_merge_compareILb0ELb0EiNS0_19identity_decomposerEEEEE10hipError_tT0_T1_T2_jT3_P12ihipStream_tbPNSt15iterator_traitsISG_E10value_typeEPNSM_ISH_E10value_typeEPSI_NS1_7vsmem_tEENKUlT_SG_SH_SI_E_clIS7_S7_SB_PlEESF_SV_SG_SH_SI_EUlSV_E1_NS1_11comp_targetILNS1_3genE5ELNS1_11target_archE942ELNS1_3gpuE9ELNS1_3repE0EEENS1_36merge_oddeven_config_static_selectorELNS0_4arch9wavefront6targetE1EEEvSH_
                                        ; -- End function
	.section	.AMDGPU.csdata,"",@progbits
; Kernel info:
; codeLenInByte = 0
; NumSgprs: 4
; NumVgprs: 0
; NumAgprs: 0
; TotalNumVgprs: 0
; ScratchSize: 0
; MemoryBound: 0
; FloatMode: 240
; IeeeMode: 1
; LDSByteSize: 0 bytes/workgroup (compile time only)
; SGPRBlocks: 0
; VGPRBlocks: 0
; NumSGPRsForWavesPerEU: 4
; NumVGPRsForWavesPerEU: 1
; AccumOffset: 4
; Occupancy: 8
; WaveLimiterHint : 0
; COMPUTE_PGM_RSRC2:SCRATCH_EN: 0
; COMPUTE_PGM_RSRC2:USER_SGPR: 6
; COMPUTE_PGM_RSRC2:TRAP_HANDLER: 0
; COMPUTE_PGM_RSRC2:TGID_X_EN: 1
; COMPUTE_PGM_RSRC2:TGID_Y_EN: 0
; COMPUTE_PGM_RSRC2:TGID_Z_EN: 0
; COMPUTE_PGM_RSRC2:TIDIG_COMP_CNT: 0
; COMPUTE_PGM_RSRC3_GFX90A:ACCUM_OFFSET: 0
; COMPUTE_PGM_RSRC3_GFX90A:TG_SPLIT: 0
	.section	.text._ZN7rocprim17ROCPRIM_400000_NS6detail17trampoline_kernelINS0_14default_configENS1_38merge_sort_block_merge_config_selectorIilEEZZNS1_27merge_sort_block_merge_implIS3_PiN6thrust23THRUST_200600_302600_NS10device_ptrIlEEjNS1_19radix_merge_compareILb0ELb0EiNS0_19identity_decomposerEEEEE10hipError_tT0_T1_T2_jT3_P12ihipStream_tbPNSt15iterator_traitsISG_E10value_typeEPNSM_ISH_E10value_typeEPSI_NS1_7vsmem_tEENKUlT_SG_SH_SI_E_clIS7_S7_SB_PlEESF_SV_SG_SH_SI_EUlSV_E1_NS1_11comp_targetILNS1_3genE4ELNS1_11target_archE910ELNS1_3gpuE8ELNS1_3repE0EEENS1_36merge_oddeven_config_static_selectorELNS0_4arch9wavefront6targetE1EEEvSH_,"axG",@progbits,_ZN7rocprim17ROCPRIM_400000_NS6detail17trampoline_kernelINS0_14default_configENS1_38merge_sort_block_merge_config_selectorIilEEZZNS1_27merge_sort_block_merge_implIS3_PiN6thrust23THRUST_200600_302600_NS10device_ptrIlEEjNS1_19radix_merge_compareILb0ELb0EiNS0_19identity_decomposerEEEEE10hipError_tT0_T1_T2_jT3_P12ihipStream_tbPNSt15iterator_traitsISG_E10value_typeEPNSM_ISH_E10value_typeEPSI_NS1_7vsmem_tEENKUlT_SG_SH_SI_E_clIS7_S7_SB_PlEESF_SV_SG_SH_SI_EUlSV_E1_NS1_11comp_targetILNS1_3genE4ELNS1_11target_archE910ELNS1_3gpuE8ELNS1_3repE0EEENS1_36merge_oddeven_config_static_selectorELNS0_4arch9wavefront6targetE1EEEvSH_,comdat
	.protected	_ZN7rocprim17ROCPRIM_400000_NS6detail17trampoline_kernelINS0_14default_configENS1_38merge_sort_block_merge_config_selectorIilEEZZNS1_27merge_sort_block_merge_implIS3_PiN6thrust23THRUST_200600_302600_NS10device_ptrIlEEjNS1_19radix_merge_compareILb0ELb0EiNS0_19identity_decomposerEEEEE10hipError_tT0_T1_T2_jT3_P12ihipStream_tbPNSt15iterator_traitsISG_E10value_typeEPNSM_ISH_E10value_typeEPSI_NS1_7vsmem_tEENKUlT_SG_SH_SI_E_clIS7_S7_SB_PlEESF_SV_SG_SH_SI_EUlSV_E1_NS1_11comp_targetILNS1_3genE4ELNS1_11target_archE910ELNS1_3gpuE8ELNS1_3repE0EEENS1_36merge_oddeven_config_static_selectorELNS0_4arch9wavefront6targetE1EEEvSH_ ; -- Begin function _ZN7rocprim17ROCPRIM_400000_NS6detail17trampoline_kernelINS0_14default_configENS1_38merge_sort_block_merge_config_selectorIilEEZZNS1_27merge_sort_block_merge_implIS3_PiN6thrust23THRUST_200600_302600_NS10device_ptrIlEEjNS1_19radix_merge_compareILb0ELb0EiNS0_19identity_decomposerEEEEE10hipError_tT0_T1_T2_jT3_P12ihipStream_tbPNSt15iterator_traitsISG_E10value_typeEPNSM_ISH_E10value_typeEPSI_NS1_7vsmem_tEENKUlT_SG_SH_SI_E_clIS7_S7_SB_PlEESF_SV_SG_SH_SI_EUlSV_E1_NS1_11comp_targetILNS1_3genE4ELNS1_11target_archE910ELNS1_3gpuE8ELNS1_3repE0EEENS1_36merge_oddeven_config_static_selectorELNS0_4arch9wavefront6targetE1EEEvSH_
	.globl	_ZN7rocprim17ROCPRIM_400000_NS6detail17trampoline_kernelINS0_14default_configENS1_38merge_sort_block_merge_config_selectorIilEEZZNS1_27merge_sort_block_merge_implIS3_PiN6thrust23THRUST_200600_302600_NS10device_ptrIlEEjNS1_19radix_merge_compareILb0ELb0EiNS0_19identity_decomposerEEEEE10hipError_tT0_T1_T2_jT3_P12ihipStream_tbPNSt15iterator_traitsISG_E10value_typeEPNSM_ISH_E10value_typeEPSI_NS1_7vsmem_tEENKUlT_SG_SH_SI_E_clIS7_S7_SB_PlEESF_SV_SG_SH_SI_EUlSV_E1_NS1_11comp_targetILNS1_3genE4ELNS1_11target_archE910ELNS1_3gpuE8ELNS1_3repE0EEENS1_36merge_oddeven_config_static_selectorELNS0_4arch9wavefront6targetE1EEEvSH_
	.p2align	8
	.type	_ZN7rocprim17ROCPRIM_400000_NS6detail17trampoline_kernelINS0_14default_configENS1_38merge_sort_block_merge_config_selectorIilEEZZNS1_27merge_sort_block_merge_implIS3_PiN6thrust23THRUST_200600_302600_NS10device_ptrIlEEjNS1_19radix_merge_compareILb0ELb0EiNS0_19identity_decomposerEEEEE10hipError_tT0_T1_T2_jT3_P12ihipStream_tbPNSt15iterator_traitsISG_E10value_typeEPNSM_ISH_E10value_typeEPSI_NS1_7vsmem_tEENKUlT_SG_SH_SI_E_clIS7_S7_SB_PlEESF_SV_SG_SH_SI_EUlSV_E1_NS1_11comp_targetILNS1_3genE4ELNS1_11target_archE910ELNS1_3gpuE8ELNS1_3repE0EEENS1_36merge_oddeven_config_static_selectorELNS0_4arch9wavefront6targetE1EEEvSH_,@function
_ZN7rocprim17ROCPRIM_400000_NS6detail17trampoline_kernelINS0_14default_configENS1_38merge_sort_block_merge_config_selectorIilEEZZNS1_27merge_sort_block_merge_implIS3_PiN6thrust23THRUST_200600_302600_NS10device_ptrIlEEjNS1_19radix_merge_compareILb0ELb0EiNS0_19identity_decomposerEEEEE10hipError_tT0_T1_T2_jT3_P12ihipStream_tbPNSt15iterator_traitsISG_E10value_typeEPNSM_ISH_E10value_typeEPSI_NS1_7vsmem_tEENKUlT_SG_SH_SI_E_clIS7_S7_SB_PlEESF_SV_SG_SH_SI_EUlSV_E1_NS1_11comp_targetILNS1_3genE4ELNS1_11target_archE910ELNS1_3gpuE8ELNS1_3repE0EEENS1_36merge_oddeven_config_static_selectorELNS0_4arch9wavefront6targetE1EEEvSH_: ; @_ZN7rocprim17ROCPRIM_400000_NS6detail17trampoline_kernelINS0_14default_configENS1_38merge_sort_block_merge_config_selectorIilEEZZNS1_27merge_sort_block_merge_implIS3_PiN6thrust23THRUST_200600_302600_NS10device_ptrIlEEjNS1_19radix_merge_compareILb0ELb0EiNS0_19identity_decomposerEEEEE10hipError_tT0_T1_T2_jT3_P12ihipStream_tbPNSt15iterator_traitsISG_E10value_typeEPNSM_ISH_E10value_typeEPSI_NS1_7vsmem_tEENKUlT_SG_SH_SI_E_clIS7_S7_SB_PlEESF_SV_SG_SH_SI_EUlSV_E1_NS1_11comp_targetILNS1_3genE4ELNS1_11target_archE910ELNS1_3gpuE8ELNS1_3repE0EEENS1_36merge_oddeven_config_static_selectorELNS0_4arch9wavefront6targetE1EEEvSH_
; %bb.0:
	s_load_dword s20, s[4:5], 0x20
	s_waitcnt lgkmcnt(0)
	s_lshr_b32 s2, s20, 8
	s_cmp_lg_u32 s6, s2
	s_cselect_b64 s[0:1], -1, 0
	s_cmp_eq_u32 s6, s2
	s_cselect_b64 s[16:17], -1, 0
	s_lshl_b32 s18, s6, 8
	s_sub_i32 s2, s20, s18
	v_cmp_gt_u32_e64 s[2:3], s2, v0
	s_or_b64 s[0:1], s[0:1], s[2:3]
	s_and_saveexec_b64 s[8:9], s[0:1]
	s_cbranch_execz .LBB787_26
; %bb.1:
	s_load_dwordx8 s[8:15], s[4:5], 0x0
	s_mov_b32 s19, 0
	s_lshl_b64 s[0:1], s[18:19], 2
	v_lshlrev_b32_e32 v4, 3, v0
	v_lshlrev_b32_e32 v1, 2, v0
	s_waitcnt lgkmcnt(0)
	s_add_u32 s0, s8, s0
	s_addc_u32 s1, s9, s1
	s_lshl_b64 s[22:23], s[18:19], 3
	s_add_u32 s12, s12, s22
	s_addc_u32 s13, s13, s23
	global_load_dwordx2 v[2:3], v4, s[12:13]
	global_load_dword v6, v1, s[0:1]
	s_load_dword s21, s[4:5], 0x24
	v_add_u32_e32 v4, s18, v0
	s_waitcnt lgkmcnt(0)
	s_lshr_b32 s0, s21, 8
	s_sub_i32 s1, 0, s0
	s_and_b32 s1, s6, s1
	s_and_b32 s0, s1, s0
	s_lshl_b32 s22, s1, 8
	s_sub_i32 s6, 0, s21
	s_cmp_eq_u32 s0, 0
	s_cselect_b64 s[0:1], -1, 0
	s_and_b64 s[4:5], s[0:1], exec
	s_cselect_b32 s19, s21, s6
	s_add_i32 s19, s19, s22
	s_cmp_lt_u32 s19, s20
	s_cbranch_scc1 .LBB787_6
; %bb.2:
	s_and_b64 vcc, exec, s[16:17]
	s_cbranch_vccz .LBB787_7
; %bb.3:
	v_cmp_gt_u32_e32 vcc, s20, v4
	s_mov_b64 s[6:7], 0
	s_mov_b64 s[4:5], 0
                                        ; implicit-def: $vgpr0_vgpr1
	s_and_saveexec_b64 s[12:13], vcc
	s_cbranch_execz .LBB787_5
; %bb.4:
	v_mov_b32_e32 v5, 0
	v_lshlrev_b64 v[0:1], 3, v[4:5]
	v_mov_b32_e32 v7, s15
	v_add_co_u32_e32 v0, vcc, s14, v0
	v_addc_co_u32_e32 v1, vcc, v7, v1, vcc
	v_lshlrev_b64 v[8:9], 2, v[4:5]
	v_mov_b32_e32 v5, s11
	v_add_co_u32_e32 v8, vcc, s10, v8
	s_mov_b64 s[4:5], exec
	v_addc_co_u32_e32 v9, vcc, v5, v9, vcc
	s_waitcnt vmcnt(0)
	global_store_dword v[8:9], v6, off
.LBB787_5:
	s_or_b64 exec, exec, s[12:13]
	s_and_b64 vcc, exec, s[6:7]
	s_cbranch_vccnz .LBB787_8
	s_branch .LBB787_9
.LBB787_6:
	s_mov_b64 s[4:5], 0
                                        ; implicit-def: $vgpr0_vgpr1
	s_cbranch_execnz .LBB787_10
	s_branch .LBB787_24
.LBB787_7:
	s_mov_b64 s[4:5], 0
                                        ; implicit-def: $vgpr0_vgpr1
	s_cbranch_execz .LBB787_9
.LBB787_8:
	v_mov_b32_e32 v5, 0
	v_lshlrev_b64 v[0:1], 2, v[4:5]
	v_mov_b32_e32 v7, s11
	v_add_co_u32_e32 v0, vcc, s10, v0
	v_addc_co_u32_e32 v1, vcc, v7, v1, vcc
	s_waitcnt vmcnt(0)
	global_store_dword v[0:1], v6, off
	v_lshlrev_b64 v[0:1], 3, v[4:5]
	v_mov_b32_e32 v5, s15
	v_add_co_u32_e32 v0, vcc, s14, v0
	v_addc_co_u32_e32 v1, vcc, v5, v1, vcc
	s_or_b64 s[4:5], s[4:5], exec
.LBB787_9:
	s_branch .LBB787_24
.LBB787_10:
	s_min_u32 s12, s19, s20
	s_add_i32 s6, s12, s21
	s_min_u32 s13, s6, s20
	s_min_u32 s6, s22, s12
	s_add_i32 s22, s22, s12
	v_subrev_u32_e32 v0, s22, v4
	v_add_u32_e32 v4, s6, v0
	s_and_b64 vcc, exec, s[16:17]
	s_cbranch_vccz .LBB787_18
; %bb.11:
                                        ; implicit-def: $vgpr0_vgpr1
	s_and_saveexec_b64 s[6:7], s[2:3]
	s_cbranch_execz .LBB787_17
; %bb.12:
	s_cmp_ge_u32 s19, s13
	v_mov_b32_e32 v5, s12
	s_cbranch_scc1 .LBB787_16
; %bb.13:
	s_mov_b64 s[2:3], 0
	v_mov_b32_e32 v7, s13
	v_mov_b32_e32 v5, s12
	;; [unrolled: 1-line block ×4, first 2 shown]
.LBB787_14:                             ; =>This Inner Loop Header: Depth=1
	v_add_u32_e32 v0, v5, v7
	v_lshrrev_b32_e32 v0, 1, v0
	v_lshlrev_b64 v[10:11], 2, v[0:1]
	v_add_co_u32_e32 v10, vcc, s8, v10
	v_addc_co_u32_e32 v11, vcc, v8, v11, vcc
	global_load_dword v9, v[10:11], off
	v_add_u32_e32 v10, 1, v0
	s_waitcnt vmcnt(0)
	v_cmp_gt_i32_e32 vcc, v6, v9
	v_cndmask_b32_e64 v11, 0, 1, vcc
	v_cmp_le_i32_e32 vcc, v9, v6
	v_cndmask_b32_e64 v9, 0, 1, vcc
	v_cndmask_b32_e64 v9, v9, v11, s[0:1]
	v_and_b32_e32 v9, 1, v9
	v_cmp_eq_u32_e32 vcc, 1, v9
	v_cndmask_b32_e32 v7, v0, v7, vcc
	v_cndmask_b32_e32 v5, v5, v10, vcc
	v_cmp_ge_u32_e32 vcc, v5, v7
	s_or_b64 s[2:3], vcc, s[2:3]
	s_andn2_b64 exec, exec, s[2:3]
	s_cbranch_execnz .LBB787_14
; %bb.15:
	s_or_b64 exec, exec, s[2:3]
.LBB787_16:
	v_add_u32_e32 v0, v5, v4
	v_mov_b32_e32 v1, 0
	v_lshlrev_b64 v[8:9], 2, v[0:1]
	v_mov_b32_e32 v5, s11
	v_add_co_u32_e32 v8, vcc, s10, v8
	v_addc_co_u32_e32 v9, vcc, v5, v9, vcc
	v_lshlrev_b64 v[0:1], 3, v[0:1]
	v_mov_b32_e32 v5, s15
	v_add_co_u32_e32 v0, vcc, s14, v0
	s_waitcnt vmcnt(0)
	global_store_dword v[8:9], v6, off
	v_addc_co_u32_e32 v1, vcc, v5, v1, vcc
	s_or_b64 s[4:5], s[4:5], exec
.LBB787_17:
	s_or_b64 exec, exec, s[6:7]
	s_branch .LBB787_24
.LBB787_18:
                                        ; implicit-def: $vgpr0_vgpr1
	s_cbranch_execz .LBB787_24
; %bb.19:
	s_cmp_ge_u32 s19, s13
	v_mov_b32_e32 v5, s12
	s_cbranch_scc1 .LBB787_23
; %bb.20:
	s_mov_b64 s[2:3], 0
	v_mov_b32_e32 v7, s13
	v_mov_b32_e32 v5, s12
	;; [unrolled: 1-line block ×4, first 2 shown]
.LBB787_21:                             ; =>This Inner Loop Header: Depth=1
	v_add_u32_e32 v0, v5, v7
	v_lshrrev_b32_e32 v0, 1, v0
	v_lshlrev_b64 v[10:11], 2, v[0:1]
	v_add_co_u32_e32 v10, vcc, s8, v10
	v_addc_co_u32_e32 v11, vcc, v8, v11, vcc
	global_load_dword v9, v[10:11], off
	v_add_u32_e32 v10, 1, v0
	s_waitcnt vmcnt(0)
	v_cmp_gt_i32_e32 vcc, v6, v9
	v_cndmask_b32_e64 v11, 0, 1, vcc
	v_cmp_le_i32_e32 vcc, v9, v6
	v_cndmask_b32_e64 v9, 0, 1, vcc
	v_cndmask_b32_e64 v9, v9, v11, s[0:1]
	v_and_b32_e32 v9, 1, v9
	v_cmp_eq_u32_e32 vcc, 1, v9
	v_cndmask_b32_e32 v7, v0, v7, vcc
	v_cndmask_b32_e32 v5, v5, v10, vcc
	v_cmp_ge_u32_e32 vcc, v5, v7
	s_or_b64 s[2:3], vcc, s[2:3]
	s_andn2_b64 exec, exec, s[2:3]
	s_cbranch_execnz .LBB787_21
; %bb.22:
	s_or_b64 exec, exec, s[2:3]
.LBB787_23:
	v_add_u32_e32 v0, v5, v4
	v_mov_b32_e32 v1, 0
	v_lshlrev_b64 v[4:5], 2, v[0:1]
	v_mov_b32_e32 v7, s11
	v_add_co_u32_e32 v4, vcc, s10, v4
	v_addc_co_u32_e32 v5, vcc, v7, v5, vcc
	v_lshlrev_b64 v[0:1], 3, v[0:1]
	s_waitcnt vmcnt(0)
	global_store_dword v[4:5], v6, off
	v_mov_b32_e32 v4, s15
	v_add_co_u32_e32 v0, vcc, s14, v0
	v_addc_co_u32_e32 v1, vcc, v4, v1, vcc
	s_mov_b64 s[4:5], -1
.LBB787_24:
	s_and_b64 exec, exec, s[4:5]
	s_cbranch_execz .LBB787_26
; %bb.25:
	s_waitcnt vmcnt(1)
	global_store_dwordx2 v[0:1], v[2:3], off
.LBB787_26:
	s_endpgm
	.section	.rodata,"a",@progbits
	.p2align	6, 0x0
	.amdhsa_kernel _ZN7rocprim17ROCPRIM_400000_NS6detail17trampoline_kernelINS0_14default_configENS1_38merge_sort_block_merge_config_selectorIilEEZZNS1_27merge_sort_block_merge_implIS3_PiN6thrust23THRUST_200600_302600_NS10device_ptrIlEEjNS1_19radix_merge_compareILb0ELb0EiNS0_19identity_decomposerEEEEE10hipError_tT0_T1_T2_jT3_P12ihipStream_tbPNSt15iterator_traitsISG_E10value_typeEPNSM_ISH_E10value_typeEPSI_NS1_7vsmem_tEENKUlT_SG_SH_SI_E_clIS7_S7_SB_PlEESF_SV_SG_SH_SI_EUlSV_E1_NS1_11comp_targetILNS1_3genE4ELNS1_11target_archE910ELNS1_3gpuE8ELNS1_3repE0EEENS1_36merge_oddeven_config_static_selectorELNS0_4arch9wavefront6targetE1EEEvSH_
		.amdhsa_group_segment_fixed_size 0
		.amdhsa_private_segment_fixed_size 0
		.amdhsa_kernarg_size 48
		.amdhsa_user_sgpr_count 6
		.amdhsa_user_sgpr_private_segment_buffer 1
		.amdhsa_user_sgpr_dispatch_ptr 0
		.amdhsa_user_sgpr_queue_ptr 0
		.amdhsa_user_sgpr_kernarg_segment_ptr 1
		.amdhsa_user_sgpr_dispatch_id 0
		.amdhsa_user_sgpr_flat_scratch_init 0
		.amdhsa_user_sgpr_kernarg_preload_length 0
		.amdhsa_user_sgpr_kernarg_preload_offset 0
		.amdhsa_user_sgpr_private_segment_size 0
		.amdhsa_uses_dynamic_stack 0
		.amdhsa_system_sgpr_private_segment_wavefront_offset 0
		.amdhsa_system_sgpr_workgroup_id_x 1
		.amdhsa_system_sgpr_workgroup_id_y 0
		.amdhsa_system_sgpr_workgroup_id_z 0
		.amdhsa_system_sgpr_workgroup_info 0
		.amdhsa_system_vgpr_workitem_id 0
		.amdhsa_next_free_vgpr 12
		.amdhsa_next_free_sgpr 24
		.amdhsa_accum_offset 12
		.amdhsa_reserve_vcc 1
		.amdhsa_reserve_flat_scratch 0
		.amdhsa_float_round_mode_32 0
		.amdhsa_float_round_mode_16_64 0
		.amdhsa_float_denorm_mode_32 3
		.amdhsa_float_denorm_mode_16_64 3
		.amdhsa_dx10_clamp 1
		.amdhsa_ieee_mode 1
		.amdhsa_fp16_overflow 0
		.amdhsa_tg_split 0
		.amdhsa_exception_fp_ieee_invalid_op 0
		.amdhsa_exception_fp_denorm_src 0
		.amdhsa_exception_fp_ieee_div_zero 0
		.amdhsa_exception_fp_ieee_overflow 0
		.amdhsa_exception_fp_ieee_underflow 0
		.amdhsa_exception_fp_ieee_inexact 0
		.amdhsa_exception_int_div_zero 0
	.end_amdhsa_kernel
	.section	.text._ZN7rocprim17ROCPRIM_400000_NS6detail17trampoline_kernelINS0_14default_configENS1_38merge_sort_block_merge_config_selectorIilEEZZNS1_27merge_sort_block_merge_implIS3_PiN6thrust23THRUST_200600_302600_NS10device_ptrIlEEjNS1_19radix_merge_compareILb0ELb0EiNS0_19identity_decomposerEEEEE10hipError_tT0_T1_T2_jT3_P12ihipStream_tbPNSt15iterator_traitsISG_E10value_typeEPNSM_ISH_E10value_typeEPSI_NS1_7vsmem_tEENKUlT_SG_SH_SI_E_clIS7_S7_SB_PlEESF_SV_SG_SH_SI_EUlSV_E1_NS1_11comp_targetILNS1_3genE4ELNS1_11target_archE910ELNS1_3gpuE8ELNS1_3repE0EEENS1_36merge_oddeven_config_static_selectorELNS0_4arch9wavefront6targetE1EEEvSH_,"axG",@progbits,_ZN7rocprim17ROCPRIM_400000_NS6detail17trampoline_kernelINS0_14default_configENS1_38merge_sort_block_merge_config_selectorIilEEZZNS1_27merge_sort_block_merge_implIS3_PiN6thrust23THRUST_200600_302600_NS10device_ptrIlEEjNS1_19radix_merge_compareILb0ELb0EiNS0_19identity_decomposerEEEEE10hipError_tT0_T1_T2_jT3_P12ihipStream_tbPNSt15iterator_traitsISG_E10value_typeEPNSM_ISH_E10value_typeEPSI_NS1_7vsmem_tEENKUlT_SG_SH_SI_E_clIS7_S7_SB_PlEESF_SV_SG_SH_SI_EUlSV_E1_NS1_11comp_targetILNS1_3genE4ELNS1_11target_archE910ELNS1_3gpuE8ELNS1_3repE0EEENS1_36merge_oddeven_config_static_selectorELNS0_4arch9wavefront6targetE1EEEvSH_,comdat
.Lfunc_end787:
	.size	_ZN7rocprim17ROCPRIM_400000_NS6detail17trampoline_kernelINS0_14default_configENS1_38merge_sort_block_merge_config_selectorIilEEZZNS1_27merge_sort_block_merge_implIS3_PiN6thrust23THRUST_200600_302600_NS10device_ptrIlEEjNS1_19radix_merge_compareILb0ELb0EiNS0_19identity_decomposerEEEEE10hipError_tT0_T1_T2_jT3_P12ihipStream_tbPNSt15iterator_traitsISG_E10value_typeEPNSM_ISH_E10value_typeEPSI_NS1_7vsmem_tEENKUlT_SG_SH_SI_E_clIS7_S7_SB_PlEESF_SV_SG_SH_SI_EUlSV_E1_NS1_11comp_targetILNS1_3genE4ELNS1_11target_archE910ELNS1_3gpuE8ELNS1_3repE0EEENS1_36merge_oddeven_config_static_selectorELNS0_4arch9wavefront6targetE1EEEvSH_, .Lfunc_end787-_ZN7rocprim17ROCPRIM_400000_NS6detail17trampoline_kernelINS0_14default_configENS1_38merge_sort_block_merge_config_selectorIilEEZZNS1_27merge_sort_block_merge_implIS3_PiN6thrust23THRUST_200600_302600_NS10device_ptrIlEEjNS1_19radix_merge_compareILb0ELb0EiNS0_19identity_decomposerEEEEE10hipError_tT0_T1_T2_jT3_P12ihipStream_tbPNSt15iterator_traitsISG_E10value_typeEPNSM_ISH_E10value_typeEPSI_NS1_7vsmem_tEENKUlT_SG_SH_SI_E_clIS7_S7_SB_PlEESF_SV_SG_SH_SI_EUlSV_E1_NS1_11comp_targetILNS1_3genE4ELNS1_11target_archE910ELNS1_3gpuE8ELNS1_3repE0EEENS1_36merge_oddeven_config_static_selectorELNS0_4arch9wavefront6targetE1EEEvSH_
                                        ; -- End function
	.section	.AMDGPU.csdata,"",@progbits
; Kernel info:
; codeLenInByte = 868
; NumSgprs: 28
; NumVgprs: 12
; NumAgprs: 0
; TotalNumVgprs: 12
; ScratchSize: 0
; MemoryBound: 0
; FloatMode: 240
; IeeeMode: 1
; LDSByteSize: 0 bytes/workgroup (compile time only)
; SGPRBlocks: 3
; VGPRBlocks: 1
; NumSGPRsForWavesPerEU: 28
; NumVGPRsForWavesPerEU: 12
; AccumOffset: 12
; Occupancy: 8
; WaveLimiterHint : 0
; COMPUTE_PGM_RSRC2:SCRATCH_EN: 0
; COMPUTE_PGM_RSRC2:USER_SGPR: 6
; COMPUTE_PGM_RSRC2:TRAP_HANDLER: 0
; COMPUTE_PGM_RSRC2:TGID_X_EN: 1
; COMPUTE_PGM_RSRC2:TGID_Y_EN: 0
; COMPUTE_PGM_RSRC2:TGID_Z_EN: 0
; COMPUTE_PGM_RSRC2:TIDIG_COMP_CNT: 0
; COMPUTE_PGM_RSRC3_GFX90A:ACCUM_OFFSET: 2
; COMPUTE_PGM_RSRC3_GFX90A:TG_SPLIT: 0
	.section	.text._ZN7rocprim17ROCPRIM_400000_NS6detail17trampoline_kernelINS0_14default_configENS1_38merge_sort_block_merge_config_selectorIilEEZZNS1_27merge_sort_block_merge_implIS3_PiN6thrust23THRUST_200600_302600_NS10device_ptrIlEEjNS1_19radix_merge_compareILb0ELb0EiNS0_19identity_decomposerEEEEE10hipError_tT0_T1_T2_jT3_P12ihipStream_tbPNSt15iterator_traitsISG_E10value_typeEPNSM_ISH_E10value_typeEPSI_NS1_7vsmem_tEENKUlT_SG_SH_SI_E_clIS7_S7_SB_PlEESF_SV_SG_SH_SI_EUlSV_E1_NS1_11comp_targetILNS1_3genE3ELNS1_11target_archE908ELNS1_3gpuE7ELNS1_3repE0EEENS1_36merge_oddeven_config_static_selectorELNS0_4arch9wavefront6targetE1EEEvSH_,"axG",@progbits,_ZN7rocprim17ROCPRIM_400000_NS6detail17trampoline_kernelINS0_14default_configENS1_38merge_sort_block_merge_config_selectorIilEEZZNS1_27merge_sort_block_merge_implIS3_PiN6thrust23THRUST_200600_302600_NS10device_ptrIlEEjNS1_19radix_merge_compareILb0ELb0EiNS0_19identity_decomposerEEEEE10hipError_tT0_T1_T2_jT3_P12ihipStream_tbPNSt15iterator_traitsISG_E10value_typeEPNSM_ISH_E10value_typeEPSI_NS1_7vsmem_tEENKUlT_SG_SH_SI_E_clIS7_S7_SB_PlEESF_SV_SG_SH_SI_EUlSV_E1_NS1_11comp_targetILNS1_3genE3ELNS1_11target_archE908ELNS1_3gpuE7ELNS1_3repE0EEENS1_36merge_oddeven_config_static_selectorELNS0_4arch9wavefront6targetE1EEEvSH_,comdat
	.protected	_ZN7rocprim17ROCPRIM_400000_NS6detail17trampoline_kernelINS0_14default_configENS1_38merge_sort_block_merge_config_selectorIilEEZZNS1_27merge_sort_block_merge_implIS3_PiN6thrust23THRUST_200600_302600_NS10device_ptrIlEEjNS1_19radix_merge_compareILb0ELb0EiNS0_19identity_decomposerEEEEE10hipError_tT0_T1_T2_jT3_P12ihipStream_tbPNSt15iterator_traitsISG_E10value_typeEPNSM_ISH_E10value_typeEPSI_NS1_7vsmem_tEENKUlT_SG_SH_SI_E_clIS7_S7_SB_PlEESF_SV_SG_SH_SI_EUlSV_E1_NS1_11comp_targetILNS1_3genE3ELNS1_11target_archE908ELNS1_3gpuE7ELNS1_3repE0EEENS1_36merge_oddeven_config_static_selectorELNS0_4arch9wavefront6targetE1EEEvSH_ ; -- Begin function _ZN7rocprim17ROCPRIM_400000_NS6detail17trampoline_kernelINS0_14default_configENS1_38merge_sort_block_merge_config_selectorIilEEZZNS1_27merge_sort_block_merge_implIS3_PiN6thrust23THRUST_200600_302600_NS10device_ptrIlEEjNS1_19radix_merge_compareILb0ELb0EiNS0_19identity_decomposerEEEEE10hipError_tT0_T1_T2_jT3_P12ihipStream_tbPNSt15iterator_traitsISG_E10value_typeEPNSM_ISH_E10value_typeEPSI_NS1_7vsmem_tEENKUlT_SG_SH_SI_E_clIS7_S7_SB_PlEESF_SV_SG_SH_SI_EUlSV_E1_NS1_11comp_targetILNS1_3genE3ELNS1_11target_archE908ELNS1_3gpuE7ELNS1_3repE0EEENS1_36merge_oddeven_config_static_selectorELNS0_4arch9wavefront6targetE1EEEvSH_
	.globl	_ZN7rocprim17ROCPRIM_400000_NS6detail17trampoline_kernelINS0_14default_configENS1_38merge_sort_block_merge_config_selectorIilEEZZNS1_27merge_sort_block_merge_implIS3_PiN6thrust23THRUST_200600_302600_NS10device_ptrIlEEjNS1_19radix_merge_compareILb0ELb0EiNS0_19identity_decomposerEEEEE10hipError_tT0_T1_T2_jT3_P12ihipStream_tbPNSt15iterator_traitsISG_E10value_typeEPNSM_ISH_E10value_typeEPSI_NS1_7vsmem_tEENKUlT_SG_SH_SI_E_clIS7_S7_SB_PlEESF_SV_SG_SH_SI_EUlSV_E1_NS1_11comp_targetILNS1_3genE3ELNS1_11target_archE908ELNS1_3gpuE7ELNS1_3repE0EEENS1_36merge_oddeven_config_static_selectorELNS0_4arch9wavefront6targetE1EEEvSH_
	.p2align	8
	.type	_ZN7rocprim17ROCPRIM_400000_NS6detail17trampoline_kernelINS0_14default_configENS1_38merge_sort_block_merge_config_selectorIilEEZZNS1_27merge_sort_block_merge_implIS3_PiN6thrust23THRUST_200600_302600_NS10device_ptrIlEEjNS1_19radix_merge_compareILb0ELb0EiNS0_19identity_decomposerEEEEE10hipError_tT0_T1_T2_jT3_P12ihipStream_tbPNSt15iterator_traitsISG_E10value_typeEPNSM_ISH_E10value_typeEPSI_NS1_7vsmem_tEENKUlT_SG_SH_SI_E_clIS7_S7_SB_PlEESF_SV_SG_SH_SI_EUlSV_E1_NS1_11comp_targetILNS1_3genE3ELNS1_11target_archE908ELNS1_3gpuE7ELNS1_3repE0EEENS1_36merge_oddeven_config_static_selectorELNS0_4arch9wavefront6targetE1EEEvSH_,@function
_ZN7rocprim17ROCPRIM_400000_NS6detail17trampoline_kernelINS0_14default_configENS1_38merge_sort_block_merge_config_selectorIilEEZZNS1_27merge_sort_block_merge_implIS3_PiN6thrust23THRUST_200600_302600_NS10device_ptrIlEEjNS1_19radix_merge_compareILb0ELb0EiNS0_19identity_decomposerEEEEE10hipError_tT0_T1_T2_jT3_P12ihipStream_tbPNSt15iterator_traitsISG_E10value_typeEPNSM_ISH_E10value_typeEPSI_NS1_7vsmem_tEENKUlT_SG_SH_SI_E_clIS7_S7_SB_PlEESF_SV_SG_SH_SI_EUlSV_E1_NS1_11comp_targetILNS1_3genE3ELNS1_11target_archE908ELNS1_3gpuE7ELNS1_3repE0EEENS1_36merge_oddeven_config_static_selectorELNS0_4arch9wavefront6targetE1EEEvSH_: ; @_ZN7rocprim17ROCPRIM_400000_NS6detail17trampoline_kernelINS0_14default_configENS1_38merge_sort_block_merge_config_selectorIilEEZZNS1_27merge_sort_block_merge_implIS3_PiN6thrust23THRUST_200600_302600_NS10device_ptrIlEEjNS1_19radix_merge_compareILb0ELb0EiNS0_19identity_decomposerEEEEE10hipError_tT0_T1_T2_jT3_P12ihipStream_tbPNSt15iterator_traitsISG_E10value_typeEPNSM_ISH_E10value_typeEPSI_NS1_7vsmem_tEENKUlT_SG_SH_SI_E_clIS7_S7_SB_PlEESF_SV_SG_SH_SI_EUlSV_E1_NS1_11comp_targetILNS1_3genE3ELNS1_11target_archE908ELNS1_3gpuE7ELNS1_3repE0EEENS1_36merge_oddeven_config_static_selectorELNS0_4arch9wavefront6targetE1EEEvSH_
; %bb.0:
	.section	.rodata,"a",@progbits
	.p2align	6, 0x0
	.amdhsa_kernel _ZN7rocprim17ROCPRIM_400000_NS6detail17trampoline_kernelINS0_14default_configENS1_38merge_sort_block_merge_config_selectorIilEEZZNS1_27merge_sort_block_merge_implIS3_PiN6thrust23THRUST_200600_302600_NS10device_ptrIlEEjNS1_19radix_merge_compareILb0ELb0EiNS0_19identity_decomposerEEEEE10hipError_tT0_T1_T2_jT3_P12ihipStream_tbPNSt15iterator_traitsISG_E10value_typeEPNSM_ISH_E10value_typeEPSI_NS1_7vsmem_tEENKUlT_SG_SH_SI_E_clIS7_S7_SB_PlEESF_SV_SG_SH_SI_EUlSV_E1_NS1_11comp_targetILNS1_3genE3ELNS1_11target_archE908ELNS1_3gpuE7ELNS1_3repE0EEENS1_36merge_oddeven_config_static_selectorELNS0_4arch9wavefront6targetE1EEEvSH_
		.amdhsa_group_segment_fixed_size 0
		.amdhsa_private_segment_fixed_size 0
		.amdhsa_kernarg_size 48
		.amdhsa_user_sgpr_count 6
		.amdhsa_user_sgpr_private_segment_buffer 1
		.amdhsa_user_sgpr_dispatch_ptr 0
		.amdhsa_user_sgpr_queue_ptr 0
		.amdhsa_user_sgpr_kernarg_segment_ptr 1
		.amdhsa_user_sgpr_dispatch_id 0
		.amdhsa_user_sgpr_flat_scratch_init 0
		.amdhsa_user_sgpr_kernarg_preload_length 0
		.amdhsa_user_sgpr_kernarg_preload_offset 0
		.amdhsa_user_sgpr_private_segment_size 0
		.amdhsa_uses_dynamic_stack 0
		.amdhsa_system_sgpr_private_segment_wavefront_offset 0
		.amdhsa_system_sgpr_workgroup_id_x 1
		.amdhsa_system_sgpr_workgroup_id_y 0
		.amdhsa_system_sgpr_workgroup_id_z 0
		.amdhsa_system_sgpr_workgroup_info 0
		.amdhsa_system_vgpr_workitem_id 0
		.amdhsa_next_free_vgpr 1
		.amdhsa_next_free_sgpr 0
		.amdhsa_accum_offset 4
		.amdhsa_reserve_vcc 0
		.amdhsa_reserve_flat_scratch 0
		.amdhsa_float_round_mode_32 0
		.amdhsa_float_round_mode_16_64 0
		.amdhsa_float_denorm_mode_32 3
		.amdhsa_float_denorm_mode_16_64 3
		.amdhsa_dx10_clamp 1
		.amdhsa_ieee_mode 1
		.amdhsa_fp16_overflow 0
		.amdhsa_tg_split 0
		.amdhsa_exception_fp_ieee_invalid_op 0
		.amdhsa_exception_fp_denorm_src 0
		.amdhsa_exception_fp_ieee_div_zero 0
		.amdhsa_exception_fp_ieee_overflow 0
		.amdhsa_exception_fp_ieee_underflow 0
		.amdhsa_exception_fp_ieee_inexact 0
		.amdhsa_exception_int_div_zero 0
	.end_amdhsa_kernel
	.section	.text._ZN7rocprim17ROCPRIM_400000_NS6detail17trampoline_kernelINS0_14default_configENS1_38merge_sort_block_merge_config_selectorIilEEZZNS1_27merge_sort_block_merge_implIS3_PiN6thrust23THRUST_200600_302600_NS10device_ptrIlEEjNS1_19radix_merge_compareILb0ELb0EiNS0_19identity_decomposerEEEEE10hipError_tT0_T1_T2_jT3_P12ihipStream_tbPNSt15iterator_traitsISG_E10value_typeEPNSM_ISH_E10value_typeEPSI_NS1_7vsmem_tEENKUlT_SG_SH_SI_E_clIS7_S7_SB_PlEESF_SV_SG_SH_SI_EUlSV_E1_NS1_11comp_targetILNS1_3genE3ELNS1_11target_archE908ELNS1_3gpuE7ELNS1_3repE0EEENS1_36merge_oddeven_config_static_selectorELNS0_4arch9wavefront6targetE1EEEvSH_,"axG",@progbits,_ZN7rocprim17ROCPRIM_400000_NS6detail17trampoline_kernelINS0_14default_configENS1_38merge_sort_block_merge_config_selectorIilEEZZNS1_27merge_sort_block_merge_implIS3_PiN6thrust23THRUST_200600_302600_NS10device_ptrIlEEjNS1_19radix_merge_compareILb0ELb0EiNS0_19identity_decomposerEEEEE10hipError_tT0_T1_T2_jT3_P12ihipStream_tbPNSt15iterator_traitsISG_E10value_typeEPNSM_ISH_E10value_typeEPSI_NS1_7vsmem_tEENKUlT_SG_SH_SI_E_clIS7_S7_SB_PlEESF_SV_SG_SH_SI_EUlSV_E1_NS1_11comp_targetILNS1_3genE3ELNS1_11target_archE908ELNS1_3gpuE7ELNS1_3repE0EEENS1_36merge_oddeven_config_static_selectorELNS0_4arch9wavefront6targetE1EEEvSH_,comdat
.Lfunc_end788:
	.size	_ZN7rocprim17ROCPRIM_400000_NS6detail17trampoline_kernelINS0_14default_configENS1_38merge_sort_block_merge_config_selectorIilEEZZNS1_27merge_sort_block_merge_implIS3_PiN6thrust23THRUST_200600_302600_NS10device_ptrIlEEjNS1_19radix_merge_compareILb0ELb0EiNS0_19identity_decomposerEEEEE10hipError_tT0_T1_T2_jT3_P12ihipStream_tbPNSt15iterator_traitsISG_E10value_typeEPNSM_ISH_E10value_typeEPSI_NS1_7vsmem_tEENKUlT_SG_SH_SI_E_clIS7_S7_SB_PlEESF_SV_SG_SH_SI_EUlSV_E1_NS1_11comp_targetILNS1_3genE3ELNS1_11target_archE908ELNS1_3gpuE7ELNS1_3repE0EEENS1_36merge_oddeven_config_static_selectorELNS0_4arch9wavefront6targetE1EEEvSH_, .Lfunc_end788-_ZN7rocprim17ROCPRIM_400000_NS6detail17trampoline_kernelINS0_14default_configENS1_38merge_sort_block_merge_config_selectorIilEEZZNS1_27merge_sort_block_merge_implIS3_PiN6thrust23THRUST_200600_302600_NS10device_ptrIlEEjNS1_19radix_merge_compareILb0ELb0EiNS0_19identity_decomposerEEEEE10hipError_tT0_T1_T2_jT3_P12ihipStream_tbPNSt15iterator_traitsISG_E10value_typeEPNSM_ISH_E10value_typeEPSI_NS1_7vsmem_tEENKUlT_SG_SH_SI_E_clIS7_S7_SB_PlEESF_SV_SG_SH_SI_EUlSV_E1_NS1_11comp_targetILNS1_3genE3ELNS1_11target_archE908ELNS1_3gpuE7ELNS1_3repE0EEENS1_36merge_oddeven_config_static_selectorELNS0_4arch9wavefront6targetE1EEEvSH_
                                        ; -- End function
	.section	.AMDGPU.csdata,"",@progbits
; Kernel info:
; codeLenInByte = 0
; NumSgprs: 4
; NumVgprs: 0
; NumAgprs: 0
; TotalNumVgprs: 0
; ScratchSize: 0
; MemoryBound: 0
; FloatMode: 240
; IeeeMode: 1
; LDSByteSize: 0 bytes/workgroup (compile time only)
; SGPRBlocks: 0
; VGPRBlocks: 0
; NumSGPRsForWavesPerEU: 4
; NumVGPRsForWavesPerEU: 1
; AccumOffset: 4
; Occupancy: 8
; WaveLimiterHint : 0
; COMPUTE_PGM_RSRC2:SCRATCH_EN: 0
; COMPUTE_PGM_RSRC2:USER_SGPR: 6
; COMPUTE_PGM_RSRC2:TRAP_HANDLER: 0
; COMPUTE_PGM_RSRC2:TGID_X_EN: 1
; COMPUTE_PGM_RSRC2:TGID_Y_EN: 0
; COMPUTE_PGM_RSRC2:TGID_Z_EN: 0
; COMPUTE_PGM_RSRC2:TIDIG_COMP_CNT: 0
; COMPUTE_PGM_RSRC3_GFX90A:ACCUM_OFFSET: 0
; COMPUTE_PGM_RSRC3_GFX90A:TG_SPLIT: 0
	.section	.text._ZN7rocprim17ROCPRIM_400000_NS6detail17trampoline_kernelINS0_14default_configENS1_38merge_sort_block_merge_config_selectorIilEEZZNS1_27merge_sort_block_merge_implIS3_PiN6thrust23THRUST_200600_302600_NS10device_ptrIlEEjNS1_19radix_merge_compareILb0ELb0EiNS0_19identity_decomposerEEEEE10hipError_tT0_T1_T2_jT3_P12ihipStream_tbPNSt15iterator_traitsISG_E10value_typeEPNSM_ISH_E10value_typeEPSI_NS1_7vsmem_tEENKUlT_SG_SH_SI_E_clIS7_S7_SB_PlEESF_SV_SG_SH_SI_EUlSV_E1_NS1_11comp_targetILNS1_3genE2ELNS1_11target_archE906ELNS1_3gpuE6ELNS1_3repE0EEENS1_36merge_oddeven_config_static_selectorELNS0_4arch9wavefront6targetE1EEEvSH_,"axG",@progbits,_ZN7rocprim17ROCPRIM_400000_NS6detail17trampoline_kernelINS0_14default_configENS1_38merge_sort_block_merge_config_selectorIilEEZZNS1_27merge_sort_block_merge_implIS3_PiN6thrust23THRUST_200600_302600_NS10device_ptrIlEEjNS1_19radix_merge_compareILb0ELb0EiNS0_19identity_decomposerEEEEE10hipError_tT0_T1_T2_jT3_P12ihipStream_tbPNSt15iterator_traitsISG_E10value_typeEPNSM_ISH_E10value_typeEPSI_NS1_7vsmem_tEENKUlT_SG_SH_SI_E_clIS7_S7_SB_PlEESF_SV_SG_SH_SI_EUlSV_E1_NS1_11comp_targetILNS1_3genE2ELNS1_11target_archE906ELNS1_3gpuE6ELNS1_3repE0EEENS1_36merge_oddeven_config_static_selectorELNS0_4arch9wavefront6targetE1EEEvSH_,comdat
	.protected	_ZN7rocprim17ROCPRIM_400000_NS6detail17trampoline_kernelINS0_14default_configENS1_38merge_sort_block_merge_config_selectorIilEEZZNS1_27merge_sort_block_merge_implIS3_PiN6thrust23THRUST_200600_302600_NS10device_ptrIlEEjNS1_19radix_merge_compareILb0ELb0EiNS0_19identity_decomposerEEEEE10hipError_tT0_T1_T2_jT3_P12ihipStream_tbPNSt15iterator_traitsISG_E10value_typeEPNSM_ISH_E10value_typeEPSI_NS1_7vsmem_tEENKUlT_SG_SH_SI_E_clIS7_S7_SB_PlEESF_SV_SG_SH_SI_EUlSV_E1_NS1_11comp_targetILNS1_3genE2ELNS1_11target_archE906ELNS1_3gpuE6ELNS1_3repE0EEENS1_36merge_oddeven_config_static_selectorELNS0_4arch9wavefront6targetE1EEEvSH_ ; -- Begin function _ZN7rocprim17ROCPRIM_400000_NS6detail17trampoline_kernelINS0_14default_configENS1_38merge_sort_block_merge_config_selectorIilEEZZNS1_27merge_sort_block_merge_implIS3_PiN6thrust23THRUST_200600_302600_NS10device_ptrIlEEjNS1_19radix_merge_compareILb0ELb0EiNS0_19identity_decomposerEEEEE10hipError_tT0_T1_T2_jT3_P12ihipStream_tbPNSt15iterator_traitsISG_E10value_typeEPNSM_ISH_E10value_typeEPSI_NS1_7vsmem_tEENKUlT_SG_SH_SI_E_clIS7_S7_SB_PlEESF_SV_SG_SH_SI_EUlSV_E1_NS1_11comp_targetILNS1_3genE2ELNS1_11target_archE906ELNS1_3gpuE6ELNS1_3repE0EEENS1_36merge_oddeven_config_static_selectorELNS0_4arch9wavefront6targetE1EEEvSH_
	.globl	_ZN7rocprim17ROCPRIM_400000_NS6detail17trampoline_kernelINS0_14default_configENS1_38merge_sort_block_merge_config_selectorIilEEZZNS1_27merge_sort_block_merge_implIS3_PiN6thrust23THRUST_200600_302600_NS10device_ptrIlEEjNS1_19radix_merge_compareILb0ELb0EiNS0_19identity_decomposerEEEEE10hipError_tT0_T1_T2_jT3_P12ihipStream_tbPNSt15iterator_traitsISG_E10value_typeEPNSM_ISH_E10value_typeEPSI_NS1_7vsmem_tEENKUlT_SG_SH_SI_E_clIS7_S7_SB_PlEESF_SV_SG_SH_SI_EUlSV_E1_NS1_11comp_targetILNS1_3genE2ELNS1_11target_archE906ELNS1_3gpuE6ELNS1_3repE0EEENS1_36merge_oddeven_config_static_selectorELNS0_4arch9wavefront6targetE1EEEvSH_
	.p2align	8
	.type	_ZN7rocprim17ROCPRIM_400000_NS6detail17trampoline_kernelINS0_14default_configENS1_38merge_sort_block_merge_config_selectorIilEEZZNS1_27merge_sort_block_merge_implIS3_PiN6thrust23THRUST_200600_302600_NS10device_ptrIlEEjNS1_19radix_merge_compareILb0ELb0EiNS0_19identity_decomposerEEEEE10hipError_tT0_T1_T2_jT3_P12ihipStream_tbPNSt15iterator_traitsISG_E10value_typeEPNSM_ISH_E10value_typeEPSI_NS1_7vsmem_tEENKUlT_SG_SH_SI_E_clIS7_S7_SB_PlEESF_SV_SG_SH_SI_EUlSV_E1_NS1_11comp_targetILNS1_3genE2ELNS1_11target_archE906ELNS1_3gpuE6ELNS1_3repE0EEENS1_36merge_oddeven_config_static_selectorELNS0_4arch9wavefront6targetE1EEEvSH_,@function
_ZN7rocprim17ROCPRIM_400000_NS6detail17trampoline_kernelINS0_14default_configENS1_38merge_sort_block_merge_config_selectorIilEEZZNS1_27merge_sort_block_merge_implIS3_PiN6thrust23THRUST_200600_302600_NS10device_ptrIlEEjNS1_19radix_merge_compareILb0ELb0EiNS0_19identity_decomposerEEEEE10hipError_tT0_T1_T2_jT3_P12ihipStream_tbPNSt15iterator_traitsISG_E10value_typeEPNSM_ISH_E10value_typeEPSI_NS1_7vsmem_tEENKUlT_SG_SH_SI_E_clIS7_S7_SB_PlEESF_SV_SG_SH_SI_EUlSV_E1_NS1_11comp_targetILNS1_3genE2ELNS1_11target_archE906ELNS1_3gpuE6ELNS1_3repE0EEENS1_36merge_oddeven_config_static_selectorELNS0_4arch9wavefront6targetE1EEEvSH_: ; @_ZN7rocprim17ROCPRIM_400000_NS6detail17trampoline_kernelINS0_14default_configENS1_38merge_sort_block_merge_config_selectorIilEEZZNS1_27merge_sort_block_merge_implIS3_PiN6thrust23THRUST_200600_302600_NS10device_ptrIlEEjNS1_19radix_merge_compareILb0ELb0EiNS0_19identity_decomposerEEEEE10hipError_tT0_T1_T2_jT3_P12ihipStream_tbPNSt15iterator_traitsISG_E10value_typeEPNSM_ISH_E10value_typeEPSI_NS1_7vsmem_tEENKUlT_SG_SH_SI_E_clIS7_S7_SB_PlEESF_SV_SG_SH_SI_EUlSV_E1_NS1_11comp_targetILNS1_3genE2ELNS1_11target_archE906ELNS1_3gpuE6ELNS1_3repE0EEENS1_36merge_oddeven_config_static_selectorELNS0_4arch9wavefront6targetE1EEEvSH_
; %bb.0:
	.section	.rodata,"a",@progbits
	.p2align	6, 0x0
	.amdhsa_kernel _ZN7rocprim17ROCPRIM_400000_NS6detail17trampoline_kernelINS0_14default_configENS1_38merge_sort_block_merge_config_selectorIilEEZZNS1_27merge_sort_block_merge_implIS3_PiN6thrust23THRUST_200600_302600_NS10device_ptrIlEEjNS1_19radix_merge_compareILb0ELb0EiNS0_19identity_decomposerEEEEE10hipError_tT0_T1_T2_jT3_P12ihipStream_tbPNSt15iterator_traitsISG_E10value_typeEPNSM_ISH_E10value_typeEPSI_NS1_7vsmem_tEENKUlT_SG_SH_SI_E_clIS7_S7_SB_PlEESF_SV_SG_SH_SI_EUlSV_E1_NS1_11comp_targetILNS1_3genE2ELNS1_11target_archE906ELNS1_3gpuE6ELNS1_3repE0EEENS1_36merge_oddeven_config_static_selectorELNS0_4arch9wavefront6targetE1EEEvSH_
		.amdhsa_group_segment_fixed_size 0
		.amdhsa_private_segment_fixed_size 0
		.amdhsa_kernarg_size 48
		.amdhsa_user_sgpr_count 6
		.amdhsa_user_sgpr_private_segment_buffer 1
		.amdhsa_user_sgpr_dispatch_ptr 0
		.amdhsa_user_sgpr_queue_ptr 0
		.amdhsa_user_sgpr_kernarg_segment_ptr 1
		.amdhsa_user_sgpr_dispatch_id 0
		.amdhsa_user_sgpr_flat_scratch_init 0
		.amdhsa_user_sgpr_kernarg_preload_length 0
		.amdhsa_user_sgpr_kernarg_preload_offset 0
		.amdhsa_user_sgpr_private_segment_size 0
		.amdhsa_uses_dynamic_stack 0
		.amdhsa_system_sgpr_private_segment_wavefront_offset 0
		.amdhsa_system_sgpr_workgroup_id_x 1
		.amdhsa_system_sgpr_workgroup_id_y 0
		.amdhsa_system_sgpr_workgroup_id_z 0
		.amdhsa_system_sgpr_workgroup_info 0
		.amdhsa_system_vgpr_workitem_id 0
		.amdhsa_next_free_vgpr 1
		.amdhsa_next_free_sgpr 0
		.amdhsa_accum_offset 4
		.amdhsa_reserve_vcc 0
		.amdhsa_reserve_flat_scratch 0
		.amdhsa_float_round_mode_32 0
		.amdhsa_float_round_mode_16_64 0
		.amdhsa_float_denorm_mode_32 3
		.amdhsa_float_denorm_mode_16_64 3
		.amdhsa_dx10_clamp 1
		.amdhsa_ieee_mode 1
		.amdhsa_fp16_overflow 0
		.amdhsa_tg_split 0
		.amdhsa_exception_fp_ieee_invalid_op 0
		.amdhsa_exception_fp_denorm_src 0
		.amdhsa_exception_fp_ieee_div_zero 0
		.amdhsa_exception_fp_ieee_overflow 0
		.amdhsa_exception_fp_ieee_underflow 0
		.amdhsa_exception_fp_ieee_inexact 0
		.amdhsa_exception_int_div_zero 0
	.end_amdhsa_kernel
	.section	.text._ZN7rocprim17ROCPRIM_400000_NS6detail17trampoline_kernelINS0_14default_configENS1_38merge_sort_block_merge_config_selectorIilEEZZNS1_27merge_sort_block_merge_implIS3_PiN6thrust23THRUST_200600_302600_NS10device_ptrIlEEjNS1_19radix_merge_compareILb0ELb0EiNS0_19identity_decomposerEEEEE10hipError_tT0_T1_T2_jT3_P12ihipStream_tbPNSt15iterator_traitsISG_E10value_typeEPNSM_ISH_E10value_typeEPSI_NS1_7vsmem_tEENKUlT_SG_SH_SI_E_clIS7_S7_SB_PlEESF_SV_SG_SH_SI_EUlSV_E1_NS1_11comp_targetILNS1_3genE2ELNS1_11target_archE906ELNS1_3gpuE6ELNS1_3repE0EEENS1_36merge_oddeven_config_static_selectorELNS0_4arch9wavefront6targetE1EEEvSH_,"axG",@progbits,_ZN7rocprim17ROCPRIM_400000_NS6detail17trampoline_kernelINS0_14default_configENS1_38merge_sort_block_merge_config_selectorIilEEZZNS1_27merge_sort_block_merge_implIS3_PiN6thrust23THRUST_200600_302600_NS10device_ptrIlEEjNS1_19radix_merge_compareILb0ELb0EiNS0_19identity_decomposerEEEEE10hipError_tT0_T1_T2_jT3_P12ihipStream_tbPNSt15iterator_traitsISG_E10value_typeEPNSM_ISH_E10value_typeEPSI_NS1_7vsmem_tEENKUlT_SG_SH_SI_E_clIS7_S7_SB_PlEESF_SV_SG_SH_SI_EUlSV_E1_NS1_11comp_targetILNS1_3genE2ELNS1_11target_archE906ELNS1_3gpuE6ELNS1_3repE0EEENS1_36merge_oddeven_config_static_selectorELNS0_4arch9wavefront6targetE1EEEvSH_,comdat
.Lfunc_end789:
	.size	_ZN7rocprim17ROCPRIM_400000_NS6detail17trampoline_kernelINS0_14default_configENS1_38merge_sort_block_merge_config_selectorIilEEZZNS1_27merge_sort_block_merge_implIS3_PiN6thrust23THRUST_200600_302600_NS10device_ptrIlEEjNS1_19radix_merge_compareILb0ELb0EiNS0_19identity_decomposerEEEEE10hipError_tT0_T1_T2_jT3_P12ihipStream_tbPNSt15iterator_traitsISG_E10value_typeEPNSM_ISH_E10value_typeEPSI_NS1_7vsmem_tEENKUlT_SG_SH_SI_E_clIS7_S7_SB_PlEESF_SV_SG_SH_SI_EUlSV_E1_NS1_11comp_targetILNS1_3genE2ELNS1_11target_archE906ELNS1_3gpuE6ELNS1_3repE0EEENS1_36merge_oddeven_config_static_selectorELNS0_4arch9wavefront6targetE1EEEvSH_, .Lfunc_end789-_ZN7rocprim17ROCPRIM_400000_NS6detail17trampoline_kernelINS0_14default_configENS1_38merge_sort_block_merge_config_selectorIilEEZZNS1_27merge_sort_block_merge_implIS3_PiN6thrust23THRUST_200600_302600_NS10device_ptrIlEEjNS1_19radix_merge_compareILb0ELb0EiNS0_19identity_decomposerEEEEE10hipError_tT0_T1_T2_jT3_P12ihipStream_tbPNSt15iterator_traitsISG_E10value_typeEPNSM_ISH_E10value_typeEPSI_NS1_7vsmem_tEENKUlT_SG_SH_SI_E_clIS7_S7_SB_PlEESF_SV_SG_SH_SI_EUlSV_E1_NS1_11comp_targetILNS1_3genE2ELNS1_11target_archE906ELNS1_3gpuE6ELNS1_3repE0EEENS1_36merge_oddeven_config_static_selectorELNS0_4arch9wavefront6targetE1EEEvSH_
                                        ; -- End function
	.section	.AMDGPU.csdata,"",@progbits
; Kernel info:
; codeLenInByte = 0
; NumSgprs: 4
; NumVgprs: 0
; NumAgprs: 0
; TotalNumVgprs: 0
; ScratchSize: 0
; MemoryBound: 0
; FloatMode: 240
; IeeeMode: 1
; LDSByteSize: 0 bytes/workgroup (compile time only)
; SGPRBlocks: 0
; VGPRBlocks: 0
; NumSGPRsForWavesPerEU: 4
; NumVGPRsForWavesPerEU: 1
; AccumOffset: 4
; Occupancy: 8
; WaveLimiterHint : 0
; COMPUTE_PGM_RSRC2:SCRATCH_EN: 0
; COMPUTE_PGM_RSRC2:USER_SGPR: 6
; COMPUTE_PGM_RSRC2:TRAP_HANDLER: 0
; COMPUTE_PGM_RSRC2:TGID_X_EN: 1
; COMPUTE_PGM_RSRC2:TGID_Y_EN: 0
; COMPUTE_PGM_RSRC2:TGID_Z_EN: 0
; COMPUTE_PGM_RSRC2:TIDIG_COMP_CNT: 0
; COMPUTE_PGM_RSRC3_GFX90A:ACCUM_OFFSET: 0
; COMPUTE_PGM_RSRC3_GFX90A:TG_SPLIT: 0
	.section	.text._ZN7rocprim17ROCPRIM_400000_NS6detail17trampoline_kernelINS0_14default_configENS1_38merge_sort_block_merge_config_selectorIilEEZZNS1_27merge_sort_block_merge_implIS3_PiN6thrust23THRUST_200600_302600_NS10device_ptrIlEEjNS1_19radix_merge_compareILb0ELb0EiNS0_19identity_decomposerEEEEE10hipError_tT0_T1_T2_jT3_P12ihipStream_tbPNSt15iterator_traitsISG_E10value_typeEPNSM_ISH_E10value_typeEPSI_NS1_7vsmem_tEENKUlT_SG_SH_SI_E_clIS7_S7_SB_PlEESF_SV_SG_SH_SI_EUlSV_E1_NS1_11comp_targetILNS1_3genE9ELNS1_11target_archE1100ELNS1_3gpuE3ELNS1_3repE0EEENS1_36merge_oddeven_config_static_selectorELNS0_4arch9wavefront6targetE1EEEvSH_,"axG",@progbits,_ZN7rocprim17ROCPRIM_400000_NS6detail17trampoline_kernelINS0_14default_configENS1_38merge_sort_block_merge_config_selectorIilEEZZNS1_27merge_sort_block_merge_implIS3_PiN6thrust23THRUST_200600_302600_NS10device_ptrIlEEjNS1_19radix_merge_compareILb0ELb0EiNS0_19identity_decomposerEEEEE10hipError_tT0_T1_T2_jT3_P12ihipStream_tbPNSt15iterator_traitsISG_E10value_typeEPNSM_ISH_E10value_typeEPSI_NS1_7vsmem_tEENKUlT_SG_SH_SI_E_clIS7_S7_SB_PlEESF_SV_SG_SH_SI_EUlSV_E1_NS1_11comp_targetILNS1_3genE9ELNS1_11target_archE1100ELNS1_3gpuE3ELNS1_3repE0EEENS1_36merge_oddeven_config_static_selectorELNS0_4arch9wavefront6targetE1EEEvSH_,comdat
	.protected	_ZN7rocprim17ROCPRIM_400000_NS6detail17trampoline_kernelINS0_14default_configENS1_38merge_sort_block_merge_config_selectorIilEEZZNS1_27merge_sort_block_merge_implIS3_PiN6thrust23THRUST_200600_302600_NS10device_ptrIlEEjNS1_19radix_merge_compareILb0ELb0EiNS0_19identity_decomposerEEEEE10hipError_tT0_T1_T2_jT3_P12ihipStream_tbPNSt15iterator_traitsISG_E10value_typeEPNSM_ISH_E10value_typeEPSI_NS1_7vsmem_tEENKUlT_SG_SH_SI_E_clIS7_S7_SB_PlEESF_SV_SG_SH_SI_EUlSV_E1_NS1_11comp_targetILNS1_3genE9ELNS1_11target_archE1100ELNS1_3gpuE3ELNS1_3repE0EEENS1_36merge_oddeven_config_static_selectorELNS0_4arch9wavefront6targetE1EEEvSH_ ; -- Begin function _ZN7rocprim17ROCPRIM_400000_NS6detail17trampoline_kernelINS0_14default_configENS1_38merge_sort_block_merge_config_selectorIilEEZZNS1_27merge_sort_block_merge_implIS3_PiN6thrust23THRUST_200600_302600_NS10device_ptrIlEEjNS1_19radix_merge_compareILb0ELb0EiNS0_19identity_decomposerEEEEE10hipError_tT0_T1_T2_jT3_P12ihipStream_tbPNSt15iterator_traitsISG_E10value_typeEPNSM_ISH_E10value_typeEPSI_NS1_7vsmem_tEENKUlT_SG_SH_SI_E_clIS7_S7_SB_PlEESF_SV_SG_SH_SI_EUlSV_E1_NS1_11comp_targetILNS1_3genE9ELNS1_11target_archE1100ELNS1_3gpuE3ELNS1_3repE0EEENS1_36merge_oddeven_config_static_selectorELNS0_4arch9wavefront6targetE1EEEvSH_
	.globl	_ZN7rocprim17ROCPRIM_400000_NS6detail17trampoline_kernelINS0_14default_configENS1_38merge_sort_block_merge_config_selectorIilEEZZNS1_27merge_sort_block_merge_implIS3_PiN6thrust23THRUST_200600_302600_NS10device_ptrIlEEjNS1_19radix_merge_compareILb0ELb0EiNS0_19identity_decomposerEEEEE10hipError_tT0_T1_T2_jT3_P12ihipStream_tbPNSt15iterator_traitsISG_E10value_typeEPNSM_ISH_E10value_typeEPSI_NS1_7vsmem_tEENKUlT_SG_SH_SI_E_clIS7_S7_SB_PlEESF_SV_SG_SH_SI_EUlSV_E1_NS1_11comp_targetILNS1_3genE9ELNS1_11target_archE1100ELNS1_3gpuE3ELNS1_3repE0EEENS1_36merge_oddeven_config_static_selectorELNS0_4arch9wavefront6targetE1EEEvSH_
	.p2align	8
	.type	_ZN7rocprim17ROCPRIM_400000_NS6detail17trampoline_kernelINS0_14default_configENS1_38merge_sort_block_merge_config_selectorIilEEZZNS1_27merge_sort_block_merge_implIS3_PiN6thrust23THRUST_200600_302600_NS10device_ptrIlEEjNS1_19radix_merge_compareILb0ELb0EiNS0_19identity_decomposerEEEEE10hipError_tT0_T1_T2_jT3_P12ihipStream_tbPNSt15iterator_traitsISG_E10value_typeEPNSM_ISH_E10value_typeEPSI_NS1_7vsmem_tEENKUlT_SG_SH_SI_E_clIS7_S7_SB_PlEESF_SV_SG_SH_SI_EUlSV_E1_NS1_11comp_targetILNS1_3genE9ELNS1_11target_archE1100ELNS1_3gpuE3ELNS1_3repE0EEENS1_36merge_oddeven_config_static_selectorELNS0_4arch9wavefront6targetE1EEEvSH_,@function
_ZN7rocprim17ROCPRIM_400000_NS6detail17trampoline_kernelINS0_14default_configENS1_38merge_sort_block_merge_config_selectorIilEEZZNS1_27merge_sort_block_merge_implIS3_PiN6thrust23THRUST_200600_302600_NS10device_ptrIlEEjNS1_19radix_merge_compareILb0ELb0EiNS0_19identity_decomposerEEEEE10hipError_tT0_T1_T2_jT3_P12ihipStream_tbPNSt15iterator_traitsISG_E10value_typeEPNSM_ISH_E10value_typeEPSI_NS1_7vsmem_tEENKUlT_SG_SH_SI_E_clIS7_S7_SB_PlEESF_SV_SG_SH_SI_EUlSV_E1_NS1_11comp_targetILNS1_3genE9ELNS1_11target_archE1100ELNS1_3gpuE3ELNS1_3repE0EEENS1_36merge_oddeven_config_static_selectorELNS0_4arch9wavefront6targetE1EEEvSH_: ; @_ZN7rocprim17ROCPRIM_400000_NS6detail17trampoline_kernelINS0_14default_configENS1_38merge_sort_block_merge_config_selectorIilEEZZNS1_27merge_sort_block_merge_implIS3_PiN6thrust23THRUST_200600_302600_NS10device_ptrIlEEjNS1_19radix_merge_compareILb0ELb0EiNS0_19identity_decomposerEEEEE10hipError_tT0_T1_T2_jT3_P12ihipStream_tbPNSt15iterator_traitsISG_E10value_typeEPNSM_ISH_E10value_typeEPSI_NS1_7vsmem_tEENKUlT_SG_SH_SI_E_clIS7_S7_SB_PlEESF_SV_SG_SH_SI_EUlSV_E1_NS1_11comp_targetILNS1_3genE9ELNS1_11target_archE1100ELNS1_3gpuE3ELNS1_3repE0EEENS1_36merge_oddeven_config_static_selectorELNS0_4arch9wavefront6targetE1EEEvSH_
; %bb.0:
	.section	.rodata,"a",@progbits
	.p2align	6, 0x0
	.amdhsa_kernel _ZN7rocprim17ROCPRIM_400000_NS6detail17trampoline_kernelINS0_14default_configENS1_38merge_sort_block_merge_config_selectorIilEEZZNS1_27merge_sort_block_merge_implIS3_PiN6thrust23THRUST_200600_302600_NS10device_ptrIlEEjNS1_19radix_merge_compareILb0ELb0EiNS0_19identity_decomposerEEEEE10hipError_tT0_T1_T2_jT3_P12ihipStream_tbPNSt15iterator_traitsISG_E10value_typeEPNSM_ISH_E10value_typeEPSI_NS1_7vsmem_tEENKUlT_SG_SH_SI_E_clIS7_S7_SB_PlEESF_SV_SG_SH_SI_EUlSV_E1_NS1_11comp_targetILNS1_3genE9ELNS1_11target_archE1100ELNS1_3gpuE3ELNS1_3repE0EEENS1_36merge_oddeven_config_static_selectorELNS0_4arch9wavefront6targetE1EEEvSH_
		.amdhsa_group_segment_fixed_size 0
		.amdhsa_private_segment_fixed_size 0
		.amdhsa_kernarg_size 48
		.amdhsa_user_sgpr_count 6
		.amdhsa_user_sgpr_private_segment_buffer 1
		.amdhsa_user_sgpr_dispatch_ptr 0
		.amdhsa_user_sgpr_queue_ptr 0
		.amdhsa_user_sgpr_kernarg_segment_ptr 1
		.amdhsa_user_sgpr_dispatch_id 0
		.amdhsa_user_sgpr_flat_scratch_init 0
		.amdhsa_user_sgpr_kernarg_preload_length 0
		.amdhsa_user_sgpr_kernarg_preload_offset 0
		.amdhsa_user_sgpr_private_segment_size 0
		.amdhsa_uses_dynamic_stack 0
		.amdhsa_system_sgpr_private_segment_wavefront_offset 0
		.amdhsa_system_sgpr_workgroup_id_x 1
		.amdhsa_system_sgpr_workgroup_id_y 0
		.amdhsa_system_sgpr_workgroup_id_z 0
		.amdhsa_system_sgpr_workgroup_info 0
		.amdhsa_system_vgpr_workitem_id 0
		.amdhsa_next_free_vgpr 1
		.amdhsa_next_free_sgpr 0
		.amdhsa_accum_offset 4
		.amdhsa_reserve_vcc 0
		.amdhsa_reserve_flat_scratch 0
		.amdhsa_float_round_mode_32 0
		.amdhsa_float_round_mode_16_64 0
		.amdhsa_float_denorm_mode_32 3
		.amdhsa_float_denorm_mode_16_64 3
		.amdhsa_dx10_clamp 1
		.amdhsa_ieee_mode 1
		.amdhsa_fp16_overflow 0
		.amdhsa_tg_split 0
		.amdhsa_exception_fp_ieee_invalid_op 0
		.amdhsa_exception_fp_denorm_src 0
		.amdhsa_exception_fp_ieee_div_zero 0
		.amdhsa_exception_fp_ieee_overflow 0
		.amdhsa_exception_fp_ieee_underflow 0
		.amdhsa_exception_fp_ieee_inexact 0
		.amdhsa_exception_int_div_zero 0
	.end_amdhsa_kernel
	.section	.text._ZN7rocprim17ROCPRIM_400000_NS6detail17trampoline_kernelINS0_14default_configENS1_38merge_sort_block_merge_config_selectorIilEEZZNS1_27merge_sort_block_merge_implIS3_PiN6thrust23THRUST_200600_302600_NS10device_ptrIlEEjNS1_19radix_merge_compareILb0ELb0EiNS0_19identity_decomposerEEEEE10hipError_tT0_T1_T2_jT3_P12ihipStream_tbPNSt15iterator_traitsISG_E10value_typeEPNSM_ISH_E10value_typeEPSI_NS1_7vsmem_tEENKUlT_SG_SH_SI_E_clIS7_S7_SB_PlEESF_SV_SG_SH_SI_EUlSV_E1_NS1_11comp_targetILNS1_3genE9ELNS1_11target_archE1100ELNS1_3gpuE3ELNS1_3repE0EEENS1_36merge_oddeven_config_static_selectorELNS0_4arch9wavefront6targetE1EEEvSH_,"axG",@progbits,_ZN7rocprim17ROCPRIM_400000_NS6detail17trampoline_kernelINS0_14default_configENS1_38merge_sort_block_merge_config_selectorIilEEZZNS1_27merge_sort_block_merge_implIS3_PiN6thrust23THRUST_200600_302600_NS10device_ptrIlEEjNS1_19radix_merge_compareILb0ELb0EiNS0_19identity_decomposerEEEEE10hipError_tT0_T1_T2_jT3_P12ihipStream_tbPNSt15iterator_traitsISG_E10value_typeEPNSM_ISH_E10value_typeEPSI_NS1_7vsmem_tEENKUlT_SG_SH_SI_E_clIS7_S7_SB_PlEESF_SV_SG_SH_SI_EUlSV_E1_NS1_11comp_targetILNS1_3genE9ELNS1_11target_archE1100ELNS1_3gpuE3ELNS1_3repE0EEENS1_36merge_oddeven_config_static_selectorELNS0_4arch9wavefront6targetE1EEEvSH_,comdat
.Lfunc_end790:
	.size	_ZN7rocprim17ROCPRIM_400000_NS6detail17trampoline_kernelINS0_14default_configENS1_38merge_sort_block_merge_config_selectorIilEEZZNS1_27merge_sort_block_merge_implIS3_PiN6thrust23THRUST_200600_302600_NS10device_ptrIlEEjNS1_19radix_merge_compareILb0ELb0EiNS0_19identity_decomposerEEEEE10hipError_tT0_T1_T2_jT3_P12ihipStream_tbPNSt15iterator_traitsISG_E10value_typeEPNSM_ISH_E10value_typeEPSI_NS1_7vsmem_tEENKUlT_SG_SH_SI_E_clIS7_S7_SB_PlEESF_SV_SG_SH_SI_EUlSV_E1_NS1_11comp_targetILNS1_3genE9ELNS1_11target_archE1100ELNS1_3gpuE3ELNS1_3repE0EEENS1_36merge_oddeven_config_static_selectorELNS0_4arch9wavefront6targetE1EEEvSH_, .Lfunc_end790-_ZN7rocprim17ROCPRIM_400000_NS6detail17trampoline_kernelINS0_14default_configENS1_38merge_sort_block_merge_config_selectorIilEEZZNS1_27merge_sort_block_merge_implIS3_PiN6thrust23THRUST_200600_302600_NS10device_ptrIlEEjNS1_19radix_merge_compareILb0ELb0EiNS0_19identity_decomposerEEEEE10hipError_tT0_T1_T2_jT3_P12ihipStream_tbPNSt15iterator_traitsISG_E10value_typeEPNSM_ISH_E10value_typeEPSI_NS1_7vsmem_tEENKUlT_SG_SH_SI_E_clIS7_S7_SB_PlEESF_SV_SG_SH_SI_EUlSV_E1_NS1_11comp_targetILNS1_3genE9ELNS1_11target_archE1100ELNS1_3gpuE3ELNS1_3repE0EEENS1_36merge_oddeven_config_static_selectorELNS0_4arch9wavefront6targetE1EEEvSH_
                                        ; -- End function
	.section	.AMDGPU.csdata,"",@progbits
; Kernel info:
; codeLenInByte = 0
; NumSgprs: 4
; NumVgprs: 0
; NumAgprs: 0
; TotalNumVgprs: 0
; ScratchSize: 0
; MemoryBound: 0
; FloatMode: 240
; IeeeMode: 1
; LDSByteSize: 0 bytes/workgroup (compile time only)
; SGPRBlocks: 0
; VGPRBlocks: 0
; NumSGPRsForWavesPerEU: 4
; NumVGPRsForWavesPerEU: 1
; AccumOffset: 4
; Occupancy: 8
; WaveLimiterHint : 0
; COMPUTE_PGM_RSRC2:SCRATCH_EN: 0
; COMPUTE_PGM_RSRC2:USER_SGPR: 6
; COMPUTE_PGM_RSRC2:TRAP_HANDLER: 0
; COMPUTE_PGM_RSRC2:TGID_X_EN: 1
; COMPUTE_PGM_RSRC2:TGID_Y_EN: 0
; COMPUTE_PGM_RSRC2:TGID_Z_EN: 0
; COMPUTE_PGM_RSRC2:TIDIG_COMP_CNT: 0
; COMPUTE_PGM_RSRC3_GFX90A:ACCUM_OFFSET: 0
; COMPUTE_PGM_RSRC3_GFX90A:TG_SPLIT: 0
	.section	.text._ZN7rocprim17ROCPRIM_400000_NS6detail17trampoline_kernelINS0_14default_configENS1_38merge_sort_block_merge_config_selectorIilEEZZNS1_27merge_sort_block_merge_implIS3_PiN6thrust23THRUST_200600_302600_NS10device_ptrIlEEjNS1_19radix_merge_compareILb0ELb0EiNS0_19identity_decomposerEEEEE10hipError_tT0_T1_T2_jT3_P12ihipStream_tbPNSt15iterator_traitsISG_E10value_typeEPNSM_ISH_E10value_typeEPSI_NS1_7vsmem_tEENKUlT_SG_SH_SI_E_clIS7_S7_SB_PlEESF_SV_SG_SH_SI_EUlSV_E1_NS1_11comp_targetILNS1_3genE8ELNS1_11target_archE1030ELNS1_3gpuE2ELNS1_3repE0EEENS1_36merge_oddeven_config_static_selectorELNS0_4arch9wavefront6targetE1EEEvSH_,"axG",@progbits,_ZN7rocprim17ROCPRIM_400000_NS6detail17trampoline_kernelINS0_14default_configENS1_38merge_sort_block_merge_config_selectorIilEEZZNS1_27merge_sort_block_merge_implIS3_PiN6thrust23THRUST_200600_302600_NS10device_ptrIlEEjNS1_19radix_merge_compareILb0ELb0EiNS0_19identity_decomposerEEEEE10hipError_tT0_T1_T2_jT3_P12ihipStream_tbPNSt15iterator_traitsISG_E10value_typeEPNSM_ISH_E10value_typeEPSI_NS1_7vsmem_tEENKUlT_SG_SH_SI_E_clIS7_S7_SB_PlEESF_SV_SG_SH_SI_EUlSV_E1_NS1_11comp_targetILNS1_3genE8ELNS1_11target_archE1030ELNS1_3gpuE2ELNS1_3repE0EEENS1_36merge_oddeven_config_static_selectorELNS0_4arch9wavefront6targetE1EEEvSH_,comdat
	.protected	_ZN7rocprim17ROCPRIM_400000_NS6detail17trampoline_kernelINS0_14default_configENS1_38merge_sort_block_merge_config_selectorIilEEZZNS1_27merge_sort_block_merge_implIS3_PiN6thrust23THRUST_200600_302600_NS10device_ptrIlEEjNS1_19radix_merge_compareILb0ELb0EiNS0_19identity_decomposerEEEEE10hipError_tT0_T1_T2_jT3_P12ihipStream_tbPNSt15iterator_traitsISG_E10value_typeEPNSM_ISH_E10value_typeEPSI_NS1_7vsmem_tEENKUlT_SG_SH_SI_E_clIS7_S7_SB_PlEESF_SV_SG_SH_SI_EUlSV_E1_NS1_11comp_targetILNS1_3genE8ELNS1_11target_archE1030ELNS1_3gpuE2ELNS1_3repE0EEENS1_36merge_oddeven_config_static_selectorELNS0_4arch9wavefront6targetE1EEEvSH_ ; -- Begin function _ZN7rocprim17ROCPRIM_400000_NS6detail17trampoline_kernelINS0_14default_configENS1_38merge_sort_block_merge_config_selectorIilEEZZNS1_27merge_sort_block_merge_implIS3_PiN6thrust23THRUST_200600_302600_NS10device_ptrIlEEjNS1_19radix_merge_compareILb0ELb0EiNS0_19identity_decomposerEEEEE10hipError_tT0_T1_T2_jT3_P12ihipStream_tbPNSt15iterator_traitsISG_E10value_typeEPNSM_ISH_E10value_typeEPSI_NS1_7vsmem_tEENKUlT_SG_SH_SI_E_clIS7_S7_SB_PlEESF_SV_SG_SH_SI_EUlSV_E1_NS1_11comp_targetILNS1_3genE8ELNS1_11target_archE1030ELNS1_3gpuE2ELNS1_3repE0EEENS1_36merge_oddeven_config_static_selectorELNS0_4arch9wavefront6targetE1EEEvSH_
	.globl	_ZN7rocprim17ROCPRIM_400000_NS6detail17trampoline_kernelINS0_14default_configENS1_38merge_sort_block_merge_config_selectorIilEEZZNS1_27merge_sort_block_merge_implIS3_PiN6thrust23THRUST_200600_302600_NS10device_ptrIlEEjNS1_19radix_merge_compareILb0ELb0EiNS0_19identity_decomposerEEEEE10hipError_tT0_T1_T2_jT3_P12ihipStream_tbPNSt15iterator_traitsISG_E10value_typeEPNSM_ISH_E10value_typeEPSI_NS1_7vsmem_tEENKUlT_SG_SH_SI_E_clIS7_S7_SB_PlEESF_SV_SG_SH_SI_EUlSV_E1_NS1_11comp_targetILNS1_3genE8ELNS1_11target_archE1030ELNS1_3gpuE2ELNS1_3repE0EEENS1_36merge_oddeven_config_static_selectorELNS0_4arch9wavefront6targetE1EEEvSH_
	.p2align	8
	.type	_ZN7rocprim17ROCPRIM_400000_NS6detail17trampoline_kernelINS0_14default_configENS1_38merge_sort_block_merge_config_selectorIilEEZZNS1_27merge_sort_block_merge_implIS3_PiN6thrust23THRUST_200600_302600_NS10device_ptrIlEEjNS1_19radix_merge_compareILb0ELb0EiNS0_19identity_decomposerEEEEE10hipError_tT0_T1_T2_jT3_P12ihipStream_tbPNSt15iterator_traitsISG_E10value_typeEPNSM_ISH_E10value_typeEPSI_NS1_7vsmem_tEENKUlT_SG_SH_SI_E_clIS7_S7_SB_PlEESF_SV_SG_SH_SI_EUlSV_E1_NS1_11comp_targetILNS1_3genE8ELNS1_11target_archE1030ELNS1_3gpuE2ELNS1_3repE0EEENS1_36merge_oddeven_config_static_selectorELNS0_4arch9wavefront6targetE1EEEvSH_,@function
_ZN7rocprim17ROCPRIM_400000_NS6detail17trampoline_kernelINS0_14default_configENS1_38merge_sort_block_merge_config_selectorIilEEZZNS1_27merge_sort_block_merge_implIS3_PiN6thrust23THRUST_200600_302600_NS10device_ptrIlEEjNS1_19radix_merge_compareILb0ELb0EiNS0_19identity_decomposerEEEEE10hipError_tT0_T1_T2_jT3_P12ihipStream_tbPNSt15iterator_traitsISG_E10value_typeEPNSM_ISH_E10value_typeEPSI_NS1_7vsmem_tEENKUlT_SG_SH_SI_E_clIS7_S7_SB_PlEESF_SV_SG_SH_SI_EUlSV_E1_NS1_11comp_targetILNS1_3genE8ELNS1_11target_archE1030ELNS1_3gpuE2ELNS1_3repE0EEENS1_36merge_oddeven_config_static_selectorELNS0_4arch9wavefront6targetE1EEEvSH_: ; @_ZN7rocprim17ROCPRIM_400000_NS6detail17trampoline_kernelINS0_14default_configENS1_38merge_sort_block_merge_config_selectorIilEEZZNS1_27merge_sort_block_merge_implIS3_PiN6thrust23THRUST_200600_302600_NS10device_ptrIlEEjNS1_19radix_merge_compareILb0ELb0EiNS0_19identity_decomposerEEEEE10hipError_tT0_T1_T2_jT3_P12ihipStream_tbPNSt15iterator_traitsISG_E10value_typeEPNSM_ISH_E10value_typeEPSI_NS1_7vsmem_tEENKUlT_SG_SH_SI_E_clIS7_S7_SB_PlEESF_SV_SG_SH_SI_EUlSV_E1_NS1_11comp_targetILNS1_3genE8ELNS1_11target_archE1030ELNS1_3gpuE2ELNS1_3repE0EEENS1_36merge_oddeven_config_static_selectorELNS0_4arch9wavefront6targetE1EEEvSH_
; %bb.0:
	.section	.rodata,"a",@progbits
	.p2align	6, 0x0
	.amdhsa_kernel _ZN7rocprim17ROCPRIM_400000_NS6detail17trampoline_kernelINS0_14default_configENS1_38merge_sort_block_merge_config_selectorIilEEZZNS1_27merge_sort_block_merge_implIS3_PiN6thrust23THRUST_200600_302600_NS10device_ptrIlEEjNS1_19radix_merge_compareILb0ELb0EiNS0_19identity_decomposerEEEEE10hipError_tT0_T1_T2_jT3_P12ihipStream_tbPNSt15iterator_traitsISG_E10value_typeEPNSM_ISH_E10value_typeEPSI_NS1_7vsmem_tEENKUlT_SG_SH_SI_E_clIS7_S7_SB_PlEESF_SV_SG_SH_SI_EUlSV_E1_NS1_11comp_targetILNS1_3genE8ELNS1_11target_archE1030ELNS1_3gpuE2ELNS1_3repE0EEENS1_36merge_oddeven_config_static_selectorELNS0_4arch9wavefront6targetE1EEEvSH_
		.amdhsa_group_segment_fixed_size 0
		.amdhsa_private_segment_fixed_size 0
		.amdhsa_kernarg_size 48
		.amdhsa_user_sgpr_count 6
		.amdhsa_user_sgpr_private_segment_buffer 1
		.amdhsa_user_sgpr_dispatch_ptr 0
		.amdhsa_user_sgpr_queue_ptr 0
		.amdhsa_user_sgpr_kernarg_segment_ptr 1
		.amdhsa_user_sgpr_dispatch_id 0
		.amdhsa_user_sgpr_flat_scratch_init 0
		.amdhsa_user_sgpr_kernarg_preload_length 0
		.amdhsa_user_sgpr_kernarg_preload_offset 0
		.amdhsa_user_sgpr_private_segment_size 0
		.amdhsa_uses_dynamic_stack 0
		.amdhsa_system_sgpr_private_segment_wavefront_offset 0
		.amdhsa_system_sgpr_workgroup_id_x 1
		.amdhsa_system_sgpr_workgroup_id_y 0
		.amdhsa_system_sgpr_workgroup_id_z 0
		.amdhsa_system_sgpr_workgroup_info 0
		.amdhsa_system_vgpr_workitem_id 0
		.amdhsa_next_free_vgpr 1
		.amdhsa_next_free_sgpr 0
		.amdhsa_accum_offset 4
		.amdhsa_reserve_vcc 0
		.amdhsa_reserve_flat_scratch 0
		.amdhsa_float_round_mode_32 0
		.amdhsa_float_round_mode_16_64 0
		.amdhsa_float_denorm_mode_32 3
		.amdhsa_float_denorm_mode_16_64 3
		.amdhsa_dx10_clamp 1
		.amdhsa_ieee_mode 1
		.amdhsa_fp16_overflow 0
		.amdhsa_tg_split 0
		.amdhsa_exception_fp_ieee_invalid_op 0
		.amdhsa_exception_fp_denorm_src 0
		.amdhsa_exception_fp_ieee_div_zero 0
		.amdhsa_exception_fp_ieee_overflow 0
		.amdhsa_exception_fp_ieee_underflow 0
		.amdhsa_exception_fp_ieee_inexact 0
		.amdhsa_exception_int_div_zero 0
	.end_amdhsa_kernel
	.section	.text._ZN7rocprim17ROCPRIM_400000_NS6detail17trampoline_kernelINS0_14default_configENS1_38merge_sort_block_merge_config_selectorIilEEZZNS1_27merge_sort_block_merge_implIS3_PiN6thrust23THRUST_200600_302600_NS10device_ptrIlEEjNS1_19radix_merge_compareILb0ELb0EiNS0_19identity_decomposerEEEEE10hipError_tT0_T1_T2_jT3_P12ihipStream_tbPNSt15iterator_traitsISG_E10value_typeEPNSM_ISH_E10value_typeEPSI_NS1_7vsmem_tEENKUlT_SG_SH_SI_E_clIS7_S7_SB_PlEESF_SV_SG_SH_SI_EUlSV_E1_NS1_11comp_targetILNS1_3genE8ELNS1_11target_archE1030ELNS1_3gpuE2ELNS1_3repE0EEENS1_36merge_oddeven_config_static_selectorELNS0_4arch9wavefront6targetE1EEEvSH_,"axG",@progbits,_ZN7rocprim17ROCPRIM_400000_NS6detail17trampoline_kernelINS0_14default_configENS1_38merge_sort_block_merge_config_selectorIilEEZZNS1_27merge_sort_block_merge_implIS3_PiN6thrust23THRUST_200600_302600_NS10device_ptrIlEEjNS1_19radix_merge_compareILb0ELb0EiNS0_19identity_decomposerEEEEE10hipError_tT0_T1_T2_jT3_P12ihipStream_tbPNSt15iterator_traitsISG_E10value_typeEPNSM_ISH_E10value_typeEPSI_NS1_7vsmem_tEENKUlT_SG_SH_SI_E_clIS7_S7_SB_PlEESF_SV_SG_SH_SI_EUlSV_E1_NS1_11comp_targetILNS1_3genE8ELNS1_11target_archE1030ELNS1_3gpuE2ELNS1_3repE0EEENS1_36merge_oddeven_config_static_selectorELNS0_4arch9wavefront6targetE1EEEvSH_,comdat
.Lfunc_end791:
	.size	_ZN7rocprim17ROCPRIM_400000_NS6detail17trampoline_kernelINS0_14default_configENS1_38merge_sort_block_merge_config_selectorIilEEZZNS1_27merge_sort_block_merge_implIS3_PiN6thrust23THRUST_200600_302600_NS10device_ptrIlEEjNS1_19radix_merge_compareILb0ELb0EiNS0_19identity_decomposerEEEEE10hipError_tT0_T1_T2_jT3_P12ihipStream_tbPNSt15iterator_traitsISG_E10value_typeEPNSM_ISH_E10value_typeEPSI_NS1_7vsmem_tEENKUlT_SG_SH_SI_E_clIS7_S7_SB_PlEESF_SV_SG_SH_SI_EUlSV_E1_NS1_11comp_targetILNS1_3genE8ELNS1_11target_archE1030ELNS1_3gpuE2ELNS1_3repE0EEENS1_36merge_oddeven_config_static_selectorELNS0_4arch9wavefront6targetE1EEEvSH_, .Lfunc_end791-_ZN7rocprim17ROCPRIM_400000_NS6detail17trampoline_kernelINS0_14default_configENS1_38merge_sort_block_merge_config_selectorIilEEZZNS1_27merge_sort_block_merge_implIS3_PiN6thrust23THRUST_200600_302600_NS10device_ptrIlEEjNS1_19radix_merge_compareILb0ELb0EiNS0_19identity_decomposerEEEEE10hipError_tT0_T1_T2_jT3_P12ihipStream_tbPNSt15iterator_traitsISG_E10value_typeEPNSM_ISH_E10value_typeEPSI_NS1_7vsmem_tEENKUlT_SG_SH_SI_E_clIS7_S7_SB_PlEESF_SV_SG_SH_SI_EUlSV_E1_NS1_11comp_targetILNS1_3genE8ELNS1_11target_archE1030ELNS1_3gpuE2ELNS1_3repE0EEENS1_36merge_oddeven_config_static_selectorELNS0_4arch9wavefront6targetE1EEEvSH_
                                        ; -- End function
	.section	.AMDGPU.csdata,"",@progbits
; Kernel info:
; codeLenInByte = 0
; NumSgprs: 4
; NumVgprs: 0
; NumAgprs: 0
; TotalNumVgprs: 0
; ScratchSize: 0
; MemoryBound: 0
; FloatMode: 240
; IeeeMode: 1
; LDSByteSize: 0 bytes/workgroup (compile time only)
; SGPRBlocks: 0
; VGPRBlocks: 0
; NumSGPRsForWavesPerEU: 4
; NumVGPRsForWavesPerEU: 1
; AccumOffset: 4
; Occupancy: 8
; WaveLimiterHint : 0
; COMPUTE_PGM_RSRC2:SCRATCH_EN: 0
; COMPUTE_PGM_RSRC2:USER_SGPR: 6
; COMPUTE_PGM_RSRC2:TRAP_HANDLER: 0
; COMPUTE_PGM_RSRC2:TGID_X_EN: 1
; COMPUTE_PGM_RSRC2:TGID_Y_EN: 0
; COMPUTE_PGM_RSRC2:TGID_Z_EN: 0
; COMPUTE_PGM_RSRC2:TIDIG_COMP_CNT: 0
; COMPUTE_PGM_RSRC3_GFX90A:ACCUM_OFFSET: 0
; COMPUTE_PGM_RSRC3_GFX90A:TG_SPLIT: 0
	.section	.text._ZN7rocprim17ROCPRIM_400000_NS6detail17trampoline_kernelINS0_14default_configENS1_25transform_config_selectorIiLb1EEEZNS1_14transform_implILb1ES3_S5_PiS7_NS0_8identityIiEEEE10hipError_tT2_T3_mT4_P12ihipStream_tbEUlT_E_NS1_11comp_targetILNS1_3genE0ELNS1_11target_archE4294967295ELNS1_3gpuE0ELNS1_3repE0EEENS1_30default_config_static_selectorELNS0_4arch9wavefront6targetE1EEEvT1_,"axG",@progbits,_ZN7rocprim17ROCPRIM_400000_NS6detail17trampoline_kernelINS0_14default_configENS1_25transform_config_selectorIiLb1EEEZNS1_14transform_implILb1ES3_S5_PiS7_NS0_8identityIiEEEE10hipError_tT2_T3_mT4_P12ihipStream_tbEUlT_E_NS1_11comp_targetILNS1_3genE0ELNS1_11target_archE4294967295ELNS1_3gpuE0ELNS1_3repE0EEENS1_30default_config_static_selectorELNS0_4arch9wavefront6targetE1EEEvT1_,comdat
	.protected	_ZN7rocprim17ROCPRIM_400000_NS6detail17trampoline_kernelINS0_14default_configENS1_25transform_config_selectorIiLb1EEEZNS1_14transform_implILb1ES3_S5_PiS7_NS0_8identityIiEEEE10hipError_tT2_T3_mT4_P12ihipStream_tbEUlT_E_NS1_11comp_targetILNS1_3genE0ELNS1_11target_archE4294967295ELNS1_3gpuE0ELNS1_3repE0EEENS1_30default_config_static_selectorELNS0_4arch9wavefront6targetE1EEEvT1_ ; -- Begin function _ZN7rocprim17ROCPRIM_400000_NS6detail17trampoline_kernelINS0_14default_configENS1_25transform_config_selectorIiLb1EEEZNS1_14transform_implILb1ES3_S5_PiS7_NS0_8identityIiEEEE10hipError_tT2_T3_mT4_P12ihipStream_tbEUlT_E_NS1_11comp_targetILNS1_3genE0ELNS1_11target_archE4294967295ELNS1_3gpuE0ELNS1_3repE0EEENS1_30default_config_static_selectorELNS0_4arch9wavefront6targetE1EEEvT1_
	.globl	_ZN7rocprim17ROCPRIM_400000_NS6detail17trampoline_kernelINS0_14default_configENS1_25transform_config_selectorIiLb1EEEZNS1_14transform_implILb1ES3_S5_PiS7_NS0_8identityIiEEEE10hipError_tT2_T3_mT4_P12ihipStream_tbEUlT_E_NS1_11comp_targetILNS1_3genE0ELNS1_11target_archE4294967295ELNS1_3gpuE0ELNS1_3repE0EEENS1_30default_config_static_selectorELNS0_4arch9wavefront6targetE1EEEvT1_
	.p2align	8
	.type	_ZN7rocprim17ROCPRIM_400000_NS6detail17trampoline_kernelINS0_14default_configENS1_25transform_config_selectorIiLb1EEEZNS1_14transform_implILb1ES3_S5_PiS7_NS0_8identityIiEEEE10hipError_tT2_T3_mT4_P12ihipStream_tbEUlT_E_NS1_11comp_targetILNS1_3genE0ELNS1_11target_archE4294967295ELNS1_3gpuE0ELNS1_3repE0EEENS1_30default_config_static_selectorELNS0_4arch9wavefront6targetE1EEEvT1_,@function
_ZN7rocprim17ROCPRIM_400000_NS6detail17trampoline_kernelINS0_14default_configENS1_25transform_config_selectorIiLb1EEEZNS1_14transform_implILb1ES3_S5_PiS7_NS0_8identityIiEEEE10hipError_tT2_T3_mT4_P12ihipStream_tbEUlT_E_NS1_11comp_targetILNS1_3genE0ELNS1_11target_archE4294967295ELNS1_3gpuE0ELNS1_3repE0EEENS1_30default_config_static_selectorELNS0_4arch9wavefront6targetE1EEEvT1_: ; @_ZN7rocprim17ROCPRIM_400000_NS6detail17trampoline_kernelINS0_14default_configENS1_25transform_config_selectorIiLb1EEEZNS1_14transform_implILb1ES3_S5_PiS7_NS0_8identityIiEEEE10hipError_tT2_T3_mT4_P12ihipStream_tbEUlT_E_NS1_11comp_targetILNS1_3genE0ELNS1_11target_archE4294967295ELNS1_3gpuE0ELNS1_3repE0EEENS1_30default_config_static_selectorELNS0_4arch9wavefront6targetE1EEEvT1_
; %bb.0:
	.section	.rodata,"a",@progbits
	.p2align	6, 0x0
	.amdhsa_kernel _ZN7rocprim17ROCPRIM_400000_NS6detail17trampoline_kernelINS0_14default_configENS1_25transform_config_selectorIiLb1EEEZNS1_14transform_implILb1ES3_S5_PiS7_NS0_8identityIiEEEE10hipError_tT2_T3_mT4_P12ihipStream_tbEUlT_E_NS1_11comp_targetILNS1_3genE0ELNS1_11target_archE4294967295ELNS1_3gpuE0ELNS1_3repE0EEENS1_30default_config_static_selectorELNS0_4arch9wavefront6targetE1EEEvT1_
		.amdhsa_group_segment_fixed_size 0
		.amdhsa_private_segment_fixed_size 0
		.amdhsa_kernarg_size 40
		.amdhsa_user_sgpr_count 6
		.amdhsa_user_sgpr_private_segment_buffer 1
		.amdhsa_user_sgpr_dispatch_ptr 0
		.amdhsa_user_sgpr_queue_ptr 0
		.amdhsa_user_sgpr_kernarg_segment_ptr 1
		.amdhsa_user_sgpr_dispatch_id 0
		.amdhsa_user_sgpr_flat_scratch_init 0
		.amdhsa_user_sgpr_kernarg_preload_length 0
		.amdhsa_user_sgpr_kernarg_preload_offset 0
		.amdhsa_user_sgpr_private_segment_size 0
		.amdhsa_uses_dynamic_stack 0
		.amdhsa_system_sgpr_private_segment_wavefront_offset 0
		.amdhsa_system_sgpr_workgroup_id_x 1
		.amdhsa_system_sgpr_workgroup_id_y 0
		.amdhsa_system_sgpr_workgroup_id_z 0
		.amdhsa_system_sgpr_workgroup_info 0
		.amdhsa_system_vgpr_workitem_id 0
		.amdhsa_next_free_vgpr 1
		.amdhsa_next_free_sgpr 0
		.amdhsa_accum_offset 4
		.amdhsa_reserve_vcc 0
		.amdhsa_reserve_flat_scratch 0
		.amdhsa_float_round_mode_32 0
		.amdhsa_float_round_mode_16_64 0
		.amdhsa_float_denorm_mode_32 3
		.amdhsa_float_denorm_mode_16_64 3
		.amdhsa_dx10_clamp 1
		.amdhsa_ieee_mode 1
		.amdhsa_fp16_overflow 0
		.amdhsa_tg_split 0
		.amdhsa_exception_fp_ieee_invalid_op 0
		.amdhsa_exception_fp_denorm_src 0
		.amdhsa_exception_fp_ieee_div_zero 0
		.amdhsa_exception_fp_ieee_overflow 0
		.amdhsa_exception_fp_ieee_underflow 0
		.amdhsa_exception_fp_ieee_inexact 0
		.amdhsa_exception_int_div_zero 0
	.end_amdhsa_kernel
	.section	.text._ZN7rocprim17ROCPRIM_400000_NS6detail17trampoline_kernelINS0_14default_configENS1_25transform_config_selectorIiLb1EEEZNS1_14transform_implILb1ES3_S5_PiS7_NS0_8identityIiEEEE10hipError_tT2_T3_mT4_P12ihipStream_tbEUlT_E_NS1_11comp_targetILNS1_3genE0ELNS1_11target_archE4294967295ELNS1_3gpuE0ELNS1_3repE0EEENS1_30default_config_static_selectorELNS0_4arch9wavefront6targetE1EEEvT1_,"axG",@progbits,_ZN7rocprim17ROCPRIM_400000_NS6detail17trampoline_kernelINS0_14default_configENS1_25transform_config_selectorIiLb1EEEZNS1_14transform_implILb1ES3_S5_PiS7_NS0_8identityIiEEEE10hipError_tT2_T3_mT4_P12ihipStream_tbEUlT_E_NS1_11comp_targetILNS1_3genE0ELNS1_11target_archE4294967295ELNS1_3gpuE0ELNS1_3repE0EEENS1_30default_config_static_selectorELNS0_4arch9wavefront6targetE1EEEvT1_,comdat
.Lfunc_end792:
	.size	_ZN7rocprim17ROCPRIM_400000_NS6detail17trampoline_kernelINS0_14default_configENS1_25transform_config_selectorIiLb1EEEZNS1_14transform_implILb1ES3_S5_PiS7_NS0_8identityIiEEEE10hipError_tT2_T3_mT4_P12ihipStream_tbEUlT_E_NS1_11comp_targetILNS1_3genE0ELNS1_11target_archE4294967295ELNS1_3gpuE0ELNS1_3repE0EEENS1_30default_config_static_selectorELNS0_4arch9wavefront6targetE1EEEvT1_, .Lfunc_end792-_ZN7rocprim17ROCPRIM_400000_NS6detail17trampoline_kernelINS0_14default_configENS1_25transform_config_selectorIiLb1EEEZNS1_14transform_implILb1ES3_S5_PiS7_NS0_8identityIiEEEE10hipError_tT2_T3_mT4_P12ihipStream_tbEUlT_E_NS1_11comp_targetILNS1_3genE0ELNS1_11target_archE4294967295ELNS1_3gpuE0ELNS1_3repE0EEENS1_30default_config_static_selectorELNS0_4arch9wavefront6targetE1EEEvT1_
                                        ; -- End function
	.section	.AMDGPU.csdata,"",@progbits
; Kernel info:
; codeLenInByte = 0
; NumSgprs: 4
; NumVgprs: 0
; NumAgprs: 0
; TotalNumVgprs: 0
; ScratchSize: 0
; MemoryBound: 0
; FloatMode: 240
; IeeeMode: 1
; LDSByteSize: 0 bytes/workgroup (compile time only)
; SGPRBlocks: 0
; VGPRBlocks: 0
; NumSGPRsForWavesPerEU: 4
; NumVGPRsForWavesPerEU: 1
; AccumOffset: 4
; Occupancy: 8
; WaveLimiterHint : 0
; COMPUTE_PGM_RSRC2:SCRATCH_EN: 0
; COMPUTE_PGM_RSRC2:USER_SGPR: 6
; COMPUTE_PGM_RSRC2:TRAP_HANDLER: 0
; COMPUTE_PGM_RSRC2:TGID_X_EN: 1
; COMPUTE_PGM_RSRC2:TGID_Y_EN: 0
; COMPUTE_PGM_RSRC2:TGID_Z_EN: 0
; COMPUTE_PGM_RSRC2:TIDIG_COMP_CNT: 0
; COMPUTE_PGM_RSRC3_GFX90A:ACCUM_OFFSET: 0
; COMPUTE_PGM_RSRC3_GFX90A:TG_SPLIT: 0
	.section	.text._ZN7rocprim17ROCPRIM_400000_NS6detail17trampoline_kernelINS0_14default_configENS1_25transform_config_selectorIiLb1EEEZNS1_14transform_implILb1ES3_S5_PiS7_NS0_8identityIiEEEE10hipError_tT2_T3_mT4_P12ihipStream_tbEUlT_E_NS1_11comp_targetILNS1_3genE10ELNS1_11target_archE1201ELNS1_3gpuE5ELNS1_3repE0EEENS1_30default_config_static_selectorELNS0_4arch9wavefront6targetE1EEEvT1_,"axG",@progbits,_ZN7rocprim17ROCPRIM_400000_NS6detail17trampoline_kernelINS0_14default_configENS1_25transform_config_selectorIiLb1EEEZNS1_14transform_implILb1ES3_S5_PiS7_NS0_8identityIiEEEE10hipError_tT2_T3_mT4_P12ihipStream_tbEUlT_E_NS1_11comp_targetILNS1_3genE10ELNS1_11target_archE1201ELNS1_3gpuE5ELNS1_3repE0EEENS1_30default_config_static_selectorELNS0_4arch9wavefront6targetE1EEEvT1_,comdat
	.protected	_ZN7rocprim17ROCPRIM_400000_NS6detail17trampoline_kernelINS0_14default_configENS1_25transform_config_selectorIiLb1EEEZNS1_14transform_implILb1ES3_S5_PiS7_NS0_8identityIiEEEE10hipError_tT2_T3_mT4_P12ihipStream_tbEUlT_E_NS1_11comp_targetILNS1_3genE10ELNS1_11target_archE1201ELNS1_3gpuE5ELNS1_3repE0EEENS1_30default_config_static_selectorELNS0_4arch9wavefront6targetE1EEEvT1_ ; -- Begin function _ZN7rocprim17ROCPRIM_400000_NS6detail17trampoline_kernelINS0_14default_configENS1_25transform_config_selectorIiLb1EEEZNS1_14transform_implILb1ES3_S5_PiS7_NS0_8identityIiEEEE10hipError_tT2_T3_mT4_P12ihipStream_tbEUlT_E_NS1_11comp_targetILNS1_3genE10ELNS1_11target_archE1201ELNS1_3gpuE5ELNS1_3repE0EEENS1_30default_config_static_selectorELNS0_4arch9wavefront6targetE1EEEvT1_
	.globl	_ZN7rocprim17ROCPRIM_400000_NS6detail17trampoline_kernelINS0_14default_configENS1_25transform_config_selectorIiLb1EEEZNS1_14transform_implILb1ES3_S5_PiS7_NS0_8identityIiEEEE10hipError_tT2_T3_mT4_P12ihipStream_tbEUlT_E_NS1_11comp_targetILNS1_3genE10ELNS1_11target_archE1201ELNS1_3gpuE5ELNS1_3repE0EEENS1_30default_config_static_selectorELNS0_4arch9wavefront6targetE1EEEvT1_
	.p2align	8
	.type	_ZN7rocprim17ROCPRIM_400000_NS6detail17trampoline_kernelINS0_14default_configENS1_25transform_config_selectorIiLb1EEEZNS1_14transform_implILb1ES3_S5_PiS7_NS0_8identityIiEEEE10hipError_tT2_T3_mT4_P12ihipStream_tbEUlT_E_NS1_11comp_targetILNS1_3genE10ELNS1_11target_archE1201ELNS1_3gpuE5ELNS1_3repE0EEENS1_30default_config_static_selectorELNS0_4arch9wavefront6targetE1EEEvT1_,@function
_ZN7rocprim17ROCPRIM_400000_NS6detail17trampoline_kernelINS0_14default_configENS1_25transform_config_selectorIiLb1EEEZNS1_14transform_implILb1ES3_S5_PiS7_NS0_8identityIiEEEE10hipError_tT2_T3_mT4_P12ihipStream_tbEUlT_E_NS1_11comp_targetILNS1_3genE10ELNS1_11target_archE1201ELNS1_3gpuE5ELNS1_3repE0EEENS1_30default_config_static_selectorELNS0_4arch9wavefront6targetE1EEEvT1_: ; @_ZN7rocprim17ROCPRIM_400000_NS6detail17trampoline_kernelINS0_14default_configENS1_25transform_config_selectorIiLb1EEEZNS1_14transform_implILb1ES3_S5_PiS7_NS0_8identityIiEEEE10hipError_tT2_T3_mT4_P12ihipStream_tbEUlT_E_NS1_11comp_targetILNS1_3genE10ELNS1_11target_archE1201ELNS1_3gpuE5ELNS1_3repE0EEENS1_30default_config_static_selectorELNS0_4arch9wavefront6targetE1EEEvT1_
; %bb.0:
	.section	.rodata,"a",@progbits
	.p2align	6, 0x0
	.amdhsa_kernel _ZN7rocprim17ROCPRIM_400000_NS6detail17trampoline_kernelINS0_14default_configENS1_25transform_config_selectorIiLb1EEEZNS1_14transform_implILb1ES3_S5_PiS7_NS0_8identityIiEEEE10hipError_tT2_T3_mT4_P12ihipStream_tbEUlT_E_NS1_11comp_targetILNS1_3genE10ELNS1_11target_archE1201ELNS1_3gpuE5ELNS1_3repE0EEENS1_30default_config_static_selectorELNS0_4arch9wavefront6targetE1EEEvT1_
		.amdhsa_group_segment_fixed_size 0
		.amdhsa_private_segment_fixed_size 0
		.amdhsa_kernarg_size 40
		.amdhsa_user_sgpr_count 6
		.amdhsa_user_sgpr_private_segment_buffer 1
		.amdhsa_user_sgpr_dispatch_ptr 0
		.amdhsa_user_sgpr_queue_ptr 0
		.amdhsa_user_sgpr_kernarg_segment_ptr 1
		.amdhsa_user_sgpr_dispatch_id 0
		.amdhsa_user_sgpr_flat_scratch_init 0
		.amdhsa_user_sgpr_kernarg_preload_length 0
		.amdhsa_user_sgpr_kernarg_preload_offset 0
		.amdhsa_user_sgpr_private_segment_size 0
		.amdhsa_uses_dynamic_stack 0
		.amdhsa_system_sgpr_private_segment_wavefront_offset 0
		.amdhsa_system_sgpr_workgroup_id_x 1
		.amdhsa_system_sgpr_workgroup_id_y 0
		.amdhsa_system_sgpr_workgroup_id_z 0
		.amdhsa_system_sgpr_workgroup_info 0
		.amdhsa_system_vgpr_workitem_id 0
		.amdhsa_next_free_vgpr 1
		.amdhsa_next_free_sgpr 0
		.amdhsa_accum_offset 4
		.amdhsa_reserve_vcc 0
		.amdhsa_reserve_flat_scratch 0
		.amdhsa_float_round_mode_32 0
		.amdhsa_float_round_mode_16_64 0
		.amdhsa_float_denorm_mode_32 3
		.amdhsa_float_denorm_mode_16_64 3
		.amdhsa_dx10_clamp 1
		.amdhsa_ieee_mode 1
		.amdhsa_fp16_overflow 0
		.amdhsa_tg_split 0
		.amdhsa_exception_fp_ieee_invalid_op 0
		.amdhsa_exception_fp_denorm_src 0
		.amdhsa_exception_fp_ieee_div_zero 0
		.amdhsa_exception_fp_ieee_overflow 0
		.amdhsa_exception_fp_ieee_underflow 0
		.amdhsa_exception_fp_ieee_inexact 0
		.amdhsa_exception_int_div_zero 0
	.end_amdhsa_kernel
	.section	.text._ZN7rocprim17ROCPRIM_400000_NS6detail17trampoline_kernelINS0_14default_configENS1_25transform_config_selectorIiLb1EEEZNS1_14transform_implILb1ES3_S5_PiS7_NS0_8identityIiEEEE10hipError_tT2_T3_mT4_P12ihipStream_tbEUlT_E_NS1_11comp_targetILNS1_3genE10ELNS1_11target_archE1201ELNS1_3gpuE5ELNS1_3repE0EEENS1_30default_config_static_selectorELNS0_4arch9wavefront6targetE1EEEvT1_,"axG",@progbits,_ZN7rocprim17ROCPRIM_400000_NS6detail17trampoline_kernelINS0_14default_configENS1_25transform_config_selectorIiLb1EEEZNS1_14transform_implILb1ES3_S5_PiS7_NS0_8identityIiEEEE10hipError_tT2_T3_mT4_P12ihipStream_tbEUlT_E_NS1_11comp_targetILNS1_3genE10ELNS1_11target_archE1201ELNS1_3gpuE5ELNS1_3repE0EEENS1_30default_config_static_selectorELNS0_4arch9wavefront6targetE1EEEvT1_,comdat
.Lfunc_end793:
	.size	_ZN7rocprim17ROCPRIM_400000_NS6detail17trampoline_kernelINS0_14default_configENS1_25transform_config_selectorIiLb1EEEZNS1_14transform_implILb1ES3_S5_PiS7_NS0_8identityIiEEEE10hipError_tT2_T3_mT4_P12ihipStream_tbEUlT_E_NS1_11comp_targetILNS1_3genE10ELNS1_11target_archE1201ELNS1_3gpuE5ELNS1_3repE0EEENS1_30default_config_static_selectorELNS0_4arch9wavefront6targetE1EEEvT1_, .Lfunc_end793-_ZN7rocprim17ROCPRIM_400000_NS6detail17trampoline_kernelINS0_14default_configENS1_25transform_config_selectorIiLb1EEEZNS1_14transform_implILb1ES3_S5_PiS7_NS0_8identityIiEEEE10hipError_tT2_T3_mT4_P12ihipStream_tbEUlT_E_NS1_11comp_targetILNS1_3genE10ELNS1_11target_archE1201ELNS1_3gpuE5ELNS1_3repE0EEENS1_30default_config_static_selectorELNS0_4arch9wavefront6targetE1EEEvT1_
                                        ; -- End function
	.section	.AMDGPU.csdata,"",@progbits
; Kernel info:
; codeLenInByte = 0
; NumSgprs: 4
; NumVgprs: 0
; NumAgprs: 0
; TotalNumVgprs: 0
; ScratchSize: 0
; MemoryBound: 0
; FloatMode: 240
; IeeeMode: 1
; LDSByteSize: 0 bytes/workgroup (compile time only)
; SGPRBlocks: 0
; VGPRBlocks: 0
; NumSGPRsForWavesPerEU: 4
; NumVGPRsForWavesPerEU: 1
; AccumOffset: 4
; Occupancy: 8
; WaveLimiterHint : 0
; COMPUTE_PGM_RSRC2:SCRATCH_EN: 0
; COMPUTE_PGM_RSRC2:USER_SGPR: 6
; COMPUTE_PGM_RSRC2:TRAP_HANDLER: 0
; COMPUTE_PGM_RSRC2:TGID_X_EN: 1
; COMPUTE_PGM_RSRC2:TGID_Y_EN: 0
; COMPUTE_PGM_RSRC2:TGID_Z_EN: 0
; COMPUTE_PGM_RSRC2:TIDIG_COMP_CNT: 0
; COMPUTE_PGM_RSRC3_GFX90A:ACCUM_OFFSET: 0
; COMPUTE_PGM_RSRC3_GFX90A:TG_SPLIT: 0
	.section	.text._ZN7rocprim17ROCPRIM_400000_NS6detail17trampoline_kernelINS0_14default_configENS1_25transform_config_selectorIiLb1EEEZNS1_14transform_implILb1ES3_S5_PiS7_NS0_8identityIiEEEE10hipError_tT2_T3_mT4_P12ihipStream_tbEUlT_E_NS1_11comp_targetILNS1_3genE5ELNS1_11target_archE942ELNS1_3gpuE9ELNS1_3repE0EEENS1_30default_config_static_selectorELNS0_4arch9wavefront6targetE1EEEvT1_,"axG",@progbits,_ZN7rocprim17ROCPRIM_400000_NS6detail17trampoline_kernelINS0_14default_configENS1_25transform_config_selectorIiLb1EEEZNS1_14transform_implILb1ES3_S5_PiS7_NS0_8identityIiEEEE10hipError_tT2_T3_mT4_P12ihipStream_tbEUlT_E_NS1_11comp_targetILNS1_3genE5ELNS1_11target_archE942ELNS1_3gpuE9ELNS1_3repE0EEENS1_30default_config_static_selectorELNS0_4arch9wavefront6targetE1EEEvT1_,comdat
	.protected	_ZN7rocprim17ROCPRIM_400000_NS6detail17trampoline_kernelINS0_14default_configENS1_25transform_config_selectorIiLb1EEEZNS1_14transform_implILb1ES3_S5_PiS7_NS0_8identityIiEEEE10hipError_tT2_T3_mT4_P12ihipStream_tbEUlT_E_NS1_11comp_targetILNS1_3genE5ELNS1_11target_archE942ELNS1_3gpuE9ELNS1_3repE0EEENS1_30default_config_static_selectorELNS0_4arch9wavefront6targetE1EEEvT1_ ; -- Begin function _ZN7rocprim17ROCPRIM_400000_NS6detail17trampoline_kernelINS0_14default_configENS1_25transform_config_selectorIiLb1EEEZNS1_14transform_implILb1ES3_S5_PiS7_NS0_8identityIiEEEE10hipError_tT2_T3_mT4_P12ihipStream_tbEUlT_E_NS1_11comp_targetILNS1_3genE5ELNS1_11target_archE942ELNS1_3gpuE9ELNS1_3repE0EEENS1_30default_config_static_selectorELNS0_4arch9wavefront6targetE1EEEvT1_
	.globl	_ZN7rocprim17ROCPRIM_400000_NS6detail17trampoline_kernelINS0_14default_configENS1_25transform_config_selectorIiLb1EEEZNS1_14transform_implILb1ES3_S5_PiS7_NS0_8identityIiEEEE10hipError_tT2_T3_mT4_P12ihipStream_tbEUlT_E_NS1_11comp_targetILNS1_3genE5ELNS1_11target_archE942ELNS1_3gpuE9ELNS1_3repE0EEENS1_30default_config_static_selectorELNS0_4arch9wavefront6targetE1EEEvT1_
	.p2align	8
	.type	_ZN7rocprim17ROCPRIM_400000_NS6detail17trampoline_kernelINS0_14default_configENS1_25transform_config_selectorIiLb1EEEZNS1_14transform_implILb1ES3_S5_PiS7_NS0_8identityIiEEEE10hipError_tT2_T3_mT4_P12ihipStream_tbEUlT_E_NS1_11comp_targetILNS1_3genE5ELNS1_11target_archE942ELNS1_3gpuE9ELNS1_3repE0EEENS1_30default_config_static_selectorELNS0_4arch9wavefront6targetE1EEEvT1_,@function
_ZN7rocprim17ROCPRIM_400000_NS6detail17trampoline_kernelINS0_14default_configENS1_25transform_config_selectorIiLb1EEEZNS1_14transform_implILb1ES3_S5_PiS7_NS0_8identityIiEEEE10hipError_tT2_T3_mT4_P12ihipStream_tbEUlT_E_NS1_11comp_targetILNS1_3genE5ELNS1_11target_archE942ELNS1_3gpuE9ELNS1_3repE0EEENS1_30default_config_static_selectorELNS0_4arch9wavefront6targetE1EEEvT1_: ; @_ZN7rocprim17ROCPRIM_400000_NS6detail17trampoline_kernelINS0_14default_configENS1_25transform_config_selectorIiLb1EEEZNS1_14transform_implILb1ES3_S5_PiS7_NS0_8identityIiEEEE10hipError_tT2_T3_mT4_P12ihipStream_tbEUlT_E_NS1_11comp_targetILNS1_3genE5ELNS1_11target_archE942ELNS1_3gpuE9ELNS1_3repE0EEENS1_30default_config_static_selectorELNS0_4arch9wavefront6targetE1EEEvT1_
; %bb.0:
	.section	.rodata,"a",@progbits
	.p2align	6, 0x0
	.amdhsa_kernel _ZN7rocprim17ROCPRIM_400000_NS6detail17trampoline_kernelINS0_14default_configENS1_25transform_config_selectorIiLb1EEEZNS1_14transform_implILb1ES3_S5_PiS7_NS0_8identityIiEEEE10hipError_tT2_T3_mT4_P12ihipStream_tbEUlT_E_NS1_11comp_targetILNS1_3genE5ELNS1_11target_archE942ELNS1_3gpuE9ELNS1_3repE0EEENS1_30default_config_static_selectorELNS0_4arch9wavefront6targetE1EEEvT1_
		.amdhsa_group_segment_fixed_size 0
		.amdhsa_private_segment_fixed_size 0
		.amdhsa_kernarg_size 40
		.amdhsa_user_sgpr_count 6
		.amdhsa_user_sgpr_private_segment_buffer 1
		.amdhsa_user_sgpr_dispatch_ptr 0
		.amdhsa_user_sgpr_queue_ptr 0
		.amdhsa_user_sgpr_kernarg_segment_ptr 1
		.amdhsa_user_sgpr_dispatch_id 0
		.amdhsa_user_sgpr_flat_scratch_init 0
		.amdhsa_user_sgpr_kernarg_preload_length 0
		.amdhsa_user_sgpr_kernarg_preload_offset 0
		.amdhsa_user_sgpr_private_segment_size 0
		.amdhsa_uses_dynamic_stack 0
		.amdhsa_system_sgpr_private_segment_wavefront_offset 0
		.amdhsa_system_sgpr_workgroup_id_x 1
		.amdhsa_system_sgpr_workgroup_id_y 0
		.amdhsa_system_sgpr_workgroup_id_z 0
		.amdhsa_system_sgpr_workgroup_info 0
		.amdhsa_system_vgpr_workitem_id 0
		.amdhsa_next_free_vgpr 1
		.amdhsa_next_free_sgpr 0
		.amdhsa_accum_offset 4
		.amdhsa_reserve_vcc 0
		.amdhsa_reserve_flat_scratch 0
		.amdhsa_float_round_mode_32 0
		.amdhsa_float_round_mode_16_64 0
		.amdhsa_float_denorm_mode_32 3
		.amdhsa_float_denorm_mode_16_64 3
		.amdhsa_dx10_clamp 1
		.amdhsa_ieee_mode 1
		.amdhsa_fp16_overflow 0
		.amdhsa_tg_split 0
		.amdhsa_exception_fp_ieee_invalid_op 0
		.amdhsa_exception_fp_denorm_src 0
		.amdhsa_exception_fp_ieee_div_zero 0
		.amdhsa_exception_fp_ieee_overflow 0
		.amdhsa_exception_fp_ieee_underflow 0
		.amdhsa_exception_fp_ieee_inexact 0
		.amdhsa_exception_int_div_zero 0
	.end_amdhsa_kernel
	.section	.text._ZN7rocprim17ROCPRIM_400000_NS6detail17trampoline_kernelINS0_14default_configENS1_25transform_config_selectorIiLb1EEEZNS1_14transform_implILb1ES3_S5_PiS7_NS0_8identityIiEEEE10hipError_tT2_T3_mT4_P12ihipStream_tbEUlT_E_NS1_11comp_targetILNS1_3genE5ELNS1_11target_archE942ELNS1_3gpuE9ELNS1_3repE0EEENS1_30default_config_static_selectorELNS0_4arch9wavefront6targetE1EEEvT1_,"axG",@progbits,_ZN7rocprim17ROCPRIM_400000_NS6detail17trampoline_kernelINS0_14default_configENS1_25transform_config_selectorIiLb1EEEZNS1_14transform_implILb1ES3_S5_PiS7_NS0_8identityIiEEEE10hipError_tT2_T3_mT4_P12ihipStream_tbEUlT_E_NS1_11comp_targetILNS1_3genE5ELNS1_11target_archE942ELNS1_3gpuE9ELNS1_3repE0EEENS1_30default_config_static_selectorELNS0_4arch9wavefront6targetE1EEEvT1_,comdat
.Lfunc_end794:
	.size	_ZN7rocprim17ROCPRIM_400000_NS6detail17trampoline_kernelINS0_14default_configENS1_25transform_config_selectorIiLb1EEEZNS1_14transform_implILb1ES3_S5_PiS7_NS0_8identityIiEEEE10hipError_tT2_T3_mT4_P12ihipStream_tbEUlT_E_NS1_11comp_targetILNS1_3genE5ELNS1_11target_archE942ELNS1_3gpuE9ELNS1_3repE0EEENS1_30default_config_static_selectorELNS0_4arch9wavefront6targetE1EEEvT1_, .Lfunc_end794-_ZN7rocprim17ROCPRIM_400000_NS6detail17trampoline_kernelINS0_14default_configENS1_25transform_config_selectorIiLb1EEEZNS1_14transform_implILb1ES3_S5_PiS7_NS0_8identityIiEEEE10hipError_tT2_T3_mT4_P12ihipStream_tbEUlT_E_NS1_11comp_targetILNS1_3genE5ELNS1_11target_archE942ELNS1_3gpuE9ELNS1_3repE0EEENS1_30default_config_static_selectorELNS0_4arch9wavefront6targetE1EEEvT1_
                                        ; -- End function
	.section	.AMDGPU.csdata,"",@progbits
; Kernel info:
; codeLenInByte = 0
; NumSgprs: 4
; NumVgprs: 0
; NumAgprs: 0
; TotalNumVgprs: 0
; ScratchSize: 0
; MemoryBound: 0
; FloatMode: 240
; IeeeMode: 1
; LDSByteSize: 0 bytes/workgroup (compile time only)
; SGPRBlocks: 0
; VGPRBlocks: 0
; NumSGPRsForWavesPerEU: 4
; NumVGPRsForWavesPerEU: 1
; AccumOffset: 4
; Occupancy: 8
; WaveLimiterHint : 0
; COMPUTE_PGM_RSRC2:SCRATCH_EN: 0
; COMPUTE_PGM_RSRC2:USER_SGPR: 6
; COMPUTE_PGM_RSRC2:TRAP_HANDLER: 0
; COMPUTE_PGM_RSRC2:TGID_X_EN: 1
; COMPUTE_PGM_RSRC2:TGID_Y_EN: 0
; COMPUTE_PGM_RSRC2:TGID_Z_EN: 0
; COMPUTE_PGM_RSRC2:TIDIG_COMP_CNT: 0
; COMPUTE_PGM_RSRC3_GFX90A:ACCUM_OFFSET: 0
; COMPUTE_PGM_RSRC3_GFX90A:TG_SPLIT: 0
	.section	.text._ZN7rocprim17ROCPRIM_400000_NS6detail17trampoline_kernelINS0_14default_configENS1_25transform_config_selectorIiLb1EEEZNS1_14transform_implILb1ES3_S5_PiS7_NS0_8identityIiEEEE10hipError_tT2_T3_mT4_P12ihipStream_tbEUlT_E_NS1_11comp_targetILNS1_3genE4ELNS1_11target_archE910ELNS1_3gpuE8ELNS1_3repE0EEENS1_30default_config_static_selectorELNS0_4arch9wavefront6targetE1EEEvT1_,"axG",@progbits,_ZN7rocprim17ROCPRIM_400000_NS6detail17trampoline_kernelINS0_14default_configENS1_25transform_config_selectorIiLb1EEEZNS1_14transform_implILb1ES3_S5_PiS7_NS0_8identityIiEEEE10hipError_tT2_T3_mT4_P12ihipStream_tbEUlT_E_NS1_11comp_targetILNS1_3genE4ELNS1_11target_archE910ELNS1_3gpuE8ELNS1_3repE0EEENS1_30default_config_static_selectorELNS0_4arch9wavefront6targetE1EEEvT1_,comdat
	.protected	_ZN7rocprim17ROCPRIM_400000_NS6detail17trampoline_kernelINS0_14default_configENS1_25transform_config_selectorIiLb1EEEZNS1_14transform_implILb1ES3_S5_PiS7_NS0_8identityIiEEEE10hipError_tT2_T3_mT4_P12ihipStream_tbEUlT_E_NS1_11comp_targetILNS1_3genE4ELNS1_11target_archE910ELNS1_3gpuE8ELNS1_3repE0EEENS1_30default_config_static_selectorELNS0_4arch9wavefront6targetE1EEEvT1_ ; -- Begin function _ZN7rocprim17ROCPRIM_400000_NS6detail17trampoline_kernelINS0_14default_configENS1_25transform_config_selectorIiLb1EEEZNS1_14transform_implILb1ES3_S5_PiS7_NS0_8identityIiEEEE10hipError_tT2_T3_mT4_P12ihipStream_tbEUlT_E_NS1_11comp_targetILNS1_3genE4ELNS1_11target_archE910ELNS1_3gpuE8ELNS1_3repE0EEENS1_30default_config_static_selectorELNS0_4arch9wavefront6targetE1EEEvT1_
	.globl	_ZN7rocprim17ROCPRIM_400000_NS6detail17trampoline_kernelINS0_14default_configENS1_25transform_config_selectorIiLb1EEEZNS1_14transform_implILb1ES3_S5_PiS7_NS0_8identityIiEEEE10hipError_tT2_T3_mT4_P12ihipStream_tbEUlT_E_NS1_11comp_targetILNS1_3genE4ELNS1_11target_archE910ELNS1_3gpuE8ELNS1_3repE0EEENS1_30default_config_static_selectorELNS0_4arch9wavefront6targetE1EEEvT1_
	.p2align	8
	.type	_ZN7rocprim17ROCPRIM_400000_NS6detail17trampoline_kernelINS0_14default_configENS1_25transform_config_selectorIiLb1EEEZNS1_14transform_implILb1ES3_S5_PiS7_NS0_8identityIiEEEE10hipError_tT2_T3_mT4_P12ihipStream_tbEUlT_E_NS1_11comp_targetILNS1_3genE4ELNS1_11target_archE910ELNS1_3gpuE8ELNS1_3repE0EEENS1_30default_config_static_selectorELNS0_4arch9wavefront6targetE1EEEvT1_,@function
_ZN7rocprim17ROCPRIM_400000_NS6detail17trampoline_kernelINS0_14default_configENS1_25transform_config_selectorIiLb1EEEZNS1_14transform_implILb1ES3_S5_PiS7_NS0_8identityIiEEEE10hipError_tT2_T3_mT4_P12ihipStream_tbEUlT_E_NS1_11comp_targetILNS1_3genE4ELNS1_11target_archE910ELNS1_3gpuE8ELNS1_3repE0EEENS1_30default_config_static_selectorELNS0_4arch9wavefront6targetE1EEEvT1_: ; @_ZN7rocprim17ROCPRIM_400000_NS6detail17trampoline_kernelINS0_14default_configENS1_25transform_config_selectorIiLb1EEEZNS1_14transform_implILb1ES3_S5_PiS7_NS0_8identityIiEEEE10hipError_tT2_T3_mT4_P12ihipStream_tbEUlT_E_NS1_11comp_targetILNS1_3genE4ELNS1_11target_archE910ELNS1_3gpuE8ELNS1_3repE0EEENS1_30default_config_static_selectorELNS0_4arch9wavefront6targetE1EEEvT1_
; %bb.0:
	s_load_dwordx8 s[8:15], s[4:5], 0x0
	s_load_dword s2, s[4:5], 0x28
	s_waitcnt lgkmcnt(0)
	s_lshl_b64 s[0:1], s[10:11], 2
	s_add_u32 s3, s8, s0
	s_addc_u32 s4, s9, s1
	s_add_u32 s13, s14, s0
	s_addc_u32 s14, s15, s1
	s_lshl_b32 s0, s6, 12
	s_mov_b32 s1, 0
	s_add_i32 s2, s2, -1
	s_lshl_b64 s[8:9], s[0:1], 2
	s_add_u32 s10, s3, s8
	s_addc_u32 s11, s4, s9
	s_cmp_lg_u32 s6, s2
	s_mov_b64 s[2:3], -1
	s_cbranch_scc0 .LBB795_2
; %bb.1:
	v_lshlrev_b32_e32 v1, 4, v0
	global_load_dwordx4 v[2:5], v1, s[10:11]
	s_add_u32 s2, s13, s8
	s_addc_u32 s3, s14, s9
	s_waitcnt vmcnt(0)
	global_store_dwordx4 v1, v[2:5], s[2:3]
	s_mov_b64 s[2:3], 0
.LBB795_2:
	s_andn2_b64 vcc, exec, s[2:3]
	s_cbranch_vccnz .LBB795_16
; %bb.3:
	s_sub_i32 s6, s12, s0
	v_cmp_gt_u32_e32 vcc, s6, v0
	v_lshlrev_b32_e32 v1, 2, v0
                                        ; implicit-def: $vgpr2_vgpr3_vgpr4_vgpr5
	s_and_saveexec_b64 s[0:1], vcc
	s_cbranch_execz .LBB795_5
; %bb.4:
	global_load_dword v2, v1, s[10:11]
.LBB795_5:
	s_or_b64 exec, exec, s[0:1]
	v_or_b32_e32 v6, 0x400, v0
	v_cmp_gt_u32_e64 s[4:5], s6, v6
	s_and_saveexec_b64 s[0:1], s[4:5]
	s_cbranch_execz .LBB795_7
; %bb.6:
	v_lshlrev_b32_e32 v3, 2, v6
	global_load_dword v3, v3, s[10:11]
.LBB795_7:
	s_or_b64 exec, exec, s[0:1]
	v_or_b32_e32 v6, 0x800, v0
	v_cmp_gt_u32_e64 s[0:1], s6, v6
	s_and_saveexec_b64 s[2:3], s[0:1]
	s_cbranch_execz .LBB795_9
; %bb.8:
	v_lshlrev_b32_e32 v4, 2, v6
	global_load_dword v4, v4, s[10:11]
.LBB795_9:
	;; [unrolled: 9-line block ×3, first 2 shown]
	s_or_b64 exec, exec, s[6:7]
	s_add_u32 s6, s13, s8
	s_addc_u32 s7, s14, s9
	v_mov_b32_e32 v6, s7
	v_add_co_u32_e64 v0, s[6:7], s6, v1
	v_addc_co_u32_e64 v1, s[6:7], 0, v6, s[6:7]
	s_and_saveexec_b64 s[6:7], vcc
	s_cbranch_execnz .LBB795_17
; %bb.12:
	s_or_b64 exec, exec, s[6:7]
	s_and_saveexec_b64 s[6:7], s[4:5]
	s_cbranch_execnz .LBB795_18
.LBB795_13:
	s_or_b64 exec, exec, s[6:7]
	s_and_saveexec_b64 s[4:5], s[0:1]
	s_cbranch_execnz .LBB795_19
.LBB795_14:
	s_or_b64 exec, exec, s[4:5]
	s_and_saveexec_b64 s[0:1], s[2:3]
	s_cbranch_execz .LBB795_16
.LBB795_15:
	v_add_co_u32_e32 v0, vcc, 0x3000, v0
	s_waitcnt vmcnt(0)
	v_cndmask_b32_e64 v2, v5, v5, s[2:3]
	v_addc_co_u32_e32 v1, vcc, 0, v1, vcc
	global_store_dword v[0:1], v2, off
.LBB795_16:
	s_endpgm
.LBB795_17:
	s_waitcnt vmcnt(0)
	global_store_dword v[0:1], v2, off
	s_or_b64 exec, exec, s[6:7]
	s_and_saveexec_b64 s[6:7], s[4:5]
	s_cbranch_execz .LBB795_13
.LBB795_18:
	v_add_co_u32_e32 v6, vcc, 0x1000, v0
	v_addc_co_u32_e32 v7, vcc, 0, v1, vcc
	s_waitcnt vmcnt(0)
	global_store_dword v[6:7], v3, off
	s_or_b64 exec, exec, s[6:7]
	s_and_saveexec_b64 s[4:5], s[0:1]
	s_cbranch_execz .LBB795_14
.LBB795_19:
	s_waitcnt vmcnt(0)
	v_add_co_u32_e32 v2, vcc, 0x2000, v0
	v_cndmask_b32_e64 v4, v4, v4, s[0:1]
	v_addc_co_u32_e32 v3, vcc, 0, v1, vcc
	global_store_dword v[2:3], v4, off
	s_or_b64 exec, exec, s[4:5]
	s_and_saveexec_b64 s[0:1], s[2:3]
	s_cbranch_execnz .LBB795_15
	s_branch .LBB795_16
	.section	.rodata,"a",@progbits
	.p2align	6, 0x0
	.amdhsa_kernel _ZN7rocprim17ROCPRIM_400000_NS6detail17trampoline_kernelINS0_14default_configENS1_25transform_config_selectorIiLb1EEEZNS1_14transform_implILb1ES3_S5_PiS7_NS0_8identityIiEEEE10hipError_tT2_T3_mT4_P12ihipStream_tbEUlT_E_NS1_11comp_targetILNS1_3genE4ELNS1_11target_archE910ELNS1_3gpuE8ELNS1_3repE0EEENS1_30default_config_static_selectorELNS0_4arch9wavefront6targetE1EEEvT1_
		.amdhsa_group_segment_fixed_size 0
		.amdhsa_private_segment_fixed_size 0
		.amdhsa_kernarg_size 296
		.amdhsa_user_sgpr_count 6
		.amdhsa_user_sgpr_private_segment_buffer 1
		.amdhsa_user_sgpr_dispatch_ptr 0
		.amdhsa_user_sgpr_queue_ptr 0
		.amdhsa_user_sgpr_kernarg_segment_ptr 1
		.amdhsa_user_sgpr_dispatch_id 0
		.amdhsa_user_sgpr_flat_scratch_init 0
		.amdhsa_user_sgpr_kernarg_preload_length 0
		.amdhsa_user_sgpr_kernarg_preload_offset 0
		.amdhsa_user_sgpr_private_segment_size 0
		.amdhsa_uses_dynamic_stack 0
		.amdhsa_system_sgpr_private_segment_wavefront_offset 0
		.amdhsa_system_sgpr_workgroup_id_x 1
		.amdhsa_system_sgpr_workgroup_id_y 0
		.amdhsa_system_sgpr_workgroup_id_z 0
		.amdhsa_system_sgpr_workgroup_info 0
		.amdhsa_system_vgpr_workitem_id 0
		.amdhsa_next_free_vgpr 8
		.amdhsa_next_free_sgpr 16
		.amdhsa_accum_offset 8
		.amdhsa_reserve_vcc 1
		.amdhsa_reserve_flat_scratch 0
		.amdhsa_float_round_mode_32 0
		.amdhsa_float_round_mode_16_64 0
		.amdhsa_float_denorm_mode_32 3
		.amdhsa_float_denorm_mode_16_64 3
		.amdhsa_dx10_clamp 1
		.amdhsa_ieee_mode 1
		.amdhsa_fp16_overflow 0
		.amdhsa_tg_split 0
		.amdhsa_exception_fp_ieee_invalid_op 0
		.amdhsa_exception_fp_denorm_src 0
		.amdhsa_exception_fp_ieee_div_zero 0
		.amdhsa_exception_fp_ieee_overflow 0
		.amdhsa_exception_fp_ieee_underflow 0
		.amdhsa_exception_fp_ieee_inexact 0
		.amdhsa_exception_int_div_zero 0
	.end_amdhsa_kernel
	.section	.text._ZN7rocprim17ROCPRIM_400000_NS6detail17trampoline_kernelINS0_14default_configENS1_25transform_config_selectorIiLb1EEEZNS1_14transform_implILb1ES3_S5_PiS7_NS0_8identityIiEEEE10hipError_tT2_T3_mT4_P12ihipStream_tbEUlT_E_NS1_11comp_targetILNS1_3genE4ELNS1_11target_archE910ELNS1_3gpuE8ELNS1_3repE0EEENS1_30default_config_static_selectorELNS0_4arch9wavefront6targetE1EEEvT1_,"axG",@progbits,_ZN7rocprim17ROCPRIM_400000_NS6detail17trampoline_kernelINS0_14default_configENS1_25transform_config_selectorIiLb1EEEZNS1_14transform_implILb1ES3_S5_PiS7_NS0_8identityIiEEEE10hipError_tT2_T3_mT4_P12ihipStream_tbEUlT_E_NS1_11comp_targetILNS1_3genE4ELNS1_11target_archE910ELNS1_3gpuE8ELNS1_3repE0EEENS1_30default_config_static_selectorELNS0_4arch9wavefront6targetE1EEEvT1_,comdat
.Lfunc_end795:
	.size	_ZN7rocprim17ROCPRIM_400000_NS6detail17trampoline_kernelINS0_14default_configENS1_25transform_config_selectorIiLb1EEEZNS1_14transform_implILb1ES3_S5_PiS7_NS0_8identityIiEEEE10hipError_tT2_T3_mT4_P12ihipStream_tbEUlT_E_NS1_11comp_targetILNS1_3genE4ELNS1_11target_archE910ELNS1_3gpuE8ELNS1_3repE0EEENS1_30default_config_static_selectorELNS0_4arch9wavefront6targetE1EEEvT1_, .Lfunc_end795-_ZN7rocprim17ROCPRIM_400000_NS6detail17trampoline_kernelINS0_14default_configENS1_25transform_config_selectorIiLb1EEEZNS1_14transform_implILb1ES3_S5_PiS7_NS0_8identityIiEEEE10hipError_tT2_T3_mT4_P12ihipStream_tbEUlT_E_NS1_11comp_targetILNS1_3genE4ELNS1_11target_archE910ELNS1_3gpuE8ELNS1_3repE0EEENS1_30default_config_static_selectorELNS0_4arch9wavefront6targetE1EEEvT1_
                                        ; -- End function
	.section	.AMDGPU.csdata,"",@progbits
; Kernel info:
; codeLenInByte = 488
; NumSgprs: 20
; NumVgprs: 8
; NumAgprs: 0
; TotalNumVgprs: 8
; ScratchSize: 0
; MemoryBound: 1
; FloatMode: 240
; IeeeMode: 1
; LDSByteSize: 0 bytes/workgroup (compile time only)
; SGPRBlocks: 2
; VGPRBlocks: 0
; NumSGPRsForWavesPerEU: 20
; NumVGPRsForWavesPerEU: 8
; AccumOffset: 8
; Occupancy: 8
; WaveLimiterHint : 0
; COMPUTE_PGM_RSRC2:SCRATCH_EN: 0
; COMPUTE_PGM_RSRC2:USER_SGPR: 6
; COMPUTE_PGM_RSRC2:TRAP_HANDLER: 0
; COMPUTE_PGM_RSRC2:TGID_X_EN: 1
; COMPUTE_PGM_RSRC2:TGID_Y_EN: 0
; COMPUTE_PGM_RSRC2:TGID_Z_EN: 0
; COMPUTE_PGM_RSRC2:TIDIG_COMP_CNT: 0
; COMPUTE_PGM_RSRC3_GFX90A:ACCUM_OFFSET: 1
; COMPUTE_PGM_RSRC3_GFX90A:TG_SPLIT: 0
	.section	.text._ZN7rocprim17ROCPRIM_400000_NS6detail17trampoline_kernelINS0_14default_configENS1_25transform_config_selectorIiLb1EEEZNS1_14transform_implILb1ES3_S5_PiS7_NS0_8identityIiEEEE10hipError_tT2_T3_mT4_P12ihipStream_tbEUlT_E_NS1_11comp_targetILNS1_3genE3ELNS1_11target_archE908ELNS1_3gpuE7ELNS1_3repE0EEENS1_30default_config_static_selectorELNS0_4arch9wavefront6targetE1EEEvT1_,"axG",@progbits,_ZN7rocprim17ROCPRIM_400000_NS6detail17trampoline_kernelINS0_14default_configENS1_25transform_config_selectorIiLb1EEEZNS1_14transform_implILb1ES3_S5_PiS7_NS0_8identityIiEEEE10hipError_tT2_T3_mT4_P12ihipStream_tbEUlT_E_NS1_11comp_targetILNS1_3genE3ELNS1_11target_archE908ELNS1_3gpuE7ELNS1_3repE0EEENS1_30default_config_static_selectorELNS0_4arch9wavefront6targetE1EEEvT1_,comdat
	.protected	_ZN7rocprim17ROCPRIM_400000_NS6detail17trampoline_kernelINS0_14default_configENS1_25transform_config_selectorIiLb1EEEZNS1_14transform_implILb1ES3_S5_PiS7_NS0_8identityIiEEEE10hipError_tT2_T3_mT4_P12ihipStream_tbEUlT_E_NS1_11comp_targetILNS1_3genE3ELNS1_11target_archE908ELNS1_3gpuE7ELNS1_3repE0EEENS1_30default_config_static_selectorELNS0_4arch9wavefront6targetE1EEEvT1_ ; -- Begin function _ZN7rocprim17ROCPRIM_400000_NS6detail17trampoline_kernelINS0_14default_configENS1_25transform_config_selectorIiLb1EEEZNS1_14transform_implILb1ES3_S5_PiS7_NS0_8identityIiEEEE10hipError_tT2_T3_mT4_P12ihipStream_tbEUlT_E_NS1_11comp_targetILNS1_3genE3ELNS1_11target_archE908ELNS1_3gpuE7ELNS1_3repE0EEENS1_30default_config_static_selectorELNS0_4arch9wavefront6targetE1EEEvT1_
	.globl	_ZN7rocprim17ROCPRIM_400000_NS6detail17trampoline_kernelINS0_14default_configENS1_25transform_config_selectorIiLb1EEEZNS1_14transform_implILb1ES3_S5_PiS7_NS0_8identityIiEEEE10hipError_tT2_T3_mT4_P12ihipStream_tbEUlT_E_NS1_11comp_targetILNS1_3genE3ELNS1_11target_archE908ELNS1_3gpuE7ELNS1_3repE0EEENS1_30default_config_static_selectorELNS0_4arch9wavefront6targetE1EEEvT1_
	.p2align	8
	.type	_ZN7rocprim17ROCPRIM_400000_NS6detail17trampoline_kernelINS0_14default_configENS1_25transform_config_selectorIiLb1EEEZNS1_14transform_implILb1ES3_S5_PiS7_NS0_8identityIiEEEE10hipError_tT2_T3_mT4_P12ihipStream_tbEUlT_E_NS1_11comp_targetILNS1_3genE3ELNS1_11target_archE908ELNS1_3gpuE7ELNS1_3repE0EEENS1_30default_config_static_selectorELNS0_4arch9wavefront6targetE1EEEvT1_,@function
_ZN7rocprim17ROCPRIM_400000_NS6detail17trampoline_kernelINS0_14default_configENS1_25transform_config_selectorIiLb1EEEZNS1_14transform_implILb1ES3_S5_PiS7_NS0_8identityIiEEEE10hipError_tT2_T3_mT4_P12ihipStream_tbEUlT_E_NS1_11comp_targetILNS1_3genE3ELNS1_11target_archE908ELNS1_3gpuE7ELNS1_3repE0EEENS1_30default_config_static_selectorELNS0_4arch9wavefront6targetE1EEEvT1_: ; @_ZN7rocprim17ROCPRIM_400000_NS6detail17trampoline_kernelINS0_14default_configENS1_25transform_config_selectorIiLb1EEEZNS1_14transform_implILb1ES3_S5_PiS7_NS0_8identityIiEEEE10hipError_tT2_T3_mT4_P12ihipStream_tbEUlT_E_NS1_11comp_targetILNS1_3genE3ELNS1_11target_archE908ELNS1_3gpuE7ELNS1_3repE0EEENS1_30default_config_static_selectorELNS0_4arch9wavefront6targetE1EEEvT1_
; %bb.0:
	.section	.rodata,"a",@progbits
	.p2align	6, 0x0
	.amdhsa_kernel _ZN7rocprim17ROCPRIM_400000_NS6detail17trampoline_kernelINS0_14default_configENS1_25transform_config_selectorIiLb1EEEZNS1_14transform_implILb1ES3_S5_PiS7_NS0_8identityIiEEEE10hipError_tT2_T3_mT4_P12ihipStream_tbEUlT_E_NS1_11comp_targetILNS1_3genE3ELNS1_11target_archE908ELNS1_3gpuE7ELNS1_3repE0EEENS1_30default_config_static_selectorELNS0_4arch9wavefront6targetE1EEEvT1_
		.amdhsa_group_segment_fixed_size 0
		.amdhsa_private_segment_fixed_size 0
		.amdhsa_kernarg_size 40
		.amdhsa_user_sgpr_count 6
		.amdhsa_user_sgpr_private_segment_buffer 1
		.amdhsa_user_sgpr_dispatch_ptr 0
		.amdhsa_user_sgpr_queue_ptr 0
		.amdhsa_user_sgpr_kernarg_segment_ptr 1
		.amdhsa_user_sgpr_dispatch_id 0
		.amdhsa_user_sgpr_flat_scratch_init 0
		.amdhsa_user_sgpr_kernarg_preload_length 0
		.amdhsa_user_sgpr_kernarg_preload_offset 0
		.amdhsa_user_sgpr_private_segment_size 0
		.amdhsa_uses_dynamic_stack 0
		.amdhsa_system_sgpr_private_segment_wavefront_offset 0
		.amdhsa_system_sgpr_workgroup_id_x 1
		.amdhsa_system_sgpr_workgroup_id_y 0
		.amdhsa_system_sgpr_workgroup_id_z 0
		.amdhsa_system_sgpr_workgroup_info 0
		.amdhsa_system_vgpr_workitem_id 0
		.amdhsa_next_free_vgpr 1
		.amdhsa_next_free_sgpr 0
		.amdhsa_accum_offset 4
		.amdhsa_reserve_vcc 0
		.amdhsa_reserve_flat_scratch 0
		.amdhsa_float_round_mode_32 0
		.amdhsa_float_round_mode_16_64 0
		.amdhsa_float_denorm_mode_32 3
		.amdhsa_float_denorm_mode_16_64 3
		.amdhsa_dx10_clamp 1
		.amdhsa_ieee_mode 1
		.amdhsa_fp16_overflow 0
		.amdhsa_tg_split 0
		.amdhsa_exception_fp_ieee_invalid_op 0
		.amdhsa_exception_fp_denorm_src 0
		.amdhsa_exception_fp_ieee_div_zero 0
		.amdhsa_exception_fp_ieee_overflow 0
		.amdhsa_exception_fp_ieee_underflow 0
		.amdhsa_exception_fp_ieee_inexact 0
		.amdhsa_exception_int_div_zero 0
	.end_amdhsa_kernel
	.section	.text._ZN7rocprim17ROCPRIM_400000_NS6detail17trampoline_kernelINS0_14default_configENS1_25transform_config_selectorIiLb1EEEZNS1_14transform_implILb1ES3_S5_PiS7_NS0_8identityIiEEEE10hipError_tT2_T3_mT4_P12ihipStream_tbEUlT_E_NS1_11comp_targetILNS1_3genE3ELNS1_11target_archE908ELNS1_3gpuE7ELNS1_3repE0EEENS1_30default_config_static_selectorELNS0_4arch9wavefront6targetE1EEEvT1_,"axG",@progbits,_ZN7rocprim17ROCPRIM_400000_NS6detail17trampoline_kernelINS0_14default_configENS1_25transform_config_selectorIiLb1EEEZNS1_14transform_implILb1ES3_S5_PiS7_NS0_8identityIiEEEE10hipError_tT2_T3_mT4_P12ihipStream_tbEUlT_E_NS1_11comp_targetILNS1_3genE3ELNS1_11target_archE908ELNS1_3gpuE7ELNS1_3repE0EEENS1_30default_config_static_selectorELNS0_4arch9wavefront6targetE1EEEvT1_,comdat
.Lfunc_end796:
	.size	_ZN7rocprim17ROCPRIM_400000_NS6detail17trampoline_kernelINS0_14default_configENS1_25transform_config_selectorIiLb1EEEZNS1_14transform_implILb1ES3_S5_PiS7_NS0_8identityIiEEEE10hipError_tT2_T3_mT4_P12ihipStream_tbEUlT_E_NS1_11comp_targetILNS1_3genE3ELNS1_11target_archE908ELNS1_3gpuE7ELNS1_3repE0EEENS1_30default_config_static_selectorELNS0_4arch9wavefront6targetE1EEEvT1_, .Lfunc_end796-_ZN7rocprim17ROCPRIM_400000_NS6detail17trampoline_kernelINS0_14default_configENS1_25transform_config_selectorIiLb1EEEZNS1_14transform_implILb1ES3_S5_PiS7_NS0_8identityIiEEEE10hipError_tT2_T3_mT4_P12ihipStream_tbEUlT_E_NS1_11comp_targetILNS1_3genE3ELNS1_11target_archE908ELNS1_3gpuE7ELNS1_3repE0EEENS1_30default_config_static_selectorELNS0_4arch9wavefront6targetE1EEEvT1_
                                        ; -- End function
	.section	.AMDGPU.csdata,"",@progbits
; Kernel info:
; codeLenInByte = 0
; NumSgprs: 4
; NumVgprs: 0
; NumAgprs: 0
; TotalNumVgprs: 0
; ScratchSize: 0
; MemoryBound: 0
; FloatMode: 240
; IeeeMode: 1
; LDSByteSize: 0 bytes/workgroup (compile time only)
; SGPRBlocks: 0
; VGPRBlocks: 0
; NumSGPRsForWavesPerEU: 4
; NumVGPRsForWavesPerEU: 1
; AccumOffset: 4
; Occupancy: 8
; WaveLimiterHint : 0
; COMPUTE_PGM_RSRC2:SCRATCH_EN: 0
; COMPUTE_PGM_RSRC2:USER_SGPR: 6
; COMPUTE_PGM_RSRC2:TRAP_HANDLER: 0
; COMPUTE_PGM_RSRC2:TGID_X_EN: 1
; COMPUTE_PGM_RSRC2:TGID_Y_EN: 0
; COMPUTE_PGM_RSRC2:TGID_Z_EN: 0
; COMPUTE_PGM_RSRC2:TIDIG_COMP_CNT: 0
; COMPUTE_PGM_RSRC3_GFX90A:ACCUM_OFFSET: 0
; COMPUTE_PGM_RSRC3_GFX90A:TG_SPLIT: 0
	.section	.text._ZN7rocprim17ROCPRIM_400000_NS6detail17trampoline_kernelINS0_14default_configENS1_25transform_config_selectorIiLb1EEEZNS1_14transform_implILb1ES3_S5_PiS7_NS0_8identityIiEEEE10hipError_tT2_T3_mT4_P12ihipStream_tbEUlT_E_NS1_11comp_targetILNS1_3genE2ELNS1_11target_archE906ELNS1_3gpuE6ELNS1_3repE0EEENS1_30default_config_static_selectorELNS0_4arch9wavefront6targetE1EEEvT1_,"axG",@progbits,_ZN7rocprim17ROCPRIM_400000_NS6detail17trampoline_kernelINS0_14default_configENS1_25transform_config_selectorIiLb1EEEZNS1_14transform_implILb1ES3_S5_PiS7_NS0_8identityIiEEEE10hipError_tT2_T3_mT4_P12ihipStream_tbEUlT_E_NS1_11comp_targetILNS1_3genE2ELNS1_11target_archE906ELNS1_3gpuE6ELNS1_3repE0EEENS1_30default_config_static_selectorELNS0_4arch9wavefront6targetE1EEEvT1_,comdat
	.protected	_ZN7rocprim17ROCPRIM_400000_NS6detail17trampoline_kernelINS0_14default_configENS1_25transform_config_selectorIiLb1EEEZNS1_14transform_implILb1ES3_S5_PiS7_NS0_8identityIiEEEE10hipError_tT2_T3_mT4_P12ihipStream_tbEUlT_E_NS1_11comp_targetILNS1_3genE2ELNS1_11target_archE906ELNS1_3gpuE6ELNS1_3repE0EEENS1_30default_config_static_selectorELNS0_4arch9wavefront6targetE1EEEvT1_ ; -- Begin function _ZN7rocprim17ROCPRIM_400000_NS6detail17trampoline_kernelINS0_14default_configENS1_25transform_config_selectorIiLb1EEEZNS1_14transform_implILb1ES3_S5_PiS7_NS0_8identityIiEEEE10hipError_tT2_T3_mT4_P12ihipStream_tbEUlT_E_NS1_11comp_targetILNS1_3genE2ELNS1_11target_archE906ELNS1_3gpuE6ELNS1_3repE0EEENS1_30default_config_static_selectorELNS0_4arch9wavefront6targetE1EEEvT1_
	.globl	_ZN7rocprim17ROCPRIM_400000_NS6detail17trampoline_kernelINS0_14default_configENS1_25transform_config_selectorIiLb1EEEZNS1_14transform_implILb1ES3_S5_PiS7_NS0_8identityIiEEEE10hipError_tT2_T3_mT4_P12ihipStream_tbEUlT_E_NS1_11comp_targetILNS1_3genE2ELNS1_11target_archE906ELNS1_3gpuE6ELNS1_3repE0EEENS1_30default_config_static_selectorELNS0_4arch9wavefront6targetE1EEEvT1_
	.p2align	8
	.type	_ZN7rocprim17ROCPRIM_400000_NS6detail17trampoline_kernelINS0_14default_configENS1_25transform_config_selectorIiLb1EEEZNS1_14transform_implILb1ES3_S5_PiS7_NS0_8identityIiEEEE10hipError_tT2_T3_mT4_P12ihipStream_tbEUlT_E_NS1_11comp_targetILNS1_3genE2ELNS1_11target_archE906ELNS1_3gpuE6ELNS1_3repE0EEENS1_30default_config_static_selectorELNS0_4arch9wavefront6targetE1EEEvT1_,@function
_ZN7rocprim17ROCPRIM_400000_NS6detail17trampoline_kernelINS0_14default_configENS1_25transform_config_selectorIiLb1EEEZNS1_14transform_implILb1ES3_S5_PiS7_NS0_8identityIiEEEE10hipError_tT2_T3_mT4_P12ihipStream_tbEUlT_E_NS1_11comp_targetILNS1_3genE2ELNS1_11target_archE906ELNS1_3gpuE6ELNS1_3repE0EEENS1_30default_config_static_selectorELNS0_4arch9wavefront6targetE1EEEvT1_: ; @_ZN7rocprim17ROCPRIM_400000_NS6detail17trampoline_kernelINS0_14default_configENS1_25transform_config_selectorIiLb1EEEZNS1_14transform_implILb1ES3_S5_PiS7_NS0_8identityIiEEEE10hipError_tT2_T3_mT4_P12ihipStream_tbEUlT_E_NS1_11comp_targetILNS1_3genE2ELNS1_11target_archE906ELNS1_3gpuE6ELNS1_3repE0EEENS1_30default_config_static_selectorELNS0_4arch9wavefront6targetE1EEEvT1_
; %bb.0:
	.section	.rodata,"a",@progbits
	.p2align	6, 0x0
	.amdhsa_kernel _ZN7rocprim17ROCPRIM_400000_NS6detail17trampoline_kernelINS0_14default_configENS1_25transform_config_selectorIiLb1EEEZNS1_14transform_implILb1ES3_S5_PiS7_NS0_8identityIiEEEE10hipError_tT2_T3_mT4_P12ihipStream_tbEUlT_E_NS1_11comp_targetILNS1_3genE2ELNS1_11target_archE906ELNS1_3gpuE6ELNS1_3repE0EEENS1_30default_config_static_selectorELNS0_4arch9wavefront6targetE1EEEvT1_
		.amdhsa_group_segment_fixed_size 0
		.amdhsa_private_segment_fixed_size 0
		.amdhsa_kernarg_size 40
		.amdhsa_user_sgpr_count 6
		.amdhsa_user_sgpr_private_segment_buffer 1
		.amdhsa_user_sgpr_dispatch_ptr 0
		.amdhsa_user_sgpr_queue_ptr 0
		.amdhsa_user_sgpr_kernarg_segment_ptr 1
		.amdhsa_user_sgpr_dispatch_id 0
		.amdhsa_user_sgpr_flat_scratch_init 0
		.amdhsa_user_sgpr_kernarg_preload_length 0
		.amdhsa_user_sgpr_kernarg_preload_offset 0
		.amdhsa_user_sgpr_private_segment_size 0
		.amdhsa_uses_dynamic_stack 0
		.amdhsa_system_sgpr_private_segment_wavefront_offset 0
		.amdhsa_system_sgpr_workgroup_id_x 1
		.amdhsa_system_sgpr_workgroup_id_y 0
		.amdhsa_system_sgpr_workgroup_id_z 0
		.amdhsa_system_sgpr_workgroup_info 0
		.amdhsa_system_vgpr_workitem_id 0
		.amdhsa_next_free_vgpr 1
		.amdhsa_next_free_sgpr 0
		.amdhsa_accum_offset 4
		.amdhsa_reserve_vcc 0
		.amdhsa_reserve_flat_scratch 0
		.amdhsa_float_round_mode_32 0
		.amdhsa_float_round_mode_16_64 0
		.amdhsa_float_denorm_mode_32 3
		.amdhsa_float_denorm_mode_16_64 3
		.amdhsa_dx10_clamp 1
		.amdhsa_ieee_mode 1
		.amdhsa_fp16_overflow 0
		.amdhsa_tg_split 0
		.amdhsa_exception_fp_ieee_invalid_op 0
		.amdhsa_exception_fp_denorm_src 0
		.amdhsa_exception_fp_ieee_div_zero 0
		.amdhsa_exception_fp_ieee_overflow 0
		.amdhsa_exception_fp_ieee_underflow 0
		.amdhsa_exception_fp_ieee_inexact 0
		.amdhsa_exception_int_div_zero 0
	.end_amdhsa_kernel
	.section	.text._ZN7rocprim17ROCPRIM_400000_NS6detail17trampoline_kernelINS0_14default_configENS1_25transform_config_selectorIiLb1EEEZNS1_14transform_implILb1ES3_S5_PiS7_NS0_8identityIiEEEE10hipError_tT2_T3_mT4_P12ihipStream_tbEUlT_E_NS1_11comp_targetILNS1_3genE2ELNS1_11target_archE906ELNS1_3gpuE6ELNS1_3repE0EEENS1_30default_config_static_selectorELNS0_4arch9wavefront6targetE1EEEvT1_,"axG",@progbits,_ZN7rocprim17ROCPRIM_400000_NS6detail17trampoline_kernelINS0_14default_configENS1_25transform_config_selectorIiLb1EEEZNS1_14transform_implILb1ES3_S5_PiS7_NS0_8identityIiEEEE10hipError_tT2_T3_mT4_P12ihipStream_tbEUlT_E_NS1_11comp_targetILNS1_3genE2ELNS1_11target_archE906ELNS1_3gpuE6ELNS1_3repE0EEENS1_30default_config_static_selectorELNS0_4arch9wavefront6targetE1EEEvT1_,comdat
.Lfunc_end797:
	.size	_ZN7rocprim17ROCPRIM_400000_NS6detail17trampoline_kernelINS0_14default_configENS1_25transform_config_selectorIiLb1EEEZNS1_14transform_implILb1ES3_S5_PiS7_NS0_8identityIiEEEE10hipError_tT2_T3_mT4_P12ihipStream_tbEUlT_E_NS1_11comp_targetILNS1_3genE2ELNS1_11target_archE906ELNS1_3gpuE6ELNS1_3repE0EEENS1_30default_config_static_selectorELNS0_4arch9wavefront6targetE1EEEvT1_, .Lfunc_end797-_ZN7rocprim17ROCPRIM_400000_NS6detail17trampoline_kernelINS0_14default_configENS1_25transform_config_selectorIiLb1EEEZNS1_14transform_implILb1ES3_S5_PiS7_NS0_8identityIiEEEE10hipError_tT2_T3_mT4_P12ihipStream_tbEUlT_E_NS1_11comp_targetILNS1_3genE2ELNS1_11target_archE906ELNS1_3gpuE6ELNS1_3repE0EEENS1_30default_config_static_selectorELNS0_4arch9wavefront6targetE1EEEvT1_
                                        ; -- End function
	.section	.AMDGPU.csdata,"",@progbits
; Kernel info:
; codeLenInByte = 0
; NumSgprs: 4
; NumVgprs: 0
; NumAgprs: 0
; TotalNumVgprs: 0
; ScratchSize: 0
; MemoryBound: 0
; FloatMode: 240
; IeeeMode: 1
; LDSByteSize: 0 bytes/workgroup (compile time only)
; SGPRBlocks: 0
; VGPRBlocks: 0
; NumSGPRsForWavesPerEU: 4
; NumVGPRsForWavesPerEU: 1
; AccumOffset: 4
; Occupancy: 8
; WaveLimiterHint : 0
; COMPUTE_PGM_RSRC2:SCRATCH_EN: 0
; COMPUTE_PGM_RSRC2:USER_SGPR: 6
; COMPUTE_PGM_RSRC2:TRAP_HANDLER: 0
; COMPUTE_PGM_RSRC2:TGID_X_EN: 1
; COMPUTE_PGM_RSRC2:TGID_Y_EN: 0
; COMPUTE_PGM_RSRC2:TGID_Z_EN: 0
; COMPUTE_PGM_RSRC2:TIDIG_COMP_CNT: 0
; COMPUTE_PGM_RSRC3_GFX90A:ACCUM_OFFSET: 0
; COMPUTE_PGM_RSRC3_GFX90A:TG_SPLIT: 0
	.section	.text._ZN7rocprim17ROCPRIM_400000_NS6detail17trampoline_kernelINS0_14default_configENS1_25transform_config_selectorIiLb1EEEZNS1_14transform_implILb1ES3_S5_PiS7_NS0_8identityIiEEEE10hipError_tT2_T3_mT4_P12ihipStream_tbEUlT_E_NS1_11comp_targetILNS1_3genE9ELNS1_11target_archE1100ELNS1_3gpuE3ELNS1_3repE0EEENS1_30default_config_static_selectorELNS0_4arch9wavefront6targetE1EEEvT1_,"axG",@progbits,_ZN7rocprim17ROCPRIM_400000_NS6detail17trampoline_kernelINS0_14default_configENS1_25transform_config_selectorIiLb1EEEZNS1_14transform_implILb1ES3_S5_PiS7_NS0_8identityIiEEEE10hipError_tT2_T3_mT4_P12ihipStream_tbEUlT_E_NS1_11comp_targetILNS1_3genE9ELNS1_11target_archE1100ELNS1_3gpuE3ELNS1_3repE0EEENS1_30default_config_static_selectorELNS0_4arch9wavefront6targetE1EEEvT1_,comdat
	.protected	_ZN7rocprim17ROCPRIM_400000_NS6detail17trampoline_kernelINS0_14default_configENS1_25transform_config_selectorIiLb1EEEZNS1_14transform_implILb1ES3_S5_PiS7_NS0_8identityIiEEEE10hipError_tT2_T3_mT4_P12ihipStream_tbEUlT_E_NS1_11comp_targetILNS1_3genE9ELNS1_11target_archE1100ELNS1_3gpuE3ELNS1_3repE0EEENS1_30default_config_static_selectorELNS0_4arch9wavefront6targetE1EEEvT1_ ; -- Begin function _ZN7rocprim17ROCPRIM_400000_NS6detail17trampoline_kernelINS0_14default_configENS1_25transform_config_selectorIiLb1EEEZNS1_14transform_implILb1ES3_S5_PiS7_NS0_8identityIiEEEE10hipError_tT2_T3_mT4_P12ihipStream_tbEUlT_E_NS1_11comp_targetILNS1_3genE9ELNS1_11target_archE1100ELNS1_3gpuE3ELNS1_3repE0EEENS1_30default_config_static_selectorELNS0_4arch9wavefront6targetE1EEEvT1_
	.globl	_ZN7rocprim17ROCPRIM_400000_NS6detail17trampoline_kernelINS0_14default_configENS1_25transform_config_selectorIiLb1EEEZNS1_14transform_implILb1ES3_S5_PiS7_NS0_8identityIiEEEE10hipError_tT2_T3_mT4_P12ihipStream_tbEUlT_E_NS1_11comp_targetILNS1_3genE9ELNS1_11target_archE1100ELNS1_3gpuE3ELNS1_3repE0EEENS1_30default_config_static_selectorELNS0_4arch9wavefront6targetE1EEEvT1_
	.p2align	8
	.type	_ZN7rocprim17ROCPRIM_400000_NS6detail17trampoline_kernelINS0_14default_configENS1_25transform_config_selectorIiLb1EEEZNS1_14transform_implILb1ES3_S5_PiS7_NS0_8identityIiEEEE10hipError_tT2_T3_mT4_P12ihipStream_tbEUlT_E_NS1_11comp_targetILNS1_3genE9ELNS1_11target_archE1100ELNS1_3gpuE3ELNS1_3repE0EEENS1_30default_config_static_selectorELNS0_4arch9wavefront6targetE1EEEvT1_,@function
_ZN7rocprim17ROCPRIM_400000_NS6detail17trampoline_kernelINS0_14default_configENS1_25transform_config_selectorIiLb1EEEZNS1_14transform_implILb1ES3_S5_PiS7_NS0_8identityIiEEEE10hipError_tT2_T3_mT4_P12ihipStream_tbEUlT_E_NS1_11comp_targetILNS1_3genE9ELNS1_11target_archE1100ELNS1_3gpuE3ELNS1_3repE0EEENS1_30default_config_static_selectorELNS0_4arch9wavefront6targetE1EEEvT1_: ; @_ZN7rocprim17ROCPRIM_400000_NS6detail17trampoline_kernelINS0_14default_configENS1_25transform_config_selectorIiLb1EEEZNS1_14transform_implILb1ES3_S5_PiS7_NS0_8identityIiEEEE10hipError_tT2_T3_mT4_P12ihipStream_tbEUlT_E_NS1_11comp_targetILNS1_3genE9ELNS1_11target_archE1100ELNS1_3gpuE3ELNS1_3repE0EEENS1_30default_config_static_selectorELNS0_4arch9wavefront6targetE1EEEvT1_
; %bb.0:
	.section	.rodata,"a",@progbits
	.p2align	6, 0x0
	.amdhsa_kernel _ZN7rocprim17ROCPRIM_400000_NS6detail17trampoline_kernelINS0_14default_configENS1_25transform_config_selectorIiLb1EEEZNS1_14transform_implILb1ES3_S5_PiS7_NS0_8identityIiEEEE10hipError_tT2_T3_mT4_P12ihipStream_tbEUlT_E_NS1_11comp_targetILNS1_3genE9ELNS1_11target_archE1100ELNS1_3gpuE3ELNS1_3repE0EEENS1_30default_config_static_selectorELNS0_4arch9wavefront6targetE1EEEvT1_
		.amdhsa_group_segment_fixed_size 0
		.amdhsa_private_segment_fixed_size 0
		.amdhsa_kernarg_size 40
		.amdhsa_user_sgpr_count 6
		.amdhsa_user_sgpr_private_segment_buffer 1
		.amdhsa_user_sgpr_dispatch_ptr 0
		.amdhsa_user_sgpr_queue_ptr 0
		.amdhsa_user_sgpr_kernarg_segment_ptr 1
		.amdhsa_user_sgpr_dispatch_id 0
		.amdhsa_user_sgpr_flat_scratch_init 0
		.amdhsa_user_sgpr_kernarg_preload_length 0
		.amdhsa_user_sgpr_kernarg_preload_offset 0
		.amdhsa_user_sgpr_private_segment_size 0
		.amdhsa_uses_dynamic_stack 0
		.amdhsa_system_sgpr_private_segment_wavefront_offset 0
		.amdhsa_system_sgpr_workgroup_id_x 1
		.amdhsa_system_sgpr_workgroup_id_y 0
		.amdhsa_system_sgpr_workgroup_id_z 0
		.amdhsa_system_sgpr_workgroup_info 0
		.amdhsa_system_vgpr_workitem_id 0
		.amdhsa_next_free_vgpr 1
		.amdhsa_next_free_sgpr 0
		.amdhsa_accum_offset 4
		.amdhsa_reserve_vcc 0
		.amdhsa_reserve_flat_scratch 0
		.amdhsa_float_round_mode_32 0
		.amdhsa_float_round_mode_16_64 0
		.amdhsa_float_denorm_mode_32 3
		.amdhsa_float_denorm_mode_16_64 3
		.amdhsa_dx10_clamp 1
		.amdhsa_ieee_mode 1
		.amdhsa_fp16_overflow 0
		.amdhsa_tg_split 0
		.amdhsa_exception_fp_ieee_invalid_op 0
		.amdhsa_exception_fp_denorm_src 0
		.amdhsa_exception_fp_ieee_div_zero 0
		.amdhsa_exception_fp_ieee_overflow 0
		.amdhsa_exception_fp_ieee_underflow 0
		.amdhsa_exception_fp_ieee_inexact 0
		.amdhsa_exception_int_div_zero 0
	.end_amdhsa_kernel
	.section	.text._ZN7rocprim17ROCPRIM_400000_NS6detail17trampoline_kernelINS0_14default_configENS1_25transform_config_selectorIiLb1EEEZNS1_14transform_implILb1ES3_S5_PiS7_NS0_8identityIiEEEE10hipError_tT2_T3_mT4_P12ihipStream_tbEUlT_E_NS1_11comp_targetILNS1_3genE9ELNS1_11target_archE1100ELNS1_3gpuE3ELNS1_3repE0EEENS1_30default_config_static_selectorELNS0_4arch9wavefront6targetE1EEEvT1_,"axG",@progbits,_ZN7rocprim17ROCPRIM_400000_NS6detail17trampoline_kernelINS0_14default_configENS1_25transform_config_selectorIiLb1EEEZNS1_14transform_implILb1ES3_S5_PiS7_NS0_8identityIiEEEE10hipError_tT2_T3_mT4_P12ihipStream_tbEUlT_E_NS1_11comp_targetILNS1_3genE9ELNS1_11target_archE1100ELNS1_3gpuE3ELNS1_3repE0EEENS1_30default_config_static_selectorELNS0_4arch9wavefront6targetE1EEEvT1_,comdat
.Lfunc_end798:
	.size	_ZN7rocprim17ROCPRIM_400000_NS6detail17trampoline_kernelINS0_14default_configENS1_25transform_config_selectorIiLb1EEEZNS1_14transform_implILb1ES3_S5_PiS7_NS0_8identityIiEEEE10hipError_tT2_T3_mT4_P12ihipStream_tbEUlT_E_NS1_11comp_targetILNS1_3genE9ELNS1_11target_archE1100ELNS1_3gpuE3ELNS1_3repE0EEENS1_30default_config_static_selectorELNS0_4arch9wavefront6targetE1EEEvT1_, .Lfunc_end798-_ZN7rocprim17ROCPRIM_400000_NS6detail17trampoline_kernelINS0_14default_configENS1_25transform_config_selectorIiLb1EEEZNS1_14transform_implILb1ES3_S5_PiS7_NS0_8identityIiEEEE10hipError_tT2_T3_mT4_P12ihipStream_tbEUlT_E_NS1_11comp_targetILNS1_3genE9ELNS1_11target_archE1100ELNS1_3gpuE3ELNS1_3repE0EEENS1_30default_config_static_selectorELNS0_4arch9wavefront6targetE1EEEvT1_
                                        ; -- End function
	.section	.AMDGPU.csdata,"",@progbits
; Kernel info:
; codeLenInByte = 0
; NumSgprs: 4
; NumVgprs: 0
; NumAgprs: 0
; TotalNumVgprs: 0
; ScratchSize: 0
; MemoryBound: 0
; FloatMode: 240
; IeeeMode: 1
; LDSByteSize: 0 bytes/workgroup (compile time only)
; SGPRBlocks: 0
; VGPRBlocks: 0
; NumSGPRsForWavesPerEU: 4
; NumVGPRsForWavesPerEU: 1
; AccumOffset: 4
; Occupancy: 8
; WaveLimiterHint : 0
; COMPUTE_PGM_RSRC2:SCRATCH_EN: 0
; COMPUTE_PGM_RSRC2:USER_SGPR: 6
; COMPUTE_PGM_RSRC2:TRAP_HANDLER: 0
; COMPUTE_PGM_RSRC2:TGID_X_EN: 1
; COMPUTE_PGM_RSRC2:TGID_Y_EN: 0
; COMPUTE_PGM_RSRC2:TGID_Z_EN: 0
; COMPUTE_PGM_RSRC2:TIDIG_COMP_CNT: 0
; COMPUTE_PGM_RSRC3_GFX90A:ACCUM_OFFSET: 0
; COMPUTE_PGM_RSRC3_GFX90A:TG_SPLIT: 0
	.section	.text._ZN7rocprim17ROCPRIM_400000_NS6detail17trampoline_kernelINS0_14default_configENS1_25transform_config_selectorIiLb1EEEZNS1_14transform_implILb1ES3_S5_PiS7_NS0_8identityIiEEEE10hipError_tT2_T3_mT4_P12ihipStream_tbEUlT_E_NS1_11comp_targetILNS1_3genE8ELNS1_11target_archE1030ELNS1_3gpuE2ELNS1_3repE0EEENS1_30default_config_static_selectorELNS0_4arch9wavefront6targetE1EEEvT1_,"axG",@progbits,_ZN7rocprim17ROCPRIM_400000_NS6detail17trampoline_kernelINS0_14default_configENS1_25transform_config_selectorIiLb1EEEZNS1_14transform_implILb1ES3_S5_PiS7_NS0_8identityIiEEEE10hipError_tT2_T3_mT4_P12ihipStream_tbEUlT_E_NS1_11comp_targetILNS1_3genE8ELNS1_11target_archE1030ELNS1_3gpuE2ELNS1_3repE0EEENS1_30default_config_static_selectorELNS0_4arch9wavefront6targetE1EEEvT1_,comdat
	.protected	_ZN7rocprim17ROCPRIM_400000_NS6detail17trampoline_kernelINS0_14default_configENS1_25transform_config_selectorIiLb1EEEZNS1_14transform_implILb1ES3_S5_PiS7_NS0_8identityIiEEEE10hipError_tT2_T3_mT4_P12ihipStream_tbEUlT_E_NS1_11comp_targetILNS1_3genE8ELNS1_11target_archE1030ELNS1_3gpuE2ELNS1_3repE0EEENS1_30default_config_static_selectorELNS0_4arch9wavefront6targetE1EEEvT1_ ; -- Begin function _ZN7rocprim17ROCPRIM_400000_NS6detail17trampoline_kernelINS0_14default_configENS1_25transform_config_selectorIiLb1EEEZNS1_14transform_implILb1ES3_S5_PiS7_NS0_8identityIiEEEE10hipError_tT2_T3_mT4_P12ihipStream_tbEUlT_E_NS1_11comp_targetILNS1_3genE8ELNS1_11target_archE1030ELNS1_3gpuE2ELNS1_3repE0EEENS1_30default_config_static_selectorELNS0_4arch9wavefront6targetE1EEEvT1_
	.globl	_ZN7rocprim17ROCPRIM_400000_NS6detail17trampoline_kernelINS0_14default_configENS1_25transform_config_selectorIiLb1EEEZNS1_14transform_implILb1ES3_S5_PiS7_NS0_8identityIiEEEE10hipError_tT2_T3_mT4_P12ihipStream_tbEUlT_E_NS1_11comp_targetILNS1_3genE8ELNS1_11target_archE1030ELNS1_3gpuE2ELNS1_3repE0EEENS1_30default_config_static_selectorELNS0_4arch9wavefront6targetE1EEEvT1_
	.p2align	8
	.type	_ZN7rocprim17ROCPRIM_400000_NS6detail17trampoline_kernelINS0_14default_configENS1_25transform_config_selectorIiLb1EEEZNS1_14transform_implILb1ES3_S5_PiS7_NS0_8identityIiEEEE10hipError_tT2_T3_mT4_P12ihipStream_tbEUlT_E_NS1_11comp_targetILNS1_3genE8ELNS1_11target_archE1030ELNS1_3gpuE2ELNS1_3repE0EEENS1_30default_config_static_selectorELNS0_4arch9wavefront6targetE1EEEvT1_,@function
_ZN7rocprim17ROCPRIM_400000_NS6detail17trampoline_kernelINS0_14default_configENS1_25transform_config_selectorIiLb1EEEZNS1_14transform_implILb1ES3_S5_PiS7_NS0_8identityIiEEEE10hipError_tT2_T3_mT4_P12ihipStream_tbEUlT_E_NS1_11comp_targetILNS1_3genE8ELNS1_11target_archE1030ELNS1_3gpuE2ELNS1_3repE0EEENS1_30default_config_static_selectorELNS0_4arch9wavefront6targetE1EEEvT1_: ; @_ZN7rocprim17ROCPRIM_400000_NS6detail17trampoline_kernelINS0_14default_configENS1_25transform_config_selectorIiLb1EEEZNS1_14transform_implILb1ES3_S5_PiS7_NS0_8identityIiEEEE10hipError_tT2_T3_mT4_P12ihipStream_tbEUlT_E_NS1_11comp_targetILNS1_3genE8ELNS1_11target_archE1030ELNS1_3gpuE2ELNS1_3repE0EEENS1_30default_config_static_selectorELNS0_4arch9wavefront6targetE1EEEvT1_
; %bb.0:
	.section	.rodata,"a",@progbits
	.p2align	6, 0x0
	.amdhsa_kernel _ZN7rocprim17ROCPRIM_400000_NS6detail17trampoline_kernelINS0_14default_configENS1_25transform_config_selectorIiLb1EEEZNS1_14transform_implILb1ES3_S5_PiS7_NS0_8identityIiEEEE10hipError_tT2_T3_mT4_P12ihipStream_tbEUlT_E_NS1_11comp_targetILNS1_3genE8ELNS1_11target_archE1030ELNS1_3gpuE2ELNS1_3repE0EEENS1_30default_config_static_selectorELNS0_4arch9wavefront6targetE1EEEvT1_
		.amdhsa_group_segment_fixed_size 0
		.amdhsa_private_segment_fixed_size 0
		.amdhsa_kernarg_size 40
		.amdhsa_user_sgpr_count 6
		.amdhsa_user_sgpr_private_segment_buffer 1
		.amdhsa_user_sgpr_dispatch_ptr 0
		.amdhsa_user_sgpr_queue_ptr 0
		.amdhsa_user_sgpr_kernarg_segment_ptr 1
		.amdhsa_user_sgpr_dispatch_id 0
		.amdhsa_user_sgpr_flat_scratch_init 0
		.amdhsa_user_sgpr_kernarg_preload_length 0
		.amdhsa_user_sgpr_kernarg_preload_offset 0
		.amdhsa_user_sgpr_private_segment_size 0
		.amdhsa_uses_dynamic_stack 0
		.amdhsa_system_sgpr_private_segment_wavefront_offset 0
		.amdhsa_system_sgpr_workgroup_id_x 1
		.amdhsa_system_sgpr_workgroup_id_y 0
		.amdhsa_system_sgpr_workgroup_id_z 0
		.amdhsa_system_sgpr_workgroup_info 0
		.amdhsa_system_vgpr_workitem_id 0
		.amdhsa_next_free_vgpr 1
		.amdhsa_next_free_sgpr 0
		.amdhsa_accum_offset 4
		.amdhsa_reserve_vcc 0
		.amdhsa_reserve_flat_scratch 0
		.amdhsa_float_round_mode_32 0
		.amdhsa_float_round_mode_16_64 0
		.amdhsa_float_denorm_mode_32 3
		.amdhsa_float_denorm_mode_16_64 3
		.amdhsa_dx10_clamp 1
		.amdhsa_ieee_mode 1
		.amdhsa_fp16_overflow 0
		.amdhsa_tg_split 0
		.amdhsa_exception_fp_ieee_invalid_op 0
		.amdhsa_exception_fp_denorm_src 0
		.amdhsa_exception_fp_ieee_div_zero 0
		.amdhsa_exception_fp_ieee_overflow 0
		.amdhsa_exception_fp_ieee_underflow 0
		.amdhsa_exception_fp_ieee_inexact 0
		.amdhsa_exception_int_div_zero 0
	.end_amdhsa_kernel
	.section	.text._ZN7rocprim17ROCPRIM_400000_NS6detail17trampoline_kernelINS0_14default_configENS1_25transform_config_selectorIiLb1EEEZNS1_14transform_implILb1ES3_S5_PiS7_NS0_8identityIiEEEE10hipError_tT2_T3_mT4_P12ihipStream_tbEUlT_E_NS1_11comp_targetILNS1_3genE8ELNS1_11target_archE1030ELNS1_3gpuE2ELNS1_3repE0EEENS1_30default_config_static_selectorELNS0_4arch9wavefront6targetE1EEEvT1_,"axG",@progbits,_ZN7rocprim17ROCPRIM_400000_NS6detail17trampoline_kernelINS0_14default_configENS1_25transform_config_selectorIiLb1EEEZNS1_14transform_implILb1ES3_S5_PiS7_NS0_8identityIiEEEE10hipError_tT2_T3_mT4_P12ihipStream_tbEUlT_E_NS1_11comp_targetILNS1_3genE8ELNS1_11target_archE1030ELNS1_3gpuE2ELNS1_3repE0EEENS1_30default_config_static_selectorELNS0_4arch9wavefront6targetE1EEEvT1_,comdat
.Lfunc_end799:
	.size	_ZN7rocprim17ROCPRIM_400000_NS6detail17trampoline_kernelINS0_14default_configENS1_25transform_config_selectorIiLb1EEEZNS1_14transform_implILb1ES3_S5_PiS7_NS0_8identityIiEEEE10hipError_tT2_T3_mT4_P12ihipStream_tbEUlT_E_NS1_11comp_targetILNS1_3genE8ELNS1_11target_archE1030ELNS1_3gpuE2ELNS1_3repE0EEENS1_30default_config_static_selectorELNS0_4arch9wavefront6targetE1EEEvT1_, .Lfunc_end799-_ZN7rocprim17ROCPRIM_400000_NS6detail17trampoline_kernelINS0_14default_configENS1_25transform_config_selectorIiLb1EEEZNS1_14transform_implILb1ES3_S5_PiS7_NS0_8identityIiEEEE10hipError_tT2_T3_mT4_P12ihipStream_tbEUlT_E_NS1_11comp_targetILNS1_3genE8ELNS1_11target_archE1030ELNS1_3gpuE2ELNS1_3repE0EEENS1_30default_config_static_selectorELNS0_4arch9wavefront6targetE1EEEvT1_
                                        ; -- End function
	.section	.AMDGPU.csdata,"",@progbits
; Kernel info:
; codeLenInByte = 0
; NumSgprs: 4
; NumVgprs: 0
; NumAgprs: 0
; TotalNumVgprs: 0
; ScratchSize: 0
; MemoryBound: 0
; FloatMode: 240
; IeeeMode: 1
; LDSByteSize: 0 bytes/workgroup (compile time only)
; SGPRBlocks: 0
; VGPRBlocks: 0
; NumSGPRsForWavesPerEU: 4
; NumVGPRsForWavesPerEU: 1
; AccumOffset: 4
; Occupancy: 8
; WaveLimiterHint : 0
; COMPUTE_PGM_RSRC2:SCRATCH_EN: 0
; COMPUTE_PGM_RSRC2:USER_SGPR: 6
; COMPUTE_PGM_RSRC2:TRAP_HANDLER: 0
; COMPUTE_PGM_RSRC2:TGID_X_EN: 1
; COMPUTE_PGM_RSRC2:TGID_Y_EN: 0
; COMPUTE_PGM_RSRC2:TGID_Z_EN: 0
; COMPUTE_PGM_RSRC2:TIDIG_COMP_CNT: 0
; COMPUTE_PGM_RSRC3_GFX90A:ACCUM_OFFSET: 0
; COMPUTE_PGM_RSRC3_GFX90A:TG_SPLIT: 0
	.section	.text._ZN7rocprim17ROCPRIM_400000_NS6detail17trampoline_kernelINS0_14default_configENS1_38merge_sort_block_merge_config_selectorIilEEZZNS1_27merge_sort_block_merge_implIS3_PiN6thrust23THRUST_200600_302600_NS10device_ptrIlEEjNS1_19radix_merge_compareILb0ELb1EiNS0_19identity_decomposerEEEEE10hipError_tT0_T1_T2_jT3_P12ihipStream_tbPNSt15iterator_traitsISG_E10value_typeEPNSM_ISH_E10value_typeEPSI_NS1_7vsmem_tEENKUlT_SG_SH_SI_E_clIS7_S7_PlSB_EESF_SV_SG_SH_SI_EUlSV_E_NS1_11comp_targetILNS1_3genE0ELNS1_11target_archE4294967295ELNS1_3gpuE0ELNS1_3repE0EEENS1_48merge_mergepath_partition_config_static_selectorELNS0_4arch9wavefront6targetE1EEEvSH_,"axG",@progbits,_ZN7rocprim17ROCPRIM_400000_NS6detail17trampoline_kernelINS0_14default_configENS1_38merge_sort_block_merge_config_selectorIilEEZZNS1_27merge_sort_block_merge_implIS3_PiN6thrust23THRUST_200600_302600_NS10device_ptrIlEEjNS1_19radix_merge_compareILb0ELb1EiNS0_19identity_decomposerEEEEE10hipError_tT0_T1_T2_jT3_P12ihipStream_tbPNSt15iterator_traitsISG_E10value_typeEPNSM_ISH_E10value_typeEPSI_NS1_7vsmem_tEENKUlT_SG_SH_SI_E_clIS7_S7_PlSB_EESF_SV_SG_SH_SI_EUlSV_E_NS1_11comp_targetILNS1_3genE0ELNS1_11target_archE4294967295ELNS1_3gpuE0ELNS1_3repE0EEENS1_48merge_mergepath_partition_config_static_selectorELNS0_4arch9wavefront6targetE1EEEvSH_,comdat
	.protected	_ZN7rocprim17ROCPRIM_400000_NS6detail17trampoline_kernelINS0_14default_configENS1_38merge_sort_block_merge_config_selectorIilEEZZNS1_27merge_sort_block_merge_implIS3_PiN6thrust23THRUST_200600_302600_NS10device_ptrIlEEjNS1_19radix_merge_compareILb0ELb1EiNS0_19identity_decomposerEEEEE10hipError_tT0_T1_T2_jT3_P12ihipStream_tbPNSt15iterator_traitsISG_E10value_typeEPNSM_ISH_E10value_typeEPSI_NS1_7vsmem_tEENKUlT_SG_SH_SI_E_clIS7_S7_PlSB_EESF_SV_SG_SH_SI_EUlSV_E_NS1_11comp_targetILNS1_3genE0ELNS1_11target_archE4294967295ELNS1_3gpuE0ELNS1_3repE0EEENS1_48merge_mergepath_partition_config_static_selectorELNS0_4arch9wavefront6targetE1EEEvSH_ ; -- Begin function _ZN7rocprim17ROCPRIM_400000_NS6detail17trampoline_kernelINS0_14default_configENS1_38merge_sort_block_merge_config_selectorIilEEZZNS1_27merge_sort_block_merge_implIS3_PiN6thrust23THRUST_200600_302600_NS10device_ptrIlEEjNS1_19radix_merge_compareILb0ELb1EiNS0_19identity_decomposerEEEEE10hipError_tT0_T1_T2_jT3_P12ihipStream_tbPNSt15iterator_traitsISG_E10value_typeEPNSM_ISH_E10value_typeEPSI_NS1_7vsmem_tEENKUlT_SG_SH_SI_E_clIS7_S7_PlSB_EESF_SV_SG_SH_SI_EUlSV_E_NS1_11comp_targetILNS1_3genE0ELNS1_11target_archE4294967295ELNS1_3gpuE0ELNS1_3repE0EEENS1_48merge_mergepath_partition_config_static_selectorELNS0_4arch9wavefront6targetE1EEEvSH_
	.globl	_ZN7rocprim17ROCPRIM_400000_NS6detail17trampoline_kernelINS0_14default_configENS1_38merge_sort_block_merge_config_selectorIilEEZZNS1_27merge_sort_block_merge_implIS3_PiN6thrust23THRUST_200600_302600_NS10device_ptrIlEEjNS1_19radix_merge_compareILb0ELb1EiNS0_19identity_decomposerEEEEE10hipError_tT0_T1_T2_jT3_P12ihipStream_tbPNSt15iterator_traitsISG_E10value_typeEPNSM_ISH_E10value_typeEPSI_NS1_7vsmem_tEENKUlT_SG_SH_SI_E_clIS7_S7_PlSB_EESF_SV_SG_SH_SI_EUlSV_E_NS1_11comp_targetILNS1_3genE0ELNS1_11target_archE4294967295ELNS1_3gpuE0ELNS1_3repE0EEENS1_48merge_mergepath_partition_config_static_selectorELNS0_4arch9wavefront6targetE1EEEvSH_
	.p2align	8
	.type	_ZN7rocprim17ROCPRIM_400000_NS6detail17trampoline_kernelINS0_14default_configENS1_38merge_sort_block_merge_config_selectorIilEEZZNS1_27merge_sort_block_merge_implIS3_PiN6thrust23THRUST_200600_302600_NS10device_ptrIlEEjNS1_19radix_merge_compareILb0ELb1EiNS0_19identity_decomposerEEEEE10hipError_tT0_T1_T2_jT3_P12ihipStream_tbPNSt15iterator_traitsISG_E10value_typeEPNSM_ISH_E10value_typeEPSI_NS1_7vsmem_tEENKUlT_SG_SH_SI_E_clIS7_S7_PlSB_EESF_SV_SG_SH_SI_EUlSV_E_NS1_11comp_targetILNS1_3genE0ELNS1_11target_archE4294967295ELNS1_3gpuE0ELNS1_3repE0EEENS1_48merge_mergepath_partition_config_static_selectorELNS0_4arch9wavefront6targetE1EEEvSH_,@function
_ZN7rocprim17ROCPRIM_400000_NS6detail17trampoline_kernelINS0_14default_configENS1_38merge_sort_block_merge_config_selectorIilEEZZNS1_27merge_sort_block_merge_implIS3_PiN6thrust23THRUST_200600_302600_NS10device_ptrIlEEjNS1_19radix_merge_compareILb0ELb1EiNS0_19identity_decomposerEEEEE10hipError_tT0_T1_T2_jT3_P12ihipStream_tbPNSt15iterator_traitsISG_E10value_typeEPNSM_ISH_E10value_typeEPSI_NS1_7vsmem_tEENKUlT_SG_SH_SI_E_clIS7_S7_PlSB_EESF_SV_SG_SH_SI_EUlSV_E_NS1_11comp_targetILNS1_3genE0ELNS1_11target_archE4294967295ELNS1_3gpuE0ELNS1_3repE0EEENS1_48merge_mergepath_partition_config_static_selectorELNS0_4arch9wavefront6targetE1EEEvSH_: ; @_ZN7rocprim17ROCPRIM_400000_NS6detail17trampoline_kernelINS0_14default_configENS1_38merge_sort_block_merge_config_selectorIilEEZZNS1_27merge_sort_block_merge_implIS3_PiN6thrust23THRUST_200600_302600_NS10device_ptrIlEEjNS1_19radix_merge_compareILb0ELb1EiNS0_19identity_decomposerEEEEE10hipError_tT0_T1_T2_jT3_P12ihipStream_tbPNSt15iterator_traitsISG_E10value_typeEPNSM_ISH_E10value_typeEPSI_NS1_7vsmem_tEENKUlT_SG_SH_SI_E_clIS7_S7_PlSB_EESF_SV_SG_SH_SI_EUlSV_E_NS1_11comp_targetILNS1_3genE0ELNS1_11target_archE4294967295ELNS1_3gpuE0ELNS1_3repE0EEENS1_48merge_mergepath_partition_config_static_selectorELNS0_4arch9wavefront6targetE1EEEvSH_
; %bb.0:
	.section	.rodata,"a",@progbits
	.p2align	6, 0x0
	.amdhsa_kernel _ZN7rocprim17ROCPRIM_400000_NS6detail17trampoline_kernelINS0_14default_configENS1_38merge_sort_block_merge_config_selectorIilEEZZNS1_27merge_sort_block_merge_implIS3_PiN6thrust23THRUST_200600_302600_NS10device_ptrIlEEjNS1_19radix_merge_compareILb0ELb1EiNS0_19identity_decomposerEEEEE10hipError_tT0_T1_T2_jT3_P12ihipStream_tbPNSt15iterator_traitsISG_E10value_typeEPNSM_ISH_E10value_typeEPSI_NS1_7vsmem_tEENKUlT_SG_SH_SI_E_clIS7_S7_PlSB_EESF_SV_SG_SH_SI_EUlSV_E_NS1_11comp_targetILNS1_3genE0ELNS1_11target_archE4294967295ELNS1_3gpuE0ELNS1_3repE0EEENS1_48merge_mergepath_partition_config_static_selectorELNS0_4arch9wavefront6targetE1EEEvSH_
		.amdhsa_group_segment_fixed_size 0
		.amdhsa_private_segment_fixed_size 0
		.amdhsa_kernarg_size 40
		.amdhsa_user_sgpr_count 6
		.amdhsa_user_sgpr_private_segment_buffer 1
		.amdhsa_user_sgpr_dispatch_ptr 0
		.amdhsa_user_sgpr_queue_ptr 0
		.amdhsa_user_sgpr_kernarg_segment_ptr 1
		.amdhsa_user_sgpr_dispatch_id 0
		.amdhsa_user_sgpr_flat_scratch_init 0
		.amdhsa_user_sgpr_kernarg_preload_length 0
		.amdhsa_user_sgpr_kernarg_preload_offset 0
		.amdhsa_user_sgpr_private_segment_size 0
		.amdhsa_uses_dynamic_stack 0
		.amdhsa_system_sgpr_private_segment_wavefront_offset 0
		.amdhsa_system_sgpr_workgroup_id_x 1
		.amdhsa_system_sgpr_workgroup_id_y 0
		.amdhsa_system_sgpr_workgroup_id_z 0
		.amdhsa_system_sgpr_workgroup_info 0
		.amdhsa_system_vgpr_workitem_id 0
		.amdhsa_next_free_vgpr 1
		.amdhsa_next_free_sgpr 0
		.amdhsa_accum_offset 4
		.amdhsa_reserve_vcc 0
		.amdhsa_reserve_flat_scratch 0
		.amdhsa_float_round_mode_32 0
		.amdhsa_float_round_mode_16_64 0
		.amdhsa_float_denorm_mode_32 3
		.amdhsa_float_denorm_mode_16_64 3
		.amdhsa_dx10_clamp 1
		.amdhsa_ieee_mode 1
		.amdhsa_fp16_overflow 0
		.amdhsa_tg_split 0
		.amdhsa_exception_fp_ieee_invalid_op 0
		.amdhsa_exception_fp_denorm_src 0
		.amdhsa_exception_fp_ieee_div_zero 0
		.amdhsa_exception_fp_ieee_overflow 0
		.amdhsa_exception_fp_ieee_underflow 0
		.amdhsa_exception_fp_ieee_inexact 0
		.amdhsa_exception_int_div_zero 0
	.end_amdhsa_kernel
	.section	.text._ZN7rocprim17ROCPRIM_400000_NS6detail17trampoline_kernelINS0_14default_configENS1_38merge_sort_block_merge_config_selectorIilEEZZNS1_27merge_sort_block_merge_implIS3_PiN6thrust23THRUST_200600_302600_NS10device_ptrIlEEjNS1_19radix_merge_compareILb0ELb1EiNS0_19identity_decomposerEEEEE10hipError_tT0_T1_T2_jT3_P12ihipStream_tbPNSt15iterator_traitsISG_E10value_typeEPNSM_ISH_E10value_typeEPSI_NS1_7vsmem_tEENKUlT_SG_SH_SI_E_clIS7_S7_PlSB_EESF_SV_SG_SH_SI_EUlSV_E_NS1_11comp_targetILNS1_3genE0ELNS1_11target_archE4294967295ELNS1_3gpuE0ELNS1_3repE0EEENS1_48merge_mergepath_partition_config_static_selectorELNS0_4arch9wavefront6targetE1EEEvSH_,"axG",@progbits,_ZN7rocprim17ROCPRIM_400000_NS6detail17trampoline_kernelINS0_14default_configENS1_38merge_sort_block_merge_config_selectorIilEEZZNS1_27merge_sort_block_merge_implIS3_PiN6thrust23THRUST_200600_302600_NS10device_ptrIlEEjNS1_19radix_merge_compareILb0ELb1EiNS0_19identity_decomposerEEEEE10hipError_tT0_T1_T2_jT3_P12ihipStream_tbPNSt15iterator_traitsISG_E10value_typeEPNSM_ISH_E10value_typeEPSI_NS1_7vsmem_tEENKUlT_SG_SH_SI_E_clIS7_S7_PlSB_EESF_SV_SG_SH_SI_EUlSV_E_NS1_11comp_targetILNS1_3genE0ELNS1_11target_archE4294967295ELNS1_3gpuE0ELNS1_3repE0EEENS1_48merge_mergepath_partition_config_static_selectorELNS0_4arch9wavefront6targetE1EEEvSH_,comdat
.Lfunc_end800:
	.size	_ZN7rocprim17ROCPRIM_400000_NS6detail17trampoline_kernelINS0_14default_configENS1_38merge_sort_block_merge_config_selectorIilEEZZNS1_27merge_sort_block_merge_implIS3_PiN6thrust23THRUST_200600_302600_NS10device_ptrIlEEjNS1_19radix_merge_compareILb0ELb1EiNS0_19identity_decomposerEEEEE10hipError_tT0_T1_T2_jT3_P12ihipStream_tbPNSt15iterator_traitsISG_E10value_typeEPNSM_ISH_E10value_typeEPSI_NS1_7vsmem_tEENKUlT_SG_SH_SI_E_clIS7_S7_PlSB_EESF_SV_SG_SH_SI_EUlSV_E_NS1_11comp_targetILNS1_3genE0ELNS1_11target_archE4294967295ELNS1_3gpuE0ELNS1_3repE0EEENS1_48merge_mergepath_partition_config_static_selectorELNS0_4arch9wavefront6targetE1EEEvSH_, .Lfunc_end800-_ZN7rocprim17ROCPRIM_400000_NS6detail17trampoline_kernelINS0_14default_configENS1_38merge_sort_block_merge_config_selectorIilEEZZNS1_27merge_sort_block_merge_implIS3_PiN6thrust23THRUST_200600_302600_NS10device_ptrIlEEjNS1_19radix_merge_compareILb0ELb1EiNS0_19identity_decomposerEEEEE10hipError_tT0_T1_T2_jT3_P12ihipStream_tbPNSt15iterator_traitsISG_E10value_typeEPNSM_ISH_E10value_typeEPSI_NS1_7vsmem_tEENKUlT_SG_SH_SI_E_clIS7_S7_PlSB_EESF_SV_SG_SH_SI_EUlSV_E_NS1_11comp_targetILNS1_3genE0ELNS1_11target_archE4294967295ELNS1_3gpuE0ELNS1_3repE0EEENS1_48merge_mergepath_partition_config_static_selectorELNS0_4arch9wavefront6targetE1EEEvSH_
                                        ; -- End function
	.section	.AMDGPU.csdata,"",@progbits
; Kernel info:
; codeLenInByte = 0
; NumSgprs: 4
; NumVgprs: 0
; NumAgprs: 0
; TotalNumVgprs: 0
; ScratchSize: 0
; MemoryBound: 0
; FloatMode: 240
; IeeeMode: 1
; LDSByteSize: 0 bytes/workgroup (compile time only)
; SGPRBlocks: 0
; VGPRBlocks: 0
; NumSGPRsForWavesPerEU: 4
; NumVGPRsForWavesPerEU: 1
; AccumOffset: 4
; Occupancy: 8
; WaveLimiterHint : 0
; COMPUTE_PGM_RSRC2:SCRATCH_EN: 0
; COMPUTE_PGM_RSRC2:USER_SGPR: 6
; COMPUTE_PGM_RSRC2:TRAP_HANDLER: 0
; COMPUTE_PGM_RSRC2:TGID_X_EN: 1
; COMPUTE_PGM_RSRC2:TGID_Y_EN: 0
; COMPUTE_PGM_RSRC2:TGID_Z_EN: 0
; COMPUTE_PGM_RSRC2:TIDIG_COMP_CNT: 0
; COMPUTE_PGM_RSRC3_GFX90A:ACCUM_OFFSET: 0
; COMPUTE_PGM_RSRC3_GFX90A:TG_SPLIT: 0
	.section	.text._ZN7rocprim17ROCPRIM_400000_NS6detail17trampoline_kernelINS0_14default_configENS1_38merge_sort_block_merge_config_selectorIilEEZZNS1_27merge_sort_block_merge_implIS3_PiN6thrust23THRUST_200600_302600_NS10device_ptrIlEEjNS1_19radix_merge_compareILb0ELb1EiNS0_19identity_decomposerEEEEE10hipError_tT0_T1_T2_jT3_P12ihipStream_tbPNSt15iterator_traitsISG_E10value_typeEPNSM_ISH_E10value_typeEPSI_NS1_7vsmem_tEENKUlT_SG_SH_SI_E_clIS7_S7_PlSB_EESF_SV_SG_SH_SI_EUlSV_E_NS1_11comp_targetILNS1_3genE10ELNS1_11target_archE1201ELNS1_3gpuE5ELNS1_3repE0EEENS1_48merge_mergepath_partition_config_static_selectorELNS0_4arch9wavefront6targetE1EEEvSH_,"axG",@progbits,_ZN7rocprim17ROCPRIM_400000_NS6detail17trampoline_kernelINS0_14default_configENS1_38merge_sort_block_merge_config_selectorIilEEZZNS1_27merge_sort_block_merge_implIS3_PiN6thrust23THRUST_200600_302600_NS10device_ptrIlEEjNS1_19radix_merge_compareILb0ELb1EiNS0_19identity_decomposerEEEEE10hipError_tT0_T1_T2_jT3_P12ihipStream_tbPNSt15iterator_traitsISG_E10value_typeEPNSM_ISH_E10value_typeEPSI_NS1_7vsmem_tEENKUlT_SG_SH_SI_E_clIS7_S7_PlSB_EESF_SV_SG_SH_SI_EUlSV_E_NS1_11comp_targetILNS1_3genE10ELNS1_11target_archE1201ELNS1_3gpuE5ELNS1_3repE0EEENS1_48merge_mergepath_partition_config_static_selectorELNS0_4arch9wavefront6targetE1EEEvSH_,comdat
	.protected	_ZN7rocprim17ROCPRIM_400000_NS6detail17trampoline_kernelINS0_14default_configENS1_38merge_sort_block_merge_config_selectorIilEEZZNS1_27merge_sort_block_merge_implIS3_PiN6thrust23THRUST_200600_302600_NS10device_ptrIlEEjNS1_19radix_merge_compareILb0ELb1EiNS0_19identity_decomposerEEEEE10hipError_tT0_T1_T2_jT3_P12ihipStream_tbPNSt15iterator_traitsISG_E10value_typeEPNSM_ISH_E10value_typeEPSI_NS1_7vsmem_tEENKUlT_SG_SH_SI_E_clIS7_S7_PlSB_EESF_SV_SG_SH_SI_EUlSV_E_NS1_11comp_targetILNS1_3genE10ELNS1_11target_archE1201ELNS1_3gpuE5ELNS1_3repE0EEENS1_48merge_mergepath_partition_config_static_selectorELNS0_4arch9wavefront6targetE1EEEvSH_ ; -- Begin function _ZN7rocprim17ROCPRIM_400000_NS6detail17trampoline_kernelINS0_14default_configENS1_38merge_sort_block_merge_config_selectorIilEEZZNS1_27merge_sort_block_merge_implIS3_PiN6thrust23THRUST_200600_302600_NS10device_ptrIlEEjNS1_19radix_merge_compareILb0ELb1EiNS0_19identity_decomposerEEEEE10hipError_tT0_T1_T2_jT3_P12ihipStream_tbPNSt15iterator_traitsISG_E10value_typeEPNSM_ISH_E10value_typeEPSI_NS1_7vsmem_tEENKUlT_SG_SH_SI_E_clIS7_S7_PlSB_EESF_SV_SG_SH_SI_EUlSV_E_NS1_11comp_targetILNS1_3genE10ELNS1_11target_archE1201ELNS1_3gpuE5ELNS1_3repE0EEENS1_48merge_mergepath_partition_config_static_selectorELNS0_4arch9wavefront6targetE1EEEvSH_
	.globl	_ZN7rocprim17ROCPRIM_400000_NS6detail17trampoline_kernelINS0_14default_configENS1_38merge_sort_block_merge_config_selectorIilEEZZNS1_27merge_sort_block_merge_implIS3_PiN6thrust23THRUST_200600_302600_NS10device_ptrIlEEjNS1_19radix_merge_compareILb0ELb1EiNS0_19identity_decomposerEEEEE10hipError_tT0_T1_T2_jT3_P12ihipStream_tbPNSt15iterator_traitsISG_E10value_typeEPNSM_ISH_E10value_typeEPSI_NS1_7vsmem_tEENKUlT_SG_SH_SI_E_clIS7_S7_PlSB_EESF_SV_SG_SH_SI_EUlSV_E_NS1_11comp_targetILNS1_3genE10ELNS1_11target_archE1201ELNS1_3gpuE5ELNS1_3repE0EEENS1_48merge_mergepath_partition_config_static_selectorELNS0_4arch9wavefront6targetE1EEEvSH_
	.p2align	8
	.type	_ZN7rocprim17ROCPRIM_400000_NS6detail17trampoline_kernelINS0_14default_configENS1_38merge_sort_block_merge_config_selectorIilEEZZNS1_27merge_sort_block_merge_implIS3_PiN6thrust23THRUST_200600_302600_NS10device_ptrIlEEjNS1_19radix_merge_compareILb0ELb1EiNS0_19identity_decomposerEEEEE10hipError_tT0_T1_T2_jT3_P12ihipStream_tbPNSt15iterator_traitsISG_E10value_typeEPNSM_ISH_E10value_typeEPSI_NS1_7vsmem_tEENKUlT_SG_SH_SI_E_clIS7_S7_PlSB_EESF_SV_SG_SH_SI_EUlSV_E_NS1_11comp_targetILNS1_3genE10ELNS1_11target_archE1201ELNS1_3gpuE5ELNS1_3repE0EEENS1_48merge_mergepath_partition_config_static_selectorELNS0_4arch9wavefront6targetE1EEEvSH_,@function
_ZN7rocprim17ROCPRIM_400000_NS6detail17trampoline_kernelINS0_14default_configENS1_38merge_sort_block_merge_config_selectorIilEEZZNS1_27merge_sort_block_merge_implIS3_PiN6thrust23THRUST_200600_302600_NS10device_ptrIlEEjNS1_19radix_merge_compareILb0ELb1EiNS0_19identity_decomposerEEEEE10hipError_tT0_T1_T2_jT3_P12ihipStream_tbPNSt15iterator_traitsISG_E10value_typeEPNSM_ISH_E10value_typeEPSI_NS1_7vsmem_tEENKUlT_SG_SH_SI_E_clIS7_S7_PlSB_EESF_SV_SG_SH_SI_EUlSV_E_NS1_11comp_targetILNS1_3genE10ELNS1_11target_archE1201ELNS1_3gpuE5ELNS1_3repE0EEENS1_48merge_mergepath_partition_config_static_selectorELNS0_4arch9wavefront6targetE1EEEvSH_: ; @_ZN7rocprim17ROCPRIM_400000_NS6detail17trampoline_kernelINS0_14default_configENS1_38merge_sort_block_merge_config_selectorIilEEZZNS1_27merge_sort_block_merge_implIS3_PiN6thrust23THRUST_200600_302600_NS10device_ptrIlEEjNS1_19radix_merge_compareILb0ELb1EiNS0_19identity_decomposerEEEEE10hipError_tT0_T1_T2_jT3_P12ihipStream_tbPNSt15iterator_traitsISG_E10value_typeEPNSM_ISH_E10value_typeEPSI_NS1_7vsmem_tEENKUlT_SG_SH_SI_E_clIS7_S7_PlSB_EESF_SV_SG_SH_SI_EUlSV_E_NS1_11comp_targetILNS1_3genE10ELNS1_11target_archE1201ELNS1_3gpuE5ELNS1_3repE0EEENS1_48merge_mergepath_partition_config_static_selectorELNS0_4arch9wavefront6targetE1EEEvSH_
; %bb.0:
	.section	.rodata,"a",@progbits
	.p2align	6, 0x0
	.amdhsa_kernel _ZN7rocprim17ROCPRIM_400000_NS6detail17trampoline_kernelINS0_14default_configENS1_38merge_sort_block_merge_config_selectorIilEEZZNS1_27merge_sort_block_merge_implIS3_PiN6thrust23THRUST_200600_302600_NS10device_ptrIlEEjNS1_19radix_merge_compareILb0ELb1EiNS0_19identity_decomposerEEEEE10hipError_tT0_T1_T2_jT3_P12ihipStream_tbPNSt15iterator_traitsISG_E10value_typeEPNSM_ISH_E10value_typeEPSI_NS1_7vsmem_tEENKUlT_SG_SH_SI_E_clIS7_S7_PlSB_EESF_SV_SG_SH_SI_EUlSV_E_NS1_11comp_targetILNS1_3genE10ELNS1_11target_archE1201ELNS1_3gpuE5ELNS1_3repE0EEENS1_48merge_mergepath_partition_config_static_selectorELNS0_4arch9wavefront6targetE1EEEvSH_
		.amdhsa_group_segment_fixed_size 0
		.amdhsa_private_segment_fixed_size 0
		.amdhsa_kernarg_size 40
		.amdhsa_user_sgpr_count 6
		.amdhsa_user_sgpr_private_segment_buffer 1
		.amdhsa_user_sgpr_dispatch_ptr 0
		.amdhsa_user_sgpr_queue_ptr 0
		.amdhsa_user_sgpr_kernarg_segment_ptr 1
		.amdhsa_user_sgpr_dispatch_id 0
		.amdhsa_user_sgpr_flat_scratch_init 0
		.amdhsa_user_sgpr_kernarg_preload_length 0
		.amdhsa_user_sgpr_kernarg_preload_offset 0
		.amdhsa_user_sgpr_private_segment_size 0
		.amdhsa_uses_dynamic_stack 0
		.amdhsa_system_sgpr_private_segment_wavefront_offset 0
		.amdhsa_system_sgpr_workgroup_id_x 1
		.amdhsa_system_sgpr_workgroup_id_y 0
		.amdhsa_system_sgpr_workgroup_id_z 0
		.amdhsa_system_sgpr_workgroup_info 0
		.amdhsa_system_vgpr_workitem_id 0
		.amdhsa_next_free_vgpr 1
		.amdhsa_next_free_sgpr 0
		.amdhsa_accum_offset 4
		.amdhsa_reserve_vcc 0
		.amdhsa_reserve_flat_scratch 0
		.amdhsa_float_round_mode_32 0
		.amdhsa_float_round_mode_16_64 0
		.amdhsa_float_denorm_mode_32 3
		.amdhsa_float_denorm_mode_16_64 3
		.amdhsa_dx10_clamp 1
		.amdhsa_ieee_mode 1
		.amdhsa_fp16_overflow 0
		.amdhsa_tg_split 0
		.amdhsa_exception_fp_ieee_invalid_op 0
		.amdhsa_exception_fp_denorm_src 0
		.amdhsa_exception_fp_ieee_div_zero 0
		.amdhsa_exception_fp_ieee_overflow 0
		.amdhsa_exception_fp_ieee_underflow 0
		.amdhsa_exception_fp_ieee_inexact 0
		.amdhsa_exception_int_div_zero 0
	.end_amdhsa_kernel
	.section	.text._ZN7rocprim17ROCPRIM_400000_NS6detail17trampoline_kernelINS0_14default_configENS1_38merge_sort_block_merge_config_selectorIilEEZZNS1_27merge_sort_block_merge_implIS3_PiN6thrust23THRUST_200600_302600_NS10device_ptrIlEEjNS1_19radix_merge_compareILb0ELb1EiNS0_19identity_decomposerEEEEE10hipError_tT0_T1_T2_jT3_P12ihipStream_tbPNSt15iterator_traitsISG_E10value_typeEPNSM_ISH_E10value_typeEPSI_NS1_7vsmem_tEENKUlT_SG_SH_SI_E_clIS7_S7_PlSB_EESF_SV_SG_SH_SI_EUlSV_E_NS1_11comp_targetILNS1_3genE10ELNS1_11target_archE1201ELNS1_3gpuE5ELNS1_3repE0EEENS1_48merge_mergepath_partition_config_static_selectorELNS0_4arch9wavefront6targetE1EEEvSH_,"axG",@progbits,_ZN7rocprim17ROCPRIM_400000_NS6detail17trampoline_kernelINS0_14default_configENS1_38merge_sort_block_merge_config_selectorIilEEZZNS1_27merge_sort_block_merge_implIS3_PiN6thrust23THRUST_200600_302600_NS10device_ptrIlEEjNS1_19radix_merge_compareILb0ELb1EiNS0_19identity_decomposerEEEEE10hipError_tT0_T1_T2_jT3_P12ihipStream_tbPNSt15iterator_traitsISG_E10value_typeEPNSM_ISH_E10value_typeEPSI_NS1_7vsmem_tEENKUlT_SG_SH_SI_E_clIS7_S7_PlSB_EESF_SV_SG_SH_SI_EUlSV_E_NS1_11comp_targetILNS1_3genE10ELNS1_11target_archE1201ELNS1_3gpuE5ELNS1_3repE0EEENS1_48merge_mergepath_partition_config_static_selectorELNS0_4arch9wavefront6targetE1EEEvSH_,comdat
.Lfunc_end801:
	.size	_ZN7rocprim17ROCPRIM_400000_NS6detail17trampoline_kernelINS0_14default_configENS1_38merge_sort_block_merge_config_selectorIilEEZZNS1_27merge_sort_block_merge_implIS3_PiN6thrust23THRUST_200600_302600_NS10device_ptrIlEEjNS1_19radix_merge_compareILb0ELb1EiNS0_19identity_decomposerEEEEE10hipError_tT0_T1_T2_jT3_P12ihipStream_tbPNSt15iterator_traitsISG_E10value_typeEPNSM_ISH_E10value_typeEPSI_NS1_7vsmem_tEENKUlT_SG_SH_SI_E_clIS7_S7_PlSB_EESF_SV_SG_SH_SI_EUlSV_E_NS1_11comp_targetILNS1_3genE10ELNS1_11target_archE1201ELNS1_3gpuE5ELNS1_3repE0EEENS1_48merge_mergepath_partition_config_static_selectorELNS0_4arch9wavefront6targetE1EEEvSH_, .Lfunc_end801-_ZN7rocprim17ROCPRIM_400000_NS6detail17trampoline_kernelINS0_14default_configENS1_38merge_sort_block_merge_config_selectorIilEEZZNS1_27merge_sort_block_merge_implIS3_PiN6thrust23THRUST_200600_302600_NS10device_ptrIlEEjNS1_19radix_merge_compareILb0ELb1EiNS0_19identity_decomposerEEEEE10hipError_tT0_T1_T2_jT3_P12ihipStream_tbPNSt15iterator_traitsISG_E10value_typeEPNSM_ISH_E10value_typeEPSI_NS1_7vsmem_tEENKUlT_SG_SH_SI_E_clIS7_S7_PlSB_EESF_SV_SG_SH_SI_EUlSV_E_NS1_11comp_targetILNS1_3genE10ELNS1_11target_archE1201ELNS1_3gpuE5ELNS1_3repE0EEENS1_48merge_mergepath_partition_config_static_selectorELNS0_4arch9wavefront6targetE1EEEvSH_
                                        ; -- End function
	.section	.AMDGPU.csdata,"",@progbits
; Kernel info:
; codeLenInByte = 0
; NumSgprs: 4
; NumVgprs: 0
; NumAgprs: 0
; TotalNumVgprs: 0
; ScratchSize: 0
; MemoryBound: 0
; FloatMode: 240
; IeeeMode: 1
; LDSByteSize: 0 bytes/workgroup (compile time only)
; SGPRBlocks: 0
; VGPRBlocks: 0
; NumSGPRsForWavesPerEU: 4
; NumVGPRsForWavesPerEU: 1
; AccumOffset: 4
; Occupancy: 8
; WaveLimiterHint : 0
; COMPUTE_PGM_RSRC2:SCRATCH_EN: 0
; COMPUTE_PGM_RSRC2:USER_SGPR: 6
; COMPUTE_PGM_RSRC2:TRAP_HANDLER: 0
; COMPUTE_PGM_RSRC2:TGID_X_EN: 1
; COMPUTE_PGM_RSRC2:TGID_Y_EN: 0
; COMPUTE_PGM_RSRC2:TGID_Z_EN: 0
; COMPUTE_PGM_RSRC2:TIDIG_COMP_CNT: 0
; COMPUTE_PGM_RSRC3_GFX90A:ACCUM_OFFSET: 0
; COMPUTE_PGM_RSRC3_GFX90A:TG_SPLIT: 0
	.section	.text._ZN7rocprim17ROCPRIM_400000_NS6detail17trampoline_kernelINS0_14default_configENS1_38merge_sort_block_merge_config_selectorIilEEZZNS1_27merge_sort_block_merge_implIS3_PiN6thrust23THRUST_200600_302600_NS10device_ptrIlEEjNS1_19radix_merge_compareILb0ELb1EiNS0_19identity_decomposerEEEEE10hipError_tT0_T1_T2_jT3_P12ihipStream_tbPNSt15iterator_traitsISG_E10value_typeEPNSM_ISH_E10value_typeEPSI_NS1_7vsmem_tEENKUlT_SG_SH_SI_E_clIS7_S7_PlSB_EESF_SV_SG_SH_SI_EUlSV_E_NS1_11comp_targetILNS1_3genE5ELNS1_11target_archE942ELNS1_3gpuE9ELNS1_3repE0EEENS1_48merge_mergepath_partition_config_static_selectorELNS0_4arch9wavefront6targetE1EEEvSH_,"axG",@progbits,_ZN7rocprim17ROCPRIM_400000_NS6detail17trampoline_kernelINS0_14default_configENS1_38merge_sort_block_merge_config_selectorIilEEZZNS1_27merge_sort_block_merge_implIS3_PiN6thrust23THRUST_200600_302600_NS10device_ptrIlEEjNS1_19radix_merge_compareILb0ELb1EiNS0_19identity_decomposerEEEEE10hipError_tT0_T1_T2_jT3_P12ihipStream_tbPNSt15iterator_traitsISG_E10value_typeEPNSM_ISH_E10value_typeEPSI_NS1_7vsmem_tEENKUlT_SG_SH_SI_E_clIS7_S7_PlSB_EESF_SV_SG_SH_SI_EUlSV_E_NS1_11comp_targetILNS1_3genE5ELNS1_11target_archE942ELNS1_3gpuE9ELNS1_3repE0EEENS1_48merge_mergepath_partition_config_static_selectorELNS0_4arch9wavefront6targetE1EEEvSH_,comdat
	.protected	_ZN7rocprim17ROCPRIM_400000_NS6detail17trampoline_kernelINS0_14default_configENS1_38merge_sort_block_merge_config_selectorIilEEZZNS1_27merge_sort_block_merge_implIS3_PiN6thrust23THRUST_200600_302600_NS10device_ptrIlEEjNS1_19radix_merge_compareILb0ELb1EiNS0_19identity_decomposerEEEEE10hipError_tT0_T1_T2_jT3_P12ihipStream_tbPNSt15iterator_traitsISG_E10value_typeEPNSM_ISH_E10value_typeEPSI_NS1_7vsmem_tEENKUlT_SG_SH_SI_E_clIS7_S7_PlSB_EESF_SV_SG_SH_SI_EUlSV_E_NS1_11comp_targetILNS1_3genE5ELNS1_11target_archE942ELNS1_3gpuE9ELNS1_3repE0EEENS1_48merge_mergepath_partition_config_static_selectorELNS0_4arch9wavefront6targetE1EEEvSH_ ; -- Begin function _ZN7rocprim17ROCPRIM_400000_NS6detail17trampoline_kernelINS0_14default_configENS1_38merge_sort_block_merge_config_selectorIilEEZZNS1_27merge_sort_block_merge_implIS3_PiN6thrust23THRUST_200600_302600_NS10device_ptrIlEEjNS1_19radix_merge_compareILb0ELb1EiNS0_19identity_decomposerEEEEE10hipError_tT0_T1_T2_jT3_P12ihipStream_tbPNSt15iterator_traitsISG_E10value_typeEPNSM_ISH_E10value_typeEPSI_NS1_7vsmem_tEENKUlT_SG_SH_SI_E_clIS7_S7_PlSB_EESF_SV_SG_SH_SI_EUlSV_E_NS1_11comp_targetILNS1_3genE5ELNS1_11target_archE942ELNS1_3gpuE9ELNS1_3repE0EEENS1_48merge_mergepath_partition_config_static_selectorELNS0_4arch9wavefront6targetE1EEEvSH_
	.globl	_ZN7rocprim17ROCPRIM_400000_NS6detail17trampoline_kernelINS0_14default_configENS1_38merge_sort_block_merge_config_selectorIilEEZZNS1_27merge_sort_block_merge_implIS3_PiN6thrust23THRUST_200600_302600_NS10device_ptrIlEEjNS1_19radix_merge_compareILb0ELb1EiNS0_19identity_decomposerEEEEE10hipError_tT0_T1_T2_jT3_P12ihipStream_tbPNSt15iterator_traitsISG_E10value_typeEPNSM_ISH_E10value_typeEPSI_NS1_7vsmem_tEENKUlT_SG_SH_SI_E_clIS7_S7_PlSB_EESF_SV_SG_SH_SI_EUlSV_E_NS1_11comp_targetILNS1_3genE5ELNS1_11target_archE942ELNS1_3gpuE9ELNS1_3repE0EEENS1_48merge_mergepath_partition_config_static_selectorELNS0_4arch9wavefront6targetE1EEEvSH_
	.p2align	8
	.type	_ZN7rocprim17ROCPRIM_400000_NS6detail17trampoline_kernelINS0_14default_configENS1_38merge_sort_block_merge_config_selectorIilEEZZNS1_27merge_sort_block_merge_implIS3_PiN6thrust23THRUST_200600_302600_NS10device_ptrIlEEjNS1_19radix_merge_compareILb0ELb1EiNS0_19identity_decomposerEEEEE10hipError_tT0_T1_T2_jT3_P12ihipStream_tbPNSt15iterator_traitsISG_E10value_typeEPNSM_ISH_E10value_typeEPSI_NS1_7vsmem_tEENKUlT_SG_SH_SI_E_clIS7_S7_PlSB_EESF_SV_SG_SH_SI_EUlSV_E_NS1_11comp_targetILNS1_3genE5ELNS1_11target_archE942ELNS1_3gpuE9ELNS1_3repE0EEENS1_48merge_mergepath_partition_config_static_selectorELNS0_4arch9wavefront6targetE1EEEvSH_,@function
_ZN7rocprim17ROCPRIM_400000_NS6detail17trampoline_kernelINS0_14default_configENS1_38merge_sort_block_merge_config_selectorIilEEZZNS1_27merge_sort_block_merge_implIS3_PiN6thrust23THRUST_200600_302600_NS10device_ptrIlEEjNS1_19radix_merge_compareILb0ELb1EiNS0_19identity_decomposerEEEEE10hipError_tT0_T1_T2_jT3_P12ihipStream_tbPNSt15iterator_traitsISG_E10value_typeEPNSM_ISH_E10value_typeEPSI_NS1_7vsmem_tEENKUlT_SG_SH_SI_E_clIS7_S7_PlSB_EESF_SV_SG_SH_SI_EUlSV_E_NS1_11comp_targetILNS1_3genE5ELNS1_11target_archE942ELNS1_3gpuE9ELNS1_3repE0EEENS1_48merge_mergepath_partition_config_static_selectorELNS0_4arch9wavefront6targetE1EEEvSH_: ; @_ZN7rocprim17ROCPRIM_400000_NS6detail17trampoline_kernelINS0_14default_configENS1_38merge_sort_block_merge_config_selectorIilEEZZNS1_27merge_sort_block_merge_implIS3_PiN6thrust23THRUST_200600_302600_NS10device_ptrIlEEjNS1_19radix_merge_compareILb0ELb1EiNS0_19identity_decomposerEEEEE10hipError_tT0_T1_T2_jT3_P12ihipStream_tbPNSt15iterator_traitsISG_E10value_typeEPNSM_ISH_E10value_typeEPSI_NS1_7vsmem_tEENKUlT_SG_SH_SI_E_clIS7_S7_PlSB_EESF_SV_SG_SH_SI_EUlSV_E_NS1_11comp_targetILNS1_3genE5ELNS1_11target_archE942ELNS1_3gpuE9ELNS1_3repE0EEENS1_48merge_mergepath_partition_config_static_selectorELNS0_4arch9wavefront6targetE1EEEvSH_
; %bb.0:
	.section	.rodata,"a",@progbits
	.p2align	6, 0x0
	.amdhsa_kernel _ZN7rocprim17ROCPRIM_400000_NS6detail17trampoline_kernelINS0_14default_configENS1_38merge_sort_block_merge_config_selectorIilEEZZNS1_27merge_sort_block_merge_implIS3_PiN6thrust23THRUST_200600_302600_NS10device_ptrIlEEjNS1_19radix_merge_compareILb0ELb1EiNS0_19identity_decomposerEEEEE10hipError_tT0_T1_T2_jT3_P12ihipStream_tbPNSt15iterator_traitsISG_E10value_typeEPNSM_ISH_E10value_typeEPSI_NS1_7vsmem_tEENKUlT_SG_SH_SI_E_clIS7_S7_PlSB_EESF_SV_SG_SH_SI_EUlSV_E_NS1_11comp_targetILNS1_3genE5ELNS1_11target_archE942ELNS1_3gpuE9ELNS1_3repE0EEENS1_48merge_mergepath_partition_config_static_selectorELNS0_4arch9wavefront6targetE1EEEvSH_
		.amdhsa_group_segment_fixed_size 0
		.amdhsa_private_segment_fixed_size 0
		.amdhsa_kernarg_size 40
		.amdhsa_user_sgpr_count 6
		.amdhsa_user_sgpr_private_segment_buffer 1
		.amdhsa_user_sgpr_dispatch_ptr 0
		.amdhsa_user_sgpr_queue_ptr 0
		.amdhsa_user_sgpr_kernarg_segment_ptr 1
		.amdhsa_user_sgpr_dispatch_id 0
		.amdhsa_user_sgpr_flat_scratch_init 0
		.amdhsa_user_sgpr_kernarg_preload_length 0
		.amdhsa_user_sgpr_kernarg_preload_offset 0
		.amdhsa_user_sgpr_private_segment_size 0
		.amdhsa_uses_dynamic_stack 0
		.amdhsa_system_sgpr_private_segment_wavefront_offset 0
		.amdhsa_system_sgpr_workgroup_id_x 1
		.amdhsa_system_sgpr_workgroup_id_y 0
		.amdhsa_system_sgpr_workgroup_id_z 0
		.amdhsa_system_sgpr_workgroup_info 0
		.amdhsa_system_vgpr_workitem_id 0
		.amdhsa_next_free_vgpr 1
		.amdhsa_next_free_sgpr 0
		.amdhsa_accum_offset 4
		.amdhsa_reserve_vcc 0
		.amdhsa_reserve_flat_scratch 0
		.amdhsa_float_round_mode_32 0
		.amdhsa_float_round_mode_16_64 0
		.amdhsa_float_denorm_mode_32 3
		.amdhsa_float_denorm_mode_16_64 3
		.amdhsa_dx10_clamp 1
		.amdhsa_ieee_mode 1
		.amdhsa_fp16_overflow 0
		.amdhsa_tg_split 0
		.amdhsa_exception_fp_ieee_invalid_op 0
		.amdhsa_exception_fp_denorm_src 0
		.amdhsa_exception_fp_ieee_div_zero 0
		.amdhsa_exception_fp_ieee_overflow 0
		.amdhsa_exception_fp_ieee_underflow 0
		.amdhsa_exception_fp_ieee_inexact 0
		.amdhsa_exception_int_div_zero 0
	.end_amdhsa_kernel
	.section	.text._ZN7rocprim17ROCPRIM_400000_NS6detail17trampoline_kernelINS0_14default_configENS1_38merge_sort_block_merge_config_selectorIilEEZZNS1_27merge_sort_block_merge_implIS3_PiN6thrust23THRUST_200600_302600_NS10device_ptrIlEEjNS1_19radix_merge_compareILb0ELb1EiNS0_19identity_decomposerEEEEE10hipError_tT0_T1_T2_jT3_P12ihipStream_tbPNSt15iterator_traitsISG_E10value_typeEPNSM_ISH_E10value_typeEPSI_NS1_7vsmem_tEENKUlT_SG_SH_SI_E_clIS7_S7_PlSB_EESF_SV_SG_SH_SI_EUlSV_E_NS1_11comp_targetILNS1_3genE5ELNS1_11target_archE942ELNS1_3gpuE9ELNS1_3repE0EEENS1_48merge_mergepath_partition_config_static_selectorELNS0_4arch9wavefront6targetE1EEEvSH_,"axG",@progbits,_ZN7rocprim17ROCPRIM_400000_NS6detail17trampoline_kernelINS0_14default_configENS1_38merge_sort_block_merge_config_selectorIilEEZZNS1_27merge_sort_block_merge_implIS3_PiN6thrust23THRUST_200600_302600_NS10device_ptrIlEEjNS1_19radix_merge_compareILb0ELb1EiNS0_19identity_decomposerEEEEE10hipError_tT0_T1_T2_jT3_P12ihipStream_tbPNSt15iterator_traitsISG_E10value_typeEPNSM_ISH_E10value_typeEPSI_NS1_7vsmem_tEENKUlT_SG_SH_SI_E_clIS7_S7_PlSB_EESF_SV_SG_SH_SI_EUlSV_E_NS1_11comp_targetILNS1_3genE5ELNS1_11target_archE942ELNS1_3gpuE9ELNS1_3repE0EEENS1_48merge_mergepath_partition_config_static_selectorELNS0_4arch9wavefront6targetE1EEEvSH_,comdat
.Lfunc_end802:
	.size	_ZN7rocprim17ROCPRIM_400000_NS6detail17trampoline_kernelINS0_14default_configENS1_38merge_sort_block_merge_config_selectorIilEEZZNS1_27merge_sort_block_merge_implIS3_PiN6thrust23THRUST_200600_302600_NS10device_ptrIlEEjNS1_19radix_merge_compareILb0ELb1EiNS0_19identity_decomposerEEEEE10hipError_tT0_T1_T2_jT3_P12ihipStream_tbPNSt15iterator_traitsISG_E10value_typeEPNSM_ISH_E10value_typeEPSI_NS1_7vsmem_tEENKUlT_SG_SH_SI_E_clIS7_S7_PlSB_EESF_SV_SG_SH_SI_EUlSV_E_NS1_11comp_targetILNS1_3genE5ELNS1_11target_archE942ELNS1_3gpuE9ELNS1_3repE0EEENS1_48merge_mergepath_partition_config_static_selectorELNS0_4arch9wavefront6targetE1EEEvSH_, .Lfunc_end802-_ZN7rocprim17ROCPRIM_400000_NS6detail17trampoline_kernelINS0_14default_configENS1_38merge_sort_block_merge_config_selectorIilEEZZNS1_27merge_sort_block_merge_implIS3_PiN6thrust23THRUST_200600_302600_NS10device_ptrIlEEjNS1_19radix_merge_compareILb0ELb1EiNS0_19identity_decomposerEEEEE10hipError_tT0_T1_T2_jT3_P12ihipStream_tbPNSt15iterator_traitsISG_E10value_typeEPNSM_ISH_E10value_typeEPSI_NS1_7vsmem_tEENKUlT_SG_SH_SI_E_clIS7_S7_PlSB_EESF_SV_SG_SH_SI_EUlSV_E_NS1_11comp_targetILNS1_3genE5ELNS1_11target_archE942ELNS1_3gpuE9ELNS1_3repE0EEENS1_48merge_mergepath_partition_config_static_selectorELNS0_4arch9wavefront6targetE1EEEvSH_
                                        ; -- End function
	.section	.AMDGPU.csdata,"",@progbits
; Kernel info:
; codeLenInByte = 0
; NumSgprs: 4
; NumVgprs: 0
; NumAgprs: 0
; TotalNumVgprs: 0
; ScratchSize: 0
; MemoryBound: 0
; FloatMode: 240
; IeeeMode: 1
; LDSByteSize: 0 bytes/workgroup (compile time only)
; SGPRBlocks: 0
; VGPRBlocks: 0
; NumSGPRsForWavesPerEU: 4
; NumVGPRsForWavesPerEU: 1
; AccumOffset: 4
; Occupancy: 8
; WaveLimiterHint : 0
; COMPUTE_PGM_RSRC2:SCRATCH_EN: 0
; COMPUTE_PGM_RSRC2:USER_SGPR: 6
; COMPUTE_PGM_RSRC2:TRAP_HANDLER: 0
; COMPUTE_PGM_RSRC2:TGID_X_EN: 1
; COMPUTE_PGM_RSRC2:TGID_Y_EN: 0
; COMPUTE_PGM_RSRC2:TGID_Z_EN: 0
; COMPUTE_PGM_RSRC2:TIDIG_COMP_CNT: 0
; COMPUTE_PGM_RSRC3_GFX90A:ACCUM_OFFSET: 0
; COMPUTE_PGM_RSRC3_GFX90A:TG_SPLIT: 0
	.section	.text._ZN7rocprim17ROCPRIM_400000_NS6detail17trampoline_kernelINS0_14default_configENS1_38merge_sort_block_merge_config_selectorIilEEZZNS1_27merge_sort_block_merge_implIS3_PiN6thrust23THRUST_200600_302600_NS10device_ptrIlEEjNS1_19radix_merge_compareILb0ELb1EiNS0_19identity_decomposerEEEEE10hipError_tT0_T1_T2_jT3_P12ihipStream_tbPNSt15iterator_traitsISG_E10value_typeEPNSM_ISH_E10value_typeEPSI_NS1_7vsmem_tEENKUlT_SG_SH_SI_E_clIS7_S7_PlSB_EESF_SV_SG_SH_SI_EUlSV_E_NS1_11comp_targetILNS1_3genE4ELNS1_11target_archE910ELNS1_3gpuE8ELNS1_3repE0EEENS1_48merge_mergepath_partition_config_static_selectorELNS0_4arch9wavefront6targetE1EEEvSH_,"axG",@progbits,_ZN7rocprim17ROCPRIM_400000_NS6detail17trampoline_kernelINS0_14default_configENS1_38merge_sort_block_merge_config_selectorIilEEZZNS1_27merge_sort_block_merge_implIS3_PiN6thrust23THRUST_200600_302600_NS10device_ptrIlEEjNS1_19radix_merge_compareILb0ELb1EiNS0_19identity_decomposerEEEEE10hipError_tT0_T1_T2_jT3_P12ihipStream_tbPNSt15iterator_traitsISG_E10value_typeEPNSM_ISH_E10value_typeEPSI_NS1_7vsmem_tEENKUlT_SG_SH_SI_E_clIS7_S7_PlSB_EESF_SV_SG_SH_SI_EUlSV_E_NS1_11comp_targetILNS1_3genE4ELNS1_11target_archE910ELNS1_3gpuE8ELNS1_3repE0EEENS1_48merge_mergepath_partition_config_static_selectorELNS0_4arch9wavefront6targetE1EEEvSH_,comdat
	.protected	_ZN7rocprim17ROCPRIM_400000_NS6detail17trampoline_kernelINS0_14default_configENS1_38merge_sort_block_merge_config_selectorIilEEZZNS1_27merge_sort_block_merge_implIS3_PiN6thrust23THRUST_200600_302600_NS10device_ptrIlEEjNS1_19radix_merge_compareILb0ELb1EiNS0_19identity_decomposerEEEEE10hipError_tT0_T1_T2_jT3_P12ihipStream_tbPNSt15iterator_traitsISG_E10value_typeEPNSM_ISH_E10value_typeEPSI_NS1_7vsmem_tEENKUlT_SG_SH_SI_E_clIS7_S7_PlSB_EESF_SV_SG_SH_SI_EUlSV_E_NS1_11comp_targetILNS1_3genE4ELNS1_11target_archE910ELNS1_3gpuE8ELNS1_3repE0EEENS1_48merge_mergepath_partition_config_static_selectorELNS0_4arch9wavefront6targetE1EEEvSH_ ; -- Begin function _ZN7rocprim17ROCPRIM_400000_NS6detail17trampoline_kernelINS0_14default_configENS1_38merge_sort_block_merge_config_selectorIilEEZZNS1_27merge_sort_block_merge_implIS3_PiN6thrust23THRUST_200600_302600_NS10device_ptrIlEEjNS1_19radix_merge_compareILb0ELb1EiNS0_19identity_decomposerEEEEE10hipError_tT0_T1_T2_jT3_P12ihipStream_tbPNSt15iterator_traitsISG_E10value_typeEPNSM_ISH_E10value_typeEPSI_NS1_7vsmem_tEENKUlT_SG_SH_SI_E_clIS7_S7_PlSB_EESF_SV_SG_SH_SI_EUlSV_E_NS1_11comp_targetILNS1_3genE4ELNS1_11target_archE910ELNS1_3gpuE8ELNS1_3repE0EEENS1_48merge_mergepath_partition_config_static_selectorELNS0_4arch9wavefront6targetE1EEEvSH_
	.globl	_ZN7rocprim17ROCPRIM_400000_NS6detail17trampoline_kernelINS0_14default_configENS1_38merge_sort_block_merge_config_selectorIilEEZZNS1_27merge_sort_block_merge_implIS3_PiN6thrust23THRUST_200600_302600_NS10device_ptrIlEEjNS1_19radix_merge_compareILb0ELb1EiNS0_19identity_decomposerEEEEE10hipError_tT0_T1_T2_jT3_P12ihipStream_tbPNSt15iterator_traitsISG_E10value_typeEPNSM_ISH_E10value_typeEPSI_NS1_7vsmem_tEENKUlT_SG_SH_SI_E_clIS7_S7_PlSB_EESF_SV_SG_SH_SI_EUlSV_E_NS1_11comp_targetILNS1_3genE4ELNS1_11target_archE910ELNS1_3gpuE8ELNS1_3repE0EEENS1_48merge_mergepath_partition_config_static_selectorELNS0_4arch9wavefront6targetE1EEEvSH_
	.p2align	8
	.type	_ZN7rocprim17ROCPRIM_400000_NS6detail17trampoline_kernelINS0_14default_configENS1_38merge_sort_block_merge_config_selectorIilEEZZNS1_27merge_sort_block_merge_implIS3_PiN6thrust23THRUST_200600_302600_NS10device_ptrIlEEjNS1_19radix_merge_compareILb0ELb1EiNS0_19identity_decomposerEEEEE10hipError_tT0_T1_T2_jT3_P12ihipStream_tbPNSt15iterator_traitsISG_E10value_typeEPNSM_ISH_E10value_typeEPSI_NS1_7vsmem_tEENKUlT_SG_SH_SI_E_clIS7_S7_PlSB_EESF_SV_SG_SH_SI_EUlSV_E_NS1_11comp_targetILNS1_3genE4ELNS1_11target_archE910ELNS1_3gpuE8ELNS1_3repE0EEENS1_48merge_mergepath_partition_config_static_selectorELNS0_4arch9wavefront6targetE1EEEvSH_,@function
_ZN7rocprim17ROCPRIM_400000_NS6detail17trampoline_kernelINS0_14default_configENS1_38merge_sort_block_merge_config_selectorIilEEZZNS1_27merge_sort_block_merge_implIS3_PiN6thrust23THRUST_200600_302600_NS10device_ptrIlEEjNS1_19radix_merge_compareILb0ELb1EiNS0_19identity_decomposerEEEEE10hipError_tT0_T1_T2_jT3_P12ihipStream_tbPNSt15iterator_traitsISG_E10value_typeEPNSM_ISH_E10value_typeEPSI_NS1_7vsmem_tEENKUlT_SG_SH_SI_E_clIS7_S7_PlSB_EESF_SV_SG_SH_SI_EUlSV_E_NS1_11comp_targetILNS1_3genE4ELNS1_11target_archE910ELNS1_3gpuE8ELNS1_3repE0EEENS1_48merge_mergepath_partition_config_static_selectorELNS0_4arch9wavefront6targetE1EEEvSH_: ; @_ZN7rocprim17ROCPRIM_400000_NS6detail17trampoline_kernelINS0_14default_configENS1_38merge_sort_block_merge_config_selectorIilEEZZNS1_27merge_sort_block_merge_implIS3_PiN6thrust23THRUST_200600_302600_NS10device_ptrIlEEjNS1_19radix_merge_compareILb0ELb1EiNS0_19identity_decomposerEEEEE10hipError_tT0_T1_T2_jT3_P12ihipStream_tbPNSt15iterator_traitsISG_E10value_typeEPNSM_ISH_E10value_typeEPSI_NS1_7vsmem_tEENKUlT_SG_SH_SI_E_clIS7_S7_PlSB_EESF_SV_SG_SH_SI_EUlSV_E_NS1_11comp_targetILNS1_3genE4ELNS1_11target_archE910ELNS1_3gpuE8ELNS1_3repE0EEENS1_48merge_mergepath_partition_config_static_selectorELNS0_4arch9wavefront6targetE1EEEvSH_
; %bb.0:
	s_load_dword s0, s[4:5], 0x0
	v_lshl_or_b32 v0, s6, 7, v0
	s_waitcnt lgkmcnt(0)
	v_cmp_gt_u32_e32 vcc, s0, v0
	s_and_saveexec_b64 s[0:1], vcc
	s_cbranch_execz .LBB803_6
; %bb.1:
	s_load_dwordx2 s[2:3], s[4:5], 0x4
	s_load_dwordx2 s[0:1], s[4:5], 0x20
	s_waitcnt lgkmcnt(0)
	s_lshr_b32 s6, s2, 9
	s_and_b32 s6, s6, 0x7ffffe
	s_add_i32 s7, s6, -1
	s_sub_i32 s6, 0, s6
	v_and_b32_e32 v1, s6, v0
	v_lshlrev_b32_e32 v1, 10, v1
	v_min_u32_e32 v2, s3, v1
	v_add_u32_e32 v1, s2, v1
	v_min_u32_e32 v4, s3, v1
	v_add_u32_e32 v1, s2, v4
	v_and_b32_e32 v3, s7, v0
	v_min_u32_e32 v1, s3, v1
	v_sub_u32_e32 v5, v1, v2
	v_lshlrev_b32_e32 v3, 10, v3
	v_min_u32_e32 v6, v5, v3
	v_sub_u32_e32 v3, v4, v2
	v_sub_u32_e32 v1, v1, v4
	v_sub_u32_e64 v1, v6, v1 clamp
	v_min_u32_e32 v7, v6, v3
	v_cmp_lt_u32_e32 vcc, v1, v7
	s_and_saveexec_b64 s[2:3], vcc
	s_cbranch_execz .LBB803_5
; %bb.2:
	s_load_dwordx2 s[8:9], s[4:5], 0x10
	s_load_dword s6, s[4:5], 0x18
	v_mov_b32_e32 v5, 0
	v_mov_b32_e32 v3, v5
	v_lshlrev_b64 v[8:9], 2, v[2:3]
	s_waitcnt lgkmcnt(0)
	v_mov_b32_e32 v12, s9
	v_add_co_u32_e32 v3, vcc, s8, v8
	v_addc_co_u32_e32 v8, vcc, v12, v9, vcc
	v_lshlrev_b64 v[10:11], 2, v[4:5]
	v_add_co_u32_e32 v9, vcc, s8, v10
	v_addc_co_u32_e32 v10, vcc, v12, v11, vcc
	s_mov_b64 s[4:5], 0
.LBB803_3:                              ; =>This Inner Loop Header: Depth=1
	v_add_u32_e32 v4, v7, v1
	v_lshrrev_b32_e32 v4, 1, v4
	v_lshlrev_b64 v[14:15], 2, v[4:5]
	v_mov_b32_e32 v13, v5
	v_xad_u32 v12, v4, -1, v6
	v_add_co_u32_e32 v14, vcc, v3, v14
	v_addc_co_u32_e32 v15, vcc, v8, v15, vcc
	v_lshlrev_b64 v[12:13], 2, v[12:13]
	v_add_co_u32_e32 v12, vcc, v9, v12
	v_addc_co_u32_e32 v13, vcc, v10, v13, vcc
	global_load_dword v11, v[14:15], off
	global_load_dword v16, v[12:13], off
	v_add_u32_e32 v12, 1, v4
	s_waitcnt vmcnt(1)
	v_and_b32_e32 v11, s6, v11
	s_waitcnt vmcnt(0)
	v_and_b32_e32 v13, s6, v16
	v_cmp_gt_i32_e32 vcc, v11, v13
	v_cndmask_b32_e32 v7, v7, v4, vcc
	v_cndmask_b32_e32 v1, v12, v1, vcc
	v_cmp_ge_u32_e32 vcc, v1, v7
	s_or_b64 s[4:5], vcc, s[4:5]
	s_andn2_b64 exec, exec, s[4:5]
	s_cbranch_execnz .LBB803_3
; %bb.4:
	s_or_b64 exec, exec, s[4:5]
.LBB803_5:
	s_or_b64 exec, exec, s[2:3]
	v_add_u32_e32 v2, v1, v2
	v_mov_b32_e32 v1, 0
	v_lshlrev_b64 v[0:1], 2, v[0:1]
	v_mov_b32_e32 v3, s1
	v_add_co_u32_e32 v0, vcc, s0, v0
	v_addc_co_u32_e32 v1, vcc, v3, v1, vcc
	global_store_dword v[0:1], v2, off
.LBB803_6:
	s_endpgm
	.section	.rodata,"a",@progbits
	.p2align	6, 0x0
	.amdhsa_kernel _ZN7rocprim17ROCPRIM_400000_NS6detail17trampoline_kernelINS0_14default_configENS1_38merge_sort_block_merge_config_selectorIilEEZZNS1_27merge_sort_block_merge_implIS3_PiN6thrust23THRUST_200600_302600_NS10device_ptrIlEEjNS1_19radix_merge_compareILb0ELb1EiNS0_19identity_decomposerEEEEE10hipError_tT0_T1_T2_jT3_P12ihipStream_tbPNSt15iterator_traitsISG_E10value_typeEPNSM_ISH_E10value_typeEPSI_NS1_7vsmem_tEENKUlT_SG_SH_SI_E_clIS7_S7_PlSB_EESF_SV_SG_SH_SI_EUlSV_E_NS1_11comp_targetILNS1_3genE4ELNS1_11target_archE910ELNS1_3gpuE8ELNS1_3repE0EEENS1_48merge_mergepath_partition_config_static_selectorELNS0_4arch9wavefront6targetE1EEEvSH_
		.amdhsa_group_segment_fixed_size 0
		.amdhsa_private_segment_fixed_size 0
		.amdhsa_kernarg_size 40
		.amdhsa_user_sgpr_count 6
		.amdhsa_user_sgpr_private_segment_buffer 1
		.amdhsa_user_sgpr_dispatch_ptr 0
		.amdhsa_user_sgpr_queue_ptr 0
		.amdhsa_user_sgpr_kernarg_segment_ptr 1
		.amdhsa_user_sgpr_dispatch_id 0
		.amdhsa_user_sgpr_flat_scratch_init 0
		.amdhsa_user_sgpr_kernarg_preload_length 0
		.amdhsa_user_sgpr_kernarg_preload_offset 0
		.amdhsa_user_sgpr_private_segment_size 0
		.amdhsa_uses_dynamic_stack 0
		.amdhsa_system_sgpr_private_segment_wavefront_offset 0
		.amdhsa_system_sgpr_workgroup_id_x 1
		.amdhsa_system_sgpr_workgroup_id_y 0
		.amdhsa_system_sgpr_workgroup_id_z 0
		.amdhsa_system_sgpr_workgroup_info 0
		.amdhsa_system_vgpr_workitem_id 0
		.amdhsa_next_free_vgpr 17
		.amdhsa_next_free_sgpr 10
		.amdhsa_accum_offset 20
		.amdhsa_reserve_vcc 1
		.amdhsa_reserve_flat_scratch 0
		.amdhsa_float_round_mode_32 0
		.amdhsa_float_round_mode_16_64 0
		.amdhsa_float_denorm_mode_32 3
		.amdhsa_float_denorm_mode_16_64 3
		.amdhsa_dx10_clamp 1
		.amdhsa_ieee_mode 1
		.amdhsa_fp16_overflow 0
		.amdhsa_tg_split 0
		.amdhsa_exception_fp_ieee_invalid_op 0
		.amdhsa_exception_fp_denorm_src 0
		.amdhsa_exception_fp_ieee_div_zero 0
		.amdhsa_exception_fp_ieee_overflow 0
		.amdhsa_exception_fp_ieee_underflow 0
		.amdhsa_exception_fp_ieee_inexact 0
		.amdhsa_exception_int_div_zero 0
	.end_amdhsa_kernel
	.section	.text._ZN7rocprim17ROCPRIM_400000_NS6detail17trampoline_kernelINS0_14default_configENS1_38merge_sort_block_merge_config_selectorIilEEZZNS1_27merge_sort_block_merge_implIS3_PiN6thrust23THRUST_200600_302600_NS10device_ptrIlEEjNS1_19radix_merge_compareILb0ELb1EiNS0_19identity_decomposerEEEEE10hipError_tT0_T1_T2_jT3_P12ihipStream_tbPNSt15iterator_traitsISG_E10value_typeEPNSM_ISH_E10value_typeEPSI_NS1_7vsmem_tEENKUlT_SG_SH_SI_E_clIS7_S7_PlSB_EESF_SV_SG_SH_SI_EUlSV_E_NS1_11comp_targetILNS1_3genE4ELNS1_11target_archE910ELNS1_3gpuE8ELNS1_3repE0EEENS1_48merge_mergepath_partition_config_static_selectorELNS0_4arch9wavefront6targetE1EEEvSH_,"axG",@progbits,_ZN7rocprim17ROCPRIM_400000_NS6detail17trampoline_kernelINS0_14default_configENS1_38merge_sort_block_merge_config_selectorIilEEZZNS1_27merge_sort_block_merge_implIS3_PiN6thrust23THRUST_200600_302600_NS10device_ptrIlEEjNS1_19radix_merge_compareILb0ELb1EiNS0_19identity_decomposerEEEEE10hipError_tT0_T1_T2_jT3_P12ihipStream_tbPNSt15iterator_traitsISG_E10value_typeEPNSM_ISH_E10value_typeEPSI_NS1_7vsmem_tEENKUlT_SG_SH_SI_E_clIS7_S7_PlSB_EESF_SV_SG_SH_SI_EUlSV_E_NS1_11comp_targetILNS1_3genE4ELNS1_11target_archE910ELNS1_3gpuE8ELNS1_3repE0EEENS1_48merge_mergepath_partition_config_static_selectorELNS0_4arch9wavefront6targetE1EEEvSH_,comdat
.Lfunc_end803:
	.size	_ZN7rocprim17ROCPRIM_400000_NS6detail17trampoline_kernelINS0_14default_configENS1_38merge_sort_block_merge_config_selectorIilEEZZNS1_27merge_sort_block_merge_implIS3_PiN6thrust23THRUST_200600_302600_NS10device_ptrIlEEjNS1_19radix_merge_compareILb0ELb1EiNS0_19identity_decomposerEEEEE10hipError_tT0_T1_T2_jT3_P12ihipStream_tbPNSt15iterator_traitsISG_E10value_typeEPNSM_ISH_E10value_typeEPSI_NS1_7vsmem_tEENKUlT_SG_SH_SI_E_clIS7_S7_PlSB_EESF_SV_SG_SH_SI_EUlSV_E_NS1_11comp_targetILNS1_3genE4ELNS1_11target_archE910ELNS1_3gpuE8ELNS1_3repE0EEENS1_48merge_mergepath_partition_config_static_selectorELNS0_4arch9wavefront6targetE1EEEvSH_, .Lfunc_end803-_ZN7rocprim17ROCPRIM_400000_NS6detail17trampoline_kernelINS0_14default_configENS1_38merge_sort_block_merge_config_selectorIilEEZZNS1_27merge_sort_block_merge_implIS3_PiN6thrust23THRUST_200600_302600_NS10device_ptrIlEEjNS1_19radix_merge_compareILb0ELb1EiNS0_19identity_decomposerEEEEE10hipError_tT0_T1_T2_jT3_P12ihipStream_tbPNSt15iterator_traitsISG_E10value_typeEPNSM_ISH_E10value_typeEPSI_NS1_7vsmem_tEENKUlT_SG_SH_SI_E_clIS7_S7_PlSB_EESF_SV_SG_SH_SI_EUlSV_E_NS1_11comp_targetILNS1_3genE4ELNS1_11target_archE910ELNS1_3gpuE8ELNS1_3repE0EEENS1_48merge_mergepath_partition_config_static_selectorELNS0_4arch9wavefront6targetE1EEEvSH_
                                        ; -- End function
	.section	.AMDGPU.csdata,"",@progbits
; Kernel info:
; codeLenInByte = 380
; NumSgprs: 14
; NumVgprs: 17
; NumAgprs: 0
; TotalNumVgprs: 17
; ScratchSize: 0
; MemoryBound: 0
; FloatMode: 240
; IeeeMode: 1
; LDSByteSize: 0 bytes/workgroup (compile time only)
; SGPRBlocks: 1
; VGPRBlocks: 2
; NumSGPRsForWavesPerEU: 14
; NumVGPRsForWavesPerEU: 17
; AccumOffset: 20
; Occupancy: 8
; WaveLimiterHint : 0
; COMPUTE_PGM_RSRC2:SCRATCH_EN: 0
; COMPUTE_PGM_RSRC2:USER_SGPR: 6
; COMPUTE_PGM_RSRC2:TRAP_HANDLER: 0
; COMPUTE_PGM_RSRC2:TGID_X_EN: 1
; COMPUTE_PGM_RSRC2:TGID_Y_EN: 0
; COMPUTE_PGM_RSRC2:TGID_Z_EN: 0
; COMPUTE_PGM_RSRC2:TIDIG_COMP_CNT: 0
; COMPUTE_PGM_RSRC3_GFX90A:ACCUM_OFFSET: 4
; COMPUTE_PGM_RSRC3_GFX90A:TG_SPLIT: 0
	.section	.text._ZN7rocprim17ROCPRIM_400000_NS6detail17trampoline_kernelINS0_14default_configENS1_38merge_sort_block_merge_config_selectorIilEEZZNS1_27merge_sort_block_merge_implIS3_PiN6thrust23THRUST_200600_302600_NS10device_ptrIlEEjNS1_19radix_merge_compareILb0ELb1EiNS0_19identity_decomposerEEEEE10hipError_tT0_T1_T2_jT3_P12ihipStream_tbPNSt15iterator_traitsISG_E10value_typeEPNSM_ISH_E10value_typeEPSI_NS1_7vsmem_tEENKUlT_SG_SH_SI_E_clIS7_S7_PlSB_EESF_SV_SG_SH_SI_EUlSV_E_NS1_11comp_targetILNS1_3genE3ELNS1_11target_archE908ELNS1_3gpuE7ELNS1_3repE0EEENS1_48merge_mergepath_partition_config_static_selectorELNS0_4arch9wavefront6targetE1EEEvSH_,"axG",@progbits,_ZN7rocprim17ROCPRIM_400000_NS6detail17trampoline_kernelINS0_14default_configENS1_38merge_sort_block_merge_config_selectorIilEEZZNS1_27merge_sort_block_merge_implIS3_PiN6thrust23THRUST_200600_302600_NS10device_ptrIlEEjNS1_19radix_merge_compareILb0ELb1EiNS0_19identity_decomposerEEEEE10hipError_tT0_T1_T2_jT3_P12ihipStream_tbPNSt15iterator_traitsISG_E10value_typeEPNSM_ISH_E10value_typeEPSI_NS1_7vsmem_tEENKUlT_SG_SH_SI_E_clIS7_S7_PlSB_EESF_SV_SG_SH_SI_EUlSV_E_NS1_11comp_targetILNS1_3genE3ELNS1_11target_archE908ELNS1_3gpuE7ELNS1_3repE0EEENS1_48merge_mergepath_partition_config_static_selectorELNS0_4arch9wavefront6targetE1EEEvSH_,comdat
	.protected	_ZN7rocprim17ROCPRIM_400000_NS6detail17trampoline_kernelINS0_14default_configENS1_38merge_sort_block_merge_config_selectorIilEEZZNS1_27merge_sort_block_merge_implIS3_PiN6thrust23THRUST_200600_302600_NS10device_ptrIlEEjNS1_19radix_merge_compareILb0ELb1EiNS0_19identity_decomposerEEEEE10hipError_tT0_T1_T2_jT3_P12ihipStream_tbPNSt15iterator_traitsISG_E10value_typeEPNSM_ISH_E10value_typeEPSI_NS1_7vsmem_tEENKUlT_SG_SH_SI_E_clIS7_S7_PlSB_EESF_SV_SG_SH_SI_EUlSV_E_NS1_11comp_targetILNS1_3genE3ELNS1_11target_archE908ELNS1_3gpuE7ELNS1_3repE0EEENS1_48merge_mergepath_partition_config_static_selectorELNS0_4arch9wavefront6targetE1EEEvSH_ ; -- Begin function _ZN7rocprim17ROCPRIM_400000_NS6detail17trampoline_kernelINS0_14default_configENS1_38merge_sort_block_merge_config_selectorIilEEZZNS1_27merge_sort_block_merge_implIS3_PiN6thrust23THRUST_200600_302600_NS10device_ptrIlEEjNS1_19radix_merge_compareILb0ELb1EiNS0_19identity_decomposerEEEEE10hipError_tT0_T1_T2_jT3_P12ihipStream_tbPNSt15iterator_traitsISG_E10value_typeEPNSM_ISH_E10value_typeEPSI_NS1_7vsmem_tEENKUlT_SG_SH_SI_E_clIS7_S7_PlSB_EESF_SV_SG_SH_SI_EUlSV_E_NS1_11comp_targetILNS1_3genE3ELNS1_11target_archE908ELNS1_3gpuE7ELNS1_3repE0EEENS1_48merge_mergepath_partition_config_static_selectorELNS0_4arch9wavefront6targetE1EEEvSH_
	.globl	_ZN7rocprim17ROCPRIM_400000_NS6detail17trampoline_kernelINS0_14default_configENS1_38merge_sort_block_merge_config_selectorIilEEZZNS1_27merge_sort_block_merge_implIS3_PiN6thrust23THRUST_200600_302600_NS10device_ptrIlEEjNS1_19radix_merge_compareILb0ELb1EiNS0_19identity_decomposerEEEEE10hipError_tT0_T1_T2_jT3_P12ihipStream_tbPNSt15iterator_traitsISG_E10value_typeEPNSM_ISH_E10value_typeEPSI_NS1_7vsmem_tEENKUlT_SG_SH_SI_E_clIS7_S7_PlSB_EESF_SV_SG_SH_SI_EUlSV_E_NS1_11comp_targetILNS1_3genE3ELNS1_11target_archE908ELNS1_3gpuE7ELNS1_3repE0EEENS1_48merge_mergepath_partition_config_static_selectorELNS0_4arch9wavefront6targetE1EEEvSH_
	.p2align	8
	.type	_ZN7rocprim17ROCPRIM_400000_NS6detail17trampoline_kernelINS0_14default_configENS1_38merge_sort_block_merge_config_selectorIilEEZZNS1_27merge_sort_block_merge_implIS3_PiN6thrust23THRUST_200600_302600_NS10device_ptrIlEEjNS1_19radix_merge_compareILb0ELb1EiNS0_19identity_decomposerEEEEE10hipError_tT0_T1_T2_jT3_P12ihipStream_tbPNSt15iterator_traitsISG_E10value_typeEPNSM_ISH_E10value_typeEPSI_NS1_7vsmem_tEENKUlT_SG_SH_SI_E_clIS7_S7_PlSB_EESF_SV_SG_SH_SI_EUlSV_E_NS1_11comp_targetILNS1_3genE3ELNS1_11target_archE908ELNS1_3gpuE7ELNS1_3repE0EEENS1_48merge_mergepath_partition_config_static_selectorELNS0_4arch9wavefront6targetE1EEEvSH_,@function
_ZN7rocprim17ROCPRIM_400000_NS6detail17trampoline_kernelINS0_14default_configENS1_38merge_sort_block_merge_config_selectorIilEEZZNS1_27merge_sort_block_merge_implIS3_PiN6thrust23THRUST_200600_302600_NS10device_ptrIlEEjNS1_19radix_merge_compareILb0ELb1EiNS0_19identity_decomposerEEEEE10hipError_tT0_T1_T2_jT3_P12ihipStream_tbPNSt15iterator_traitsISG_E10value_typeEPNSM_ISH_E10value_typeEPSI_NS1_7vsmem_tEENKUlT_SG_SH_SI_E_clIS7_S7_PlSB_EESF_SV_SG_SH_SI_EUlSV_E_NS1_11comp_targetILNS1_3genE3ELNS1_11target_archE908ELNS1_3gpuE7ELNS1_3repE0EEENS1_48merge_mergepath_partition_config_static_selectorELNS0_4arch9wavefront6targetE1EEEvSH_: ; @_ZN7rocprim17ROCPRIM_400000_NS6detail17trampoline_kernelINS0_14default_configENS1_38merge_sort_block_merge_config_selectorIilEEZZNS1_27merge_sort_block_merge_implIS3_PiN6thrust23THRUST_200600_302600_NS10device_ptrIlEEjNS1_19radix_merge_compareILb0ELb1EiNS0_19identity_decomposerEEEEE10hipError_tT0_T1_T2_jT3_P12ihipStream_tbPNSt15iterator_traitsISG_E10value_typeEPNSM_ISH_E10value_typeEPSI_NS1_7vsmem_tEENKUlT_SG_SH_SI_E_clIS7_S7_PlSB_EESF_SV_SG_SH_SI_EUlSV_E_NS1_11comp_targetILNS1_3genE3ELNS1_11target_archE908ELNS1_3gpuE7ELNS1_3repE0EEENS1_48merge_mergepath_partition_config_static_selectorELNS0_4arch9wavefront6targetE1EEEvSH_
; %bb.0:
	.section	.rodata,"a",@progbits
	.p2align	6, 0x0
	.amdhsa_kernel _ZN7rocprim17ROCPRIM_400000_NS6detail17trampoline_kernelINS0_14default_configENS1_38merge_sort_block_merge_config_selectorIilEEZZNS1_27merge_sort_block_merge_implIS3_PiN6thrust23THRUST_200600_302600_NS10device_ptrIlEEjNS1_19radix_merge_compareILb0ELb1EiNS0_19identity_decomposerEEEEE10hipError_tT0_T1_T2_jT3_P12ihipStream_tbPNSt15iterator_traitsISG_E10value_typeEPNSM_ISH_E10value_typeEPSI_NS1_7vsmem_tEENKUlT_SG_SH_SI_E_clIS7_S7_PlSB_EESF_SV_SG_SH_SI_EUlSV_E_NS1_11comp_targetILNS1_3genE3ELNS1_11target_archE908ELNS1_3gpuE7ELNS1_3repE0EEENS1_48merge_mergepath_partition_config_static_selectorELNS0_4arch9wavefront6targetE1EEEvSH_
		.amdhsa_group_segment_fixed_size 0
		.amdhsa_private_segment_fixed_size 0
		.amdhsa_kernarg_size 40
		.amdhsa_user_sgpr_count 6
		.amdhsa_user_sgpr_private_segment_buffer 1
		.amdhsa_user_sgpr_dispatch_ptr 0
		.amdhsa_user_sgpr_queue_ptr 0
		.amdhsa_user_sgpr_kernarg_segment_ptr 1
		.amdhsa_user_sgpr_dispatch_id 0
		.amdhsa_user_sgpr_flat_scratch_init 0
		.amdhsa_user_sgpr_kernarg_preload_length 0
		.amdhsa_user_sgpr_kernarg_preload_offset 0
		.amdhsa_user_sgpr_private_segment_size 0
		.amdhsa_uses_dynamic_stack 0
		.amdhsa_system_sgpr_private_segment_wavefront_offset 0
		.amdhsa_system_sgpr_workgroup_id_x 1
		.amdhsa_system_sgpr_workgroup_id_y 0
		.amdhsa_system_sgpr_workgroup_id_z 0
		.amdhsa_system_sgpr_workgroup_info 0
		.amdhsa_system_vgpr_workitem_id 0
		.amdhsa_next_free_vgpr 1
		.amdhsa_next_free_sgpr 0
		.amdhsa_accum_offset 4
		.amdhsa_reserve_vcc 0
		.amdhsa_reserve_flat_scratch 0
		.amdhsa_float_round_mode_32 0
		.amdhsa_float_round_mode_16_64 0
		.amdhsa_float_denorm_mode_32 3
		.amdhsa_float_denorm_mode_16_64 3
		.amdhsa_dx10_clamp 1
		.amdhsa_ieee_mode 1
		.amdhsa_fp16_overflow 0
		.amdhsa_tg_split 0
		.amdhsa_exception_fp_ieee_invalid_op 0
		.amdhsa_exception_fp_denorm_src 0
		.amdhsa_exception_fp_ieee_div_zero 0
		.amdhsa_exception_fp_ieee_overflow 0
		.amdhsa_exception_fp_ieee_underflow 0
		.amdhsa_exception_fp_ieee_inexact 0
		.amdhsa_exception_int_div_zero 0
	.end_amdhsa_kernel
	.section	.text._ZN7rocprim17ROCPRIM_400000_NS6detail17trampoline_kernelINS0_14default_configENS1_38merge_sort_block_merge_config_selectorIilEEZZNS1_27merge_sort_block_merge_implIS3_PiN6thrust23THRUST_200600_302600_NS10device_ptrIlEEjNS1_19radix_merge_compareILb0ELb1EiNS0_19identity_decomposerEEEEE10hipError_tT0_T1_T2_jT3_P12ihipStream_tbPNSt15iterator_traitsISG_E10value_typeEPNSM_ISH_E10value_typeEPSI_NS1_7vsmem_tEENKUlT_SG_SH_SI_E_clIS7_S7_PlSB_EESF_SV_SG_SH_SI_EUlSV_E_NS1_11comp_targetILNS1_3genE3ELNS1_11target_archE908ELNS1_3gpuE7ELNS1_3repE0EEENS1_48merge_mergepath_partition_config_static_selectorELNS0_4arch9wavefront6targetE1EEEvSH_,"axG",@progbits,_ZN7rocprim17ROCPRIM_400000_NS6detail17trampoline_kernelINS0_14default_configENS1_38merge_sort_block_merge_config_selectorIilEEZZNS1_27merge_sort_block_merge_implIS3_PiN6thrust23THRUST_200600_302600_NS10device_ptrIlEEjNS1_19radix_merge_compareILb0ELb1EiNS0_19identity_decomposerEEEEE10hipError_tT0_T1_T2_jT3_P12ihipStream_tbPNSt15iterator_traitsISG_E10value_typeEPNSM_ISH_E10value_typeEPSI_NS1_7vsmem_tEENKUlT_SG_SH_SI_E_clIS7_S7_PlSB_EESF_SV_SG_SH_SI_EUlSV_E_NS1_11comp_targetILNS1_3genE3ELNS1_11target_archE908ELNS1_3gpuE7ELNS1_3repE0EEENS1_48merge_mergepath_partition_config_static_selectorELNS0_4arch9wavefront6targetE1EEEvSH_,comdat
.Lfunc_end804:
	.size	_ZN7rocprim17ROCPRIM_400000_NS6detail17trampoline_kernelINS0_14default_configENS1_38merge_sort_block_merge_config_selectorIilEEZZNS1_27merge_sort_block_merge_implIS3_PiN6thrust23THRUST_200600_302600_NS10device_ptrIlEEjNS1_19radix_merge_compareILb0ELb1EiNS0_19identity_decomposerEEEEE10hipError_tT0_T1_T2_jT3_P12ihipStream_tbPNSt15iterator_traitsISG_E10value_typeEPNSM_ISH_E10value_typeEPSI_NS1_7vsmem_tEENKUlT_SG_SH_SI_E_clIS7_S7_PlSB_EESF_SV_SG_SH_SI_EUlSV_E_NS1_11comp_targetILNS1_3genE3ELNS1_11target_archE908ELNS1_3gpuE7ELNS1_3repE0EEENS1_48merge_mergepath_partition_config_static_selectorELNS0_4arch9wavefront6targetE1EEEvSH_, .Lfunc_end804-_ZN7rocprim17ROCPRIM_400000_NS6detail17trampoline_kernelINS0_14default_configENS1_38merge_sort_block_merge_config_selectorIilEEZZNS1_27merge_sort_block_merge_implIS3_PiN6thrust23THRUST_200600_302600_NS10device_ptrIlEEjNS1_19radix_merge_compareILb0ELb1EiNS0_19identity_decomposerEEEEE10hipError_tT0_T1_T2_jT3_P12ihipStream_tbPNSt15iterator_traitsISG_E10value_typeEPNSM_ISH_E10value_typeEPSI_NS1_7vsmem_tEENKUlT_SG_SH_SI_E_clIS7_S7_PlSB_EESF_SV_SG_SH_SI_EUlSV_E_NS1_11comp_targetILNS1_3genE3ELNS1_11target_archE908ELNS1_3gpuE7ELNS1_3repE0EEENS1_48merge_mergepath_partition_config_static_selectorELNS0_4arch9wavefront6targetE1EEEvSH_
                                        ; -- End function
	.section	.AMDGPU.csdata,"",@progbits
; Kernel info:
; codeLenInByte = 0
; NumSgprs: 4
; NumVgprs: 0
; NumAgprs: 0
; TotalNumVgprs: 0
; ScratchSize: 0
; MemoryBound: 0
; FloatMode: 240
; IeeeMode: 1
; LDSByteSize: 0 bytes/workgroup (compile time only)
; SGPRBlocks: 0
; VGPRBlocks: 0
; NumSGPRsForWavesPerEU: 4
; NumVGPRsForWavesPerEU: 1
; AccumOffset: 4
; Occupancy: 8
; WaveLimiterHint : 0
; COMPUTE_PGM_RSRC2:SCRATCH_EN: 0
; COMPUTE_PGM_RSRC2:USER_SGPR: 6
; COMPUTE_PGM_RSRC2:TRAP_HANDLER: 0
; COMPUTE_PGM_RSRC2:TGID_X_EN: 1
; COMPUTE_PGM_RSRC2:TGID_Y_EN: 0
; COMPUTE_PGM_RSRC2:TGID_Z_EN: 0
; COMPUTE_PGM_RSRC2:TIDIG_COMP_CNT: 0
; COMPUTE_PGM_RSRC3_GFX90A:ACCUM_OFFSET: 0
; COMPUTE_PGM_RSRC3_GFX90A:TG_SPLIT: 0
	.section	.text._ZN7rocprim17ROCPRIM_400000_NS6detail17trampoline_kernelINS0_14default_configENS1_38merge_sort_block_merge_config_selectorIilEEZZNS1_27merge_sort_block_merge_implIS3_PiN6thrust23THRUST_200600_302600_NS10device_ptrIlEEjNS1_19radix_merge_compareILb0ELb1EiNS0_19identity_decomposerEEEEE10hipError_tT0_T1_T2_jT3_P12ihipStream_tbPNSt15iterator_traitsISG_E10value_typeEPNSM_ISH_E10value_typeEPSI_NS1_7vsmem_tEENKUlT_SG_SH_SI_E_clIS7_S7_PlSB_EESF_SV_SG_SH_SI_EUlSV_E_NS1_11comp_targetILNS1_3genE2ELNS1_11target_archE906ELNS1_3gpuE6ELNS1_3repE0EEENS1_48merge_mergepath_partition_config_static_selectorELNS0_4arch9wavefront6targetE1EEEvSH_,"axG",@progbits,_ZN7rocprim17ROCPRIM_400000_NS6detail17trampoline_kernelINS0_14default_configENS1_38merge_sort_block_merge_config_selectorIilEEZZNS1_27merge_sort_block_merge_implIS3_PiN6thrust23THRUST_200600_302600_NS10device_ptrIlEEjNS1_19radix_merge_compareILb0ELb1EiNS0_19identity_decomposerEEEEE10hipError_tT0_T1_T2_jT3_P12ihipStream_tbPNSt15iterator_traitsISG_E10value_typeEPNSM_ISH_E10value_typeEPSI_NS1_7vsmem_tEENKUlT_SG_SH_SI_E_clIS7_S7_PlSB_EESF_SV_SG_SH_SI_EUlSV_E_NS1_11comp_targetILNS1_3genE2ELNS1_11target_archE906ELNS1_3gpuE6ELNS1_3repE0EEENS1_48merge_mergepath_partition_config_static_selectorELNS0_4arch9wavefront6targetE1EEEvSH_,comdat
	.protected	_ZN7rocprim17ROCPRIM_400000_NS6detail17trampoline_kernelINS0_14default_configENS1_38merge_sort_block_merge_config_selectorIilEEZZNS1_27merge_sort_block_merge_implIS3_PiN6thrust23THRUST_200600_302600_NS10device_ptrIlEEjNS1_19radix_merge_compareILb0ELb1EiNS0_19identity_decomposerEEEEE10hipError_tT0_T1_T2_jT3_P12ihipStream_tbPNSt15iterator_traitsISG_E10value_typeEPNSM_ISH_E10value_typeEPSI_NS1_7vsmem_tEENKUlT_SG_SH_SI_E_clIS7_S7_PlSB_EESF_SV_SG_SH_SI_EUlSV_E_NS1_11comp_targetILNS1_3genE2ELNS1_11target_archE906ELNS1_3gpuE6ELNS1_3repE0EEENS1_48merge_mergepath_partition_config_static_selectorELNS0_4arch9wavefront6targetE1EEEvSH_ ; -- Begin function _ZN7rocprim17ROCPRIM_400000_NS6detail17trampoline_kernelINS0_14default_configENS1_38merge_sort_block_merge_config_selectorIilEEZZNS1_27merge_sort_block_merge_implIS3_PiN6thrust23THRUST_200600_302600_NS10device_ptrIlEEjNS1_19radix_merge_compareILb0ELb1EiNS0_19identity_decomposerEEEEE10hipError_tT0_T1_T2_jT3_P12ihipStream_tbPNSt15iterator_traitsISG_E10value_typeEPNSM_ISH_E10value_typeEPSI_NS1_7vsmem_tEENKUlT_SG_SH_SI_E_clIS7_S7_PlSB_EESF_SV_SG_SH_SI_EUlSV_E_NS1_11comp_targetILNS1_3genE2ELNS1_11target_archE906ELNS1_3gpuE6ELNS1_3repE0EEENS1_48merge_mergepath_partition_config_static_selectorELNS0_4arch9wavefront6targetE1EEEvSH_
	.globl	_ZN7rocprim17ROCPRIM_400000_NS6detail17trampoline_kernelINS0_14default_configENS1_38merge_sort_block_merge_config_selectorIilEEZZNS1_27merge_sort_block_merge_implIS3_PiN6thrust23THRUST_200600_302600_NS10device_ptrIlEEjNS1_19radix_merge_compareILb0ELb1EiNS0_19identity_decomposerEEEEE10hipError_tT0_T1_T2_jT3_P12ihipStream_tbPNSt15iterator_traitsISG_E10value_typeEPNSM_ISH_E10value_typeEPSI_NS1_7vsmem_tEENKUlT_SG_SH_SI_E_clIS7_S7_PlSB_EESF_SV_SG_SH_SI_EUlSV_E_NS1_11comp_targetILNS1_3genE2ELNS1_11target_archE906ELNS1_3gpuE6ELNS1_3repE0EEENS1_48merge_mergepath_partition_config_static_selectorELNS0_4arch9wavefront6targetE1EEEvSH_
	.p2align	8
	.type	_ZN7rocprim17ROCPRIM_400000_NS6detail17trampoline_kernelINS0_14default_configENS1_38merge_sort_block_merge_config_selectorIilEEZZNS1_27merge_sort_block_merge_implIS3_PiN6thrust23THRUST_200600_302600_NS10device_ptrIlEEjNS1_19radix_merge_compareILb0ELb1EiNS0_19identity_decomposerEEEEE10hipError_tT0_T1_T2_jT3_P12ihipStream_tbPNSt15iterator_traitsISG_E10value_typeEPNSM_ISH_E10value_typeEPSI_NS1_7vsmem_tEENKUlT_SG_SH_SI_E_clIS7_S7_PlSB_EESF_SV_SG_SH_SI_EUlSV_E_NS1_11comp_targetILNS1_3genE2ELNS1_11target_archE906ELNS1_3gpuE6ELNS1_3repE0EEENS1_48merge_mergepath_partition_config_static_selectorELNS0_4arch9wavefront6targetE1EEEvSH_,@function
_ZN7rocprim17ROCPRIM_400000_NS6detail17trampoline_kernelINS0_14default_configENS1_38merge_sort_block_merge_config_selectorIilEEZZNS1_27merge_sort_block_merge_implIS3_PiN6thrust23THRUST_200600_302600_NS10device_ptrIlEEjNS1_19radix_merge_compareILb0ELb1EiNS0_19identity_decomposerEEEEE10hipError_tT0_T1_T2_jT3_P12ihipStream_tbPNSt15iterator_traitsISG_E10value_typeEPNSM_ISH_E10value_typeEPSI_NS1_7vsmem_tEENKUlT_SG_SH_SI_E_clIS7_S7_PlSB_EESF_SV_SG_SH_SI_EUlSV_E_NS1_11comp_targetILNS1_3genE2ELNS1_11target_archE906ELNS1_3gpuE6ELNS1_3repE0EEENS1_48merge_mergepath_partition_config_static_selectorELNS0_4arch9wavefront6targetE1EEEvSH_: ; @_ZN7rocprim17ROCPRIM_400000_NS6detail17trampoline_kernelINS0_14default_configENS1_38merge_sort_block_merge_config_selectorIilEEZZNS1_27merge_sort_block_merge_implIS3_PiN6thrust23THRUST_200600_302600_NS10device_ptrIlEEjNS1_19radix_merge_compareILb0ELb1EiNS0_19identity_decomposerEEEEE10hipError_tT0_T1_T2_jT3_P12ihipStream_tbPNSt15iterator_traitsISG_E10value_typeEPNSM_ISH_E10value_typeEPSI_NS1_7vsmem_tEENKUlT_SG_SH_SI_E_clIS7_S7_PlSB_EESF_SV_SG_SH_SI_EUlSV_E_NS1_11comp_targetILNS1_3genE2ELNS1_11target_archE906ELNS1_3gpuE6ELNS1_3repE0EEENS1_48merge_mergepath_partition_config_static_selectorELNS0_4arch9wavefront6targetE1EEEvSH_
; %bb.0:
	.section	.rodata,"a",@progbits
	.p2align	6, 0x0
	.amdhsa_kernel _ZN7rocprim17ROCPRIM_400000_NS6detail17trampoline_kernelINS0_14default_configENS1_38merge_sort_block_merge_config_selectorIilEEZZNS1_27merge_sort_block_merge_implIS3_PiN6thrust23THRUST_200600_302600_NS10device_ptrIlEEjNS1_19radix_merge_compareILb0ELb1EiNS0_19identity_decomposerEEEEE10hipError_tT0_T1_T2_jT3_P12ihipStream_tbPNSt15iterator_traitsISG_E10value_typeEPNSM_ISH_E10value_typeEPSI_NS1_7vsmem_tEENKUlT_SG_SH_SI_E_clIS7_S7_PlSB_EESF_SV_SG_SH_SI_EUlSV_E_NS1_11comp_targetILNS1_3genE2ELNS1_11target_archE906ELNS1_3gpuE6ELNS1_3repE0EEENS1_48merge_mergepath_partition_config_static_selectorELNS0_4arch9wavefront6targetE1EEEvSH_
		.amdhsa_group_segment_fixed_size 0
		.amdhsa_private_segment_fixed_size 0
		.amdhsa_kernarg_size 40
		.amdhsa_user_sgpr_count 6
		.amdhsa_user_sgpr_private_segment_buffer 1
		.amdhsa_user_sgpr_dispatch_ptr 0
		.amdhsa_user_sgpr_queue_ptr 0
		.amdhsa_user_sgpr_kernarg_segment_ptr 1
		.amdhsa_user_sgpr_dispatch_id 0
		.amdhsa_user_sgpr_flat_scratch_init 0
		.amdhsa_user_sgpr_kernarg_preload_length 0
		.amdhsa_user_sgpr_kernarg_preload_offset 0
		.amdhsa_user_sgpr_private_segment_size 0
		.amdhsa_uses_dynamic_stack 0
		.amdhsa_system_sgpr_private_segment_wavefront_offset 0
		.amdhsa_system_sgpr_workgroup_id_x 1
		.amdhsa_system_sgpr_workgroup_id_y 0
		.amdhsa_system_sgpr_workgroup_id_z 0
		.amdhsa_system_sgpr_workgroup_info 0
		.amdhsa_system_vgpr_workitem_id 0
		.amdhsa_next_free_vgpr 1
		.amdhsa_next_free_sgpr 0
		.amdhsa_accum_offset 4
		.amdhsa_reserve_vcc 0
		.amdhsa_reserve_flat_scratch 0
		.amdhsa_float_round_mode_32 0
		.amdhsa_float_round_mode_16_64 0
		.amdhsa_float_denorm_mode_32 3
		.amdhsa_float_denorm_mode_16_64 3
		.amdhsa_dx10_clamp 1
		.amdhsa_ieee_mode 1
		.amdhsa_fp16_overflow 0
		.amdhsa_tg_split 0
		.amdhsa_exception_fp_ieee_invalid_op 0
		.amdhsa_exception_fp_denorm_src 0
		.amdhsa_exception_fp_ieee_div_zero 0
		.amdhsa_exception_fp_ieee_overflow 0
		.amdhsa_exception_fp_ieee_underflow 0
		.amdhsa_exception_fp_ieee_inexact 0
		.amdhsa_exception_int_div_zero 0
	.end_amdhsa_kernel
	.section	.text._ZN7rocprim17ROCPRIM_400000_NS6detail17trampoline_kernelINS0_14default_configENS1_38merge_sort_block_merge_config_selectorIilEEZZNS1_27merge_sort_block_merge_implIS3_PiN6thrust23THRUST_200600_302600_NS10device_ptrIlEEjNS1_19radix_merge_compareILb0ELb1EiNS0_19identity_decomposerEEEEE10hipError_tT0_T1_T2_jT3_P12ihipStream_tbPNSt15iterator_traitsISG_E10value_typeEPNSM_ISH_E10value_typeEPSI_NS1_7vsmem_tEENKUlT_SG_SH_SI_E_clIS7_S7_PlSB_EESF_SV_SG_SH_SI_EUlSV_E_NS1_11comp_targetILNS1_3genE2ELNS1_11target_archE906ELNS1_3gpuE6ELNS1_3repE0EEENS1_48merge_mergepath_partition_config_static_selectorELNS0_4arch9wavefront6targetE1EEEvSH_,"axG",@progbits,_ZN7rocprim17ROCPRIM_400000_NS6detail17trampoline_kernelINS0_14default_configENS1_38merge_sort_block_merge_config_selectorIilEEZZNS1_27merge_sort_block_merge_implIS3_PiN6thrust23THRUST_200600_302600_NS10device_ptrIlEEjNS1_19radix_merge_compareILb0ELb1EiNS0_19identity_decomposerEEEEE10hipError_tT0_T1_T2_jT3_P12ihipStream_tbPNSt15iterator_traitsISG_E10value_typeEPNSM_ISH_E10value_typeEPSI_NS1_7vsmem_tEENKUlT_SG_SH_SI_E_clIS7_S7_PlSB_EESF_SV_SG_SH_SI_EUlSV_E_NS1_11comp_targetILNS1_3genE2ELNS1_11target_archE906ELNS1_3gpuE6ELNS1_3repE0EEENS1_48merge_mergepath_partition_config_static_selectorELNS0_4arch9wavefront6targetE1EEEvSH_,comdat
.Lfunc_end805:
	.size	_ZN7rocprim17ROCPRIM_400000_NS6detail17trampoline_kernelINS0_14default_configENS1_38merge_sort_block_merge_config_selectorIilEEZZNS1_27merge_sort_block_merge_implIS3_PiN6thrust23THRUST_200600_302600_NS10device_ptrIlEEjNS1_19radix_merge_compareILb0ELb1EiNS0_19identity_decomposerEEEEE10hipError_tT0_T1_T2_jT3_P12ihipStream_tbPNSt15iterator_traitsISG_E10value_typeEPNSM_ISH_E10value_typeEPSI_NS1_7vsmem_tEENKUlT_SG_SH_SI_E_clIS7_S7_PlSB_EESF_SV_SG_SH_SI_EUlSV_E_NS1_11comp_targetILNS1_3genE2ELNS1_11target_archE906ELNS1_3gpuE6ELNS1_3repE0EEENS1_48merge_mergepath_partition_config_static_selectorELNS0_4arch9wavefront6targetE1EEEvSH_, .Lfunc_end805-_ZN7rocprim17ROCPRIM_400000_NS6detail17trampoline_kernelINS0_14default_configENS1_38merge_sort_block_merge_config_selectorIilEEZZNS1_27merge_sort_block_merge_implIS3_PiN6thrust23THRUST_200600_302600_NS10device_ptrIlEEjNS1_19radix_merge_compareILb0ELb1EiNS0_19identity_decomposerEEEEE10hipError_tT0_T1_T2_jT3_P12ihipStream_tbPNSt15iterator_traitsISG_E10value_typeEPNSM_ISH_E10value_typeEPSI_NS1_7vsmem_tEENKUlT_SG_SH_SI_E_clIS7_S7_PlSB_EESF_SV_SG_SH_SI_EUlSV_E_NS1_11comp_targetILNS1_3genE2ELNS1_11target_archE906ELNS1_3gpuE6ELNS1_3repE0EEENS1_48merge_mergepath_partition_config_static_selectorELNS0_4arch9wavefront6targetE1EEEvSH_
                                        ; -- End function
	.section	.AMDGPU.csdata,"",@progbits
; Kernel info:
; codeLenInByte = 0
; NumSgprs: 4
; NumVgprs: 0
; NumAgprs: 0
; TotalNumVgprs: 0
; ScratchSize: 0
; MemoryBound: 0
; FloatMode: 240
; IeeeMode: 1
; LDSByteSize: 0 bytes/workgroup (compile time only)
; SGPRBlocks: 0
; VGPRBlocks: 0
; NumSGPRsForWavesPerEU: 4
; NumVGPRsForWavesPerEU: 1
; AccumOffset: 4
; Occupancy: 8
; WaveLimiterHint : 0
; COMPUTE_PGM_RSRC2:SCRATCH_EN: 0
; COMPUTE_PGM_RSRC2:USER_SGPR: 6
; COMPUTE_PGM_RSRC2:TRAP_HANDLER: 0
; COMPUTE_PGM_RSRC2:TGID_X_EN: 1
; COMPUTE_PGM_RSRC2:TGID_Y_EN: 0
; COMPUTE_PGM_RSRC2:TGID_Z_EN: 0
; COMPUTE_PGM_RSRC2:TIDIG_COMP_CNT: 0
; COMPUTE_PGM_RSRC3_GFX90A:ACCUM_OFFSET: 0
; COMPUTE_PGM_RSRC3_GFX90A:TG_SPLIT: 0
	.section	.text._ZN7rocprim17ROCPRIM_400000_NS6detail17trampoline_kernelINS0_14default_configENS1_38merge_sort_block_merge_config_selectorIilEEZZNS1_27merge_sort_block_merge_implIS3_PiN6thrust23THRUST_200600_302600_NS10device_ptrIlEEjNS1_19radix_merge_compareILb0ELb1EiNS0_19identity_decomposerEEEEE10hipError_tT0_T1_T2_jT3_P12ihipStream_tbPNSt15iterator_traitsISG_E10value_typeEPNSM_ISH_E10value_typeEPSI_NS1_7vsmem_tEENKUlT_SG_SH_SI_E_clIS7_S7_PlSB_EESF_SV_SG_SH_SI_EUlSV_E_NS1_11comp_targetILNS1_3genE9ELNS1_11target_archE1100ELNS1_3gpuE3ELNS1_3repE0EEENS1_48merge_mergepath_partition_config_static_selectorELNS0_4arch9wavefront6targetE1EEEvSH_,"axG",@progbits,_ZN7rocprim17ROCPRIM_400000_NS6detail17trampoline_kernelINS0_14default_configENS1_38merge_sort_block_merge_config_selectorIilEEZZNS1_27merge_sort_block_merge_implIS3_PiN6thrust23THRUST_200600_302600_NS10device_ptrIlEEjNS1_19radix_merge_compareILb0ELb1EiNS0_19identity_decomposerEEEEE10hipError_tT0_T1_T2_jT3_P12ihipStream_tbPNSt15iterator_traitsISG_E10value_typeEPNSM_ISH_E10value_typeEPSI_NS1_7vsmem_tEENKUlT_SG_SH_SI_E_clIS7_S7_PlSB_EESF_SV_SG_SH_SI_EUlSV_E_NS1_11comp_targetILNS1_3genE9ELNS1_11target_archE1100ELNS1_3gpuE3ELNS1_3repE0EEENS1_48merge_mergepath_partition_config_static_selectorELNS0_4arch9wavefront6targetE1EEEvSH_,comdat
	.protected	_ZN7rocprim17ROCPRIM_400000_NS6detail17trampoline_kernelINS0_14default_configENS1_38merge_sort_block_merge_config_selectorIilEEZZNS1_27merge_sort_block_merge_implIS3_PiN6thrust23THRUST_200600_302600_NS10device_ptrIlEEjNS1_19radix_merge_compareILb0ELb1EiNS0_19identity_decomposerEEEEE10hipError_tT0_T1_T2_jT3_P12ihipStream_tbPNSt15iterator_traitsISG_E10value_typeEPNSM_ISH_E10value_typeEPSI_NS1_7vsmem_tEENKUlT_SG_SH_SI_E_clIS7_S7_PlSB_EESF_SV_SG_SH_SI_EUlSV_E_NS1_11comp_targetILNS1_3genE9ELNS1_11target_archE1100ELNS1_3gpuE3ELNS1_3repE0EEENS1_48merge_mergepath_partition_config_static_selectorELNS0_4arch9wavefront6targetE1EEEvSH_ ; -- Begin function _ZN7rocprim17ROCPRIM_400000_NS6detail17trampoline_kernelINS0_14default_configENS1_38merge_sort_block_merge_config_selectorIilEEZZNS1_27merge_sort_block_merge_implIS3_PiN6thrust23THRUST_200600_302600_NS10device_ptrIlEEjNS1_19radix_merge_compareILb0ELb1EiNS0_19identity_decomposerEEEEE10hipError_tT0_T1_T2_jT3_P12ihipStream_tbPNSt15iterator_traitsISG_E10value_typeEPNSM_ISH_E10value_typeEPSI_NS1_7vsmem_tEENKUlT_SG_SH_SI_E_clIS7_S7_PlSB_EESF_SV_SG_SH_SI_EUlSV_E_NS1_11comp_targetILNS1_3genE9ELNS1_11target_archE1100ELNS1_3gpuE3ELNS1_3repE0EEENS1_48merge_mergepath_partition_config_static_selectorELNS0_4arch9wavefront6targetE1EEEvSH_
	.globl	_ZN7rocprim17ROCPRIM_400000_NS6detail17trampoline_kernelINS0_14default_configENS1_38merge_sort_block_merge_config_selectorIilEEZZNS1_27merge_sort_block_merge_implIS3_PiN6thrust23THRUST_200600_302600_NS10device_ptrIlEEjNS1_19radix_merge_compareILb0ELb1EiNS0_19identity_decomposerEEEEE10hipError_tT0_T1_T2_jT3_P12ihipStream_tbPNSt15iterator_traitsISG_E10value_typeEPNSM_ISH_E10value_typeEPSI_NS1_7vsmem_tEENKUlT_SG_SH_SI_E_clIS7_S7_PlSB_EESF_SV_SG_SH_SI_EUlSV_E_NS1_11comp_targetILNS1_3genE9ELNS1_11target_archE1100ELNS1_3gpuE3ELNS1_3repE0EEENS1_48merge_mergepath_partition_config_static_selectorELNS0_4arch9wavefront6targetE1EEEvSH_
	.p2align	8
	.type	_ZN7rocprim17ROCPRIM_400000_NS6detail17trampoline_kernelINS0_14default_configENS1_38merge_sort_block_merge_config_selectorIilEEZZNS1_27merge_sort_block_merge_implIS3_PiN6thrust23THRUST_200600_302600_NS10device_ptrIlEEjNS1_19radix_merge_compareILb0ELb1EiNS0_19identity_decomposerEEEEE10hipError_tT0_T1_T2_jT3_P12ihipStream_tbPNSt15iterator_traitsISG_E10value_typeEPNSM_ISH_E10value_typeEPSI_NS1_7vsmem_tEENKUlT_SG_SH_SI_E_clIS7_S7_PlSB_EESF_SV_SG_SH_SI_EUlSV_E_NS1_11comp_targetILNS1_3genE9ELNS1_11target_archE1100ELNS1_3gpuE3ELNS1_3repE0EEENS1_48merge_mergepath_partition_config_static_selectorELNS0_4arch9wavefront6targetE1EEEvSH_,@function
_ZN7rocprim17ROCPRIM_400000_NS6detail17trampoline_kernelINS0_14default_configENS1_38merge_sort_block_merge_config_selectorIilEEZZNS1_27merge_sort_block_merge_implIS3_PiN6thrust23THRUST_200600_302600_NS10device_ptrIlEEjNS1_19radix_merge_compareILb0ELb1EiNS0_19identity_decomposerEEEEE10hipError_tT0_T1_T2_jT3_P12ihipStream_tbPNSt15iterator_traitsISG_E10value_typeEPNSM_ISH_E10value_typeEPSI_NS1_7vsmem_tEENKUlT_SG_SH_SI_E_clIS7_S7_PlSB_EESF_SV_SG_SH_SI_EUlSV_E_NS1_11comp_targetILNS1_3genE9ELNS1_11target_archE1100ELNS1_3gpuE3ELNS1_3repE0EEENS1_48merge_mergepath_partition_config_static_selectorELNS0_4arch9wavefront6targetE1EEEvSH_: ; @_ZN7rocprim17ROCPRIM_400000_NS6detail17trampoline_kernelINS0_14default_configENS1_38merge_sort_block_merge_config_selectorIilEEZZNS1_27merge_sort_block_merge_implIS3_PiN6thrust23THRUST_200600_302600_NS10device_ptrIlEEjNS1_19radix_merge_compareILb0ELb1EiNS0_19identity_decomposerEEEEE10hipError_tT0_T1_T2_jT3_P12ihipStream_tbPNSt15iterator_traitsISG_E10value_typeEPNSM_ISH_E10value_typeEPSI_NS1_7vsmem_tEENKUlT_SG_SH_SI_E_clIS7_S7_PlSB_EESF_SV_SG_SH_SI_EUlSV_E_NS1_11comp_targetILNS1_3genE9ELNS1_11target_archE1100ELNS1_3gpuE3ELNS1_3repE0EEENS1_48merge_mergepath_partition_config_static_selectorELNS0_4arch9wavefront6targetE1EEEvSH_
; %bb.0:
	.section	.rodata,"a",@progbits
	.p2align	6, 0x0
	.amdhsa_kernel _ZN7rocprim17ROCPRIM_400000_NS6detail17trampoline_kernelINS0_14default_configENS1_38merge_sort_block_merge_config_selectorIilEEZZNS1_27merge_sort_block_merge_implIS3_PiN6thrust23THRUST_200600_302600_NS10device_ptrIlEEjNS1_19radix_merge_compareILb0ELb1EiNS0_19identity_decomposerEEEEE10hipError_tT0_T1_T2_jT3_P12ihipStream_tbPNSt15iterator_traitsISG_E10value_typeEPNSM_ISH_E10value_typeEPSI_NS1_7vsmem_tEENKUlT_SG_SH_SI_E_clIS7_S7_PlSB_EESF_SV_SG_SH_SI_EUlSV_E_NS1_11comp_targetILNS1_3genE9ELNS1_11target_archE1100ELNS1_3gpuE3ELNS1_3repE0EEENS1_48merge_mergepath_partition_config_static_selectorELNS0_4arch9wavefront6targetE1EEEvSH_
		.amdhsa_group_segment_fixed_size 0
		.amdhsa_private_segment_fixed_size 0
		.amdhsa_kernarg_size 40
		.amdhsa_user_sgpr_count 6
		.amdhsa_user_sgpr_private_segment_buffer 1
		.amdhsa_user_sgpr_dispatch_ptr 0
		.amdhsa_user_sgpr_queue_ptr 0
		.amdhsa_user_sgpr_kernarg_segment_ptr 1
		.amdhsa_user_sgpr_dispatch_id 0
		.amdhsa_user_sgpr_flat_scratch_init 0
		.amdhsa_user_sgpr_kernarg_preload_length 0
		.amdhsa_user_sgpr_kernarg_preload_offset 0
		.amdhsa_user_sgpr_private_segment_size 0
		.amdhsa_uses_dynamic_stack 0
		.amdhsa_system_sgpr_private_segment_wavefront_offset 0
		.amdhsa_system_sgpr_workgroup_id_x 1
		.amdhsa_system_sgpr_workgroup_id_y 0
		.amdhsa_system_sgpr_workgroup_id_z 0
		.amdhsa_system_sgpr_workgroup_info 0
		.amdhsa_system_vgpr_workitem_id 0
		.amdhsa_next_free_vgpr 1
		.amdhsa_next_free_sgpr 0
		.amdhsa_accum_offset 4
		.amdhsa_reserve_vcc 0
		.amdhsa_reserve_flat_scratch 0
		.amdhsa_float_round_mode_32 0
		.amdhsa_float_round_mode_16_64 0
		.amdhsa_float_denorm_mode_32 3
		.amdhsa_float_denorm_mode_16_64 3
		.amdhsa_dx10_clamp 1
		.amdhsa_ieee_mode 1
		.amdhsa_fp16_overflow 0
		.amdhsa_tg_split 0
		.amdhsa_exception_fp_ieee_invalid_op 0
		.amdhsa_exception_fp_denorm_src 0
		.amdhsa_exception_fp_ieee_div_zero 0
		.amdhsa_exception_fp_ieee_overflow 0
		.amdhsa_exception_fp_ieee_underflow 0
		.amdhsa_exception_fp_ieee_inexact 0
		.amdhsa_exception_int_div_zero 0
	.end_amdhsa_kernel
	.section	.text._ZN7rocprim17ROCPRIM_400000_NS6detail17trampoline_kernelINS0_14default_configENS1_38merge_sort_block_merge_config_selectorIilEEZZNS1_27merge_sort_block_merge_implIS3_PiN6thrust23THRUST_200600_302600_NS10device_ptrIlEEjNS1_19radix_merge_compareILb0ELb1EiNS0_19identity_decomposerEEEEE10hipError_tT0_T1_T2_jT3_P12ihipStream_tbPNSt15iterator_traitsISG_E10value_typeEPNSM_ISH_E10value_typeEPSI_NS1_7vsmem_tEENKUlT_SG_SH_SI_E_clIS7_S7_PlSB_EESF_SV_SG_SH_SI_EUlSV_E_NS1_11comp_targetILNS1_3genE9ELNS1_11target_archE1100ELNS1_3gpuE3ELNS1_3repE0EEENS1_48merge_mergepath_partition_config_static_selectorELNS0_4arch9wavefront6targetE1EEEvSH_,"axG",@progbits,_ZN7rocprim17ROCPRIM_400000_NS6detail17trampoline_kernelINS0_14default_configENS1_38merge_sort_block_merge_config_selectorIilEEZZNS1_27merge_sort_block_merge_implIS3_PiN6thrust23THRUST_200600_302600_NS10device_ptrIlEEjNS1_19radix_merge_compareILb0ELb1EiNS0_19identity_decomposerEEEEE10hipError_tT0_T1_T2_jT3_P12ihipStream_tbPNSt15iterator_traitsISG_E10value_typeEPNSM_ISH_E10value_typeEPSI_NS1_7vsmem_tEENKUlT_SG_SH_SI_E_clIS7_S7_PlSB_EESF_SV_SG_SH_SI_EUlSV_E_NS1_11comp_targetILNS1_3genE9ELNS1_11target_archE1100ELNS1_3gpuE3ELNS1_3repE0EEENS1_48merge_mergepath_partition_config_static_selectorELNS0_4arch9wavefront6targetE1EEEvSH_,comdat
.Lfunc_end806:
	.size	_ZN7rocprim17ROCPRIM_400000_NS6detail17trampoline_kernelINS0_14default_configENS1_38merge_sort_block_merge_config_selectorIilEEZZNS1_27merge_sort_block_merge_implIS3_PiN6thrust23THRUST_200600_302600_NS10device_ptrIlEEjNS1_19radix_merge_compareILb0ELb1EiNS0_19identity_decomposerEEEEE10hipError_tT0_T1_T2_jT3_P12ihipStream_tbPNSt15iterator_traitsISG_E10value_typeEPNSM_ISH_E10value_typeEPSI_NS1_7vsmem_tEENKUlT_SG_SH_SI_E_clIS7_S7_PlSB_EESF_SV_SG_SH_SI_EUlSV_E_NS1_11comp_targetILNS1_3genE9ELNS1_11target_archE1100ELNS1_3gpuE3ELNS1_3repE0EEENS1_48merge_mergepath_partition_config_static_selectorELNS0_4arch9wavefront6targetE1EEEvSH_, .Lfunc_end806-_ZN7rocprim17ROCPRIM_400000_NS6detail17trampoline_kernelINS0_14default_configENS1_38merge_sort_block_merge_config_selectorIilEEZZNS1_27merge_sort_block_merge_implIS3_PiN6thrust23THRUST_200600_302600_NS10device_ptrIlEEjNS1_19radix_merge_compareILb0ELb1EiNS0_19identity_decomposerEEEEE10hipError_tT0_T1_T2_jT3_P12ihipStream_tbPNSt15iterator_traitsISG_E10value_typeEPNSM_ISH_E10value_typeEPSI_NS1_7vsmem_tEENKUlT_SG_SH_SI_E_clIS7_S7_PlSB_EESF_SV_SG_SH_SI_EUlSV_E_NS1_11comp_targetILNS1_3genE9ELNS1_11target_archE1100ELNS1_3gpuE3ELNS1_3repE0EEENS1_48merge_mergepath_partition_config_static_selectorELNS0_4arch9wavefront6targetE1EEEvSH_
                                        ; -- End function
	.section	.AMDGPU.csdata,"",@progbits
; Kernel info:
; codeLenInByte = 0
; NumSgprs: 4
; NumVgprs: 0
; NumAgprs: 0
; TotalNumVgprs: 0
; ScratchSize: 0
; MemoryBound: 0
; FloatMode: 240
; IeeeMode: 1
; LDSByteSize: 0 bytes/workgroup (compile time only)
; SGPRBlocks: 0
; VGPRBlocks: 0
; NumSGPRsForWavesPerEU: 4
; NumVGPRsForWavesPerEU: 1
; AccumOffset: 4
; Occupancy: 8
; WaveLimiterHint : 0
; COMPUTE_PGM_RSRC2:SCRATCH_EN: 0
; COMPUTE_PGM_RSRC2:USER_SGPR: 6
; COMPUTE_PGM_RSRC2:TRAP_HANDLER: 0
; COMPUTE_PGM_RSRC2:TGID_X_EN: 1
; COMPUTE_PGM_RSRC2:TGID_Y_EN: 0
; COMPUTE_PGM_RSRC2:TGID_Z_EN: 0
; COMPUTE_PGM_RSRC2:TIDIG_COMP_CNT: 0
; COMPUTE_PGM_RSRC3_GFX90A:ACCUM_OFFSET: 0
; COMPUTE_PGM_RSRC3_GFX90A:TG_SPLIT: 0
	.section	.text._ZN7rocprim17ROCPRIM_400000_NS6detail17trampoline_kernelINS0_14default_configENS1_38merge_sort_block_merge_config_selectorIilEEZZNS1_27merge_sort_block_merge_implIS3_PiN6thrust23THRUST_200600_302600_NS10device_ptrIlEEjNS1_19radix_merge_compareILb0ELb1EiNS0_19identity_decomposerEEEEE10hipError_tT0_T1_T2_jT3_P12ihipStream_tbPNSt15iterator_traitsISG_E10value_typeEPNSM_ISH_E10value_typeEPSI_NS1_7vsmem_tEENKUlT_SG_SH_SI_E_clIS7_S7_PlSB_EESF_SV_SG_SH_SI_EUlSV_E_NS1_11comp_targetILNS1_3genE8ELNS1_11target_archE1030ELNS1_3gpuE2ELNS1_3repE0EEENS1_48merge_mergepath_partition_config_static_selectorELNS0_4arch9wavefront6targetE1EEEvSH_,"axG",@progbits,_ZN7rocprim17ROCPRIM_400000_NS6detail17trampoline_kernelINS0_14default_configENS1_38merge_sort_block_merge_config_selectorIilEEZZNS1_27merge_sort_block_merge_implIS3_PiN6thrust23THRUST_200600_302600_NS10device_ptrIlEEjNS1_19radix_merge_compareILb0ELb1EiNS0_19identity_decomposerEEEEE10hipError_tT0_T1_T2_jT3_P12ihipStream_tbPNSt15iterator_traitsISG_E10value_typeEPNSM_ISH_E10value_typeEPSI_NS1_7vsmem_tEENKUlT_SG_SH_SI_E_clIS7_S7_PlSB_EESF_SV_SG_SH_SI_EUlSV_E_NS1_11comp_targetILNS1_3genE8ELNS1_11target_archE1030ELNS1_3gpuE2ELNS1_3repE0EEENS1_48merge_mergepath_partition_config_static_selectorELNS0_4arch9wavefront6targetE1EEEvSH_,comdat
	.protected	_ZN7rocprim17ROCPRIM_400000_NS6detail17trampoline_kernelINS0_14default_configENS1_38merge_sort_block_merge_config_selectorIilEEZZNS1_27merge_sort_block_merge_implIS3_PiN6thrust23THRUST_200600_302600_NS10device_ptrIlEEjNS1_19radix_merge_compareILb0ELb1EiNS0_19identity_decomposerEEEEE10hipError_tT0_T1_T2_jT3_P12ihipStream_tbPNSt15iterator_traitsISG_E10value_typeEPNSM_ISH_E10value_typeEPSI_NS1_7vsmem_tEENKUlT_SG_SH_SI_E_clIS7_S7_PlSB_EESF_SV_SG_SH_SI_EUlSV_E_NS1_11comp_targetILNS1_3genE8ELNS1_11target_archE1030ELNS1_3gpuE2ELNS1_3repE0EEENS1_48merge_mergepath_partition_config_static_selectorELNS0_4arch9wavefront6targetE1EEEvSH_ ; -- Begin function _ZN7rocprim17ROCPRIM_400000_NS6detail17trampoline_kernelINS0_14default_configENS1_38merge_sort_block_merge_config_selectorIilEEZZNS1_27merge_sort_block_merge_implIS3_PiN6thrust23THRUST_200600_302600_NS10device_ptrIlEEjNS1_19radix_merge_compareILb0ELb1EiNS0_19identity_decomposerEEEEE10hipError_tT0_T1_T2_jT3_P12ihipStream_tbPNSt15iterator_traitsISG_E10value_typeEPNSM_ISH_E10value_typeEPSI_NS1_7vsmem_tEENKUlT_SG_SH_SI_E_clIS7_S7_PlSB_EESF_SV_SG_SH_SI_EUlSV_E_NS1_11comp_targetILNS1_3genE8ELNS1_11target_archE1030ELNS1_3gpuE2ELNS1_3repE0EEENS1_48merge_mergepath_partition_config_static_selectorELNS0_4arch9wavefront6targetE1EEEvSH_
	.globl	_ZN7rocprim17ROCPRIM_400000_NS6detail17trampoline_kernelINS0_14default_configENS1_38merge_sort_block_merge_config_selectorIilEEZZNS1_27merge_sort_block_merge_implIS3_PiN6thrust23THRUST_200600_302600_NS10device_ptrIlEEjNS1_19radix_merge_compareILb0ELb1EiNS0_19identity_decomposerEEEEE10hipError_tT0_T1_T2_jT3_P12ihipStream_tbPNSt15iterator_traitsISG_E10value_typeEPNSM_ISH_E10value_typeEPSI_NS1_7vsmem_tEENKUlT_SG_SH_SI_E_clIS7_S7_PlSB_EESF_SV_SG_SH_SI_EUlSV_E_NS1_11comp_targetILNS1_3genE8ELNS1_11target_archE1030ELNS1_3gpuE2ELNS1_3repE0EEENS1_48merge_mergepath_partition_config_static_selectorELNS0_4arch9wavefront6targetE1EEEvSH_
	.p2align	8
	.type	_ZN7rocprim17ROCPRIM_400000_NS6detail17trampoline_kernelINS0_14default_configENS1_38merge_sort_block_merge_config_selectorIilEEZZNS1_27merge_sort_block_merge_implIS3_PiN6thrust23THRUST_200600_302600_NS10device_ptrIlEEjNS1_19radix_merge_compareILb0ELb1EiNS0_19identity_decomposerEEEEE10hipError_tT0_T1_T2_jT3_P12ihipStream_tbPNSt15iterator_traitsISG_E10value_typeEPNSM_ISH_E10value_typeEPSI_NS1_7vsmem_tEENKUlT_SG_SH_SI_E_clIS7_S7_PlSB_EESF_SV_SG_SH_SI_EUlSV_E_NS1_11comp_targetILNS1_3genE8ELNS1_11target_archE1030ELNS1_3gpuE2ELNS1_3repE0EEENS1_48merge_mergepath_partition_config_static_selectorELNS0_4arch9wavefront6targetE1EEEvSH_,@function
_ZN7rocprim17ROCPRIM_400000_NS6detail17trampoline_kernelINS0_14default_configENS1_38merge_sort_block_merge_config_selectorIilEEZZNS1_27merge_sort_block_merge_implIS3_PiN6thrust23THRUST_200600_302600_NS10device_ptrIlEEjNS1_19radix_merge_compareILb0ELb1EiNS0_19identity_decomposerEEEEE10hipError_tT0_T1_T2_jT3_P12ihipStream_tbPNSt15iterator_traitsISG_E10value_typeEPNSM_ISH_E10value_typeEPSI_NS1_7vsmem_tEENKUlT_SG_SH_SI_E_clIS7_S7_PlSB_EESF_SV_SG_SH_SI_EUlSV_E_NS1_11comp_targetILNS1_3genE8ELNS1_11target_archE1030ELNS1_3gpuE2ELNS1_3repE0EEENS1_48merge_mergepath_partition_config_static_selectorELNS0_4arch9wavefront6targetE1EEEvSH_: ; @_ZN7rocprim17ROCPRIM_400000_NS6detail17trampoline_kernelINS0_14default_configENS1_38merge_sort_block_merge_config_selectorIilEEZZNS1_27merge_sort_block_merge_implIS3_PiN6thrust23THRUST_200600_302600_NS10device_ptrIlEEjNS1_19radix_merge_compareILb0ELb1EiNS0_19identity_decomposerEEEEE10hipError_tT0_T1_T2_jT3_P12ihipStream_tbPNSt15iterator_traitsISG_E10value_typeEPNSM_ISH_E10value_typeEPSI_NS1_7vsmem_tEENKUlT_SG_SH_SI_E_clIS7_S7_PlSB_EESF_SV_SG_SH_SI_EUlSV_E_NS1_11comp_targetILNS1_3genE8ELNS1_11target_archE1030ELNS1_3gpuE2ELNS1_3repE0EEENS1_48merge_mergepath_partition_config_static_selectorELNS0_4arch9wavefront6targetE1EEEvSH_
; %bb.0:
	.section	.rodata,"a",@progbits
	.p2align	6, 0x0
	.amdhsa_kernel _ZN7rocprim17ROCPRIM_400000_NS6detail17trampoline_kernelINS0_14default_configENS1_38merge_sort_block_merge_config_selectorIilEEZZNS1_27merge_sort_block_merge_implIS3_PiN6thrust23THRUST_200600_302600_NS10device_ptrIlEEjNS1_19radix_merge_compareILb0ELb1EiNS0_19identity_decomposerEEEEE10hipError_tT0_T1_T2_jT3_P12ihipStream_tbPNSt15iterator_traitsISG_E10value_typeEPNSM_ISH_E10value_typeEPSI_NS1_7vsmem_tEENKUlT_SG_SH_SI_E_clIS7_S7_PlSB_EESF_SV_SG_SH_SI_EUlSV_E_NS1_11comp_targetILNS1_3genE8ELNS1_11target_archE1030ELNS1_3gpuE2ELNS1_3repE0EEENS1_48merge_mergepath_partition_config_static_selectorELNS0_4arch9wavefront6targetE1EEEvSH_
		.amdhsa_group_segment_fixed_size 0
		.amdhsa_private_segment_fixed_size 0
		.amdhsa_kernarg_size 40
		.amdhsa_user_sgpr_count 6
		.amdhsa_user_sgpr_private_segment_buffer 1
		.amdhsa_user_sgpr_dispatch_ptr 0
		.amdhsa_user_sgpr_queue_ptr 0
		.amdhsa_user_sgpr_kernarg_segment_ptr 1
		.amdhsa_user_sgpr_dispatch_id 0
		.amdhsa_user_sgpr_flat_scratch_init 0
		.amdhsa_user_sgpr_kernarg_preload_length 0
		.amdhsa_user_sgpr_kernarg_preload_offset 0
		.amdhsa_user_sgpr_private_segment_size 0
		.amdhsa_uses_dynamic_stack 0
		.amdhsa_system_sgpr_private_segment_wavefront_offset 0
		.amdhsa_system_sgpr_workgroup_id_x 1
		.amdhsa_system_sgpr_workgroup_id_y 0
		.amdhsa_system_sgpr_workgroup_id_z 0
		.amdhsa_system_sgpr_workgroup_info 0
		.amdhsa_system_vgpr_workitem_id 0
		.amdhsa_next_free_vgpr 1
		.amdhsa_next_free_sgpr 0
		.amdhsa_accum_offset 4
		.amdhsa_reserve_vcc 0
		.amdhsa_reserve_flat_scratch 0
		.amdhsa_float_round_mode_32 0
		.amdhsa_float_round_mode_16_64 0
		.amdhsa_float_denorm_mode_32 3
		.amdhsa_float_denorm_mode_16_64 3
		.amdhsa_dx10_clamp 1
		.amdhsa_ieee_mode 1
		.amdhsa_fp16_overflow 0
		.amdhsa_tg_split 0
		.amdhsa_exception_fp_ieee_invalid_op 0
		.amdhsa_exception_fp_denorm_src 0
		.amdhsa_exception_fp_ieee_div_zero 0
		.amdhsa_exception_fp_ieee_overflow 0
		.amdhsa_exception_fp_ieee_underflow 0
		.amdhsa_exception_fp_ieee_inexact 0
		.amdhsa_exception_int_div_zero 0
	.end_amdhsa_kernel
	.section	.text._ZN7rocprim17ROCPRIM_400000_NS6detail17trampoline_kernelINS0_14default_configENS1_38merge_sort_block_merge_config_selectorIilEEZZNS1_27merge_sort_block_merge_implIS3_PiN6thrust23THRUST_200600_302600_NS10device_ptrIlEEjNS1_19radix_merge_compareILb0ELb1EiNS0_19identity_decomposerEEEEE10hipError_tT0_T1_T2_jT3_P12ihipStream_tbPNSt15iterator_traitsISG_E10value_typeEPNSM_ISH_E10value_typeEPSI_NS1_7vsmem_tEENKUlT_SG_SH_SI_E_clIS7_S7_PlSB_EESF_SV_SG_SH_SI_EUlSV_E_NS1_11comp_targetILNS1_3genE8ELNS1_11target_archE1030ELNS1_3gpuE2ELNS1_3repE0EEENS1_48merge_mergepath_partition_config_static_selectorELNS0_4arch9wavefront6targetE1EEEvSH_,"axG",@progbits,_ZN7rocprim17ROCPRIM_400000_NS6detail17trampoline_kernelINS0_14default_configENS1_38merge_sort_block_merge_config_selectorIilEEZZNS1_27merge_sort_block_merge_implIS3_PiN6thrust23THRUST_200600_302600_NS10device_ptrIlEEjNS1_19radix_merge_compareILb0ELb1EiNS0_19identity_decomposerEEEEE10hipError_tT0_T1_T2_jT3_P12ihipStream_tbPNSt15iterator_traitsISG_E10value_typeEPNSM_ISH_E10value_typeEPSI_NS1_7vsmem_tEENKUlT_SG_SH_SI_E_clIS7_S7_PlSB_EESF_SV_SG_SH_SI_EUlSV_E_NS1_11comp_targetILNS1_3genE8ELNS1_11target_archE1030ELNS1_3gpuE2ELNS1_3repE0EEENS1_48merge_mergepath_partition_config_static_selectorELNS0_4arch9wavefront6targetE1EEEvSH_,comdat
.Lfunc_end807:
	.size	_ZN7rocprim17ROCPRIM_400000_NS6detail17trampoline_kernelINS0_14default_configENS1_38merge_sort_block_merge_config_selectorIilEEZZNS1_27merge_sort_block_merge_implIS3_PiN6thrust23THRUST_200600_302600_NS10device_ptrIlEEjNS1_19radix_merge_compareILb0ELb1EiNS0_19identity_decomposerEEEEE10hipError_tT0_T1_T2_jT3_P12ihipStream_tbPNSt15iterator_traitsISG_E10value_typeEPNSM_ISH_E10value_typeEPSI_NS1_7vsmem_tEENKUlT_SG_SH_SI_E_clIS7_S7_PlSB_EESF_SV_SG_SH_SI_EUlSV_E_NS1_11comp_targetILNS1_3genE8ELNS1_11target_archE1030ELNS1_3gpuE2ELNS1_3repE0EEENS1_48merge_mergepath_partition_config_static_selectorELNS0_4arch9wavefront6targetE1EEEvSH_, .Lfunc_end807-_ZN7rocprim17ROCPRIM_400000_NS6detail17trampoline_kernelINS0_14default_configENS1_38merge_sort_block_merge_config_selectorIilEEZZNS1_27merge_sort_block_merge_implIS3_PiN6thrust23THRUST_200600_302600_NS10device_ptrIlEEjNS1_19radix_merge_compareILb0ELb1EiNS0_19identity_decomposerEEEEE10hipError_tT0_T1_T2_jT3_P12ihipStream_tbPNSt15iterator_traitsISG_E10value_typeEPNSM_ISH_E10value_typeEPSI_NS1_7vsmem_tEENKUlT_SG_SH_SI_E_clIS7_S7_PlSB_EESF_SV_SG_SH_SI_EUlSV_E_NS1_11comp_targetILNS1_3genE8ELNS1_11target_archE1030ELNS1_3gpuE2ELNS1_3repE0EEENS1_48merge_mergepath_partition_config_static_selectorELNS0_4arch9wavefront6targetE1EEEvSH_
                                        ; -- End function
	.section	.AMDGPU.csdata,"",@progbits
; Kernel info:
; codeLenInByte = 0
; NumSgprs: 4
; NumVgprs: 0
; NumAgprs: 0
; TotalNumVgprs: 0
; ScratchSize: 0
; MemoryBound: 0
; FloatMode: 240
; IeeeMode: 1
; LDSByteSize: 0 bytes/workgroup (compile time only)
; SGPRBlocks: 0
; VGPRBlocks: 0
; NumSGPRsForWavesPerEU: 4
; NumVGPRsForWavesPerEU: 1
; AccumOffset: 4
; Occupancy: 8
; WaveLimiterHint : 0
; COMPUTE_PGM_RSRC2:SCRATCH_EN: 0
; COMPUTE_PGM_RSRC2:USER_SGPR: 6
; COMPUTE_PGM_RSRC2:TRAP_HANDLER: 0
; COMPUTE_PGM_RSRC2:TGID_X_EN: 1
; COMPUTE_PGM_RSRC2:TGID_Y_EN: 0
; COMPUTE_PGM_RSRC2:TGID_Z_EN: 0
; COMPUTE_PGM_RSRC2:TIDIG_COMP_CNT: 0
; COMPUTE_PGM_RSRC3_GFX90A:ACCUM_OFFSET: 0
; COMPUTE_PGM_RSRC3_GFX90A:TG_SPLIT: 0
	.section	.text._ZN7rocprim17ROCPRIM_400000_NS6detail17trampoline_kernelINS0_14default_configENS1_38merge_sort_block_merge_config_selectorIilEEZZNS1_27merge_sort_block_merge_implIS3_PiN6thrust23THRUST_200600_302600_NS10device_ptrIlEEjNS1_19radix_merge_compareILb0ELb1EiNS0_19identity_decomposerEEEEE10hipError_tT0_T1_T2_jT3_P12ihipStream_tbPNSt15iterator_traitsISG_E10value_typeEPNSM_ISH_E10value_typeEPSI_NS1_7vsmem_tEENKUlT_SG_SH_SI_E_clIS7_S7_PlSB_EESF_SV_SG_SH_SI_EUlSV_E0_NS1_11comp_targetILNS1_3genE0ELNS1_11target_archE4294967295ELNS1_3gpuE0ELNS1_3repE0EEENS1_38merge_mergepath_config_static_selectorELNS0_4arch9wavefront6targetE1EEEvSH_,"axG",@progbits,_ZN7rocprim17ROCPRIM_400000_NS6detail17trampoline_kernelINS0_14default_configENS1_38merge_sort_block_merge_config_selectorIilEEZZNS1_27merge_sort_block_merge_implIS3_PiN6thrust23THRUST_200600_302600_NS10device_ptrIlEEjNS1_19radix_merge_compareILb0ELb1EiNS0_19identity_decomposerEEEEE10hipError_tT0_T1_T2_jT3_P12ihipStream_tbPNSt15iterator_traitsISG_E10value_typeEPNSM_ISH_E10value_typeEPSI_NS1_7vsmem_tEENKUlT_SG_SH_SI_E_clIS7_S7_PlSB_EESF_SV_SG_SH_SI_EUlSV_E0_NS1_11comp_targetILNS1_3genE0ELNS1_11target_archE4294967295ELNS1_3gpuE0ELNS1_3repE0EEENS1_38merge_mergepath_config_static_selectorELNS0_4arch9wavefront6targetE1EEEvSH_,comdat
	.protected	_ZN7rocprim17ROCPRIM_400000_NS6detail17trampoline_kernelINS0_14default_configENS1_38merge_sort_block_merge_config_selectorIilEEZZNS1_27merge_sort_block_merge_implIS3_PiN6thrust23THRUST_200600_302600_NS10device_ptrIlEEjNS1_19radix_merge_compareILb0ELb1EiNS0_19identity_decomposerEEEEE10hipError_tT0_T1_T2_jT3_P12ihipStream_tbPNSt15iterator_traitsISG_E10value_typeEPNSM_ISH_E10value_typeEPSI_NS1_7vsmem_tEENKUlT_SG_SH_SI_E_clIS7_S7_PlSB_EESF_SV_SG_SH_SI_EUlSV_E0_NS1_11comp_targetILNS1_3genE0ELNS1_11target_archE4294967295ELNS1_3gpuE0ELNS1_3repE0EEENS1_38merge_mergepath_config_static_selectorELNS0_4arch9wavefront6targetE1EEEvSH_ ; -- Begin function _ZN7rocprim17ROCPRIM_400000_NS6detail17trampoline_kernelINS0_14default_configENS1_38merge_sort_block_merge_config_selectorIilEEZZNS1_27merge_sort_block_merge_implIS3_PiN6thrust23THRUST_200600_302600_NS10device_ptrIlEEjNS1_19radix_merge_compareILb0ELb1EiNS0_19identity_decomposerEEEEE10hipError_tT0_T1_T2_jT3_P12ihipStream_tbPNSt15iterator_traitsISG_E10value_typeEPNSM_ISH_E10value_typeEPSI_NS1_7vsmem_tEENKUlT_SG_SH_SI_E_clIS7_S7_PlSB_EESF_SV_SG_SH_SI_EUlSV_E0_NS1_11comp_targetILNS1_3genE0ELNS1_11target_archE4294967295ELNS1_3gpuE0ELNS1_3repE0EEENS1_38merge_mergepath_config_static_selectorELNS0_4arch9wavefront6targetE1EEEvSH_
	.globl	_ZN7rocprim17ROCPRIM_400000_NS6detail17trampoline_kernelINS0_14default_configENS1_38merge_sort_block_merge_config_selectorIilEEZZNS1_27merge_sort_block_merge_implIS3_PiN6thrust23THRUST_200600_302600_NS10device_ptrIlEEjNS1_19radix_merge_compareILb0ELb1EiNS0_19identity_decomposerEEEEE10hipError_tT0_T1_T2_jT3_P12ihipStream_tbPNSt15iterator_traitsISG_E10value_typeEPNSM_ISH_E10value_typeEPSI_NS1_7vsmem_tEENKUlT_SG_SH_SI_E_clIS7_S7_PlSB_EESF_SV_SG_SH_SI_EUlSV_E0_NS1_11comp_targetILNS1_3genE0ELNS1_11target_archE4294967295ELNS1_3gpuE0ELNS1_3repE0EEENS1_38merge_mergepath_config_static_selectorELNS0_4arch9wavefront6targetE1EEEvSH_
	.p2align	8
	.type	_ZN7rocprim17ROCPRIM_400000_NS6detail17trampoline_kernelINS0_14default_configENS1_38merge_sort_block_merge_config_selectorIilEEZZNS1_27merge_sort_block_merge_implIS3_PiN6thrust23THRUST_200600_302600_NS10device_ptrIlEEjNS1_19radix_merge_compareILb0ELb1EiNS0_19identity_decomposerEEEEE10hipError_tT0_T1_T2_jT3_P12ihipStream_tbPNSt15iterator_traitsISG_E10value_typeEPNSM_ISH_E10value_typeEPSI_NS1_7vsmem_tEENKUlT_SG_SH_SI_E_clIS7_S7_PlSB_EESF_SV_SG_SH_SI_EUlSV_E0_NS1_11comp_targetILNS1_3genE0ELNS1_11target_archE4294967295ELNS1_3gpuE0ELNS1_3repE0EEENS1_38merge_mergepath_config_static_selectorELNS0_4arch9wavefront6targetE1EEEvSH_,@function
_ZN7rocprim17ROCPRIM_400000_NS6detail17trampoline_kernelINS0_14default_configENS1_38merge_sort_block_merge_config_selectorIilEEZZNS1_27merge_sort_block_merge_implIS3_PiN6thrust23THRUST_200600_302600_NS10device_ptrIlEEjNS1_19radix_merge_compareILb0ELb1EiNS0_19identity_decomposerEEEEE10hipError_tT0_T1_T2_jT3_P12ihipStream_tbPNSt15iterator_traitsISG_E10value_typeEPNSM_ISH_E10value_typeEPSI_NS1_7vsmem_tEENKUlT_SG_SH_SI_E_clIS7_S7_PlSB_EESF_SV_SG_SH_SI_EUlSV_E0_NS1_11comp_targetILNS1_3genE0ELNS1_11target_archE4294967295ELNS1_3gpuE0ELNS1_3repE0EEENS1_38merge_mergepath_config_static_selectorELNS0_4arch9wavefront6targetE1EEEvSH_: ; @_ZN7rocprim17ROCPRIM_400000_NS6detail17trampoline_kernelINS0_14default_configENS1_38merge_sort_block_merge_config_selectorIilEEZZNS1_27merge_sort_block_merge_implIS3_PiN6thrust23THRUST_200600_302600_NS10device_ptrIlEEjNS1_19radix_merge_compareILb0ELb1EiNS0_19identity_decomposerEEEEE10hipError_tT0_T1_T2_jT3_P12ihipStream_tbPNSt15iterator_traitsISG_E10value_typeEPNSM_ISH_E10value_typeEPSI_NS1_7vsmem_tEENKUlT_SG_SH_SI_E_clIS7_S7_PlSB_EESF_SV_SG_SH_SI_EUlSV_E0_NS1_11comp_targetILNS1_3genE0ELNS1_11target_archE4294967295ELNS1_3gpuE0ELNS1_3repE0EEENS1_38merge_mergepath_config_static_selectorELNS0_4arch9wavefront6targetE1EEEvSH_
; %bb.0:
	.section	.rodata,"a",@progbits
	.p2align	6, 0x0
	.amdhsa_kernel _ZN7rocprim17ROCPRIM_400000_NS6detail17trampoline_kernelINS0_14default_configENS1_38merge_sort_block_merge_config_selectorIilEEZZNS1_27merge_sort_block_merge_implIS3_PiN6thrust23THRUST_200600_302600_NS10device_ptrIlEEjNS1_19radix_merge_compareILb0ELb1EiNS0_19identity_decomposerEEEEE10hipError_tT0_T1_T2_jT3_P12ihipStream_tbPNSt15iterator_traitsISG_E10value_typeEPNSM_ISH_E10value_typeEPSI_NS1_7vsmem_tEENKUlT_SG_SH_SI_E_clIS7_S7_PlSB_EESF_SV_SG_SH_SI_EUlSV_E0_NS1_11comp_targetILNS1_3genE0ELNS1_11target_archE4294967295ELNS1_3gpuE0ELNS1_3repE0EEENS1_38merge_mergepath_config_static_selectorELNS0_4arch9wavefront6targetE1EEEvSH_
		.amdhsa_group_segment_fixed_size 0
		.amdhsa_private_segment_fixed_size 0
		.amdhsa_kernarg_size 64
		.amdhsa_user_sgpr_count 6
		.amdhsa_user_sgpr_private_segment_buffer 1
		.amdhsa_user_sgpr_dispatch_ptr 0
		.amdhsa_user_sgpr_queue_ptr 0
		.amdhsa_user_sgpr_kernarg_segment_ptr 1
		.amdhsa_user_sgpr_dispatch_id 0
		.amdhsa_user_sgpr_flat_scratch_init 0
		.amdhsa_user_sgpr_kernarg_preload_length 0
		.amdhsa_user_sgpr_kernarg_preload_offset 0
		.amdhsa_user_sgpr_private_segment_size 0
		.amdhsa_uses_dynamic_stack 0
		.amdhsa_system_sgpr_private_segment_wavefront_offset 0
		.amdhsa_system_sgpr_workgroup_id_x 1
		.amdhsa_system_sgpr_workgroup_id_y 0
		.amdhsa_system_sgpr_workgroup_id_z 0
		.amdhsa_system_sgpr_workgroup_info 0
		.amdhsa_system_vgpr_workitem_id 0
		.amdhsa_next_free_vgpr 1
		.amdhsa_next_free_sgpr 0
		.amdhsa_accum_offset 4
		.amdhsa_reserve_vcc 0
		.amdhsa_reserve_flat_scratch 0
		.amdhsa_float_round_mode_32 0
		.amdhsa_float_round_mode_16_64 0
		.amdhsa_float_denorm_mode_32 3
		.amdhsa_float_denorm_mode_16_64 3
		.amdhsa_dx10_clamp 1
		.amdhsa_ieee_mode 1
		.amdhsa_fp16_overflow 0
		.amdhsa_tg_split 0
		.amdhsa_exception_fp_ieee_invalid_op 0
		.amdhsa_exception_fp_denorm_src 0
		.amdhsa_exception_fp_ieee_div_zero 0
		.amdhsa_exception_fp_ieee_overflow 0
		.amdhsa_exception_fp_ieee_underflow 0
		.amdhsa_exception_fp_ieee_inexact 0
		.amdhsa_exception_int_div_zero 0
	.end_amdhsa_kernel
	.section	.text._ZN7rocprim17ROCPRIM_400000_NS6detail17trampoline_kernelINS0_14default_configENS1_38merge_sort_block_merge_config_selectorIilEEZZNS1_27merge_sort_block_merge_implIS3_PiN6thrust23THRUST_200600_302600_NS10device_ptrIlEEjNS1_19radix_merge_compareILb0ELb1EiNS0_19identity_decomposerEEEEE10hipError_tT0_T1_T2_jT3_P12ihipStream_tbPNSt15iterator_traitsISG_E10value_typeEPNSM_ISH_E10value_typeEPSI_NS1_7vsmem_tEENKUlT_SG_SH_SI_E_clIS7_S7_PlSB_EESF_SV_SG_SH_SI_EUlSV_E0_NS1_11comp_targetILNS1_3genE0ELNS1_11target_archE4294967295ELNS1_3gpuE0ELNS1_3repE0EEENS1_38merge_mergepath_config_static_selectorELNS0_4arch9wavefront6targetE1EEEvSH_,"axG",@progbits,_ZN7rocprim17ROCPRIM_400000_NS6detail17trampoline_kernelINS0_14default_configENS1_38merge_sort_block_merge_config_selectorIilEEZZNS1_27merge_sort_block_merge_implIS3_PiN6thrust23THRUST_200600_302600_NS10device_ptrIlEEjNS1_19radix_merge_compareILb0ELb1EiNS0_19identity_decomposerEEEEE10hipError_tT0_T1_T2_jT3_P12ihipStream_tbPNSt15iterator_traitsISG_E10value_typeEPNSM_ISH_E10value_typeEPSI_NS1_7vsmem_tEENKUlT_SG_SH_SI_E_clIS7_S7_PlSB_EESF_SV_SG_SH_SI_EUlSV_E0_NS1_11comp_targetILNS1_3genE0ELNS1_11target_archE4294967295ELNS1_3gpuE0ELNS1_3repE0EEENS1_38merge_mergepath_config_static_selectorELNS0_4arch9wavefront6targetE1EEEvSH_,comdat
.Lfunc_end808:
	.size	_ZN7rocprim17ROCPRIM_400000_NS6detail17trampoline_kernelINS0_14default_configENS1_38merge_sort_block_merge_config_selectorIilEEZZNS1_27merge_sort_block_merge_implIS3_PiN6thrust23THRUST_200600_302600_NS10device_ptrIlEEjNS1_19radix_merge_compareILb0ELb1EiNS0_19identity_decomposerEEEEE10hipError_tT0_T1_T2_jT3_P12ihipStream_tbPNSt15iterator_traitsISG_E10value_typeEPNSM_ISH_E10value_typeEPSI_NS1_7vsmem_tEENKUlT_SG_SH_SI_E_clIS7_S7_PlSB_EESF_SV_SG_SH_SI_EUlSV_E0_NS1_11comp_targetILNS1_3genE0ELNS1_11target_archE4294967295ELNS1_3gpuE0ELNS1_3repE0EEENS1_38merge_mergepath_config_static_selectorELNS0_4arch9wavefront6targetE1EEEvSH_, .Lfunc_end808-_ZN7rocprim17ROCPRIM_400000_NS6detail17trampoline_kernelINS0_14default_configENS1_38merge_sort_block_merge_config_selectorIilEEZZNS1_27merge_sort_block_merge_implIS3_PiN6thrust23THRUST_200600_302600_NS10device_ptrIlEEjNS1_19radix_merge_compareILb0ELb1EiNS0_19identity_decomposerEEEEE10hipError_tT0_T1_T2_jT3_P12ihipStream_tbPNSt15iterator_traitsISG_E10value_typeEPNSM_ISH_E10value_typeEPSI_NS1_7vsmem_tEENKUlT_SG_SH_SI_E_clIS7_S7_PlSB_EESF_SV_SG_SH_SI_EUlSV_E0_NS1_11comp_targetILNS1_3genE0ELNS1_11target_archE4294967295ELNS1_3gpuE0ELNS1_3repE0EEENS1_38merge_mergepath_config_static_selectorELNS0_4arch9wavefront6targetE1EEEvSH_
                                        ; -- End function
	.section	.AMDGPU.csdata,"",@progbits
; Kernel info:
; codeLenInByte = 0
; NumSgprs: 4
; NumVgprs: 0
; NumAgprs: 0
; TotalNumVgprs: 0
; ScratchSize: 0
; MemoryBound: 0
; FloatMode: 240
; IeeeMode: 1
; LDSByteSize: 0 bytes/workgroup (compile time only)
; SGPRBlocks: 0
; VGPRBlocks: 0
; NumSGPRsForWavesPerEU: 4
; NumVGPRsForWavesPerEU: 1
; AccumOffset: 4
; Occupancy: 8
; WaveLimiterHint : 0
; COMPUTE_PGM_RSRC2:SCRATCH_EN: 0
; COMPUTE_PGM_RSRC2:USER_SGPR: 6
; COMPUTE_PGM_RSRC2:TRAP_HANDLER: 0
; COMPUTE_PGM_RSRC2:TGID_X_EN: 1
; COMPUTE_PGM_RSRC2:TGID_Y_EN: 0
; COMPUTE_PGM_RSRC2:TGID_Z_EN: 0
; COMPUTE_PGM_RSRC2:TIDIG_COMP_CNT: 0
; COMPUTE_PGM_RSRC3_GFX90A:ACCUM_OFFSET: 0
; COMPUTE_PGM_RSRC3_GFX90A:TG_SPLIT: 0
	.section	.text._ZN7rocprim17ROCPRIM_400000_NS6detail17trampoline_kernelINS0_14default_configENS1_38merge_sort_block_merge_config_selectorIilEEZZNS1_27merge_sort_block_merge_implIS3_PiN6thrust23THRUST_200600_302600_NS10device_ptrIlEEjNS1_19radix_merge_compareILb0ELb1EiNS0_19identity_decomposerEEEEE10hipError_tT0_T1_T2_jT3_P12ihipStream_tbPNSt15iterator_traitsISG_E10value_typeEPNSM_ISH_E10value_typeEPSI_NS1_7vsmem_tEENKUlT_SG_SH_SI_E_clIS7_S7_PlSB_EESF_SV_SG_SH_SI_EUlSV_E0_NS1_11comp_targetILNS1_3genE10ELNS1_11target_archE1201ELNS1_3gpuE5ELNS1_3repE0EEENS1_38merge_mergepath_config_static_selectorELNS0_4arch9wavefront6targetE1EEEvSH_,"axG",@progbits,_ZN7rocprim17ROCPRIM_400000_NS6detail17trampoline_kernelINS0_14default_configENS1_38merge_sort_block_merge_config_selectorIilEEZZNS1_27merge_sort_block_merge_implIS3_PiN6thrust23THRUST_200600_302600_NS10device_ptrIlEEjNS1_19radix_merge_compareILb0ELb1EiNS0_19identity_decomposerEEEEE10hipError_tT0_T1_T2_jT3_P12ihipStream_tbPNSt15iterator_traitsISG_E10value_typeEPNSM_ISH_E10value_typeEPSI_NS1_7vsmem_tEENKUlT_SG_SH_SI_E_clIS7_S7_PlSB_EESF_SV_SG_SH_SI_EUlSV_E0_NS1_11comp_targetILNS1_3genE10ELNS1_11target_archE1201ELNS1_3gpuE5ELNS1_3repE0EEENS1_38merge_mergepath_config_static_selectorELNS0_4arch9wavefront6targetE1EEEvSH_,comdat
	.protected	_ZN7rocprim17ROCPRIM_400000_NS6detail17trampoline_kernelINS0_14default_configENS1_38merge_sort_block_merge_config_selectorIilEEZZNS1_27merge_sort_block_merge_implIS3_PiN6thrust23THRUST_200600_302600_NS10device_ptrIlEEjNS1_19radix_merge_compareILb0ELb1EiNS0_19identity_decomposerEEEEE10hipError_tT0_T1_T2_jT3_P12ihipStream_tbPNSt15iterator_traitsISG_E10value_typeEPNSM_ISH_E10value_typeEPSI_NS1_7vsmem_tEENKUlT_SG_SH_SI_E_clIS7_S7_PlSB_EESF_SV_SG_SH_SI_EUlSV_E0_NS1_11comp_targetILNS1_3genE10ELNS1_11target_archE1201ELNS1_3gpuE5ELNS1_3repE0EEENS1_38merge_mergepath_config_static_selectorELNS0_4arch9wavefront6targetE1EEEvSH_ ; -- Begin function _ZN7rocprim17ROCPRIM_400000_NS6detail17trampoline_kernelINS0_14default_configENS1_38merge_sort_block_merge_config_selectorIilEEZZNS1_27merge_sort_block_merge_implIS3_PiN6thrust23THRUST_200600_302600_NS10device_ptrIlEEjNS1_19radix_merge_compareILb0ELb1EiNS0_19identity_decomposerEEEEE10hipError_tT0_T1_T2_jT3_P12ihipStream_tbPNSt15iterator_traitsISG_E10value_typeEPNSM_ISH_E10value_typeEPSI_NS1_7vsmem_tEENKUlT_SG_SH_SI_E_clIS7_S7_PlSB_EESF_SV_SG_SH_SI_EUlSV_E0_NS1_11comp_targetILNS1_3genE10ELNS1_11target_archE1201ELNS1_3gpuE5ELNS1_3repE0EEENS1_38merge_mergepath_config_static_selectorELNS0_4arch9wavefront6targetE1EEEvSH_
	.globl	_ZN7rocprim17ROCPRIM_400000_NS6detail17trampoline_kernelINS0_14default_configENS1_38merge_sort_block_merge_config_selectorIilEEZZNS1_27merge_sort_block_merge_implIS3_PiN6thrust23THRUST_200600_302600_NS10device_ptrIlEEjNS1_19radix_merge_compareILb0ELb1EiNS0_19identity_decomposerEEEEE10hipError_tT0_T1_T2_jT3_P12ihipStream_tbPNSt15iterator_traitsISG_E10value_typeEPNSM_ISH_E10value_typeEPSI_NS1_7vsmem_tEENKUlT_SG_SH_SI_E_clIS7_S7_PlSB_EESF_SV_SG_SH_SI_EUlSV_E0_NS1_11comp_targetILNS1_3genE10ELNS1_11target_archE1201ELNS1_3gpuE5ELNS1_3repE0EEENS1_38merge_mergepath_config_static_selectorELNS0_4arch9wavefront6targetE1EEEvSH_
	.p2align	8
	.type	_ZN7rocprim17ROCPRIM_400000_NS6detail17trampoline_kernelINS0_14default_configENS1_38merge_sort_block_merge_config_selectorIilEEZZNS1_27merge_sort_block_merge_implIS3_PiN6thrust23THRUST_200600_302600_NS10device_ptrIlEEjNS1_19radix_merge_compareILb0ELb1EiNS0_19identity_decomposerEEEEE10hipError_tT0_T1_T2_jT3_P12ihipStream_tbPNSt15iterator_traitsISG_E10value_typeEPNSM_ISH_E10value_typeEPSI_NS1_7vsmem_tEENKUlT_SG_SH_SI_E_clIS7_S7_PlSB_EESF_SV_SG_SH_SI_EUlSV_E0_NS1_11comp_targetILNS1_3genE10ELNS1_11target_archE1201ELNS1_3gpuE5ELNS1_3repE0EEENS1_38merge_mergepath_config_static_selectorELNS0_4arch9wavefront6targetE1EEEvSH_,@function
_ZN7rocprim17ROCPRIM_400000_NS6detail17trampoline_kernelINS0_14default_configENS1_38merge_sort_block_merge_config_selectorIilEEZZNS1_27merge_sort_block_merge_implIS3_PiN6thrust23THRUST_200600_302600_NS10device_ptrIlEEjNS1_19radix_merge_compareILb0ELb1EiNS0_19identity_decomposerEEEEE10hipError_tT0_T1_T2_jT3_P12ihipStream_tbPNSt15iterator_traitsISG_E10value_typeEPNSM_ISH_E10value_typeEPSI_NS1_7vsmem_tEENKUlT_SG_SH_SI_E_clIS7_S7_PlSB_EESF_SV_SG_SH_SI_EUlSV_E0_NS1_11comp_targetILNS1_3genE10ELNS1_11target_archE1201ELNS1_3gpuE5ELNS1_3repE0EEENS1_38merge_mergepath_config_static_selectorELNS0_4arch9wavefront6targetE1EEEvSH_: ; @_ZN7rocprim17ROCPRIM_400000_NS6detail17trampoline_kernelINS0_14default_configENS1_38merge_sort_block_merge_config_selectorIilEEZZNS1_27merge_sort_block_merge_implIS3_PiN6thrust23THRUST_200600_302600_NS10device_ptrIlEEjNS1_19radix_merge_compareILb0ELb1EiNS0_19identity_decomposerEEEEE10hipError_tT0_T1_T2_jT3_P12ihipStream_tbPNSt15iterator_traitsISG_E10value_typeEPNSM_ISH_E10value_typeEPSI_NS1_7vsmem_tEENKUlT_SG_SH_SI_E_clIS7_S7_PlSB_EESF_SV_SG_SH_SI_EUlSV_E0_NS1_11comp_targetILNS1_3genE10ELNS1_11target_archE1201ELNS1_3gpuE5ELNS1_3repE0EEENS1_38merge_mergepath_config_static_selectorELNS0_4arch9wavefront6targetE1EEEvSH_
; %bb.0:
	.section	.rodata,"a",@progbits
	.p2align	6, 0x0
	.amdhsa_kernel _ZN7rocprim17ROCPRIM_400000_NS6detail17trampoline_kernelINS0_14default_configENS1_38merge_sort_block_merge_config_selectorIilEEZZNS1_27merge_sort_block_merge_implIS3_PiN6thrust23THRUST_200600_302600_NS10device_ptrIlEEjNS1_19radix_merge_compareILb0ELb1EiNS0_19identity_decomposerEEEEE10hipError_tT0_T1_T2_jT3_P12ihipStream_tbPNSt15iterator_traitsISG_E10value_typeEPNSM_ISH_E10value_typeEPSI_NS1_7vsmem_tEENKUlT_SG_SH_SI_E_clIS7_S7_PlSB_EESF_SV_SG_SH_SI_EUlSV_E0_NS1_11comp_targetILNS1_3genE10ELNS1_11target_archE1201ELNS1_3gpuE5ELNS1_3repE0EEENS1_38merge_mergepath_config_static_selectorELNS0_4arch9wavefront6targetE1EEEvSH_
		.amdhsa_group_segment_fixed_size 0
		.amdhsa_private_segment_fixed_size 0
		.amdhsa_kernarg_size 64
		.amdhsa_user_sgpr_count 6
		.amdhsa_user_sgpr_private_segment_buffer 1
		.amdhsa_user_sgpr_dispatch_ptr 0
		.amdhsa_user_sgpr_queue_ptr 0
		.amdhsa_user_sgpr_kernarg_segment_ptr 1
		.amdhsa_user_sgpr_dispatch_id 0
		.amdhsa_user_sgpr_flat_scratch_init 0
		.amdhsa_user_sgpr_kernarg_preload_length 0
		.amdhsa_user_sgpr_kernarg_preload_offset 0
		.amdhsa_user_sgpr_private_segment_size 0
		.amdhsa_uses_dynamic_stack 0
		.amdhsa_system_sgpr_private_segment_wavefront_offset 0
		.amdhsa_system_sgpr_workgroup_id_x 1
		.amdhsa_system_sgpr_workgroup_id_y 0
		.amdhsa_system_sgpr_workgroup_id_z 0
		.amdhsa_system_sgpr_workgroup_info 0
		.amdhsa_system_vgpr_workitem_id 0
		.amdhsa_next_free_vgpr 1
		.amdhsa_next_free_sgpr 0
		.amdhsa_accum_offset 4
		.amdhsa_reserve_vcc 0
		.amdhsa_reserve_flat_scratch 0
		.amdhsa_float_round_mode_32 0
		.amdhsa_float_round_mode_16_64 0
		.amdhsa_float_denorm_mode_32 3
		.amdhsa_float_denorm_mode_16_64 3
		.amdhsa_dx10_clamp 1
		.amdhsa_ieee_mode 1
		.amdhsa_fp16_overflow 0
		.amdhsa_tg_split 0
		.amdhsa_exception_fp_ieee_invalid_op 0
		.amdhsa_exception_fp_denorm_src 0
		.amdhsa_exception_fp_ieee_div_zero 0
		.amdhsa_exception_fp_ieee_overflow 0
		.amdhsa_exception_fp_ieee_underflow 0
		.amdhsa_exception_fp_ieee_inexact 0
		.amdhsa_exception_int_div_zero 0
	.end_amdhsa_kernel
	.section	.text._ZN7rocprim17ROCPRIM_400000_NS6detail17trampoline_kernelINS0_14default_configENS1_38merge_sort_block_merge_config_selectorIilEEZZNS1_27merge_sort_block_merge_implIS3_PiN6thrust23THRUST_200600_302600_NS10device_ptrIlEEjNS1_19radix_merge_compareILb0ELb1EiNS0_19identity_decomposerEEEEE10hipError_tT0_T1_T2_jT3_P12ihipStream_tbPNSt15iterator_traitsISG_E10value_typeEPNSM_ISH_E10value_typeEPSI_NS1_7vsmem_tEENKUlT_SG_SH_SI_E_clIS7_S7_PlSB_EESF_SV_SG_SH_SI_EUlSV_E0_NS1_11comp_targetILNS1_3genE10ELNS1_11target_archE1201ELNS1_3gpuE5ELNS1_3repE0EEENS1_38merge_mergepath_config_static_selectorELNS0_4arch9wavefront6targetE1EEEvSH_,"axG",@progbits,_ZN7rocprim17ROCPRIM_400000_NS6detail17trampoline_kernelINS0_14default_configENS1_38merge_sort_block_merge_config_selectorIilEEZZNS1_27merge_sort_block_merge_implIS3_PiN6thrust23THRUST_200600_302600_NS10device_ptrIlEEjNS1_19radix_merge_compareILb0ELb1EiNS0_19identity_decomposerEEEEE10hipError_tT0_T1_T2_jT3_P12ihipStream_tbPNSt15iterator_traitsISG_E10value_typeEPNSM_ISH_E10value_typeEPSI_NS1_7vsmem_tEENKUlT_SG_SH_SI_E_clIS7_S7_PlSB_EESF_SV_SG_SH_SI_EUlSV_E0_NS1_11comp_targetILNS1_3genE10ELNS1_11target_archE1201ELNS1_3gpuE5ELNS1_3repE0EEENS1_38merge_mergepath_config_static_selectorELNS0_4arch9wavefront6targetE1EEEvSH_,comdat
.Lfunc_end809:
	.size	_ZN7rocprim17ROCPRIM_400000_NS6detail17trampoline_kernelINS0_14default_configENS1_38merge_sort_block_merge_config_selectorIilEEZZNS1_27merge_sort_block_merge_implIS3_PiN6thrust23THRUST_200600_302600_NS10device_ptrIlEEjNS1_19radix_merge_compareILb0ELb1EiNS0_19identity_decomposerEEEEE10hipError_tT0_T1_T2_jT3_P12ihipStream_tbPNSt15iterator_traitsISG_E10value_typeEPNSM_ISH_E10value_typeEPSI_NS1_7vsmem_tEENKUlT_SG_SH_SI_E_clIS7_S7_PlSB_EESF_SV_SG_SH_SI_EUlSV_E0_NS1_11comp_targetILNS1_3genE10ELNS1_11target_archE1201ELNS1_3gpuE5ELNS1_3repE0EEENS1_38merge_mergepath_config_static_selectorELNS0_4arch9wavefront6targetE1EEEvSH_, .Lfunc_end809-_ZN7rocprim17ROCPRIM_400000_NS6detail17trampoline_kernelINS0_14default_configENS1_38merge_sort_block_merge_config_selectorIilEEZZNS1_27merge_sort_block_merge_implIS3_PiN6thrust23THRUST_200600_302600_NS10device_ptrIlEEjNS1_19radix_merge_compareILb0ELb1EiNS0_19identity_decomposerEEEEE10hipError_tT0_T1_T2_jT3_P12ihipStream_tbPNSt15iterator_traitsISG_E10value_typeEPNSM_ISH_E10value_typeEPSI_NS1_7vsmem_tEENKUlT_SG_SH_SI_E_clIS7_S7_PlSB_EESF_SV_SG_SH_SI_EUlSV_E0_NS1_11comp_targetILNS1_3genE10ELNS1_11target_archE1201ELNS1_3gpuE5ELNS1_3repE0EEENS1_38merge_mergepath_config_static_selectorELNS0_4arch9wavefront6targetE1EEEvSH_
                                        ; -- End function
	.section	.AMDGPU.csdata,"",@progbits
; Kernel info:
; codeLenInByte = 0
; NumSgprs: 4
; NumVgprs: 0
; NumAgprs: 0
; TotalNumVgprs: 0
; ScratchSize: 0
; MemoryBound: 0
; FloatMode: 240
; IeeeMode: 1
; LDSByteSize: 0 bytes/workgroup (compile time only)
; SGPRBlocks: 0
; VGPRBlocks: 0
; NumSGPRsForWavesPerEU: 4
; NumVGPRsForWavesPerEU: 1
; AccumOffset: 4
; Occupancy: 8
; WaveLimiterHint : 0
; COMPUTE_PGM_RSRC2:SCRATCH_EN: 0
; COMPUTE_PGM_RSRC2:USER_SGPR: 6
; COMPUTE_PGM_RSRC2:TRAP_HANDLER: 0
; COMPUTE_PGM_RSRC2:TGID_X_EN: 1
; COMPUTE_PGM_RSRC2:TGID_Y_EN: 0
; COMPUTE_PGM_RSRC2:TGID_Z_EN: 0
; COMPUTE_PGM_RSRC2:TIDIG_COMP_CNT: 0
; COMPUTE_PGM_RSRC3_GFX90A:ACCUM_OFFSET: 0
; COMPUTE_PGM_RSRC3_GFX90A:TG_SPLIT: 0
	.section	.text._ZN7rocprim17ROCPRIM_400000_NS6detail17trampoline_kernelINS0_14default_configENS1_38merge_sort_block_merge_config_selectorIilEEZZNS1_27merge_sort_block_merge_implIS3_PiN6thrust23THRUST_200600_302600_NS10device_ptrIlEEjNS1_19radix_merge_compareILb0ELb1EiNS0_19identity_decomposerEEEEE10hipError_tT0_T1_T2_jT3_P12ihipStream_tbPNSt15iterator_traitsISG_E10value_typeEPNSM_ISH_E10value_typeEPSI_NS1_7vsmem_tEENKUlT_SG_SH_SI_E_clIS7_S7_PlSB_EESF_SV_SG_SH_SI_EUlSV_E0_NS1_11comp_targetILNS1_3genE5ELNS1_11target_archE942ELNS1_3gpuE9ELNS1_3repE0EEENS1_38merge_mergepath_config_static_selectorELNS0_4arch9wavefront6targetE1EEEvSH_,"axG",@progbits,_ZN7rocprim17ROCPRIM_400000_NS6detail17trampoline_kernelINS0_14default_configENS1_38merge_sort_block_merge_config_selectorIilEEZZNS1_27merge_sort_block_merge_implIS3_PiN6thrust23THRUST_200600_302600_NS10device_ptrIlEEjNS1_19radix_merge_compareILb0ELb1EiNS0_19identity_decomposerEEEEE10hipError_tT0_T1_T2_jT3_P12ihipStream_tbPNSt15iterator_traitsISG_E10value_typeEPNSM_ISH_E10value_typeEPSI_NS1_7vsmem_tEENKUlT_SG_SH_SI_E_clIS7_S7_PlSB_EESF_SV_SG_SH_SI_EUlSV_E0_NS1_11comp_targetILNS1_3genE5ELNS1_11target_archE942ELNS1_3gpuE9ELNS1_3repE0EEENS1_38merge_mergepath_config_static_selectorELNS0_4arch9wavefront6targetE1EEEvSH_,comdat
	.protected	_ZN7rocprim17ROCPRIM_400000_NS6detail17trampoline_kernelINS0_14default_configENS1_38merge_sort_block_merge_config_selectorIilEEZZNS1_27merge_sort_block_merge_implIS3_PiN6thrust23THRUST_200600_302600_NS10device_ptrIlEEjNS1_19radix_merge_compareILb0ELb1EiNS0_19identity_decomposerEEEEE10hipError_tT0_T1_T2_jT3_P12ihipStream_tbPNSt15iterator_traitsISG_E10value_typeEPNSM_ISH_E10value_typeEPSI_NS1_7vsmem_tEENKUlT_SG_SH_SI_E_clIS7_S7_PlSB_EESF_SV_SG_SH_SI_EUlSV_E0_NS1_11comp_targetILNS1_3genE5ELNS1_11target_archE942ELNS1_3gpuE9ELNS1_3repE0EEENS1_38merge_mergepath_config_static_selectorELNS0_4arch9wavefront6targetE1EEEvSH_ ; -- Begin function _ZN7rocprim17ROCPRIM_400000_NS6detail17trampoline_kernelINS0_14default_configENS1_38merge_sort_block_merge_config_selectorIilEEZZNS1_27merge_sort_block_merge_implIS3_PiN6thrust23THRUST_200600_302600_NS10device_ptrIlEEjNS1_19radix_merge_compareILb0ELb1EiNS0_19identity_decomposerEEEEE10hipError_tT0_T1_T2_jT3_P12ihipStream_tbPNSt15iterator_traitsISG_E10value_typeEPNSM_ISH_E10value_typeEPSI_NS1_7vsmem_tEENKUlT_SG_SH_SI_E_clIS7_S7_PlSB_EESF_SV_SG_SH_SI_EUlSV_E0_NS1_11comp_targetILNS1_3genE5ELNS1_11target_archE942ELNS1_3gpuE9ELNS1_3repE0EEENS1_38merge_mergepath_config_static_selectorELNS0_4arch9wavefront6targetE1EEEvSH_
	.globl	_ZN7rocprim17ROCPRIM_400000_NS6detail17trampoline_kernelINS0_14default_configENS1_38merge_sort_block_merge_config_selectorIilEEZZNS1_27merge_sort_block_merge_implIS3_PiN6thrust23THRUST_200600_302600_NS10device_ptrIlEEjNS1_19radix_merge_compareILb0ELb1EiNS0_19identity_decomposerEEEEE10hipError_tT0_T1_T2_jT3_P12ihipStream_tbPNSt15iterator_traitsISG_E10value_typeEPNSM_ISH_E10value_typeEPSI_NS1_7vsmem_tEENKUlT_SG_SH_SI_E_clIS7_S7_PlSB_EESF_SV_SG_SH_SI_EUlSV_E0_NS1_11comp_targetILNS1_3genE5ELNS1_11target_archE942ELNS1_3gpuE9ELNS1_3repE0EEENS1_38merge_mergepath_config_static_selectorELNS0_4arch9wavefront6targetE1EEEvSH_
	.p2align	8
	.type	_ZN7rocprim17ROCPRIM_400000_NS6detail17trampoline_kernelINS0_14default_configENS1_38merge_sort_block_merge_config_selectorIilEEZZNS1_27merge_sort_block_merge_implIS3_PiN6thrust23THRUST_200600_302600_NS10device_ptrIlEEjNS1_19radix_merge_compareILb0ELb1EiNS0_19identity_decomposerEEEEE10hipError_tT0_T1_T2_jT3_P12ihipStream_tbPNSt15iterator_traitsISG_E10value_typeEPNSM_ISH_E10value_typeEPSI_NS1_7vsmem_tEENKUlT_SG_SH_SI_E_clIS7_S7_PlSB_EESF_SV_SG_SH_SI_EUlSV_E0_NS1_11comp_targetILNS1_3genE5ELNS1_11target_archE942ELNS1_3gpuE9ELNS1_3repE0EEENS1_38merge_mergepath_config_static_selectorELNS0_4arch9wavefront6targetE1EEEvSH_,@function
_ZN7rocprim17ROCPRIM_400000_NS6detail17trampoline_kernelINS0_14default_configENS1_38merge_sort_block_merge_config_selectorIilEEZZNS1_27merge_sort_block_merge_implIS3_PiN6thrust23THRUST_200600_302600_NS10device_ptrIlEEjNS1_19radix_merge_compareILb0ELb1EiNS0_19identity_decomposerEEEEE10hipError_tT0_T1_T2_jT3_P12ihipStream_tbPNSt15iterator_traitsISG_E10value_typeEPNSM_ISH_E10value_typeEPSI_NS1_7vsmem_tEENKUlT_SG_SH_SI_E_clIS7_S7_PlSB_EESF_SV_SG_SH_SI_EUlSV_E0_NS1_11comp_targetILNS1_3genE5ELNS1_11target_archE942ELNS1_3gpuE9ELNS1_3repE0EEENS1_38merge_mergepath_config_static_selectorELNS0_4arch9wavefront6targetE1EEEvSH_: ; @_ZN7rocprim17ROCPRIM_400000_NS6detail17trampoline_kernelINS0_14default_configENS1_38merge_sort_block_merge_config_selectorIilEEZZNS1_27merge_sort_block_merge_implIS3_PiN6thrust23THRUST_200600_302600_NS10device_ptrIlEEjNS1_19radix_merge_compareILb0ELb1EiNS0_19identity_decomposerEEEEE10hipError_tT0_T1_T2_jT3_P12ihipStream_tbPNSt15iterator_traitsISG_E10value_typeEPNSM_ISH_E10value_typeEPSI_NS1_7vsmem_tEENKUlT_SG_SH_SI_E_clIS7_S7_PlSB_EESF_SV_SG_SH_SI_EUlSV_E0_NS1_11comp_targetILNS1_3genE5ELNS1_11target_archE942ELNS1_3gpuE9ELNS1_3repE0EEENS1_38merge_mergepath_config_static_selectorELNS0_4arch9wavefront6targetE1EEEvSH_
; %bb.0:
	.section	.rodata,"a",@progbits
	.p2align	6, 0x0
	.amdhsa_kernel _ZN7rocprim17ROCPRIM_400000_NS6detail17trampoline_kernelINS0_14default_configENS1_38merge_sort_block_merge_config_selectorIilEEZZNS1_27merge_sort_block_merge_implIS3_PiN6thrust23THRUST_200600_302600_NS10device_ptrIlEEjNS1_19radix_merge_compareILb0ELb1EiNS0_19identity_decomposerEEEEE10hipError_tT0_T1_T2_jT3_P12ihipStream_tbPNSt15iterator_traitsISG_E10value_typeEPNSM_ISH_E10value_typeEPSI_NS1_7vsmem_tEENKUlT_SG_SH_SI_E_clIS7_S7_PlSB_EESF_SV_SG_SH_SI_EUlSV_E0_NS1_11comp_targetILNS1_3genE5ELNS1_11target_archE942ELNS1_3gpuE9ELNS1_3repE0EEENS1_38merge_mergepath_config_static_selectorELNS0_4arch9wavefront6targetE1EEEvSH_
		.amdhsa_group_segment_fixed_size 0
		.amdhsa_private_segment_fixed_size 0
		.amdhsa_kernarg_size 64
		.amdhsa_user_sgpr_count 6
		.amdhsa_user_sgpr_private_segment_buffer 1
		.amdhsa_user_sgpr_dispatch_ptr 0
		.amdhsa_user_sgpr_queue_ptr 0
		.amdhsa_user_sgpr_kernarg_segment_ptr 1
		.amdhsa_user_sgpr_dispatch_id 0
		.amdhsa_user_sgpr_flat_scratch_init 0
		.amdhsa_user_sgpr_kernarg_preload_length 0
		.amdhsa_user_sgpr_kernarg_preload_offset 0
		.amdhsa_user_sgpr_private_segment_size 0
		.amdhsa_uses_dynamic_stack 0
		.amdhsa_system_sgpr_private_segment_wavefront_offset 0
		.amdhsa_system_sgpr_workgroup_id_x 1
		.amdhsa_system_sgpr_workgroup_id_y 0
		.amdhsa_system_sgpr_workgroup_id_z 0
		.amdhsa_system_sgpr_workgroup_info 0
		.amdhsa_system_vgpr_workitem_id 0
		.amdhsa_next_free_vgpr 1
		.amdhsa_next_free_sgpr 0
		.amdhsa_accum_offset 4
		.amdhsa_reserve_vcc 0
		.amdhsa_reserve_flat_scratch 0
		.amdhsa_float_round_mode_32 0
		.amdhsa_float_round_mode_16_64 0
		.amdhsa_float_denorm_mode_32 3
		.amdhsa_float_denorm_mode_16_64 3
		.amdhsa_dx10_clamp 1
		.amdhsa_ieee_mode 1
		.amdhsa_fp16_overflow 0
		.amdhsa_tg_split 0
		.amdhsa_exception_fp_ieee_invalid_op 0
		.amdhsa_exception_fp_denorm_src 0
		.amdhsa_exception_fp_ieee_div_zero 0
		.amdhsa_exception_fp_ieee_overflow 0
		.amdhsa_exception_fp_ieee_underflow 0
		.amdhsa_exception_fp_ieee_inexact 0
		.amdhsa_exception_int_div_zero 0
	.end_amdhsa_kernel
	.section	.text._ZN7rocprim17ROCPRIM_400000_NS6detail17trampoline_kernelINS0_14default_configENS1_38merge_sort_block_merge_config_selectorIilEEZZNS1_27merge_sort_block_merge_implIS3_PiN6thrust23THRUST_200600_302600_NS10device_ptrIlEEjNS1_19radix_merge_compareILb0ELb1EiNS0_19identity_decomposerEEEEE10hipError_tT0_T1_T2_jT3_P12ihipStream_tbPNSt15iterator_traitsISG_E10value_typeEPNSM_ISH_E10value_typeEPSI_NS1_7vsmem_tEENKUlT_SG_SH_SI_E_clIS7_S7_PlSB_EESF_SV_SG_SH_SI_EUlSV_E0_NS1_11comp_targetILNS1_3genE5ELNS1_11target_archE942ELNS1_3gpuE9ELNS1_3repE0EEENS1_38merge_mergepath_config_static_selectorELNS0_4arch9wavefront6targetE1EEEvSH_,"axG",@progbits,_ZN7rocprim17ROCPRIM_400000_NS6detail17trampoline_kernelINS0_14default_configENS1_38merge_sort_block_merge_config_selectorIilEEZZNS1_27merge_sort_block_merge_implIS3_PiN6thrust23THRUST_200600_302600_NS10device_ptrIlEEjNS1_19radix_merge_compareILb0ELb1EiNS0_19identity_decomposerEEEEE10hipError_tT0_T1_T2_jT3_P12ihipStream_tbPNSt15iterator_traitsISG_E10value_typeEPNSM_ISH_E10value_typeEPSI_NS1_7vsmem_tEENKUlT_SG_SH_SI_E_clIS7_S7_PlSB_EESF_SV_SG_SH_SI_EUlSV_E0_NS1_11comp_targetILNS1_3genE5ELNS1_11target_archE942ELNS1_3gpuE9ELNS1_3repE0EEENS1_38merge_mergepath_config_static_selectorELNS0_4arch9wavefront6targetE1EEEvSH_,comdat
.Lfunc_end810:
	.size	_ZN7rocprim17ROCPRIM_400000_NS6detail17trampoline_kernelINS0_14default_configENS1_38merge_sort_block_merge_config_selectorIilEEZZNS1_27merge_sort_block_merge_implIS3_PiN6thrust23THRUST_200600_302600_NS10device_ptrIlEEjNS1_19radix_merge_compareILb0ELb1EiNS0_19identity_decomposerEEEEE10hipError_tT0_T1_T2_jT3_P12ihipStream_tbPNSt15iterator_traitsISG_E10value_typeEPNSM_ISH_E10value_typeEPSI_NS1_7vsmem_tEENKUlT_SG_SH_SI_E_clIS7_S7_PlSB_EESF_SV_SG_SH_SI_EUlSV_E0_NS1_11comp_targetILNS1_3genE5ELNS1_11target_archE942ELNS1_3gpuE9ELNS1_3repE0EEENS1_38merge_mergepath_config_static_selectorELNS0_4arch9wavefront6targetE1EEEvSH_, .Lfunc_end810-_ZN7rocprim17ROCPRIM_400000_NS6detail17trampoline_kernelINS0_14default_configENS1_38merge_sort_block_merge_config_selectorIilEEZZNS1_27merge_sort_block_merge_implIS3_PiN6thrust23THRUST_200600_302600_NS10device_ptrIlEEjNS1_19radix_merge_compareILb0ELb1EiNS0_19identity_decomposerEEEEE10hipError_tT0_T1_T2_jT3_P12ihipStream_tbPNSt15iterator_traitsISG_E10value_typeEPNSM_ISH_E10value_typeEPSI_NS1_7vsmem_tEENKUlT_SG_SH_SI_E_clIS7_S7_PlSB_EESF_SV_SG_SH_SI_EUlSV_E0_NS1_11comp_targetILNS1_3genE5ELNS1_11target_archE942ELNS1_3gpuE9ELNS1_3repE0EEENS1_38merge_mergepath_config_static_selectorELNS0_4arch9wavefront6targetE1EEEvSH_
                                        ; -- End function
	.section	.AMDGPU.csdata,"",@progbits
; Kernel info:
; codeLenInByte = 0
; NumSgprs: 4
; NumVgprs: 0
; NumAgprs: 0
; TotalNumVgprs: 0
; ScratchSize: 0
; MemoryBound: 0
; FloatMode: 240
; IeeeMode: 1
; LDSByteSize: 0 bytes/workgroup (compile time only)
; SGPRBlocks: 0
; VGPRBlocks: 0
; NumSGPRsForWavesPerEU: 4
; NumVGPRsForWavesPerEU: 1
; AccumOffset: 4
; Occupancy: 8
; WaveLimiterHint : 0
; COMPUTE_PGM_RSRC2:SCRATCH_EN: 0
; COMPUTE_PGM_RSRC2:USER_SGPR: 6
; COMPUTE_PGM_RSRC2:TRAP_HANDLER: 0
; COMPUTE_PGM_RSRC2:TGID_X_EN: 1
; COMPUTE_PGM_RSRC2:TGID_Y_EN: 0
; COMPUTE_PGM_RSRC2:TGID_Z_EN: 0
; COMPUTE_PGM_RSRC2:TIDIG_COMP_CNT: 0
; COMPUTE_PGM_RSRC3_GFX90A:ACCUM_OFFSET: 0
; COMPUTE_PGM_RSRC3_GFX90A:TG_SPLIT: 0
	.section	.text._ZN7rocprim17ROCPRIM_400000_NS6detail17trampoline_kernelINS0_14default_configENS1_38merge_sort_block_merge_config_selectorIilEEZZNS1_27merge_sort_block_merge_implIS3_PiN6thrust23THRUST_200600_302600_NS10device_ptrIlEEjNS1_19radix_merge_compareILb0ELb1EiNS0_19identity_decomposerEEEEE10hipError_tT0_T1_T2_jT3_P12ihipStream_tbPNSt15iterator_traitsISG_E10value_typeEPNSM_ISH_E10value_typeEPSI_NS1_7vsmem_tEENKUlT_SG_SH_SI_E_clIS7_S7_PlSB_EESF_SV_SG_SH_SI_EUlSV_E0_NS1_11comp_targetILNS1_3genE4ELNS1_11target_archE910ELNS1_3gpuE8ELNS1_3repE0EEENS1_38merge_mergepath_config_static_selectorELNS0_4arch9wavefront6targetE1EEEvSH_,"axG",@progbits,_ZN7rocprim17ROCPRIM_400000_NS6detail17trampoline_kernelINS0_14default_configENS1_38merge_sort_block_merge_config_selectorIilEEZZNS1_27merge_sort_block_merge_implIS3_PiN6thrust23THRUST_200600_302600_NS10device_ptrIlEEjNS1_19radix_merge_compareILb0ELb1EiNS0_19identity_decomposerEEEEE10hipError_tT0_T1_T2_jT3_P12ihipStream_tbPNSt15iterator_traitsISG_E10value_typeEPNSM_ISH_E10value_typeEPSI_NS1_7vsmem_tEENKUlT_SG_SH_SI_E_clIS7_S7_PlSB_EESF_SV_SG_SH_SI_EUlSV_E0_NS1_11comp_targetILNS1_3genE4ELNS1_11target_archE910ELNS1_3gpuE8ELNS1_3repE0EEENS1_38merge_mergepath_config_static_selectorELNS0_4arch9wavefront6targetE1EEEvSH_,comdat
	.protected	_ZN7rocprim17ROCPRIM_400000_NS6detail17trampoline_kernelINS0_14default_configENS1_38merge_sort_block_merge_config_selectorIilEEZZNS1_27merge_sort_block_merge_implIS3_PiN6thrust23THRUST_200600_302600_NS10device_ptrIlEEjNS1_19radix_merge_compareILb0ELb1EiNS0_19identity_decomposerEEEEE10hipError_tT0_T1_T2_jT3_P12ihipStream_tbPNSt15iterator_traitsISG_E10value_typeEPNSM_ISH_E10value_typeEPSI_NS1_7vsmem_tEENKUlT_SG_SH_SI_E_clIS7_S7_PlSB_EESF_SV_SG_SH_SI_EUlSV_E0_NS1_11comp_targetILNS1_3genE4ELNS1_11target_archE910ELNS1_3gpuE8ELNS1_3repE0EEENS1_38merge_mergepath_config_static_selectorELNS0_4arch9wavefront6targetE1EEEvSH_ ; -- Begin function _ZN7rocprim17ROCPRIM_400000_NS6detail17trampoline_kernelINS0_14default_configENS1_38merge_sort_block_merge_config_selectorIilEEZZNS1_27merge_sort_block_merge_implIS3_PiN6thrust23THRUST_200600_302600_NS10device_ptrIlEEjNS1_19radix_merge_compareILb0ELb1EiNS0_19identity_decomposerEEEEE10hipError_tT0_T1_T2_jT3_P12ihipStream_tbPNSt15iterator_traitsISG_E10value_typeEPNSM_ISH_E10value_typeEPSI_NS1_7vsmem_tEENKUlT_SG_SH_SI_E_clIS7_S7_PlSB_EESF_SV_SG_SH_SI_EUlSV_E0_NS1_11comp_targetILNS1_3genE4ELNS1_11target_archE910ELNS1_3gpuE8ELNS1_3repE0EEENS1_38merge_mergepath_config_static_selectorELNS0_4arch9wavefront6targetE1EEEvSH_
	.globl	_ZN7rocprim17ROCPRIM_400000_NS6detail17trampoline_kernelINS0_14default_configENS1_38merge_sort_block_merge_config_selectorIilEEZZNS1_27merge_sort_block_merge_implIS3_PiN6thrust23THRUST_200600_302600_NS10device_ptrIlEEjNS1_19radix_merge_compareILb0ELb1EiNS0_19identity_decomposerEEEEE10hipError_tT0_T1_T2_jT3_P12ihipStream_tbPNSt15iterator_traitsISG_E10value_typeEPNSM_ISH_E10value_typeEPSI_NS1_7vsmem_tEENKUlT_SG_SH_SI_E_clIS7_S7_PlSB_EESF_SV_SG_SH_SI_EUlSV_E0_NS1_11comp_targetILNS1_3genE4ELNS1_11target_archE910ELNS1_3gpuE8ELNS1_3repE0EEENS1_38merge_mergepath_config_static_selectorELNS0_4arch9wavefront6targetE1EEEvSH_
	.p2align	8
	.type	_ZN7rocprim17ROCPRIM_400000_NS6detail17trampoline_kernelINS0_14default_configENS1_38merge_sort_block_merge_config_selectorIilEEZZNS1_27merge_sort_block_merge_implIS3_PiN6thrust23THRUST_200600_302600_NS10device_ptrIlEEjNS1_19radix_merge_compareILb0ELb1EiNS0_19identity_decomposerEEEEE10hipError_tT0_T1_T2_jT3_P12ihipStream_tbPNSt15iterator_traitsISG_E10value_typeEPNSM_ISH_E10value_typeEPSI_NS1_7vsmem_tEENKUlT_SG_SH_SI_E_clIS7_S7_PlSB_EESF_SV_SG_SH_SI_EUlSV_E0_NS1_11comp_targetILNS1_3genE4ELNS1_11target_archE910ELNS1_3gpuE8ELNS1_3repE0EEENS1_38merge_mergepath_config_static_selectorELNS0_4arch9wavefront6targetE1EEEvSH_,@function
_ZN7rocprim17ROCPRIM_400000_NS6detail17trampoline_kernelINS0_14default_configENS1_38merge_sort_block_merge_config_selectorIilEEZZNS1_27merge_sort_block_merge_implIS3_PiN6thrust23THRUST_200600_302600_NS10device_ptrIlEEjNS1_19radix_merge_compareILb0ELb1EiNS0_19identity_decomposerEEEEE10hipError_tT0_T1_T2_jT3_P12ihipStream_tbPNSt15iterator_traitsISG_E10value_typeEPNSM_ISH_E10value_typeEPSI_NS1_7vsmem_tEENKUlT_SG_SH_SI_E_clIS7_S7_PlSB_EESF_SV_SG_SH_SI_EUlSV_E0_NS1_11comp_targetILNS1_3genE4ELNS1_11target_archE910ELNS1_3gpuE8ELNS1_3repE0EEENS1_38merge_mergepath_config_static_selectorELNS0_4arch9wavefront6targetE1EEEvSH_: ; @_ZN7rocprim17ROCPRIM_400000_NS6detail17trampoline_kernelINS0_14default_configENS1_38merge_sort_block_merge_config_selectorIilEEZZNS1_27merge_sort_block_merge_implIS3_PiN6thrust23THRUST_200600_302600_NS10device_ptrIlEEjNS1_19radix_merge_compareILb0ELb1EiNS0_19identity_decomposerEEEEE10hipError_tT0_T1_T2_jT3_P12ihipStream_tbPNSt15iterator_traitsISG_E10value_typeEPNSM_ISH_E10value_typeEPSI_NS1_7vsmem_tEENKUlT_SG_SH_SI_E_clIS7_S7_PlSB_EESF_SV_SG_SH_SI_EUlSV_E0_NS1_11comp_targetILNS1_3genE4ELNS1_11target_archE910ELNS1_3gpuE8ELNS1_3repE0EEENS1_38merge_mergepath_config_static_selectorELNS0_4arch9wavefront6targetE1EEEvSH_
; %bb.0:
	s_load_dwordx2 s[22:23], s[4:5], 0x40
	s_load_dwordx2 s[16:17], s[4:5], 0x30
	s_add_u32 s0, s4, 64
	s_addc_u32 s1, s5, 0
	s_waitcnt lgkmcnt(0)
	s_mul_i32 s2, s23, s8
	s_add_i32 s2, s2, s7
	s_mul_i32 s2, s2, s22
	s_add_i32 s20, s2, s6
	s_cmp_ge_u32 s20, s16
	s_cbranch_scc1 .LBB811_53
; %bb.1:
	s_load_dwordx8 s[8:15], s[4:5], 0x10
	s_load_dwordx2 s[28:29], s[4:5], 0x8
	s_load_dwordx2 s[2:3], s[4:5], 0x38
	s_mov_b32 s21, 0
	v_mov_b32_e32 v5, 0
	s_waitcnt lgkmcnt(0)
	s_lshr_b32 s7, s14, 10
	s_cmp_lg_u32 s20, s7
	s_cselect_b64 s[18:19], -1, 0
	s_lshl_b64 s[4:5], s[20:21], 2
	s_add_u32 s2, s2, s4
	s_addc_u32 s3, s3, s5
	s_lshr_b32 s4, s15, 9
	s_and_b32 s4, s4, 0x7ffffe
	s_load_dwordx2 s[2:3], s[2:3], 0x0
	s_sub_i32 s5, 0, s4
	s_and_b32 s4, s20, s5
	s_lshl_b32 s23, s4, 10
	s_lshl_b32 s16, s20, 10
	s_lshl_b32 s4, s4, 11
	s_sub_i32 s24, s16, s23
	s_add_i32 s25, s4, s15
	s_add_i32 s24, s25, s24
	s_waitcnt lgkmcnt(0)
	s_sub_i32 s4, s24, s2
	s_sub_i32 s24, s24, s3
	;; [unrolled: 1-line block ×3, first 2 shown]
	s_min_u32 s4, s14, s4
	s_addk_i32 s24, 0x400
	s_or_b32 s5, s20, s5
	s_min_u32 s25, s14, s23
	s_add_i32 s23, s23, s15
	s_cmp_eq_u32 s5, -1
	s_cselect_b32 s3, s25, s3
	s_cselect_b32 s5, s23, s24
	s_sub_i32 s15, s3, s2
	s_mov_b32 s3, s21
	s_min_u32 s26, s5, s14
	s_lshl_b64 s[24:25], s[2:3], 2
	s_add_u32 s24, s28, s24
	s_mov_b32 s5, s21
	s_addc_u32 s25, s29, s25
	s_lshl_b64 s[30:31], s[4:5], 2
	s_add_u32 s21, s28, s30
	s_addc_u32 s23, s29, s31
	s_cmp_lt_u32 s6, s22
	s_cselect_b32 s6, 12, 18
	global_load_dword v1, v5, s[0:1] offset:14
	s_add_u32 s0, s0, s6
	s_addc_u32 s1, s1, 0
	global_load_ushort v2, v5, s[0:1]
	s_cmp_eq_u32 s20, s7
	s_waitcnt vmcnt(1)
	v_lshrrev_b32_e32 v3, 16, v1
	v_and_b32_e32 v1, 0xffff, v1
	v_mul_lo_u32 v1, v1, v3
	s_waitcnt vmcnt(0)
	v_mul_lo_u32 v19, v1, v2
	v_add_u32_e32 v8, v19, v0
	v_lshlrev_b32_e32 v1, 2, v0
	v_add_u32_e32 v6, v8, v19
	s_cbranch_scc1 .LBB811_3
; %bb.2:
	v_mov_b32_e32 v2, s25
	v_add_co_u32_e32 v7, vcc, s24, v1
	v_subrev_u32_e32 v4, s15, v0
	v_addc_co_u32_e32 v9, vcc, 0, v2, vcc
	v_lshlrev_b64 v[2:3], 2, v[4:5]
	v_mov_b32_e32 v4, s23
	v_add_co_u32_e32 v2, vcc, s21, v2
	v_addc_co_u32_e32 v3, vcc, v4, v3, vcc
	v_cmp_gt_u32_e32 vcc, s15, v0
	v_cndmask_b32_e32 v3, v3, v9, vcc
	v_mov_b32_e32 v9, v5
	v_cndmask_b32_e32 v2, v2, v7, vcc
	v_lshlrev_b64 v[10:11], 2, v[8:9]
	global_load_dword v2, v[2:3], off
	v_mov_b32_e32 v3, s25
	v_add_co_u32_e32 v7, vcc, s24, v10
	v_subrev_u32_e32 v4, s15, v8
	v_addc_co_u32_e32 v3, vcc, v3, v11, vcc
	v_lshlrev_b64 v[10:11], 2, v[4:5]
	v_mov_b32_e32 v4, s23
	v_add_co_u32_e32 v9, vcc, s21, v10
	v_addc_co_u32_e32 v4, vcc, v4, v11, vcc
	v_cmp_gt_u32_e32 vcc, s15, v8
	v_cndmask_b32_e32 v11, v4, v3, vcc
	v_cndmask_b32_e32 v10, v9, v7, vcc
	v_mov_b32_e32 v7, v5
	global_load_dword v3, v[10:11], off
	v_lshlrev_b64 v[10:11], 2, v[6:7]
	v_mov_b32_e32 v4, s25
	v_add_co_u32_e32 v7, vcc, s24, v10
	v_addc_co_u32_e32 v9, vcc, v4, v11, vcc
	v_subrev_u32_e32 v4, s15, v6
	v_lshlrev_b64 v[4:5], 2, v[4:5]
	v_mov_b32_e32 v10, s23
	v_add_co_u32_e32 v4, vcc, s21, v4
	v_addc_co_u32_e32 v5, vcc, v10, v5, vcc
	v_cmp_gt_u32_e32 vcc, s15, v6
	v_cndmask_b32_e32 v5, v5, v9, vcc
	v_cndmask_b32_e32 v4, v4, v7, vcc
	global_load_dword v4, v[4:5], off
	v_add_u32_e32 v10, v6, v19
	s_mov_b64 s[0:1], -1
	s_sub_i32 s20, s26, s4
	s_cbranch_execz .LBB811_4
	s_branch .LBB811_9
.LBB811_3:
	s_mov_b64 s[0:1], 0
                                        ; implicit-def: $vgpr2_vgpr3_vgpr4_vgpr5
                                        ; implicit-def: $vgpr10
	s_sub_i32 s20, s26, s4
.LBB811_4:
	s_add_i32 s6, s20, s15
	v_cmp_gt_u32_e32 vcc, s6, v0
                                        ; implicit-def: $vgpr2_vgpr3_vgpr4_vgpr5
	s_and_saveexec_b64 s[0:1], vcc
	s_cbranch_execz .LBB811_13
; %bb.5:
	s_waitcnt vmcnt(2)
	v_mov_b32_e32 v2, s25
	s_waitcnt vmcnt(0)
	v_add_co_u32_e32 v4, vcc, s24, v1
	v_mov_b32_e32 v3, 0
	v_addc_co_u32_e32 v5, vcc, 0, v2, vcc
	v_subrev_u32_e32 v2, s15, v0
	v_lshlrev_b64 v[2:3], 2, v[2:3]
	v_mov_b32_e32 v7, s23
	v_add_co_u32_e32 v2, vcc, s21, v2
	v_addc_co_u32_e32 v3, vcc, v7, v3, vcc
	v_cmp_gt_u32_e32 vcc, s15, v0
	v_cndmask_b32_e32 v3, v3, v5, vcc
	v_cndmask_b32_e32 v2, v2, v4, vcc
	global_load_dword v2, v[2:3], off
	s_or_b64 exec, exec, s[0:1]
	v_cmp_gt_u32_e32 vcc, s6, v8
	s_and_saveexec_b64 s[0:1], vcc
	s_cbranch_execnz .LBB811_14
.LBB811_6:
	s_or_b64 exec, exec, s[0:1]
	v_cmp_gt_u32_e32 vcc, s6, v6
	s_and_saveexec_b64 s[0:1], vcc
	s_cbranch_execz .LBB811_8
.LBB811_7:
	v_mov_b32_e32 v7, 0
	v_lshlrev_b64 v[10:11], 2, v[6:7]
	s_waitcnt vmcnt(0)
	v_mov_b32_e32 v4, s25
	v_add_co_u32_e32 v9, vcc, s24, v10
	v_addc_co_u32_e32 v4, vcc, v4, v11, vcc
	v_subrev_u32_e32 v10, s15, v6
	v_mov_b32_e32 v11, v7
	v_lshlrev_b64 v[10:11], 2, v[10:11]
	v_mov_b32_e32 v7, s23
	v_add_co_u32_e32 v10, vcc, s21, v10
	v_addc_co_u32_e32 v7, vcc, v7, v11, vcc
	v_cmp_gt_u32_e32 vcc, s15, v6
	v_cndmask_b32_e32 v11, v7, v4, vcc
	v_cndmask_b32_e32 v10, v10, v9, vcc
	global_load_dword v4, v[10:11], off
.LBB811_8:
	s_or_b64 exec, exec, s[0:1]
	v_add_u32_e32 v10, v6, v19
	v_cmp_gt_u32_e64 s[0:1], s6, v10
.LBB811_9:
	s_and_saveexec_b64 s[6:7], s[0:1]
	s_cbranch_execz .LBB811_11
; %bb.10:
	v_mov_b32_e32 v11, 0
	v_lshlrev_b64 v[12:13], 2, v[10:11]
	v_mov_b32_e32 v5, s25
	v_add_co_u32_e32 v7, vcc, s24, v12
	v_addc_co_u32_e32 v5, vcc, v5, v13, vcc
	v_cmp_gt_u32_e32 vcc, s15, v10
	v_subrev_u32_e32 v10, s15, v10
	v_lshlrev_b64 v[10:11], 2, v[10:11]
	v_mov_b32_e32 v9, s23
	v_add_co_u32_e64 v10, s[0:1], s21, v10
	v_addc_co_u32_e64 v9, s[0:1], v9, v11, s[0:1]
	v_cndmask_b32_e32 v11, v9, v5, vcc
	v_cndmask_b32_e32 v10, v10, v7, vcc
	global_load_dword v5, v[10:11], off
.LBB811_11:
	s_or_b64 exec, exec, s[6:7]
	s_lshl_b64 s[0:1], s[2:3], 3
	s_add_u32 s6, s10, s0
	s_addc_u32 s7, s11, s1
	s_lshl_b64 s[0:1], s[4:5], 3
	s_add_u32 s4, s10, s0
	s_addc_u32 s5, s11, s1
	s_andn2_b64 vcc, exec, s[18:19]
	v_lshlrev_b32_e32 v18, 3, v0
	s_waitcnt vmcnt(0)
	ds_write2st64_b32 v1, v2, v3 offset1:4
	ds_write2st64_b32 v1, v4, v5 offset0:8 offset1:12
	s_cbranch_vccnz .LBB811_15
; %bb.12:
	v_mov_b32_e32 v17, 0
	v_mov_b32_e32 v7, s7
	v_add_co_u32_e32 v9, vcc, s6, v18
	v_subrev_u32_e32 v16, s15, v0
	v_addc_co_u32_e32 v7, vcc, 0, v7, vcc
	v_lshlrev_b64 v[10:11], 3, v[16:17]
	v_mov_b32_e32 v12, s5
	v_add_co_u32_e32 v10, vcc, s4, v10
	v_addc_co_u32_e32 v11, vcc, v12, v11, vcc
	v_cmp_gt_u32_e32 vcc, s15, v0
	v_cndmask_b32_e32 v10, v10, v9, vcc
	v_mov_b32_e32 v9, v17
	v_lshlrev_b64 v[12:13], 3, v[8:9]
	v_cndmask_b32_e32 v11, v11, v7, vcc
	v_mov_b32_e32 v7, s7
	v_add_co_u32_e32 v9, vcc, s6, v12
	v_subrev_u32_e32 v16, s15, v8
	v_addc_co_u32_e32 v7, vcc, v7, v13, vcc
	v_lshlrev_b64 v[12:13], 3, v[16:17]
	v_mov_b32_e32 v14, s5
	v_add_co_u32_e32 v12, vcc, s4, v12
	v_addc_co_u32_e32 v13, vcc, v14, v13, vcc
	v_cmp_gt_u32_e32 vcc, s15, v8
	v_cndmask_b32_e32 v13, v13, v7, vcc
	v_mov_b32_e32 v7, v17
	v_lshlrev_b64 v[14:15], 3, v[6:7]
	v_cndmask_b32_e32 v12, v12, v9, vcc
	v_mov_b32_e32 v7, s7
	v_add_co_u32_e32 v9, vcc, s6, v14
	v_subrev_u32_e32 v16, s15, v6
	v_addc_co_u32_e32 v7, vcc, v7, v15, vcc
	v_lshlrev_b64 v[14:15], 3, v[16:17]
	v_mov_b32_e32 v16, s5
	v_add_co_u32_e32 v14, vcc, s4, v14
	v_addc_co_u32_e32 v15, vcc, v16, v15, vcc
	v_add_u32_e32 v16, v6, v19
	v_cmp_gt_u32_e32 vcc, s15, v6
	v_lshlrev_b64 v[20:21], 3, v[16:17]
	v_cndmask_b32_e32 v15, v15, v7, vcc
	v_cndmask_b32_e32 v14, v14, v9, vcc
	v_mov_b32_e32 v7, s7
	v_add_co_u32_e32 v9, vcc, s6, v20
	v_addc_co_u32_e32 v7, vcc, v7, v21, vcc
	v_cmp_gt_u32_e32 vcc, s15, v16
	v_subrev_u32_e32 v16, s15, v16
	v_lshlrev_b64 v[16:17], 3, v[16:17]
	v_mov_b32_e32 v20, s5
	v_add_co_u32_e64 v16, s[0:1], s4, v16
	v_addc_co_u32_e64 v17, s[0:1], v20, v17, s[0:1]
	v_cndmask_b32_e32 v17, v17, v7, vcc
	v_cndmask_b32_e32 v16, v16, v9, vcc
	global_load_dwordx2 v[10:11], v[10:11], off
	s_add_i32 s21, s20, s15
	global_load_dwordx2 v[12:13], v[12:13], off
	s_nop 0
	global_load_dwordx2 v[14:15], v[14:15], off
	s_nop 0
	global_load_dwordx2 v[16:17], v[16:17], off
	s_cbranch_execz .LBB811_16
	s_branch .LBB811_25
.LBB811_13:
	s_or_b64 exec, exec, s[0:1]
	v_cmp_gt_u32_e32 vcc, s6, v8
	s_and_saveexec_b64 s[0:1], vcc
	s_cbranch_execz .LBB811_6
.LBB811_14:
	v_mov_b32_e32 v9, 0
	v_lshlrev_b64 v[10:11], 2, v[8:9]
	s_waitcnt vmcnt(1)
	v_mov_b32_e32 v3, s25
	v_add_co_u32_e32 v7, vcc, s24, v10
	v_addc_co_u32_e32 v3, vcc, v3, v11, vcc
	v_subrev_u32_e32 v10, s15, v8
	v_mov_b32_e32 v11, v9
	v_lshlrev_b64 v[10:11], 2, v[10:11]
	v_mov_b32_e32 v9, s23
	v_add_co_u32_e32 v10, vcc, s21, v10
	v_addc_co_u32_e32 v9, vcc, v9, v11, vcc
	v_cmp_gt_u32_e32 vcc, s15, v8
	v_cndmask_b32_e32 v11, v9, v3, vcc
	v_cndmask_b32_e32 v10, v10, v7, vcc
	global_load_dword v3, v[10:11], off
	s_or_b64 exec, exec, s[0:1]
	v_cmp_gt_u32_e32 vcc, s6, v6
	s_and_saveexec_b64 s[0:1], vcc
	s_cbranch_execnz .LBB811_7
	s_branch .LBB811_8
.LBB811_15:
                                        ; implicit-def: $vgpr10_vgpr11
                                        ; implicit-def: $vgpr12_vgpr13
                                        ; implicit-def: $vgpr14_vgpr15
                                        ; implicit-def: $vgpr16_vgpr17
                                        ; implicit-def: $sgpr21
.LBB811_16:
	s_add_i32 s21, s20, s15
	v_cmp_gt_u32_e32 vcc, s21, v0
                                        ; implicit-def: $vgpr10_vgpr11
	s_and_saveexec_b64 s[0:1], vcc
	s_cbranch_execz .LBB811_18
; %bb.17:
	s_waitcnt vmcnt(3)
	v_mov_b32_e32 v11, 0
	v_mov_b32_e32 v7, s7
	v_add_co_u32_e32 v9, vcc, s6, v18
	v_subrev_u32_e32 v10, s15, v0
	v_addc_co_u32_e32 v7, vcc, 0, v7, vcc
	v_lshlrev_b64 v[10:11], 3, v[10:11]
	s_waitcnt vmcnt(2)
	v_mov_b32_e32 v12, s5
	v_add_co_u32_e32 v10, vcc, s4, v10
	v_addc_co_u32_e32 v11, vcc, v12, v11, vcc
	v_cmp_gt_u32_e32 vcc, s15, v0
	v_cndmask_b32_e32 v11, v11, v7, vcc
	v_cndmask_b32_e32 v10, v10, v9, vcc
	global_load_dwordx2 v[10:11], v[10:11], off
.LBB811_18:
	s_or_b64 exec, exec, s[0:1]
	v_cmp_gt_u32_e32 vcc, s21, v8
                                        ; implicit-def: $vgpr12_vgpr13
	s_and_saveexec_b64 s[2:3], vcc
	s_cbranch_execz .LBB811_20
; %bb.19:
	v_mov_b32_e32 v9, 0
	s_waitcnt vmcnt(2)
	v_lshlrev_b64 v[12:13], 3, v[8:9]
	v_mov_b32_e32 v7, s7
	v_add_co_u32_e32 v12, vcc, s6, v12
	v_addc_co_u32_e32 v7, vcc, v7, v13, vcc
	v_cmp_gt_u32_e32 vcc, s15, v8
	v_subrev_u32_e32 v8, s15, v8
	v_lshlrev_b64 v[8:9], 3, v[8:9]
	v_mov_b32_e32 v13, s5
	v_add_co_u32_e64 v8, s[0:1], s4, v8
	v_addc_co_u32_e64 v9, s[0:1], v13, v9, s[0:1]
	v_cndmask_b32_e32 v9, v9, v7, vcc
	v_cndmask_b32_e32 v8, v8, v12, vcc
	global_load_dwordx2 v[12:13], v[8:9], off
.LBB811_20:
	s_or_b64 exec, exec, s[2:3]
	v_cmp_gt_u32_e32 vcc, s21, v6
                                        ; implicit-def: $vgpr14_vgpr15
	s_and_saveexec_b64 s[0:1], vcc
	s_cbranch_execz .LBB811_22
; %bb.21:
	v_mov_b32_e32 v7, 0
	v_lshlrev_b64 v[8:9], 3, v[6:7]
	s_waitcnt vmcnt(1)
	v_mov_b32_e32 v14, s7
	v_add_co_u32_e32 v15, vcc, s6, v8
	v_addc_co_u32_e32 v14, vcc, v14, v9, vcc
	v_subrev_u32_e32 v8, s15, v6
	v_mov_b32_e32 v9, v7
	v_lshlrev_b64 v[8:9], 3, v[8:9]
	v_mov_b32_e32 v7, s5
	v_add_co_u32_e32 v8, vcc, s4, v8
	v_addc_co_u32_e32 v7, vcc, v7, v9, vcc
	v_cmp_gt_u32_e32 vcc, s15, v6
	v_cndmask_b32_e32 v9, v7, v14, vcc
	v_cndmask_b32_e32 v8, v8, v15, vcc
	global_load_dwordx2 v[14:15], v[8:9], off
.LBB811_22:
	s_or_b64 exec, exec, s[0:1]
	v_add_u32_e32 v6, v6, v19
	v_cmp_gt_u32_e32 vcc, s21, v6
                                        ; implicit-def: $vgpr16_vgpr17
	s_and_saveexec_b64 s[2:3], vcc
	s_cbranch_execz .LBB811_24
; %bb.23:
	v_mov_b32_e32 v7, 0
	v_lshlrev_b64 v[8:9], 3, v[6:7]
	s_waitcnt vmcnt(0)
	v_mov_b32_e32 v16, s7
	v_add_co_u32_e32 v8, vcc, s6, v8
	v_addc_co_u32_e32 v9, vcc, v16, v9, vcc
	v_cmp_gt_u32_e32 vcc, s15, v6
	v_subrev_u32_e32 v6, s15, v6
	v_lshlrev_b64 v[6:7], 3, v[6:7]
	v_mov_b32_e32 v16, s5
	v_add_co_u32_e64 v6, s[0:1], s4, v6
	v_addc_co_u32_e64 v7, s[0:1], v16, v7, s[0:1]
	v_cndmask_b32_e32 v7, v7, v9, vcc
	v_cndmask_b32_e32 v6, v6, v8, vcc
	global_load_dwordx2 v[16:17], v[6:7], off
.LBB811_24:
	s_or_b64 exec, exec, s[2:3]
.LBB811_25:
	v_min_u32_e32 v7, s21, v1
	v_sub_u32_e64 v6, v7, s20 clamp
	v_min_u32_e32 v8, s15, v7
	v_cmp_lt_u32_e32 vcc, v6, v8
	s_waitcnt lgkmcnt(0)
	s_barrier
	s_and_saveexec_b64 s[0:1], vcc
	s_cbranch_execz .LBB811_29
; %bb.26:
	v_lshlrev_b32_e32 v9, 2, v7
	v_lshl_add_u32 v9, s15, 2, v9
	s_mov_b64 s[2:3], 0
.LBB811_27:                             ; =>This Inner Loop Header: Depth=1
	v_add_u32_e32 v19, v8, v6
	v_lshrrev_b32_e32 v19, 1, v19
	v_not_b32_e32 v20, v19
	v_lshlrev_b32_e32 v21, 2, v19
	v_lshl_add_u32 v20, v20, 2, v9
	ds_read_b32 v21, v21
	ds_read_b32 v20, v20
	v_add_u32_e32 v22, 1, v19
	s_waitcnt lgkmcnt(1)
	v_and_b32_e32 v21, s17, v21
	s_waitcnt lgkmcnt(0)
	v_and_b32_e32 v20, s17, v20
	v_cmp_gt_i32_e32 vcc, v21, v20
	v_cndmask_b32_e32 v8, v8, v19, vcc
	v_cndmask_b32_e32 v6, v22, v6, vcc
	v_cmp_ge_u32_e32 vcc, v6, v8
	s_or_b64 s[2:3], vcc, s[2:3]
	s_andn2_b64 exec, exec, s[2:3]
	s_cbranch_execnz .LBB811_27
; %bb.28:
	s_or_b64 exec, exec, s[2:3]
.LBB811_29:
	s_or_b64 exec, exec, s[0:1]
	v_sub_u32_e32 v7, v7, v6
	v_add_u32_e32 v19, s15, v7
	v_cmp_ge_u32_e32 vcc, s15, v6
	v_cmp_ge_u32_e64 s[0:1], s21, v19
	s_or_b64 s[0:1], vcc, s[0:1]
                                        ; implicit-def: $vgpr20
                                        ; implicit-def: $vgpr9
                                        ; implicit-def: $vgpr8
                                        ; implicit-def: $vgpr7
	s_and_saveexec_b64 s[10:11], s[0:1]
	s_cbranch_execz .LBB811_35
; %bb.30:
	v_cmp_gt_u32_e32 vcc, s15, v6
                                        ; implicit-def: $vgpr2
	s_and_saveexec_b64 s[0:1], vcc
	s_cbranch_execz .LBB811_32
; %bb.31:
	v_lshlrev_b32_e32 v2, 2, v6
	ds_read_b32 v2, v2
.LBB811_32:
	s_or_b64 exec, exec, s[0:1]
	v_cmp_le_u32_e64 s[0:1], s21, v19
	v_cmp_gt_u32_e64 s[2:3], s21, v19
                                        ; implicit-def: $vgpr3
	s_and_saveexec_b64 s[4:5], s[2:3]
	s_cbranch_execz .LBB811_34
; %bb.33:
	v_lshlrev_b32_e32 v3, 2, v19
	ds_read_b32 v3, v3
.LBB811_34:
	s_or_b64 exec, exec, s[4:5]
	s_waitcnt lgkmcnt(0)
	v_and_b32_e32 v4, s17, v3
	v_and_b32_e32 v5, s17, v2
	v_cmp_le_i32_e64 s[2:3], v5, v4
	s_and_b64 s[2:3], vcc, s[2:3]
	s_or_b64 vcc, s[0:1], s[2:3]
	v_mov_b32_e32 v4, s21
	v_mov_b32_e32 v5, s15
	v_cndmask_b32_e32 v7, v19, v6, vcc
	v_cndmask_b32_e32 v8, v4, v5, vcc
	v_add_u32_e32 v9, 1, v7
	v_add_u32_e32 v8, -1, v8
	v_min_u32_e32 v8, v9, v8
	v_lshlrev_b32_e32 v8, 2, v8
	ds_read_b32 v8, v8
	v_cndmask_b32_e32 v19, v9, v19, vcc
	v_cndmask_b32_e32 v6, v6, v9, vcc
	v_cmp_gt_u32_e64 s[2:3], s15, v6
	v_cmp_le_u32_e64 s[0:1], s21, v19
	s_waitcnt lgkmcnt(0)
	v_cndmask_b32_e32 v20, v8, v3, vcc
	v_cndmask_b32_e32 v21, v2, v8, vcc
	v_and_b32_e32 v8, s17, v20
	v_and_b32_e32 v9, s17, v21
	v_cmp_le_i32_e64 s[4:5], v9, v8
	s_and_b64 s[2:3], s[2:3], s[4:5]
	s_or_b64 s[0:1], s[0:1], s[2:3]
	v_cndmask_b32_e64 v8, v19, v6, s[0:1]
	v_cndmask_b32_e64 v9, v4, v5, s[0:1]
	v_add_u32_e32 v22, 1, v8
	v_add_u32_e32 v9, -1, v9
	v_min_u32_e32 v9, v22, v9
	v_lshlrev_b32_e32 v9, 2, v9
	ds_read_b32 v9, v9
	v_cndmask_b32_e64 v19, v22, v19, s[0:1]
	v_cndmask_b32_e64 v6, v6, v22, s[0:1]
	v_cmp_gt_u32_e64 s[4:5], s15, v6
	v_cmp_le_u32_e64 s[2:3], s21, v19
	s_waitcnt lgkmcnt(0)
	v_cndmask_b32_e64 v23, v9, v20, s[0:1]
	v_cndmask_b32_e64 v24, v21, v9, s[0:1]
	v_and_b32_e32 v9, s17, v23
	v_and_b32_e32 v22, s17, v24
	v_cmp_le_i32_e64 s[6:7], v22, v9
	s_and_b64 s[4:5], s[4:5], s[6:7]
	s_or_b64 s[2:3], s[2:3], s[4:5]
	v_cndmask_b32_e64 v9, v19, v6, s[2:3]
	v_cndmask_b32_e64 v4, v4, v5, s[2:3]
	v_add_u32_e32 v5, 1, v9
	v_add_u32_e32 v4, -1, v4
	v_min_u32_e32 v4, v5, v4
	v_lshlrev_b32_e32 v4, 2, v4
	ds_read_b32 v22, v4
	v_cndmask_b32_e32 v2, v3, v2, vcc
	v_cndmask_b32_e64 v3, v20, v21, s[0:1]
	v_cndmask_b32_e64 v19, v5, v19, s[2:3]
	;; [unrolled: 1-line block ×3, first 2 shown]
	s_waitcnt lgkmcnt(0)
	v_cndmask_b32_e64 v21, v22, v23, s[2:3]
	v_cndmask_b32_e64 v22, v24, v22, s[2:3]
	v_and_b32_e32 v6, s17, v21
	v_and_b32_e32 v20, s17, v22
	v_cndmask_b32_e64 v4, v23, v24, s[2:3]
	v_cmp_gt_u32_e64 s[0:1], s15, v5
	v_cmp_le_i32_e64 s[2:3], v20, v6
	v_cmp_le_u32_e32 vcc, s21, v19
	s_and_b64 s[0:1], s[0:1], s[2:3]
	s_or_b64 vcc, vcc, s[0:1]
	v_cndmask_b32_e32 v20, v19, v5, vcc
	v_cndmask_b32_e32 v5, v21, v22, vcc
.LBB811_35:
	s_or_b64 exec, exec, s[10:11]
	v_add_u32_e32 v27, v1, v1
	v_lshlrev_b32_e32 v6, 3, v7
	v_lshlrev_b32_e32 v7, 3, v8
	;; [unrolled: 1-line block ×4, first 2 shown]
	s_barrier
	s_waitcnt vmcnt(0)
	ds_write2st64_b64 v27, v[10:11], v[12:13] offset1:4
	ds_write2st64_b64 v27, v[14:15], v[16:17] offset0:8 offset1:12
	s_waitcnt lgkmcnt(0)
	s_barrier
	ds_read_b64 v[10:11], v6
	ds_read_b64 v[12:13], v7
	;; [unrolled: 1-line block ×4, first 2 shown]
	s_mov_b32 s17, 0
	s_lshl_b64 s[0:1], s[16:17], 2
	v_lshrrev_b32_e32 v14, 3, v0
	s_add_u32 s0, s8, s0
	v_add_u32_e32 v16, v14, v1
	s_addc_u32 s1, s9, s1
	v_lshlrev_b32_e32 v17, 2, v16
	s_waitcnt lgkmcnt(0)
	s_barrier
	s_barrier
	ds_write2_b32 v17, v2, v3 offset1:1
	ds_write2_b32 v17, v4, v5 offset0:2 offset1:3
	v_or_b32_e32 v23, 0x100, v0
	v_or_b32_e32 v22, 0x200, v0
	;; [unrolled: 1-line block ×3, first 2 shown]
	v_mov_b32_e32 v3, s1
	v_add_co_u32_e32 v2, vcc, s0, v1
	v_lshrrev_b32_e32 v14, 5, v0
	v_lshrrev_b32_e32 v4, 5, v23
	;; [unrolled: 1-line block ×4, first 2 shown]
	v_addc_co_u32_e32 v3, vcc, 0, v3, vcc
	v_lshl_add_u32 v15, v14, 2, v1
	v_lshl_add_u32 v24, v4, 2, v1
	;; [unrolled: 1-line block ×4, first 2 shown]
	s_and_b64 vcc, exec, s[18:19]
	v_lshl_add_u32 v1, v4, 3, v27
	v_lshl_add_u32 v19, v5, 3, v27
	;; [unrolled: 1-line block ×3, first 2 shown]
	s_waitcnt lgkmcnt(0)
	s_cbranch_vccz .LBB811_37
; %bb.36:
	s_barrier
	ds_read_b32 v4, v15
	ds_read_b32 v5, v24 offset:1024
	ds_read_b32 v28, v25 offset:2048
	;; [unrolled: 1-line block ×3, first 2 shown]
	s_lshl_b64 s[0:1], s[16:17], 3
	s_add_u32 s0, s12, s0
	s_waitcnt lgkmcnt(3)
	global_store_dword v[2:3], v4, off
	s_waitcnt lgkmcnt(2)
	global_store_dword v[2:3], v5, off offset:1024
	s_waitcnt lgkmcnt(1)
	global_store_dword v[2:3], v28, off offset:2048
	;; [unrolled: 2-line block ×3, first 2 shown]
	v_lshlrev_b32_e32 v4, 3, v16
	s_barrier
	ds_write2_b64 v4, v[10:11], v[12:13] offset1:1
	ds_write2_b64 v4, v[6:7], v[8:9] offset0:2 offset1:3
	v_lshl_add_u32 v4, v14, 3, v27
	s_addc_u32 s1, s13, s1
	s_waitcnt lgkmcnt(0)
	s_barrier
	ds_read_b64 v[28:29], v4
	ds_read_b64 v[30:31], v1 offset:2048
	ds_read_b64 v[32:33], v19 offset:4096
	;; [unrolled: 1-line block ×3, first 2 shown]
	v_mov_b32_e32 v27, s1
	v_add_co_u32_e32 v34, vcc, s0, v18
	v_addc_co_u32_e32 v27, vcc, 0, v27, vcc
	s_waitcnt lgkmcnt(3)
	global_store_dwordx2 v18, v[28:29], s[0:1]
	s_waitcnt lgkmcnt(2)
	global_store_dwordx2 v18, v[30:31], s[0:1] offset:2048
	v_add_co_u32_e32 v28, vcc, 0x1000, v34
	v_addc_co_u32_e32 v29, vcc, 0, v27, vcc
	s_waitcnt lgkmcnt(1)
	global_store_dwordx2 v[28:29], v[32:33], off
	s_mov_b64 s[6:7], -1
	s_cbranch_execz .LBB811_38
	s_branch .LBB811_51
.LBB811_37:
	s_mov_b64 s[6:7], 0
                                        ; implicit-def: $vgpr4_vgpr5
.LBB811_38:
	s_barrier
	s_waitcnt lgkmcnt(0)
	ds_read_b32 v24, v24 offset:1024
	ds_read_b32 v5, v25 offset:2048
	;; [unrolled: 1-line block ×3, first 2 shown]
	s_sub_i32 s6, s14, s16
	v_cmp_gt_u32_e32 vcc, s6, v0
	s_and_saveexec_b64 s[0:1], vcc
	s_cbranch_execz .LBB811_42
; %bb.39:
	ds_read_b32 v25, v15
	s_waitcnt lgkmcnt(0)
	global_store_dword v[2:3], v25, off
	s_or_b64 exec, exec, s[0:1]
	v_cmp_gt_u32_e64 s[0:1], s6, v23
	s_and_saveexec_b64 s[2:3], s[0:1]
	s_cbranch_execnz .LBB811_43
.LBB811_40:
	s_or_b64 exec, exec, s[2:3]
	v_cmp_gt_u32_e64 s[2:3], s6, v22
	s_and_saveexec_b64 s[4:5], s[2:3]
	s_cbranch_execz .LBB811_44
.LBB811_41:
	s_waitcnt lgkmcnt(1)
	global_store_dword v[2:3], v5, off offset:2048
	s_or_b64 exec, exec, s[4:5]
	v_cmp_gt_u32_e64 s[6:7], s6, v21
	s_and_saveexec_b64 s[4:5], s[6:7]
	s_cbranch_execnz .LBB811_45
	s_branch .LBB811_46
.LBB811_42:
	s_or_b64 exec, exec, s[0:1]
	v_cmp_gt_u32_e64 s[0:1], s6, v23
	s_and_saveexec_b64 s[2:3], s[0:1]
	s_cbranch_execz .LBB811_40
.LBB811_43:
	s_waitcnt lgkmcnt(2)
	global_store_dword v[2:3], v24, off offset:1024
	s_or_b64 exec, exec, s[2:3]
	v_cmp_gt_u32_e64 s[2:3], s6, v22
	s_and_saveexec_b64 s[4:5], s[2:3]
	s_cbranch_execnz .LBB811_41
.LBB811_44:
	s_or_b64 exec, exec, s[4:5]
	v_cmp_gt_u32_e64 s[6:7], s6, v21
	s_and_saveexec_b64 s[4:5], s[6:7]
	s_cbranch_execz .LBB811_46
.LBB811_45:
	s_waitcnt lgkmcnt(0)
	global_store_dword v[2:3], v4, off offset:3072
.LBB811_46:
	s_or_b64 exec, exec, s[4:5]
	v_lshl_add_u32 v2, v16, 2, v17
	s_waitcnt lgkmcnt(0)
	s_barrier
	ds_write2_b64 v2, v[10:11], v[12:13] offset1:1
	ds_write2_b64 v2, v[6:7], v[8:9] offset0:2 offset1:3
	s_waitcnt lgkmcnt(0)
	s_barrier
	ds_read_b64 v[8:9], v1 offset:2048
	ds_read_b64 v[2:3], v19 offset:4096
	;; [unrolled: 1-line block ×3, first 2 shown]
	s_lshl_b64 s[4:5], s[16:17], 3
	s_add_u32 s4, s12, s4
	s_addc_u32 s5, s13, s5
	v_mov_b32_e32 v1, s5
	v_add_co_u32_e64 v6, s[4:5], s4, v18
	v_addc_co_u32_e64 v7, s[4:5], 0, v1, s[4:5]
	s_and_saveexec_b64 s[4:5], vcc
	s_cbranch_execz .LBB811_54
; %bb.47:
	v_add_u32_e32 v0, v14, v0
	v_lshl_add_u32 v0, v0, 2, v15
	ds_read_b64 v[0:1], v0
	s_waitcnt lgkmcnt(0)
	global_store_dwordx2 v[6:7], v[0:1], off
	s_or_b64 exec, exec, s[4:5]
	s_and_saveexec_b64 s[4:5], s[0:1]
	s_cbranch_execnz .LBB811_55
.LBB811_48:
	s_or_b64 exec, exec, s[4:5]
	s_and_saveexec_b64 s[0:1], s[2:3]
	s_cbranch_execz .LBB811_50
.LBB811_49:
	v_add_co_u32_e32 v0, vcc, 0x1000, v6
	v_addc_co_u32_e32 v1, vcc, 0, v7, vcc
	s_waitcnt lgkmcnt(1)
	global_store_dwordx2 v[0:1], v[2:3], off
.LBB811_50:
	s_or_b64 exec, exec, s[0:1]
.LBB811_51:
	s_and_saveexec_b64 s[0:1], s[6:7]
	s_cbranch_execz .LBB811_53
; %bb.52:
	s_lshl_b64 s[0:1], s[16:17], 3
	s_add_u32 s0, s12, s0
	s_addc_u32 s1, s13, s1
	v_mov_b32_e32 v0, s1
	v_add_co_u32_e32 v1, vcc, s0, v18
	s_waitcnt lgkmcnt(1)
	v_addc_co_u32_e32 v2, vcc, 0, v0, vcc
	v_add_co_u32_e32 v0, vcc, 0x1000, v1
	v_addc_co_u32_e32 v1, vcc, 0, v2, vcc
	s_waitcnt lgkmcnt(0)
	global_store_dwordx2 v[0:1], v[4:5], off offset:2048
.LBB811_53:
	s_endpgm
.LBB811_54:
	s_or_b64 exec, exec, s[4:5]
	s_and_saveexec_b64 s[4:5], s[0:1]
	s_cbranch_execz .LBB811_48
.LBB811_55:
	s_waitcnt lgkmcnt(2)
	global_store_dwordx2 v[6:7], v[8:9], off offset:2048
	s_or_b64 exec, exec, s[4:5]
	s_and_saveexec_b64 s[0:1], s[2:3]
	s_cbranch_execnz .LBB811_49
	s_branch .LBB811_50
	.section	.rodata,"a",@progbits
	.p2align	6, 0x0
	.amdhsa_kernel _ZN7rocprim17ROCPRIM_400000_NS6detail17trampoline_kernelINS0_14default_configENS1_38merge_sort_block_merge_config_selectorIilEEZZNS1_27merge_sort_block_merge_implIS3_PiN6thrust23THRUST_200600_302600_NS10device_ptrIlEEjNS1_19radix_merge_compareILb0ELb1EiNS0_19identity_decomposerEEEEE10hipError_tT0_T1_T2_jT3_P12ihipStream_tbPNSt15iterator_traitsISG_E10value_typeEPNSM_ISH_E10value_typeEPSI_NS1_7vsmem_tEENKUlT_SG_SH_SI_E_clIS7_S7_PlSB_EESF_SV_SG_SH_SI_EUlSV_E0_NS1_11comp_targetILNS1_3genE4ELNS1_11target_archE910ELNS1_3gpuE8ELNS1_3repE0EEENS1_38merge_mergepath_config_static_selectorELNS0_4arch9wavefront6targetE1EEEvSH_
		.amdhsa_group_segment_fixed_size 8448
		.amdhsa_private_segment_fixed_size 0
		.amdhsa_kernarg_size 320
		.amdhsa_user_sgpr_count 6
		.amdhsa_user_sgpr_private_segment_buffer 1
		.amdhsa_user_sgpr_dispatch_ptr 0
		.amdhsa_user_sgpr_queue_ptr 0
		.amdhsa_user_sgpr_kernarg_segment_ptr 1
		.amdhsa_user_sgpr_dispatch_id 0
		.amdhsa_user_sgpr_flat_scratch_init 0
		.amdhsa_user_sgpr_kernarg_preload_length 0
		.amdhsa_user_sgpr_kernarg_preload_offset 0
		.amdhsa_user_sgpr_private_segment_size 0
		.amdhsa_uses_dynamic_stack 0
		.amdhsa_system_sgpr_private_segment_wavefront_offset 0
		.amdhsa_system_sgpr_workgroup_id_x 1
		.amdhsa_system_sgpr_workgroup_id_y 1
		.amdhsa_system_sgpr_workgroup_id_z 1
		.amdhsa_system_sgpr_workgroup_info 0
		.amdhsa_system_vgpr_workitem_id 0
		.amdhsa_next_free_vgpr 35
		.amdhsa_next_free_sgpr 32
		.amdhsa_accum_offset 36
		.amdhsa_reserve_vcc 1
		.amdhsa_reserve_flat_scratch 0
		.amdhsa_float_round_mode_32 0
		.amdhsa_float_round_mode_16_64 0
		.amdhsa_float_denorm_mode_32 3
		.amdhsa_float_denorm_mode_16_64 3
		.amdhsa_dx10_clamp 1
		.amdhsa_ieee_mode 1
		.amdhsa_fp16_overflow 0
		.amdhsa_tg_split 0
		.amdhsa_exception_fp_ieee_invalid_op 0
		.amdhsa_exception_fp_denorm_src 0
		.amdhsa_exception_fp_ieee_div_zero 0
		.amdhsa_exception_fp_ieee_overflow 0
		.amdhsa_exception_fp_ieee_underflow 0
		.amdhsa_exception_fp_ieee_inexact 0
		.amdhsa_exception_int_div_zero 0
	.end_amdhsa_kernel
	.section	.text._ZN7rocprim17ROCPRIM_400000_NS6detail17trampoline_kernelINS0_14default_configENS1_38merge_sort_block_merge_config_selectorIilEEZZNS1_27merge_sort_block_merge_implIS3_PiN6thrust23THRUST_200600_302600_NS10device_ptrIlEEjNS1_19radix_merge_compareILb0ELb1EiNS0_19identity_decomposerEEEEE10hipError_tT0_T1_T2_jT3_P12ihipStream_tbPNSt15iterator_traitsISG_E10value_typeEPNSM_ISH_E10value_typeEPSI_NS1_7vsmem_tEENKUlT_SG_SH_SI_E_clIS7_S7_PlSB_EESF_SV_SG_SH_SI_EUlSV_E0_NS1_11comp_targetILNS1_3genE4ELNS1_11target_archE910ELNS1_3gpuE8ELNS1_3repE0EEENS1_38merge_mergepath_config_static_selectorELNS0_4arch9wavefront6targetE1EEEvSH_,"axG",@progbits,_ZN7rocprim17ROCPRIM_400000_NS6detail17trampoline_kernelINS0_14default_configENS1_38merge_sort_block_merge_config_selectorIilEEZZNS1_27merge_sort_block_merge_implIS3_PiN6thrust23THRUST_200600_302600_NS10device_ptrIlEEjNS1_19radix_merge_compareILb0ELb1EiNS0_19identity_decomposerEEEEE10hipError_tT0_T1_T2_jT3_P12ihipStream_tbPNSt15iterator_traitsISG_E10value_typeEPNSM_ISH_E10value_typeEPSI_NS1_7vsmem_tEENKUlT_SG_SH_SI_E_clIS7_S7_PlSB_EESF_SV_SG_SH_SI_EUlSV_E0_NS1_11comp_targetILNS1_3genE4ELNS1_11target_archE910ELNS1_3gpuE8ELNS1_3repE0EEENS1_38merge_mergepath_config_static_selectorELNS0_4arch9wavefront6targetE1EEEvSH_,comdat
.Lfunc_end811:
	.size	_ZN7rocprim17ROCPRIM_400000_NS6detail17trampoline_kernelINS0_14default_configENS1_38merge_sort_block_merge_config_selectorIilEEZZNS1_27merge_sort_block_merge_implIS3_PiN6thrust23THRUST_200600_302600_NS10device_ptrIlEEjNS1_19radix_merge_compareILb0ELb1EiNS0_19identity_decomposerEEEEE10hipError_tT0_T1_T2_jT3_P12ihipStream_tbPNSt15iterator_traitsISG_E10value_typeEPNSM_ISH_E10value_typeEPSI_NS1_7vsmem_tEENKUlT_SG_SH_SI_E_clIS7_S7_PlSB_EESF_SV_SG_SH_SI_EUlSV_E0_NS1_11comp_targetILNS1_3genE4ELNS1_11target_archE910ELNS1_3gpuE8ELNS1_3repE0EEENS1_38merge_mergepath_config_static_selectorELNS0_4arch9wavefront6targetE1EEEvSH_, .Lfunc_end811-_ZN7rocprim17ROCPRIM_400000_NS6detail17trampoline_kernelINS0_14default_configENS1_38merge_sort_block_merge_config_selectorIilEEZZNS1_27merge_sort_block_merge_implIS3_PiN6thrust23THRUST_200600_302600_NS10device_ptrIlEEjNS1_19radix_merge_compareILb0ELb1EiNS0_19identity_decomposerEEEEE10hipError_tT0_T1_T2_jT3_P12ihipStream_tbPNSt15iterator_traitsISG_E10value_typeEPNSM_ISH_E10value_typeEPSI_NS1_7vsmem_tEENKUlT_SG_SH_SI_E_clIS7_S7_PlSB_EESF_SV_SG_SH_SI_EUlSV_E0_NS1_11comp_targetILNS1_3genE4ELNS1_11target_archE910ELNS1_3gpuE8ELNS1_3repE0EEENS1_38merge_mergepath_config_static_selectorELNS0_4arch9wavefront6targetE1EEEvSH_
                                        ; -- End function
	.section	.AMDGPU.csdata,"",@progbits
; Kernel info:
; codeLenInByte = 3356
; NumSgprs: 36
; NumVgprs: 35
; NumAgprs: 0
; TotalNumVgprs: 35
; ScratchSize: 0
; MemoryBound: 0
; FloatMode: 240
; IeeeMode: 1
; LDSByteSize: 8448 bytes/workgroup (compile time only)
; SGPRBlocks: 4
; VGPRBlocks: 4
; NumSGPRsForWavesPerEU: 36
; NumVGPRsForWavesPerEU: 35
; AccumOffset: 36
; Occupancy: 7
; WaveLimiterHint : 1
; COMPUTE_PGM_RSRC2:SCRATCH_EN: 0
; COMPUTE_PGM_RSRC2:USER_SGPR: 6
; COMPUTE_PGM_RSRC2:TRAP_HANDLER: 0
; COMPUTE_PGM_RSRC2:TGID_X_EN: 1
; COMPUTE_PGM_RSRC2:TGID_Y_EN: 1
; COMPUTE_PGM_RSRC2:TGID_Z_EN: 1
; COMPUTE_PGM_RSRC2:TIDIG_COMP_CNT: 0
; COMPUTE_PGM_RSRC3_GFX90A:ACCUM_OFFSET: 8
; COMPUTE_PGM_RSRC3_GFX90A:TG_SPLIT: 0
	.section	.text._ZN7rocprim17ROCPRIM_400000_NS6detail17trampoline_kernelINS0_14default_configENS1_38merge_sort_block_merge_config_selectorIilEEZZNS1_27merge_sort_block_merge_implIS3_PiN6thrust23THRUST_200600_302600_NS10device_ptrIlEEjNS1_19radix_merge_compareILb0ELb1EiNS0_19identity_decomposerEEEEE10hipError_tT0_T1_T2_jT3_P12ihipStream_tbPNSt15iterator_traitsISG_E10value_typeEPNSM_ISH_E10value_typeEPSI_NS1_7vsmem_tEENKUlT_SG_SH_SI_E_clIS7_S7_PlSB_EESF_SV_SG_SH_SI_EUlSV_E0_NS1_11comp_targetILNS1_3genE3ELNS1_11target_archE908ELNS1_3gpuE7ELNS1_3repE0EEENS1_38merge_mergepath_config_static_selectorELNS0_4arch9wavefront6targetE1EEEvSH_,"axG",@progbits,_ZN7rocprim17ROCPRIM_400000_NS6detail17trampoline_kernelINS0_14default_configENS1_38merge_sort_block_merge_config_selectorIilEEZZNS1_27merge_sort_block_merge_implIS3_PiN6thrust23THRUST_200600_302600_NS10device_ptrIlEEjNS1_19radix_merge_compareILb0ELb1EiNS0_19identity_decomposerEEEEE10hipError_tT0_T1_T2_jT3_P12ihipStream_tbPNSt15iterator_traitsISG_E10value_typeEPNSM_ISH_E10value_typeEPSI_NS1_7vsmem_tEENKUlT_SG_SH_SI_E_clIS7_S7_PlSB_EESF_SV_SG_SH_SI_EUlSV_E0_NS1_11comp_targetILNS1_3genE3ELNS1_11target_archE908ELNS1_3gpuE7ELNS1_3repE0EEENS1_38merge_mergepath_config_static_selectorELNS0_4arch9wavefront6targetE1EEEvSH_,comdat
	.protected	_ZN7rocprim17ROCPRIM_400000_NS6detail17trampoline_kernelINS0_14default_configENS1_38merge_sort_block_merge_config_selectorIilEEZZNS1_27merge_sort_block_merge_implIS3_PiN6thrust23THRUST_200600_302600_NS10device_ptrIlEEjNS1_19radix_merge_compareILb0ELb1EiNS0_19identity_decomposerEEEEE10hipError_tT0_T1_T2_jT3_P12ihipStream_tbPNSt15iterator_traitsISG_E10value_typeEPNSM_ISH_E10value_typeEPSI_NS1_7vsmem_tEENKUlT_SG_SH_SI_E_clIS7_S7_PlSB_EESF_SV_SG_SH_SI_EUlSV_E0_NS1_11comp_targetILNS1_3genE3ELNS1_11target_archE908ELNS1_3gpuE7ELNS1_3repE0EEENS1_38merge_mergepath_config_static_selectorELNS0_4arch9wavefront6targetE1EEEvSH_ ; -- Begin function _ZN7rocprim17ROCPRIM_400000_NS6detail17trampoline_kernelINS0_14default_configENS1_38merge_sort_block_merge_config_selectorIilEEZZNS1_27merge_sort_block_merge_implIS3_PiN6thrust23THRUST_200600_302600_NS10device_ptrIlEEjNS1_19radix_merge_compareILb0ELb1EiNS0_19identity_decomposerEEEEE10hipError_tT0_T1_T2_jT3_P12ihipStream_tbPNSt15iterator_traitsISG_E10value_typeEPNSM_ISH_E10value_typeEPSI_NS1_7vsmem_tEENKUlT_SG_SH_SI_E_clIS7_S7_PlSB_EESF_SV_SG_SH_SI_EUlSV_E0_NS1_11comp_targetILNS1_3genE3ELNS1_11target_archE908ELNS1_3gpuE7ELNS1_3repE0EEENS1_38merge_mergepath_config_static_selectorELNS0_4arch9wavefront6targetE1EEEvSH_
	.globl	_ZN7rocprim17ROCPRIM_400000_NS6detail17trampoline_kernelINS0_14default_configENS1_38merge_sort_block_merge_config_selectorIilEEZZNS1_27merge_sort_block_merge_implIS3_PiN6thrust23THRUST_200600_302600_NS10device_ptrIlEEjNS1_19radix_merge_compareILb0ELb1EiNS0_19identity_decomposerEEEEE10hipError_tT0_T1_T2_jT3_P12ihipStream_tbPNSt15iterator_traitsISG_E10value_typeEPNSM_ISH_E10value_typeEPSI_NS1_7vsmem_tEENKUlT_SG_SH_SI_E_clIS7_S7_PlSB_EESF_SV_SG_SH_SI_EUlSV_E0_NS1_11comp_targetILNS1_3genE3ELNS1_11target_archE908ELNS1_3gpuE7ELNS1_3repE0EEENS1_38merge_mergepath_config_static_selectorELNS0_4arch9wavefront6targetE1EEEvSH_
	.p2align	8
	.type	_ZN7rocprim17ROCPRIM_400000_NS6detail17trampoline_kernelINS0_14default_configENS1_38merge_sort_block_merge_config_selectorIilEEZZNS1_27merge_sort_block_merge_implIS3_PiN6thrust23THRUST_200600_302600_NS10device_ptrIlEEjNS1_19radix_merge_compareILb0ELb1EiNS0_19identity_decomposerEEEEE10hipError_tT0_T1_T2_jT3_P12ihipStream_tbPNSt15iterator_traitsISG_E10value_typeEPNSM_ISH_E10value_typeEPSI_NS1_7vsmem_tEENKUlT_SG_SH_SI_E_clIS7_S7_PlSB_EESF_SV_SG_SH_SI_EUlSV_E0_NS1_11comp_targetILNS1_3genE3ELNS1_11target_archE908ELNS1_3gpuE7ELNS1_3repE0EEENS1_38merge_mergepath_config_static_selectorELNS0_4arch9wavefront6targetE1EEEvSH_,@function
_ZN7rocprim17ROCPRIM_400000_NS6detail17trampoline_kernelINS0_14default_configENS1_38merge_sort_block_merge_config_selectorIilEEZZNS1_27merge_sort_block_merge_implIS3_PiN6thrust23THRUST_200600_302600_NS10device_ptrIlEEjNS1_19radix_merge_compareILb0ELb1EiNS0_19identity_decomposerEEEEE10hipError_tT0_T1_T2_jT3_P12ihipStream_tbPNSt15iterator_traitsISG_E10value_typeEPNSM_ISH_E10value_typeEPSI_NS1_7vsmem_tEENKUlT_SG_SH_SI_E_clIS7_S7_PlSB_EESF_SV_SG_SH_SI_EUlSV_E0_NS1_11comp_targetILNS1_3genE3ELNS1_11target_archE908ELNS1_3gpuE7ELNS1_3repE0EEENS1_38merge_mergepath_config_static_selectorELNS0_4arch9wavefront6targetE1EEEvSH_: ; @_ZN7rocprim17ROCPRIM_400000_NS6detail17trampoline_kernelINS0_14default_configENS1_38merge_sort_block_merge_config_selectorIilEEZZNS1_27merge_sort_block_merge_implIS3_PiN6thrust23THRUST_200600_302600_NS10device_ptrIlEEjNS1_19radix_merge_compareILb0ELb1EiNS0_19identity_decomposerEEEEE10hipError_tT0_T1_T2_jT3_P12ihipStream_tbPNSt15iterator_traitsISG_E10value_typeEPNSM_ISH_E10value_typeEPSI_NS1_7vsmem_tEENKUlT_SG_SH_SI_E_clIS7_S7_PlSB_EESF_SV_SG_SH_SI_EUlSV_E0_NS1_11comp_targetILNS1_3genE3ELNS1_11target_archE908ELNS1_3gpuE7ELNS1_3repE0EEENS1_38merge_mergepath_config_static_selectorELNS0_4arch9wavefront6targetE1EEEvSH_
; %bb.0:
	.section	.rodata,"a",@progbits
	.p2align	6, 0x0
	.amdhsa_kernel _ZN7rocprim17ROCPRIM_400000_NS6detail17trampoline_kernelINS0_14default_configENS1_38merge_sort_block_merge_config_selectorIilEEZZNS1_27merge_sort_block_merge_implIS3_PiN6thrust23THRUST_200600_302600_NS10device_ptrIlEEjNS1_19radix_merge_compareILb0ELb1EiNS0_19identity_decomposerEEEEE10hipError_tT0_T1_T2_jT3_P12ihipStream_tbPNSt15iterator_traitsISG_E10value_typeEPNSM_ISH_E10value_typeEPSI_NS1_7vsmem_tEENKUlT_SG_SH_SI_E_clIS7_S7_PlSB_EESF_SV_SG_SH_SI_EUlSV_E0_NS1_11comp_targetILNS1_3genE3ELNS1_11target_archE908ELNS1_3gpuE7ELNS1_3repE0EEENS1_38merge_mergepath_config_static_selectorELNS0_4arch9wavefront6targetE1EEEvSH_
		.amdhsa_group_segment_fixed_size 0
		.amdhsa_private_segment_fixed_size 0
		.amdhsa_kernarg_size 64
		.amdhsa_user_sgpr_count 6
		.amdhsa_user_sgpr_private_segment_buffer 1
		.amdhsa_user_sgpr_dispatch_ptr 0
		.amdhsa_user_sgpr_queue_ptr 0
		.amdhsa_user_sgpr_kernarg_segment_ptr 1
		.amdhsa_user_sgpr_dispatch_id 0
		.amdhsa_user_sgpr_flat_scratch_init 0
		.amdhsa_user_sgpr_kernarg_preload_length 0
		.amdhsa_user_sgpr_kernarg_preload_offset 0
		.amdhsa_user_sgpr_private_segment_size 0
		.amdhsa_uses_dynamic_stack 0
		.amdhsa_system_sgpr_private_segment_wavefront_offset 0
		.amdhsa_system_sgpr_workgroup_id_x 1
		.amdhsa_system_sgpr_workgroup_id_y 0
		.amdhsa_system_sgpr_workgroup_id_z 0
		.amdhsa_system_sgpr_workgroup_info 0
		.amdhsa_system_vgpr_workitem_id 0
		.amdhsa_next_free_vgpr 1
		.amdhsa_next_free_sgpr 0
		.amdhsa_accum_offset 4
		.amdhsa_reserve_vcc 0
		.amdhsa_reserve_flat_scratch 0
		.amdhsa_float_round_mode_32 0
		.amdhsa_float_round_mode_16_64 0
		.amdhsa_float_denorm_mode_32 3
		.amdhsa_float_denorm_mode_16_64 3
		.amdhsa_dx10_clamp 1
		.amdhsa_ieee_mode 1
		.amdhsa_fp16_overflow 0
		.amdhsa_tg_split 0
		.amdhsa_exception_fp_ieee_invalid_op 0
		.amdhsa_exception_fp_denorm_src 0
		.amdhsa_exception_fp_ieee_div_zero 0
		.amdhsa_exception_fp_ieee_overflow 0
		.amdhsa_exception_fp_ieee_underflow 0
		.amdhsa_exception_fp_ieee_inexact 0
		.amdhsa_exception_int_div_zero 0
	.end_amdhsa_kernel
	.section	.text._ZN7rocprim17ROCPRIM_400000_NS6detail17trampoline_kernelINS0_14default_configENS1_38merge_sort_block_merge_config_selectorIilEEZZNS1_27merge_sort_block_merge_implIS3_PiN6thrust23THRUST_200600_302600_NS10device_ptrIlEEjNS1_19radix_merge_compareILb0ELb1EiNS0_19identity_decomposerEEEEE10hipError_tT0_T1_T2_jT3_P12ihipStream_tbPNSt15iterator_traitsISG_E10value_typeEPNSM_ISH_E10value_typeEPSI_NS1_7vsmem_tEENKUlT_SG_SH_SI_E_clIS7_S7_PlSB_EESF_SV_SG_SH_SI_EUlSV_E0_NS1_11comp_targetILNS1_3genE3ELNS1_11target_archE908ELNS1_3gpuE7ELNS1_3repE0EEENS1_38merge_mergepath_config_static_selectorELNS0_4arch9wavefront6targetE1EEEvSH_,"axG",@progbits,_ZN7rocprim17ROCPRIM_400000_NS6detail17trampoline_kernelINS0_14default_configENS1_38merge_sort_block_merge_config_selectorIilEEZZNS1_27merge_sort_block_merge_implIS3_PiN6thrust23THRUST_200600_302600_NS10device_ptrIlEEjNS1_19radix_merge_compareILb0ELb1EiNS0_19identity_decomposerEEEEE10hipError_tT0_T1_T2_jT3_P12ihipStream_tbPNSt15iterator_traitsISG_E10value_typeEPNSM_ISH_E10value_typeEPSI_NS1_7vsmem_tEENKUlT_SG_SH_SI_E_clIS7_S7_PlSB_EESF_SV_SG_SH_SI_EUlSV_E0_NS1_11comp_targetILNS1_3genE3ELNS1_11target_archE908ELNS1_3gpuE7ELNS1_3repE0EEENS1_38merge_mergepath_config_static_selectorELNS0_4arch9wavefront6targetE1EEEvSH_,comdat
.Lfunc_end812:
	.size	_ZN7rocprim17ROCPRIM_400000_NS6detail17trampoline_kernelINS0_14default_configENS1_38merge_sort_block_merge_config_selectorIilEEZZNS1_27merge_sort_block_merge_implIS3_PiN6thrust23THRUST_200600_302600_NS10device_ptrIlEEjNS1_19radix_merge_compareILb0ELb1EiNS0_19identity_decomposerEEEEE10hipError_tT0_T1_T2_jT3_P12ihipStream_tbPNSt15iterator_traitsISG_E10value_typeEPNSM_ISH_E10value_typeEPSI_NS1_7vsmem_tEENKUlT_SG_SH_SI_E_clIS7_S7_PlSB_EESF_SV_SG_SH_SI_EUlSV_E0_NS1_11comp_targetILNS1_3genE3ELNS1_11target_archE908ELNS1_3gpuE7ELNS1_3repE0EEENS1_38merge_mergepath_config_static_selectorELNS0_4arch9wavefront6targetE1EEEvSH_, .Lfunc_end812-_ZN7rocprim17ROCPRIM_400000_NS6detail17trampoline_kernelINS0_14default_configENS1_38merge_sort_block_merge_config_selectorIilEEZZNS1_27merge_sort_block_merge_implIS3_PiN6thrust23THRUST_200600_302600_NS10device_ptrIlEEjNS1_19radix_merge_compareILb0ELb1EiNS0_19identity_decomposerEEEEE10hipError_tT0_T1_T2_jT3_P12ihipStream_tbPNSt15iterator_traitsISG_E10value_typeEPNSM_ISH_E10value_typeEPSI_NS1_7vsmem_tEENKUlT_SG_SH_SI_E_clIS7_S7_PlSB_EESF_SV_SG_SH_SI_EUlSV_E0_NS1_11comp_targetILNS1_3genE3ELNS1_11target_archE908ELNS1_3gpuE7ELNS1_3repE0EEENS1_38merge_mergepath_config_static_selectorELNS0_4arch9wavefront6targetE1EEEvSH_
                                        ; -- End function
	.section	.AMDGPU.csdata,"",@progbits
; Kernel info:
; codeLenInByte = 0
; NumSgprs: 4
; NumVgprs: 0
; NumAgprs: 0
; TotalNumVgprs: 0
; ScratchSize: 0
; MemoryBound: 0
; FloatMode: 240
; IeeeMode: 1
; LDSByteSize: 0 bytes/workgroup (compile time only)
; SGPRBlocks: 0
; VGPRBlocks: 0
; NumSGPRsForWavesPerEU: 4
; NumVGPRsForWavesPerEU: 1
; AccumOffset: 4
; Occupancy: 8
; WaveLimiterHint : 0
; COMPUTE_PGM_RSRC2:SCRATCH_EN: 0
; COMPUTE_PGM_RSRC2:USER_SGPR: 6
; COMPUTE_PGM_RSRC2:TRAP_HANDLER: 0
; COMPUTE_PGM_RSRC2:TGID_X_EN: 1
; COMPUTE_PGM_RSRC2:TGID_Y_EN: 0
; COMPUTE_PGM_RSRC2:TGID_Z_EN: 0
; COMPUTE_PGM_RSRC2:TIDIG_COMP_CNT: 0
; COMPUTE_PGM_RSRC3_GFX90A:ACCUM_OFFSET: 0
; COMPUTE_PGM_RSRC3_GFX90A:TG_SPLIT: 0
	.section	.text._ZN7rocprim17ROCPRIM_400000_NS6detail17trampoline_kernelINS0_14default_configENS1_38merge_sort_block_merge_config_selectorIilEEZZNS1_27merge_sort_block_merge_implIS3_PiN6thrust23THRUST_200600_302600_NS10device_ptrIlEEjNS1_19radix_merge_compareILb0ELb1EiNS0_19identity_decomposerEEEEE10hipError_tT0_T1_T2_jT3_P12ihipStream_tbPNSt15iterator_traitsISG_E10value_typeEPNSM_ISH_E10value_typeEPSI_NS1_7vsmem_tEENKUlT_SG_SH_SI_E_clIS7_S7_PlSB_EESF_SV_SG_SH_SI_EUlSV_E0_NS1_11comp_targetILNS1_3genE2ELNS1_11target_archE906ELNS1_3gpuE6ELNS1_3repE0EEENS1_38merge_mergepath_config_static_selectorELNS0_4arch9wavefront6targetE1EEEvSH_,"axG",@progbits,_ZN7rocprim17ROCPRIM_400000_NS6detail17trampoline_kernelINS0_14default_configENS1_38merge_sort_block_merge_config_selectorIilEEZZNS1_27merge_sort_block_merge_implIS3_PiN6thrust23THRUST_200600_302600_NS10device_ptrIlEEjNS1_19radix_merge_compareILb0ELb1EiNS0_19identity_decomposerEEEEE10hipError_tT0_T1_T2_jT3_P12ihipStream_tbPNSt15iterator_traitsISG_E10value_typeEPNSM_ISH_E10value_typeEPSI_NS1_7vsmem_tEENKUlT_SG_SH_SI_E_clIS7_S7_PlSB_EESF_SV_SG_SH_SI_EUlSV_E0_NS1_11comp_targetILNS1_3genE2ELNS1_11target_archE906ELNS1_3gpuE6ELNS1_3repE0EEENS1_38merge_mergepath_config_static_selectorELNS0_4arch9wavefront6targetE1EEEvSH_,comdat
	.protected	_ZN7rocprim17ROCPRIM_400000_NS6detail17trampoline_kernelINS0_14default_configENS1_38merge_sort_block_merge_config_selectorIilEEZZNS1_27merge_sort_block_merge_implIS3_PiN6thrust23THRUST_200600_302600_NS10device_ptrIlEEjNS1_19radix_merge_compareILb0ELb1EiNS0_19identity_decomposerEEEEE10hipError_tT0_T1_T2_jT3_P12ihipStream_tbPNSt15iterator_traitsISG_E10value_typeEPNSM_ISH_E10value_typeEPSI_NS1_7vsmem_tEENKUlT_SG_SH_SI_E_clIS7_S7_PlSB_EESF_SV_SG_SH_SI_EUlSV_E0_NS1_11comp_targetILNS1_3genE2ELNS1_11target_archE906ELNS1_3gpuE6ELNS1_3repE0EEENS1_38merge_mergepath_config_static_selectorELNS0_4arch9wavefront6targetE1EEEvSH_ ; -- Begin function _ZN7rocprim17ROCPRIM_400000_NS6detail17trampoline_kernelINS0_14default_configENS1_38merge_sort_block_merge_config_selectorIilEEZZNS1_27merge_sort_block_merge_implIS3_PiN6thrust23THRUST_200600_302600_NS10device_ptrIlEEjNS1_19radix_merge_compareILb0ELb1EiNS0_19identity_decomposerEEEEE10hipError_tT0_T1_T2_jT3_P12ihipStream_tbPNSt15iterator_traitsISG_E10value_typeEPNSM_ISH_E10value_typeEPSI_NS1_7vsmem_tEENKUlT_SG_SH_SI_E_clIS7_S7_PlSB_EESF_SV_SG_SH_SI_EUlSV_E0_NS1_11comp_targetILNS1_3genE2ELNS1_11target_archE906ELNS1_3gpuE6ELNS1_3repE0EEENS1_38merge_mergepath_config_static_selectorELNS0_4arch9wavefront6targetE1EEEvSH_
	.globl	_ZN7rocprim17ROCPRIM_400000_NS6detail17trampoline_kernelINS0_14default_configENS1_38merge_sort_block_merge_config_selectorIilEEZZNS1_27merge_sort_block_merge_implIS3_PiN6thrust23THRUST_200600_302600_NS10device_ptrIlEEjNS1_19radix_merge_compareILb0ELb1EiNS0_19identity_decomposerEEEEE10hipError_tT0_T1_T2_jT3_P12ihipStream_tbPNSt15iterator_traitsISG_E10value_typeEPNSM_ISH_E10value_typeEPSI_NS1_7vsmem_tEENKUlT_SG_SH_SI_E_clIS7_S7_PlSB_EESF_SV_SG_SH_SI_EUlSV_E0_NS1_11comp_targetILNS1_3genE2ELNS1_11target_archE906ELNS1_3gpuE6ELNS1_3repE0EEENS1_38merge_mergepath_config_static_selectorELNS0_4arch9wavefront6targetE1EEEvSH_
	.p2align	8
	.type	_ZN7rocprim17ROCPRIM_400000_NS6detail17trampoline_kernelINS0_14default_configENS1_38merge_sort_block_merge_config_selectorIilEEZZNS1_27merge_sort_block_merge_implIS3_PiN6thrust23THRUST_200600_302600_NS10device_ptrIlEEjNS1_19radix_merge_compareILb0ELb1EiNS0_19identity_decomposerEEEEE10hipError_tT0_T1_T2_jT3_P12ihipStream_tbPNSt15iterator_traitsISG_E10value_typeEPNSM_ISH_E10value_typeEPSI_NS1_7vsmem_tEENKUlT_SG_SH_SI_E_clIS7_S7_PlSB_EESF_SV_SG_SH_SI_EUlSV_E0_NS1_11comp_targetILNS1_3genE2ELNS1_11target_archE906ELNS1_3gpuE6ELNS1_3repE0EEENS1_38merge_mergepath_config_static_selectorELNS0_4arch9wavefront6targetE1EEEvSH_,@function
_ZN7rocprim17ROCPRIM_400000_NS6detail17trampoline_kernelINS0_14default_configENS1_38merge_sort_block_merge_config_selectorIilEEZZNS1_27merge_sort_block_merge_implIS3_PiN6thrust23THRUST_200600_302600_NS10device_ptrIlEEjNS1_19radix_merge_compareILb0ELb1EiNS0_19identity_decomposerEEEEE10hipError_tT0_T1_T2_jT3_P12ihipStream_tbPNSt15iterator_traitsISG_E10value_typeEPNSM_ISH_E10value_typeEPSI_NS1_7vsmem_tEENKUlT_SG_SH_SI_E_clIS7_S7_PlSB_EESF_SV_SG_SH_SI_EUlSV_E0_NS1_11comp_targetILNS1_3genE2ELNS1_11target_archE906ELNS1_3gpuE6ELNS1_3repE0EEENS1_38merge_mergepath_config_static_selectorELNS0_4arch9wavefront6targetE1EEEvSH_: ; @_ZN7rocprim17ROCPRIM_400000_NS6detail17trampoline_kernelINS0_14default_configENS1_38merge_sort_block_merge_config_selectorIilEEZZNS1_27merge_sort_block_merge_implIS3_PiN6thrust23THRUST_200600_302600_NS10device_ptrIlEEjNS1_19radix_merge_compareILb0ELb1EiNS0_19identity_decomposerEEEEE10hipError_tT0_T1_T2_jT3_P12ihipStream_tbPNSt15iterator_traitsISG_E10value_typeEPNSM_ISH_E10value_typeEPSI_NS1_7vsmem_tEENKUlT_SG_SH_SI_E_clIS7_S7_PlSB_EESF_SV_SG_SH_SI_EUlSV_E0_NS1_11comp_targetILNS1_3genE2ELNS1_11target_archE906ELNS1_3gpuE6ELNS1_3repE0EEENS1_38merge_mergepath_config_static_selectorELNS0_4arch9wavefront6targetE1EEEvSH_
; %bb.0:
	.section	.rodata,"a",@progbits
	.p2align	6, 0x0
	.amdhsa_kernel _ZN7rocprim17ROCPRIM_400000_NS6detail17trampoline_kernelINS0_14default_configENS1_38merge_sort_block_merge_config_selectorIilEEZZNS1_27merge_sort_block_merge_implIS3_PiN6thrust23THRUST_200600_302600_NS10device_ptrIlEEjNS1_19radix_merge_compareILb0ELb1EiNS0_19identity_decomposerEEEEE10hipError_tT0_T1_T2_jT3_P12ihipStream_tbPNSt15iterator_traitsISG_E10value_typeEPNSM_ISH_E10value_typeEPSI_NS1_7vsmem_tEENKUlT_SG_SH_SI_E_clIS7_S7_PlSB_EESF_SV_SG_SH_SI_EUlSV_E0_NS1_11comp_targetILNS1_3genE2ELNS1_11target_archE906ELNS1_3gpuE6ELNS1_3repE0EEENS1_38merge_mergepath_config_static_selectorELNS0_4arch9wavefront6targetE1EEEvSH_
		.amdhsa_group_segment_fixed_size 0
		.amdhsa_private_segment_fixed_size 0
		.amdhsa_kernarg_size 64
		.amdhsa_user_sgpr_count 6
		.amdhsa_user_sgpr_private_segment_buffer 1
		.amdhsa_user_sgpr_dispatch_ptr 0
		.amdhsa_user_sgpr_queue_ptr 0
		.amdhsa_user_sgpr_kernarg_segment_ptr 1
		.amdhsa_user_sgpr_dispatch_id 0
		.amdhsa_user_sgpr_flat_scratch_init 0
		.amdhsa_user_sgpr_kernarg_preload_length 0
		.amdhsa_user_sgpr_kernarg_preload_offset 0
		.amdhsa_user_sgpr_private_segment_size 0
		.amdhsa_uses_dynamic_stack 0
		.amdhsa_system_sgpr_private_segment_wavefront_offset 0
		.amdhsa_system_sgpr_workgroup_id_x 1
		.amdhsa_system_sgpr_workgroup_id_y 0
		.amdhsa_system_sgpr_workgroup_id_z 0
		.amdhsa_system_sgpr_workgroup_info 0
		.amdhsa_system_vgpr_workitem_id 0
		.amdhsa_next_free_vgpr 1
		.amdhsa_next_free_sgpr 0
		.amdhsa_accum_offset 4
		.amdhsa_reserve_vcc 0
		.amdhsa_reserve_flat_scratch 0
		.amdhsa_float_round_mode_32 0
		.amdhsa_float_round_mode_16_64 0
		.amdhsa_float_denorm_mode_32 3
		.amdhsa_float_denorm_mode_16_64 3
		.amdhsa_dx10_clamp 1
		.amdhsa_ieee_mode 1
		.amdhsa_fp16_overflow 0
		.amdhsa_tg_split 0
		.amdhsa_exception_fp_ieee_invalid_op 0
		.amdhsa_exception_fp_denorm_src 0
		.amdhsa_exception_fp_ieee_div_zero 0
		.amdhsa_exception_fp_ieee_overflow 0
		.amdhsa_exception_fp_ieee_underflow 0
		.amdhsa_exception_fp_ieee_inexact 0
		.amdhsa_exception_int_div_zero 0
	.end_amdhsa_kernel
	.section	.text._ZN7rocprim17ROCPRIM_400000_NS6detail17trampoline_kernelINS0_14default_configENS1_38merge_sort_block_merge_config_selectorIilEEZZNS1_27merge_sort_block_merge_implIS3_PiN6thrust23THRUST_200600_302600_NS10device_ptrIlEEjNS1_19radix_merge_compareILb0ELb1EiNS0_19identity_decomposerEEEEE10hipError_tT0_T1_T2_jT3_P12ihipStream_tbPNSt15iterator_traitsISG_E10value_typeEPNSM_ISH_E10value_typeEPSI_NS1_7vsmem_tEENKUlT_SG_SH_SI_E_clIS7_S7_PlSB_EESF_SV_SG_SH_SI_EUlSV_E0_NS1_11comp_targetILNS1_3genE2ELNS1_11target_archE906ELNS1_3gpuE6ELNS1_3repE0EEENS1_38merge_mergepath_config_static_selectorELNS0_4arch9wavefront6targetE1EEEvSH_,"axG",@progbits,_ZN7rocprim17ROCPRIM_400000_NS6detail17trampoline_kernelINS0_14default_configENS1_38merge_sort_block_merge_config_selectorIilEEZZNS1_27merge_sort_block_merge_implIS3_PiN6thrust23THRUST_200600_302600_NS10device_ptrIlEEjNS1_19radix_merge_compareILb0ELb1EiNS0_19identity_decomposerEEEEE10hipError_tT0_T1_T2_jT3_P12ihipStream_tbPNSt15iterator_traitsISG_E10value_typeEPNSM_ISH_E10value_typeEPSI_NS1_7vsmem_tEENKUlT_SG_SH_SI_E_clIS7_S7_PlSB_EESF_SV_SG_SH_SI_EUlSV_E0_NS1_11comp_targetILNS1_3genE2ELNS1_11target_archE906ELNS1_3gpuE6ELNS1_3repE0EEENS1_38merge_mergepath_config_static_selectorELNS0_4arch9wavefront6targetE1EEEvSH_,comdat
.Lfunc_end813:
	.size	_ZN7rocprim17ROCPRIM_400000_NS6detail17trampoline_kernelINS0_14default_configENS1_38merge_sort_block_merge_config_selectorIilEEZZNS1_27merge_sort_block_merge_implIS3_PiN6thrust23THRUST_200600_302600_NS10device_ptrIlEEjNS1_19radix_merge_compareILb0ELb1EiNS0_19identity_decomposerEEEEE10hipError_tT0_T1_T2_jT3_P12ihipStream_tbPNSt15iterator_traitsISG_E10value_typeEPNSM_ISH_E10value_typeEPSI_NS1_7vsmem_tEENKUlT_SG_SH_SI_E_clIS7_S7_PlSB_EESF_SV_SG_SH_SI_EUlSV_E0_NS1_11comp_targetILNS1_3genE2ELNS1_11target_archE906ELNS1_3gpuE6ELNS1_3repE0EEENS1_38merge_mergepath_config_static_selectorELNS0_4arch9wavefront6targetE1EEEvSH_, .Lfunc_end813-_ZN7rocprim17ROCPRIM_400000_NS6detail17trampoline_kernelINS0_14default_configENS1_38merge_sort_block_merge_config_selectorIilEEZZNS1_27merge_sort_block_merge_implIS3_PiN6thrust23THRUST_200600_302600_NS10device_ptrIlEEjNS1_19radix_merge_compareILb0ELb1EiNS0_19identity_decomposerEEEEE10hipError_tT0_T1_T2_jT3_P12ihipStream_tbPNSt15iterator_traitsISG_E10value_typeEPNSM_ISH_E10value_typeEPSI_NS1_7vsmem_tEENKUlT_SG_SH_SI_E_clIS7_S7_PlSB_EESF_SV_SG_SH_SI_EUlSV_E0_NS1_11comp_targetILNS1_3genE2ELNS1_11target_archE906ELNS1_3gpuE6ELNS1_3repE0EEENS1_38merge_mergepath_config_static_selectorELNS0_4arch9wavefront6targetE1EEEvSH_
                                        ; -- End function
	.section	.AMDGPU.csdata,"",@progbits
; Kernel info:
; codeLenInByte = 0
; NumSgprs: 4
; NumVgprs: 0
; NumAgprs: 0
; TotalNumVgprs: 0
; ScratchSize: 0
; MemoryBound: 0
; FloatMode: 240
; IeeeMode: 1
; LDSByteSize: 0 bytes/workgroup (compile time only)
; SGPRBlocks: 0
; VGPRBlocks: 0
; NumSGPRsForWavesPerEU: 4
; NumVGPRsForWavesPerEU: 1
; AccumOffset: 4
; Occupancy: 8
; WaveLimiterHint : 0
; COMPUTE_PGM_RSRC2:SCRATCH_EN: 0
; COMPUTE_PGM_RSRC2:USER_SGPR: 6
; COMPUTE_PGM_RSRC2:TRAP_HANDLER: 0
; COMPUTE_PGM_RSRC2:TGID_X_EN: 1
; COMPUTE_PGM_RSRC2:TGID_Y_EN: 0
; COMPUTE_PGM_RSRC2:TGID_Z_EN: 0
; COMPUTE_PGM_RSRC2:TIDIG_COMP_CNT: 0
; COMPUTE_PGM_RSRC3_GFX90A:ACCUM_OFFSET: 0
; COMPUTE_PGM_RSRC3_GFX90A:TG_SPLIT: 0
	.section	.text._ZN7rocprim17ROCPRIM_400000_NS6detail17trampoline_kernelINS0_14default_configENS1_38merge_sort_block_merge_config_selectorIilEEZZNS1_27merge_sort_block_merge_implIS3_PiN6thrust23THRUST_200600_302600_NS10device_ptrIlEEjNS1_19radix_merge_compareILb0ELb1EiNS0_19identity_decomposerEEEEE10hipError_tT0_T1_T2_jT3_P12ihipStream_tbPNSt15iterator_traitsISG_E10value_typeEPNSM_ISH_E10value_typeEPSI_NS1_7vsmem_tEENKUlT_SG_SH_SI_E_clIS7_S7_PlSB_EESF_SV_SG_SH_SI_EUlSV_E0_NS1_11comp_targetILNS1_3genE9ELNS1_11target_archE1100ELNS1_3gpuE3ELNS1_3repE0EEENS1_38merge_mergepath_config_static_selectorELNS0_4arch9wavefront6targetE1EEEvSH_,"axG",@progbits,_ZN7rocprim17ROCPRIM_400000_NS6detail17trampoline_kernelINS0_14default_configENS1_38merge_sort_block_merge_config_selectorIilEEZZNS1_27merge_sort_block_merge_implIS3_PiN6thrust23THRUST_200600_302600_NS10device_ptrIlEEjNS1_19radix_merge_compareILb0ELb1EiNS0_19identity_decomposerEEEEE10hipError_tT0_T1_T2_jT3_P12ihipStream_tbPNSt15iterator_traitsISG_E10value_typeEPNSM_ISH_E10value_typeEPSI_NS1_7vsmem_tEENKUlT_SG_SH_SI_E_clIS7_S7_PlSB_EESF_SV_SG_SH_SI_EUlSV_E0_NS1_11comp_targetILNS1_3genE9ELNS1_11target_archE1100ELNS1_3gpuE3ELNS1_3repE0EEENS1_38merge_mergepath_config_static_selectorELNS0_4arch9wavefront6targetE1EEEvSH_,comdat
	.protected	_ZN7rocprim17ROCPRIM_400000_NS6detail17trampoline_kernelINS0_14default_configENS1_38merge_sort_block_merge_config_selectorIilEEZZNS1_27merge_sort_block_merge_implIS3_PiN6thrust23THRUST_200600_302600_NS10device_ptrIlEEjNS1_19radix_merge_compareILb0ELb1EiNS0_19identity_decomposerEEEEE10hipError_tT0_T1_T2_jT3_P12ihipStream_tbPNSt15iterator_traitsISG_E10value_typeEPNSM_ISH_E10value_typeEPSI_NS1_7vsmem_tEENKUlT_SG_SH_SI_E_clIS7_S7_PlSB_EESF_SV_SG_SH_SI_EUlSV_E0_NS1_11comp_targetILNS1_3genE9ELNS1_11target_archE1100ELNS1_3gpuE3ELNS1_3repE0EEENS1_38merge_mergepath_config_static_selectorELNS0_4arch9wavefront6targetE1EEEvSH_ ; -- Begin function _ZN7rocprim17ROCPRIM_400000_NS6detail17trampoline_kernelINS0_14default_configENS1_38merge_sort_block_merge_config_selectorIilEEZZNS1_27merge_sort_block_merge_implIS3_PiN6thrust23THRUST_200600_302600_NS10device_ptrIlEEjNS1_19radix_merge_compareILb0ELb1EiNS0_19identity_decomposerEEEEE10hipError_tT0_T1_T2_jT3_P12ihipStream_tbPNSt15iterator_traitsISG_E10value_typeEPNSM_ISH_E10value_typeEPSI_NS1_7vsmem_tEENKUlT_SG_SH_SI_E_clIS7_S7_PlSB_EESF_SV_SG_SH_SI_EUlSV_E0_NS1_11comp_targetILNS1_3genE9ELNS1_11target_archE1100ELNS1_3gpuE3ELNS1_3repE0EEENS1_38merge_mergepath_config_static_selectorELNS0_4arch9wavefront6targetE1EEEvSH_
	.globl	_ZN7rocprim17ROCPRIM_400000_NS6detail17trampoline_kernelINS0_14default_configENS1_38merge_sort_block_merge_config_selectorIilEEZZNS1_27merge_sort_block_merge_implIS3_PiN6thrust23THRUST_200600_302600_NS10device_ptrIlEEjNS1_19radix_merge_compareILb0ELb1EiNS0_19identity_decomposerEEEEE10hipError_tT0_T1_T2_jT3_P12ihipStream_tbPNSt15iterator_traitsISG_E10value_typeEPNSM_ISH_E10value_typeEPSI_NS1_7vsmem_tEENKUlT_SG_SH_SI_E_clIS7_S7_PlSB_EESF_SV_SG_SH_SI_EUlSV_E0_NS1_11comp_targetILNS1_3genE9ELNS1_11target_archE1100ELNS1_3gpuE3ELNS1_3repE0EEENS1_38merge_mergepath_config_static_selectorELNS0_4arch9wavefront6targetE1EEEvSH_
	.p2align	8
	.type	_ZN7rocprim17ROCPRIM_400000_NS6detail17trampoline_kernelINS0_14default_configENS1_38merge_sort_block_merge_config_selectorIilEEZZNS1_27merge_sort_block_merge_implIS3_PiN6thrust23THRUST_200600_302600_NS10device_ptrIlEEjNS1_19radix_merge_compareILb0ELb1EiNS0_19identity_decomposerEEEEE10hipError_tT0_T1_T2_jT3_P12ihipStream_tbPNSt15iterator_traitsISG_E10value_typeEPNSM_ISH_E10value_typeEPSI_NS1_7vsmem_tEENKUlT_SG_SH_SI_E_clIS7_S7_PlSB_EESF_SV_SG_SH_SI_EUlSV_E0_NS1_11comp_targetILNS1_3genE9ELNS1_11target_archE1100ELNS1_3gpuE3ELNS1_3repE0EEENS1_38merge_mergepath_config_static_selectorELNS0_4arch9wavefront6targetE1EEEvSH_,@function
_ZN7rocprim17ROCPRIM_400000_NS6detail17trampoline_kernelINS0_14default_configENS1_38merge_sort_block_merge_config_selectorIilEEZZNS1_27merge_sort_block_merge_implIS3_PiN6thrust23THRUST_200600_302600_NS10device_ptrIlEEjNS1_19radix_merge_compareILb0ELb1EiNS0_19identity_decomposerEEEEE10hipError_tT0_T1_T2_jT3_P12ihipStream_tbPNSt15iterator_traitsISG_E10value_typeEPNSM_ISH_E10value_typeEPSI_NS1_7vsmem_tEENKUlT_SG_SH_SI_E_clIS7_S7_PlSB_EESF_SV_SG_SH_SI_EUlSV_E0_NS1_11comp_targetILNS1_3genE9ELNS1_11target_archE1100ELNS1_3gpuE3ELNS1_3repE0EEENS1_38merge_mergepath_config_static_selectorELNS0_4arch9wavefront6targetE1EEEvSH_: ; @_ZN7rocprim17ROCPRIM_400000_NS6detail17trampoline_kernelINS0_14default_configENS1_38merge_sort_block_merge_config_selectorIilEEZZNS1_27merge_sort_block_merge_implIS3_PiN6thrust23THRUST_200600_302600_NS10device_ptrIlEEjNS1_19radix_merge_compareILb0ELb1EiNS0_19identity_decomposerEEEEE10hipError_tT0_T1_T2_jT3_P12ihipStream_tbPNSt15iterator_traitsISG_E10value_typeEPNSM_ISH_E10value_typeEPSI_NS1_7vsmem_tEENKUlT_SG_SH_SI_E_clIS7_S7_PlSB_EESF_SV_SG_SH_SI_EUlSV_E0_NS1_11comp_targetILNS1_3genE9ELNS1_11target_archE1100ELNS1_3gpuE3ELNS1_3repE0EEENS1_38merge_mergepath_config_static_selectorELNS0_4arch9wavefront6targetE1EEEvSH_
; %bb.0:
	.section	.rodata,"a",@progbits
	.p2align	6, 0x0
	.amdhsa_kernel _ZN7rocprim17ROCPRIM_400000_NS6detail17trampoline_kernelINS0_14default_configENS1_38merge_sort_block_merge_config_selectorIilEEZZNS1_27merge_sort_block_merge_implIS3_PiN6thrust23THRUST_200600_302600_NS10device_ptrIlEEjNS1_19radix_merge_compareILb0ELb1EiNS0_19identity_decomposerEEEEE10hipError_tT0_T1_T2_jT3_P12ihipStream_tbPNSt15iterator_traitsISG_E10value_typeEPNSM_ISH_E10value_typeEPSI_NS1_7vsmem_tEENKUlT_SG_SH_SI_E_clIS7_S7_PlSB_EESF_SV_SG_SH_SI_EUlSV_E0_NS1_11comp_targetILNS1_3genE9ELNS1_11target_archE1100ELNS1_3gpuE3ELNS1_3repE0EEENS1_38merge_mergepath_config_static_selectorELNS0_4arch9wavefront6targetE1EEEvSH_
		.amdhsa_group_segment_fixed_size 0
		.amdhsa_private_segment_fixed_size 0
		.amdhsa_kernarg_size 64
		.amdhsa_user_sgpr_count 6
		.amdhsa_user_sgpr_private_segment_buffer 1
		.amdhsa_user_sgpr_dispatch_ptr 0
		.amdhsa_user_sgpr_queue_ptr 0
		.amdhsa_user_sgpr_kernarg_segment_ptr 1
		.amdhsa_user_sgpr_dispatch_id 0
		.amdhsa_user_sgpr_flat_scratch_init 0
		.amdhsa_user_sgpr_kernarg_preload_length 0
		.amdhsa_user_sgpr_kernarg_preload_offset 0
		.amdhsa_user_sgpr_private_segment_size 0
		.amdhsa_uses_dynamic_stack 0
		.amdhsa_system_sgpr_private_segment_wavefront_offset 0
		.amdhsa_system_sgpr_workgroup_id_x 1
		.amdhsa_system_sgpr_workgroup_id_y 0
		.amdhsa_system_sgpr_workgroup_id_z 0
		.amdhsa_system_sgpr_workgroup_info 0
		.amdhsa_system_vgpr_workitem_id 0
		.amdhsa_next_free_vgpr 1
		.amdhsa_next_free_sgpr 0
		.amdhsa_accum_offset 4
		.amdhsa_reserve_vcc 0
		.amdhsa_reserve_flat_scratch 0
		.amdhsa_float_round_mode_32 0
		.amdhsa_float_round_mode_16_64 0
		.amdhsa_float_denorm_mode_32 3
		.amdhsa_float_denorm_mode_16_64 3
		.amdhsa_dx10_clamp 1
		.amdhsa_ieee_mode 1
		.amdhsa_fp16_overflow 0
		.amdhsa_tg_split 0
		.amdhsa_exception_fp_ieee_invalid_op 0
		.amdhsa_exception_fp_denorm_src 0
		.amdhsa_exception_fp_ieee_div_zero 0
		.amdhsa_exception_fp_ieee_overflow 0
		.amdhsa_exception_fp_ieee_underflow 0
		.amdhsa_exception_fp_ieee_inexact 0
		.amdhsa_exception_int_div_zero 0
	.end_amdhsa_kernel
	.section	.text._ZN7rocprim17ROCPRIM_400000_NS6detail17trampoline_kernelINS0_14default_configENS1_38merge_sort_block_merge_config_selectorIilEEZZNS1_27merge_sort_block_merge_implIS3_PiN6thrust23THRUST_200600_302600_NS10device_ptrIlEEjNS1_19radix_merge_compareILb0ELb1EiNS0_19identity_decomposerEEEEE10hipError_tT0_T1_T2_jT3_P12ihipStream_tbPNSt15iterator_traitsISG_E10value_typeEPNSM_ISH_E10value_typeEPSI_NS1_7vsmem_tEENKUlT_SG_SH_SI_E_clIS7_S7_PlSB_EESF_SV_SG_SH_SI_EUlSV_E0_NS1_11comp_targetILNS1_3genE9ELNS1_11target_archE1100ELNS1_3gpuE3ELNS1_3repE0EEENS1_38merge_mergepath_config_static_selectorELNS0_4arch9wavefront6targetE1EEEvSH_,"axG",@progbits,_ZN7rocprim17ROCPRIM_400000_NS6detail17trampoline_kernelINS0_14default_configENS1_38merge_sort_block_merge_config_selectorIilEEZZNS1_27merge_sort_block_merge_implIS3_PiN6thrust23THRUST_200600_302600_NS10device_ptrIlEEjNS1_19radix_merge_compareILb0ELb1EiNS0_19identity_decomposerEEEEE10hipError_tT0_T1_T2_jT3_P12ihipStream_tbPNSt15iterator_traitsISG_E10value_typeEPNSM_ISH_E10value_typeEPSI_NS1_7vsmem_tEENKUlT_SG_SH_SI_E_clIS7_S7_PlSB_EESF_SV_SG_SH_SI_EUlSV_E0_NS1_11comp_targetILNS1_3genE9ELNS1_11target_archE1100ELNS1_3gpuE3ELNS1_3repE0EEENS1_38merge_mergepath_config_static_selectorELNS0_4arch9wavefront6targetE1EEEvSH_,comdat
.Lfunc_end814:
	.size	_ZN7rocprim17ROCPRIM_400000_NS6detail17trampoline_kernelINS0_14default_configENS1_38merge_sort_block_merge_config_selectorIilEEZZNS1_27merge_sort_block_merge_implIS3_PiN6thrust23THRUST_200600_302600_NS10device_ptrIlEEjNS1_19radix_merge_compareILb0ELb1EiNS0_19identity_decomposerEEEEE10hipError_tT0_T1_T2_jT3_P12ihipStream_tbPNSt15iterator_traitsISG_E10value_typeEPNSM_ISH_E10value_typeEPSI_NS1_7vsmem_tEENKUlT_SG_SH_SI_E_clIS7_S7_PlSB_EESF_SV_SG_SH_SI_EUlSV_E0_NS1_11comp_targetILNS1_3genE9ELNS1_11target_archE1100ELNS1_3gpuE3ELNS1_3repE0EEENS1_38merge_mergepath_config_static_selectorELNS0_4arch9wavefront6targetE1EEEvSH_, .Lfunc_end814-_ZN7rocprim17ROCPRIM_400000_NS6detail17trampoline_kernelINS0_14default_configENS1_38merge_sort_block_merge_config_selectorIilEEZZNS1_27merge_sort_block_merge_implIS3_PiN6thrust23THRUST_200600_302600_NS10device_ptrIlEEjNS1_19radix_merge_compareILb0ELb1EiNS0_19identity_decomposerEEEEE10hipError_tT0_T1_T2_jT3_P12ihipStream_tbPNSt15iterator_traitsISG_E10value_typeEPNSM_ISH_E10value_typeEPSI_NS1_7vsmem_tEENKUlT_SG_SH_SI_E_clIS7_S7_PlSB_EESF_SV_SG_SH_SI_EUlSV_E0_NS1_11comp_targetILNS1_3genE9ELNS1_11target_archE1100ELNS1_3gpuE3ELNS1_3repE0EEENS1_38merge_mergepath_config_static_selectorELNS0_4arch9wavefront6targetE1EEEvSH_
                                        ; -- End function
	.section	.AMDGPU.csdata,"",@progbits
; Kernel info:
; codeLenInByte = 0
; NumSgprs: 4
; NumVgprs: 0
; NumAgprs: 0
; TotalNumVgprs: 0
; ScratchSize: 0
; MemoryBound: 0
; FloatMode: 240
; IeeeMode: 1
; LDSByteSize: 0 bytes/workgroup (compile time only)
; SGPRBlocks: 0
; VGPRBlocks: 0
; NumSGPRsForWavesPerEU: 4
; NumVGPRsForWavesPerEU: 1
; AccumOffset: 4
; Occupancy: 8
; WaveLimiterHint : 0
; COMPUTE_PGM_RSRC2:SCRATCH_EN: 0
; COMPUTE_PGM_RSRC2:USER_SGPR: 6
; COMPUTE_PGM_RSRC2:TRAP_HANDLER: 0
; COMPUTE_PGM_RSRC2:TGID_X_EN: 1
; COMPUTE_PGM_RSRC2:TGID_Y_EN: 0
; COMPUTE_PGM_RSRC2:TGID_Z_EN: 0
; COMPUTE_PGM_RSRC2:TIDIG_COMP_CNT: 0
; COMPUTE_PGM_RSRC3_GFX90A:ACCUM_OFFSET: 0
; COMPUTE_PGM_RSRC3_GFX90A:TG_SPLIT: 0
	.section	.text._ZN7rocprim17ROCPRIM_400000_NS6detail17trampoline_kernelINS0_14default_configENS1_38merge_sort_block_merge_config_selectorIilEEZZNS1_27merge_sort_block_merge_implIS3_PiN6thrust23THRUST_200600_302600_NS10device_ptrIlEEjNS1_19radix_merge_compareILb0ELb1EiNS0_19identity_decomposerEEEEE10hipError_tT0_T1_T2_jT3_P12ihipStream_tbPNSt15iterator_traitsISG_E10value_typeEPNSM_ISH_E10value_typeEPSI_NS1_7vsmem_tEENKUlT_SG_SH_SI_E_clIS7_S7_PlSB_EESF_SV_SG_SH_SI_EUlSV_E0_NS1_11comp_targetILNS1_3genE8ELNS1_11target_archE1030ELNS1_3gpuE2ELNS1_3repE0EEENS1_38merge_mergepath_config_static_selectorELNS0_4arch9wavefront6targetE1EEEvSH_,"axG",@progbits,_ZN7rocprim17ROCPRIM_400000_NS6detail17trampoline_kernelINS0_14default_configENS1_38merge_sort_block_merge_config_selectorIilEEZZNS1_27merge_sort_block_merge_implIS3_PiN6thrust23THRUST_200600_302600_NS10device_ptrIlEEjNS1_19radix_merge_compareILb0ELb1EiNS0_19identity_decomposerEEEEE10hipError_tT0_T1_T2_jT3_P12ihipStream_tbPNSt15iterator_traitsISG_E10value_typeEPNSM_ISH_E10value_typeEPSI_NS1_7vsmem_tEENKUlT_SG_SH_SI_E_clIS7_S7_PlSB_EESF_SV_SG_SH_SI_EUlSV_E0_NS1_11comp_targetILNS1_3genE8ELNS1_11target_archE1030ELNS1_3gpuE2ELNS1_3repE0EEENS1_38merge_mergepath_config_static_selectorELNS0_4arch9wavefront6targetE1EEEvSH_,comdat
	.protected	_ZN7rocprim17ROCPRIM_400000_NS6detail17trampoline_kernelINS0_14default_configENS1_38merge_sort_block_merge_config_selectorIilEEZZNS1_27merge_sort_block_merge_implIS3_PiN6thrust23THRUST_200600_302600_NS10device_ptrIlEEjNS1_19radix_merge_compareILb0ELb1EiNS0_19identity_decomposerEEEEE10hipError_tT0_T1_T2_jT3_P12ihipStream_tbPNSt15iterator_traitsISG_E10value_typeEPNSM_ISH_E10value_typeEPSI_NS1_7vsmem_tEENKUlT_SG_SH_SI_E_clIS7_S7_PlSB_EESF_SV_SG_SH_SI_EUlSV_E0_NS1_11comp_targetILNS1_3genE8ELNS1_11target_archE1030ELNS1_3gpuE2ELNS1_3repE0EEENS1_38merge_mergepath_config_static_selectorELNS0_4arch9wavefront6targetE1EEEvSH_ ; -- Begin function _ZN7rocprim17ROCPRIM_400000_NS6detail17trampoline_kernelINS0_14default_configENS1_38merge_sort_block_merge_config_selectorIilEEZZNS1_27merge_sort_block_merge_implIS3_PiN6thrust23THRUST_200600_302600_NS10device_ptrIlEEjNS1_19radix_merge_compareILb0ELb1EiNS0_19identity_decomposerEEEEE10hipError_tT0_T1_T2_jT3_P12ihipStream_tbPNSt15iterator_traitsISG_E10value_typeEPNSM_ISH_E10value_typeEPSI_NS1_7vsmem_tEENKUlT_SG_SH_SI_E_clIS7_S7_PlSB_EESF_SV_SG_SH_SI_EUlSV_E0_NS1_11comp_targetILNS1_3genE8ELNS1_11target_archE1030ELNS1_3gpuE2ELNS1_3repE0EEENS1_38merge_mergepath_config_static_selectorELNS0_4arch9wavefront6targetE1EEEvSH_
	.globl	_ZN7rocprim17ROCPRIM_400000_NS6detail17trampoline_kernelINS0_14default_configENS1_38merge_sort_block_merge_config_selectorIilEEZZNS1_27merge_sort_block_merge_implIS3_PiN6thrust23THRUST_200600_302600_NS10device_ptrIlEEjNS1_19radix_merge_compareILb0ELb1EiNS0_19identity_decomposerEEEEE10hipError_tT0_T1_T2_jT3_P12ihipStream_tbPNSt15iterator_traitsISG_E10value_typeEPNSM_ISH_E10value_typeEPSI_NS1_7vsmem_tEENKUlT_SG_SH_SI_E_clIS7_S7_PlSB_EESF_SV_SG_SH_SI_EUlSV_E0_NS1_11comp_targetILNS1_3genE8ELNS1_11target_archE1030ELNS1_3gpuE2ELNS1_3repE0EEENS1_38merge_mergepath_config_static_selectorELNS0_4arch9wavefront6targetE1EEEvSH_
	.p2align	8
	.type	_ZN7rocprim17ROCPRIM_400000_NS6detail17trampoline_kernelINS0_14default_configENS1_38merge_sort_block_merge_config_selectorIilEEZZNS1_27merge_sort_block_merge_implIS3_PiN6thrust23THRUST_200600_302600_NS10device_ptrIlEEjNS1_19radix_merge_compareILb0ELb1EiNS0_19identity_decomposerEEEEE10hipError_tT0_T1_T2_jT3_P12ihipStream_tbPNSt15iterator_traitsISG_E10value_typeEPNSM_ISH_E10value_typeEPSI_NS1_7vsmem_tEENKUlT_SG_SH_SI_E_clIS7_S7_PlSB_EESF_SV_SG_SH_SI_EUlSV_E0_NS1_11comp_targetILNS1_3genE8ELNS1_11target_archE1030ELNS1_3gpuE2ELNS1_3repE0EEENS1_38merge_mergepath_config_static_selectorELNS0_4arch9wavefront6targetE1EEEvSH_,@function
_ZN7rocprim17ROCPRIM_400000_NS6detail17trampoline_kernelINS0_14default_configENS1_38merge_sort_block_merge_config_selectorIilEEZZNS1_27merge_sort_block_merge_implIS3_PiN6thrust23THRUST_200600_302600_NS10device_ptrIlEEjNS1_19radix_merge_compareILb0ELb1EiNS0_19identity_decomposerEEEEE10hipError_tT0_T1_T2_jT3_P12ihipStream_tbPNSt15iterator_traitsISG_E10value_typeEPNSM_ISH_E10value_typeEPSI_NS1_7vsmem_tEENKUlT_SG_SH_SI_E_clIS7_S7_PlSB_EESF_SV_SG_SH_SI_EUlSV_E0_NS1_11comp_targetILNS1_3genE8ELNS1_11target_archE1030ELNS1_3gpuE2ELNS1_3repE0EEENS1_38merge_mergepath_config_static_selectorELNS0_4arch9wavefront6targetE1EEEvSH_: ; @_ZN7rocprim17ROCPRIM_400000_NS6detail17trampoline_kernelINS0_14default_configENS1_38merge_sort_block_merge_config_selectorIilEEZZNS1_27merge_sort_block_merge_implIS3_PiN6thrust23THRUST_200600_302600_NS10device_ptrIlEEjNS1_19radix_merge_compareILb0ELb1EiNS0_19identity_decomposerEEEEE10hipError_tT0_T1_T2_jT3_P12ihipStream_tbPNSt15iterator_traitsISG_E10value_typeEPNSM_ISH_E10value_typeEPSI_NS1_7vsmem_tEENKUlT_SG_SH_SI_E_clIS7_S7_PlSB_EESF_SV_SG_SH_SI_EUlSV_E0_NS1_11comp_targetILNS1_3genE8ELNS1_11target_archE1030ELNS1_3gpuE2ELNS1_3repE0EEENS1_38merge_mergepath_config_static_selectorELNS0_4arch9wavefront6targetE1EEEvSH_
; %bb.0:
	.section	.rodata,"a",@progbits
	.p2align	6, 0x0
	.amdhsa_kernel _ZN7rocprim17ROCPRIM_400000_NS6detail17trampoline_kernelINS0_14default_configENS1_38merge_sort_block_merge_config_selectorIilEEZZNS1_27merge_sort_block_merge_implIS3_PiN6thrust23THRUST_200600_302600_NS10device_ptrIlEEjNS1_19radix_merge_compareILb0ELb1EiNS0_19identity_decomposerEEEEE10hipError_tT0_T1_T2_jT3_P12ihipStream_tbPNSt15iterator_traitsISG_E10value_typeEPNSM_ISH_E10value_typeEPSI_NS1_7vsmem_tEENKUlT_SG_SH_SI_E_clIS7_S7_PlSB_EESF_SV_SG_SH_SI_EUlSV_E0_NS1_11comp_targetILNS1_3genE8ELNS1_11target_archE1030ELNS1_3gpuE2ELNS1_3repE0EEENS1_38merge_mergepath_config_static_selectorELNS0_4arch9wavefront6targetE1EEEvSH_
		.amdhsa_group_segment_fixed_size 0
		.amdhsa_private_segment_fixed_size 0
		.amdhsa_kernarg_size 64
		.amdhsa_user_sgpr_count 6
		.amdhsa_user_sgpr_private_segment_buffer 1
		.amdhsa_user_sgpr_dispatch_ptr 0
		.amdhsa_user_sgpr_queue_ptr 0
		.amdhsa_user_sgpr_kernarg_segment_ptr 1
		.amdhsa_user_sgpr_dispatch_id 0
		.amdhsa_user_sgpr_flat_scratch_init 0
		.amdhsa_user_sgpr_kernarg_preload_length 0
		.amdhsa_user_sgpr_kernarg_preload_offset 0
		.amdhsa_user_sgpr_private_segment_size 0
		.amdhsa_uses_dynamic_stack 0
		.amdhsa_system_sgpr_private_segment_wavefront_offset 0
		.amdhsa_system_sgpr_workgroup_id_x 1
		.amdhsa_system_sgpr_workgroup_id_y 0
		.amdhsa_system_sgpr_workgroup_id_z 0
		.amdhsa_system_sgpr_workgroup_info 0
		.amdhsa_system_vgpr_workitem_id 0
		.amdhsa_next_free_vgpr 1
		.amdhsa_next_free_sgpr 0
		.amdhsa_accum_offset 4
		.amdhsa_reserve_vcc 0
		.amdhsa_reserve_flat_scratch 0
		.amdhsa_float_round_mode_32 0
		.amdhsa_float_round_mode_16_64 0
		.amdhsa_float_denorm_mode_32 3
		.amdhsa_float_denorm_mode_16_64 3
		.amdhsa_dx10_clamp 1
		.amdhsa_ieee_mode 1
		.amdhsa_fp16_overflow 0
		.amdhsa_tg_split 0
		.amdhsa_exception_fp_ieee_invalid_op 0
		.amdhsa_exception_fp_denorm_src 0
		.amdhsa_exception_fp_ieee_div_zero 0
		.amdhsa_exception_fp_ieee_overflow 0
		.amdhsa_exception_fp_ieee_underflow 0
		.amdhsa_exception_fp_ieee_inexact 0
		.amdhsa_exception_int_div_zero 0
	.end_amdhsa_kernel
	.section	.text._ZN7rocprim17ROCPRIM_400000_NS6detail17trampoline_kernelINS0_14default_configENS1_38merge_sort_block_merge_config_selectorIilEEZZNS1_27merge_sort_block_merge_implIS3_PiN6thrust23THRUST_200600_302600_NS10device_ptrIlEEjNS1_19radix_merge_compareILb0ELb1EiNS0_19identity_decomposerEEEEE10hipError_tT0_T1_T2_jT3_P12ihipStream_tbPNSt15iterator_traitsISG_E10value_typeEPNSM_ISH_E10value_typeEPSI_NS1_7vsmem_tEENKUlT_SG_SH_SI_E_clIS7_S7_PlSB_EESF_SV_SG_SH_SI_EUlSV_E0_NS1_11comp_targetILNS1_3genE8ELNS1_11target_archE1030ELNS1_3gpuE2ELNS1_3repE0EEENS1_38merge_mergepath_config_static_selectorELNS0_4arch9wavefront6targetE1EEEvSH_,"axG",@progbits,_ZN7rocprim17ROCPRIM_400000_NS6detail17trampoline_kernelINS0_14default_configENS1_38merge_sort_block_merge_config_selectorIilEEZZNS1_27merge_sort_block_merge_implIS3_PiN6thrust23THRUST_200600_302600_NS10device_ptrIlEEjNS1_19radix_merge_compareILb0ELb1EiNS0_19identity_decomposerEEEEE10hipError_tT0_T1_T2_jT3_P12ihipStream_tbPNSt15iterator_traitsISG_E10value_typeEPNSM_ISH_E10value_typeEPSI_NS1_7vsmem_tEENKUlT_SG_SH_SI_E_clIS7_S7_PlSB_EESF_SV_SG_SH_SI_EUlSV_E0_NS1_11comp_targetILNS1_3genE8ELNS1_11target_archE1030ELNS1_3gpuE2ELNS1_3repE0EEENS1_38merge_mergepath_config_static_selectorELNS0_4arch9wavefront6targetE1EEEvSH_,comdat
.Lfunc_end815:
	.size	_ZN7rocprim17ROCPRIM_400000_NS6detail17trampoline_kernelINS0_14default_configENS1_38merge_sort_block_merge_config_selectorIilEEZZNS1_27merge_sort_block_merge_implIS3_PiN6thrust23THRUST_200600_302600_NS10device_ptrIlEEjNS1_19radix_merge_compareILb0ELb1EiNS0_19identity_decomposerEEEEE10hipError_tT0_T1_T2_jT3_P12ihipStream_tbPNSt15iterator_traitsISG_E10value_typeEPNSM_ISH_E10value_typeEPSI_NS1_7vsmem_tEENKUlT_SG_SH_SI_E_clIS7_S7_PlSB_EESF_SV_SG_SH_SI_EUlSV_E0_NS1_11comp_targetILNS1_3genE8ELNS1_11target_archE1030ELNS1_3gpuE2ELNS1_3repE0EEENS1_38merge_mergepath_config_static_selectorELNS0_4arch9wavefront6targetE1EEEvSH_, .Lfunc_end815-_ZN7rocprim17ROCPRIM_400000_NS6detail17trampoline_kernelINS0_14default_configENS1_38merge_sort_block_merge_config_selectorIilEEZZNS1_27merge_sort_block_merge_implIS3_PiN6thrust23THRUST_200600_302600_NS10device_ptrIlEEjNS1_19radix_merge_compareILb0ELb1EiNS0_19identity_decomposerEEEEE10hipError_tT0_T1_T2_jT3_P12ihipStream_tbPNSt15iterator_traitsISG_E10value_typeEPNSM_ISH_E10value_typeEPSI_NS1_7vsmem_tEENKUlT_SG_SH_SI_E_clIS7_S7_PlSB_EESF_SV_SG_SH_SI_EUlSV_E0_NS1_11comp_targetILNS1_3genE8ELNS1_11target_archE1030ELNS1_3gpuE2ELNS1_3repE0EEENS1_38merge_mergepath_config_static_selectorELNS0_4arch9wavefront6targetE1EEEvSH_
                                        ; -- End function
	.section	.AMDGPU.csdata,"",@progbits
; Kernel info:
; codeLenInByte = 0
; NumSgprs: 4
; NumVgprs: 0
; NumAgprs: 0
; TotalNumVgprs: 0
; ScratchSize: 0
; MemoryBound: 0
; FloatMode: 240
; IeeeMode: 1
; LDSByteSize: 0 bytes/workgroup (compile time only)
; SGPRBlocks: 0
; VGPRBlocks: 0
; NumSGPRsForWavesPerEU: 4
; NumVGPRsForWavesPerEU: 1
; AccumOffset: 4
; Occupancy: 8
; WaveLimiterHint : 0
; COMPUTE_PGM_RSRC2:SCRATCH_EN: 0
; COMPUTE_PGM_RSRC2:USER_SGPR: 6
; COMPUTE_PGM_RSRC2:TRAP_HANDLER: 0
; COMPUTE_PGM_RSRC2:TGID_X_EN: 1
; COMPUTE_PGM_RSRC2:TGID_Y_EN: 0
; COMPUTE_PGM_RSRC2:TGID_Z_EN: 0
; COMPUTE_PGM_RSRC2:TIDIG_COMP_CNT: 0
; COMPUTE_PGM_RSRC3_GFX90A:ACCUM_OFFSET: 0
; COMPUTE_PGM_RSRC3_GFX90A:TG_SPLIT: 0
	.section	.text._ZN7rocprim17ROCPRIM_400000_NS6detail17trampoline_kernelINS0_14default_configENS1_38merge_sort_block_merge_config_selectorIilEEZZNS1_27merge_sort_block_merge_implIS3_PiN6thrust23THRUST_200600_302600_NS10device_ptrIlEEjNS1_19radix_merge_compareILb0ELb1EiNS0_19identity_decomposerEEEEE10hipError_tT0_T1_T2_jT3_P12ihipStream_tbPNSt15iterator_traitsISG_E10value_typeEPNSM_ISH_E10value_typeEPSI_NS1_7vsmem_tEENKUlT_SG_SH_SI_E_clIS7_S7_PlSB_EESF_SV_SG_SH_SI_EUlSV_E1_NS1_11comp_targetILNS1_3genE0ELNS1_11target_archE4294967295ELNS1_3gpuE0ELNS1_3repE0EEENS1_36merge_oddeven_config_static_selectorELNS0_4arch9wavefront6targetE1EEEvSH_,"axG",@progbits,_ZN7rocprim17ROCPRIM_400000_NS6detail17trampoline_kernelINS0_14default_configENS1_38merge_sort_block_merge_config_selectorIilEEZZNS1_27merge_sort_block_merge_implIS3_PiN6thrust23THRUST_200600_302600_NS10device_ptrIlEEjNS1_19radix_merge_compareILb0ELb1EiNS0_19identity_decomposerEEEEE10hipError_tT0_T1_T2_jT3_P12ihipStream_tbPNSt15iterator_traitsISG_E10value_typeEPNSM_ISH_E10value_typeEPSI_NS1_7vsmem_tEENKUlT_SG_SH_SI_E_clIS7_S7_PlSB_EESF_SV_SG_SH_SI_EUlSV_E1_NS1_11comp_targetILNS1_3genE0ELNS1_11target_archE4294967295ELNS1_3gpuE0ELNS1_3repE0EEENS1_36merge_oddeven_config_static_selectorELNS0_4arch9wavefront6targetE1EEEvSH_,comdat
	.protected	_ZN7rocprim17ROCPRIM_400000_NS6detail17trampoline_kernelINS0_14default_configENS1_38merge_sort_block_merge_config_selectorIilEEZZNS1_27merge_sort_block_merge_implIS3_PiN6thrust23THRUST_200600_302600_NS10device_ptrIlEEjNS1_19radix_merge_compareILb0ELb1EiNS0_19identity_decomposerEEEEE10hipError_tT0_T1_T2_jT3_P12ihipStream_tbPNSt15iterator_traitsISG_E10value_typeEPNSM_ISH_E10value_typeEPSI_NS1_7vsmem_tEENKUlT_SG_SH_SI_E_clIS7_S7_PlSB_EESF_SV_SG_SH_SI_EUlSV_E1_NS1_11comp_targetILNS1_3genE0ELNS1_11target_archE4294967295ELNS1_3gpuE0ELNS1_3repE0EEENS1_36merge_oddeven_config_static_selectorELNS0_4arch9wavefront6targetE1EEEvSH_ ; -- Begin function _ZN7rocprim17ROCPRIM_400000_NS6detail17trampoline_kernelINS0_14default_configENS1_38merge_sort_block_merge_config_selectorIilEEZZNS1_27merge_sort_block_merge_implIS3_PiN6thrust23THRUST_200600_302600_NS10device_ptrIlEEjNS1_19radix_merge_compareILb0ELb1EiNS0_19identity_decomposerEEEEE10hipError_tT0_T1_T2_jT3_P12ihipStream_tbPNSt15iterator_traitsISG_E10value_typeEPNSM_ISH_E10value_typeEPSI_NS1_7vsmem_tEENKUlT_SG_SH_SI_E_clIS7_S7_PlSB_EESF_SV_SG_SH_SI_EUlSV_E1_NS1_11comp_targetILNS1_3genE0ELNS1_11target_archE4294967295ELNS1_3gpuE0ELNS1_3repE0EEENS1_36merge_oddeven_config_static_selectorELNS0_4arch9wavefront6targetE1EEEvSH_
	.globl	_ZN7rocprim17ROCPRIM_400000_NS6detail17trampoline_kernelINS0_14default_configENS1_38merge_sort_block_merge_config_selectorIilEEZZNS1_27merge_sort_block_merge_implIS3_PiN6thrust23THRUST_200600_302600_NS10device_ptrIlEEjNS1_19radix_merge_compareILb0ELb1EiNS0_19identity_decomposerEEEEE10hipError_tT0_T1_T2_jT3_P12ihipStream_tbPNSt15iterator_traitsISG_E10value_typeEPNSM_ISH_E10value_typeEPSI_NS1_7vsmem_tEENKUlT_SG_SH_SI_E_clIS7_S7_PlSB_EESF_SV_SG_SH_SI_EUlSV_E1_NS1_11comp_targetILNS1_3genE0ELNS1_11target_archE4294967295ELNS1_3gpuE0ELNS1_3repE0EEENS1_36merge_oddeven_config_static_selectorELNS0_4arch9wavefront6targetE1EEEvSH_
	.p2align	8
	.type	_ZN7rocprim17ROCPRIM_400000_NS6detail17trampoline_kernelINS0_14default_configENS1_38merge_sort_block_merge_config_selectorIilEEZZNS1_27merge_sort_block_merge_implIS3_PiN6thrust23THRUST_200600_302600_NS10device_ptrIlEEjNS1_19radix_merge_compareILb0ELb1EiNS0_19identity_decomposerEEEEE10hipError_tT0_T1_T2_jT3_P12ihipStream_tbPNSt15iterator_traitsISG_E10value_typeEPNSM_ISH_E10value_typeEPSI_NS1_7vsmem_tEENKUlT_SG_SH_SI_E_clIS7_S7_PlSB_EESF_SV_SG_SH_SI_EUlSV_E1_NS1_11comp_targetILNS1_3genE0ELNS1_11target_archE4294967295ELNS1_3gpuE0ELNS1_3repE0EEENS1_36merge_oddeven_config_static_selectorELNS0_4arch9wavefront6targetE1EEEvSH_,@function
_ZN7rocprim17ROCPRIM_400000_NS6detail17trampoline_kernelINS0_14default_configENS1_38merge_sort_block_merge_config_selectorIilEEZZNS1_27merge_sort_block_merge_implIS3_PiN6thrust23THRUST_200600_302600_NS10device_ptrIlEEjNS1_19radix_merge_compareILb0ELb1EiNS0_19identity_decomposerEEEEE10hipError_tT0_T1_T2_jT3_P12ihipStream_tbPNSt15iterator_traitsISG_E10value_typeEPNSM_ISH_E10value_typeEPSI_NS1_7vsmem_tEENKUlT_SG_SH_SI_E_clIS7_S7_PlSB_EESF_SV_SG_SH_SI_EUlSV_E1_NS1_11comp_targetILNS1_3genE0ELNS1_11target_archE4294967295ELNS1_3gpuE0ELNS1_3repE0EEENS1_36merge_oddeven_config_static_selectorELNS0_4arch9wavefront6targetE1EEEvSH_: ; @_ZN7rocprim17ROCPRIM_400000_NS6detail17trampoline_kernelINS0_14default_configENS1_38merge_sort_block_merge_config_selectorIilEEZZNS1_27merge_sort_block_merge_implIS3_PiN6thrust23THRUST_200600_302600_NS10device_ptrIlEEjNS1_19radix_merge_compareILb0ELb1EiNS0_19identity_decomposerEEEEE10hipError_tT0_T1_T2_jT3_P12ihipStream_tbPNSt15iterator_traitsISG_E10value_typeEPNSM_ISH_E10value_typeEPSI_NS1_7vsmem_tEENKUlT_SG_SH_SI_E_clIS7_S7_PlSB_EESF_SV_SG_SH_SI_EUlSV_E1_NS1_11comp_targetILNS1_3genE0ELNS1_11target_archE4294967295ELNS1_3gpuE0ELNS1_3repE0EEENS1_36merge_oddeven_config_static_selectorELNS0_4arch9wavefront6targetE1EEEvSH_
; %bb.0:
	.section	.rodata,"a",@progbits
	.p2align	6, 0x0
	.amdhsa_kernel _ZN7rocprim17ROCPRIM_400000_NS6detail17trampoline_kernelINS0_14default_configENS1_38merge_sort_block_merge_config_selectorIilEEZZNS1_27merge_sort_block_merge_implIS3_PiN6thrust23THRUST_200600_302600_NS10device_ptrIlEEjNS1_19radix_merge_compareILb0ELb1EiNS0_19identity_decomposerEEEEE10hipError_tT0_T1_T2_jT3_P12ihipStream_tbPNSt15iterator_traitsISG_E10value_typeEPNSM_ISH_E10value_typeEPSI_NS1_7vsmem_tEENKUlT_SG_SH_SI_E_clIS7_S7_PlSB_EESF_SV_SG_SH_SI_EUlSV_E1_NS1_11comp_targetILNS1_3genE0ELNS1_11target_archE4294967295ELNS1_3gpuE0ELNS1_3repE0EEENS1_36merge_oddeven_config_static_selectorELNS0_4arch9wavefront6targetE1EEEvSH_
		.amdhsa_group_segment_fixed_size 0
		.amdhsa_private_segment_fixed_size 0
		.amdhsa_kernarg_size 48
		.amdhsa_user_sgpr_count 6
		.amdhsa_user_sgpr_private_segment_buffer 1
		.amdhsa_user_sgpr_dispatch_ptr 0
		.amdhsa_user_sgpr_queue_ptr 0
		.amdhsa_user_sgpr_kernarg_segment_ptr 1
		.amdhsa_user_sgpr_dispatch_id 0
		.amdhsa_user_sgpr_flat_scratch_init 0
		.amdhsa_user_sgpr_kernarg_preload_length 0
		.amdhsa_user_sgpr_kernarg_preload_offset 0
		.amdhsa_user_sgpr_private_segment_size 0
		.amdhsa_uses_dynamic_stack 0
		.amdhsa_system_sgpr_private_segment_wavefront_offset 0
		.amdhsa_system_sgpr_workgroup_id_x 1
		.amdhsa_system_sgpr_workgroup_id_y 0
		.amdhsa_system_sgpr_workgroup_id_z 0
		.amdhsa_system_sgpr_workgroup_info 0
		.amdhsa_system_vgpr_workitem_id 0
		.amdhsa_next_free_vgpr 1
		.amdhsa_next_free_sgpr 0
		.amdhsa_accum_offset 4
		.amdhsa_reserve_vcc 0
		.amdhsa_reserve_flat_scratch 0
		.amdhsa_float_round_mode_32 0
		.amdhsa_float_round_mode_16_64 0
		.amdhsa_float_denorm_mode_32 3
		.amdhsa_float_denorm_mode_16_64 3
		.amdhsa_dx10_clamp 1
		.amdhsa_ieee_mode 1
		.amdhsa_fp16_overflow 0
		.amdhsa_tg_split 0
		.amdhsa_exception_fp_ieee_invalid_op 0
		.amdhsa_exception_fp_denorm_src 0
		.amdhsa_exception_fp_ieee_div_zero 0
		.amdhsa_exception_fp_ieee_overflow 0
		.amdhsa_exception_fp_ieee_underflow 0
		.amdhsa_exception_fp_ieee_inexact 0
		.amdhsa_exception_int_div_zero 0
	.end_amdhsa_kernel
	.section	.text._ZN7rocprim17ROCPRIM_400000_NS6detail17trampoline_kernelINS0_14default_configENS1_38merge_sort_block_merge_config_selectorIilEEZZNS1_27merge_sort_block_merge_implIS3_PiN6thrust23THRUST_200600_302600_NS10device_ptrIlEEjNS1_19radix_merge_compareILb0ELb1EiNS0_19identity_decomposerEEEEE10hipError_tT0_T1_T2_jT3_P12ihipStream_tbPNSt15iterator_traitsISG_E10value_typeEPNSM_ISH_E10value_typeEPSI_NS1_7vsmem_tEENKUlT_SG_SH_SI_E_clIS7_S7_PlSB_EESF_SV_SG_SH_SI_EUlSV_E1_NS1_11comp_targetILNS1_3genE0ELNS1_11target_archE4294967295ELNS1_3gpuE0ELNS1_3repE0EEENS1_36merge_oddeven_config_static_selectorELNS0_4arch9wavefront6targetE1EEEvSH_,"axG",@progbits,_ZN7rocprim17ROCPRIM_400000_NS6detail17trampoline_kernelINS0_14default_configENS1_38merge_sort_block_merge_config_selectorIilEEZZNS1_27merge_sort_block_merge_implIS3_PiN6thrust23THRUST_200600_302600_NS10device_ptrIlEEjNS1_19radix_merge_compareILb0ELb1EiNS0_19identity_decomposerEEEEE10hipError_tT0_T1_T2_jT3_P12ihipStream_tbPNSt15iterator_traitsISG_E10value_typeEPNSM_ISH_E10value_typeEPSI_NS1_7vsmem_tEENKUlT_SG_SH_SI_E_clIS7_S7_PlSB_EESF_SV_SG_SH_SI_EUlSV_E1_NS1_11comp_targetILNS1_3genE0ELNS1_11target_archE4294967295ELNS1_3gpuE0ELNS1_3repE0EEENS1_36merge_oddeven_config_static_selectorELNS0_4arch9wavefront6targetE1EEEvSH_,comdat
.Lfunc_end816:
	.size	_ZN7rocprim17ROCPRIM_400000_NS6detail17trampoline_kernelINS0_14default_configENS1_38merge_sort_block_merge_config_selectorIilEEZZNS1_27merge_sort_block_merge_implIS3_PiN6thrust23THRUST_200600_302600_NS10device_ptrIlEEjNS1_19radix_merge_compareILb0ELb1EiNS0_19identity_decomposerEEEEE10hipError_tT0_T1_T2_jT3_P12ihipStream_tbPNSt15iterator_traitsISG_E10value_typeEPNSM_ISH_E10value_typeEPSI_NS1_7vsmem_tEENKUlT_SG_SH_SI_E_clIS7_S7_PlSB_EESF_SV_SG_SH_SI_EUlSV_E1_NS1_11comp_targetILNS1_3genE0ELNS1_11target_archE4294967295ELNS1_3gpuE0ELNS1_3repE0EEENS1_36merge_oddeven_config_static_selectorELNS0_4arch9wavefront6targetE1EEEvSH_, .Lfunc_end816-_ZN7rocprim17ROCPRIM_400000_NS6detail17trampoline_kernelINS0_14default_configENS1_38merge_sort_block_merge_config_selectorIilEEZZNS1_27merge_sort_block_merge_implIS3_PiN6thrust23THRUST_200600_302600_NS10device_ptrIlEEjNS1_19radix_merge_compareILb0ELb1EiNS0_19identity_decomposerEEEEE10hipError_tT0_T1_T2_jT3_P12ihipStream_tbPNSt15iterator_traitsISG_E10value_typeEPNSM_ISH_E10value_typeEPSI_NS1_7vsmem_tEENKUlT_SG_SH_SI_E_clIS7_S7_PlSB_EESF_SV_SG_SH_SI_EUlSV_E1_NS1_11comp_targetILNS1_3genE0ELNS1_11target_archE4294967295ELNS1_3gpuE0ELNS1_3repE0EEENS1_36merge_oddeven_config_static_selectorELNS0_4arch9wavefront6targetE1EEEvSH_
                                        ; -- End function
	.section	.AMDGPU.csdata,"",@progbits
; Kernel info:
; codeLenInByte = 0
; NumSgprs: 4
; NumVgprs: 0
; NumAgprs: 0
; TotalNumVgprs: 0
; ScratchSize: 0
; MemoryBound: 0
; FloatMode: 240
; IeeeMode: 1
; LDSByteSize: 0 bytes/workgroup (compile time only)
; SGPRBlocks: 0
; VGPRBlocks: 0
; NumSGPRsForWavesPerEU: 4
; NumVGPRsForWavesPerEU: 1
; AccumOffset: 4
; Occupancy: 8
; WaveLimiterHint : 0
; COMPUTE_PGM_RSRC2:SCRATCH_EN: 0
; COMPUTE_PGM_RSRC2:USER_SGPR: 6
; COMPUTE_PGM_RSRC2:TRAP_HANDLER: 0
; COMPUTE_PGM_RSRC2:TGID_X_EN: 1
; COMPUTE_PGM_RSRC2:TGID_Y_EN: 0
; COMPUTE_PGM_RSRC2:TGID_Z_EN: 0
; COMPUTE_PGM_RSRC2:TIDIG_COMP_CNT: 0
; COMPUTE_PGM_RSRC3_GFX90A:ACCUM_OFFSET: 0
; COMPUTE_PGM_RSRC3_GFX90A:TG_SPLIT: 0
	.section	.text._ZN7rocprim17ROCPRIM_400000_NS6detail17trampoline_kernelINS0_14default_configENS1_38merge_sort_block_merge_config_selectorIilEEZZNS1_27merge_sort_block_merge_implIS3_PiN6thrust23THRUST_200600_302600_NS10device_ptrIlEEjNS1_19radix_merge_compareILb0ELb1EiNS0_19identity_decomposerEEEEE10hipError_tT0_T1_T2_jT3_P12ihipStream_tbPNSt15iterator_traitsISG_E10value_typeEPNSM_ISH_E10value_typeEPSI_NS1_7vsmem_tEENKUlT_SG_SH_SI_E_clIS7_S7_PlSB_EESF_SV_SG_SH_SI_EUlSV_E1_NS1_11comp_targetILNS1_3genE10ELNS1_11target_archE1201ELNS1_3gpuE5ELNS1_3repE0EEENS1_36merge_oddeven_config_static_selectorELNS0_4arch9wavefront6targetE1EEEvSH_,"axG",@progbits,_ZN7rocprim17ROCPRIM_400000_NS6detail17trampoline_kernelINS0_14default_configENS1_38merge_sort_block_merge_config_selectorIilEEZZNS1_27merge_sort_block_merge_implIS3_PiN6thrust23THRUST_200600_302600_NS10device_ptrIlEEjNS1_19radix_merge_compareILb0ELb1EiNS0_19identity_decomposerEEEEE10hipError_tT0_T1_T2_jT3_P12ihipStream_tbPNSt15iterator_traitsISG_E10value_typeEPNSM_ISH_E10value_typeEPSI_NS1_7vsmem_tEENKUlT_SG_SH_SI_E_clIS7_S7_PlSB_EESF_SV_SG_SH_SI_EUlSV_E1_NS1_11comp_targetILNS1_3genE10ELNS1_11target_archE1201ELNS1_3gpuE5ELNS1_3repE0EEENS1_36merge_oddeven_config_static_selectorELNS0_4arch9wavefront6targetE1EEEvSH_,comdat
	.protected	_ZN7rocprim17ROCPRIM_400000_NS6detail17trampoline_kernelINS0_14default_configENS1_38merge_sort_block_merge_config_selectorIilEEZZNS1_27merge_sort_block_merge_implIS3_PiN6thrust23THRUST_200600_302600_NS10device_ptrIlEEjNS1_19radix_merge_compareILb0ELb1EiNS0_19identity_decomposerEEEEE10hipError_tT0_T1_T2_jT3_P12ihipStream_tbPNSt15iterator_traitsISG_E10value_typeEPNSM_ISH_E10value_typeEPSI_NS1_7vsmem_tEENKUlT_SG_SH_SI_E_clIS7_S7_PlSB_EESF_SV_SG_SH_SI_EUlSV_E1_NS1_11comp_targetILNS1_3genE10ELNS1_11target_archE1201ELNS1_3gpuE5ELNS1_3repE0EEENS1_36merge_oddeven_config_static_selectorELNS0_4arch9wavefront6targetE1EEEvSH_ ; -- Begin function _ZN7rocprim17ROCPRIM_400000_NS6detail17trampoline_kernelINS0_14default_configENS1_38merge_sort_block_merge_config_selectorIilEEZZNS1_27merge_sort_block_merge_implIS3_PiN6thrust23THRUST_200600_302600_NS10device_ptrIlEEjNS1_19radix_merge_compareILb0ELb1EiNS0_19identity_decomposerEEEEE10hipError_tT0_T1_T2_jT3_P12ihipStream_tbPNSt15iterator_traitsISG_E10value_typeEPNSM_ISH_E10value_typeEPSI_NS1_7vsmem_tEENKUlT_SG_SH_SI_E_clIS7_S7_PlSB_EESF_SV_SG_SH_SI_EUlSV_E1_NS1_11comp_targetILNS1_3genE10ELNS1_11target_archE1201ELNS1_3gpuE5ELNS1_3repE0EEENS1_36merge_oddeven_config_static_selectorELNS0_4arch9wavefront6targetE1EEEvSH_
	.globl	_ZN7rocprim17ROCPRIM_400000_NS6detail17trampoline_kernelINS0_14default_configENS1_38merge_sort_block_merge_config_selectorIilEEZZNS1_27merge_sort_block_merge_implIS3_PiN6thrust23THRUST_200600_302600_NS10device_ptrIlEEjNS1_19radix_merge_compareILb0ELb1EiNS0_19identity_decomposerEEEEE10hipError_tT0_T1_T2_jT3_P12ihipStream_tbPNSt15iterator_traitsISG_E10value_typeEPNSM_ISH_E10value_typeEPSI_NS1_7vsmem_tEENKUlT_SG_SH_SI_E_clIS7_S7_PlSB_EESF_SV_SG_SH_SI_EUlSV_E1_NS1_11comp_targetILNS1_3genE10ELNS1_11target_archE1201ELNS1_3gpuE5ELNS1_3repE0EEENS1_36merge_oddeven_config_static_selectorELNS0_4arch9wavefront6targetE1EEEvSH_
	.p2align	8
	.type	_ZN7rocprim17ROCPRIM_400000_NS6detail17trampoline_kernelINS0_14default_configENS1_38merge_sort_block_merge_config_selectorIilEEZZNS1_27merge_sort_block_merge_implIS3_PiN6thrust23THRUST_200600_302600_NS10device_ptrIlEEjNS1_19radix_merge_compareILb0ELb1EiNS0_19identity_decomposerEEEEE10hipError_tT0_T1_T2_jT3_P12ihipStream_tbPNSt15iterator_traitsISG_E10value_typeEPNSM_ISH_E10value_typeEPSI_NS1_7vsmem_tEENKUlT_SG_SH_SI_E_clIS7_S7_PlSB_EESF_SV_SG_SH_SI_EUlSV_E1_NS1_11comp_targetILNS1_3genE10ELNS1_11target_archE1201ELNS1_3gpuE5ELNS1_3repE0EEENS1_36merge_oddeven_config_static_selectorELNS0_4arch9wavefront6targetE1EEEvSH_,@function
_ZN7rocprim17ROCPRIM_400000_NS6detail17trampoline_kernelINS0_14default_configENS1_38merge_sort_block_merge_config_selectorIilEEZZNS1_27merge_sort_block_merge_implIS3_PiN6thrust23THRUST_200600_302600_NS10device_ptrIlEEjNS1_19radix_merge_compareILb0ELb1EiNS0_19identity_decomposerEEEEE10hipError_tT0_T1_T2_jT3_P12ihipStream_tbPNSt15iterator_traitsISG_E10value_typeEPNSM_ISH_E10value_typeEPSI_NS1_7vsmem_tEENKUlT_SG_SH_SI_E_clIS7_S7_PlSB_EESF_SV_SG_SH_SI_EUlSV_E1_NS1_11comp_targetILNS1_3genE10ELNS1_11target_archE1201ELNS1_3gpuE5ELNS1_3repE0EEENS1_36merge_oddeven_config_static_selectorELNS0_4arch9wavefront6targetE1EEEvSH_: ; @_ZN7rocprim17ROCPRIM_400000_NS6detail17trampoline_kernelINS0_14default_configENS1_38merge_sort_block_merge_config_selectorIilEEZZNS1_27merge_sort_block_merge_implIS3_PiN6thrust23THRUST_200600_302600_NS10device_ptrIlEEjNS1_19radix_merge_compareILb0ELb1EiNS0_19identity_decomposerEEEEE10hipError_tT0_T1_T2_jT3_P12ihipStream_tbPNSt15iterator_traitsISG_E10value_typeEPNSM_ISH_E10value_typeEPSI_NS1_7vsmem_tEENKUlT_SG_SH_SI_E_clIS7_S7_PlSB_EESF_SV_SG_SH_SI_EUlSV_E1_NS1_11comp_targetILNS1_3genE10ELNS1_11target_archE1201ELNS1_3gpuE5ELNS1_3repE0EEENS1_36merge_oddeven_config_static_selectorELNS0_4arch9wavefront6targetE1EEEvSH_
; %bb.0:
	.section	.rodata,"a",@progbits
	.p2align	6, 0x0
	.amdhsa_kernel _ZN7rocprim17ROCPRIM_400000_NS6detail17trampoline_kernelINS0_14default_configENS1_38merge_sort_block_merge_config_selectorIilEEZZNS1_27merge_sort_block_merge_implIS3_PiN6thrust23THRUST_200600_302600_NS10device_ptrIlEEjNS1_19radix_merge_compareILb0ELb1EiNS0_19identity_decomposerEEEEE10hipError_tT0_T1_T2_jT3_P12ihipStream_tbPNSt15iterator_traitsISG_E10value_typeEPNSM_ISH_E10value_typeEPSI_NS1_7vsmem_tEENKUlT_SG_SH_SI_E_clIS7_S7_PlSB_EESF_SV_SG_SH_SI_EUlSV_E1_NS1_11comp_targetILNS1_3genE10ELNS1_11target_archE1201ELNS1_3gpuE5ELNS1_3repE0EEENS1_36merge_oddeven_config_static_selectorELNS0_4arch9wavefront6targetE1EEEvSH_
		.amdhsa_group_segment_fixed_size 0
		.amdhsa_private_segment_fixed_size 0
		.amdhsa_kernarg_size 48
		.amdhsa_user_sgpr_count 6
		.amdhsa_user_sgpr_private_segment_buffer 1
		.amdhsa_user_sgpr_dispatch_ptr 0
		.amdhsa_user_sgpr_queue_ptr 0
		.amdhsa_user_sgpr_kernarg_segment_ptr 1
		.amdhsa_user_sgpr_dispatch_id 0
		.amdhsa_user_sgpr_flat_scratch_init 0
		.amdhsa_user_sgpr_kernarg_preload_length 0
		.amdhsa_user_sgpr_kernarg_preload_offset 0
		.amdhsa_user_sgpr_private_segment_size 0
		.amdhsa_uses_dynamic_stack 0
		.amdhsa_system_sgpr_private_segment_wavefront_offset 0
		.amdhsa_system_sgpr_workgroup_id_x 1
		.amdhsa_system_sgpr_workgroup_id_y 0
		.amdhsa_system_sgpr_workgroup_id_z 0
		.amdhsa_system_sgpr_workgroup_info 0
		.amdhsa_system_vgpr_workitem_id 0
		.amdhsa_next_free_vgpr 1
		.amdhsa_next_free_sgpr 0
		.amdhsa_accum_offset 4
		.amdhsa_reserve_vcc 0
		.amdhsa_reserve_flat_scratch 0
		.amdhsa_float_round_mode_32 0
		.amdhsa_float_round_mode_16_64 0
		.amdhsa_float_denorm_mode_32 3
		.amdhsa_float_denorm_mode_16_64 3
		.amdhsa_dx10_clamp 1
		.amdhsa_ieee_mode 1
		.amdhsa_fp16_overflow 0
		.amdhsa_tg_split 0
		.amdhsa_exception_fp_ieee_invalid_op 0
		.amdhsa_exception_fp_denorm_src 0
		.amdhsa_exception_fp_ieee_div_zero 0
		.amdhsa_exception_fp_ieee_overflow 0
		.amdhsa_exception_fp_ieee_underflow 0
		.amdhsa_exception_fp_ieee_inexact 0
		.amdhsa_exception_int_div_zero 0
	.end_amdhsa_kernel
	.section	.text._ZN7rocprim17ROCPRIM_400000_NS6detail17trampoline_kernelINS0_14default_configENS1_38merge_sort_block_merge_config_selectorIilEEZZNS1_27merge_sort_block_merge_implIS3_PiN6thrust23THRUST_200600_302600_NS10device_ptrIlEEjNS1_19radix_merge_compareILb0ELb1EiNS0_19identity_decomposerEEEEE10hipError_tT0_T1_T2_jT3_P12ihipStream_tbPNSt15iterator_traitsISG_E10value_typeEPNSM_ISH_E10value_typeEPSI_NS1_7vsmem_tEENKUlT_SG_SH_SI_E_clIS7_S7_PlSB_EESF_SV_SG_SH_SI_EUlSV_E1_NS1_11comp_targetILNS1_3genE10ELNS1_11target_archE1201ELNS1_3gpuE5ELNS1_3repE0EEENS1_36merge_oddeven_config_static_selectorELNS0_4arch9wavefront6targetE1EEEvSH_,"axG",@progbits,_ZN7rocprim17ROCPRIM_400000_NS6detail17trampoline_kernelINS0_14default_configENS1_38merge_sort_block_merge_config_selectorIilEEZZNS1_27merge_sort_block_merge_implIS3_PiN6thrust23THRUST_200600_302600_NS10device_ptrIlEEjNS1_19radix_merge_compareILb0ELb1EiNS0_19identity_decomposerEEEEE10hipError_tT0_T1_T2_jT3_P12ihipStream_tbPNSt15iterator_traitsISG_E10value_typeEPNSM_ISH_E10value_typeEPSI_NS1_7vsmem_tEENKUlT_SG_SH_SI_E_clIS7_S7_PlSB_EESF_SV_SG_SH_SI_EUlSV_E1_NS1_11comp_targetILNS1_3genE10ELNS1_11target_archE1201ELNS1_3gpuE5ELNS1_3repE0EEENS1_36merge_oddeven_config_static_selectorELNS0_4arch9wavefront6targetE1EEEvSH_,comdat
.Lfunc_end817:
	.size	_ZN7rocprim17ROCPRIM_400000_NS6detail17trampoline_kernelINS0_14default_configENS1_38merge_sort_block_merge_config_selectorIilEEZZNS1_27merge_sort_block_merge_implIS3_PiN6thrust23THRUST_200600_302600_NS10device_ptrIlEEjNS1_19radix_merge_compareILb0ELb1EiNS0_19identity_decomposerEEEEE10hipError_tT0_T1_T2_jT3_P12ihipStream_tbPNSt15iterator_traitsISG_E10value_typeEPNSM_ISH_E10value_typeEPSI_NS1_7vsmem_tEENKUlT_SG_SH_SI_E_clIS7_S7_PlSB_EESF_SV_SG_SH_SI_EUlSV_E1_NS1_11comp_targetILNS1_3genE10ELNS1_11target_archE1201ELNS1_3gpuE5ELNS1_3repE0EEENS1_36merge_oddeven_config_static_selectorELNS0_4arch9wavefront6targetE1EEEvSH_, .Lfunc_end817-_ZN7rocprim17ROCPRIM_400000_NS6detail17trampoline_kernelINS0_14default_configENS1_38merge_sort_block_merge_config_selectorIilEEZZNS1_27merge_sort_block_merge_implIS3_PiN6thrust23THRUST_200600_302600_NS10device_ptrIlEEjNS1_19radix_merge_compareILb0ELb1EiNS0_19identity_decomposerEEEEE10hipError_tT0_T1_T2_jT3_P12ihipStream_tbPNSt15iterator_traitsISG_E10value_typeEPNSM_ISH_E10value_typeEPSI_NS1_7vsmem_tEENKUlT_SG_SH_SI_E_clIS7_S7_PlSB_EESF_SV_SG_SH_SI_EUlSV_E1_NS1_11comp_targetILNS1_3genE10ELNS1_11target_archE1201ELNS1_3gpuE5ELNS1_3repE0EEENS1_36merge_oddeven_config_static_selectorELNS0_4arch9wavefront6targetE1EEEvSH_
                                        ; -- End function
	.section	.AMDGPU.csdata,"",@progbits
; Kernel info:
; codeLenInByte = 0
; NumSgprs: 4
; NumVgprs: 0
; NumAgprs: 0
; TotalNumVgprs: 0
; ScratchSize: 0
; MemoryBound: 0
; FloatMode: 240
; IeeeMode: 1
; LDSByteSize: 0 bytes/workgroup (compile time only)
; SGPRBlocks: 0
; VGPRBlocks: 0
; NumSGPRsForWavesPerEU: 4
; NumVGPRsForWavesPerEU: 1
; AccumOffset: 4
; Occupancy: 8
; WaveLimiterHint : 0
; COMPUTE_PGM_RSRC2:SCRATCH_EN: 0
; COMPUTE_PGM_RSRC2:USER_SGPR: 6
; COMPUTE_PGM_RSRC2:TRAP_HANDLER: 0
; COMPUTE_PGM_RSRC2:TGID_X_EN: 1
; COMPUTE_PGM_RSRC2:TGID_Y_EN: 0
; COMPUTE_PGM_RSRC2:TGID_Z_EN: 0
; COMPUTE_PGM_RSRC2:TIDIG_COMP_CNT: 0
; COMPUTE_PGM_RSRC3_GFX90A:ACCUM_OFFSET: 0
; COMPUTE_PGM_RSRC3_GFX90A:TG_SPLIT: 0
	.section	.text._ZN7rocprim17ROCPRIM_400000_NS6detail17trampoline_kernelINS0_14default_configENS1_38merge_sort_block_merge_config_selectorIilEEZZNS1_27merge_sort_block_merge_implIS3_PiN6thrust23THRUST_200600_302600_NS10device_ptrIlEEjNS1_19radix_merge_compareILb0ELb1EiNS0_19identity_decomposerEEEEE10hipError_tT0_T1_T2_jT3_P12ihipStream_tbPNSt15iterator_traitsISG_E10value_typeEPNSM_ISH_E10value_typeEPSI_NS1_7vsmem_tEENKUlT_SG_SH_SI_E_clIS7_S7_PlSB_EESF_SV_SG_SH_SI_EUlSV_E1_NS1_11comp_targetILNS1_3genE5ELNS1_11target_archE942ELNS1_3gpuE9ELNS1_3repE0EEENS1_36merge_oddeven_config_static_selectorELNS0_4arch9wavefront6targetE1EEEvSH_,"axG",@progbits,_ZN7rocprim17ROCPRIM_400000_NS6detail17trampoline_kernelINS0_14default_configENS1_38merge_sort_block_merge_config_selectorIilEEZZNS1_27merge_sort_block_merge_implIS3_PiN6thrust23THRUST_200600_302600_NS10device_ptrIlEEjNS1_19radix_merge_compareILb0ELb1EiNS0_19identity_decomposerEEEEE10hipError_tT0_T1_T2_jT3_P12ihipStream_tbPNSt15iterator_traitsISG_E10value_typeEPNSM_ISH_E10value_typeEPSI_NS1_7vsmem_tEENKUlT_SG_SH_SI_E_clIS7_S7_PlSB_EESF_SV_SG_SH_SI_EUlSV_E1_NS1_11comp_targetILNS1_3genE5ELNS1_11target_archE942ELNS1_3gpuE9ELNS1_3repE0EEENS1_36merge_oddeven_config_static_selectorELNS0_4arch9wavefront6targetE1EEEvSH_,comdat
	.protected	_ZN7rocprim17ROCPRIM_400000_NS6detail17trampoline_kernelINS0_14default_configENS1_38merge_sort_block_merge_config_selectorIilEEZZNS1_27merge_sort_block_merge_implIS3_PiN6thrust23THRUST_200600_302600_NS10device_ptrIlEEjNS1_19radix_merge_compareILb0ELb1EiNS0_19identity_decomposerEEEEE10hipError_tT0_T1_T2_jT3_P12ihipStream_tbPNSt15iterator_traitsISG_E10value_typeEPNSM_ISH_E10value_typeEPSI_NS1_7vsmem_tEENKUlT_SG_SH_SI_E_clIS7_S7_PlSB_EESF_SV_SG_SH_SI_EUlSV_E1_NS1_11comp_targetILNS1_3genE5ELNS1_11target_archE942ELNS1_3gpuE9ELNS1_3repE0EEENS1_36merge_oddeven_config_static_selectorELNS0_4arch9wavefront6targetE1EEEvSH_ ; -- Begin function _ZN7rocprim17ROCPRIM_400000_NS6detail17trampoline_kernelINS0_14default_configENS1_38merge_sort_block_merge_config_selectorIilEEZZNS1_27merge_sort_block_merge_implIS3_PiN6thrust23THRUST_200600_302600_NS10device_ptrIlEEjNS1_19radix_merge_compareILb0ELb1EiNS0_19identity_decomposerEEEEE10hipError_tT0_T1_T2_jT3_P12ihipStream_tbPNSt15iterator_traitsISG_E10value_typeEPNSM_ISH_E10value_typeEPSI_NS1_7vsmem_tEENKUlT_SG_SH_SI_E_clIS7_S7_PlSB_EESF_SV_SG_SH_SI_EUlSV_E1_NS1_11comp_targetILNS1_3genE5ELNS1_11target_archE942ELNS1_3gpuE9ELNS1_3repE0EEENS1_36merge_oddeven_config_static_selectorELNS0_4arch9wavefront6targetE1EEEvSH_
	.globl	_ZN7rocprim17ROCPRIM_400000_NS6detail17trampoline_kernelINS0_14default_configENS1_38merge_sort_block_merge_config_selectorIilEEZZNS1_27merge_sort_block_merge_implIS3_PiN6thrust23THRUST_200600_302600_NS10device_ptrIlEEjNS1_19radix_merge_compareILb0ELb1EiNS0_19identity_decomposerEEEEE10hipError_tT0_T1_T2_jT3_P12ihipStream_tbPNSt15iterator_traitsISG_E10value_typeEPNSM_ISH_E10value_typeEPSI_NS1_7vsmem_tEENKUlT_SG_SH_SI_E_clIS7_S7_PlSB_EESF_SV_SG_SH_SI_EUlSV_E1_NS1_11comp_targetILNS1_3genE5ELNS1_11target_archE942ELNS1_3gpuE9ELNS1_3repE0EEENS1_36merge_oddeven_config_static_selectorELNS0_4arch9wavefront6targetE1EEEvSH_
	.p2align	8
	.type	_ZN7rocprim17ROCPRIM_400000_NS6detail17trampoline_kernelINS0_14default_configENS1_38merge_sort_block_merge_config_selectorIilEEZZNS1_27merge_sort_block_merge_implIS3_PiN6thrust23THRUST_200600_302600_NS10device_ptrIlEEjNS1_19radix_merge_compareILb0ELb1EiNS0_19identity_decomposerEEEEE10hipError_tT0_T1_T2_jT3_P12ihipStream_tbPNSt15iterator_traitsISG_E10value_typeEPNSM_ISH_E10value_typeEPSI_NS1_7vsmem_tEENKUlT_SG_SH_SI_E_clIS7_S7_PlSB_EESF_SV_SG_SH_SI_EUlSV_E1_NS1_11comp_targetILNS1_3genE5ELNS1_11target_archE942ELNS1_3gpuE9ELNS1_3repE0EEENS1_36merge_oddeven_config_static_selectorELNS0_4arch9wavefront6targetE1EEEvSH_,@function
_ZN7rocprim17ROCPRIM_400000_NS6detail17trampoline_kernelINS0_14default_configENS1_38merge_sort_block_merge_config_selectorIilEEZZNS1_27merge_sort_block_merge_implIS3_PiN6thrust23THRUST_200600_302600_NS10device_ptrIlEEjNS1_19radix_merge_compareILb0ELb1EiNS0_19identity_decomposerEEEEE10hipError_tT0_T1_T2_jT3_P12ihipStream_tbPNSt15iterator_traitsISG_E10value_typeEPNSM_ISH_E10value_typeEPSI_NS1_7vsmem_tEENKUlT_SG_SH_SI_E_clIS7_S7_PlSB_EESF_SV_SG_SH_SI_EUlSV_E1_NS1_11comp_targetILNS1_3genE5ELNS1_11target_archE942ELNS1_3gpuE9ELNS1_3repE0EEENS1_36merge_oddeven_config_static_selectorELNS0_4arch9wavefront6targetE1EEEvSH_: ; @_ZN7rocprim17ROCPRIM_400000_NS6detail17trampoline_kernelINS0_14default_configENS1_38merge_sort_block_merge_config_selectorIilEEZZNS1_27merge_sort_block_merge_implIS3_PiN6thrust23THRUST_200600_302600_NS10device_ptrIlEEjNS1_19radix_merge_compareILb0ELb1EiNS0_19identity_decomposerEEEEE10hipError_tT0_T1_T2_jT3_P12ihipStream_tbPNSt15iterator_traitsISG_E10value_typeEPNSM_ISH_E10value_typeEPSI_NS1_7vsmem_tEENKUlT_SG_SH_SI_E_clIS7_S7_PlSB_EESF_SV_SG_SH_SI_EUlSV_E1_NS1_11comp_targetILNS1_3genE5ELNS1_11target_archE942ELNS1_3gpuE9ELNS1_3repE0EEENS1_36merge_oddeven_config_static_selectorELNS0_4arch9wavefront6targetE1EEEvSH_
; %bb.0:
	.section	.rodata,"a",@progbits
	.p2align	6, 0x0
	.amdhsa_kernel _ZN7rocprim17ROCPRIM_400000_NS6detail17trampoline_kernelINS0_14default_configENS1_38merge_sort_block_merge_config_selectorIilEEZZNS1_27merge_sort_block_merge_implIS3_PiN6thrust23THRUST_200600_302600_NS10device_ptrIlEEjNS1_19radix_merge_compareILb0ELb1EiNS0_19identity_decomposerEEEEE10hipError_tT0_T1_T2_jT3_P12ihipStream_tbPNSt15iterator_traitsISG_E10value_typeEPNSM_ISH_E10value_typeEPSI_NS1_7vsmem_tEENKUlT_SG_SH_SI_E_clIS7_S7_PlSB_EESF_SV_SG_SH_SI_EUlSV_E1_NS1_11comp_targetILNS1_3genE5ELNS1_11target_archE942ELNS1_3gpuE9ELNS1_3repE0EEENS1_36merge_oddeven_config_static_selectorELNS0_4arch9wavefront6targetE1EEEvSH_
		.amdhsa_group_segment_fixed_size 0
		.amdhsa_private_segment_fixed_size 0
		.amdhsa_kernarg_size 48
		.amdhsa_user_sgpr_count 6
		.amdhsa_user_sgpr_private_segment_buffer 1
		.amdhsa_user_sgpr_dispatch_ptr 0
		.amdhsa_user_sgpr_queue_ptr 0
		.amdhsa_user_sgpr_kernarg_segment_ptr 1
		.amdhsa_user_sgpr_dispatch_id 0
		.amdhsa_user_sgpr_flat_scratch_init 0
		.amdhsa_user_sgpr_kernarg_preload_length 0
		.amdhsa_user_sgpr_kernarg_preload_offset 0
		.amdhsa_user_sgpr_private_segment_size 0
		.amdhsa_uses_dynamic_stack 0
		.amdhsa_system_sgpr_private_segment_wavefront_offset 0
		.amdhsa_system_sgpr_workgroup_id_x 1
		.amdhsa_system_sgpr_workgroup_id_y 0
		.amdhsa_system_sgpr_workgroup_id_z 0
		.amdhsa_system_sgpr_workgroup_info 0
		.amdhsa_system_vgpr_workitem_id 0
		.amdhsa_next_free_vgpr 1
		.amdhsa_next_free_sgpr 0
		.amdhsa_accum_offset 4
		.amdhsa_reserve_vcc 0
		.amdhsa_reserve_flat_scratch 0
		.amdhsa_float_round_mode_32 0
		.amdhsa_float_round_mode_16_64 0
		.amdhsa_float_denorm_mode_32 3
		.amdhsa_float_denorm_mode_16_64 3
		.amdhsa_dx10_clamp 1
		.amdhsa_ieee_mode 1
		.amdhsa_fp16_overflow 0
		.amdhsa_tg_split 0
		.amdhsa_exception_fp_ieee_invalid_op 0
		.amdhsa_exception_fp_denorm_src 0
		.amdhsa_exception_fp_ieee_div_zero 0
		.amdhsa_exception_fp_ieee_overflow 0
		.amdhsa_exception_fp_ieee_underflow 0
		.amdhsa_exception_fp_ieee_inexact 0
		.amdhsa_exception_int_div_zero 0
	.end_amdhsa_kernel
	.section	.text._ZN7rocprim17ROCPRIM_400000_NS6detail17trampoline_kernelINS0_14default_configENS1_38merge_sort_block_merge_config_selectorIilEEZZNS1_27merge_sort_block_merge_implIS3_PiN6thrust23THRUST_200600_302600_NS10device_ptrIlEEjNS1_19radix_merge_compareILb0ELb1EiNS0_19identity_decomposerEEEEE10hipError_tT0_T1_T2_jT3_P12ihipStream_tbPNSt15iterator_traitsISG_E10value_typeEPNSM_ISH_E10value_typeEPSI_NS1_7vsmem_tEENKUlT_SG_SH_SI_E_clIS7_S7_PlSB_EESF_SV_SG_SH_SI_EUlSV_E1_NS1_11comp_targetILNS1_3genE5ELNS1_11target_archE942ELNS1_3gpuE9ELNS1_3repE0EEENS1_36merge_oddeven_config_static_selectorELNS0_4arch9wavefront6targetE1EEEvSH_,"axG",@progbits,_ZN7rocprim17ROCPRIM_400000_NS6detail17trampoline_kernelINS0_14default_configENS1_38merge_sort_block_merge_config_selectorIilEEZZNS1_27merge_sort_block_merge_implIS3_PiN6thrust23THRUST_200600_302600_NS10device_ptrIlEEjNS1_19radix_merge_compareILb0ELb1EiNS0_19identity_decomposerEEEEE10hipError_tT0_T1_T2_jT3_P12ihipStream_tbPNSt15iterator_traitsISG_E10value_typeEPNSM_ISH_E10value_typeEPSI_NS1_7vsmem_tEENKUlT_SG_SH_SI_E_clIS7_S7_PlSB_EESF_SV_SG_SH_SI_EUlSV_E1_NS1_11comp_targetILNS1_3genE5ELNS1_11target_archE942ELNS1_3gpuE9ELNS1_3repE0EEENS1_36merge_oddeven_config_static_selectorELNS0_4arch9wavefront6targetE1EEEvSH_,comdat
.Lfunc_end818:
	.size	_ZN7rocprim17ROCPRIM_400000_NS6detail17trampoline_kernelINS0_14default_configENS1_38merge_sort_block_merge_config_selectorIilEEZZNS1_27merge_sort_block_merge_implIS3_PiN6thrust23THRUST_200600_302600_NS10device_ptrIlEEjNS1_19radix_merge_compareILb0ELb1EiNS0_19identity_decomposerEEEEE10hipError_tT0_T1_T2_jT3_P12ihipStream_tbPNSt15iterator_traitsISG_E10value_typeEPNSM_ISH_E10value_typeEPSI_NS1_7vsmem_tEENKUlT_SG_SH_SI_E_clIS7_S7_PlSB_EESF_SV_SG_SH_SI_EUlSV_E1_NS1_11comp_targetILNS1_3genE5ELNS1_11target_archE942ELNS1_3gpuE9ELNS1_3repE0EEENS1_36merge_oddeven_config_static_selectorELNS0_4arch9wavefront6targetE1EEEvSH_, .Lfunc_end818-_ZN7rocprim17ROCPRIM_400000_NS6detail17trampoline_kernelINS0_14default_configENS1_38merge_sort_block_merge_config_selectorIilEEZZNS1_27merge_sort_block_merge_implIS3_PiN6thrust23THRUST_200600_302600_NS10device_ptrIlEEjNS1_19radix_merge_compareILb0ELb1EiNS0_19identity_decomposerEEEEE10hipError_tT0_T1_T2_jT3_P12ihipStream_tbPNSt15iterator_traitsISG_E10value_typeEPNSM_ISH_E10value_typeEPSI_NS1_7vsmem_tEENKUlT_SG_SH_SI_E_clIS7_S7_PlSB_EESF_SV_SG_SH_SI_EUlSV_E1_NS1_11comp_targetILNS1_3genE5ELNS1_11target_archE942ELNS1_3gpuE9ELNS1_3repE0EEENS1_36merge_oddeven_config_static_selectorELNS0_4arch9wavefront6targetE1EEEvSH_
                                        ; -- End function
	.section	.AMDGPU.csdata,"",@progbits
; Kernel info:
; codeLenInByte = 0
; NumSgprs: 4
; NumVgprs: 0
; NumAgprs: 0
; TotalNumVgprs: 0
; ScratchSize: 0
; MemoryBound: 0
; FloatMode: 240
; IeeeMode: 1
; LDSByteSize: 0 bytes/workgroup (compile time only)
; SGPRBlocks: 0
; VGPRBlocks: 0
; NumSGPRsForWavesPerEU: 4
; NumVGPRsForWavesPerEU: 1
; AccumOffset: 4
; Occupancy: 8
; WaveLimiterHint : 0
; COMPUTE_PGM_RSRC2:SCRATCH_EN: 0
; COMPUTE_PGM_RSRC2:USER_SGPR: 6
; COMPUTE_PGM_RSRC2:TRAP_HANDLER: 0
; COMPUTE_PGM_RSRC2:TGID_X_EN: 1
; COMPUTE_PGM_RSRC2:TGID_Y_EN: 0
; COMPUTE_PGM_RSRC2:TGID_Z_EN: 0
; COMPUTE_PGM_RSRC2:TIDIG_COMP_CNT: 0
; COMPUTE_PGM_RSRC3_GFX90A:ACCUM_OFFSET: 0
; COMPUTE_PGM_RSRC3_GFX90A:TG_SPLIT: 0
	.section	.text._ZN7rocprim17ROCPRIM_400000_NS6detail17trampoline_kernelINS0_14default_configENS1_38merge_sort_block_merge_config_selectorIilEEZZNS1_27merge_sort_block_merge_implIS3_PiN6thrust23THRUST_200600_302600_NS10device_ptrIlEEjNS1_19radix_merge_compareILb0ELb1EiNS0_19identity_decomposerEEEEE10hipError_tT0_T1_T2_jT3_P12ihipStream_tbPNSt15iterator_traitsISG_E10value_typeEPNSM_ISH_E10value_typeEPSI_NS1_7vsmem_tEENKUlT_SG_SH_SI_E_clIS7_S7_PlSB_EESF_SV_SG_SH_SI_EUlSV_E1_NS1_11comp_targetILNS1_3genE4ELNS1_11target_archE910ELNS1_3gpuE8ELNS1_3repE0EEENS1_36merge_oddeven_config_static_selectorELNS0_4arch9wavefront6targetE1EEEvSH_,"axG",@progbits,_ZN7rocprim17ROCPRIM_400000_NS6detail17trampoline_kernelINS0_14default_configENS1_38merge_sort_block_merge_config_selectorIilEEZZNS1_27merge_sort_block_merge_implIS3_PiN6thrust23THRUST_200600_302600_NS10device_ptrIlEEjNS1_19radix_merge_compareILb0ELb1EiNS0_19identity_decomposerEEEEE10hipError_tT0_T1_T2_jT3_P12ihipStream_tbPNSt15iterator_traitsISG_E10value_typeEPNSM_ISH_E10value_typeEPSI_NS1_7vsmem_tEENKUlT_SG_SH_SI_E_clIS7_S7_PlSB_EESF_SV_SG_SH_SI_EUlSV_E1_NS1_11comp_targetILNS1_3genE4ELNS1_11target_archE910ELNS1_3gpuE8ELNS1_3repE0EEENS1_36merge_oddeven_config_static_selectorELNS0_4arch9wavefront6targetE1EEEvSH_,comdat
	.protected	_ZN7rocprim17ROCPRIM_400000_NS6detail17trampoline_kernelINS0_14default_configENS1_38merge_sort_block_merge_config_selectorIilEEZZNS1_27merge_sort_block_merge_implIS3_PiN6thrust23THRUST_200600_302600_NS10device_ptrIlEEjNS1_19radix_merge_compareILb0ELb1EiNS0_19identity_decomposerEEEEE10hipError_tT0_T1_T2_jT3_P12ihipStream_tbPNSt15iterator_traitsISG_E10value_typeEPNSM_ISH_E10value_typeEPSI_NS1_7vsmem_tEENKUlT_SG_SH_SI_E_clIS7_S7_PlSB_EESF_SV_SG_SH_SI_EUlSV_E1_NS1_11comp_targetILNS1_3genE4ELNS1_11target_archE910ELNS1_3gpuE8ELNS1_3repE0EEENS1_36merge_oddeven_config_static_selectorELNS0_4arch9wavefront6targetE1EEEvSH_ ; -- Begin function _ZN7rocprim17ROCPRIM_400000_NS6detail17trampoline_kernelINS0_14default_configENS1_38merge_sort_block_merge_config_selectorIilEEZZNS1_27merge_sort_block_merge_implIS3_PiN6thrust23THRUST_200600_302600_NS10device_ptrIlEEjNS1_19radix_merge_compareILb0ELb1EiNS0_19identity_decomposerEEEEE10hipError_tT0_T1_T2_jT3_P12ihipStream_tbPNSt15iterator_traitsISG_E10value_typeEPNSM_ISH_E10value_typeEPSI_NS1_7vsmem_tEENKUlT_SG_SH_SI_E_clIS7_S7_PlSB_EESF_SV_SG_SH_SI_EUlSV_E1_NS1_11comp_targetILNS1_3genE4ELNS1_11target_archE910ELNS1_3gpuE8ELNS1_3repE0EEENS1_36merge_oddeven_config_static_selectorELNS0_4arch9wavefront6targetE1EEEvSH_
	.globl	_ZN7rocprim17ROCPRIM_400000_NS6detail17trampoline_kernelINS0_14default_configENS1_38merge_sort_block_merge_config_selectorIilEEZZNS1_27merge_sort_block_merge_implIS3_PiN6thrust23THRUST_200600_302600_NS10device_ptrIlEEjNS1_19radix_merge_compareILb0ELb1EiNS0_19identity_decomposerEEEEE10hipError_tT0_T1_T2_jT3_P12ihipStream_tbPNSt15iterator_traitsISG_E10value_typeEPNSM_ISH_E10value_typeEPSI_NS1_7vsmem_tEENKUlT_SG_SH_SI_E_clIS7_S7_PlSB_EESF_SV_SG_SH_SI_EUlSV_E1_NS1_11comp_targetILNS1_3genE4ELNS1_11target_archE910ELNS1_3gpuE8ELNS1_3repE0EEENS1_36merge_oddeven_config_static_selectorELNS0_4arch9wavefront6targetE1EEEvSH_
	.p2align	8
	.type	_ZN7rocprim17ROCPRIM_400000_NS6detail17trampoline_kernelINS0_14default_configENS1_38merge_sort_block_merge_config_selectorIilEEZZNS1_27merge_sort_block_merge_implIS3_PiN6thrust23THRUST_200600_302600_NS10device_ptrIlEEjNS1_19radix_merge_compareILb0ELb1EiNS0_19identity_decomposerEEEEE10hipError_tT0_T1_T2_jT3_P12ihipStream_tbPNSt15iterator_traitsISG_E10value_typeEPNSM_ISH_E10value_typeEPSI_NS1_7vsmem_tEENKUlT_SG_SH_SI_E_clIS7_S7_PlSB_EESF_SV_SG_SH_SI_EUlSV_E1_NS1_11comp_targetILNS1_3genE4ELNS1_11target_archE910ELNS1_3gpuE8ELNS1_3repE0EEENS1_36merge_oddeven_config_static_selectorELNS0_4arch9wavefront6targetE1EEEvSH_,@function
_ZN7rocprim17ROCPRIM_400000_NS6detail17trampoline_kernelINS0_14default_configENS1_38merge_sort_block_merge_config_selectorIilEEZZNS1_27merge_sort_block_merge_implIS3_PiN6thrust23THRUST_200600_302600_NS10device_ptrIlEEjNS1_19radix_merge_compareILb0ELb1EiNS0_19identity_decomposerEEEEE10hipError_tT0_T1_T2_jT3_P12ihipStream_tbPNSt15iterator_traitsISG_E10value_typeEPNSM_ISH_E10value_typeEPSI_NS1_7vsmem_tEENKUlT_SG_SH_SI_E_clIS7_S7_PlSB_EESF_SV_SG_SH_SI_EUlSV_E1_NS1_11comp_targetILNS1_3genE4ELNS1_11target_archE910ELNS1_3gpuE8ELNS1_3repE0EEENS1_36merge_oddeven_config_static_selectorELNS0_4arch9wavefront6targetE1EEEvSH_: ; @_ZN7rocprim17ROCPRIM_400000_NS6detail17trampoline_kernelINS0_14default_configENS1_38merge_sort_block_merge_config_selectorIilEEZZNS1_27merge_sort_block_merge_implIS3_PiN6thrust23THRUST_200600_302600_NS10device_ptrIlEEjNS1_19radix_merge_compareILb0ELb1EiNS0_19identity_decomposerEEEEE10hipError_tT0_T1_T2_jT3_P12ihipStream_tbPNSt15iterator_traitsISG_E10value_typeEPNSM_ISH_E10value_typeEPSI_NS1_7vsmem_tEENKUlT_SG_SH_SI_E_clIS7_S7_PlSB_EESF_SV_SG_SH_SI_EUlSV_E1_NS1_11comp_targetILNS1_3genE4ELNS1_11target_archE910ELNS1_3gpuE8ELNS1_3repE0EEENS1_36merge_oddeven_config_static_selectorELNS0_4arch9wavefront6targetE1EEEvSH_
; %bb.0:
	s_load_dword s21, s[4:5], 0x20
	s_waitcnt lgkmcnt(0)
	s_lshr_b32 s2, s21, 8
	s_cmp_lg_u32 s6, s2
	s_cselect_b64 s[0:1], -1, 0
	s_cmp_eq_u32 s6, s2
	s_cselect_b64 s[16:17], -1, 0
	s_lshl_b32 s18, s6, 8
	s_sub_i32 s2, s21, s18
	v_cmp_gt_u32_e64 s[2:3], s2, v0
	s_or_b64 s[0:1], s[0:1], s[2:3]
	s_and_saveexec_b64 s[8:9], s[0:1]
	s_cbranch_execz .LBB819_26
; %bb.1:
	s_load_dwordx8 s[8:15], s[4:5], 0x0
	s_mov_b32 s19, 0
	s_lshl_b64 s[0:1], s[18:19], 2
	v_lshlrev_b32_e32 v4, 3, v0
	v_lshlrev_b32_e32 v1, 2, v0
	s_waitcnt lgkmcnt(0)
	s_add_u32 s0, s8, s0
	s_addc_u32 s1, s9, s1
	s_lshl_b64 s[22:23], s[18:19], 3
	s_add_u32 s12, s12, s22
	s_addc_u32 s13, s13, s23
	global_load_dwordx2 v[2:3], v4, s[12:13]
	global_load_dword v6, v1, s[0:1]
	s_load_dword s22, s[4:5], 0x24
	v_add_u32_e32 v4, s18, v0
	s_waitcnt lgkmcnt(0)
	s_lshr_b32 s0, s22, 8
	s_sub_i32 s1, 0, s0
	s_and_b32 s1, s6, s1
	s_and_b32 s0, s1, s0
	s_lshl_b32 s23, s1, 8
	s_sub_i32 s12, 0, s22
	s_cmp_eq_u32 s0, 0
	s_cselect_b64 s[0:1], -1, 0
	s_and_b64 s[6:7], s[0:1], exec
	s_cselect_b32 s20, s22, s12
	s_add_i32 s20, s20, s23
	s_cmp_lt_u32 s20, s21
	s_cbranch_scc1 .LBB819_6
; %bb.2:
	s_and_b64 vcc, exec, s[16:17]
	s_cbranch_vccz .LBB819_7
; %bb.3:
	v_cmp_gt_u32_e32 vcc, s21, v4
	s_mov_b64 s[12:13], 0
	s_mov_b64 s[6:7], 0
                                        ; implicit-def: $vgpr0_vgpr1
	s_and_saveexec_b64 s[18:19], vcc
	s_cbranch_execz .LBB819_5
; %bb.4:
	v_mov_b32_e32 v5, 0
	v_lshlrev_b64 v[0:1], 3, v[4:5]
	v_mov_b32_e32 v7, s15
	v_add_co_u32_e32 v0, vcc, s14, v0
	v_addc_co_u32_e32 v1, vcc, v7, v1, vcc
	v_lshlrev_b64 v[8:9], 2, v[4:5]
	v_mov_b32_e32 v5, s11
	v_add_co_u32_e32 v8, vcc, s10, v8
	s_mov_b64 s[6:7], exec
	v_addc_co_u32_e32 v9, vcc, v5, v9, vcc
	s_waitcnt vmcnt(0)
	global_store_dword v[8:9], v6, off
.LBB819_5:
	s_or_b64 exec, exec, s[18:19]
	s_and_b64 vcc, exec, s[12:13]
	s_cbranch_vccnz .LBB819_8
	s_branch .LBB819_9
.LBB819_6:
	s_mov_b64 s[6:7], 0
                                        ; implicit-def: $vgpr0_vgpr1
	s_cbranch_execnz .LBB819_10
	s_branch .LBB819_24
.LBB819_7:
	s_mov_b64 s[6:7], 0
                                        ; implicit-def: $vgpr0_vgpr1
	s_cbranch_execz .LBB819_9
.LBB819_8:
	v_mov_b32_e32 v5, 0
	v_lshlrev_b64 v[0:1], 2, v[4:5]
	v_mov_b32_e32 v7, s11
	v_add_co_u32_e32 v0, vcc, s10, v0
	v_addc_co_u32_e32 v1, vcc, v7, v1, vcc
	s_waitcnt vmcnt(0)
	global_store_dword v[0:1], v6, off
	v_lshlrev_b64 v[0:1], 3, v[4:5]
	v_mov_b32_e32 v5, s15
	v_add_co_u32_e32 v0, vcc, s14, v0
	v_addc_co_u32_e32 v1, vcc, v5, v1, vcc
	s_or_b64 s[6:7], s[6:7], exec
.LBB819_9:
	s_branch .LBB819_24
.LBB819_10:
	s_load_dword s12, s[4:5], 0x28
	s_min_u32 s13, s20, s21
	s_add_i32 s4, s13, s22
	s_min_u32 s18, s4, s21
	s_min_u32 s4, s23, s13
	s_add_i32 s23, s23, s13
	v_subrev_u32_e32 v0, s23, v4
	v_add_u32_e32 v4, s4, v0
	s_and_b64 vcc, exec, s[16:17]
	s_cbranch_vccz .LBB819_18
; %bb.11:
                                        ; implicit-def: $vgpr0_vgpr1
	s_and_saveexec_b64 s[4:5], s[2:3]
	s_cbranch_execz .LBB819_17
; %bb.12:
	s_cmp_ge_u32 s20, s18
	v_mov_b32_e32 v5, s13
	s_cbranch_scc1 .LBB819_16
; %bb.13:
	s_waitcnt vmcnt(0) lgkmcnt(0)
	v_and_b32_e32 v7, s12, v6
	s_mov_b64 s[2:3], 0
	v_mov_b32_e32 v8, s18
	v_mov_b32_e32 v5, s13
	;; [unrolled: 1-line block ×4, first 2 shown]
.LBB819_14:                             ; =>This Inner Loop Header: Depth=1
	v_add_u32_e32 v0, v5, v8
	v_lshrrev_b32_e32 v0, 1, v0
	v_lshlrev_b64 v[10:11], 2, v[0:1]
	v_add_co_u32_e32 v10, vcc, s8, v10
	v_addc_co_u32_e32 v11, vcc, v9, v11, vcc
	global_load_dword v10, v[10:11], off
	v_add_u32_e32 v11, 1, v0
	s_waitcnt vmcnt(0)
	v_and_b32_e32 v10, s12, v10
	v_cmp_gt_i32_e32 vcc, v7, v10
	v_cndmask_b32_e64 v12, 0, 1, vcc
	v_cmp_le_i32_e32 vcc, v10, v7
	v_cndmask_b32_e64 v10, 0, 1, vcc
	v_cndmask_b32_e64 v10, v10, v12, s[0:1]
	v_and_b32_e32 v10, 1, v10
	v_cmp_eq_u32_e32 vcc, 1, v10
	v_cndmask_b32_e32 v8, v0, v8, vcc
	v_cndmask_b32_e32 v5, v5, v11, vcc
	v_cmp_ge_u32_e32 vcc, v5, v8
	s_or_b64 s[2:3], vcc, s[2:3]
	s_andn2_b64 exec, exec, s[2:3]
	s_cbranch_execnz .LBB819_14
; %bb.15:
	s_or_b64 exec, exec, s[2:3]
.LBB819_16:
	v_add_u32_e32 v0, v5, v4
	v_mov_b32_e32 v1, 0
	v_lshlrev_b64 v[8:9], 2, v[0:1]
	v_mov_b32_e32 v5, s11
	v_add_co_u32_e32 v8, vcc, s10, v8
	v_addc_co_u32_e32 v9, vcc, v5, v9, vcc
	v_lshlrev_b64 v[0:1], 3, v[0:1]
	v_mov_b32_e32 v5, s15
	v_add_co_u32_e32 v0, vcc, s14, v0
	s_waitcnt vmcnt(0)
	global_store_dword v[8:9], v6, off
	v_addc_co_u32_e32 v1, vcc, v5, v1, vcc
	s_or_b64 s[6:7], s[6:7], exec
.LBB819_17:
	s_or_b64 exec, exec, s[4:5]
	s_branch .LBB819_24
.LBB819_18:
                                        ; implicit-def: $vgpr0_vgpr1
	s_cbranch_execz .LBB819_24
; %bb.19:
	s_cmp_ge_u32 s20, s18
	v_mov_b32_e32 v5, s13
	s_cbranch_scc1 .LBB819_23
; %bb.20:
	s_waitcnt vmcnt(0) lgkmcnt(0)
	v_and_b32_e32 v7, s12, v6
	s_mov_b64 s[2:3], 0
	v_mov_b32_e32 v8, s18
	v_mov_b32_e32 v5, s13
	;; [unrolled: 1-line block ×4, first 2 shown]
.LBB819_21:                             ; =>This Inner Loop Header: Depth=1
	v_add_u32_e32 v0, v5, v8
	v_lshrrev_b32_e32 v0, 1, v0
	v_lshlrev_b64 v[10:11], 2, v[0:1]
	v_add_co_u32_e32 v10, vcc, s8, v10
	v_addc_co_u32_e32 v11, vcc, v9, v11, vcc
	global_load_dword v10, v[10:11], off
	v_add_u32_e32 v11, 1, v0
	s_waitcnt vmcnt(0)
	v_and_b32_e32 v10, s12, v10
	v_cmp_gt_i32_e32 vcc, v7, v10
	v_cndmask_b32_e64 v12, 0, 1, vcc
	v_cmp_le_i32_e32 vcc, v10, v7
	v_cndmask_b32_e64 v10, 0, 1, vcc
	v_cndmask_b32_e64 v10, v10, v12, s[0:1]
	v_and_b32_e32 v10, 1, v10
	v_cmp_eq_u32_e32 vcc, 1, v10
	v_cndmask_b32_e32 v8, v0, v8, vcc
	v_cndmask_b32_e32 v5, v5, v11, vcc
	v_cmp_ge_u32_e32 vcc, v5, v8
	s_or_b64 s[2:3], vcc, s[2:3]
	s_andn2_b64 exec, exec, s[2:3]
	s_cbranch_execnz .LBB819_21
; %bb.22:
	s_or_b64 exec, exec, s[2:3]
.LBB819_23:
	v_add_u32_e32 v0, v5, v4
	v_mov_b32_e32 v1, 0
	v_lshlrev_b64 v[4:5], 2, v[0:1]
	v_mov_b32_e32 v7, s11
	v_add_co_u32_e32 v4, vcc, s10, v4
	v_addc_co_u32_e32 v5, vcc, v7, v5, vcc
	v_lshlrev_b64 v[0:1], 3, v[0:1]
	s_waitcnt vmcnt(0)
	global_store_dword v[4:5], v6, off
	v_mov_b32_e32 v4, s15
	v_add_co_u32_e32 v0, vcc, s14, v0
	v_addc_co_u32_e32 v1, vcc, v4, v1, vcc
	s_mov_b64 s[6:7], -1
.LBB819_24:
	s_and_b64 exec, exec, s[6:7]
	s_cbranch_execz .LBB819_26
; %bb.25:
	s_waitcnt vmcnt(1)
	global_store_dwordx2 v[0:1], v[2:3], off
.LBB819_26:
	s_endpgm
	.section	.rodata,"a",@progbits
	.p2align	6, 0x0
	.amdhsa_kernel _ZN7rocprim17ROCPRIM_400000_NS6detail17trampoline_kernelINS0_14default_configENS1_38merge_sort_block_merge_config_selectorIilEEZZNS1_27merge_sort_block_merge_implIS3_PiN6thrust23THRUST_200600_302600_NS10device_ptrIlEEjNS1_19radix_merge_compareILb0ELb1EiNS0_19identity_decomposerEEEEE10hipError_tT0_T1_T2_jT3_P12ihipStream_tbPNSt15iterator_traitsISG_E10value_typeEPNSM_ISH_E10value_typeEPSI_NS1_7vsmem_tEENKUlT_SG_SH_SI_E_clIS7_S7_PlSB_EESF_SV_SG_SH_SI_EUlSV_E1_NS1_11comp_targetILNS1_3genE4ELNS1_11target_archE910ELNS1_3gpuE8ELNS1_3repE0EEENS1_36merge_oddeven_config_static_selectorELNS0_4arch9wavefront6targetE1EEEvSH_
		.amdhsa_group_segment_fixed_size 0
		.amdhsa_private_segment_fixed_size 0
		.amdhsa_kernarg_size 48
		.amdhsa_user_sgpr_count 6
		.amdhsa_user_sgpr_private_segment_buffer 1
		.amdhsa_user_sgpr_dispatch_ptr 0
		.amdhsa_user_sgpr_queue_ptr 0
		.amdhsa_user_sgpr_kernarg_segment_ptr 1
		.amdhsa_user_sgpr_dispatch_id 0
		.amdhsa_user_sgpr_flat_scratch_init 0
		.amdhsa_user_sgpr_kernarg_preload_length 0
		.amdhsa_user_sgpr_kernarg_preload_offset 0
		.amdhsa_user_sgpr_private_segment_size 0
		.amdhsa_uses_dynamic_stack 0
		.amdhsa_system_sgpr_private_segment_wavefront_offset 0
		.amdhsa_system_sgpr_workgroup_id_x 1
		.amdhsa_system_sgpr_workgroup_id_y 0
		.amdhsa_system_sgpr_workgroup_id_z 0
		.amdhsa_system_sgpr_workgroup_info 0
		.amdhsa_system_vgpr_workitem_id 0
		.amdhsa_next_free_vgpr 13
		.amdhsa_next_free_sgpr 24
		.amdhsa_accum_offset 16
		.amdhsa_reserve_vcc 1
		.amdhsa_reserve_flat_scratch 0
		.amdhsa_float_round_mode_32 0
		.amdhsa_float_round_mode_16_64 0
		.amdhsa_float_denorm_mode_32 3
		.amdhsa_float_denorm_mode_16_64 3
		.amdhsa_dx10_clamp 1
		.amdhsa_ieee_mode 1
		.amdhsa_fp16_overflow 0
		.amdhsa_tg_split 0
		.amdhsa_exception_fp_ieee_invalid_op 0
		.amdhsa_exception_fp_denorm_src 0
		.amdhsa_exception_fp_ieee_div_zero 0
		.amdhsa_exception_fp_ieee_overflow 0
		.amdhsa_exception_fp_ieee_underflow 0
		.amdhsa_exception_fp_ieee_inexact 0
		.amdhsa_exception_int_div_zero 0
	.end_amdhsa_kernel
	.section	.text._ZN7rocprim17ROCPRIM_400000_NS6detail17trampoline_kernelINS0_14default_configENS1_38merge_sort_block_merge_config_selectorIilEEZZNS1_27merge_sort_block_merge_implIS3_PiN6thrust23THRUST_200600_302600_NS10device_ptrIlEEjNS1_19radix_merge_compareILb0ELb1EiNS0_19identity_decomposerEEEEE10hipError_tT0_T1_T2_jT3_P12ihipStream_tbPNSt15iterator_traitsISG_E10value_typeEPNSM_ISH_E10value_typeEPSI_NS1_7vsmem_tEENKUlT_SG_SH_SI_E_clIS7_S7_PlSB_EESF_SV_SG_SH_SI_EUlSV_E1_NS1_11comp_targetILNS1_3genE4ELNS1_11target_archE910ELNS1_3gpuE8ELNS1_3repE0EEENS1_36merge_oddeven_config_static_selectorELNS0_4arch9wavefront6targetE1EEEvSH_,"axG",@progbits,_ZN7rocprim17ROCPRIM_400000_NS6detail17trampoline_kernelINS0_14default_configENS1_38merge_sort_block_merge_config_selectorIilEEZZNS1_27merge_sort_block_merge_implIS3_PiN6thrust23THRUST_200600_302600_NS10device_ptrIlEEjNS1_19radix_merge_compareILb0ELb1EiNS0_19identity_decomposerEEEEE10hipError_tT0_T1_T2_jT3_P12ihipStream_tbPNSt15iterator_traitsISG_E10value_typeEPNSM_ISH_E10value_typeEPSI_NS1_7vsmem_tEENKUlT_SG_SH_SI_E_clIS7_S7_PlSB_EESF_SV_SG_SH_SI_EUlSV_E1_NS1_11comp_targetILNS1_3genE4ELNS1_11target_archE910ELNS1_3gpuE8ELNS1_3repE0EEENS1_36merge_oddeven_config_static_selectorELNS0_4arch9wavefront6targetE1EEEvSH_,comdat
.Lfunc_end819:
	.size	_ZN7rocprim17ROCPRIM_400000_NS6detail17trampoline_kernelINS0_14default_configENS1_38merge_sort_block_merge_config_selectorIilEEZZNS1_27merge_sort_block_merge_implIS3_PiN6thrust23THRUST_200600_302600_NS10device_ptrIlEEjNS1_19radix_merge_compareILb0ELb1EiNS0_19identity_decomposerEEEEE10hipError_tT0_T1_T2_jT3_P12ihipStream_tbPNSt15iterator_traitsISG_E10value_typeEPNSM_ISH_E10value_typeEPSI_NS1_7vsmem_tEENKUlT_SG_SH_SI_E_clIS7_S7_PlSB_EESF_SV_SG_SH_SI_EUlSV_E1_NS1_11comp_targetILNS1_3genE4ELNS1_11target_archE910ELNS1_3gpuE8ELNS1_3repE0EEENS1_36merge_oddeven_config_static_selectorELNS0_4arch9wavefront6targetE1EEEvSH_, .Lfunc_end819-_ZN7rocprim17ROCPRIM_400000_NS6detail17trampoline_kernelINS0_14default_configENS1_38merge_sort_block_merge_config_selectorIilEEZZNS1_27merge_sort_block_merge_implIS3_PiN6thrust23THRUST_200600_302600_NS10device_ptrIlEEjNS1_19radix_merge_compareILb0ELb1EiNS0_19identity_decomposerEEEEE10hipError_tT0_T1_T2_jT3_P12ihipStream_tbPNSt15iterator_traitsISG_E10value_typeEPNSM_ISH_E10value_typeEPSI_NS1_7vsmem_tEENKUlT_SG_SH_SI_E_clIS7_S7_PlSB_EESF_SV_SG_SH_SI_EUlSV_E1_NS1_11comp_targetILNS1_3genE4ELNS1_11target_archE910ELNS1_3gpuE8ELNS1_3repE0EEENS1_36merge_oddeven_config_static_selectorELNS0_4arch9wavefront6targetE1EEEvSH_
                                        ; -- End function
	.section	.AMDGPU.csdata,"",@progbits
; Kernel info:
; codeLenInByte = 900
; NumSgprs: 28
; NumVgprs: 13
; NumAgprs: 0
; TotalNumVgprs: 13
; ScratchSize: 0
; MemoryBound: 0
; FloatMode: 240
; IeeeMode: 1
; LDSByteSize: 0 bytes/workgroup (compile time only)
; SGPRBlocks: 3
; VGPRBlocks: 1
; NumSGPRsForWavesPerEU: 28
; NumVGPRsForWavesPerEU: 13
; AccumOffset: 16
; Occupancy: 8
; WaveLimiterHint : 0
; COMPUTE_PGM_RSRC2:SCRATCH_EN: 0
; COMPUTE_PGM_RSRC2:USER_SGPR: 6
; COMPUTE_PGM_RSRC2:TRAP_HANDLER: 0
; COMPUTE_PGM_RSRC2:TGID_X_EN: 1
; COMPUTE_PGM_RSRC2:TGID_Y_EN: 0
; COMPUTE_PGM_RSRC2:TGID_Z_EN: 0
; COMPUTE_PGM_RSRC2:TIDIG_COMP_CNT: 0
; COMPUTE_PGM_RSRC3_GFX90A:ACCUM_OFFSET: 3
; COMPUTE_PGM_RSRC3_GFX90A:TG_SPLIT: 0
	.section	.text._ZN7rocprim17ROCPRIM_400000_NS6detail17trampoline_kernelINS0_14default_configENS1_38merge_sort_block_merge_config_selectorIilEEZZNS1_27merge_sort_block_merge_implIS3_PiN6thrust23THRUST_200600_302600_NS10device_ptrIlEEjNS1_19radix_merge_compareILb0ELb1EiNS0_19identity_decomposerEEEEE10hipError_tT0_T1_T2_jT3_P12ihipStream_tbPNSt15iterator_traitsISG_E10value_typeEPNSM_ISH_E10value_typeEPSI_NS1_7vsmem_tEENKUlT_SG_SH_SI_E_clIS7_S7_PlSB_EESF_SV_SG_SH_SI_EUlSV_E1_NS1_11comp_targetILNS1_3genE3ELNS1_11target_archE908ELNS1_3gpuE7ELNS1_3repE0EEENS1_36merge_oddeven_config_static_selectorELNS0_4arch9wavefront6targetE1EEEvSH_,"axG",@progbits,_ZN7rocprim17ROCPRIM_400000_NS6detail17trampoline_kernelINS0_14default_configENS1_38merge_sort_block_merge_config_selectorIilEEZZNS1_27merge_sort_block_merge_implIS3_PiN6thrust23THRUST_200600_302600_NS10device_ptrIlEEjNS1_19radix_merge_compareILb0ELb1EiNS0_19identity_decomposerEEEEE10hipError_tT0_T1_T2_jT3_P12ihipStream_tbPNSt15iterator_traitsISG_E10value_typeEPNSM_ISH_E10value_typeEPSI_NS1_7vsmem_tEENKUlT_SG_SH_SI_E_clIS7_S7_PlSB_EESF_SV_SG_SH_SI_EUlSV_E1_NS1_11comp_targetILNS1_3genE3ELNS1_11target_archE908ELNS1_3gpuE7ELNS1_3repE0EEENS1_36merge_oddeven_config_static_selectorELNS0_4arch9wavefront6targetE1EEEvSH_,comdat
	.protected	_ZN7rocprim17ROCPRIM_400000_NS6detail17trampoline_kernelINS0_14default_configENS1_38merge_sort_block_merge_config_selectorIilEEZZNS1_27merge_sort_block_merge_implIS3_PiN6thrust23THRUST_200600_302600_NS10device_ptrIlEEjNS1_19radix_merge_compareILb0ELb1EiNS0_19identity_decomposerEEEEE10hipError_tT0_T1_T2_jT3_P12ihipStream_tbPNSt15iterator_traitsISG_E10value_typeEPNSM_ISH_E10value_typeEPSI_NS1_7vsmem_tEENKUlT_SG_SH_SI_E_clIS7_S7_PlSB_EESF_SV_SG_SH_SI_EUlSV_E1_NS1_11comp_targetILNS1_3genE3ELNS1_11target_archE908ELNS1_3gpuE7ELNS1_3repE0EEENS1_36merge_oddeven_config_static_selectorELNS0_4arch9wavefront6targetE1EEEvSH_ ; -- Begin function _ZN7rocprim17ROCPRIM_400000_NS6detail17trampoline_kernelINS0_14default_configENS1_38merge_sort_block_merge_config_selectorIilEEZZNS1_27merge_sort_block_merge_implIS3_PiN6thrust23THRUST_200600_302600_NS10device_ptrIlEEjNS1_19radix_merge_compareILb0ELb1EiNS0_19identity_decomposerEEEEE10hipError_tT0_T1_T2_jT3_P12ihipStream_tbPNSt15iterator_traitsISG_E10value_typeEPNSM_ISH_E10value_typeEPSI_NS1_7vsmem_tEENKUlT_SG_SH_SI_E_clIS7_S7_PlSB_EESF_SV_SG_SH_SI_EUlSV_E1_NS1_11comp_targetILNS1_3genE3ELNS1_11target_archE908ELNS1_3gpuE7ELNS1_3repE0EEENS1_36merge_oddeven_config_static_selectorELNS0_4arch9wavefront6targetE1EEEvSH_
	.globl	_ZN7rocprim17ROCPRIM_400000_NS6detail17trampoline_kernelINS0_14default_configENS1_38merge_sort_block_merge_config_selectorIilEEZZNS1_27merge_sort_block_merge_implIS3_PiN6thrust23THRUST_200600_302600_NS10device_ptrIlEEjNS1_19radix_merge_compareILb0ELb1EiNS0_19identity_decomposerEEEEE10hipError_tT0_T1_T2_jT3_P12ihipStream_tbPNSt15iterator_traitsISG_E10value_typeEPNSM_ISH_E10value_typeEPSI_NS1_7vsmem_tEENKUlT_SG_SH_SI_E_clIS7_S7_PlSB_EESF_SV_SG_SH_SI_EUlSV_E1_NS1_11comp_targetILNS1_3genE3ELNS1_11target_archE908ELNS1_3gpuE7ELNS1_3repE0EEENS1_36merge_oddeven_config_static_selectorELNS0_4arch9wavefront6targetE1EEEvSH_
	.p2align	8
	.type	_ZN7rocprim17ROCPRIM_400000_NS6detail17trampoline_kernelINS0_14default_configENS1_38merge_sort_block_merge_config_selectorIilEEZZNS1_27merge_sort_block_merge_implIS3_PiN6thrust23THRUST_200600_302600_NS10device_ptrIlEEjNS1_19radix_merge_compareILb0ELb1EiNS0_19identity_decomposerEEEEE10hipError_tT0_T1_T2_jT3_P12ihipStream_tbPNSt15iterator_traitsISG_E10value_typeEPNSM_ISH_E10value_typeEPSI_NS1_7vsmem_tEENKUlT_SG_SH_SI_E_clIS7_S7_PlSB_EESF_SV_SG_SH_SI_EUlSV_E1_NS1_11comp_targetILNS1_3genE3ELNS1_11target_archE908ELNS1_3gpuE7ELNS1_3repE0EEENS1_36merge_oddeven_config_static_selectorELNS0_4arch9wavefront6targetE1EEEvSH_,@function
_ZN7rocprim17ROCPRIM_400000_NS6detail17trampoline_kernelINS0_14default_configENS1_38merge_sort_block_merge_config_selectorIilEEZZNS1_27merge_sort_block_merge_implIS3_PiN6thrust23THRUST_200600_302600_NS10device_ptrIlEEjNS1_19radix_merge_compareILb0ELb1EiNS0_19identity_decomposerEEEEE10hipError_tT0_T1_T2_jT3_P12ihipStream_tbPNSt15iterator_traitsISG_E10value_typeEPNSM_ISH_E10value_typeEPSI_NS1_7vsmem_tEENKUlT_SG_SH_SI_E_clIS7_S7_PlSB_EESF_SV_SG_SH_SI_EUlSV_E1_NS1_11comp_targetILNS1_3genE3ELNS1_11target_archE908ELNS1_3gpuE7ELNS1_3repE0EEENS1_36merge_oddeven_config_static_selectorELNS0_4arch9wavefront6targetE1EEEvSH_: ; @_ZN7rocprim17ROCPRIM_400000_NS6detail17trampoline_kernelINS0_14default_configENS1_38merge_sort_block_merge_config_selectorIilEEZZNS1_27merge_sort_block_merge_implIS3_PiN6thrust23THRUST_200600_302600_NS10device_ptrIlEEjNS1_19radix_merge_compareILb0ELb1EiNS0_19identity_decomposerEEEEE10hipError_tT0_T1_T2_jT3_P12ihipStream_tbPNSt15iterator_traitsISG_E10value_typeEPNSM_ISH_E10value_typeEPSI_NS1_7vsmem_tEENKUlT_SG_SH_SI_E_clIS7_S7_PlSB_EESF_SV_SG_SH_SI_EUlSV_E1_NS1_11comp_targetILNS1_3genE3ELNS1_11target_archE908ELNS1_3gpuE7ELNS1_3repE0EEENS1_36merge_oddeven_config_static_selectorELNS0_4arch9wavefront6targetE1EEEvSH_
; %bb.0:
	.section	.rodata,"a",@progbits
	.p2align	6, 0x0
	.amdhsa_kernel _ZN7rocprim17ROCPRIM_400000_NS6detail17trampoline_kernelINS0_14default_configENS1_38merge_sort_block_merge_config_selectorIilEEZZNS1_27merge_sort_block_merge_implIS3_PiN6thrust23THRUST_200600_302600_NS10device_ptrIlEEjNS1_19radix_merge_compareILb0ELb1EiNS0_19identity_decomposerEEEEE10hipError_tT0_T1_T2_jT3_P12ihipStream_tbPNSt15iterator_traitsISG_E10value_typeEPNSM_ISH_E10value_typeEPSI_NS1_7vsmem_tEENKUlT_SG_SH_SI_E_clIS7_S7_PlSB_EESF_SV_SG_SH_SI_EUlSV_E1_NS1_11comp_targetILNS1_3genE3ELNS1_11target_archE908ELNS1_3gpuE7ELNS1_3repE0EEENS1_36merge_oddeven_config_static_selectorELNS0_4arch9wavefront6targetE1EEEvSH_
		.amdhsa_group_segment_fixed_size 0
		.amdhsa_private_segment_fixed_size 0
		.amdhsa_kernarg_size 48
		.amdhsa_user_sgpr_count 6
		.amdhsa_user_sgpr_private_segment_buffer 1
		.amdhsa_user_sgpr_dispatch_ptr 0
		.amdhsa_user_sgpr_queue_ptr 0
		.amdhsa_user_sgpr_kernarg_segment_ptr 1
		.amdhsa_user_sgpr_dispatch_id 0
		.amdhsa_user_sgpr_flat_scratch_init 0
		.amdhsa_user_sgpr_kernarg_preload_length 0
		.amdhsa_user_sgpr_kernarg_preload_offset 0
		.amdhsa_user_sgpr_private_segment_size 0
		.amdhsa_uses_dynamic_stack 0
		.amdhsa_system_sgpr_private_segment_wavefront_offset 0
		.amdhsa_system_sgpr_workgroup_id_x 1
		.amdhsa_system_sgpr_workgroup_id_y 0
		.amdhsa_system_sgpr_workgroup_id_z 0
		.amdhsa_system_sgpr_workgroup_info 0
		.amdhsa_system_vgpr_workitem_id 0
		.amdhsa_next_free_vgpr 1
		.amdhsa_next_free_sgpr 0
		.amdhsa_accum_offset 4
		.amdhsa_reserve_vcc 0
		.amdhsa_reserve_flat_scratch 0
		.amdhsa_float_round_mode_32 0
		.amdhsa_float_round_mode_16_64 0
		.amdhsa_float_denorm_mode_32 3
		.amdhsa_float_denorm_mode_16_64 3
		.amdhsa_dx10_clamp 1
		.amdhsa_ieee_mode 1
		.amdhsa_fp16_overflow 0
		.amdhsa_tg_split 0
		.amdhsa_exception_fp_ieee_invalid_op 0
		.amdhsa_exception_fp_denorm_src 0
		.amdhsa_exception_fp_ieee_div_zero 0
		.amdhsa_exception_fp_ieee_overflow 0
		.amdhsa_exception_fp_ieee_underflow 0
		.amdhsa_exception_fp_ieee_inexact 0
		.amdhsa_exception_int_div_zero 0
	.end_amdhsa_kernel
	.section	.text._ZN7rocprim17ROCPRIM_400000_NS6detail17trampoline_kernelINS0_14default_configENS1_38merge_sort_block_merge_config_selectorIilEEZZNS1_27merge_sort_block_merge_implIS3_PiN6thrust23THRUST_200600_302600_NS10device_ptrIlEEjNS1_19radix_merge_compareILb0ELb1EiNS0_19identity_decomposerEEEEE10hipError_tT0_T1_T2_jT3_P12ihipStream_tbPNSt15iterator_traitsISG_E10value_typeEPNSM_ISH_E10value_typeEPSI_NS1_7vsmem_tEENKUlT_SG_SH_SI_E_clIS7_S7_PlSB_EESF_SV_SG_SH_SI_EUlSV_E1_NS1_11comp_targetILNS1_3genE3ELNS1_11target_archE908ELNS1_3gpuE7ELNS1_3repE0EEENS1_36merge_oddeven_config_static_selectorELNS0_4arch9wavefront6targetE1EEEvSH_,"axG",@progbits,_ZN7rocprim17ROCPRIM_400000_NS6detail17trampoline_kernelINS0_14default_configENS1_38merge_sort_block_merge_config_selectorIilEEZZNS1_27merge_sort_block_merge_implIS3_PiN6thrust23THRUST_200600_302600_NS10device_ptrIlEEjNS1_19radix_merge_compareILb0ELb1EiNS0_19identity_decomposerEEEEE10hipError_tT0_T1_T2_jT3_P12ihipStream_tbPNSt15iterator_traitsISG_E10value_typeEPNSM_ISH_E10value_typeEPSI_NS1_7vsmem_tEENKUlT_SG_SH_SI_E_clIS7_S7_PlSB_EESF_SV_SG_SH_SI_EUlSV_E1_NS1_11comp_targetILNS1_3genE3ELNS1_11target_archE908ELNS1_3gpuE7ELNS1_3repE0EEENS1_36merge_oddeven_config_static_selectorELNS0_4arch9wavefront6targetE1EEEvSH_,comdat
.Lfunc_end820:
	.size	_ZN7rocprim17ROCPRIM_400000_NS6detail17trampoline_kernelINS0_14default_configENS1_38merge_sort_block_merge_config_selectorIilEEZZNS1_27merge_sort_block_merge_implIS3_PiN6thrust23THRUST_200600_302600_NS10device_ptrIlEEjNS1_19radix_merge_compareILb0ELb1EiNS0_19identity_decomposerEEEEE10hipError_tT0_T1_T2_jT3_P12ihipStream_tbPNSt15iterator_traitsISG_E10value_typeEPNSM_ISH_E10value_typeEPSI_NS1_7vsmem_tEENKUlT_SG_SH_SI_E_clIS7_S7_PlSB_EESF_SV_SG_SH_SI_EUlSV_E1_NS1_11comp_targetILNS1_3genE3ELNS1_11target_archE908ELNS1_3gpuE7ELNS1_3repE0EEENS1_36merge_oddeven_config_static_selectorELNS0_4arch9wavefront6targetE1EEEvSH_, .Lfunc_end820-_ZN7rocprim17ROCPRIM_400000_NS6detail17trampoline_kernelINS0_14default_configENS1_38merge_sort_block_merge_config_selectorIilEEZZNS1_27merge_sort_block_merge_implIS3_PiN6thrust23THRUST_200600_302600_NS10device_ptrIlEEjNS1_19radix_merge_compareILb0ELb1EiNS0_19identity_decomposerEEEEE10hipError_tT0_T1_T2_jT3_P12ihipStream_tbPNSt15iterator_traitsISG_E10value_typeEPNSM_ISH_E10value_typeEPSI_NS1_7vsmem_tEENKUlT_SG_SH_SI_E_clIS7_S7_PlSB_EESF_SV_SG_SH_SI_EUlSV_E1_NS1_11comp_targetILNS1_3genE3ELNS1_11target_archE908ELNS1_3gpuE7ELNS1_3repE0EEENS1_36merge_oddeven_config_static_selectorELNS0_4arch9wavefront6targetE1EEEvSH_
                                        ; -- End function
	.section	.AMDGPU.csdata,"",@progbits
; Kernel info:
; codeLenInByte = 0
; NumSgprs: 4
; NumVgprs: 0
; NumAgprs: 0
; TotalNumVgprs: 0
; ScratchSize: 0
; MemoryBound: 0
; FloatMode: 240
; IeeeMode: 1
; LDSByteSize: 0 bytes/workgroup (compile time only)
; SGPRBlocks: 0
; VGPRBlocks: 0
; NumSGPRsForWavesPerEU: 4
; NumVGPRsForWavesPerEU: 1
; AccumOffset: 4
; Occupancy: 8
; WaveLimiterHint : 0
; COMPUTE_PGM_RSRC2:SCRATCH_EN: 0
; COMPUTE_PGM_RSRC2:USER_SGPR: 6
; COMPUTE_PGM_RSRC2:TRAP_HANDLER: 0
; COMPUTE_PGM_RSRC2:TGID_X_EN: 1
; COMPUTE_PGM_RSRC2:TGID_Y_EN: 0
; COMPUTE_PGM_RSRC2:TGID_Z_EN: 0
; COMPUTE_PGM_RSRC2:TIDIG_COMP_CNT: 0
; COMPUTE_PGM_RSRC3_GFX90A:ACCUM_OFFSET: 0
; COMPUTE_PGM_RSRC3_GFX90A:TG_SPLIT: 0
	.section	.text._ZN7rocprim17ROCPRIM_400000_NS6detail17trampoline_kernelINS0_14default_configENS1_38merge_sort_block_merge_config_selectorIilEEZZNS1_27merge_sort_block_merge_implIS3_PiN6thrust23THRUST_200600_302600_NS10device_ptrIlEEjNS1_19radix_merge_compareILb0ELb1EiNS0_19identity_decomposerEEEEE10hipError_tT0_T1_T2_jT3_P12ihipStream_tbPNSt15iterator_traitsISG_E10value_typeEPNSM_ISH_E10value_typeEPSI_NS1_7vsmem_tEENKUlT_SG_SH_SI_E_clIS7_S7_PlSB_EESF_SV_SG_SH_SI_EUlSV_E1_NS1_11comp_targetILNS1_3genE2ELNS1_11target_archE906ELNS1_3gpuE6ELNS1_3repE0EEENS1_36merge_oddeven_config_static_selectorELNS0_4arch9wavefront6targetE1EEEvSH_,"axG",@progbits,_ZN7rocprim17ROCPRIM_400000_NS6detail17trampoline_kernelINS0_14default_configENS1_38merge_sort_block_merge_config_selectorIilEEZZNS1_27merge_sort_block_merge_implIS3_PiN6thrust23THRUST_200600_302600_NS10device_ptrIlEEjNS1_19radix_merge_compareILb0ELb1EiNS0_19identity_decomposerEEEEE10hipError_tT0_T1_T2_jT3_P12ihipStream_tbPNSt15iterator_traitsISG_E10value_typeEPNSM_ISH_E10value_typeEPSI_NS1_7vsmem_tEENKUlT_SG_SH_SI_E_clIS7_S7_PlSB_EESF_SV_SG_SH_SI_EUlSV_E1_NS1_11comp_targetILNS1_3genE2ELNS1_11target_archE906ELNS1_3gpuE6ELNS1_3repE0EEENS1_36merge_oddeven_config_static_selectorELNS0_4arch9wavefront6targetE1EEEvSH_,comdat
	.protected	_ZN7rocprim17ROCPRIM_400000_NS6detail17trampoline_kernelINS0_14default_configENS1_38merge_sort_block_merge_config_selectorIilEEZZNS1_27merge_sort_block_merge_implIS3_PiN6thrust23THRUST_200600_302600_NS10device_ptrIlEEjNS1_19radix_merge_compareILb0ELb1EiNS0_19identity_decomposerEEEEE10hipError_tT0_T1_T2_jT3_P12ihipStream_tbPNSt15iterator_traitsISG_E10value_typeEPNSM_ISH_E10value_typeEPSI_NS1_7vsmem_tEENKUlT_SG_SH_SI_E_clIS7_S7_PlSB_EESF_SV_SG_SH_SI_EUlSV_E1_NS1_11comp_targetILNS1_3genE2ELNS1_11target_archE906ELNS1_3gpuE6ELNS1_3repE0EEENS1_36merge_oddeven_config_static_selectorELNS0_4arch9wavefront6targetE1EEEvSH_ ; -- Begin function _ZN7rocprim17ROCPRIM_400000_NS6detail17trampoline_kernelINS0_14default_configENS1_38merge_sort_block_merge_config_selectorIilEEZZNS1_27merge_sort_block_merge_implIS3_PiN6thrust23THRUST_200600_302600_NS10device_ptrIlEEjNS1_19radix_merge_compareILb0ELb1EiNS0_19identity_decomposerEEEEE10hipError_tT0_T1_T2_jT3_P12ihipStream_tbPNSt15iterator_traitsISG_E10value_typeEPNSM_ISH_E10value_typeEPSI_NS1_7vsmem_tEENKUlT_SG_SH_SI_E_clIS7_S7_PlSB_EESF_SV_SG_SH_SI_EUlSV_E1_NS1_11comp_targetILNS1_3genE2ELNS1_11target_archE906ELNS1_3gpuE6ELNS1_3repE0EEENS1_36merge_oddeven_config_static_selectorELNS0_4arch9wavefront6targetE1EEEvSH_
	.globl	_ZN7rocprim17ROCPRIM_400000_NS6detail17trampoline_kernelINS0_14default_configENS1_38merge_sort_block_merge_config_selectorIilEEZZNS1_27merge_sort_block_merge_implIS3_PiN6thrust23THRUST_200600_302600_NS10device_ptrIlEEjNS1_19radix_merge_compareILb0ELb1EiNS0_19identity_decomposerEEEEE10hipError_tT0_T1_T2_jT3_P12ihipStream_tbPNSt15iterator_traitsISG_E10value_typeEPNSM_ISH_E10value_typeEPSI_NS1_7vsmem_tEENKUlT_SG_SH_SI_E_clIS7_S7_PlSB_EESF_SV_SG_SH_SI_EUlSV_E1_NS1_11comp_targetILNS1_3genE2ELNS1_11target_archE906ELNS1_3gpuE6ELNS1_3repE0EEENS1_36merge_oddeven_config_static_selectorELNS0_4arch9wavefront6targetE1EEEvSH_
	.p2align	8
	.type	_ZN7rocprim17ROCPRIM_400000_NS6detail17trampoline_kernelINS0_14default_configENS1_38merge_sort_block_merge_config_selectorIilEEZZNS1_27merge_sort_block_merge_implIS3_PiN6thrust23THRUST_200600_302600_NS10device_ptrIlEEjNS1_19radix_merge_compareILb0ELb1EiNS0_19identity_decomposerEEEEE10hipError_tT0_T1_T2_jT3_P12ihipStream_tbPNSt15iterator_traitsISG_E10value_typeEPNSM_ISH_E10value_typeEPSI_NS1_7vsmem_tEENKUlT_SG_SH_SI_E_clIS7_S7_PlSB_EESF_SV_SG_SH_SI_EUlSV_E1_NS1_11comp_targetILNS1_3genE2ELNS1_11target_archE906ELNS1_3gpuE6ELNS1_3repE0EEENS1_36merge_oddeven_config_static_selectorELNS0_4arch9wavefront6targetE1EEEvSH_,@function
_ZN7rocprim17ROCPRIM_400000_NS6detail17trampoline_kernelINS0_14default_configENS1_38merge_sort_block_merge_config_selectorIilEEZZNS1_27merge_sort_block_merge_implIS3_PiN6thrust23THRUST_200600_302600_NS10device_ptrIlEEjNS1_19radix_merge_compareILb0ELb1EiNS0_19identity_decomposerEEEEE10hipError_tT0_T1_T2_jT3_P12ihipStream_tbPNSt15iterator_traitsISG_E10value_typeEPNSM_ISH_E10value_typeEPSI_NS1_7vsmem_tEENKUlT_SG_SH_SI_E_clIS7_S7_PlSB_EESF_SV_SG_SH_SI_EUlSV_E1_NS1_11comp_targetILNS1_3genE2ELNS1_11target_archE906ELNS1_3gpuE6ELNS1_3repE0EEENS1_36merge_oddeven_config_static_selectorELNS0_4arch9wavefront6targetE1EEEvSH_: ; @_ZN7rocprim17ROCPRIM_400000_NS6detail17trampoline_kernelINS0_14default_configENS1_38merge_sort_block_merge_config_selectorIilEEZZNS1_27merge_sort_block_merge_implIS3_PiN6thrust23THRUST_200600_302600_NS10device_ptrIlEEjNS1_19radix_merge_compareILb0ELb1EiNS0_19identity_decomposerEEEEE10hipError_tT0_T1_T2_jT3_P12ihipStream_tbPNSt15iterator_traitsISG_E10value_typeEPNSM_ISH_E10value_typeEPSI_NS1_7vsmem_tEENKUlT_SG_SH_SI_E_clIS7_S7_PlSB_EESF_SV_SG_SH_SI_EUlSV_E1_NS1_11comp_targetILNS1_3genE2ELNS1_11target_archE906ELNS1_3gpuE6ELNS1_3repE0EEENS1_36merge_oddeven_config_static_selectorELNS0_4arch9wavefront6targetE1EEEvSH_
; %bb.0:
	.section	.rodata,"a",@progbits
	.p2align	6, 0x0
	.amdhsa_kernel _ZN7rocprim17ROCPRIM_400000_NS6detail17trampoline_kernelINS0_14default_configENS1_38merge_sort_block_merge_config_selectorIilEEZZNS1_27merge_sort_block_merge_implIS3_PiN6thrust23THRUST_200600_302600_NS10device_ptrIlEEjNS1_19radix_merge_compareILb0ELb1EiNS0_19identity_decomposerEEEEE10hipError_tT0_T1_T2_jT3_P12ihipStream_tbPNSt15iterator_traitsISG_E10value_typeEPNSM_ISH_E10value_typeEPSI_NS1_7vsmem_tEENKUlT_SG_SH_SI_E_clIS7_S7_PlSB_EESF_SV_SG_SH_SI_EUlSV_E1_NS1_11comp_targetILNS1_3genE2ELNS1_11target_archE906ELNS1_3gpuE6ELNS1_3repE0EEENS1_36merge_oddeven_config_static_selectorELNS0_4arch9wavefront6targetE1EEEvSH_
		.amdhsa_group_segment_fixed_size 0
		.amdhsa_private_segment_fixed_size 0
		.amdhsa_kernarg_size 48
		.amdhsa_user_sgpr_count 6
		.amdhsa_user_sgpr_private_segment_buffer 1
		.amdhsa_user_sgpr_dispatch_ptr 0
		.amdhsa_user_sgpr_queue_ptr 0
		.amdhsa_user_sgpr_kernarg_segment_ptr 1
		.amdhsa_user_sgpr_dispatch_id 0
		.amdhsa_user_sgpr_flat_scratch_init 0
		.amdhsa_user_sgpr_kernarg_preload_length 0
		.amdhsa_user_sgpr_kernarg_preload_offset 0
		.amdhsa_user_sgpr_private_segment_size 0
		.amdhsa_uses_dynamic_stack 0
		.amdhsa_system_sgpr_private_segment_wavefront_offset 0
		.amdhsa_system_sgpr_workgroup_id_x 1
		.amdhsa_system_sgpr_workgroup_id_y 0
		.amdhsa_system_sgpr_workgroup_id_z 0
		.amdhsa_system_sgpr_workgroup_info 0
		.amdhsa_system_vgpr_workitem_id 0
		.amdhsa_next_free_vgpr 1
		.amdhsa_next_free_sgpr 0
		.amdhsa_accum_offset 4
		.amdhsa_reserve_vcc 0
		.amdhsa_reserve_flat_scratch 0
		.amdhsa_float_round_mode_32 0
		.amdhsa_float_round_mode_16_64 0
		.amdhsa_float_denorm_mode_32 3
		.amdhsa_float_denorm_mode_16_64 3
		.amdhsa_dx10_clamp 1
		.amdhsa_ieee_mode 1
		.amdhsa_fp16_overflow 0
		.amdhsa_tg_split 0
		.amdhsa_exception_fp_ieee_invalid_op 0
		.amdhsa_exception_fp_denorm_src 0
		.amdhsa_exception_fp_ieee_div_zero 0
		.amdhsa_exception_fp_ieee_overflow 0
		.amdhsa_exception_fp_ieee_underflow 0
		.amdhsa_exception_fp_ieee_inexact 0
		.amdhsa_exception_int_div_zero 0
	.end_amdhsa_kernel
	.section	.text._ZN7rocprim17ROCPRIM_400000_NS6detail17trampoline_kernelINS0_14default_configENS1_38merge_sort_block_merge_config_selectorIilEEZZNS1_27merge_sort_block_merge_implIS3_PiN6thrust23THRUST_200600_302600_NS10device_ptrIlEEjNS1_19radix_merge_compareILb0ELb1EiNS0_19identity_decomposerEEEEE10hipError_tT0_T1_T2_jT3_P12ihipStream_tbPNSt15iterator_traitsISG_E10value_typeEPNSM_ISH_E10value_typeEPSI_NS1_7vsmem_tEENKUlT_SG_SH_SI_E_clIS7_S7_PlSB_EESF_SV_SG_SH_SI_EUlSV_E1_NS1_11comp_targetILNS1_3genE2ELNS1_11target_archE906ELNS1_3gpuE6ELNS1_3repE0EEENS1_36merge_oddeven_config_static_selectorELNS0_4arch9wavefront6targetE1EEEvSH_,"axG",@progbits,_ZN7rocprim17ROCPRIM_400000_NS6detail17trampoline_kernelINS0_14default_configENS1_38merge_sort_block_merge_config_selectorIilEEZZNS1_27merge_sort_block_merge_implIS3_PiN6thrust23THRUST_200600_302600_NS10device_ptrIlEEjNS1_19radix_merge_compareILb0ELb1EiNS0_19identity_decomposerEEEEE10hipError_tT0_T1_T2_jT3_P12ihipStream_tbPNSt15iterator_traitsISG_E10value_typeEPNSM_ISH_E10value_typeEPSI_NS1_7vsmem_tEENKUlT_SG_SH_SI_E_clIS7_S7_PlSB_EESF_SV_SG_SH_SI_EUlSV_E1_NS1_11comp_targetILNS1_3genE2ELNS1_11target_archE906ELNS1_3gpuE6ELNS1_3repE0EEENS1_36merge_oddeven_config_static_selectorELNS0_4arch9wavefront6targetE1EEEvSH_,comdat
.Lfunc_end821:
	.size	_ZN7rocprim17ROCPRIM_400000_NS6detail17trampoline_kernelINS0_14default_configENS1_38merge_sort_block_merge_config_selectorIilEEZZNS1_27merge_sort_block_merge_implIS3_PiN6thrust23THRUST_200600_302600_NS10device_ptrIlEEjNS1_19radix_merge_compareILb0ELb1EiNS0_19identity_decomposerEEEEE10hipError_tT0_T1_T2_jT3_P12ihipStream_tbPNSt15iterator_traitsISG_E10value_typeEPNSM_ISH_E10value_typeEPSI_NS1_7vsmem_tEENKUlT_SG_SH_SI_E_clIS7_S7_PlSB_EESF_SV_SG_SH_SI_EUlSV_E1_NS1_11comp_targetILNS1_3genE2ELNS1_11target_archE906ELNS1_3gpuE6ELNS1_3repE0EEENS1_36merge_oddeven_config_static_selectorELNS0_4arch9wavefront6targetE1EEEvSH_, .Lfunc_end821-_ZN7rocprim17ROCPRIM_400000_NS6detail17trampoline_kernelINS0_14default_configENS1_38merge_sort_block_merge_config_selectorIilEEZZNS1_27merge_sort_block_merge_implIS3_PiN6thrust23THRUST_200600_302600_NS10device_ptrIlEEjNS1_19radix_merge_compareILb0ELb1EiNS0_19identity_decomposerEEEEE10hipError_tT0_T1_T2_jT3_P12ihipStream_tbPNSt15iterator_traitsISG_E10value_typeEPNSM_ISH_E10value_typeEPSI_NS1_7vsmem_tEENKUlT_SG_SH_SI_E_clIS7_S7_PlSB_EESF_SV_SG_SH_SI_EUlSV_E1_NS1_11comp_targetILNS1_3genE2ELNS1_11target_archE906ELNS1_3gpuE6ELNS1_3repE0EEENS1_36merge_oddeven_config_static_selectorELNS0_4arch9wavefront6targetE1EEEvSH_
                                        ; -- End function
	.section	.AMDGPU.csdata,"",@progbits
; Kernel info:
; codeLenInByte = 0
; NumSgprs: 4
; NumVgprs: 0
; NumAgprs: 0
; TotalNumVgprs: 0
; ScratchSize: 0
; MemoryBound: 0
; FloatMode: 240
; IeeeMode: 1
; LDSByteSize: 0 bytes/workgroup (compile time only)
; SGPRBlocks: 0
; VGPRBlocks: 0
; NumSGPRsForWavesPerEU: 4
; NumVGPRsForWavesPerEU: 1
; AccumOffset: 4
; Occupancy: 8
; WaveLimiterHint : 0
; COMPUTE_PGM_RSRC2:SCRATCH_EN: 0
; COMPUTE_PGM_RSRC2:USER_SGPR: 6
; COMPUTE_PGM_RSRC2:TRAP_HANDLER: 0
; COMPUTE_PGM_RSRC2:TGID_X_EN: 1
; COMPUTE_PGM_RSRC2:TGID_Y_EN: 0
; COMPUTE_PGM_RSRC2:TGID_Z_EN: 0
; COMPUTE_PGM_RSRC2:TIDIG_COMP_CNT: 0
; COMPUTE_PGM_RSRC3_GFX90A:ACCUM_OFFSET: 0
; COMPUTE_PGM_RSRC3_GFX90A:TG_SPLIT: 0
	.section	.text._ZN7rocprim17ROCPRIM_400000_NS6detail17trampoline_kernelINS0_14default_configENS1_38merge_sort_block_merge_config_selectorIilEEZZNS1_27merge_sort_block_merge_implIS3_PiN6thrust23THRUST_200600_302600_NS10device_ptrIlEEjNS1_19radix_merge_compareILb0ELb1EiNS0_19identity_decomposerEEEEE10hipError_tT0_T1_T2_jT3_P12ihipStream_tbPNSt15iterator_traitsISG_E10value_typeEPNSM_ISH_E10value_typeEPSI_NS1_7vsmem_tEENKUlT_SG_SH_SI_E_clIS7_S7_PlSB_EESF_SV_SG_SH_SI_EUlSV_E1_NS1_11comp_targetILNS1_3genE9ELNS1_11target_archE1100ELNS1_3gpuE3ELNS1_3repE0EEENS1_36merge_oddeven_config_static_selectorELNS0_4arch9wavefront6targetE1EEEvSH_,"axG",@progbits,_ZN7rocprim17ROCPRIM_400000_NS6detail17trampoline_kernelINS0_14default_configENS1_38merge_sort_block_merge_config_selectorIilEEZZNS1_27merge_sort_block_merge_implIS3_PiN6thrust23THRUST_200600_302600_NS10device_ptrIlEEjNS1_19radix_merge_compareILb0ELb1EiNS0_19identity_decomposerEEEEE10hipError_tT0_T1_T2_jT3_P12ihipStream_tbPNSt15iterator_traitsISG_E10value_typeEPNSM_ISH_E10value_typeEPSI_NS1_7vsmem_tEENKUlT_SG_SH_SI_E_clIS7_S7_PlSB_EESF_SV_SG_SH_SI_EUlSV_E1_NS1_11comp_targetILNS1_3genE9ELNS1_11target_archE1100ELNS1_3gpuE3ELNS1_3repE0EEENS1_36merge_oddeven_config_static_selectorELNS0_4arch9wavefront6targetE1EEEvSH_,comdat
	.protected	_ZN7rocprim17ROCPRIM_400000_NS6detail17trampoline_kernelINS0_14default_configENS1_38merge_sort_block_merge_config_selectorIilEEZZNS1_27merge_sort_block_merge_implIS3_PiN6thrust23THRUST_200600_302600_NS10device_ptrIlEEjNS1_19radix_merge_compareILb0ELb1EiNS0_19identity_decomposerEEEEE10hipError_tT0_T1_T2_jT3_P12ihipStream_tbPNSt15iterator_traitsISG_E10value_typeEPNSM_ISH_E10value_typeEPSI_NS1_7vsmem_tEENKUlT_SG_SH_SI_E_clIS7_S7_PlSB_EESF_SV_SG_SH_SI_EUlSV_E1_NS1_11comp_targetILNS1_3genE9ELNS1_11target_archE1100ELNS1_3gpuE3ELNS1_3repE0EEENS1_36merge_oddeven_config_static_selectorELNS0_4arch9wavefront6targetE1EEEvSH_ ; -- Begin function _ZN7rocprim17ROCPRIM_400000_NS6detail17trampoline_kernelINS0_14default_configENS1_38merge_sort_block_merge_config_selectorIilEEZZNS1_27merge_sort_block_merge_implIS3_PiN6thrust23THRUST_200600_302600_NS10device_ptrIlEEjNS1_19radix_merge_compareILb0ELb1EiNS0_19identity_decomposerEEEEE10hipError_tT0_T1_T2_jT3_P12ihipStream_tbPNSt15iterator_traitsISG_E10value_typeEPNSM_ISH_E10value_typeEPSI_NS1_7vsmem_tEENKUlT_SG_SH_SI_E_clIS7_S7_PlSB_EESF_SV_SG_SH_SI_EUlSV_E1_NS1_11comp_targetILNS1_3genE9ELNS1_11target_archE1100ELNS1_3gpuE3ELNS1_3repE0EEENS1_36merge_oddeven_config_static_selectorELNS0_4arch9wavefront6targetE1EEEvSH_
	.globl	_ZN7rocprim17ROCPRIM_400000_NS6detail17trampoline_kernelINS0_14default_configENS1_38merge_sort_block_merge_config_selectorIilEEZZNS1_27merge_sort_block_merge_implIS3_PiN6thrust23THRUST_200600_302600_NS10device_ptrIlEEjNS1_19radix_merge_compareILb0ELb1EiNS0_19identity_decomposerEEEEE10hipError_tT0_T1_T2_jT3_P12ihipStream_tbPNSt15iterator_traitsISG_E10value_typeEPNSM_ISH_E10value_typeEPSI_NS1_7vsmem_tEENKUlT_SG_SH_SI_E_clIS7_S7_PlSB_EESF_SV_SG_SH_SI_EUlSV_E1_NS1_11comp_targetILNS1_3genE9ELNS1_11target_archE1100ELNS1_3gpuE3ELNS1_3repE0EEENS1_36merge_oddeven_config_static_selectorELNS0_4arch9wavefront6targetE1EEEvSH_
	.p2align	8
	.type	_ZN7rocprim17ROCPRIM_400000_NS6detail17trampoline_kernelINS0_14default_configENS1_38merge_sort_block_merge_config_selectorIilEEZZNS1_27merge_sort_block_merge_implIS3_PiN6thrust23THRUST_200600_302600_NS10device_ptrIlEEjNS1_19radix_merge_compareILb0ELb1EiNS0_19identity_decomposerEEEEE10hipError_tT0_T1_T2_jT3_P12ihipStream_tbPNSt15iterator_traitsISG_E10value_typeEPNSM_ISH_E10value_typeEPSI_NS1_7vsmem_tEENKUlT_SG_SH_SI_E_clIS7_S7_PlSB_EESF_SV_SG_SH_SI_EUlSV_E1_NS1_11comp_targetILNS1_3genE9ELNS1_11target_archE1100ELNS1_3gpuE3ELNS1_3repE0EEENS1_36merge_oddeven_config_static_selectorELNS0_4arch9wavefront6targetE1EEEvSH_,@function
_ZN7rocprim17ROCPRIM_400000_NS6detail17trampoline_kernelINS0_14default_configENS1_38merge_sort_block_merge_config_selectorIilEEZZNS1_27merge_sort_block_merge_implIS3_PiN6thrust23THRUST_200600_302600_NS10device_ptrIlEEjNS1_19radix_merge_compareILb0ELb1EiNS0_19identity_decomposerEEEEE10hipError_tT0_T1_T2_jT3_P12ihipStream_tbPNSt15iterator_traitsISG_E10value_typeEPNSM_ISH_E10value_typeEPSI_NS1_7vsmem_tEENKUlT_SG_SH_SI_E_clIS7_S7_PlSB_EESF_SV_SG_SH_SI_EUlSV_E1_NS1_11comp_targetILNS1_3genE9ELNS1_11target_archE1100ELNS1_3gpuE3ELNS1_3repE0EEENS1_36merge_oddeven_config_static_selectorELNS0_4arch9wavefront6targetE1EEEvSH_: ; @_ZN7rocprim17ROCPRIM_400000_NS6detail17trampoline_kernelINS0_14default_configENS1_38merge_sort_block_merge_config_selectorIilEEZZNS1_27merge_sort_block_merge_implIS3_PiN6thrust23THRUST_200600_302600_NS10device_ptrIlEEjNS1_19radix_merge_compareILb0ELb1EiNS0_19identity_decomposerEEEEE10hipError_tT0_T1_T2_jT3_P12ihipStream_tbPNSt15iterator_traitsISG_E10value_typeEPNSM_ISH_E10value_typeEPSI_NS1_7vsmem_tEENKUlT_SG_SH_SI_E_clIS7_S7_PlSB_EESF_SV_SG_SH_SI_EUlSV_E1_NS1_11comp_targetILNS1_3genE9ELNS1_11target_archE1100ELNS1_3gpuE3ELNS1_3repE0EEENS1_36merge_oddeven_config_static_selectorELNS0_4arch9wavefront6targetE1EEEvSH_
; %bb.0:
	.section	.rodata,"a",@progbits
	.p2align	6, 0x0
	.amdhsa_kernel _ZN7rocprim17ROCPRIM_400000_NS6detail17trampoline_kernelINS0_14default_configENS1_38merge_sort_block_merge_config_selectorIilEEZZNS1_27merge_sort_block_merge_implIS3_PiN6thrust23THRUST_200600_302600_NS10device_ptrIlEEjNS1_19radix_merge_compareILb0ELb1EiNS0_19identity_decomposerEEEEE10hipError_tT0_T1_T2_jT3_P12ihipStream_tbPNSt15iterator_traitsISG_E10value_typeEPNSM_ISH_E10value_typeEPSI_NS1_7vsmem_tEENKUlT_SG_SH_SI_E_clIS7_S7_PlSB_EESF_SV_SG_SH_SI_EUlSV_E1_NS1_11comp_targetILNS1_3genE9ELNS1_11target_archE1100ELNS1_3gpuE3ELNS1_3repE0EEENS1_36merge_oddeven_config_static_selectorELNS0_4arch9wavefront6targetE1EEEvSH_
		.amdhsa_group_segment_fixed_size 0
		.amdhsa_private_segment_fixed_size 0
		.amdhsa_kernarg_size 48
		.amdhsa_user_sgpr_count 6
		.amdhsa_user_sgpr_private_segment_buffer 1
		.amdhsa_user_sgpr_dispatch_ptr 0
		.amdhsa_user_sgpr_queue_ptr 0
		.amdhsa_user_sgpr_kernarg_segment_ptr 1
		.amdhsa_user_sgpr_dispatch_id 0
		.amdhsa_user_sgpr_flat_scratch_init 0
		.amdhsa_user_sgpr_kernarg_preload_length 0
		.amdhsa_user_sgpr_kernarg_preload_offset 0
		.amdhsa_user_sgpr_private_segment_size 0
		.amdhsa_uses_dynamic_stack 0
		.amdhsa_system_sgpr_private_segment_wavefront_offset 0
		.amdhsa_system_sgpr_workgroup_id_x 1
		.amdhsa_system_sgpr_workgroup_id_y 0
		.amdhsa_system_sgpr_workgroup_id_z 0
		.amdhsa_system_sgpr_workgroup_info 0
		.amdhsa_system_vgpr_workitem_id 0
		.amdhsa_next_free_vgpr 1
		.amdhsa_next_free_sgpr 0
		.amdhsa_accum_offset 4
		.amdhsa_reserve_vcc 0
		.amdhsa_reserve_flat_scratch 0
		.amdhsa_float_round_mode_32 0
		.amdhsa_float_round_mode_16_64 0
		.amdhsa_float_denorm_mode_32 3
		.amdhsa_float_denorm_mode_16_64 3
		.amdhsa_dx10_clamp 1
		.amdhsa_ieee_mode 1
		.amdhsa_fp16_overflow 0
		.amdhsa_tg_split 0
		.amdhsa_exception_fp_ieee_invalid_op 0
		.amdhsa_exception_fp_denorm_src 0
		.amdhsa_exception_fp_ieee_div_zero 0
		.amdhsa_exception_fp_ieee_overflow 0
		.amdhsa_exception_fp_ieee_underflow 0
		.amdhsa_exception_fp_ieee_inexact 0
		.amdhsa_exception_int_div_zero 0
	.end_amdhsa_kernel
	.section	.text._ZN7rocprim17ROCPRIM_400000_NS6detail17trampoline_kernelINS0_14default_configENS1_38merge_sort_block_merge_config_selectorIilEEZZNS1_27merge_sort_block_merge_implIS3_PiN6thrust23THRUST_200600_302600_NS10device_ptrIlEEjNS1_19radix_merge_compareILb0ELb1EiNS0_19identity_decomposerEEEEE10hipError_tT0_T1_T2_jT3_P12ihipStream_tbPNSt15iterator_traitsISG_E10value_typeEPNSM_ISH_E10value_typeEPSI_NS1_7vsmem_tEENKUlT_SG_SH_SI_E_clIS7_S7_PlSB_EESF_SV_SG_SH_SI_EUlSV_E1_NS1_11comp_targetILNS1_3genE9ELNS1_11target_archE1100ELNS1_3gpuE3ELNS1_3repE0EEENS1_36merge_oddeven_config_static_selectorELNS0_4arch9wavefront6targetE1EEEvSH_,"axG",@progbits,_ZN7rocprim17ROCPRIM_400000_NS6detail17trampoline_kernelINS0_14default_configENS1_38merge_sort_block_merge_config_selectorIilEEZZNS1_27merge_sort_block_merge_implIS3_PiN6thrust23THRUST_200600_302600_NS10device_ptrIlEEjNS1_19radix_merge_compareILb0ELb1EiNS0_19identity_decomposerEEEEE10hipError_tT0_T1_T2_jT3_P12ihipStream_tbPNSt15iterator_traitsISG_E10value_typeEPNSM_ISH_E10value_typeEPSI_NS1_7vsmem_tEENKUlT_SG_SH_SI_E_clIS7_S7_PlSB_EESF_SV_SG_SH_SI_EUlSV_E1_NS1_11comp_targetILNS1_3genE9ELNS1_11target_archE1100ELNS1_3gpuE3ELNS1_3repE0EEENS1_36merge_oddeven_config_static_selectorELNS0_4arch9wavefront6targetE1EEEvSH_,comdat
.Lfunc_end822:
	.size	_ZN7rocprim17ROCPRIM_400000_NS6detail17trampoline_kernelINS0_14default_configENS1_38merge_sort_block_merge_config_selectorIilEEZZNS1_27merge_sort_block_merge_implIS3_PiN6thrust23THRUST_200600_302600_NS10device_ptrIlEEjNS1_19radix_merge_compareILb0ELb1EiNS0_19identity_decomposerEEEEE10hipError_tT0_T1_T2_jT3_P12ihipStream_tbPNSt15iterator_traitsISG_E10value_typeEPNSM_ISH_E10value_typeEPSI_NS1_7vsmem_tEENKUlT_SG_SH_SI_E_clIS7_S7_PlSB_EESF_SV_SG_SH_SI_EUlSV_E1_NS1_11comp_targetILNS1_3genE9ELNS1_11target_archE1100ELNS1_3gpuE3ELNS1_3repE0EEENS1_36merge_oddeven_config_static_selectorELNS0_4arch9wavefront6targetE1EEEvSH_, .Lfunc_end822-_ZN7rocprim17ROCPRIM_400000_NS6detail17trampoline_kernelINS0_14default_configENS1_38merge_sort_block_merge_config_selectorIilEEZZNS1_27merge_sort_block_merge_implIS3_PiN6thrust23THRUST_200600_302600_NS10device_ptrIlEEjNS1_19radix_merge_compareILb0ELb1EiNS0_19identity_decomposerEEEEE10hipError_tT0_T1_T2_jT3_P12ihipStream_tbPNSt15iterator_traitsISG_E10value_typeEPNSM_ISH_E10value_typeEPSI_NS1_7vsmem_tEENKUlT_SG_SH_SI_E_clIS7_S7_PlSB_EESF_SV_SG_SH_SI_EUlSV_E1_NS1_11comp_targetILNS1_3genE9ELNS1_11target_archE1100ELNS1_3gpuE3ELNS1_3repE0EEENS1_36merge_oddeven_config_static_selectorELNS0_4arch9wavefront6targetE1EEEvSH_
                                        ; -- End function
	.section	.AMDGPU.csdata,"",@progbits
; Kernel info:
; codeLenInByte = 0
; NumSgprs: 4
; NumVgprs: 0
; NumAgprs: 0
; TotalNumVgprs: 0
; ScratchSize: 0
; MemoryBound: 0
; FloatMode: 240
; IeeeMode: 1
; LDSByteSize: 0 bytes/workgroup (compile time only)
; SGPRBlocks: 0
; VGPRBlocks: 0
; NumSGPRsForWavesPerEU: 4
; NumVGPRsForWavesPerEU: 1
; AccumOffset: 4
; Occupancy: 8
; WaveLimiterHint : 0
; COMPUTE_PGM_RSRC2:SCRATCH_EN: 0
; COMPUTE_PGM_RSRC2:USER_SGPR: 6
; COMPUTE_PGM_RSRC2:TRAP_HANDLER: 0
; COMPUTE_PGM_RSRC2:TGID_X_EN: 1
; COMPUTE_PGM_RSRC2:TGID_Y_EN: 0
; COMPUTE_PGM_RSRC2:TGID_Z_EN: 0
; COMPUTE_PGM_RSRC2:TIDIG_COMP_CNT: 0
; COMPUTE_PGM_RSRC3_GFX90A:ACCUM_OFFSET: 0
; COMPUTE_PGM_RSRC3_GFX90A:TG_SPLIT: 0
	.section	.text._ZN7rocprim17ROCPRIM_400000_NS6detail17trampoline_kernelINS0_14default_configENS1_38merge_sort_block_merge_config_selectorIilEEZZNS1_27merge_sort_block_merge_implIS3_PiN6thrust23THRUST_200600_302600_NS10device_ptrIlEEjNS1_19radix_merge_compareILb0ELb1EiNS0_19identity_decomposerEEEEE10hipError_tT0_T1_T2_jT3_P12ihipStream_tbPNSt15iterator_traitsISG_E10value_typeEPNSM_ISH_E10value_typeEPSI_NS1_7vsmem_tEENKUlT_SG_SH_SI_E_clIS7_S7_PlSB_EESF_SV_SG_SH_SI_EUlSV_E1_NS1_11comp_targetILNS1_3genE8ELNS1_11target_archE1030ELNS1_3gpuE2ELNS1_3repE0EEENS1_36merge_oddeven_config_static_selectorELNS0_4arch9wavefront6targetE1EEEvSH_,"axG",@progbits,_ZN7rocprim17ROCPRIM_400000_NS6detail17trampoline_kernelINS0_14default_configENS1_38merge_sort_block_merge_config_selectorIilEEZZNS1_27merge_sort_block_merge_implIS3_PiN6thrust23THRUST_200600_302600_NS10device_ptrIlEEjNS1_19radix_merge_compareILb0ELb1EiNS0_19identity_decomposerEEEEE10hipError_tT0_T1_T2_jT3_P12ihipStream_tbPNSt15iterator_traitsISG_E10value_typeEPNSM_ISH_E10value_typeEPSI_NS1_7vsmem_tEENKUlT_SG_SH_SI_E_clIS7_S7_PlSB_EESF_SV_SG_SH_SI_EUlSV_E1_NS1_11comp_targetILNS1_3genE8ELNS1_11target_archE1030ELNS1_3gpuE2ELNS1_3repE0EEENS1_36merge_oddeven_config_static_selectorELNS0_4arch9wavefront6targetE1EEEvSH_,comdat
	.protected	_ZN7rocprim17ROCPRIM_400000_NS6detail17trampoline_kernelINS0_14default_configENS1_38merge_sort_block_merge_config_selectorIilEEZZNS1_27merge_sort_block_merge_implIS3_PiN6thrust23THRUST_200600_302600_NS10device_ptrIlEEjNS1_19radix_merge_compareILb0ELb1EiNS0_19identity_decomposerEEEEE10hipError_tT0_T1_T2_jT3_P12ihipStream_tbPNSt15iterator_traitsISG_E10value_typeEPNSM_ISH_E10value_typeEPSI_NS1_7vsmem_tEENKUlT_SG_SH_SI_E_clIS7_S7_PlSB_EESF_SV_SG_SH_SI_EUlSV_E1_NS1_11comp_targetILNS1_3genE8ELNS1_11target_archE1030ELNS1_3gpuE2ELNS1_3repE0EEENS1_36merge_oddeven_config_static_selectorELNS0_4arch9wavefront6targetE1EEEvSH_ ; -- Begin function _ZN7rocprim17ROCPRIM_400000_NS6detail17trampoline_kernelINS0_14default_configENS1_38merge_sort_block_merge_config_selectorIilEEZZNS1_27merge_sort_block_merge_implIS3_PiN6thrust23THRUST_200600_302600_NS10device_ptrIlEEjNS1_19radix_merge_compareILb0ELb1EiNS0_19identity_decomposerEEEEE10hipError_tT0_T1_T2_jT3_P12ihipStream_tbPNSt15iterator_traitsISG_E10value_typeEPNSM_ISH_E10value_typeEPSI_NS1_7vsmem_tEENKUlT_SG_SH_SI_E_clIS7_S7_PlSB_EESF_SV_SG_SH_SI_EUlSV_E1_NS1_11comp_targetILNS1_3genE8ELNS1_11target_archE1030ELNS1_3gpuE2ELNS1_3repE0EEENS1_36merge_oddeven_config_static_selectorELNS0_4arch9wavefront6targetE1EEEvSH_
	.globl	_ZN7rocprim17ROCPRIM_400000_NS6detail17trampoline_kernelINS0_14default_configENS1_38merge_sort_block_merge_config_selectorIilEEZZNS1_27merge_sort_block_merge_implIS3_PiN6thrust23THRUST_200600_302600_NS10device_ptrIlEEjNS1_19radix_merge_compareILb0ELb1EiNS0_19identity_decomposerEEEEE10hipError_tT0_T1_T2_jT3_P12ihipStream_tbPNSt15iterator_traitsISG_E10value_typeEPNSM_ISH_E10value_typeEPSI_NS1_7vsmem_tEENKUlT_SG_SH_SI_E_clIS7_S7_PlSB_EESF_SV_SG_SH_SI_EUlSV_E1_NS1_11comp_targetILNS1_3genE8ELNS1_11target_archE1030ELNS1_3gpuE2ELNS1_3repE0EEENS1_36merge_oddeven_config_static_selectorELNS0_4arch9wavefront6targetE1EEEvSH_
	.p2align	8
	.type	_ZN7rocprim17ROCPRIM_400000_NS6detail17trampoline_kernelINS0_14default_configENS1_38merge_sort_block_merge_config_selectorIilEEZZNS1_27merge_sort_block_merge_implIS3_PiN6thrust23THRUST_200600_302600_NS10device_ptrIlEEjNS1_19radix_merge_compareILb0ELb1EiNS0_19identity_decomposerEEEEE10hipError_tT0_T1_T2_jT3_P12ihipStream_tbPNSt15iterator_traitsISG_E10value_typeEPNSM_ISH_E10value_typeEPSI_NS1_7vsmem_tEENKUlT_SG_SH_SI_E_clIS7_S7_PlSB_EESF_SV_SG_SH_SI_EUlSV_E1_NS1_11comp_targetILNS1_3genE8ELNS1_11target_archE1030ELNS1_3gpuE2ELNS1_3repE0EEENS1_36merge_oddeven_config_static_selectorELNS0_4arch9wavefront6targetE1EEEvSH_,@function
_ZN7rocprim17ROCPRIM_400000_NS6detail17trampoline_kernelINS0_14default_configENS1_38merge_sort_block_merge_config_selectorIilEEZZNS1_27merge_sort_block_merge_implIS3_PiN6thrust23THRUST_200600_302600_NS10device_ptrIlEEjNS1_19radix_merge_compareILb0ELb1EiNS0_19identity_decomposerEEEEE10hipError_tT0_T1_T2_jT3_P12ihipStream_tbPNSt15iterator_traitsISG_E10value_typeEPNSM_ISH_E10value_typeEPSI_NS1_7vsmem_tEENKUlT_SG_SH_SI_E_clIS7_S7_PlSB_EESF_SV_SG_SH_SI_EUlSV_E1_NS1_11comp_targetILNS1_3genE8ELNS1_11target_archE1030ELNS1_3gpuE2ELNS1_3repE0EEENS1_36merge_oddeven_config_static_selectorELNS0_4arch9wavefront6targetE1EEEvSH_: ; @_ZN7rocprim17ROCPRIM_400000_NS6detail17trampoline_kernelINS0_14default_configENS1_38merge_sort_block_merge_config_selectorIilEEZZNS1_27merge_sort_block_merge_implIS3_PiN6thrust23THRUST_200600_302600_NS10device_ptrIlEEjNS1_19radix_merge_compareILb0ELb1EiNS0_19identity_decomposerEEEEE10hipError_tT0_T1_T2_jT3_P12ihipStream_tbPNSt15iterator_traitsISG_E10value_typeEPNSM_ISH_E10value_typeEPSI_NS1_7vsmem_tEENKUlT_SG_SH_SI_E_clIS7_S7_PlSB_EESF_SV_SG_SH_SI_EUlSV_E1_NS1_11comp_targetILNS1_3genE8ELNS1_11target_archE1030ELNS1_3gpuE2ELNS1_3repE0EEENS1_36merge_oddeven_config_static_selectorELNS0_4arch9wavefront6targetE1EEEvSH_
; %bb.0:
	.section	.rodata,"a",@progbits
	.p2align	6, 0x0
	.amdhsa_kernel _ZN7rocprim17ROCPRIM_400000_NS6detail17trampoline_kernelINS0_14default_configENS1_38merge_sort_block_merge_config_selectorIilEEZZNS1_27merge_sort_block_merge_implIS3_PiN6thrust23THRUST_200600_302600_NS10device_ptrIlEEjNS1_19radix_merge_compareILb0ELb1EiNS0_19identity_decomposerEEEEE10hipError_tT0_T1_T2_jT3_P12ihipStream_tbPNSt15iterator_traitsISG_E10value_typeEPNSM_ISH_E10value_typeEPSI_NS1_7vsmem_tEENKUlT_SG_SH_SI_E_clIS7_S7_PlSB_EESF_SV_SG_SH_SI_EUlSV_E1_NS1_11comp_targetILNS1_3genE8ELNS1_11target_archE1030ELNS1_3gpuE2ELNS1_3repE0EEENS1_36merge_oddeven_config_static_selectorELNS0_4arch9wavefront6targetE1EEEvSH_
		.amdhsa_group_segment_fixed_size 0
		.amdhsa_private_segment_fixed_size 0
		.amdhsa_kernarg_size 48
		.amdhsa_user_sgpr_count 6
		.amdhsa_user_sgpr_private_segment_buffer 1
		.amdhsa_user_sgpr_dispatch_ptr 0
		.amdhsa_user_sgpr_queue_ptr 0
		.amdhsa_user_sgpr_kernarg_segment_ptr 1
		.amdhsa_user_sgpr_dispatch_id 0
		.amdhsa_user_sgpr_flat_scratch_init 0
		.amdhsa_user_sgpr_kernarg_preload_length 0
		.amdhsa_user_sgpr_kernarg_preload_offset 0
		.amdhsa_user_sgpr_private_segment_size 0
		.amdhsa_uses_dynamic_stack 0
		.amdhsa_system_sgpr_private_segment_wavefront_offset 0
		.amdhsa_system_sgpr_workgroup_id_x 1
		.amdhsa_system_sgpr_workgroup_id_y 0
		.amdhsa_system_sgpr_workgroup_id_z 0
		.amdhsa_system_sgpr_workgroup_info 0
		.amdhsa_system_vgpr_workitem_id 0
		.amdhsa_next_free_vgpr 1
		.amdhsa_next_free_sgpr 0
		.amdhsa_accum_offset 4
		.amdhsa_reserve_vcc 0
		.amdhsa_reserve_flat_scratch 0
		.amdhsa_float_round_mode_32 0
		.amdhsa_float_round_mode_16_64 0
		.amdhsa_float_denorm_mode_32 3
		.amdhsa_float_denorm_mode_16_64 3
		.amdhsa_dx10_clamp 1
		.amdhsa_ieee_mode 1
		.amdhsa_fp16_overflow 0
		.amdhsa_tg_split 0
		.amdhsa_exception_fp_ieee_invalid_op 0
		.amdhsa_exception_fp_denorm_src 0
		.amdhsa_exception_fp_ieee_div_zero 0
		.amdhsa_exception_fp_ieee_overflow 0
		.amdhsa_exception_fp_ieee_underflow 0
		.amdhsa_exception_fp_ieee_inexact 0
		.amdhsa_exception_int_div_zero 0
	.end_amdhsa_kernel
	.section	.text._ZN7rocprim17ROCPRIM_400000_NS6detail17trampoline_kernelINS0_14default_configENS1_38merge_sort_block_merge_config_selectorIilEEZZNS1_27merge_sort_block_merge_implIS3_PiN6thrust23THRUST_200600_302600_NS10device_ptrIlEEjNS1_19radix_merge_compareILb0ELb1EiNS0_19identity_decomposerEEEEE10hipError_tT0_T1_T2_jT3_P12ihipStream_tbPNSt15iterator_traitsISG_E10value_typeEPNSM_ISH_E10value_typeEPSI_NS1_7vsmem_tEENKUlT_SG_SH_SI_E_clIS7_S7_PlSB_EESF_SV_SG_SH_SI_EUlSV_E1_NS1_11comp_targetILNS1_3genE8ELNS1_11target_archE1030ELNS1_3gpuE2ELNS1_3repE0EEENS1_36merge_oddeven_config_static_selectorELNS0_4arch9wavefront6targetE1EEEvSH_,"axG",@progbits,_ZN7rocprim17ROCPRIM_400000_NS6detail17trampoline_kernelINS0_14default_configENS1_38merge_sort_block_merge_config_selectorIilEEZZNS1_27merge_sort_block_merge_implIS3_PiN6thrust23THRUST_200600_302600_NS10device_ptrIlEEjNS1_19radix_merge_compareILb0ELb1EiNS0_19identity_decomposerEEEEE10hipError_tT0_T1_T2_jT3_P12ihipStream_tbPNSt15iterator_traitsISG_E10value_typeEPNSM_ISH_E10value_typeEPSI_NS1_7vsmem_tEENKUlT_SG_SH_SI_E_clIS7_S7_PlSB_EESF_SV_SG_SH_SI_EUlSV_E1_NS1_11comp_targetILNS1_3genE8ELNS1_11target_archE1030ELNS1_3gpuE2ELNS1_3repE0EEENS1_36merge_oddeven_config_static_selectorELNS0_4arch9wavefront6targetE1EEEvSH_,comdat
.Lfunc_end823:
	.size	_ZN7rocprim17ROCPRIM_400000_NS6detail17trampoline_kernelINS0_14default_configENS1_38merge_sort_block_merge_config_selectorIilEEZZNS1_27merge_sort_block_merge_implIS3_PiN6thrust23THRUST_200600_302600_NS10device_ptrIlEEjNS1_19radix_merge_compareILb0ELb1EiNS0_19identity_decomposerEEEEE10hipError_tT0_T1_T2_jT3_P12ihipStream_tbPNSt15iterator_traitsISG_E10value_typeEPNSM_ISH_E10value_typeEPSI_NS1_7vsmem_tEENKUlT_SG_SH_SI_E_clIS7_S7_PlSB_EESF_SV_SG_SH_SI_EUlSV_E1_NS1_11comp_targetILNS1_3genE8ELNS1_11target_archE1030ELNS1_3gpuE2ELNS1_3repE0EEENS1_36merge_oddeven_config_static_selectorELNS0_4arch9wavefront6targetE1EEEvSH_, .Lfunc_end823-_ZN7rocprim17ROCPRIM_400000_NS6detail17trampoline_kernelINS0_14default_configENS1_38merge_sort_block_merge_config_selectorIilEEZZNS1_27merge_sort_block_merge_implIS3_PiN6thrust23THRUST_200600_302600_NS10device_ptrIlEEjNS1_19radix_merge_compareILb0ELb1EiNS0_19identity_decomposerEEEEE10hipError_tT0_T1_T2_jT3_P12ihipStream_tbPNSt15iterator_traitsISG_E10value_typeEPNSM_ISH_E10value_typeEPSI_NS1_7vsmem_tEENKUlT_SG_SH_SI_E_clIS7_S7_PlSB_EESF_SV_SG_SH_SI_EUlSV_E1_NS1_11comp_targetILNS1_3genE8ELNS1_11target_archE1030ELNS1_3gpuE2ELNS1_3repE0EEENS1_36merge_oddeven_config_static_selectorELNS0_4arch9wavefront6targetE1EEEvSH_
                                        ; -- End function
	.section	.AMDGPU.csdata,"",@progbits
; Kernel info:
; codeLenInByte = 0
; NumSgprs: 4
; NumVgprs: 0
; NumAgprs: 0
; TotalNumVgprs: 0
; ScratchSize: 0
; MemoryBound: 0
; FloatMode: 240
; IeeeMode: 1
; LDSByteSize: 0 bytes/workgroup (compile time only)
; SGPRBlocks: 0
; VGPRBlocks: 0
; NumSGPRsForWavesPerEU: 4
; NumVGPRsForWavesPerEU: 1
; AccumOffset: 4
; Occupancy: 8
; WaveLimiterHint : 0
; COMPUTE_PGM_RSRC2:SCRATCH_EN: 0
; COMPUTE_PGM_RSRC2:USER_SGPR: 6
; COMPUTE_PGM_RSRC2:TRAP_HANDLER: 0
; COMPUTE_PGM_RSRC2:TGID_X_EN: 1
; COMPUTE_PGM_RSRC2:TGID_Y_EN: 0
; COMPUTE_PGM_RSRC2:TGID_Z_EN: 0
; COMPUTE_PGM_RSRC2:TIDIG_COMP_CNT: 0
; COMPUTE_PGM_RSRC3_GFX90A:ACCUM_OFFSET: 0
; COMPUTE_PGM_RSRC3_GFX90A:TG_SPLIT: 0
	.section	.text._ZN7rocprim17ROCPRIM_400000_NS6detail17trampoline_kernelINS0_14default_configENS1_38merge_sort_block_merge_config_selectorIilEEZZNS1_27merge_sort_block_merge_implIS3_PiN6thrust23THRUST_200600_302600_NS10device_ptrIlEEjNS1_19radix_merge_compareILb0ELb1EiNS0_19identity_decomposerEEEEE10hipError_tT0_T1_T2_jT3_P12ihipStream_tbPNSt15iterator_traitsISG_E10value_typeEPNSM_ISH_E10value_typeEPSI_NS1_7vsmem_tEENKUlT_SG_SH_SI_E_clIS7_S7_SB_PlEESF_SV_SG_SH_SI_EUlSV_E_NS1_11comp_targetILNS1_3genE0ELNS1_11target_archE4294967295ELNS1_3gpuE0ELNS1_3repE0EEENS1_48merge_mergepath_partition_config_static_selectorELNS0_4arch9wavefront6targetE1EEEvSH_,"axG",@progbits,_ZN7rocprim17ROCPRIM_400000_NS6detail17trampoline_kernelINS0_14default_configENS1_38merge_sort_block_merge_config_selectorIilEEZZNS1_27merge_sort_block_merge_implIS3_PiN6thrust23THRUST_200600_302600_NS10device_ptrIlEEjNS1_19radix_merge_compareILb0ELb1EiNS0_19identity_decomposerEEEEE10hipError_tT0_T1_T2_jT3_P12ihipStream_tbPNSt15iterator_traitsISG_E10value_typeEPNSM_ISH_E10value_typeEPSI_NS1_7vsmem_tEENKUlT_SG_SH_SI_E_clIS7_S7_SB_PlEESF_SV_SG_SH_SI_EUlSV_E_NS1_11comp_targetILNS1_3genE0ELNS1_11target_archE4294967295ELNS1_3gpuE0ELNS1_3repE0EEENS1_48merge_mergepath_partition_config_static_selectorELNS0_4arch9wavefront6targetE1EEEvSH_,comdat
	.protected	_ZN7rocprim17ROCPRIM_400000_NS6detail17trampoline_kernelINS0_14default_configENS1_38merge_sort_block_merge_config_selectorIilEEZZNS1_27merge_sort_block_merge_implIS3_PiN6thrust23THRUST_200600_302600_NS10device_ptrIlEEjNS1_19radix_merge_compareILb0ELb1EiNS0_19identity_decomposerEEEEE10hipError_tT0_T1_T2_jT3_P12ihipStream_tbPNSt15iterator_traitsISG_E10value_typeEPNSM_ISH_E10value_typeEPSI_NS1_7vsmem_tEENKUlT_SG_SH_SI_E_clIS7_S7_SB_PlEESF_SV_SG_SH_SI_EUlSV_E_NS1_11comp_targetILNS1_3genE0ELNS1_11target_archE4294967295ELNS1_3gpuE0ELNS1_3repE0EEENS1_48merge_mergepath_partition_config_static_selectorELNS0_4arch9wavefront6targetE1EEEvSH_ ; -- Begin function _ZN7rocprim17ROCPRIM_400000_NS6detail17trampoline_kernelINS0_14default_configENS1_38merge_sort_block_merge_config_selectorIilEEZZNS1_27merge_sort_block_merge_implIS3_PiN6thrust23THRUST_200600_302600_NS10device_ptrIlEEjNS1_19radix_merge_compareILb0ELb1EiNS0_19identity_decomposerEEEEE10hipError_tT0_T1_T2_jT3_P12ihipStream_tbPNSt15iterator_traitsISG_E10value_typeEPNSM_ISH_E10value_typeEPSI_NS1_7vsmem_tEENKUlT_SG_SH_SI_E_clIS7_S7_SB_PlEESF_SV_SG_SH_SI_EUlSV_E_NS1_11comp_targetILNS1_3genE0ELNS1_11target_archE4294967295ELNS1_3gpuE0ELNS1_3repE0EEENS1_48merge_mergepath_partition_config_static_selectorELNS0_4arch9wavefront6targetE1EEEvSH_
	.globl	_ZN7rocprim17ROCPRIM_400000_NS6detail17trampoline_kernelINS0_14default_configENS1_38merge_sort_block_merge_config_selectorIilEEZZNS1_27merge_sort_block_merge_implIS3_PiN6thrust23THRUST_200600_302600_NS10device_ptrIlEEjNS1_19radix_merge_compareILb0ELb1EiNS0_19identity_decomposerEEEEE10hipError_tT0_T1_T2_jT3_P12ihipStream_tbPNSt15iterator_traitsISG_E10value_typeEPNSM_ISH_E10value_typeEPSI_NS1_7vsmem_tEENKUlT_SG_SH_SI_E_clIS7_S7_SB_PlEESF_SV_SG_SH_SI_EUlSV_E_NS1_11comp_targetILNS1_3genE0ELNS1_11target_archE4294967295ELNS1_3gpuE0ELNS1_3repE0EEENS1_48merge_mergepath_partition_config_static_selectorELNS0_4arch9wavefront6targetE1EEEvSH_
	.p2align	8
	.type	_ZN7rocprim17ROCPRIM_400000_NS6detail17trampoline_kernelINS0_14default_configENS1_38merge_sort_block_merge_config_selectorIilEEZZNS1_27merge_sort_block_merge_implIS3_PiN6thrust23THRUST_200600_302600_NS10device_ptrIlEEjNS1_19radix_merge_compareILb0ELb1EiNS0_19identity_decomposerEEEEE10hipError_tT0_T1_T2_jT3_P12ihipStream_tbPNSt15iterator_traitsISG_E10value_typeEPNSM_ISH_E10value_typeEPSI_NS1_7vsmem_tEENKUlT_SG_SH_SI_E_clIS7_S7_SB_PlEESF_SV_SG_SH_SI_EUlSV_E_NS1_11comp_targetILNS1_3genE0ELNS1_11target_archE4294967295ELNS1_3gpuE0ELNS1_3repE0EEENS1_48merge_mergepath_partition_config_static_selectorELNS0_4arch9wavefront6targetE1EEEvSH_,@function
_ZN7rocprim17ROCPRIM_400000_NS6detail17trampoline_kernelINS0_14default_configENS1_38merge_sort_block_merge_config_selectorIilEEZZNS1_27merge_sort_block_merge_implIS3_PiN6thrust23THRUST_200600_302600_NS10device_ptrIlEEjNS1_19radix_merge_compareILb0ELb1EiNS0_19identity_decomposerEEEEE10hipError_tT0_T1_T2_jT3_P12ihipStream_tbPNSt15iterator_traitsISG_E10value_typeEPNSM_ISH_E10value_typeEPSI_NS1_7vsmem_tEENKUlT_SG_SH_SI_E_clIS7_S7_SB_PlEESF_SV_SG_SH_SI_EUlSV_E_NS1_11comp_targetILNS1_3genE0ELNS1_11target_archE4294967295ELNS1_3gpuE0ELNS1_3repE0EEENS1_48merge_mergepath_partition_config_static_selectorELNS0_4arch9wavefront6targetE1EEEvSH_: ; @_ZN7rocprim17ROCPRIM_400000_NS6detail17trampoline_kernelINS0_14default_configENS1_38merge_sort_block_merge_config_selectorIilEEZZNS1_27merge_sort_block_merge_implIS3_PiN6thrust23THRUST_200600_302600_NS10device_ptrIlEEjNS1_19radix_merge_compareILb0ELb1EiNS0_19identity_decomposerEEEEE10hipError_tT0_T1_T2_jT3_P12ihipStream_tbPNSt15iterator_traitsISG_E10value_typeEPNSM_ISH_E10value_typeEPSI_NS1_7vsmem_tEENKUlT_SG_SH_SI_E_clIS7_S7_SB_PlEESF_SV_SG_SH_SI_EUlSV_E_NS1_11comp_targetILNS1_3genE0ELNS1_11target_archE4294967295ELNS1_3gpuE0ELNS1_3repE0EEENS1_48merge_mergepath_partition_config_static_selectorELNS0_4arch9wavefront6targetE1EEEvSH_
; %bb.0:
	.section	.rodata,"a",@progbits
	.p2align	6, 0x0
	.amdhsa_kernel _ZN7rocprim17ROCPRIM_400000_NS6detail17trampoline_kernelINS0_14default_configENS1_38merge_sort_block_merge_config_selectorIilEEZZNS1_27merge_sort_block_merge_implIS3_PiN6thrust23THRUST_200600_302600_NS10device_ptrIlEEjNS1_19radix_merge_compareILb0ELb1EiNS0_19identity_decomposerEEEEE10hipError_tT0_T1_T2_jT3_P12ihipStream_tbPNSt15iterator_traitsISG_E10value_typeEPNSM_ISH_E10value_typeEPSI_NS1_7vsmem_tEENKUlT_SG_SH_SI_E_clIS7_S7_SB_PlEESF_SV_SG_SH_SI_EUlSV_E_NS1_11comp_targetILNS1_3genE0ELNS1_11target_archE4294967295ELNS1_3gpuE0ELNS1_3repE0EEENS1_48merge_mergepath_partition_config_static_selectorELNS0_4arch9wavefront6targetE1EEEvSH_
		.amdhsa_group_segment_fixed_size 0
		.amdhsa_private_segment_fixed_size 0
		.amdhsa_kernarg_size 40
		.amdhsa_user_sgpr_count 6
		.amdhsa_user_sgpr_private_segment_buffer 1
		.amdhsa_user_sgpr_dispatch_ptr 0
		.amdhsa_user_sgpr_queue_ptr 0
		.amdhsa_user_sgpr_kernarg_segment_ptr 1
		.amdhsa_user_sgpr_dispatch_id 0
		.amdhsa_user_sgpr_flat_scratch_init 0
		.amdhsa_user_sgpr_kernarg_preload_length 0
		.amdhsa_user_sgpr_kernarg_preload_offset 0
		.amdhsa_user_sgpr_private_segment_size 0
		.amdhsa_uses_dynamic_stack 0
		.amdhsa_system_sgpr_private_segment_wavefront_offset 0
		.amdhsa_system_sgpr_workgroup_id_x 1
		.amdhsa_system_sgpr_workgroup_id_y 0
		.amdhsa_system_sgpr_workgroup_id_z 0
		.amdhsa_system_sgpr_workgroup_info 0
		.amdhsa_system_vgpr_workitem_id 0
		.amdhsa_next_free_vgpr 1
		.amdhsa_next_free_sgpr 0
		.amdhsa_accum_offset 4
		.amdhsa_reserve_vcc 0
		.amdhsa_reserve_flat_scratch 0
		.amdhsa_float_round_mode_32 0
		.amdhsa_float_round_mode_16_64 0
		.amdhsa_float_denorm_mode_32 3
		.amdhsa_float_denorm_mode_16_64 3
		.amdhsa_dx10_clamp 1
		.amdhsa_ieee_mode 1
		.amdhsa_fp16_overflow 0
		.amdhsa_tg_split 0
		.amdhsa_exception_fp_ieee_invalid_op 0
		.amdhsa_exception_fp_denorm_src 0
		.amdhsa_exception_fp_ieee_div_zero 0
		.amdhsa_exception_fp_ieee_overflow 0
		.amdhsa_exception_fp_ieee_underflow 0
		.amdhsa_exception_fp_ieee_inexact 0
		.amdhsa_exception_int_div_zero 0
	.end_amdhsa_kernel
	.section	.text._ZN7rocprim17ROCPRIM_400000_NS6detail17trampoline_kernelINS0_14default_configENS1_38merge_sort_block_merge_config_selectorIilEEZZNS1_27merge_sort_block_merge_implIS3_PiN6thrust23THRUST_200600_302600_NS10device_ptrIlEEjNS1_19radix_merge_compareILb0ELb1EiNS0_19identity_decomposerEEEEE10hipError_tT0_T1_T2_jT3_P12ihipStream_tbPNSt15iterator_traitsISG_E10value_typeEPNSM_ISH_E10value_typeEPSI_NS1_7vsmem_tEENKUlT_SG_SH_SI_E_clIS7_S7_SB_PlEESF_SV_SG_SH_SI_EUlSV_E_NS1_11comp_targetILNS1_3genE0ELNS1_11target_archE4294967295ELNS1_3gpuE0ELNS1_3repE0EEENS1_48merge_mergepath_partition_config_static_selectorELNS0_4arch9wavefront6targetE1EEEvSH_,"axG",@progbits,_ZN7rocprim17ROCPRIM_400000_NS6detail17trampoline_kernelINS0_14default_configENS1_38merge_sort_block_merge_config_selectorIilEEZZNS1_27merge_sort_block_merge_implIS3_PiN6thrust23THRUST_200600_302600_NS10device_ptrIlEEjNS1_19radix_merge_compareILb0ELb1EiNS0_19identity_decomposerEEEEE10hipError_tT0_T1_T2_jT3_P12ihipStream_tbPNSt15iterator_traitsISG_E10value_typeEPNSM_ISH_E10value_typeEPSI_NS1_7vsmem_tEENKUlT_SG_SH_SI_E_clIS7_S7_SB_PlEESF_SV_SG_SH_SI_EUlSV_E_NS1_11comp_targetILNS1_3genE0ELNS1_11target_archE4294967295ELNS1_3gpuE0ELNS1_3repE0EEENS1_48merge_mergepath_partition_config_static_selectorELNS0_4arch9wavefront6targetE1EEEvSH_,comdat
.Lfunc_end824:
	.size	_ZN7rocprim17ROCPRIM_400000_NS6detail17trampoline_kernelINS0_14default_configENS1_38merge_sort_block_merge_config_selectorIilEEZZNS1_27merge_sort_block_merge_implIS3_PiN6thrust23THRUST_200600_302600_NS10device_ptrIlEEjNS1_19radix_merge_compareILb0ELb1EiNS0_19identity_decomposerEEEEE10hipError_tT0_T1_T2_jT3_P12ihipStream_tbPNSt15iterator_traitsISG_E10value_typeEPNSM_ISH_E10value_typeEPSI_NS1_7vsmem_tEENKUlT_SG_SH_SI_E_clIS7_S7_SB_PlEESF_SV_SG_SH_SI_EUlSV_E_NS1_11comp_targetILNS1_3genE0ELNS1_11target_archE4294967295ELNS1_3gpuE0ELNS1_3repE0EEENS1_48merge_mergepath_partition_config_static_selectorELNS0_4arch9wavefront6targetE1EEEvSH_, .Lfunc_end824-_ZN7rocprim17ROCPRIM_400000_NS6detail17trampoline_kernelINS0_14default_configENS1_38merge_sort_block_merge_config_selectorIilEEZZNS1_27merge_sort_block_merge_implIS3_PiN6thrust23THRUST_200600_302600_NS10device_ptrIlEEjNS1_19radix_merge_compareILb0ELb1EiNS0_19identity_decomposerEEEEE10hipError_tT0_T1_T2_jT3_P12ihipStream_tbPNSt15iterator_traitsISG_E10value_typeEPNSM_ISH_E10value_typeEPSI_NS1_7vsmem_tEENKUlT_SG_SH_SI_E_clIS7_S7_SB_PlEESF_SV_SG_SH_SI_EUlSV_E_NS1_11comp_targetILNS1_3genE0ELNS1_11target_archE4294967295ELNS1_3gpuE0ELNS1_3repE0EEENS1_48merge_mergepath_partition_config_static_selectorELNS0_4arch9wavefront6targetE1EEEvSH_
                                        ; -- End function
	.section	.AMDGPU.csdata,"",@progbits
; Kernel info:
; codeLenInByte = 0
; NumSgprs: 4
; NumVgprs: 0
; NumAgprs: 0
; TotalNumVgprs: 0
; ScratchSize: 0
; MemoryBound: 0
; FloatMode: 240
; IeeeMode: 1
; LDSByteSize: 0 bytes/workgroup (compile time only)
; SGPRBlocks: 0
; VGPRBlocks: 0
; NumSGPRsForWavesPerEU: 4
; NumVGPRsForWavesPerEU: 1
; AccumOffset: 4
; Occupancy: 8
; WaveLimiterHint : 0
; COMPUTE_PGM_RSRC2:SCRATCH_EN: 0
; COMPUTE_PGM_RSRC2:USER_SGPR: 6
; COMPUTE_PGM_RSRC2:TRAP_HANDLER: 0
; COMPUTE_PGM_RSRC2:TGID_X_EN: 1
; COMPUTE_PGM_RSRC2:TGID_Y_EN: 0
; COMPUTE_PGM_RSRC2:TGID_Z_EN: 0
; COMPUTE_PGM_RSRC2:TIDIG_COMP_CNT: 0
; COMPUTE_PGM_RSRC3_GFX90A:ACCUM_OFFSET: 0
; COMPUTE_PGM_RSRC3_GFX90A:TG_SPLIT: 0
	.section	.text._ZN7rocprim17ROCPRIM_400000_NS6detail17trampoline_kernelINS0_14default_configENS1_38merge_sort_block_merge_config_selectorIilEEZZNS1_27merge_sort_block_merge_implIS3_PiN6thrust23THRUST_200600_302600_NS10device_ptrIlEEjNS1_19radix_merge_compareILb0ELb1EiNS0_19identity_decomposerEEEEE10hipError_tT0_T1_T2_jT3_P12ihipStream_tbPNSt15iterator_traitsISG_E10value_typeEPNSM_ISH_E10value_typeEPSI_NS1_7vsmem_tEENKUlT_SG_SH_SI_E_clIS7_S7_SB_PlEESF_SV_SG_SH_SI_EUlSV_E_NS1_11comp_targetILNS1_3genE10ELNS1_11target_archE1201ELNS1_3gpuE5ELNS1_3repE0EEENS1_48merge_mergepath_partition_config_static_selectorELNS0_4arch9wavefront6targetE1EEEvSH_,"axG",@progbits,_ZN7rocprim17ROCPRIM_400000_NS6detail17trampoline_kernelINS0_14default_configENS1_38merge_sort_block_merge_config_selectorIilEEZZNS1_27merge_sort_block_merge_implIS3_PiN6thrust23THRUST_200600_302600_NS10device_ptrIlEEjNS1_19radix_merge_compareILb0ELb1EiNS0_19identity_decomposerEEEEE10hipError_tT0_T1_T2_jT3_P12ihipStream_tbPNSt15iterator_traitsISG_E10value_typeEPNSM_ISH_E10value_typeEPSI_NS1_7vsmem_tEENKUlT_SG_SH_SI_E_clIS7_S7_SB_PlEESF_SV_SG_SH_SI_EUlSV_E_NS1_11comp_targetILNS1_3genE10ELNS1_11target_archE1201ELNS1_3gpuE5ELNS1_3repE0EEENS1_48merge_mergepath_partition_config_static_selectorELNS0_4arch9wavefront6targetE1EEEvSH_,comdat
	.protected	_ZN7rocprim17ROCPRIM_400000_NS6detail17trampoline_kernelINS0_14default_configENS1_38merge_sort_block_merge_config_selectorIilEEZZNS1_27merge_sort_block_merge_implIS3_PiN6thrust23THRUST_200600_302600_NS10device_ptrIlEEjNS1_19radix_merge_compareILb0ELb1EiNS0_19identity_decomposerEEEEE10hipError_tT0_T1_T2_jT3_P12ihipStream_tbPNSt15iterator_traitsISG_E10value_typeEPNSM_ISH_E10value_typeEPSI_NS1_7vsmem_tEENKUlT_SG_SH_SI_E_clIS7_S7_SB_PlEESF_SV_SG_SH_SI_EUlSV_E_NS1_11comp_targetILNS1_3genE10ELNS1_11target_archE1201ELNS1_3gpuE5ELNS1_3repE0EEENS1_48merge_mergepath_partition_config_static_selectorELNS0_4arch9wavefront6targetE1EEEvSH_ ; -- Begin function _ZN7rocprim17ROCPRIM_400000_NS6detail17trampoline_kernelINS0_14default_configENS1_38merge_sort_block_merge_config_selectorIilEEZZNS1_27merge_sort_block_merge_implIS3_PiN6thrust23THRUST_200600_302600_NS10device_ptrIlEEjNS1_19radix_merge_compareILb0ELb1EiNS0_19identity_decomposerEEEEE10hipError_tT0_T1_T2_jT3_P12ihipStream_tbPNSt15iterator_traitsISG_E10value_typeEPNSM_ISH_E10value_typeEPSI_NS1_7vsmem_tEENKUlT_SG_SH_SI_E_clIS7_S7_SB_PlEESF_SV_SG_SH_SI_EUlSV_E_NS1_11comp_targetILNS1_3genE10ELNS1_11target_archE1201ELNS1_3gpuE5ELNS1_3repE0EEENS1_48merge_mergepath_partition_config_static_selectorELNS0_4arch9wavefront6targetE1EEEvSH_
	.globl	_ZN7rocprim17ROCPRIM_400000_NS6detail17trampoline_kernelINS0_14default_configENS1_38merge_sort_block_merge_config_selectorIilEEZZNS1_27merge_sort_block_merge_implIS3_PiN6thrust23THRUST_200600_302600_NS10device_ptrIlEEjNS1_19radix_merge_compareILb0ELb1EiNS0_19identity_decomposerEEEEE10hipError_tT0_T1_T2_jT3_P12ihipStream_tbPNSt15iterator_traitsISG_E10value_typeEPNSM_ISH_E10value_typeEPSI_NS1_7vsmem_tEENKUlT_SG_SH_SI_E_clIS7_S7_SB_PlEESF_SV_SG_SH_SI_EUlSV_E_NS1_11comp_targetILNS1_3genE10ELNS1_11target_archE1201ELNS1_3gpuE5ELNS1_3repE0EEENS1_48merge_mergepath_partition_config_static_selectorELNS0_4arch9wavefront6targetE1EEEvSH_
	.p2align	8
	.type	_ZN7rocprim17ROCPRIM_400000_NS6detail17trampoline_kernelINS0_14default_configENS1_38merge_sort_block_merge_config_selectorIilEEZZNS1_27merge_sort_block_merge_implIS3_PiN6thrust23THRUST_200600_302600_NS10device_ptrIlEEjNS1_19radix_merge_compareILb0ELb1EiNS0_19identity_decomposerEEEEE10hipError_tT0_T1_T2_jT3_P12ihipStream_tbPNSt15iterator_traitsISG_E10value_typeEPNSM_ISH_E10value_typeEPSI_NS1_7vsmem_tEENKUlT_SG_SH_SI_E_clIS7_S7_SB_PlEESF_SV_SG_SH_SI_EUlSV_E_NS1_11comp_targetILNS1_3genE10ELNS1_11target_archE1201ELNS1_3gpuE5ELNS1_3repE0EEENS1_48merge_mergepath_partition_config_static_selectorELNS0_4arch9wavefront6targetE1EEEvSH_,@function
_ZN7rocprim17ROCPRIM_400000_NS6detail17trampoline_kernelINS0_14default_configENS1_38merge_sort_block_merge_config_selectorIilEEZZNS1_27merge_sort_block_merge_implIS3_PiN6thrust23THRUST_200600_302600_NS10device_ptrIlEEjNS1_19radix_merge_compareILb0ELb1EiNS0_19identity_decomposerEEEEE10hipError_tT0_T1_T2_jT3_P12ihipStream_tbPNSt15iterator_traitsISG_E10value_typeEPNSM_ISH_E10value_typeEPSI_NS1_7vsmem_tEENKUlT_SG_SH_SI_E_clIS7_S7_SB_PlEESF_SV_SG_SH_SI_EUlSV_E_NS1_11comp_targetILNS1_3genE10ELNS1_11target_archE1201ELNS1_3gpuE5ELNS1_3repE0EEENS1_48merge_mergepath_partition_config_static_selectorELNS0_4arch9wavefront6targetE1EEEvSH_: ; @_ZN7rocprim17ROCPRIM_400000_NS6detail17trampoline_kernelINS0_14default_configENS1_38merge_sort_block_merge_config_selectorIilEEZZNS1_27merge_sort_block_merge_implIS3_PiN6thrust23THRUST_200600_302600_NS10device_ptrIlEEjNS1_19radix_merge_compareILb0ELb1EiNS0_19identity_decomposerEEEEE10hipError_tT0_T1_T2_jT3_P12ihipStream_tbPNSt15iterator_traitsISG_E10value_typeEPNSM_ISH_E10value_typeEPSI_NS1_7vsmem_tEENKUlT_SG_SH_SI_E_clIS7_S7_SB_PlEESF_SV_SG_SH_SI_EUlSV_E_NS1_11comp_targetILNS1_3genE10ELNS1_11target_archE1201ELNS1_3gpuE5ELNS1_3repE0EEENS1_48merge_mergepath_partition_config_static_selectorELNS0_4arch9wavefront6targetE1EEEvSH_
; %bb.0:
	.section	.rodata,"a",@progbits
	.p2align	6, 0x0
	.amdhsa_kernel _ZN7rocprim17ROCPRIM_400000_NS6detail17trampoline_kernelINS0_14default_configENS1_38merge_sort_block_merge_config_selectorIilEEZZNS1_27merge_sort_block_merge_implIS3_PiN6thrust23THRUST_200600_302600_NS10device_ptrIlEEjNS1_19radix_merge_compareILb0ELb1EiNS0_19identity_decomposerEEEEE10hipError_tT0_T1_T2_jT3_P12ihipStream_tbPNSt15iterator_traitsISG_E10value_typeEPNSM_ISH_E10value_typeEPSI_NS1_7vsmem_tEENKUlT_SG_SH_SI_E_clIS7_S7_SB_PlEESF_SV_SG_SH_SI_EUlSV_E_NS1_11comp_targetILNS1_3genE10ELNS1_11target_archE1201ELNS1_3gpuE5ELNS1_3repE0EEENS1_48merge_mergepath_partition_config_static_selectorELNS0_4arch9wavefront6targetE1EEEvSH_
		.amdhsa_group_segment_fixed_size 0
		.amdhsa_private_segment_fixed_size 0
		.amdhsa_kernarg_size 40
		.amdhsa_user_sgpr_count 6
		.amdhsa_user_sgpr_private_segment_buffer 1
		.amdhsa_user_sgpr_dispatch_ptr 0
		.amdhsa_user_sgpr_queue_ptr 0
		.amdhsa_user_sgpr_kernarg_segment_ptr 1
		.amdhsa_user_sgpr_dispatch_id 0
		.amdhsa_user_sgpr_flat_scratch_init 0
		.amdhsa_user_sgpr_kernarg_preload_length 0
		.amdhsa_user_sgpr_kernarg_preload_offset 0
		.amdhsa_user_sgpr_private_segment_size 0
		.amdhsa_uses_dynamic_stack 0
		.amdhsa_system_sgpr_private_segment_wavefront_offset 0
		.amdhsa_system_sgpr_workgroup_id_x 1
		.amdhsa_system_sgpr_workgroup_id_y 0
		.amdhsa_system_sgpr_workgroup_id_z 0
		.amdhsa_system_sgpr_workgroup_info 0
		.amdhsa_system_vgpr_workitem_id 0
		.amdhsa_next_free_vgpr 1
		.amdhsa_next_free_sgpr 0
		.amdhsa_accum_offset 4
		.amdhsa_reserve_vcc 0
		.amdhsa_reserve_flat_scratch 0
		.amdhsa_float_round_mode_32 0
		.amdhsa_float_round_mode_16_64 0
		.amdhsa_float_denorm_mode_32 3
		.amdhsa_float_denorm_mode_16_64 3
		.amdhsa_dx10_clamp 1
		.amdhsa_ieee_mode 1
		.amdhsa_fp16_overflow 0
		.amdhsa_tg_split 0
		.amdhsa_exception_fp_ieee_invalid_op 0
		.amdhsa_exception_fp_denorm_src 0
		.amdhsa_exception_fp_ieee_div_zero 0
		.amdhsa_exception_fp_ieee_overflow 0
		.amdhsa_exception_fp_ieee_underflow 0
		.amdhsa_exception_fp_ieee_inexact 0
		.amdhsa_exception_int_div_zero 0
	.end_amdhsa_kernel
	.section	.text._ZN7rocprim17ROCPRIM_400000_NS6detail17trampoline_kernelINS0_14default_configENS1_38merge_sort_block_merge_config_selectorIilEEZZNS1_27merge_sort_block_merge_implIS3_PiN6thrust23THRUST_200600_302600_NS10device_ptrIlEEjNS1_19radix_merge_compareILb0ELb1EiNS0_19identity_decomposerEEEEE10hipError_tT0_T1_T2_jT3_P12ihipStream_tbPNSt15iterator_traitsISG_E10value_typeEPNSM_ISH_E10value_typeEPSI_NS1_7vsmem_tEENKUlT_SG_SH_SI_E_clIS7_S7_SB_PlEESF_SV_SG_SH_SI_EUlSV_E_NS1_11comp_targetILNS1_3genE10ELNS1_11target_archE1201ELNS1_3gpuE5ELNS1_3repE0EEENS1_48merge_mergepath_partition_config_static_selectorELNS0_4arch9wavefront6targetE1EEEvSH_,"axG",@progbits,_ZN7rocprim17ROCPRIM_400000_NS6detail17trampoline_kernelINS0_14default_configENS1_38merge_sort_block_merge_config_selectorIilEEZZNS1_27merge_sort_block_merge_implIS3_PiN6thrust23THRUST_200600_302600_NS10device_ptrIlEEjNS1_19radix_merge_compareILb0ELb1EiNS0_19identity_decomposerEEEEE10hipError_tT0_T1_T2_jT3_P12ihipStream_tbPNSt15iterator_traitsISG_E10value_typeEPNSM_ISH_E10value_typeEPSI_NS1_7vsmem_tEENKUlT_SG_SH_SI_E_clIS7_S7_SB_PlEESF_SV_SG_SH_SI_EUlSV_E_NS1_11comp_targetILNS1_3genE10ELNS1_11target_archE1201ELNS1_3gpuE5ELNS1_3repE0EEENS1_48merge_mergepath_partition_config_static_selectorELNS0_4arch9wavefront6targetE1EEEvSH_,comdat
.Lfunc_end825:
	.size	_ZN7rocprim17ROCPRIM_400000_NS6detail17trampoline_kernelINS0_14default_configENS1_38merge_sort_block_merge_config_selectorIilEEZZNS1_27merge_sort_block_merge_implIS3_PiN6thrust23THRUST_200600_302600_NS10device_ptrIlEEjNS1_19radix_merge_compareILb0ELb1EiNS0_19identity_decomposerEEEEE10hipError_tT0_T1_T2_jT3_P12ihipStream_tbPNSt15iterator_traitsISG_E10value_typeEPNSM_ISH_E10value_typeEPSI_NS1_7vsmem_tEENKUlT_SG_SH_SI_E_clIS7_S7_SB_PlEESF_SV_SG_SH_SI_EUlSV_E_NS1_11comp_targetILNS1_3genE10ELNS1_11target_archE1201ELNS1_3gpuE5ELNS1_3repE0EEENS1_48merge_mergepath_partition_config_static_selectorELNS0_4arch9wavefront6targetE1EEEvSH_, .Lfunc_end825-_ZN7rocprim17ROCPRIM_400000_NS6detail17trampoline_kernelINS0_14default_configENS1_38merge_sort_block_merge_config_selectorIilEEZZNS1_27merge_sort_block_merge_implIS3_PiN6thrust23THRUST_200600_302600_NS10device_ptrIlEEjNS1_19radix_merge_compareILb0ELb1EiNS0_19identity_decomposerEEEEE10hipError_tT0_T1_T2_jT3_P12ihipStream_tbPNSt15iterator_traitsISG_E10value_typeEPNSM_ISH_E10value_typeEPSI_NS1_7vsmem_tEENKUlT_SG_SH_SI_E_clIS7_S7_SB_PlEESF_SV_SG_SH_SI_EUlSV_E_NS1_11comp_targetILNS1_3genE10ELNS1_11target_archE1201ELNS1_3gpuE5ELNS1_3repE0EEENS1_48merge_mergepath_partition_config_static_selectorELNS0_4arch9wavefront6targetE1EEEvSH_
                                        ; -- End function
	.section	.AMDGPU.csdata,"",@progbits
; Kernel info:
; codeLenInByte = 0
; NumSgprs: 4
; NumVgprs: 0
; NumAgprs: 0
; TotalNumVgprs: 0
; ScratchSize: 0
; MemoryBound: 0
; FloatMode: 240
; IeeeMode: 1
; LDSByteSize: 0 bytes/workgroup (compile time only)
; SGPRBlocks: 0
; VGPRBlocks: 0
; NumSGPRsForWavesPerEU: 4
; NumVGPRsForWavesPerEU: 1
; AccumOffset: 4
; Occupancy: 8
; WaveLimiterHint : 0
; COMPUTE_PGM_RSRC2:SCRATCH_EN: 0
; COMPUTE_PGM_RSRC2:USER_SGPR: 6
; COMPUTE_PGM_RSRC2:TRAP_HANDLER: 0
; COMPUTE_PGM_RSRC2:TGID_X_EN: 1
; COMPUTE_PGM_RSRC2:TGID_Y_EN: 0
; COMPUTE_PGM_RSRC2:TGID_Z_EN: 0
; COMPUTE_PGM_RSRC2:TIDIG_COMP_CNT: 0
; COMPUTE_PGM_RSRC3_GFX90A:ACCUM_OFFSET: 0
; COMPUTE_PGM_RSRC3_GFX90A:TG_SPLIT: 0
	.section	.text._ZN7rocprim17ROCPRIM_400000_NS6detail17trampoline_kernelINS0_14default_configENS1_38merge_sort_block_merge_config_selectorIilEEZZNS1_27merge_sort_block_merge_implIS3_PiN6thrust23THRUST_200600_302600_NS10device_ptrIlEEjNS1_19radix_merge_compareILb0ELb1EiNS0_19identity_decomposerEEEEE10hipError_tT0_T1_T2_jT3_P12ihipStream_tbPNSt15iterator_traitsISG_E10value_typeEPNSM_ISH_E10value_typeEPSI_NS1_7vsmem_tEENKUlT_SG_SH_SI_E_clIS7_S7_SB_PlEESF_SV_SG_SH_SI_EUlSV_E_NS1_11comp_targetILNS1_3genE5ELNS1_11target_archE942ELNS1_3gpuE9ELNS1_3repE0EEENS1_48merge_mergepath_partition_config_static_selectorELNS0_4arch9wavefront6targetE1EEEvSH_,"axG",@progbits,_ZN7rocprim17ROCPRIM_400000_NS6detail17trampoline_kernelINS0_14default_configENS1_38merge_sort_block_merge_config_selectorIilEEZZNS1_27merge_sort_block_merge_implIS3_PiN6thrust23THRUST_200600_302600_NS10device_ptrIlEEjNS1_19radix_merge_compareILb0ELb1EiNS0_19identity_decomposerEEEEE10hipError_tT0_T1_T2_jT3_P12ihipStream_tbPNSt15iterator_traitsISG_E10value_typeEPNSM_ISH_E10value_typeEPSI_NS1_7vsmem_tEENKUlT_SG_SH_SI_E_clIS7_S7_SB_PlEESF_SV_SG_SH_SI_EUlSV_E_NS1_11comp_targetILNS1_3genE5ELNS1_11target_archE942ELNS1_3gpuE9ELNS1_3repE0EEENS1_48merge_mergepath_partition_config_static_selectorELNS0_4arch9wavefront6targetE1EEEvSH_,comdat
	.protected	_ZN7rocprim17ROCPRIM_400000_NS6detail17trampoline_kernelINS0_14default_configENS1_38merge_sort_block_merge_config_selectorIilEEZZNS1_27merge_sort_block_merge_implIS3_PiN6thrust23THRUST_200600_302600_NS10device_ptrIlEEjNS1_19radix_merge_compareILb0ELb1EiNS0_19identity_decomposerEEEEE10hipError_tT0_T1_T2_jT3_P12ihipStream_tbPNSt15iterator_traitsISG_E10value_typeEPNSM_ISH_E10value_typeEPSI_NS1_7vsmem_tEENKUlT_SG_SH_SI_E_clIS7_S7_SB_PlEESF_SV_SG_SH_SI_EUlSV_E_NS1_11comp_targetILNS1_3genE5ELNS1_11target_archE942ELNS1_3gpuE9ELNS1_3repE0EEENS1_48merge_mergepath_partition_config_static_selectorELNS0_4arch9wavefront6targetE1EEEvSH_ ; -- Begin function _ZN7rocprim17ROCPRIM_400000_NS6detail17trampoline_kernelINS0_14default_configENS1_38merge_sort_block_merge_config_selectorIilEEZZNS1_27merge_sort_block_merge_implIS3_PiN6thrust23THRUST_200600_302600_NS10device_ptrIlEEjNS1_19radix_merge_compareILb0ELb1EiNS0_19identity_decomposerEEEEE10hipError_tT0_T1_T2_jT3_P12ihipStream_tbPNSt15iterator_traitsISG_E10value_typeEPNSM_ISH_E10value_typeEPSI_NS1_7vsmem_tEENKUlT_SG_SH_SI_E_clIS7_S7_SB_PlEESF_SV_SG_SH_SI_EUlSV_E_NS1_11comp_targetILNS1_3genE5ELNS1_11target_archE942ELNS1_3gpuE9ELNS1_3repE0EEENS1_48merge_mergepath_partition_config_static_selectorELNS0_4arch9wavefront6targetE1EEEvSH_
	.globl	_ZN7rocprim17ROCPRIM_400000_NS6detail17trampoline_kernelINS0_14default_configENS1_38merge_sort_block_merge_config_selectorIilEEZZNS1_27merge_sort_block_merge_implIS3_PiN6thrust23THRUST_200600_302600_NS10device_ptrIlEEjNS1_19radix_merge_compareILb0ELb1EiNS0_19identity_decomposerEEEEE10hipError_tT0_T1_T2_jT3_P12ihipStream_tbPNSt15iterator_traitsISG_E10value_typeEPNSM_ISH_E10value_typeEPSI_NS1_7vsmem_tEENKUlT_SG_SH_SI_E_clIS7_S7_SB_PlEESF_SV_SG_SH_SI_EUlSV_E_NS1_11comp_targetILNS1_3genE5ELNS1_11target_archE942ELNS1_3gpuE9ELNS1_3repE0EEENS1_48merge_mergepath_partition_config_static_selectorELNS0_4arch9wavefront6targetE1EEEvSH_
	.p2align	8
	.type	_ZN7rocprim17ROCPRIM_400000_NS6detail17trampoline_kernelINS0_14default_configENS1_38merge_sort_block_merge_config_selectorIilEEZZNS1_27merge_sort_block_merge_implIS3_PiN6thrust23THRUST_200600_302600_NS10device_ptrIlEEjNS1_19radix_merge_compareILb0ELb1EiNS0_19identity_decomposerEEEEE10hipError_tT0_T1_T2_jT3_P12ihipStream_tbPNSt15iterator_traitsISG_E10value_typeEPNSM_ISH_E10value_typeEPSI_NS1_7vsmem_tEENKUlT_SG_SH_SI_E_clIS7_S7_SB_PlEESF_SV_SG_SH_SI_EUlSV_E_NS1_11comp_targetILNS1_3genE5ELNS1_11target_archE942ELNS1_3gpuE9ELNS1_3repE0EEENS1_48merge_mergepath_partition_config_static_selectorELNS0_4arch9wavefront6targetE1EEEvSH_,@function
_ZN7rocprim17ROCPRIM_400000_NS6detail17trampoline_kernelINS0_14default_configENS1_38merge_sort_block_merge_config_selectorIilEEZZNS1_27merge_sort_block_merge_implIS3_PiN6thrust23THRUST_200600_302600_NS10device_ptrIlEEjNS1_19radix_merge_compareILb0ELb1EiNS0_19identity_decomposerEEEEE10hipError_tT0_T1_T2_jT3_P12ihipStream_tbPNSt15iterator_traitsISG_E10value_typeEPNSM_ISH_E10value_typeEPSI_NS1_7vsmem_tEENKUlT_SG_SH_SI_E_clIS7_S7_SB_PlEESF_SV_SG_SH_SI_EUlSV_E_NS1_11comp_targetILNS1_3genE5ELNS1_11target_archE942ELNS1_3gpuE9ELNS1_3repE0EEENS1_48merge_mergepath_partition_config_static_selectorELNS0_4arch9wavefront6targetE1EEEvSH_: ; @_ZN7rocprim17ROCPRIM_400000_NS6detail17trampoline_kernelINS0_14default_configENS1_38merge_sort_block_merge_config_selectorIilEEZZNS1_27merge_sort_block_merge_implIS3_PiN6thrust23THRUST_200600_302600_NS10device_ptrIlEEjNS1_19radix_merge_compareILb0ELb1EiNS0_19identity_decomposerEEEEE10hipError_tT0_T1_T2_jT3_P12ihipStream_tbPNSt15iterator_traitsISG_E10value_typeEPNSM_ISH_E10value_typeEPSI_NS1_7vsmem_tEENKUlT_SG_SH_SI_E_clIS7_S7_SB_PlEESF_SV_SG_SH_SI_EUlSV_E_NS1_11comp_targetILNS1_3genE5ELNS1_11target_archE942ELNS1_3gpuE9ELNS1_3repE0EEENS1_48merge_mergepath_partition_config_static_selectorELNS0_4arch9wavefront6targetE1EEEvSH_
; %bb.0:
	.section	.rodata,"a",@progbits
	.p2align	6, 0x0
	.amdhsa_kernel _ZN7rocprim17ROCPRIM_400000_NS6detail17trampoline_kernelINS0_14default_configENS1_38merge_sort_block_merge_config_selectorIilEEZZNS1_27merge_sort_block_merge_implIS3_PiN6thrust23THRUST_200600_302600_NS10device_ptrIlEEjNS1_19radix_merge_compareILb0ELb1EiNS0_19identity_decomposerEEEEE10hipError_tT0_T1_T2_jT3_P12ihipStream_tbPNSt15iterator_traitsISG_E10value_typeEPNSM_ISH_E10value_typeEPSI_NS1_7vsmem_tEENKUlT_SG_SH_SI_E_clIS7_S7_SB_PlEESF_SV_SG_SH_SI_EUlSV_E_NS1_11comp_targetILNS1_3genE5ELNS1_11target_archE942ELNS1_3gpuE9ELNS1_3repE0EEENS1_48merge_mergepath_partition_config_static_selectorELNS0_4arch9wavefront6targetE1EEEvSH_
		.amdhsa_group_segment_fixed_size 0
		.amdhsa_private_segment_fixed_size 0
		.amdhsa_kernarg_size 40
		.amdhsa_user_sgpr_count 6
		.amdhsa_user_sgpr_private_segment_buffer 1
		.amdhsa_user_sgpr_dispatch_ptr 0
		.amdhsa_user_sgpr_queue_ptr 0
		.amdhsa_user_sgpr_kernarg_segment_ptr 1
		.amdhsa_user_sgpr_dispatch_id 0
		.amdhsa_user_sgpr_flat_scratch_init 0
		.amdhsa_user_sgpr_kernarg_preload_length 0
		.amdhsa_user_sgpr_kernarg_preload_offset 0
		.amdhsa_user_sgpr_private_segment_size 0
		.amdhsa_uses_dynamic_stack 0
		.amdhsa_system_sgpr_private_segment_wavefront_offset 0
		.amdhsa_system_sgpr_workgroup_id_x 1
		.amdhsa_system_sgpr_workgroup_id_y 0
		.amdhsa_system_sgpr_workgroup_id_z 0
		.amdhsa_system_sgpr_workgroup_info 0
		.amdhsa_system_vgpr_workitem_id 0
		.amdhsa_next_free_vgpr 1
		.amdhsa_next_free_sgpr 0
		.amdhsa_accum_offset 4
		.amdhsa_reserve_vcc 0
		.amdhsa_reserve_flat_scratch 0
		.amdhsa_float_round_mode_32 0
		.amdhsa_float_round_mode_16_64 0
		.amdhsa_float_denorm_mode_32 3
		.amdhsa_float_denorm_mode_16_64 3
		.amdhsa_dx10_clamp 1
		.amdhsa_ieee_mode 1
		.amdhsa_fp16_overflow 0
		.amdhsa_tg_split 0
		.amdhsa_exception_fp_ieee_invalid_op 0
		.amdhsa_exception_fp_denorm_src 0
		.amdhsa_exception_fp_ieee_div_zero 0
		.amdhsa_exception_fp_ieee_overflow 0
		.amdhsa_exception_fp_ieee_underflow 0
		.amdhsa_exception_fp_ieee_inexact 0
		.amdhsa_exception_int_div_zero 0
	.end_amdhsa_kernel
	.section	.text._ZN7rocprim17ROCPRIM_400000_NS6detail17trampoline_kernelINS0_14default_configENS1_38merge_sort_block_merge_config_selectorIilEEZZNS1_27merge_sort_block_merge_implIS3_PiN6thrust23THRUST_200600_302600_NS10device_ptrIlEEjNS1_19radix_merge_compareILb0ELb1EiNS0_19identity_decomposerEEEEE10hipError_tT0_T1_T2_jT3_P12ihipStream_tbPNSt15iterator_traitsISG_E10value_typeEPNSM_ISH_E10value_typeEPSI_NS1_7vsmem_tEENKUlT_SG_SH_SI_E_clIS7_S7_SB_PlEESF_SV_SG_SH_SI_EUlSV_E_NS1_11comp_targetILNS1_3genE5ELNS1_11target_archE942ELNS1_3gpuE9ELNS1_3repE0EEENS1_48merge_mergepath_partition_config_static_selectorELNS0_4arch9wavefront6targetE1EEEvSH_,"axG",@progbits,_ZN7rocprim17ROCPRIM_400000_NS6detail17trampoline_kernelINS0_14default_configENS1_38merge_sort_block_merge_config_selectorIilEEZZNS1_27merge_sort_block_merge_implIS3_PiN6thrust23THRUST_200600_302600_NS10device_ptrIlEEjNS1_19radix_merge_compareILb0ELb1EiNS0_19identity_decomposerEEEEE10hipError_tT0_T1_T2_jT3_P12ihipStream_tbPNSt15iterator_traitsISG_E10value_typeEPNSM_ISH_E10value_typeEPSI_NS1_7vsmem_tEENKUlT_SG_SH_SI_E_clIS7_S7_SB_PlEESF_SV_SG_SH_SI_EUlSV_E_NS1_11comp_targetILNS1_3genE5ELNS1_11target_archE942ELNS1_3gpuE9ELNS1_3repE0EEENS1_48merge_mergepath_partition_config_static_selectorELNS0_4arch9wavefront6targetE1EEEvSH_,comdat
.Lfunc_end826:
	.size	_ZN7rocprim17ROCPRIM_400000_NS6detail17trampoline_kernelINS0_14default_configENS1_38merge_sort_block_merge_config_selectorIilEEZZNS1_27merge_sort_block_merge_implIS3_PiN6thrust23THRUST_200600_302600_NS10device_ptrIlEEjNS1_19radix_merge_compareILb0ELb1EiNS0_19identity_decomposerEEEEE10hipError_tT0_T1_T2_jT3_P12ihipStream_tbPNSt15iterator_traitsISG_E10value_typeEPNSM_ISH_E10value_typeEPSI_NS1_7vsmem_tEENKUlT_SG_SH_SI_E_clIS7_S7_SB_PlEESF_SV_SG_SH_SI_EUlSV_E_NS1_11comp_targetILNS1_3genE5ELNS1_11target_archE942ELNS1_3gpuE9ELNS1_3repE0EEENS1_48merge_mergepath_partition_config_static_selectorELNS0_4arch9wavefront6targetE1EEEvSH_, .Lfunc_end826-_ZN7rocprim17ROCPRIM_400000_NS6detail17trampoline_kernelINS0_14default_configENS1_38merge_sort_block_merge_config_selectorIilEEZZNS1_27merge_sort_block_merge_implIS3_PiN6thrust23THRUST_200600_302600_NS10device_ptrIlEEjNS1_19radix_merge_compareILb0ELb1EiNS0_19identity_decomposerEEEEE10hipError_tT0_T1_T2_jT3_P12ihipStream_tbPNSt15iterator_traitsISG_E10value_typeEPNSM_ISH_E10value_typeEPSI_NS1_7vsmem_tEENKUlT_SG_SH_SI_E_clIS7_S7_SB_PlEESF_SV_SG_SH_SI_EUlSV_E_NS1_11comp_targetILNS1_3genE5ELNS1_11target_archE942ELNS1_3gpuE9ELNS1_3repE0EEENS1_48merge_mergepath_partition_config_static_selectorELNS0_4arch9wavefront6targetE1EEEvSH_
                                        ; -- End function
	.section	.AMDGPU.csdata,"",@progbits
; Kernel info:
; codeLenInByte = 0
; NumSgprs: 4
; NumVgprs: 0
; NumAgprs: 0
; TotalNumVgprs: 0
; ScratchSize: 0
; MemoryBound: 0
; FloatMode: 240
; IeeeMode: 1
; LDSByteSize: 0 bytes/workgroup (compile time only)
; SGPRBlocks: 0
; VGPRBlocks: 0
; NumSGPRsForWavesPerEU: 4
; NumVGPRsForWavesPerEU: 1
; AccumOffset: 4
; Occupancy: 8
; WaveLimiterHint : 0
; COMPUTE_PGM_RSRC2:SCRATCH_EN: 0
; COMPUTE_PGM_RSRC2:USER_SGPR: 6
; COMPUTE_PGM_RSRC2:TRAP_HANDLER: 0
; COMPUTE_PGM_RSRC2:TGID_X_EN: 1
; COMPUTE_PGM_RSRC2:TGID_Y_EN: 0
; COMPUTE_PGM_RSRC2:TGID_Z_EN: 0
; COMPUTE_PGM_RSRC2:TIDIG_COMP_CNT: 0
; COMPUTE_PGM_RSRC3_GFX90A:ACCUM_OFFSET: 0
; COMPUTE_PGM_RSRC3_GFX90A:TG_SPLIT: 0
	.section	.text._ZN7rocprim17ROCPRIM_400000_NS6detail17trampoline_kernelINS0_14default_configENS1_38merge_sort_block_merge_config_selectorIilEEZZNS1_27merge_sort_block_merge_implIS3_PiN6thrust23THRUST_200600_302600_NS10device_ptrIlEEjNS1_19radix_merge_compareILb0ELb1EiNS0_19identity_decomposerEEEEE10hipError_tT0_T1_T2_jT3_P12ihipStream_tbPNSt15iterator_traitsISG_E10value_typeEPNSM_ISH_E10value_typeEPSI_NS1_7vsmem_tEENKUlT_SG_SH_SI_E_clIS7_S7_SB_PlEESF_SV_SG_SH_SI_EUlSV_E_NS1_11comp_targetILNS1_3genE4ELNS1_11target_archE910ELNS1_3gpuE8ELNS1_3repE0EEENS1_48merge_mergepath_partition_config_static_selectorELNS0_4arch9wavefront6targetE1EEEvSH_,"axG",@progbits,_ZN7rocprim17ROCPRIM_400000_NS6detail17trampoline_kernelINS0_14default_configENS1_38merge_sort_block_merge_config_selectorIilEEZZNS1_27merge_sort_block_merge_implIS3_PiN6thrust23THRUST_200600_302600_NS10device_ptrIlEEjNS1_19radix_merge_compareILb0ELb1EiNS0_19identity_decomposerEEEEE10hipError_tT0_T1_T2_jT3_P12ihipStream_tbPNSt15iterator_traitsISG_E10value_typeEPNSM_ISH_E10value_typeEPSI_NS1_7vsmem_tEENKUlT_SG_SH_SI_E_clIS7_S7_SB_PlEESF_SV_SG_SH_SI_EUlSV_E_NS1_11comp_targetILNS1_3genE4ELNS1_11target_archE910ELNS1_3gpuE8ELNS1_3repE0EEENS1_48merge_mergepath_partition_config_static_selectorELNS0_4arch9wavefront6targetE1EEEvSH_,comdat
	.protected	_ZN7rocprim17ROCPRIM_400000_NS6detail17trampoline_kernelINS0_14default_configENS1_38merge_sort_block_merge_config_selectorIilEEZZNS1_27merge_sort_block_merge_implIS3_PiN6thrust23THRUST_200600_302600_NS10device_ptrIlEEjNS1_19radix_merge_compareILb0ELb1EiNS0_19identity_decomposerEEEEE10hipError_tT0_T1_T2_jT3_P12ihipStream_tbPNSt15iterator_traitsISG_E10value_typeEPNSM_ISH_E10value_typeEPSI_NS1_7vsmem_tEENKUlT_SG_SH_SI_E_clIS7_S7_SB_PlEESF_SV_SG_SH_SI_EUlSV_E_NS1_11comp_targetILNS1_3genE4ELNS1_11target_archE910ELNS1_3gpuE8ELNS1_3repE0EEENS1_48merge_mergepath_partition_config_static_selectorELNS0_4arch9wavefront6targetE1EEEvSH_ ; -- Begin function _ZN7rocprim17ROCPRIM_400000_NS6detail17trampoline_kernelINS0_14default_configENS1_38merge_sort_block_merge_config_selectorIilEEZZNS1_27merge_sort_block_merge_implIS3_PiN6thrust23THRUST_200600_302600_NS10device_ptrIlEEjNS1_19radix_merge_compareILb0ELb1EiNS0_19identity_decomposerEEEEE10hipError_tT0_T1_T2_jT3_P12ihipStream_tbPNSt15iterator_traitsISG_E10value_typeEPNSM_ISH_E10value_typeEPSI_NS1_7vsmem_tEENKUlT_SG_SH_SI_E_clIS7_S7_SB_PlEESF_SV_SG_SH_SI_EUlSV_E_NS1_11comp_targetILNS1_3genE4ELNS1_11target_archE910ELNS1_3gpuE8ELNS1_3repE0EEENS1_48merge_mergepath_partition_config_static_selectorELNS0_4arch9wavefront6targetE1EEEvSH_
	.globl	_ZN7rocprim17ROCPRIM_400000_NS6detail17trampoline_kernelINS0_14default_configENS1_38merge_sort_block_merge_config_selectorIilEEZZNS1_27merge_sort_block_merge_implIS3_PiN6thrust23THRUST_200600_302600_NS10device_ptrIlEEjNS1_19radix_merge_compareILb0ELb1EiNS0_19identity_decomposerEEEEE10hipError_tT0_T1_T2_jT3_P12ihipStream_tbPNSt15iterator_traitsISG_E10value_typeEPNSM_ISH_E10value_typeEPSI_NS1_7vsmem_tEENKUlT_SG_SH_SI_E_clIS7_S7_SB_PlEESF_SV_SG_SH_SI_EUlSV_E_NS1_11comp_targetILNS1_3genE4ELNS1_11target_archE910ELNS1_3gpuE8ELNS1_3repE0EEENS1_48merge_mergepath_partition_config_static_selectorELNS0_4arch9wavefront6targetE1EEEvSH_
	.p2align	8
	.type	_ZN7rocprim17ROCPRIM_400000_NS6detail17trampoline_kernelINS0_14default_configENS1_38merge_sort_block_merge_config_selectorIilEEZZNS1_27merge_sort_block_merge_implIS3_PiN6thrust23THRUST_200600_302600_NS10device_ptrIlEEjNS1_19radix_merge_compareILb0ELb1EiNS0_19identity_decomposerEEEEE10hipError_tT0_T1_T2_jT3_P12ihipStream_tbPNSt15iterator_traitsISG_E10value_typeEPNSM_ISH_E10value_typeEPSI_NS1_7vsmem_tEENKUlT_SG_SH_SI_E_clIS7_S7_SB_PlEESF_SV_SG_SH_SI_EUlSV_E_NS1_11comp_targetILNS1_3genE4ELNS1_11target_archE910ELNS1_3gpuE8ELNS1_3repE0EEENS1_48merge_mergepath_partition_config_static_selectorELNS0_4arch9wavefront6targetE1EEEvSH_,@function
_ZN7rocprim17ROCPRIM_400000_NS6detail17trampoline_kernelINS0_14default_configENS1_38merge_sort_block_merge_config_selectorIilEEZZNS1_27merge_sort_block_merge_implIS3_PiN6thrust23THRUST_200600_302600_NS10device_ptrIlEEjNS1_19radix_merge_compareILb0ELb1EiNS0_19identity_decomposerEEEEE10hipError_tT0_T1_T2_jT3_P12ihipStream_tbPNSt15iterator_traitsISG_E10value_typeEPNSM_ISH_E10value_typeEPSI_NS1_7vsmem_tEENKUlT_SG_SH_SI_E_clIS7_S7_SB_PlEESF_SV_SG_SH_SI_EUlSV_E_NS1_11comp_targetILNS1_3genE4ELNS1_11target_archE910ELNS1_3gpuE8ELNS1_3repE0EEENS1_48merge_mergepath_partition_config_static_selectorELNS0_4arch9wavefront6targetE1EEEvSH_: ; @_ZN7rocprim17ROCPRIM_400000_NS6detail17trampoline_kernelINS0_14default_configENS1_38merge_sort_block_merge_config_selectorIilEEZZNS1_27merge_sort_block_merge_implIS3_PiN6thrust23THRUST_200600_302600_NS10device_ptrIlEEjNS1_19radix_merge_compareILb0ELb1EiNS0_19identity_decomposerEEEEE10hipError_tT0_T1_T2_jT3_P12ihipStream_tbPNSt15iterator_traitsISG_E10value_typeEPNSM_ISH_E10value_typeEPSI_NS1_7vsmem_tEENKUlT_SG_SH_SI_E_clIS7_S7_SB_PlEESF_SV_SG_SH_SI_EUlSV_E_NS1_11comp_targetILNS1_3genE4ELNS1_11target_archE910ELNS1_3gpuE8ELNS1_3repE0EEENS1_48merge_mergepath_partition_config_static_selectorELNS0_4arch9wavefront6targetE1EEEvSH_
; %bb.0:
	s_load_dword s0, s[4:5], 0x0
	v_lshl_or_b32 v0, s6, 7, v0
	s_waitcnt lgkmcnt(0)
	v_cmp_gt_u32_e32 vcc, s0, v0
	s_and_saveexec_b64 s[0:1], vcc
	s_cbranch_execz .LBB827_6
; %bb.1:
	s_load_dwordx2 s[2:3], s[4:5], 0x4
	s_load_dwordx2 s[0:1], s[4:5], 0x20
	s_waitcnt lgkmcnt(0)
	s_lshr_b32 s6, s2, 9
	s_and_b32 s6, s6, 0x7ffffe
	s_add_i32 s7, s6, -1
	s_sub_i32 s6, 0, s6
	v_and_b32_e32 v1, s6, v0
	v_lshlrev_b32_e32 v1, 10, v1
	v_min_u32_e32 v2, s3, v1
	v_add_u32_e32 v1, s2, v1
	v_min_u32_e32 v4, s3, v1
	v_add_u32_e32 v1, s2, v4
	v_and_b32_e32 v3, s7, v0
	v_min_u32_e32 v1, s3, v1
	v_sub_u32_e32 v5, v1, v2
	v_lshlrev_b32_e32 v3, 10, v3
	v_min_u32_e32 v6, v5, v3
	v_sub_u32_e32 v3, v4, v2
	v_sub_u32_e32 v1, v1, v4
	v_sub_u32_e64 v1, v6, v1 clamp
	v_min_u32_e32 v7, v6, v3
	v_cmp_lt_u32_e32 vcc, v1, v7
	s_and_saveexec_b64 s[2:3], vcc
	s_cbranch_execz .LBB827_5
; %bb.2:
	s_load_dwordx2 s[8:9], s[4:5], 0x10
	s_load_dword s6, s[4:5], 0x18
	v_mov_b32_e32 v5, 0
	v_mov_b32_e32 v3, v5
	v_lshlrev_b64 v[8:9], 2, v[2:3]
	s_waitcnt lgkmcnt(0)
	v_mov_b32_e32 v12, s9
	v_add_co_u32_e32 v3, vcc, s8, v8
	v_addc_co_u32_e32 v8, vcc, v12, v9, vcc
	v_lshlrev_b64 v[10:11], 2, v[4:5]
	v_add_co_u32_e32 v9, vcc, s8, v10
	v_addc_co_u32_e32 v10, vcc, v12, v11, vcc
	s_mov_b64 s[4:5], 0
.LBB827_3:                              ; =>This Inner Loop Header: Depth=1
	v_add_u32_e32 v4, v7, v1
	v_lshrrev_b32_e32 v4, 1, v4
	v_lshlrev_b64 v[14:15], 2, v[4:5]
	v_mov_b32_e32 v13, v5
	v_xad_u32 v12, v4, -1, v6
	v_add_co_u32_e32 v14, vcc, v3, v14
	v_addc_co_u32_e32 v15, vcc, v8, v15, vcc
	v_lshlrev_b64 v[12:13], 2, v[12:13]
	v_add_co_u32_e32 v12, vcc, v9, v12
	v_addc_co_u32_e32 v13, vcc, v10, v13, vcc
	global_load_dword v11, v[14:15], off
	global_load_dword v16, v[12:13], off
	v_add_u32_e32 v12, 1, v4
	s_waitcnt vmcnt(1)
	v_and_b32_e32 v11, s6, v11
	s_waitcnt vmcnt(0)
	v_and_b32_e32 v13, s6, v16
	v_cmp_gt_i32_e32 vcc, v11, v13
	v_cndmask_b32_e32 v7, v7, v4, vcc
	v_cndmask_b32_e32 v1, v12, v1, vcc
	v_cmp_ge_u32_e32 vcc, v1, v7
	s_or_b64 s[4:5], vcc, s[4:5]
	s_andn2_b64 exec, exec, s[4:5]
	s_cbranch_execnz .LBB827_3
; %bb.4:
	s_or_b64 exec, exec, s[4:5]
.LBB827_5:
	s_or_b64 exec, exec, s[2:3]
	v_add_u32_e32 v2, v1, v2
	v_mov_b32_e32 v1, 0
	v_lshlrev_b64 v[0:1], 2, v[0:1]
	v_mov_b32_e32 v3, s1
	v_add_co_u32_e32 v0, vcc, s0, v0
	v_addc_co_u32_e32 v1, vcc, v3, v1, vcc
	global_store_dword v[0:1], v2, off
.LBB827_6:
	s_endpgm
	.section	.rodata,"a",@progbits
	.p2align	6, 0x0
	.amdhsa_kernel _ZN7rocprim17ROCPRIM_400000_NS6detail17trampoline_kernelINS0_14default_configENS1_38merge_sort_block_merge_config_selectorIilEEZZNS1_27merge_sort_block_merge_implIS3_PiN6thrust23THRUST_200600_302600_NS10device_ptrIlEEjNS1_19radix_merge_compareILb0ELb1EiNS0_19identity_decomposerEEEEE10hipError_tT0_T1_T2_jT3_P12ihipStream_tbPNSt15iterator_traitsISG_E10value_typeEPNSM_ISH_E10value_typeEPSI_NS1_7vsmem_tEENKUlT_SG_SH_SI_E_clIS7_S7_SB_PlEESF_SV_SG_SH_SI_EUlSV_E_NS1_11comp_targetILNS1_3genE4ELNS1_11target_archE910ELNS1_3gpuE8ELNS1_3repE0EEENS1_48merge_mergepath_partition_config_static_selectorELNS0_4arch9wavefront6targetE1EEEvSH_
		.amdhsa_group_segment_fixed_size 0
		.amdhsa_private_segment_fixed_size 0
		.amdhsa_kernarg_size 40
		.amdhsa_user_sgpr_count 6
		.amdhsa_user_sgpr_private_segment_buffer 1
		.amdhsa_user_sgpr_dispatch_ptr 0
		.amdhsa_user_sgpr_queue_ptr 0
		.amdhsa_user_sgpr_kernarg_segment_ptr 1
		.amdhsa_user_sgpr_dispatch_id 0
		.amdhsa_user_sgpr_flat_scratch_init 0
		.amdhsa_user_sgpr_kernarg_preload_length 0
		.amdhsa_user_sgpr_kernarg_preload_offset 0
		.amdhsa_user_sgpr_private_segment_size 0
		.amdhsa_uses_dynamic_stack 0
		.amdhsa_system_sgpr_private_segment_wavefront_offset 0
		.amdhsa_system_sgpr_workgroup_id_x 1
		.amdhsa_system_sgpr_workgroup_id_y 0
		.amdhsa_system_sgpr_workgroup_id_z 0
		.amdhsa_system_sgpr_workgroup_info 0
		.amdhsa_system_vgpr_workitem_id 0
		.amdhsa_next_free_vgpr 17
		.amdhsa_next_free_sgpr 10
		.amdhsa_accum_offset 20
		.amdhsa_reserve_vcc 1
		.amdhsa_reserve_flat_scratch 0
		.amdhsa_float_round_mode_32 0
		.amdhsa_float_round_mode_16_64 0
		.amdhsa_float_denorm_mode_32 3
		.amdhsa_float_denorm_mode_16_64 3
		.amdhsa_dx10_clamp 1
		.amdhsa_ieee_mode 1
		.amdhsa_fp16_overflow 0
		.amdhsa_tg_split 0
		.amdhsa_exception_fp_ieee_invalid_op 0
		.amdhsa_exception_fp_denorm_src 0
		.amdhsa_exception_fp_ieee_div_zero 0
		.amdhsa_exception_fp_ieee_overflow 0
		.amdhsa_exception_fp_ieee_underflow 0
		.amdhsa_exception_fp_ieee_inexact 0
		.amdhsa_exception_int_div_zero 0
	.end_amdhsa_kernel
	.section	.text._ZN7rocprim17ROCPRIM_400000_NS6detail17trampoline_kernelINS0_14default_configENS1_38merge_sort_block_merge_config_selectorIilEEZZNS1_27merge_sort_block_merge_implIS3_PiN6thrust23THRUST_200600_302600_NS10device_ptrIlEEjNS1_19radix_merge_compareILb0ELb1EiNS0_19identity_decomposerEEEEE10hipError_tT0_T1_T2_jT3_P12ihipStream_tbPNSt15iterator_traitsISG_E10value_typeEPNSM_ISH_E10value_typeEPSI_NS1_7vsmem_tEENKUlT_SG_SH_SI_E_clIS7_S7_SB_PlEESF_SV_SG_SH_SI_EUlSV_E_NS1_11comp_targetILNS1_3genE4ELNS1_11target_archE910ELNS1_3gpuE8ELNS1_3repE0EEENS1_48merge_mergepath_partition_config_static_selectorELNS0_4arch9wavefront6targetE1EEEvSH_,"axG",@progbits,_ZN7rocprim17ROCPRIM_400000_NS6detail17trampoline_kernelINS0_14default_configENS1_38merge_sort_block_merge_config_selectorIilEEZZNS1_27merge_sort_block_merge_implIS3_PiN6thrust23THRUST_200600_302600_NS10device_ptrIlEEjNS1_19radix_merge_compareILb0ELb1EiNS0_19identity_decomposerEEEEE10hipError_tT0_T1_T2_jT3_P12ihipStream_tbPNSt15iterator_traitsISG_E10value_typeEPNSM_ISH_E10value_typeEPSI_NS1_7vsmem_tEENKUlT_SG_SH_SI_E_clIS7_S7_SB_PlEESF_SV_SG_SH_SI_EUlSV_E_NS1_11comp_targetILNS1_3genE4ELNS1_11target_archE910ELNS1_3gpuE8ELNS1_3repE0EEENS1_48merge_mergepath_partition_config_static_selectorELNS0_4arch9wavefront6targetE1EEEvSH_,comdat
.Lfunc_end827:
	.size	_ZN7rocprim17ROCPRIM_400000_NS6detail17trampoline_kernelINS0_14default_configENS1_38merge_sort_block_merge_config_selectorIilEEZZNS1_27merge_sort_block_merge_implIS3_PiN6thrust23THRUST_200600_302600_NS10device_ptrIlEEjNS1_19radix_merge_compareILb0ELb1EiNS0_19identity_decomposerEEEEE10hipError_tT0_T1_T2_jT3_P12ihipStream_tbPNSt15iterator_traitsISG_E10value_typeEPNSM_ISH_E10value_typeEPSI_NS1_7vsmem_tEENKUlT_SG_SH_SI_E_clIS7_S7_SB_PlEESF_SV_SG_SH_SI_EUlSV_E_NS1_11comp_targetILNS1_3genE4ELNS1_11target_archE910ELNS1_3gpuE8ELNS1_3repE0EEENS1_48merge_mergepath_partition_config_static_selectorELNS0_4arch9wavefront6targetE1EEEvSH_, .Lfunc_end827-_ZN7rocprim17ROCPRIM_400000_NS6detail17trampoline_kernelINS0_14default_configENS1_38merge_sort_block_merge_config_selectorIilEEZZNS1_27merge_sort_block_merge_implIS3_PiN6thrust23THRUST_200600_302600_NS10device_ptrIlEEjNS1_19radix_merge_compareILb0ELb1EiNS0_19identity_decomposerEEEEE10hipError_tT0_T1_T2_jT3_P12ihipStream_tbPNSt15iterator_traitsISG_E10value_typeEPNSM_ISH_E10value_typeEPSI_NS1_7vsmem_tEENKUlT_SG_SH_SI_E_clIS7_S7_SB_PlEESF_SV_SG_SH_SI_EUlSV_E_NS1_11comp_targetILNS1_3genE4ELNS1_11target_archE910ELNS1_3gpuE8ELNS1_3repE0EEENS1_48merge_mergepath_partition_config_static_selectorELNS0_4arch9wavefront6targetE1EEEvSH_
                                        ; -- End function
	.section	.AMDGPU.csdata,"",@progbits
; Kernel info:
; codeLenInByte = 380
; NumSgprs: 14
; NumVgprs: 17
; NumAgprs: 0
; TotalNumVgprs: 17
; ScratchSize: 0
; MemoryBound: 0
; FloatMode: 240
; IeeeMode: 1
; LDSByteSize: 0 bytes/workgroup (compile time only)
; SGPRBlocks: 1
; VGPRBlocks: 2
; NumSGPRsForWavesPerEU: 14
; NumVGPRsForWavesPerEU: 17
; AccumOffset: 20
; Occupancy: 8
; WaveLimiterHint : 0
; COMPUTE_PGM_RSRC2:SCRATCH_EN: 0
; COMPUTE_PGM_RSRC2:USER_SGPR: 6
; COMPUTE_PGM_RSRC2:TRAP_HANDLER: 0
; COMPUTE_PGM_RSRC2:TGID_X_EN: 1
; COMPUTE_PGM_RSRC2:TGID_Y_EN: 0
; COMPUTE_PGM_RSRC2:TGID_Z_EN: 0
; COMPUTE_PGM_RSRC2:TIDIG_COMP_CNT: 0
; COMPUTE_PGM_RSRC3_GFX90A:ACCUM_OFFSET: 4
; COMPUTE_PGM_RSRC3_GFX90A:TG_SPLIT: 0
	.section	.text._ZN7rocprim17ROCPRIM_400000_NS6detail17trampoline_kernelINS0_14default_configENS1_38merge_sort_block_merge_config_selectorIilEEZZNS1_27merge_sort_block_merge_implIS3_PiN6thrust23THRUST_200600_302600_NS10device_ptrIlEEjNS1_19radix_merge_compareILb0ELb1EiNS0_19identity_decomposerEEEEE10hipError_tT0_T1_T2_jT3_P12ihipStream_tbPNSt15iterator_traitsISG_E10value_typeEPNSM_ISH_E10value_typeEPSI_NS1_7vsmem_tEENKUlT_SG_SH_SI_E_clIS7_S7_SB_PlEESF_SV_SG_SH_SI_EUlSV_E_NS1_11comp_targetILNS1_3genE3ELNS1_11target_archE908ELNS1_3gpuE7ELNS1_3repE0EEENS1_48merge_mergepath_partition_config_static_selectorELNS0_4arch9wavefront6targetE1EEEvSH_,"axG",@progbits,_ZN7rocprim17ROCPRIM_400000_NS6detail17trampoline_kernelINS0_14default_configENS1_38merge_sort_block_merge_config_selectorIilEEZZNS1_27merge_sort_block_merge_implIS3_PiN6thrust23THRUST_200600_302600_NS10device_ptrIlEEjNS1_19radix_merge_compareILb0ELb1EiNS0_19identity_decomposerEEEEE10hipError_tT0_T1_T2_jT3_P12ihipStream_tbPNSt15iterator_traitsISG_E10value_typeEPNSM_ISH_E10value_typeEPSI_NS1_7vsmem_tEENKUlT_SG_SH_SI_E_clIS7_S7_SB_PlEESF_SV_SG_SH_SI_EUlSV_E_NS1_11comp_targetILNS1_3genE3ELNS1_11target_archE908ELNS1_3gpuE7ELNS1_3repE0EEENS1_48merge_mergepath_partition_config_static_selectorELNS0_4arch9wavefront6targetE1EEEvSH_,comdat
	.protected	_ZN7rocprim17ROCPRIM_400000_NS6detail17trampoline_kernelINS0_14default_configENS1_38merge_sort_block_merge_config_selectorIilEEZZNS1_27merge_sort_block_merge_implIS3_PiN6thrust23THRUST_200600_302600_NS10device_ptrIlEEjNS1_19radix_merge_compareILb0ELb1EiNS0_19identity_decomposerEEEEE10hipError_tT0_T1_T2_jT3_P12ihipStream_tbPNSt15iterator_traitsISG_E10value_typeEPNSM_ISH_E10value_typeEPSI_NS1_7vsmem_tEENKUlT_SG_SH_SI_E_clIS7_S7_SB_PlEESF_SV_SG_SH_SI_EUlSV_E_NS1_11comp_targetILNS1_3genE3ELNS1_11target_archE908ELNS1_3gpuE7ELNS1_3repE0EEENS1_48merge_mergepath_partition_config_static_selectorELNS0_4arch9wavefront6targetE1EEEvSH_ ; -- Begin function _ZN7rocprim17ROCPRIM_400000_NS6detail17trampoline_kernelINS0_14default_configENS1_38merge_sort_block_merge_config_selectorIilEEZZNS1_27merge_sort_block_merge_implIS3_PiN6thrust23THRUST_200600_302600_NS10device_ptrIlEEjNS1_19radix_merge_compareILb0ELb1EiNS0_19identity_decomposerEEEEE10hipError_tT0_T1_T2_jT3_P12ihipStream_tbPNSt15iterator_traitsISG_E10value_typeEPNSM_ISH_E10value_typeEPSI_NS1_7vsmem_tEENKUlT_SG_SH_SI_E_clIS7_S7_SB_PlEESF_SV_SG_SH_SI_EUlSV_E_NS1_11comp_targetILNS1_3genE3ELNS1_11target_archE908ELNS1_3gpuE7ELNS1_3repE0EEENS1_48merge_mergepath_partition_config_static_selectorELNS0_4arch9wavefront6targetE1EEEvSH_
	.globl	_ZN7rocprim17ROCPRIM_400000_NS6detail17trampoline_kernelINS0_14default_configENS1_38merge_sort_block_merge_config_selectorIilEEZZNS1_27merge_sort_block_merge_implIS3_PiN6thrust23THRUST_200600_302600_NS10device_ptrIlEEjNS1_19radix_merge_compareILb0ELb1EiNS0_19identity_decomposerEEEEE10hipError_tT0_T1_T2_jT3_P12ihipStream_tbPNSt15iterator_traitsISG_E10value_typeEPNSM_ISH_E10value_typeEPSI_NS1_7vsmem_tEENKUlT_SG_SH_SI_E_clIS7_S7_SB_PlEESF_SV_SG_SH_SI_EUlSV_E_NS1_11comp_targetILNS1_3genE3ELNS1_11target_archE908ELNS1_3gpuE7ELNS1_3repE0EEENS1_48merge_mergepath_partition_config_static_selectorELNS0_4arch9wavefront6targetE1EEEvSH_
	.p2align	8
	.type	_ZN7rocprim17ROCPRIM_400000_NS6detail17trampoline_kernelINS0_14default_configENS1_38merge_sort_block_merge_config_selectorIilEEZZNS1_27merge_sort_block_merge_implIS3_PiN6thrust23THRUST_200600_302600_NS10device_ptrIlEEjNS1_19radix_merge_compareILb0ELb1EiNS0_19identity_decomposerEEEEE10hipError_tT0_T1_T2_jT3_P12ihipStream_tbPNSt15iterator_traitsISG_E10value_typeEPNSM_ISH_E10value_typeEPSI_NS1_7vsmem_tEENKUlT_SG_SH_SI_E_clIS7_S7_SB_PlEESF_SV_SG_SH_SI_EUlSV_E_NS1_11comp_targetILNS1_3genE3ELNS1_11target_archE908ELNS1_3gpuE7ELNS1_3repE0EEENS1_48merge_mergepath_partition_config_static_selectorELNS0_4arch9wavefront6targetE1EEEvSH_,@function
_ZN7rocprim17ROCPRIM_400000_NS6detail17trampoline_kernelINS0_14default_configENS1_38merge_sort_block_merge_config_selectorIilEEZZNS1_27merge_sort_block_merge_implIS3_PiN6thrust23THRUST_200600_302600_NS10device_ptrIlEEjNS1_19radix_merge_compareILb0ELb1EiNS0_19identity_decomposerEEEEE10hipError_tT0_T1_T2_jT3_P12ihipStream_tbPNSt15iterator_traitsISG_E10value_typeEPNSM_ISH_E10value_typeEPSI_NS1_7vsmem_tEENKUlT_SG_SH_SI_E_clIS7_S7_SB_PlEESF_SV_SG_SH_SI_EUlSV_E_NS1_11comp_targetILNS1_3genE3ELNS1_11target_archE908ELNS1_3gpuE7ELNS1_3repE0EEENS1_48merge_mergepath_partition_config_static_selectorELNS0_4arch9wavefront6targetE1EEEvSH_: ; @_ZN7rocprim17ROCPRIM_400000_NS6detail17trampoline_kernelINS0_14default_configENS1_38merge_sort_block_merge_config_selectorIilEEZZNS1_27merge_sort_block_merge_implIS3_PiN6thrust23THRUST_200600_302600_NS10device_ptrIlEEjNS1_19radix_merge_compareILb0ELb1EiNS0_19identity_decomposerEEEEE10hipError_tT0_T1_T2_jT3_P12ihipStream_tbPNSt15iterator_traitsISG_E10value_typeEPNSM_ISH_E10value_typeEPSI_NS1_7vsmem_tEENKUlT_SG_SH_SI_E_clIS7_S7_SB_PlEESF_SV_SG_SH_SI_EUlSV_E_NS1_11comp_targetILNS1_3genE3ELNS1_11target_archE908ELNS1_3gpuE7ELNS1_3repE0EEENS1_48merge_mergepath_partition_config_static_selectorELNS0_4arch9wavefront6targetE1EEEvSH_
; %bb.0:
	.section	.rodata,"a",@progbits
	.p2align	6, 0x0
	.amdhsa_kernel _ZN7rocprim17ROCPRIM_400000_NS6detail17trampoline_kernelINS0_14default_configENS1_38merge_sort_block_merge_config_selectorIilEEZZNS1_27merge_sort_block_merge_implIS3_PiN6thrust23THRUST_200600_302600_NS10device_ptrIlEEjNS1_19radix_merge_compareILb0ELb1EiNS0_19identity_decomposerEEEEE10hipError_tT0_T1_T2_jT3_P12ihipStream_tbPNSt15iterator_traitsISG_E10value_typeEPNSM_ISH_E10value_typeEPSI_NS1_7vsmem_tEENKUlT_SG_SH_SI_E_clIS7_S7_SB_PlEESF_SV_SG_SH_SI_EUlSV_E_NS1_11comp_targetILNS1_3genE3ELNS1_11target_archE908ELNS1_3gpuE7ELNS1_3repE0EEENS1_48merge_mergepath_partition_config_static_selectorELNS0_4arch9wavefront6targetE1EEEvSH_
		.amdhsa_group_segment_fixed_size 0
		.amdhsa_private_segment_fixed_size 0
		.amdhsa_kernarg_size 40
		.amdhsa_user_sgpr_count 6
		.amdhsa_user_sgpr_private_segment_buffer 1
		.amdhsa_user_sgpr_dispatch_ptr 0
		.amdhsa_user_sgpr_queue_ptr 0
		.amdhsa_user_sgpr_kernarg_segment_ptr 1
		.amdhsa_user_sgpr_dispatch_id 0
		.amdhsa_user_sgpr_flat_scratch_init 0
		.amdhsa_user_sgpr_kernarg_preload_length 0
		.amdhsa_user_sgpr_kernarg_preload_offset 0
		.amdhsa_user_sgpr_private_segment_size 0
		.amdhsa_uses_dynamic_stack 0
		.amdhsa_system_sgpr_private_segment_wavefront_offset 0
		.amdhsa_system_sgpr_workgroup_id_x 1
		.amdhsa_system_sgpr_workgroup_id_y 0
		.amdhsa_system_sgpr_workgroup_id_z 0
		.amdhsa_system_sgpr_workgroup_info 0
		.amdhsa_system_vgpr_workitem_id 0
		.amdhsa_next_free_vgpr 1
		.amdhsa_next_free_sgpr 0
		.amdhsa_accum_offset 4
		.amdhsa_reserve_vcc 0
		.amdhsa_reserve_flat_scratch 0
		.amdhsa_float_round_mode_32 0
		.amdhsa_float_round_mode_16_64 0
		.amdhsa_float_denorm_mode_32 3
		.amdhsa_float_denorm_mode_16_64 3
		.amdhsa_dx10_clamp 1
		.amdhsa_ieee_mode 1
		.amdhsa_fp16_overflow 0
		.amdhsa_tg_split 0
		.amdhsa_exception_fp_ieee_invalid_op 0
		.amdhsa_exception_fp_denorm_src 0
		.amdhsa_exception_fp_ieee_div_zero 0
		.amdhsa_exception_fp_ieee_overflow 0
		.amdhsa_exception_fp_ieee_underflow 0
		.amdhsa_exception_fp_ieee_inexact 0
		.amdhsa_exception_int_div_zero 0
	.end_amdhsa_kernel
	.section	.text._ZN7rocprim17ROCPRIM_400000_NS6detail17trampoline_kernelINS0_14default_configENS1_38merge_sort_block_merge_config_selectorIilEEZZNS1_27merge_sort_block_merge_implIS3_PiN6thrust23THRUST_200600_302600_NS10device_ptrIlEEjNS1_19radix_merge_compareILb0ELb1EiNS0_19identity_decomposerEEEEE10hipError_tT0_T1_T2_jT3_P12ihipStream_tbPNSt15iterator_traitsISG_E10value_typeEPNSM_ISH_E10value_typeEPSI_NS1_7vsmem_tEENKUlT_SG_SH_SI_E_clIS7_S7_SB_PlEESF_SV_SG_SH_SI_EUlSV_E_NS1_11comp_targetILNS1_3genE3ELNS1_11target_archE908ELNS1_3gpuE7ELNS1_3repE0EEENS1_48merge_mergepath_partition_config_static_selectorELNS0_4arch9wavefront6targetE1EEEvSH_,"axG",@progbits,_ZN7rocprim17ROCPRIM_400000_NS6detail17trampoline_kernelINS0_14default_configENS1_38merge_sort_block_merge_config_selectorIilEEZZNS1_27merge_sort_block_merge_implIS3_PiN6thrust23THRUST_200600_302600_NS10device_ptrIlEEjNS1_19radix_merge_compareILb0ELb1EiNS0_19identity_decomposerEEEEE10hipError_tT0_T1_T2_jT3_P12ihipStream_tbPNSt15iterator_traitsISG_E10value_typeEPNSM_ISH_E10value_typeEPSI_NS1_7vsmem_tEENKUlT_SG_SH_SI_E_clIS7_S7_SB_PlEESF_SV_SG_SH_SI_EUlSV_E_NS1_11comp_targetILNS1_3genE3ELNS1_11target_archE908ELNS1_3gpuE7ELNS1_3repE0EEENS1_48merge_mergepath_partition_config_static_selectorELNS0_4arch9wavefront6targetE1EEEvSH_,comdat
.Lfunc_end828:
	.size	_ZN7rocprim17ROCPRIM_400000_NS6detail17trampoline_kernelINS0_14default_configENS1_38merge_sort_block_merge_config_selectorIilEEZZNS1_27merge_sort_block_merge_implIS3_PiN6thrust23THRUST_200600_302600_NS10device_ptrIlEEjNS1_19radix_merge_compareILb0ELb1EiNS0_19identity_decomposerEEEEE10hipError_tT0_T1_T2_jT3_P12ihipStream_tbPNSt15iterator_traitsISG_E10value_typeEPNSM_ISH_E10value_typeEPSI_NS1_7vsmem_tEENKUlT_SG_SH_SI_E_clIS7_S7_SB_PlEESF_SV_SG_SH_SI_EUlSV_E_NS1_11comp_targetILNS1_3genE3ELNS1_11target_archE908ELNS1_3gpuE7ELNS1_3repE0EEENS1_48merge_mergepath_partition_config_static_selectorELNS0_4arch9wavefront6targetE1EEEvSH_, .Lfunc_end828-_ZN7rocprim17ROCPRIM_400000_NS6detail17trampoline_kernelINS0_14default_configENS1_38merge_sort_block_merge_config_selectorIilEEZZNS1_27merge_sort_block_merge_implIS3_PiN6thrust23THRUST_200600_302600_NS10device_ptrIlEEjNS1_19radix_merge_compareILb0ELb1EiNS0_19identity_decomposerEEEEE10hipError_tT0_T1_T2_jT3_P12ihipStream_tbPNSt15iterator_traitsISG_E10value_typeEPNSM_ISH_E10value_typeEPSI_NS1_7vsmem_tEENKUlT_SG_SH_SI_E_clIS7_S7_SB_PlEESF_SV_SG_SH_SI_EUlSV_E_NS1_11comp_targetILNS1_3genE3ELNS1_11target_archE908ELNS1_3gpuE7ELNS1_3repE0EEENS1_48merge_mergepath_partition_config_static_selectorELNS0_4arch9wavefront6targetE1EEEvSH_
                                        ; -- End function
	.section	.AMDGPU.csdata,"",@progbits
; Kernel info:
; codeLenInByte = 0
; NumSgprs: 4
; NumVgprs: 0
; NumAgprs: 0
; TotalNumVgprs: 0
; ScratchSize: 0
; MemoryBound: 0
; FloatMode: 240
; IeeeMode: 1
; LDSByteSize: 0 bytes/workgroup (compile time only)
; SGPRBlocks: 0
; VGPRBlocks: 0
; NumSGPRsForWavesPerEU: 4
; NumVGPRsForWavesPerEU: 1
; AccumOffset: 4
; Occupancy: 8
; WaveLimiterHint : 0
; COMPUTE_PGM_RSRC2:SCRATCH_EN: 0
; COMPUTE_PGM_RSRC2:USER_SGPR: 6
; COMPUTE_PGM_RSRC2:TRAP_HANDLER: 0
; COMPUTE_PGM_RSRC2:TGID_X_EN: 1
; COMPUTE_PGM_RSRC2:TGID_Y_EN: 0
; COMPUTE_PGM_RSRC2:TGID_Z_EN: 0
; COMPUTE_PGM_RSRC2:TIDIG_COMP_CNT: 0
; COMPUTE_PGM_RSRC3_GFX90A:ACCUM_OFFSET: 0
; COMPUTE_PGM_RSRC3_GFX90A:TG_SPLIT: 0
	.section	.text._ZN7rocprim17ROCPRIM_400000_NS6detail17trampoline_kernelINS0_14default_configENS1_38merge_sort_block_merge_config_selectorIilEEZZNS1_27merge_sort_block_merge_implIS3_PiN6thrust23THRUST_200600_302600_NS10device_ptrIlEEjNS1_19radix_merge_compareILb0ELb1EiNS0_19identity_decomposerEEEEE10hipError_tT0_T1_T2_jT3_P12ihipStream_tbPNSt15iterator_traitsISG_E10value_typeEPNSM_ISH_E10value_typeEPSI_NS1_7vsmem_tEENKUlT_SG_SH_SI_E_clIS7_S7_SB_PlEESF_SV_SG_SH_SI_EUlSV_E_NS1_11comp_targetILNS1_3genE2ELNS1_11target_archE906ELNS1_3gpuE6ELNS1_3repE0EEENS1_48merge_mergepath_partition_config_static_selectorELNS0_4arch9wavefront6targetE1EEEvSH_,"axG",@progbits,_ZN7rocprim17ROCPRIM_400000_NS6detail17trampoline_kernelINS0_14default_configENS1_38merge_sort_block_merge_config_selectorIilEEZZNS1_27merge_sort_block_merge_implIS3_PiN6thrust23THRUST_200600_302600_NS10device_ptrIlEEjNS1_19radix_merge_compareILb0ELb1EiNS0_19identity_decomposerEEEEE10hipError_tT0_T1_T2_jT3_P12ihipStream_tbPNSt15iterator_traitsISG_E10value_typeEPNSM_ISH_E10value_typeEPSI_NS1_7vsmem_tEENKUlT_SG_SH_SI_E_clIS7_S7_SB_PlEESF_SV_SG_SH_SI_EUlSV_E_NS1_11comp_targetILNS1_3genE2ELNS1_11target_archE906ELNS1_3gpuE6ELNS1_3repE0EEENS1_48merge_mergepath_partition_config_static_selectorELNS0_4arch9wavefront6targetE1EEEvSH_,comdat
	.protected	_ZN7rocprim17ROCPRIM_400000_NS6detail17trampoline_kernelINS0_14default_configENS1_38merge_sort_block_merge_config_selectorIilEEZZNS1_27merge_sort_block_merge_implIS3_PiN6thrust23THRUST_200600_302600_NS10device_ptrIlEEjNS1_19radix_merge_compareILb0ELb1EiNS0_19identity_decomposerEEEEE10hipError_tT0_T1_T2_jT3_P12ihipStream_tbPNSt15iterator_traitsISG_E10value_typeEPNSM_ISH_E10value_typeEPSI_NS1_7vsmem_tEENKUlT_SG_SH_SI_E_clIS7_S7_SB_PlEESF_SV_SG_SH_SI_EUlSV_E_NS1_11comp_targetILNS1_3genE2ELNS1_11target_archE906ELNS1_3gpuE6ELNS1_3repE0EEENS1_48merge_mergepath_partition_config_static_selectorELNS0_4arch9wavefront6targetE1EEEvSH_ ; -- Begin function _ZN7rocprim17ROCPRIM_400000_NS6detail17trampoline_kernelINS0_14default_configENS1_38merge_sort_block_merge_config_selectorIilEEZZNS1_27merge_sort_block_merge_implIS3_PiN6thrust23THRUST_200600_302600_NS10device_ptrIlEEjNS1_19radix_merge_compareILb0ELb1EiNS0_19identity_decomposerEEEEE10hipError_tT0_T1_T2_jT3_P12ihipStream_tbPNSt15iterator_traitsISG_E10value_typeEPNSM_ISH_E10value_typeEPSI_NS1_7vsmem_tEENKUlT_SG_SH_SI_E_clIS7_S7_SB_PlEESF_SV_SG_SH_SI_EUlSV_E_NS1_11comp_targetILNS1_3genE2ELNS1_11target_archE906ELNS1_3gpuE6ELNS1_3repE0EEENS1_48merge_mergepath_partition_config_static_selectorELNS0_4arch9wavefront6targetE1EEEvSH_
	.globl	_ZN7rocprim17ROCPRIM_400000_NS6detail17trampoline_kernelINS0_14default_configENS1_38merge_sort_block_merge_config_selectorIilEEZZNS1_27merge_sort_block_merge_implIS3_PiN6thrust23THRUST_200600_302600_NS10device_ptrIlEEjNS1_19radix_merge_compareILb0ELb1EiNS0_19identity_decomposerEEEEE10hipError_tT0_T1_T2_jT3_P12ihipStream_tbPNSt15iterator_traitsISG_E10value_typeEPNSM_ISH_E10value_typeEPSI_NS1_7vsmem_tEENKUlT_SG_SH_SI_E_clIS7_S7_SB_PlEESF_SV_SG_SH_SI_EUlSV_E_NS1_11comp_targetILNS1_3genE2ELNS1_11target_archE906ELNS1_3gpuE6ELNS1_3repE0EEENS1_48merge_mergepath_partition_config_static_selectorELNS0_4arch9wavefront6targetE1EEEvSH_
	.p2align	8
	.type	_ZN7rocprim17ROCPRIM_400000_NS6detail17trampoline_kernelINS0_14default_configENS1_38merge_sort_block_merge_config_selectorIilEEZZNS1_27merge_sort_block_merge_implIS3_PiN6thrust23THRUST_200600_302600_NS10device_ptrIlEEjNS1_19radix_merge_compareILb0ELb1EiNS0_19identity_decomposerEEEEE10hipError_tT0_T1_T2_jT3_P12ihipStream_tbPNSt15iterator_traitsISG_E10value_typeEPNSM_ISH_E10value_typeEPSI_NS1_7vsmem_tEENKUlT_SG_SH_SI_E_clIS7_S7_SB_PlEESF_SV_SG_SH_SI_EUlSV_E_NS1_11comp_targetILNS1_3genE2ELNS1_11target_archE906ELNS1_3gpuE6ELNS1_3repE0EEENS1_48merge_mergepath_partition_config_static_selectorELNS0_4arch9wavefront6targetE1EEEvSH_,@function
_ZN7rocprim17ROCPRIM_400000_NS6detail17trampoline_kernelINS0_14default_configENS1_38merge_sort_block_merge_config_selectorIilEEZZNS1_27merge_sort_block_merge_implIS3_PiN6thrust23THRUST_200600_302600_NS10device_ptrIlEEjNS1_19radix_merge_compareILb0ELb1EiNS0_19identity_decomposerEEEEE10hipError_tT0_T1_T2_jT3_P12ihipStream_tbPNSt15iterator_traitsISG_E10value_typeEPNSM_ISH_E10value_typeEPSI_NS1_7vsmem_tEENKUlT_SG_SH_SI_E_clIS7_S7_SB_PlEESF_SV_SG_SH_SI_EUlSV_E_NS1_11comp_targetILNS1_3genE2ELNS1_11target_archE906ELNS1_3gpuE6ELNS1_3repE0EEENS1_48merge_mergepath_partition_config_static_selectorELNS0_4arch9wavefront6targetE1EEEvSH_: ; @_ZN7rocprim17ROCPRIM_400000_NS6detail17trampoline_kernelINS0_14default_configENS1_38merge_sort_block_merge_config_selectorIilEEZZNS1_27merge_sort_block_merge_implIS3_PiN6thrust23THRUST_200600_302600_NS10device_ptrIlEEjNS1_19radix_merge_compareILb0ELb1EiNS0_19identity_decomposerEEEEE10hipError_tT0_T1_T2_jT3_P12ihipStream_tbPNSt15iterator_traitsISG_E10value_typeEPNSM_ISH_E10value_typeEPSI_NS1_7vsmem_tEENKUlT_SG_SH_SI_E_clIS7_S7_SB_PlEESF_SV_SG_SH_SI_EUlSV_E_NS1_11comp_targetILNS1_3genE2ELNS1_11target_archE906ELNS1_3gpuE6ELNS1_3repE0EEENS1_48merge_mergepath_partition_config_static_selectorELNS0_4arch9wavefront6targetE1EEEvSH_
; %bb.0:
	.section	.rodata,"a",@progbits
	.p2align	6, 0x0
	.amdhsa_kernel _ZN7rocprim17ROCPRIM_400000_NS6detail17trampoline_kernelINS0_14default_configENS1_38merge_sort_block_merge_config_selectorIilEEZZNS1_27merge_sort_block_merge_implIS3_PiN6thrust23THRUST_200600_302600_NS10device_ptrIlEEjNS1_19radix_merge_compareILb0ELb1EiNS0_19identity_decomposerEEEEE10hipError_tT0_T1_T2_jT3_P12ihipStream_tbPNSt15iterator_traitsISG_E10value_typeEPNSM_ISH_E10value_typeEPSI_NS1_7vsmem_tEENKUlT_SG_SH_SI_E_clIS7_S7_SB_PlEESF_SV_SG_SH_SI_EUlSV_E_NS1_11comp_targetILNS1_3genE2ELNS1_11target_archE906ELNS1_3gpuE6ELNS1_3repE0EEENS1_48merge_mergepath_partition_config_static_selectorELNS0_4arch9wavefront6targetE1EEEvSH_
		.amdhsa_group_segment_fixed_size 0
		.amdhsa_private_segment_fixed_size 0
		.amdhsa_kernarg_size 40
		.amdhsa_user_sgpr_count 6
		.amdhsa_user_sgpr_private_segment_buffer 1
		.amdhsa_user_sgpr_dispatch_ptr 0
		.amdhsa_user_sgpr_queue_ptr 0
		.amdhsa_user_sgpr_kernarg_segment_ptr 1
		.amdhsa_user_sgpr_dispatch_id 0
		.amdhsa_user_sgpr_flat_scratch_init 0
		.amdhsa_user_sgpr_kernarg_preload_length 0
		.amdhsa_user_sgpr_kernarg_preload_offset 0
		.amdhsa_user_sgpr_private_segment_size 0
		.amdhsa_uses_dynamic_stack 0
		.amdhsa_system_sgpr_private_segment_wavefront_offset 0
		.amdhsa_system_sgpr_workgroup_id_x 1
		.amdhsa_system_sgpr_workgroup_id_y 0
		.amdhsa_system_sgpr_workgroup_id_z 0
		.amdhsa_system_sgpr_workgroup_info 0
		.amdhsa_system_vgpr_workitem_id 0
		.amdhsa_next_free_vgpr 1
		.amdhsa_next_free_sgpr 0
		.amdhsa_accum_offset 4
		.amdhsa_reserve_vcc 0
		.amdhsa_reserve_flat_scratch 0
		.amdhsa_float_round_mode_32 0
		.amdhsa_float_round_mode_16_64 0
		.amdhsa_float_denorm_mode_32 3
		.amdhsa_float_denorm_mode_16_64 3
		.amdhsa_dx10_clamp 1
		.amdhsa_ieee_mode 1
		.amdhsa_fp16_overflow 0
		.amdhsa_tg_split 0
		.amdhsa_exception_fp_ieee_invalid_op 0
		.amdhsa_exception_fp_denorm_src 0
		.amdhsa_exception_fp_ieee_div_zero 0
		.amdhsa_exception_fp_ieee_overflow 0
		.amdhsa_exception_fp_ieee_underflow 0
		.amdhsa_exception_fp_ieee_inexact 0
		.amdhsa_exception_int_div_zero 0
	.end_amdhsa_kernel
	.section	.text._ZN7rocprim17ROCPRIM_400000_NS6detail17trampoline_kernelINS0_14default_configENS1_38merge_sort_block_merge_config_selectorIilEEZZNS1_27merge_sort_block_merge_implIS3_PiN6thrust23THRUST_200600_302600_NS10device_ptrIlEEjNS1_19radix_merge_compareILb0ELb1EiNS0_19identity_decomposerEEEEE10hipError_tT0_T1_T2_jT3_P12ihipStream_tbPNSt15iterator_traitsISG_E10value_typeEPNSM_ISH_E10value_typeEPSI_NS1_7vsmem_tEENKUlT_SG_SH_SI_E_clIS7_S7_SB_PlEESF_SV_SG_SH_SI_EUlSV_E_NS1_11comp_targetILNS1_3genE2ELNS1_11target_archE906ELNS1_3gpuE6ELNS1_3repE0EEENS1_48merge_mergepath_partition_config_static_selectorELNS0_4arch9wavefront6targetE1EEEvSH_,"axG",@progbits,_ZN7rocprim17ROCPRIM_400000_NS6detail17trampoline_kernelINS0_14default_configENS1_38merge_sort_block_merge_config_selectorIilEEZZNS1_27merge_sort_block_merge_implIS3_PiN6thrust23THRUST_200600_302600_NS10device_ptrIlEEjNS1_19radix_merge_compareILb0ELb1EiNS0_19identity_decomposerEEEEE10hipError_tT0_T1_T2_jT3_P12ihipStream_tbPNSt15iterator_traitsISG_E10value_typeEPNSM_ISH_E10value_typeEPSI_NS1_7vsmem_tEENKUlT_SG_SH_SI_E_clIS7_S7_SB_PlEESF_SV_SG_SH_SI_EUlSV_E_NS1_11comp_targetILNS1_3genE2ELNS1_11target_archE906ELNS1_3gpuE6ELNS1_3repE0EEENS1_48merge_mergepath_partition_config_static_selectorELNS0_4arch9wavefront6targetE1EEEvSH_,comdat
.Lfunc_end829:
	.size	_ZN7rocprim17ROCPRIM_400000_NS6detail17trampoline_kernelINS0_14default_configENS1_38merge_sort_block_merge_config_selectorIilEEZZNS1_27merge_sort_block_merge_implIS3_PiN6thrust23THRUST_200600_302600_NS10device_ptrIlEEjNS1_19radix_merge_compareILb0ELb1EiNS0_19identity_decomposerEEEEE10hipError_tT0_T1_T2_jT3_P12ihipStream_tbPNSt15iterator_traitsISG_E10value_typeEPNSM_ISH_E10value_typeEPSI_NS1_7vsmem_tEENKUlT_SG_SH_SI_E_clIS7_S7_SB_PlEESF_SV_SG_SH_SI_EUlSV_E_NS1_11comp_targetILNS1_3genE2ELNS1_11target_archE906ELNS1_3gpuE6ELNS1_3repE0EEENS1_48merge_mergepath_partition_config_static_selectorELNS0_4arch9wavefront6targetE1EEEvSH_, .Lfunc_end829-_ZN7rocprim17ROCPRIM_400000_NS6detail17trampoline_kernelINS0_14default_configENS1_38merge_sort_block_merge_config_selectorIilEEZZNS1_27merge_sort_block_merge_implIS3_PiN6thrust23THRUST_200600_302600_NS10device_ptrIlEEjNS1_19radix_merge_compareILb0ELb1EiNS0_19identity_decomposerEEEEE10hipError_tT0_T1_T2_jT3_P12ihipStream_tbPNSt15iterator_traitsISG_E10value_typeEPNSM_ISH_E10value_typeEPSI_NS1_7vsmem_tEENKUlT_SG_SH_SI_E_clIS7_S7_SB_PlEESF_SV_SG_SH_SI_EUlSV_E_NS1_11comp_targetILNS1_3genE2ELNS1_11target_archE906ELNS1_3gpuE6ELNS1_3repE0EEENS1_48merge_mergepath_partition_config_static_selectorELNS0_4arch9wavefront6targetE1EEEvSH_
                                        ; -- End function
	.section	.AMDGPU.csdata,"",@progbits
; Kernel info:
; codeLenInByte = 0
; NumSgprs: 4
; NumVgprs: 0
; NumAgprs: 0
; TotalNumVgprs: 0
; ScratchSize: 0
; MemoryBound: 0
; FloatMode: 240
; IeeeMode: 1
; LDSByteSize: 0 bytes/workgroup (compile time only)
; SGPRBlocks: 0
; VGPRBlocks: 0
; NumSGPRsForWavesPerEU: 4
; NumVGPRsForWavesPerEU: 1
; AccumOffset: 4
; Occupancy: 8
; WaveLimiterHint : 0
; COMPUTE_PGM_RSRC2:SCRATCH_EN: 0
; COMPUTE_PGM_RSRC2:USER_SGPR: 6
; COMPUTE_PGM_RSRC2:TRAP_HANDLER: 0
; COMPUTE_PGM_RSRC2:TGID_X_EN: 1
; COMPUTE_PGM_RSRC2:TGID_Y_EN: 0
; COMPUTE_PGM_RSRC2:TGID_Z_EN: 0
; COMPUTE_PGM_RSRC2:TIDIG_COMP_CNT: 0
; COMPUTE_PGM_RSRC3_GFX90A:ACCUM_OFFSET: 0
; COMPUTE_PGM_RSRC3_GFX90A:TG_SPLIT: 0
	.section	.text._ZN7rocprim17ROCPRIM_400000_NS6detail17trampoline_kernelINS0_14default_configENS1_38merge_sort_block_merge_config_selectorIilEEZZNS1_27merge_sort_block_merge_implIS3_PiN6thrust23THRUST_200600_302600_NS10device_ptrIlEEjNS1_19radix_merge_compareILb0ELb1EiNS0_19identity_decomposerEEEEE10hipError_tT0_T1_T2_jT3_P12ihipStream_tbPNSt15iterator_traitsISG_E10value_typeEPNSM_ISH_E10value_typeEPSI_NS1_7vsmem_tEENKUlT_SG_SH_SI_E_clIS7_S7_SB_PlEESF_SV_SG_SH_SI_EUlSV_E_NS1_11comp_targetILNS1_3genE9ELNS1_11target_archE1100ELNS1_3gpuE3ELNS1_3repE0EEENS1_48merge_mergepath_partition_config_static_selectorELNS0_4arch9wavefront6targetE1EEEvSH_,"axG",@progbits,_ZN7rocprim17ROCPRIM_400000_NS6detail17trampoline_kernelINS0_14default_configENS1_38merge_sort_block_merge_config_selectorIilEEZZNS1_27merge_sort_block_merge_implIS3_PiN6thrust23THRUST_200600_302600_NS10device_ptrIlEEjNS1_19radix_merge_compareILb0ELb1EiNS0_19identity_decomposerEEEEE10hipError_tT0_T1_T2_jT3_P12ihipStream_tbPNSt15iterator_traitsISG_E10value_typeEPNSM_ISH_E10value_typeEPSI_NS1_7vsmem_tEENKUlT_SG_SH_SI_E_clIS7_S7_SB_PlEESF_SV_SG_SH_SI_EUlSV_E_NS1_11comp_targetILNS1_3genE9ELNS1_11target_archE1100ELNS1_3gpuE3ELNS1_3repE0EEENS1_48merge_mergepath_partition_config_static_selectorELNS0_4arch9wavefront6targetE1EEEvSH_,comdat
	.protected	_ZN7rocprim17ROCPRIM_400000_NS6detail17trampoline_kernelINS0_14default_configENS1_38merge_sort_block_merge_config_selectorIilEEZZNS1_27merge_sort_block_merge_implIS3_PiN6thrust23THRUST_200600_302600_NS10device_ptrIlEEjNS1_19radix_merge_compareILb0ELb1EiNS0_19identity_decomposerEEEEE10hipError_tT0_T1_T2_jT3_P12ihipStream_tbPNSt15iterator_traitsISG_E10value_typeEPNSM_ISH_E10value_typeEPSI_NS1_7vsmem_tEENKUlT_SG_SH_SI_E_clIS7_S7_SB_PlEESF_SV_SG_SH_SI_EUlSV_E_NS1_11comp_targetILNS1_3genE9ELNS1_11target_archE1100ELNS1_3gpuE3ELNS1_3repE0EEENS1_48merge_mergepath_partition_config_static_selectorELNS0_4arch9wavefront6targetE1EEEvSH_ ; -- Begin function _ZN7rocprim17ROCPRIM_400000_NS6detail17trampoline_kernelINS0_14default_configENS1_38merge_sort_block_merge_config_selectorIilEEZZNS1_27merge_sort_block_merge_implIS3_PiN6thrust23THRUST_200600_302600_NS10device_ptrIlEEjNS1_19radix_merge_compareILb0ELb1EiNS0_19identity_decomposerEEEEE10hipError_tT0_T1_T2_jT3_P12ihipStream_tbPNSt15iterator_traitsISG_E10value_typeEPNSM_ISH_E10value_typeEPSI_NS1_7vsmem_tEENKUlT_SG_SH_SI_E_clIS7_S7_SB_PlEESF_SV_SG_SH_SI_EUlSV_E_NS1_11comp_targetILNS1_3genE9ELNS1_11target_archE1100ELNS1_3gpuE3ELNS1_3repE0EEENS1_48merge_mergepath_partition_config_static_selectorELNS0_4arch9wavefront6targetE1EEEvSH_
	.globl	_ZN7rocprim17ROCPRIM_400000_NS6detail17trampoline_kernelINS0_14default_configENS1_38merge_sort_block_merge_config_selectorIilEEZZNS1_27merge_sort_block_merge_implIS3_PiN6thrust23THRUST_200600_302600_NS10device_ptrIlEEjNS1_19radix_merge_compareILb0ELb1EiNS0_19identity_decomposerEEEEE10hipError_tT0_T1_T2_jT3_P12ihipStream_tbPNSt15iterator_traitsISG_E10value_typeEPNSM_ISH_E10value_typeEPSI_NS1_7vsmem_tEENKUlT_SG_SH_SI_E_clIS7_S7_SB_PlEESF_SV_SG_SH_SI_EUlSV_E_NS1_11comp_targetILNS1_3genE9ELNS1_11target_archE1100ELNS1_3gpuE3ELNS1_3repE0EEENS1_48merge_mergepath_partition_config_static_selectorELNS0_4arch9wavefront6targetE1EEEvSH_
	.p2align	8
	.type	_ZN7rocprim17ROCPRIM_400000_NS6detail17trampoline_kernelINS0_14default_configENS1_38merge_sort_block_merge_config_selectorIilEEZZNS1_27merge_sort_block_merge_implIS3_PiN6thrust23THRUST_200600_302600_NS10device_ptrIlEEjNS1_19radix_merge_compareILb0ELb1EiNS0_19identity_decomposerEEEEE10hipError_tT0_T1_T2_jT3_P12ihipStream_tbPNSt15iterator_traitsISG_E10value_typeEPNSM_ISH_E10value_typeEPSI_NS1_7vsmem_tEENKUlT_SG_SH_SI_E_clIS7_S7_SB_PlEESF_SV_SG_SH_SI_EUlSV_E_NS1_11comp_targetILNS1_3genE9ELNS1_11target_archE1100ELNS1_3gpuE3ELNS1_3repE0EEENS1_48merge_mergepath_partition_config_static_selectorELNS0_4arch9wavefront6targetE1EEEvSH_,@function
_ZN7rocprim17ROCPRIM_400000_NS6detail17trampoline_kernelINS0_14default_configENS1_38merge_sort_block_merge_config_selectorIilEEZZNS1_27merge_sort_block_merge_implIS3_PiN6thrust23THRUST_200600_302600_NS10device_ptrIlEEjNS1_19radix_merge_compareILb0ELb1EiNS0_19identity_decomposerEEEEE10hipError_tT0_T1_T2_jT3_P12ihipStream_tbPNSt15iterator_traitsISG_E10value_typeEPNSM_ISH_E10value_typeEPSI_NS1_7vsmem_tEENKUlT_SG_SH_SI_E_clIS7_S7_SB_PlEESF_SV_SG_SH_SI_EUlSV_E_NS1_11comp_targetILNS1_3genE9ELNS1_11target_archE1100ELNS1_3gpuE3ELNS1_3repE0EEENS1_48merge_mergepath_partition_config_static_selectorELNS0_4arch9wavefront6targetE1EEEvSH_: ; @_ZN7rocprim17ROCPRIM_400000_NS6detail17trampoline_kernelINS0_14default_configENS1_38merge_sort_block_merge_config_selectorIilEEZZNS1_27merge_sort_block_merge_implIS3_PiN6thrust23THRUST_200600_302600_NS10device_ptrIlEEjNS1_19radix_merge_compareILb0ELb1EiNS0_19identity_decomposerEEEEE10hipError_tT0_T1_T2_jT3_P12ihipStream_tbPNSt15iterator_traitsISG_E10value_typeEPNSM_ISH_E10value_typeEPSI_NS1_7vsmem_tEENKUlT_SG_SH_SI_E_clIS7_S7_SB_PlEESF_SV_SG_SH_SI_EUlSV_E_NS1_11comp_targetILNS1_3genE9ELNS1_11target_archE1100ELNS1_3gpuE3ELNS1_3repE0EEENS1_48merge_mergepath_partition_config_static_selectorELNS0_4arch9wavefront6targetE1EEEvSH_
; %bb.0:
	.section	.rodata,"a",@progbits
	.p2align	6, 0x0
	.amdhsa_kernel _ZN7rocprim17ROCPRIM_400000_NS6detail17trampoline_kernelINS0_14default_configENS1_38merge_sort_block_merge_config_selectorIilEEZZNS1_27merge_sort_block_merge_implIS3_PiN6thrust23THRUST_200600_302600_NS10device_ptrIlEEjNS1_19radix_merge_compareILb0ELb1EiNS0_19identity_decomposerEEEEE10hipError_tT0_T1_T2_jT3_P12ihipStream_tbPNSt15iterator_traitsISG_E10value_typeEPNSM_ISH_E10value_typeEPSI_NS1_7vsmem_tEENKUlT_SG_SH_SI_E_clIS7_S7_SB_PlEESF_SV_SG_SH_SI_EUlSV_E_NS1_11comp_targetILNS1_3genE9ELNS1_11target_archE1100ELNS1_3gpuE3ELNS1_3repE0EEENS1_48merge_mergepath_partition_config_static_selectorELNS0_4arch9wavefront6targetE1EEEvSH_
		.amdhsa_group_segment_fixed_size 0
		.amdhsa_private_segment_fixed_size 0
		.amdhsa_kernarg_size 40
		.amdhsa_user_sgpr_count 6
		.amdhsa_user_sgpr_private_segment_buffer 1
		.amdhsa_user_sgpr_dispatch_ptr 0
		.amdhsa_user_sgpr_queue_ptr 0
		.amdhsa_user_sgpr_kernarg_segment_ptr 1
		.amdhsa_user_sgpr_dispatch_id 0
		.amdhsa_user_sgpr_flat_scratch_init 0
		.amdhsa_user_sgpr_kernarg_preload_length 0
		.amdhsa_user_sgpr_kernarg_preload_offset 0
		.amdhsa_user_sgpr_private_segment_size 0
		.amdhsa_uses_dynamic_stack 0
		.amdhsa_system_sgpr_private_segment_wavefront_offset 0
		.amdhsa_system_sgpr_workgroup_id_x 1
		.amdhsa_system_sgpr_workgroup_id_y 0
		.amdhsa_system_sgpr_workgroup_id_z 0
		.amdhsa_system_sgpr_workgroup_info 0
		.amdhsa_system_vgpr_workitem_id 0
		.amdhsa_next_free_vgpr 1
		.amdhsa_next_free_sgpr 0
		.amdhsa_accum_offset 4
		.amdhsa_reserve_vcc 0
		.amdhsa_reserve_flat_scratch 0
		.amdhsa_float_round_mode_32 0
		.amdhsa_float_round_mode_16_64 0
		.amdhsa_float_denorm_mode_32 3
		.amdhsa_float_denorm_mode_16_64 3
		.amdhsa_dx10_clamp 1
		.amdhsa_ieee_mode 1
		.amdhsa_fp16_overflow 0
		.amdhsa_tg_split 0
		.amdhsa_exception_fp_ieee_invalid_op 0
		.amdhsa_exception_fp_denorm_src 0
		.amdhsa_exception_fp_ieee_div_zero 0
		.amdhsa_exception_fp_ieee_overflow 0
		.amdhsa_exception_fp_ieee_underflow 0
		.amdhsa_exception_fp_ieee_inexact 0
		.amdhsa_exception_int_div_zero 0
	.end_amdhsa_kernel
	.section	.text._ZN7rocprim17ROCPRIM_400000_NS6detail17trampoline_kernelINS0_14default_configENS1_38merge_sort_block_merge_config_selectorIilEEZZNS1_27merge_sort_block_merge_implIS3_PiN6thrust23THRUST_200600_302600_NS10device_ptrIlEEjNS1_19radix_merge_compareILb0ELb1EiNS0_19identity_decomposerEEEEE10hipError_tT0_T1_T2_jT3_P12ihipStream_tbPNSt15iterator_traitsISG_E10value_typeEPNSM_ISH_E10value_typeEPSI_NS1_7vsmem_tEENKUlT_SG_SH_SI_E_clIS7_S7_SB_PlEESF_SV_SG_SH_SI_EUlSV_E_NS1_11comp_targetILNS1_3genE9ELNS1_11target_archE1100ELNS1_3gpuE3ELNS1_3repE0EEENS1_48merge_mergepath_partition_config_static_selectorELNS0_4arch9wavefront6targetE1EEEvSH_,"axG",@progbits,_ZN7rocprim17ROCPRIM_400000_NS6detail17trampoline_kernelINS0_14default_configENS1_38merge_sort_block_merge_config_selectorIilEEZZNS1_27merge_sort_block_merge_implIS3_PiN6thrust23THRUST_200600_302600_NS10device_ptrIlEEjNS1_19radix_merge_compareILb0ELb1EiNS0_19identity_decomposerEEEEE10hipError_tT0_T1_T2_jT3_P12ihipStream_tbPNSt15iterator_traitsISG_E10value_typeEPNSM_ISH_E10value_typeEPSI_NS1_7vsmem_tEENKUlT_SG_SH_SI_E_clIS7_S7_SB_PlEESF_SV_SG_SH_SI_EUlSV_E_NS1_11comp_targetILNS1_3genE9ELNS1_11target_archE1100ELNS1_3gpuE3ELNS1_3repE0EEENS1_48merge_mergepath_partition_config_static_selectorELNS0_4arch9wavefront6targetE1EEEvSH_,comdat
.Lfunc_end830:
	.size	_ZN7rocprim17ROCPRIM_400000_NS6detail17trampoline_kernelINS0_14default_configENS1_38merge_sort_block_merge_config_selectorIilEEZZNS1_27merge_sort_block_merge_implIS3_PiN6thrust23THRUST_200600_302600_NS10device_ptrIlEEjNS1_19radix_merge_compareILb0ELb1EiNS0_19identity_decomposerEEEEE10hipError_tT0_T1_T2_jT3_P12ihipStream_tbPNSt15iterator_traitsISG_E10value_typeEPNSM_ISH_E10value_typeEPSI_NS1_7vsmem_tEENKUlT_SG_SH_SI_E_clIS7_S7_SB_PlEESF_SV_SG_SH_SI_EUlSV_E_NS1_11comp_targetILNS1_3genE9ELNS1_11target_archE1100ELNS1_3gpuE3ELNS1_3repE0EEENS1_48merge_mergepath_partition_config_static_selectorELNS0_4arch9wavefront6targetE1EEEvSH_, .Lfunc_end830-_ZN7rocprim17ROCPRIM_400000_NS6detail17trampoline_kernelINS0_14default_configENS1_38merge_sort_block_merge_config_selectorIilEEZZNS1_27merge_sort_block_merge_implIS3_PiN6thrust23THRUST_200600_302600_NS10device_ptrIlEEjNS1_19radix_merge_compareILb0ELb1EiNS0_19identity_decomposerEEEEE10hipError_tT0_T1_T2_jT3_P12ihipStream_tbPNSt15iterator_traitsISG_E10value_typeEPNSM_ISH_E10value_typeEPSI_NS1_7vsmem_tEENKUlT_SG_SH_SI_E_clIS7_S7_SB_PlEESF_SV_SG_SH_SI_EUlSV_E_NS1_11comp_targetILNS1_3genE9ELNS1_11target_archE1100ELNS1_3gpuE3ELNS1_3repE0EEENS1_48merge_mergepath_partition_config_static_selectorELNS0_4arch9wavefront6targetE1EEEvSH_
                                        ; -- End function
	.section	.AMDGPU.csdata,"",@progbits
; Kernel info:
; codeLenInByte = 0
; NumSgprs: 4
; NumVgprs: 0
; NumAgprs: 0
; TotalNumVgprs: 0
; ScratchSize: 0
; MemoryBound: 0
; FloatMode: 240
; IeeeMode: 1
; LDSByteSize: 0 bytes/workgroup (compile time only)
; SGPRBlocks: 0
; VGPRBlocks: 0
; NumSGPRsForWavesPerEU: 4
; NumVGPRsForWavesPerEU: 1
; AccumOffset: 4
; Occupancy: 8
; WaveLimiterHint : 0
; COMPUTE_PGM_RSRC2:SCRATCH_EN: 0
; COMPUTE_PGM_RSRC2:USER_SGPR: 6
; COMPUTE_PGM_RSRC2:TRAP_HANDLER: 0
; COMPUTE_PGM_RSRC2:TGID_X_EN: 1
; COMPUTE_PGM_RSRC2:TGID_Y_EN: 0
; COMPUTE_PGM_RSRC2:TGID_Z_EN: 0
; COMPUTE_PGM_RSRC2:TIDIG_COMP_CNT: 0
; COMPUTE_PGM_RSRC3_GFX90A:ACCUM_OFFSET: 0
; COMPUTE_PGM_RSRC3_GFX90A:TG_SPLIT: 0
	.section	.text._ZN7rocprim17ROCPRIM_400000_NS6detail17trampoline_kernelINS0_14default_configENS1_38merge_sort_block_merge_config_selectorIilEEZZNS1_27merge_sort_block_merge_implIS3_PiN6thrust23THRUST_200600_302600_NS10device_ptrIlEEjNS1_19radix_merge_compareILb0ELb1EiNS0_19identity_decomposerEEEEE10hipError_tT0_T1_T2_jT3_P12ihipStream_tbPNSt15iterator_traitsISG_E10value_typeEPNSM_ISH_E10value_typeEPSI_NS1_7vsmem_tEENKUlT_SG_SH_SI_E_clIS7_S7_SB_PlEESF_SV_SG_SH_SI_EUlSV_E_NS1_11comp_targetILNS1_3genE8ELNS1_11target_archE1030ELNS1_3gpuE2ELNS1_3repE0EEENS1_48merge_mergepath_partition_config_static_selectorELNS0_4arch9wavefront6targetE1EEEvSH_,"axG",@progbits,_ZN7rocprim17ROCPRIM_400000_NS6detail17trampoline_kernelINS0_14default_configENS1_38merge_sort_block_merge_config_selectorIilEEZZNS1_27merge_sort_block_merge_implIS3_PiN6thrust23THRUST_200600_302600_NS10device_ptrIlEEjNS1_19radix_merge_compareILb0ELb1EiNS0_19identity_decomposerEEEEE10hipError_tT0_T1_T2_jT3_P12ihipStream_tbPNSt15iterator_traitsISG_E10value_typeEPNSM_ISH_E10value_typeEPSI_NS1_7vsmem_tEENKUlT_SG_SH_SI_E_clIS7_S7_SB_PlEESF_SV_SG_SH_SI_EUlSV_E_NS1_11comp_targetILNS1_3genE8ELNS1_11target_archE1030ELNS1_3gpuE2ELNS1_3repE0EEENS1_48merge_mergepath_partition_config_static_selectorELNS0_4arch9wavefront6targetE1EEEvSH_,comdat
	.protected	_ZN7rocprim17ROCPRIM_400000_NS6detail17trampoline_kernelINS0_14default_configENS1_38merge_sort_block_merge_config_selectorIilEEZZNS1_27merge_sort_block_merge_implIS3_PiN6thrust23THRUST_200600_302600_NS10device_ptrIlEEjNS1_19radix_merge_compareILb0ELb1EiNS0_19identity_decomposerEEEEE10hipError_tT0_T1_T2_jT3_P12ihipStream_tbPNSt15iterator_traitsISG_E10value_typeEPNSM_ISH_E10value_typeEPSI_NS1_7vsmem_tEENKUlT_SG_SH_SI_E_clIS7_S7_SB_PlEESF_SV_SG_SH_SI_EUlSV_E_NS1_11comp_targetILNS1_3genE8ELNS1_11target_archE1030ELNS1_3gpuE2ELNS1_3repE0EEENS1_48merge_mergepath_partition_config_static_selectorELNS0_4arch9wavefront6targetE1EEEvSH_ ; -- Begin function _ZN7rocprim17ROCPRIM_400000_NS6detail17trampoline_kernelINS0_14default_configENS1_38merge_sort_block_merge_config_selectorIilEEZZNS1_27merge_sort_block_merge_implIS3_PiN6thrust23THRUST_200600_302600_NS10device_ptrIlEEjNS1_19radix_merge_compareILb0ELb1EiNS0_19identity_decomposerEEEEE10hipError_tT0_T1_T2_jT3_P12ihipStream_tbPNSt15iterator_traitsISG_E10value_typeEPNSM_ISH_E10value_typeEPSI_NS1_7vsmem_tEENKUlT_SG_SH_SI_E_clIS7_S7_SB_PlEESF_SV_SG_SH_SI_EUlSV_E_NS1_11comp_targetILNS1_3genE8ELNS1_11target_archE1030ELNS1_3gpuE2ELNS1_3repE0EEENS1_48merge_mergepath_partition_config_static_selectorELNS0_4arch9wavefront6targetE1EEEvSH_
	.globl	_ZN7rocprim17ROCPRIM_400000_NS6detail17trampoline_kernelINS0_14default_configENS1_38merge_sort_block_merge_config_selectorIilEEZZNS1_27merge_sort_block_merge_implIS3_PiN6thrust23THRUST_200600_302600_NS10device_ptrIlEEjNS1_19radix_merge_compareILb0ELb1EiNS0_19identity_decomposerEEEEE10hipError_tT0_T1_T2_jT3_P12ihipStream_tbPNSt15iterator_traitsISG_E10value_typeEPNSM_ISH_E10value_typeEPSI_NS1_7vsmem_tEENKUlT_SG_SH_SI_E_clIS7_S7_SB_PlEESF_SV_SG_SH_SI_EUlSV_E_NS1_11comp_targetILNS1_3genE8ELNS1_11target_archE1030ELNS1_3gpuE2ELNS1_3repE0EEENS1_48merge_mergepath_partition_config_static_selectorELNS0_4arch9wavefront6targetE1EEEvSH_
	.p2align	8
	.type	_ZN7rocprim17ROCPRIM_400000_NS6detail17trampoline_kernelINS0_14default_configENS1_38merge_sort_block_merge_config_selectorIilEEZZNS1_27merge_sort_block_merge_implIS3_PiN6thrust23THRUST_200600_302600_NS10device_ptrIlEEjNS1_19radix_merge_compareILb0ELb1EiNS0_19identity_decomposerEEEEE10hipError_tT0_T1_T2_jT3_P12ihipStream_tbPNSt15iterator_traitsISG_E10value_typeEPNSM_ISH_E10value_typeEPSI_NS1_7vsmem_tEENKUlT_SG_SH_SI_E_clIS7_S7_SB_PlEESF_SV_SG_SH_SI_EUlSV_E_NS1_11comp_targetILNS1_3genE8ELNS1_11target_archE1030ELNS1_3gpuE2ELNS1_3repE0EEENS1_48merge_mergepath_partition_config_static_selectorELNS0_4arch9wavefront6targetE1EEEvSH_,@function
_ZN7rocprim17ROCPRIM_400000_NS6detail17trampoline_kernelINS0_14default_configENS1_38merge_sort_block_merge_config_selectorIilEEZZNS1_27merge_sort_block_merge_implIS3_PiN6thrust23THRUST_200600_302600_NS10device_ptrIlEEjNS1_19radix_merge_compareILb0ELb1EiNS0_19identity_decomposerEEEEE10hipError_tT0_T1_T2_jT3_P12ihipStream_tbPNSt15iterator_traitsISG_E10value_typeEPNSM_ISH_E10value_typeEPSI_NS1_7vsmem_tEENKUlT_SG_SH_SI_E_clIS7_S7_SB_PlEESF_SV_SG_SH_SI_EUlSV_E_NS1_11comp_targetILNS1_3genE8ELNS1_11target_archE1030ELNS1_3gpuE2ELNS1_3repE0EEENS1_48merge_mergepath_partition_config_static_selectorELNS0_4arch9wavefront6targetE1EEEvSH_: ; @_ZN7rocprim17ROCPRIM_400000_NS6detail17trampoline_kernelINS0_14default_configENS1_38merge_sort_block_merge_config_selectorIilEEZZNS1_27merge_sort_block_merge_implIS3_PiN6thrust23THRUST_200600_302600_NS10device_ptrIlEEjNS1_19radix_merge_compareILb0ELb1EiNS0_19identity_decomposerEEEEE10hipError_tT0_T1_T2_jT3_P12ihipStream_tbPNSt15iterator_traitsISG_E10value_typeEPNSM_ISH_E10value_typeEPSI_NS1_7vsmem_tEENKUlT_SG_SH_SI_E_clIS7_S7_SB_PlEESF_SV_SG_SH_SI_EUlSV_E_NS1_11comp_targetILNS1_3genE8ELNS1_11target_archE1030ELNS1_3gpuE2ELNS1_3repE0EEENS1_48merge_mergepath_partition_config_static_selectorELNS0_4arch9wavefront6targetE1EEEvSH_
; %bb.0:
	.section	.rodata,"a",@progbits
	.p2align	6, 0x0
	.amdhsa_kernel _ZN7rocprim17ROCPRIM_400000_NS6detail17trampoline_kernelINS0_14default_configENS1_38merge_sort_block_merge_config_selectorIilEEZZNS1_27merge_sort_block_merge_implIS3_PiN6thrust23THRUST_200600_302600_NS10device_ptrIlEEjNS1_19radix_merge_compareILb0ELb1EiNS0_19identity_decomposerEEEEE10hipError_tT0_T1_T2_jT3_P12ihipStream_tbPNSt15iterator_traitsISG_E10value_typeEPNSM_ISH_E10value_typeEPSI_NS1_7vsmem_tEENKUlT_SG_SH_SI_E_clIS7_S7_SB_PlEESF_SV_SG_SH_SI_EUlSV_E_NS1_11comp_targetILNS1_3genE8ELNS1_11target_archE1030ELNS1_3gpuE2ELNS1_3repE0EEENS1_48merge_mergepath_partition_config_static_selectorELNS0_4arch9wavefront6targetE1EEEvSH_
		.amdhsa_group_segment_fixed_size 0
		.amdhsa_private_segment_fixed_size 0
		.amdhsa_kernarg_size 40
		.amdhsa_user_sgpr_count 6
		.amdhsa_user_sgpr_private_segment_buffer 1
		.amdhsa_user_sgpr_dispatch_ptr 0
		.amdhsa_user_sgpr_queue_ptr 0
		.amdhsa_user_sgpr_kernarg_segment_ptr 1
		.amdhsa_user_sgpr_dispatch_id 0
		.amdhsa_user_sgpr_flat_scratch_init 0
		.amdhsa_user_sgpr_kernarg_preload_length 0
		.amdhsa_user_sgpr_kernarg_preload_offset 0
		.amdhsa_user_sgpr_private_segment_size 0
		.amdhsa_uses_dynamic_stack 0
		.amdhsa_system_sgpr_private_segment_wavefront_offset 0
		.amdhsa_system_sgpr_workgroup_id_x 1
		.amdhsa_system_sgpr_workgroup_id_y 0
		.amdhsa_system_sgpr_workgroup_id_z 0
		.amdhsa_system_sgpr_workgroup_info 0
		.amdhsa_system_vgpr_workitem_id 0
		.amdhsa_next_free_vgpr 1
		.amdhsa_next_free_sgpr 0
		.amdhsa_accum_offset 4
		.amdhsa_reserve_vcc 0
		.amdhsa_reserve_flat_scratch 0
		.amdhsa_float_round_mode_32 0
		.amdhsa_float_round_mode_16_64 0
		.amdhsa_float_denorm_mode_32 3
		.amdhsa_float_denorm_mode_16_64 3
		.amdhsa_dx10_clamp 1
		.amdhsa_ieee_mode 1
		.amdhsa_fp16_overflow 0
		.amdhsa_tg_split 0
		.amdhsa_exception_fp_ieee_invalid_op 0
		.amdhsa_exception_fp_denorm_src 0
		.amdhsa_exception_fp_ieee_div_zero 0
		.amdhsa_exception_fp_ieee_overflow 0
		.amdhsa_exception_fp_ieee_underflow 0
		.amdhsa_exception_fp_ieee_inexact 0
		.amdhsa_exception_int_div_zero 0
	.end_amdhsa_kernel
	.section	.text._ZN7rocprim17ROCPRIM_400000_NS6detail17trampoline_kernelINS0_14default_configENS1_38merge_sort_block_merge_config_selectorIilEEZZNS1_27merge_sort_block_merge_implIS3_PiN6thrust23THRUST_200600_302600_NS10device_ptrIlEEjNS1_19radix_merge_compareILb0ELb1EiNS0_19identity_decomposerEEEEE10hipError_tT0_T1_T2_jT3_P12ihipStream_tbPNSt15iterator_traitsISG_E10value_typeEPNSM_ISH_E10value_typeEPSI_NS1_7vsmem_tEENKUlT_SG_SH_SI_E_clIS7_S7_SB_PlEESF_SV_SG_SH_SI_EUlSV_E_NS1_11comp_targetILNS1_3genE8ELNS1_11target_archE1030ELNS1_3gpuE2ELNS1_3repE0EEENS1_48merge_mergepath_partition_config_static_selectorELNS0_4arch9wavefront6targetE1EEEvSH_,"axG",@progbits,_ZN7rocprim17ROCPRIM_400000_NS6detail17trampoline_kernelINS0_14default_configENS1_38merge_sort_block_merge_config_selectorIilEEZZNS1_27merge_sort_block_merge_implIS3_PiN6thrust23THRUST_200600_302600_NS10device_ptrIlEEjNS1_19radix_merge_compareILb0ELb1EiNS0_19identity_decomposerEEEEE10hipError_tT0_T1_T2_jT3_P12ihipStream_tbPNSt15iterator_traitsISG_E10value_typeEPNSM_ISH_E10value_typeEPSI_NS1_7vsmem_tEENKUlT_SG_SH_SI_E_clIS7_S7_SB_PlEESF_SV_SG_SH_SI_EUlSV_E_NS1_11comp_targetILNS1_3genE8ELNS1_11target_archE1030ELNS1_3gpuE2ELNS1_3repE0EEENS1_48merge_mergepath_partition_config_static_selectorELNS0_4arch9wavefront6targetE1EEEvSH_,comdat
.Lfunc_end831:
	.size	_ZN7rocprim17ROCPRIM_400000_NS6detail17trampoline_kernelINS0_14default_configENS1_38merge_sort_block_merge_config_selectorIilEEZZNS1_27merge_sort_block_merge_implIS3_PiN6thrust23THRUST_200600_302600_NS10device_ptrIlEEjNS1_19radix_merge_compareILb0ELb1EiNS0_19identity_decomposerEEEEE10hipError_tT0_T1_T2_jT3_P12ihipStream_tbPNSt15iterator_traitsISG_E10value_typeEPNSM_ISH_E10value_typeEPSI_NS1_7vsmem_tEENKUlT_SG_SH_SI_E_clIS7_S7_SB_PlEESF_SV_SG_SH_SI_EUlSV_E_NS1_11comp_targetILNS1_3genE8ELNS1_11target_archE1030ELNS1_3gpuE2ELNS1_3repE0EEENS1_48merge_mergepath_partition_config_static_selectorELNS0_4arch9wavefront6targetE1EEEvSH_, .Lfunc_end831-_ZN7rocprim17ROCPRIM_400000_NS6detail17trampoline_kernelINS0_14default_configENS1_38merge_sort_block_merge_config_selectorIilEEZZNS1_27merge_sort_block_merge_implIS3_PiN6thrust23THRUST_200600_302600_NS10device_ptrIlEEjNS1_19radix_merge_compareILb0ELb1EiNS0_19identity_decomposerEEEEE10hipError_tT0_T1_T2_jT3_P12ihipStream_tbPNSt15iterator_traitsISG_E10value_typeEPNSM_ISH_E10value_typeEPSI_NS1_7vsmem_tEENKUlT_SG_SH_SI_E_clIS7_S7_SB_PlEESF_SV_SG_SH_SI_EUlSV_E_NS1_11comp_targetILNS1_3genE8ELNS1_11target_archE1030ELNS1_3gpuE2ELNS1_3repE0EEENS1_48merge_mergepath_partition_config_static_selectorELNS0_4arch9wavefront6targetE1EEEvSH_
                                        ; -- End function
	.section	.AMDGPU.csdata,"",@progbits
; Kernel info:
; codeLenInByte = 0
; NumSgprs: 4
; NumVgprs: 0
; NumAgprs: 0
; TotalNumVgprs: 0
; ScratchSize: 0
; MemoryBound: 0
; FloatMode: 240
; IeeeMode: 1
; LDSByteSize: 0 bytes/workgroup (compile time only)
; SGPRBlocks: 0
; VGPRBlocks: 0
; NumSGPRsForWavesPerEU: 4
; NumVGPRsForWavesPerEU: 1
; AccumOffset: 4
; Occupancy: 8
; WaveLimiterHint : 0
; COMPUTE_PGM_RSRC2:SCRATCH_EN: 0
; COMPUTE_PGM_RSRC2:USER_SGPR: 6
; COMPUTE_PGM_RSRC2:TRAP_HANDLER: 0
; COMPUTE_PGM_RSRC2:TGID_X_EN: 1
; COMPUTE_PGM_RSRC2:TGID_Y_EN: 0
; COMPUTE_PGM_RSRC2:TGID_Z_EN: 0
; COMPUTE_PGM_RSRC2:TIDIG_COMP_CNT: 0
; COMPUTE_PGM_RSRC3_GFX90A:ACCUM_OFFSET: 0
; COMPUTE_PGM_RSRC3_GFX90A:TG_SPLIT: 0
	.section	.text._ZN7rocprim17ROCPRIM_400000_NS6detail17trampoline_kernelINS0_14default_configENS1_38merge_sort_block_merge_config_selectorIilEEZZNS1_27merge_sort_block_merge_implIS3_PiN6thrust23THRUST_200600_302600_NS10device_ptrIlEEjNS1_19radix_merge_compareILb0ELb1EiNS0_19identity_decomposerEEEEE10hipError_tT0_T1_T2_jT3_P12ihipStream_tbPNSt15iterator_traitsISG_E10value_typeEPNSM_ISH_E10value_typeEPSI_NS1_7vsmem_tEENKUlT_SG_SH_SI_E_clIS7_S7_SB_PlEESF_SV_SG_SH_SI_EUlSV_E0_NS1_11comp_targetILNS1_3genE0ELNS1_11target_archE4294967295ELNS1_3gpuE0ELNS1_3repE0EEENS1_38merge_mergepath_config_static_selectorELNS0_4arch9wavefront6targetE1EEEvSH_,"axG",@progbits,_ZN7rocprim17ROCPRIM_400000_NS6detail17trampoline_kernelINS0_14default_configENS1_38merge_sort_block_merge_config_selectorIilEEZZNS1_27merge_sort_block_merge_implIS3_PiN6thrust23THRUST_200600_302600_NS10device_ptrIlEEjNS1_19radix_merge_compareILb0ELb1EiNS0_19identity_decomposerEEEEE10hipError_tT0_T1_T2_jT3_P12ihipStream_tbPNSt15iterator_traitsISG_E10value_typeEPNSM_ISH_E10value_typeEPSI_NS1_7vsmem_tEENKUlT_SG_SH_SI_E_clIS7_S7_SB_PlEESF_SV_SG_SH_SI_EUlSV_E0_NS1_11comp_targetILNS1_3genE0ELNS1_11target_archE4294967295ELNS1_3gpuE0ELNS1_3repE0EEENS1_38merge_mergepath_config_static_selectorELNS0_4arch9wavefront6targetE1EEEvSH_,comdat
	.protected	_ZN7rocprim17ROCPRIM_400000_NS6detail17trampoline_kernelINS0_14default_configENS1_38merge_sort_block_merge_config_selectorIilEEZZNS1_27merge_sort_block_merge_implIS3_PiN6thrust23THRUST_200600_302600_NS10device_ptrIlEEjNS1_19radix_merge_compareILb0ELb1EiNS0_19identity_decomposerEEEEE10hipError_tT0_T1_T2_jT3_P12ihipStream_tbPNSt15iterator_traitsISG_E10value_typeEPNSM_ISH_E10value_typeEPSI_NS1_7vsmem_tEENKUlT_SG_SH_SI_E_clIS7_S7_SB_PlEESF_SV_SG_SH_SI_EUlSV_E0_NS1_11comp_targetILNS1_3genE0ELNS1_11target_archE4294967295ELNS1_3gpuE0ELNS1_3repE0EEENS1_38merge_mergepath_config_static_selectorELNS0_4arch9wavefront6targetE1EEEvSH_ ; -- Begin function _ZN7rocprim17ROCPRIM_400000_NS6detail17trampoline_kernelINS0_14default_configENS1_38merge_sort_block_merge_config_selectorIilEEZZNS1_27merge_sort_block_merge_implIS3_PiN6thrust23THRUST_200600_302600_NS10device_ptrIlEEjNS1_19radix_merge_compareILb0ELb1EiNS0_19identity_decomposerEEEEE10hipError_tT0_T1_T2_jT3_P12ihipStream_tbPNSt15iterator_traitsISG_E10value_typeEPNSM_ISH_E10value_typeEPSI_NS1_7vsmem_tEENKUlT_SG_SH_SI_E_clIS7_S7_SB_PlEESF_SV_SG_SH_SI_EUlSV_E0_NS1_11comp_targetILNS1_3genE0ELNS1_11target_archE4294967295ELNS1_3gpuE0ELNS1_3repE0EEENS1_38merge_mergepath_config_static_selectorELNS0_4arch9wavefront6targetE1EEEvSH_
	.globl	_ZN7rocprim17ROCPRIM_400000_NS6detail17trampoline_kernelINS0_14default_configENS1_38merge_sort_block_merge_config_selectorIilEEZZNS1_27merge_sort_block_merge_implIS3_PiN6thrust23THRUST_200600_302600_NS10device_ptrIlEEjNS1_19radix_merge_compareILb0ELb1EiNS0_19identity_decomposerEEEEE10hipError_tT0_T1_T2_jT3_P12ihipStream_tbPNSt15iterator_traitsISG_E10value_typeEPNSM_ISH_E10value_typeEPSI_NS1_7vsmem_tEENKUlT_SG_SH_SI_E_clIS7_S7_SB_PlEESF_SV_SG_SH_SI_EUlSV_E0_NS1_11comp_targetILNS1_3genE0ELNS1_11target_archE4294967295ELNS1_3gpuE0ELNS1_3repE0EEENS1_38merge_mergepath_config_static_selectorELNS0_4arch9wavefront6targetE1EEEvSH_
	.p2align	8
	.type	_ZN7rocprim17ROCPRIM_400000_NS6detail17trampoline_kernelINS0_14default_configENS1_38merge_sort_block_merge_config_selectorIilEEZZNS1_27merge_sort_block_merge_implIS3_PiN6thrust23THRUST_200600_302600_NS10device_ptrIlEEjNS1_19radix_merge_compareILb0ELb1EiNS0_19identity_decomposerEEEEE10hipError_tT0_T1_T2_jT3_P12ihipStream_tbPNSt15iterator_traitsISG_E10value_typeEPNSM_ISH_E10value_typeEPSI_NS1_7vsmem_tEENKUlT_SG_SH_SI_E_clIS7_S7_SB_PlEESF_SV_SG_SH_SI_EUlSV_E0_NS1_11comp_targetILNS1_3genE0ELNS1_11target_archE4294967295ELNS1_3gpuE0ELNS1_3repE0EEENS1_38merge_mergepath_config_static_selectorELNS0_4arch9wavefront6targetE1EEEvSH_,@function
_ZN7rocprim17ROCPRIM_400000_NS6detail17trampoline_kernelINS0_14default_configENS1_38merge_sort_block_merge_config_selectorIilEEZZNS1_27merge_sort_block_merge_implIS3_PiN6thrust23THRUST_200600_302600_NS10device_ptrIlEEjNS1_19radix_merge_compareILb0ELb1EiNS0_19identity_decomposerEEEEE10hipError_tT0_T1_T2_jT3_P12ihipStream_tbPNSt15iterator_traitsISG_E10value_typeEPNSM_ISH_E10value_typeEPSI_NS1_7vsmem_tEENKUlT_SG_SH_SI_E_clIS7_S7_SB_PlEESF_SV_SG_SH_SI_EUlSV_E0_NS1_11comp_targetILNS1_3genE0ELNS1_11target_archE4294967295ELNS1_3gpuE0ELNS1_3repE0EEENS1_38merge_mergepath_config_static_selectorELNS0_4arch9wavefront6targetE1EEEvSH_: ; @_ZN7rocprim17ROCPRIM_400000_NS6detail17trampoline_kernelINS0_14default_configENS1_38merge_sort_block_merge_config_selectorIilEEZZNS1_27merge_sort_block_merge_implIS3_PiN6thrust23THRUST_200600_302600_NS10device_ptrIlEEjNS1_19radix_merge_compareILb0ELb1EiNS0_19identity_decomposerEEEEE10hipError_tT0_T1_T2_jT3_P12ihipStream_tbPNSt15iterator_traitsISG_E10value_typeEPNSM_ISH_E10value_typeEPSI_NS1_7vsmem_tEENKUlT_SG_SH_SI_E_clIS7_S7_SB_PlEESF_SV_SG_SH_SI_EUlSV_E0_NS1_11comp_targetILNS1_3genE0ELNS1_11target_archE4294967295ELNS1_3gpuE0ELNS1_3repE0EEENS1_38merge_mergepath_config_static_selectorELNS0_4arch9wavefront6targetE1EEEvSH_
; %bb.0:
	.section	.rodata,"a",@progbits
	.p2align	6, 0x0
	.amdhsa_kernel _ZN7rocprim17ROCPRIM_400000_NS6detail17trampoline_kernelINS0_14default_configENS1_38merge_sort_block_merge_config_selectorIilEEZZNS1_27merge_sort_block_merge_implIS3_PiN6thrust23THRUST_200600_302600_NS10device_ptrIlEEjNS1_19radix_merge_compareILb0ELb1EiNS0_19identity_decomposerEEEEE10hipError_tT0_T1_T2_jT3_P12ihipStream_tbPNSt15iterator_traitsISG_E10value_typeEPNSM_ISH_E10value_typeEPSI_NS1_7vsmem_tEENKUlT_SG_SH_SI_E_clIS7_S7_SB_PlEESF_SV_SG_SH_SI_EUlSV_E0_NS1_11comp_targetILNS1_3genE0ELNS1_11target_archE4294967295ELNS1_3gpuE0ELNS1_3repE0EEENS1_38merge_mergepath_config_static_selectorELNS0_4arch9wavefront6targetE1EEEvSH_
		.amdhsa_group_segment_fixed_size 0
		.amdhsa_private_segment_fixed_size 0
		.amdhsa_kernarg_size 64
		.amdhsa_user_sgpr_count 6
		.amdhsa_user_sgpr_private_segment_buffer 1
		.amdhsa_user_sgpr_dispatch_ptr 0
		.amdhsa_user_sgpr_queue_ptr 0
		.amdhsa_user_sgpr_kernarg_segment_ptr 1
		.amdhsa_user_sgpr_dispatch_id 0
		.amdhsa_user_sgpr_flat_scratch_init 0
		.amdhsa_user_sgpr_kernarg_preload_length 0
		.amdhsa_user_sgpr_kernarg_preload_offset 0
		.amdhsa_user_sgpr_private_segment_size 0
		.amdhsa_uses_dynamic_stack 0
		.amdhsa_system_sgpr_private_segment_wavefront_offset 0
		.amdhsa_system_sgpr_workgroup_id_x 1
		.amdhsa_system_sgpr_workgroup_id_y 0
		.amdhsa_system_sgpr_workgroup_id_z 0
		.amdhsa_system_sgpr_workgroup_info 0
		.amdhsa_system_vgpr_workitem_id 0
		.amdhsa_next_free_vgpr 1
		.amdhsa_next_free_sgpr 0
		.amdhsa_accum_offset 4
		.amdhsa_reserve_vcc 0
		.amdhsa_reserve_flat_scratch 0
		.amdhsa_float_round_mode_32 0
		.amdhsa_float_round_mode_16_64 0
		.amdhsa_float_denorm_mode_32 3
		.amdhsa_float_denorm_mode_16_64 3
		.amdhsa_dx10_clamp 1
		.amdhsa_ieee_mode 1
		.amdhsa_fp16_overflow 0
		.amdhsa_tg_split 0
		.amdhsa_exception_fp_ieee_invalid_op 0
		.amdhsa_exception_fp_denorm_src 0
		.amdhsa_exception_fp_ieee_div_zero 0
		.amdhsa_exception_fp_ieee_overflow 0
		.amdhsa_exception_fp_ieee_underflow 0
		.amdhsa_exception_fp_ieee_inexact 0
		.amdhsa_exception_int_div_zero 0
	.end_amdhsa_kernel
	.section	.text._ZN7rocprim17ROCPRIM_400000_NS6detail17trampoline_kernelINS0_14default_configENS1_38merge_sort_block_merge_config_selectorIilEEZZNS1_27merge_sort_block_merge_implIS3_PiN6thrust23THRUST_200600_302600_NS10device_ptrIlEEjNS1_19radix_merge_compareILb0ELb1EiNS0_19identity_decomposerEEEEE10hipError_tT0_T1_T2_jT3_P12ihipStream_tbPNSt15iterator_traitsISG_E10value_typeEPNSM_ISH_E10value_typeEPSI_NS1_7vsmem_tEENKUlT_SG_SH_SI_E_clIS7_S7_SB_PlEESF_SV_SG_SH_SI_EUlSV_E0_NS1_11comp_targetILNS1_3genE0ELNS1_11target_archE4294967295ELNS1_3gpuE0ELNS1_3repE0EEENS1_38merge_mergepath_config_static_selectorELNS0_4arch9wavefront6targetE1EEEvSH_,"axG",@progbits,_ZN7rocprim17ROCPRIM_400000_NS6detail17trampoline_kernelINS0_14default_configENS1_38merge_sort_block_merge_config_selectorIilEEZZNS1_27merge_sort_block_merge_implIS3_PiN6thrust23THRUST_200600_302600_NS10device_ptrIlEEjNS1_19radix_merge_compareILb0ELb1EiNS0_19identity_decomposerEEEEE10hipError_tT0_T1_T2_jT3_P12ihipStream_tbPNSt15iterator_traitsISG_E10value_typeEPNSM_ISH_E10value_typeEPSI_NS1_7vsmem_tEENKUlT_SG_SH_SI_E_clIS7_S7_SB_PlEESF_SV_SG_SH_SI_EUlSV_E0_NS1_11comp_targetILNS1_3genE0ELNS1_11target_archE4294967295ELNS1_3gpuE0ELNS1_3repE0EEENS1_38merge_mergepath_config_static_selectorELNS0_4arch9wavefront6targetE1EEEvSH_,comdat
.Lfunc_end832:
	.size	_ZN7rocprim17ROCPRIM_400000_NS6detail17trampoline_kernelINS0_14default_configENS1_38merge_sort_block_merge_config_selectorIilEEZZNS1_27merge_sort_block_merge_implIS3_PiN6thrust23THRUST_200600_302600_NS10device_ptrIlEEjNS1_19radix_merge_compareILb0ELb1EiNS0_19identity_decomposerEEEEE10hipError_tT0_T1_T2_jT3_P12ihipStream_tbPNSt15iterator_traitsISG_E10value_typeEPNSM_ISH_E10value_typeEPSI_NS1_7vsmem_tEENKUlT_SG_SH_SI_E_clIS7_S7_SB_PlEESF_SV_SG_SH_SI_EUlSV_E0_NS1_11comp_targetILNS1_3genE0ELNS1_11target_archE4294967295ELNS1_3gpuE0ELNS1_3repE0EEENS1_38merge_mergepath_config_static_selectorELNS0_4arch9wavefront6targetE1EEEvSH_, .Lfunc_end832-_ZN7rocprim17ROCPRIM_400000_NS6detail17trampoline_kernelINS0_14default_configENS1_38merge_sort_block_merge_config_selectorIilEEZZNS1_27merge_sort_block_merge_implIS3_PiN6thrust23THRUST_200600_302600_NS10device_ptrIlEEjNS1_19radix_merge_compareILb0ELb1EiNS0_19identity_decomposerEEEEE10hipError_tT0_T1_T2_jT3_P12ihipStream_tbPNSt15iterator_traitsISG_E10value_typeEPNSM_ISH_E10value_typeEPSI_NS1_7vsmem_tEENKUlT_SG_SH_SI_E_clIS7_S7_SB_PlEESF_SV_SG_SH_SI_EUlSV_E0_NS1_11comp_targetILNS1_3genE0ELNS1_11target_archE4294967295ELNS1_3gpuE0ELNS1_3repE0EEENS1_38merge_mergepath_config_static_selectorELNS0_4arch9wavefront6targetE1EEEvSH_
                                        ; -- End function
	.section	.AMDGPU.csdata,"",@progbits
; Kernel info:
; codeLenInByte = 0
; NumSgprs: 4
; NumVgprs: 0
; NumAgprs: 0
; TotalNumVgprs: 0
; ScratchSize: 0
; MemoryBound: 0
; FloatMode: 240
; IeeeMode: 1
; LDSByteSize: 0 bytes/workgroup (compile time only)
; SGPRBlocks: 0
; VGPRBlocks: 0
; NumSGPRsForWavesPerEU: 4
; NumVGPRsForWavesPerEU: 1
; AccumOffset: 4
; Occupancy: 8
; WaveLimiterHint : 0
; COMPUTE_PGM_RSRC2:SCRATCH_EN: 0
; COMPUTE_PGM_RSRC2:USER_SGPR: 6
; COMPUTE_PGM_RSRC2:TRAP_HANDLER: 0
; COMPUTE_PGM_RSRC2:TGID_X_EN: 1
; COMPUTE_PGM_RSRC2:TGID_Y_EN: 0
; COMPUTE_PGM_RSRC2:TGID_Z_EN: 0
; COMPUTE_PGM_RSRC2:TIDIG_COMP_CNT: 0
; COMPUTE_PGM_RSRC3_GFX90A:ACCUM_OFFSET: 0
; COMPUTE_PGM_RSRC3_GFX90A:TG_SPLIT: 0
	.section	.text._ZN7rocprim17ROCPRIM_400000_NS6detail17trampoline_kernelINS0_14default_configENS1_38merge_sort_block_merge_config_selectorIilEEZZNS1_27merge_sort_block_merge_implIS3_PiN6thrust23THRUST_200600_302600_NS10device_ptrIlEEjNS1_19radix_merge_compareILb0ELb1EiNS0_19identity_decomposerEEEEE10hipError_tT0_T1_T2_jT3_P12ihipStream_tbPNSt15iterator_traitsISG_E10value_typeEPNSM_ISH_E10value_typeEPSI_NS1_7vsmem_tEENKUlT_SG_SH_SI_E_clIS7_S7_SB_PlEESF_SV_SG_SH_SI_EUlSV_E0_NS1_11comp_targetILNS1_3genE10ELNS1_11target_archE1201ELNS1_3gpuE5ELNS1_3repE0EEENS1_38merge_mergepath_config_static_selectorELNS0_4arch9wavefront6targetE1EEEvSH_,"axG",@progbits,_ZN7rocprim17ROCPRIM_400000_NS6detail17trampoline_kernelINS0_14default_configENS1_38merge_sort_block_merge_config_selectorIilEEZZNS1_27merge_sort_block_merge_implIS3_PiN6thrust23THRUST_200600_302600_NS10device_ptrIlEEjNS1_19radix_merge_compareILb0ELb1EiNS0_19identity_decomposerEEEEE10hipError_tT0_T1_T2_jT3_P12ihipStream_tbPNSt15iterator_traitsISG_E10value_typeEPNSM_ISH_E10value_typeEPSI_NS1_7vsmem_tEENKUlT_SG_SH_SI_E_clIS7_S7_SB_PlEESF_SV_SG_SH_SI_EUlSV_E0_NS1_11comp_targetILNS1_3genE10ELNS1_11target_archE1201ELNS1_3gpuE5ELNS1_3repE0EEENS1_38merge_mergepath_config_static_selectorELNS0_4arch9wavefront6targetE1EEEvSH_,comdat
	.protected	_ZN7rocprim17ROCPRIM_400000_NS6detail17trampoline_kernelINS0_14default_configENS1_38merge_sort_block_merge_config_selectorIilEEZZNS1_27merge_sort_block_merge_implIS3_PiN6thrust23THRUST_200600_302600_NS10device_ptrIlEEjNS1_19radix_merge_compareILb0ELb1EiNS0_19identity_decomposerEEEEE10hipError_tT0_T1_T2_jT3_P12ihipStream_tbPNSt15iterator_traitsISG_E10value_typeEPNSM_ISH_E10value_typeEPSI_NS1_7vsmem_tEENKUlT_SG_SH_SI_E_clIS7_S7_SB_PlEESF_SV_SG_SH_SI_EUlSV_E0_NS1_11comp_targetILNS1_3genE10ELNS1_11target_archE1201ELNS1_3gpuE5ELNS1_3repE0EEENS1_38merge_mergepath_config_static_selectorELNS0_4arch9wavefront6targetE1EEEvSH_ ; -- Begin function _ZN7rocprim17ROCPRIM_400000_NS6detail17trampoline_kernelINS0_14default_configENS1_38merge_sort_block_merge_config_selectorIilEEZZNS1_27merge_sort_block_merge_implIS3_PiN6thrust23THRUST_200600_302600_NS10device_ptrIlEEjNS1_19radix_merge_compareILb0ELb1EiNS0_19identity_decomposerEEEEE10hipError_tT0_T1_T2_jT3_P12ihipStream_tbPNSt15iterator_traitsISG_E10value_typeEPNSM_ISH_E10value_typeEPSI_NS1_7vsmem_tEENKUlT_SG_SH_SI_E_clIS7_S7_SB_PlEESF_SV_SG_SH_SI_EUlSV_E0_NS1_11comp_targetILNS1_3genE10ELNS1_11target_archE1201ELNS1_3gpuE5ELNS1_3repE0EEENS1_38merge_mergepath_config_static_selectorELNS0_4arch9wavefront6targetE1EEEvSH_
	.globl	_ZN7rocprim17ROCPRIM_400000_NS6detail17trampoline_kernelINS0_14default_configENS1_38merge_sort_block_merge_config_selectorIilEEZZNS1_27merge_sort_block_merge_implIS3_PiN6thrust23THRUST_200600_302600_NS10device_ptrIlEEjNS1_19radix_merge_compareILb0ELb1EiNS0_19identity_decomposerEEEEE10hipError_tT0_T1_T2_jT3_P12ihipStream_tbPNSt15iterator_traitsISG_E10value_typeEPNSM_ISH_E10value_typeEPSI_NS1_7vsmem_tEENKUlT_SG_SH_SI_E_clIS7_S7_SB_PlEESF_SV_SG_SH_SI_EUlSV_E0_NS1_11comp_targetILNS1_3genE10ELNS1_11target_archE1201ELNS1_3gpuE5ELNS1_3repE0EEENS1_38merge_mergepath_config_static_selectorELNS0_4arch9wavefront6targetE1EEEvSH_
	.p2align	8
	.type	_ZN7rocprim17ROCPRIM_400000_NS6detail17trampoline_kernelINS0_14default_configENS1_38merge_sort_block_merge_config_selectorIilEEZZNS1_27merge_sort_block_merge_implIS3_PiN6thrust23THRUST_200600_302600_NS10device_ptrIlEEjNS1_19radix_merge_compareILb0ELb1EiNS0_19identity_decomposerEEEEE10hipError_tT0_T1_T2_jT3_P12ihipStream_tbPNSt15iterator_traitsISG_E10value_typeEPNSM_ISH_E10value_typeEPSI_NS1_7vsmem_tEENKUlT_SG_SH_SI_E_clIS7_S7_SB_PlEESF_SV_SG_SH_SI_EUlSV_E0_NS1_11comp_targetILNS1_3genE10ELNS1_11target_archE1201ELNS1_3gpuE5ELNS1_3repE0EEENS1_38merge_mergepath_config_static_selectorELNS0_4arch9wavefront6targetE1EEEvSH_,@function
_ZN7rocprim17ROCPRIM_400000_NS6detail17trampoline_kernelINS0_14default_configENS1_38merge_sort_block_merge_config_selectorIilEEZZNS1_27merge_sort_block_merge_implIS3_PiN6thrust23THRUST_200600_302600_NS10device_ptrIlEEjNS1_19radix_merge_compareILb0ELb1EiNS0_19identity_decomposerEEEEE10hipError_tT0_T1_T2_jT3_P12ihipStream_tbPNSt15iterator_traitsISG_E10value_typeEPNSM_ISH_E10value_typeEPSI_NS1_7vsmem_tEENKUlT_SG_SH_SI_E_clIS7_S7_SB_PlEESF_SV_SG_SH_SI_EUlSV_E0_NS1_11comp_targetILNS1_3genE10ELNS1_11target_archE1201ELNS1_3gpuE5ELNS1_3repE0EEENS1_38merge_mergepath_config_static_selectorELNS0_4arch9wavefront6targetE1EEEvSH_: ; @_ZN7rocprim17ROCPRIM_400000_NS6detail17trampoline_kernelINS0_14default_configENS1_38merge_sort_block_merge_config_selectorIilEEZZNS1_27merge_sort_block_merge_implIS3_PiN6thrust23THRUST_200600_302600_NS10device_ptrIlEEjNS1_19radix_merge_compareILb0ELb1EiNS0_19identity_decomposerEEEEE10hipError_tT0_T1_T2_jT3_P12ihipStream_tbPNSt15iterator_traitsISG_E10value_typeEPNSM_ISH_E10value_typeEPSI_NS1_7vsmem_tEENKUlT_SG_SH_SI_E_clIS7_S7_SB_PlEESF_SV_SG_SH_SI_EUlSV_E0_NS1_11comp_targetILNS1_3genE10ELNS1_11target_archE1201ELNS1_3gpuE5ELNS1_3repE0EEENS1_38merge_mergepath_config_static_selectorELNS0_4arch9wavefront6targetE1EEEvSH_
; %bb.0:
	.section	.rodata,"a",@progbits
	.p2align	6, 0x0
	.amdhsa_kernel _ZN7rocprim17ROCPRIM_400000_NS6detail17trampoline_kernelINS0_14default_configENS1_38merge_sort_block_merge_config_selectorIilEEZZNS1_27merge_sort_block_merge_implIS3_PiN6thrust23THRUST_200600_302600_NS10device_ptrIlEEjNS1_19radix_merge_compareILb0ELb1EiNS0_19identity_decomposerEEEEE10hipError_tT0_T1_T2_jT3_P12ihipStream_tbPNSt15iterator_traitsISG_E10value_typeEPNSM_ISH_E10value_typeEPSI_NS1_7vsmem_tEENKUlT_SG_SH_SI_E_clIS7_S7_SB_PlEESF_SV_SG_SH_SI_EUlSV_E0_NS1_11comp_targetILNS1_3genE10ELNS1_11target_archE1201ELNS1_3gpuE5ELNS1_3repE0EEENS1_38merge_mergepath_config_static_selectorELNS0_4arch9wavefront6targetE1EEEvSH_
		.amdhsa_group_segment_fixed_size 0
		.amdhsa_private_segment_fixed_size 0
		.amdhsa_kernarg_size 64
		.amdhsa_user_sgpr_count 6
		.amdhsa_user_sgpr_private_segment_buffer 1
		.amdhsa_user_sgpr_dispatch_ptr 0
		.amdhsa_user_sgpr_queue_ptr 0
		.amdhsa_user_sgpr_kernarg_segment_ptr 1
		.amdhsa_user_sgpr_dispatch_id 0
		.amdhsa_user_sgpr_flat_scratch_init 0
		.amdhsa_user_sgpr_kernarg_preload_length 0
		.amdhsa_user_sgpr_kernarg_preload_offset 0
		.amdhsa_user_sgpr_private_segment_size 0
		.amdhsa_uses_dynamic_stack 0
		.amdhsa_system_sgpr_private_segment_wavefront_offset 0
		.amdhsa_system_sgpr_workgroup_id_x 1
		.amdhsa_system_sgpr_workgroup_id_y 0
		.amdhsa_system_sgpr_workgroup_id_z 0
		.amdhsa_system_sgpr_workgroup_info 0
		.amdhsa_system_vgpr_workitem_id 0
		.amdhsa_next_free_vgpr 1
		.amdhsa_next_free_sgpr 0
		.amdhsa_accum_offset 4
		.amdhsa_reserve_vcc 0
		.amdhsa_reserve_flat_scratch 0
		.amdhsa_float_round_mode_32 0
		.amdhsa_float_round_mode_16_64 0
		.amdhsa_float_denorm_mode_32 3
		.amdhsa_float_denorm_mode_16_64 3
		.amdhsa_dx10_clamp 1
		.amdhsa_ieee_mode 1
		.amdhsa_fp16_overflow 0
		.amdhsa_tg_split 0
		.amdhsa_exception_fp_ieee_invalid_op 0
		.amdhsa_exception_fp_denorm_src 0
		.amdhsa_exception_fp_ieee_div_zero 0
		.amdhsa_exception_fp_ieee_overflow 0
		.amdhsa_exception_fp_ieee_underflow 0
		.amdhsa_exception_fp_ieee_inexact 0
		.amdhsa_exception_int_div_zero 0
	.end_amdhsa_kernel
	.section	.text._ZN7rocprim17ROCPRIM_400000_NS6detail17trampoline_kernelINS0_14default_configENS1_38merge_sort_block_merge_config_selectorIilEEZZNS1_27merge_sort_block_merge_implIS3_PiN6thrust23THRUST_200600_302600_NS10device_ptrIlEEjNS1_19radix_merge_compareILb0ELb1EiNS0_19identity_decomposerEEEEE10hipError_tT0_T1_T2_jT3_P12ihipStream_tbPNSt15iterator_traitsISG_E10value_typeEPNSM_ISH_E10value_typeEPSI_NS1_7vsmem_tEENKUlT_SG_SH_SI_E_clIS7_S7_SB_PlEESF_SV_SG_SH_SI_EUlSV_E0_NS1_11comp_targetILNS1_3genE10ELNS1_11target_archE1201ELNS1_3gpuE5ELNS1_3repE0EEENS1_38merge_mergepath_config_static_selectorELNS0_4arch9wavefront6targetE1EEEvSH_,"axG",@progbits,_ZN7rocprim17ROCPRIM_400000_NS6detail17trampoline_kernelINS0_14default_configENS1_38merge_sort_block_merge_config_selectorIilEEZZNS1_27merge_sort_block_merge_implIS3_PiN6thrust23THRUST_200600_302600_NS10device_ptrIlEEjNS1_19radix_merge_compareILb0ELb1EiNS0_19identity_decomposerEEEEE10hipError_tT0_T1_T2_jT3_P12ihipStream_tbPNSt15iterator_traitsISG_E10value_typeEPNSM_ISH_E10value_typeEPSI_NS1_7vsmem_tEENKUlT_SG_SH_SI_E_clIS7_S7_SB_PlEESF_SV_SG_SH_SI_EUlSV_E0_NS1_11comp_targetILNS1_3genE10ELNS1_11target_archE1201ELNS1_3gpuE5ELNS1_3repE0EEENS1_38merge_mergepath_config_static_selectorELNS0_4arch9wavefront6targetE1EEEvSH_,comdat
.Lfunc_end833:
	.size	_ZN7rocprim17ROCPRIM_400000_NS6detail17trampoline_kernelINS0_14default_configENS1_38merge_sort_block_merge_config_selectorIilEEZZNS1_27merge_sort_block_merge_implIS3_PiN6thrust23THRUST_200600_302600_NS10device_ptrIlEEjNS1_19radix_merge_compareILb0ELb1EiNS0_19identity_decomposerEEEEE10hipError_tT0_T1_T2_jT3_P12ihipStream_tbPNSt15iterator_traitsISG_E10value_typeEPNSM_ISH_E10value_typeEPSI_NS1_7vsmem_tEENKUlT_SG_SH_SI_E_clIS7_S7_SB_PlEESF_SV_SG_SH_SI_EUlSV_E0_NS1_11comp_targetILNS1_3genE10ELNS1_11target_archE1201ELNS1_3gpuE5ELNS1_3repE0EEENS1_38merge_mergepath_config_static_selectorELNS0_4arch9wavefront6targetE1EEEvSH_, .Lfunc_end833-_ZN7rocprim17ROCPRIM_400000_NS6detail17trampoline_kernelINS0_14default_configENS1_38merge_sort_block_merge_config_selectorIilEEZZNS1_27merge_sort_block_merge_implIS3_PiN6thrust23THRUST_200600_302600_NS10device_ptrIlEEjNS1_19radix_merge_compareILb0ELb1EiNS0_19identity_decomposerEEEEE10hipError_tT0_T1_T2_jT3_P12ihipStream_tbPNSt15iterator_traitsISG_E10value_typeEPNSM_ISH_E10value_typeEPSI_NS1_7vsmem_tEENKUlT_SG_SH_SI_E_clIS7_S7_SB_PlEESF_SV_SG_SH_SI_EUlSV_E0_NS1_11comp_targetILNS1_3genE10ELNS1_11target_archE1201ELNS1_3gpuE5ELNS1_3repE0EEENS1_38merge_mergepath_config_static_selectorELNS0_4arch9wavefront6targetE1EEEvSH_
                                        ; -- End function
	.section	.AMDGPU.csdata,"",@progbits
; Kernel info:
; codeLenInByte = 0
; NumSgprs: 4
; NumVgprs: 0
; NumAgprs: 0
; TotalNumVgprs: 0
; ScratchSize: 0
; MemoryBound: 0
; FloatMode: 240
; IeeeMode: 1
; LDSByteSize: 0 bytes/workgroup (compile time only)
; SGPRBlocks: 0
; VGPRBlocks: 0
; NumSGPRsForWavesPerEU: 4
; NumVGPRsForWavesPerEU: 1
; AccumOffset: 4
; Occupancy: 8
; WaveLimiterHint : 0
; COMPUTE_PGM_RSRC2:SCRATCH_EN: 0
; COMPUTE_PGM_RSRC2:USER_SGPR: 6
; COMPUTE_PGM_RSRC2:TRAP_HANDLER: 0
; COMPUTE_PGM_RSRC2:TGID_X_EN: 1
; COMPUTE_PGM_RSRC2:TGID_Y_EN: 0
; COMPUTE_PGM_RSRC2:TGID_Z_EN: 0
; COMPUTE_PGM_RSRC2:TIDIG_COMP_CNT: 0
; COMPUTE_PGM_RSRC3_GFX90A:ACCUM_OFFSET: 0
; COMPUTE_PGM_RSRC3_GFX90A:TG_SPLIT: 0
	.section	.text._ZN7rocprim17ROCPRIM_400000_NS6detail17trampoline_kernelINS0_14default_configENS1_38merge_sort_block_merge_config_selectorIilEEZZNS1_27merge_sort_block_merge_implIS3_PiN6thrust23THRUST_200600_302600_NS10device_ptrIlEEjNS1_19radix_merge_compareILb0ELb1EiNS0_19identity_decomposerEEEEE10hipError_tT0_T1_T2_jT3_P12ihipStream_tbPNSt15iterator_traitsISG_E10value_typeEPNSM_ISH_E10value_typeEPSI_NS1_7vsmem_tEENKUlT_SG_SH_SI_E_clIS7_S7_SB_PlEESF_SV_SG_SH_SI_EUlSV_E0_NS1_11comp_targetILNS1_3genE5ELNS1_11target_archE942ELNS1_3gpuE9ELNS1_3repE0EEENS1_38merge_mergepath_config_static_selectorELNS0_4arch9wavefront6targetE1EEEvSH_,"axG",@progbits,_ZN7rocprim17ROCPRIM_400000_NS6detail17trampoline_kernelINS0_14default_configENS1_38merge_sort_block_merge_config_selectorIilEEZZNS1_27merge_sort_block_merge_implIS3_PiN6thrust23THRUST_200600_302600_NS10device_ptrIlEEjNS1_19radix_merge_compareILb0ELb1EiNS0_19identity_decomposerEEEEE10hipError_tT0_T1_T2_jT3_P12ihipStream_tbPNSt15iterator_traitsISG_E10value_typeEPNSM_ISH_E10value_typeEPSI_NS1_7vsmem_tEENKUlT_SG_SH_SI_E_clIS7_S7_SB_PlEESF_SV_SG_SH_SI_EUlSV_E0_NS1_11comp_targetILNS1_3genE5ELNS1_11target_archE942ELNS1_3gpuE9ELNS1_3repE0EEENS1_38merge_mergepath_config_static_selectorELNS0_4arch9wavefront6targetE1EEEvSH_,comdat
	.protected	_ZN7rocprim17ROCPRIM_400000_NS6detail17trampoline_kernelINS0_14default_configENS1_38merge_sort_block_merge_config_selectorIilEEZZNS1_27merge_sort_block_merge_implIS3_PiN6thrust23THRUST_200600_302600_NS10device_ptrIlEEjNS1_19radix_merge_compareILb0ELb1EiNS0_19identity_decomposerEEEEE10hipError_tT0_T1_T2_jT3_P12ihipStream_tbPNSt15iterator_traitsISG_E10value_typeEPNSM_ISH_E10value_typeEPSI_NS1_7vsmem_tEENKUlT_SG_SH_SI_E_clIS7_S7_SB_PlEESF_SV_SG_SH_SI_EUlSV_E0_NS1_11comp_targetILNS1_3genE5ELNS1_11target_archE942ELNS1_3gpuE9ELNS1_3repE0EEENS1_38merge_mergepath_config_static_selectorELNS0_4arch9wavefront6targetE1EEEvSH_ ; -- Begin function _ZN7rocprim17ROCPRIM_400000_NS6detail17trampoline_kernelINS0_14default_configENS1_38merge_sort_block_merge_config_selectorIilEEZZNS1_27merge_sort_block_merge_implIS3_PiN6thrust23THRUST_200600_302600_NS10device_ptrIlEEjNS1_19radix_merge_compareILb0ELb1EiNS0_19identity_decomposerEEEEE10hipError_tT0_T1_T2_jT3_P12ihipStream_tbPNSt15iterator_traitsISG_E10value_typeEPNSM_ISH_E10value_typeEPSI_NS1_7vsmem_tEENKUlT_SG_SH_SI_E_clIS7_S7_SB_PlEESF_SV_SG_SH_SI_EUlSV_E0_NS1_11comp_targetILNS1_3genE5ELNS1_11target_archE942ELNS1_3gpuE9ELNS1_3repE0EEENS1_38merge_mergepath_config_static_selectorELNS0_4arch9wavefront6targetE1EEEvSH_
	.globl	_ZN7rocprim17ROCPRIM_400000_NS6detail17trampoline_kernelINS0_14default_configENS1_38merge_sort_block_merge_config_selectorIilEEZZNS1_27merge_sort_block_merge_implIS3_PiN6thrust23THRUST_200600_302600_NS10device_ptrIlEEjNS1_19radix_merge_compareILb0ELb1EiNS0_19identity_decomposerEEEEE10hipError_tT0_T1_T2_jT3_P12ihipStream_tbPNSt15iterator_traitsISG_E10value_typeEPNSM_ISH_E10value_typeEPSI_NS1_7vsmem_tEENKUlT_SG_SH_SI_E_clIS7_S7_SB_PlEESF_SV_SG_SH_SI_EUlSV_E0_NS1_11comp_targetILNS1_3genE5ELNS1_11target_archE942ELNS1_3gpuE9ELNS1_3repE0EEENS1_38merge_mergepath_config_static_selectorELNS0_4arch9wavefront6targetE1EEEvSH_
	.p2align	8
	.type	_ZN7rocprim17ROCPRIM_400000_NS6detail17trampoline_kernelINS0_14default_configENS1_38merge_sort_block_merge_config_selectorIilEEZZNS1_27merge_sort_block_merge_implIS3_PiN6thrust23THRUST_200600_302600_NS10device_ptrIlEEjNS1_19radix_merge_compareILb0ELb1EiNS0_19identity_decomposerEEEEE10hipError_tT0_T1_T2_jT3_P12ihipStream_tbPNSt15iterator_traitsISG_E10value_typeEPNSM_ISH_E10value_typeEPSI_NS1_7vsmem_tEENKUlT_SG_SH_SI_E_clIS7_S7_SB_PlEESF_SV_SG_SH_SI_EUlSV_E0_NS1_11comp_targetILNS1_3genE5ELNS1_11target_archE942ELNS1_3gpuE9ELNS1_3repE0EEENS1_38merge_mergepath_config_static_selectorELNS0_4arch9wavefront6targetE1EEEvSH_,@function
_ZN7rocprim17ROCPRIM_400000_NS6detail17trampoline_kernelINS0_14default_configENS1_38merge_sort_block_merge_config_selectorIilEEZZNS1_27merge_sort_block_merge_implIS3_PiN6thrust23THRUST_200600_302600_NS10device_ptrIlEEjNS1_19radix_merge_compareILb0ELb1EiNS0_19identity_decomposerEEEEE10hipError_tT0_T1_T2_jT3_P12ihipStream_tbPNSt15iterator_traitsISG_E10value_typeEPNSM_ISH_E10value_typeEPSI_NS1_7vsmem_tEENKUlT_SG_SH_SI_E_clIS7_S7_SB_PlEESF_SV_SG_SH_SI_EUlSV_E0_NS1_11comp_targetILNS1_3genE5ELNS1_11target_archE942ELNS1_3gpuE9ELNS1_3repE0EEENS1_38merge_mergepath_config_static_selectorELNS0_4arch9wavefront6targetE1EEEvSH_: ; @_ZN7rocprim17ROCPRIM_400000_NS6detail17trampoline_kernelINS0_14default_configENS1_38merge_sort_block_merge_config_selectorIilEEZZNS1_27merge_sort_block_merge_implIS3_PiN6thrust23THRUST_200600_302600_NS10device_ptrIlEEjNS1_19radix_merge_compareILb0ELb1EiNS0_19identity_decomposerEEEEE10hipError_tT0_T1_T2_jT3_P12ihipStream_tbPNSt15iterator_traitsISG_E10value_typeEPNSM_ISH_E10value_typeEPSI_NS1_7vsmem_tEENKUlT_SG_SH_SI_E_clIS7_S7_SB_PlEESF_SV_SG_SH_SI_EUlSV_E0_NS1_11comp_targetILNS1_3genE5ELNS1_11target_archE942ELNS1_3gpuE9ELNS1_3repE0EEENS1_38merge_mergepath_config_static_selectorELNS0_4arch9wavefront6targetE1EEEvSH_
; %bb.0:
	.section	.rodata,"a",@progbits
	.p2align	6, 0x0
	.amdhsa_kernel _ZN7rocprim17ROCPRIM_400000_NS6detail17trampoline_kernelINS0_14default_configENS1_38merge_sort_block_merge_config_selectorIilEEZZNS1_27merge_sort_block_merge_implIS3_PiN6thrust23THRUST_200600_302600_NS10device_ptrIlEEjNS1_19radix_merge_compareILb0ELb1EiNS0_19identity_decomposerEEEEE10hipError_tT0_T1_T2_jT3_P12ihipStream_tbPNSt15iterator_traitsISG_E10value_typeEPNSM_ISH_E10value_typeEPSI_NS1_7vsmem_tEENKUlT_SG_SH_SI_E_clIS7_S7_SB_PlEESF_SV_SG_SH_SI_EUlSV_E0_NS1_11comp_targetILNS1_3genE5ELNS1_11target_archE942ELNS1_3gpuE9ELNS1_3repE0EEENS1_38merge_mergepath_config_static_selectorELNS0_4arch9wavefront6targetE1EEEvSH_
		.amdhsa_group_segment_fixed_size 0
		.amdhsa_private_segment_fixed_size 0
		.amdhsa_kernarg_size 64
		.amdhsa_user_sgpr_count 6
		.amdhsa_user_sgpr_private_segment_buffer 1
		.amdhsa_user_sgpr_dispatch_ptr 0
		.amdhsa_user_sgpr_queue_ptr 0
		.amdhsa_user_sgpr_kernarg_segment_ptr 1
		.amdhsa_user_sgpr_dispatch_id 0
		.amdhsa_user_sgpr_flat_scratch_init 0
		.amdhsa_user_sgpr_kernarg_preload_length 0
		.amdhsa_user_sgpr_kernarg_preload_offset 0
		.amdhsa_user_sgpr_private_segment_size 0
		.amdhsa_uses_dynamic_stack 0
		.amdhsa_system_sgpr_private_segment_wavefront_offset 0
		.amdhsa_system_sgpr_workgroup_id_x 1
		.amdhsa_system_sgpr_workgroup_id_y 0
		.amdhsa_system_sgpr_workgroup_id_z 0
		.amdhsa_system_sgpr_workgroup_info 0
		.amdhsa_system_vgpr_workitem_id 0
		.amdhsa_next_free_vgpr 1
		.amdhsa_next_free_sgpr 0
		.amdhsa_accum_offset 4
		.amdhsa_reserve_vcc 0
		.amdhsa_reserve_flat_scratch 0
		.amdhsa_float_round_mode_32 0
		.amdhsa_float_round_mode_16_64 0
		.amdhsa_float_denorm_mode_32 3
		.amdhsa_float_denorm_mode_16_64 3
		.amdhsa_dx10_clamp 1
		.amdhsa_ieee_mode 1
		.amdhsa_fp16_overflow 0
		.amdhsa_tg_split 0
		.amdhsa_exception_fp_ieee_invalid_op 0
		.amdhsa_exception_fp_denorm_src 0
		.amdhsa_exception_fp_ieee_div_zero 0
		.amdhsa_exception_fp_ieee_overflow 0
		.amdhsa_exception_fp_ieee_underflow 0
		.amdhsa_exception_fp_ieee_inexact 0
		.amdhsa_exception_int_div_zero 0
	.end_amdhsa_kernel
	.section	.text._ZN7rocprim17ROCPRIM_400000_NS6detail17trampoline_kernelINS0_14default_configENS1_38merge_sort_block_merge_config_selectorIilEEZZNS1_27merge_sort_block_merge_implIS3_PiN6thrust23THRUST_200600_302600_NS10device_ptrIlEEjNS1_19radix_merge_compareILb0ELb1EiNS0_19identity_decomposerEEEEE10hipError_tT0_T1_T2_jT3_P12ihipStream_tbPNSt15iterator_traitsISG_E10value_typeEPNSM_ISH_E10value_typeEPSI_NS1_7vsmem_tEENKUlT_SG_SH_SI_E_clIS7_S7_SB_PlEESF_SV_SG_SH_SI_EUlSV_E0_NS1_11comp_targetILNS1_3genE5ELNS1_11target_archE942ELNS1_3gpuE9ELNS1_3repE0EEENS1_38merge_mergepath_config_static_selectorELNS0_4arch9wavefront6targetE1EEEvSH_,"axG",@progbits,_ZN7rocprim17ROCPRIM_400000_NS6detail17trampoline_kernelINS0_14default_configENS1_38merge_sort_block_merge_config_selectorIilEEZZNS1_27merge_sort_block_merge_implIS3_PiN6thrust23THRUST_200600_302600_NS10device_ptrIlEEjNS1_19radix_merge_compareILb0ELb1EiNS0_19identity_decomposerEEEEE10hipError_tT0_T1_T2_jT3_P12ihipStream_tbPNSt15iterator_traitsISG_E10value_typeEPNSM_ISH_E10value_typeEPSI_NS1_7vsmem_tEENKUlT_SG_SH_SI_E_clIS7_S7_SB_PlEESF_SV_SG_SH_SI_EUlSV_E0_NS1_11comp_targetILNS1_3genE5ELNS1_11target_archE942ELNS1_3gpuE9ELNS1_3repE0EEENS1_38merge_mergepath_config_static_selectorELNS0_4arch9wavefront6targetE1EEEvSH_,comdat
.Lfunc_end834:
	.size	_ZN7rocprim17ROCPRIM_400000_NS6detail17trampoline_kernelINS0_14default_configENS1_38merge_sort_block_merge_config_selectorIilEEZZNS1_27merge_sort_block_merge_implIS3_PiN6thrust23THRUST_200600_302600_NS10device_ptrIlEEjNS1_19radix_merge_compareILb0ELb1EiNS0_19identity_decomposerEEEEE10hipError_tT0_T1_T2_jT3_P12ihipStream_tbPNSt15iterator_traitsISG_E10value_typeEPNSM_ISH_E10value_typeEPSI_NS1_7vsmem_tEENKUlT_SG_SH_SI_E_clIS7_S7_SB_PlEESF_SV_SG_SH_SI_EUlSV_E0_NS1_11comp_targetILNS1_3genE5ELNS1_11target_archE942ELNS1_3gpuE9ELNS1_3repE0EEENS1_38merge_mergepath_config_static_selectorELNS0_4arch9wavefront6targetE1EEEvSH_, .Lfunc_end834-_ZN7rocprim17ROCPRIM_400000_NS6detail17trampoline_kernelINS0_14default_configENS1_38merge_sort_block_merge_config_selectorIilEEZZNS1_27merge_sort_block_merge_implIS3_PiN6thrust23THRUST_200600_302600_NS10device_ptrIlEEjNS1_19radix_merge_compareILb0ELb1EiNS0_19identity_decomposerEEEEE10hipError_tT0_T1_T2_jT3_P12ihipStream_tbPNSt15iterator_traitsISG_E10value_typeEPNSM_ISH_E10value_typeEPSI_NS1_7vsmem_tEENKUlT_SG_SH_SI_E_clIS7_S7_SB_PlEESF_SV_SG_SH_SI_EUlSV_E0_NS1_11comp_targetILNS1_3genE5ELNS1_11target_archE942ELNS1_3gpuE9ELNS1_3repE0EEENS1_38merge_mergepath_config_static_selectorELNS0_4arch9wavefront6targetE1EEEvSH_
                                        ; -- End function
	.section	.AMDGPU.csdata,"",@progbits
; Kernel info:
; codeLenInByte = 0
; NumSgprs: 4
; NumVgprs: 0
; NumAgprs: 0
; TotalNumVgprs: 0
; ScratchSize: 0
; MemoryBound: 0
; FloatMode: 240
; IeeeMode: 1
; LDSByteSize: 0 bytes/workgroup (compile time only)
; SGPRBlocks: 0
; VGPRBlocks: 0
; NumSGPRsForWavesPerEU: 4
; NumVGPRsForWavesPerEU: 1
; AccumOffset: 4
; Occupancy: 8
; WaveLimiterHint : 0
; COMPUTE_PGM_RSRC2:SCRATCH_EN: 0
; COMPUTE_PGM_RSRC2:USER_SGPR: 6
; COMPUTE_PGM_RSRC2:TRAP_HANDLER: 0
; COMPUTE_PGM_RSRC2:TGID_X_EN: 1
; COMPUTE_PGM_RSRC2:TGID_Y_EN: 0
; COMPUTE_PGM_RSRC2:TGID_Z_EN: 0
; COMPUTE_PGM_RSRC2:TIDIG_COMP_CNT: 0
; COMPUTE_PGM_RSRC3_GFX90A:ACCUM_OFFSET: 0
; COMPUTE_PGM_RSRC3_GFX90A:TG_SPLIT: 0
	.section	.text._ZN7rocprim17ROCPRIM_400000_NS6detail17trampoline_kernelINS0_14default_configENS1_38merge_sort_block_merge_config_selectorIilEEZZNS1_27merge_sort_block_merge_implIS3_PiN6thrust23THRUST_200600_302600_NS10device_ptrIlEEjNS1_19radix_merge_compareILb0ELb1EiNS0_19identity_decomposerEEEEE10hipError_tT0_T1_T2_jT3_P12ihipStream_tbPNSt15iterator_traitsISG_E10value_typeEPNSM_ISH_E10value_typeEPSI_NS1_7vsmem_tEENKUlT_SG_SH_SI_E_clIS7_S7_SB_PlEESF_SV_SG_SH_SI_EUlSV_E0_NS1_11comp_targetILNS1_3genE4ELNS1_11target_archE910ELNS1_3gpuE8ELNS1_3repE0EEENS1_38merge_mergepath_config_static_selectorELNS0_4arch9wavefront6targetE1EEEvSH_,"axG",@progbits,_ZN7rocprim17ROCPRIM_400000_NS6detail17trampoline_kernelINS0_14default_configENS1_38merge_sort_block_merge_config_selectorIilEEZZNS1_27merge_sort_block_merge_implIS3_PiN6thrust23THRUST_200600_302600_NS10device_ptrIlEEjNS1_19radix_merge_compareILb0ELb1EiNS0_19identity_decomposerEEEEE10hipError_tT0_T1_T2_jT3_P12ihipStream_tbPNSt15iterator_traitsISG_E10value_typeEPNSM_ISH_E10value_typeEPSI_NS1_7vsmem_tEENKUlT_SG_SH_SI_E_clIS7_S7_SB_PlEESF_SV_SG_SH_SI_EUlSV_E0_NS1_11comp_targetILNS1_3genE4ELNS1_11target_archE910ELNS1_3gpuE8ELNS1_3repE0EEENS1_38merge_mergepath_config_static_selectorELNS0_4arch9wavefront6targetE1EEEvSH_,comdat
	.protected	_ZN7rocprim17ROCPRIM_400000_NS6detail17trampoline_kernelINS0_14default_configENS1_38merge_sort_block_merge_config_selectorIilEEZZNS1_27merge_sort_block_merge_implIS3_PiN6thrust23THRUST_200600_302600_NS10device_ptrIlEEjNS1_19radix_merge_compareILb0ELb1EiNS0_19identity_decomposerEEEEE10hipError_tT0_T1_T2_jT3_P12ihipStream_tbPNSt15iterator_traitsISG_E10value_typeEPNSM_ISH_E10value_typeEPSI_NS1_7vsmem_tEENKUlT_SG_SH_SI_E_clIS7_S7_SB_PlEESF_SV_SG_SH_SI_EUlSV_E0_NS1_11comp_targetILNS1_3genE4ELNS1_11target_archE910ELNS1_3gpuE8ELNS1_3repE0EEENS1_38merge_mergepath_config_static_selectorELNS0_4arch9wavefront6targetE1EEEvSH_ ; -- Begin function _ZN7rocprim17ROCPRIM_400000_NS6detail17trampoline_kernelINS0_14default_configENS1_38merge_sort_block_merge_config_selectorIilEEZZNS1_27merge_sort_block_merge_implIS3_PiN6thrust23THRUST_200600_302600_NS10device_ptrIlEEjNS1_19radix_merge_compareILb0ELb1EiNS0_19identity_decomposerEEEEE10hipError_tT0_T1_T2_jT3_P12ihipStream_tbPNSt15iterator_traitsISG_E10value_typeEPNSM_ISH_E10value_typeEPSI_NS1_7vsmem_tEENKUlT_SG_SH_SI_E_clIS7_S7_SB_PlEESF_SV_SG_SH_SI_EUlSV_E0_NS1_11comp_targetILNS1_3genE4ELNS1_11target_archE910ELNS1_3gpuE8ELNS1_3repE0EEENS1_38merge_mergepath_config_static_selectorELNS0_4arch9wavefront6targetE1EEEvSH_
	.globl	_ZN7rocprim17ROCPRIM_400000_NS6detail17trampoline_kernelINS0_14default_configENS1_38merge_sort_block_merge_config_selectorIilEEZZNS1_27merge_sort_block_merge_implIS3_PiN6thrust23THRUST_200600_302600_NS10device_ptrIlEEjNS1_19radix_merge_compareILb0ELb1EiNS0_19identity_decomposerEEEEE10hipError_tT0_T1_T2_jT3_P12ihipStream_tbPNSt15iterator_traitsISG_E10value_typeEPNSM_ISH_E10value_typeEPSI_NS1_7vsmem_tEENKUlT_SG_SH_SI_E_clIS7_S7_SB_PlEESF_SV_SG_SH_SI_EUlSV_E0_NS1_11comp_targetILNS1_3genE4ELNS1_11target_archE910ELNS1_3gpuE8ELNS1_3repE0EEENS1_38merge_mergepath_config_static_selectorELNS0_4arch9wavefront6targetE1EEEvSH_
	.p2align	8
	.type	_ZN7rocprim17ROCPRIM_400000_NS6detail17trampoline_kernelINS0_14default_configENS1_38merge_sort_block_merge_config_selectorIilEEZZNS1_27merge_sort_block_merge_implIS3_PiN6thrust23THRUST_200600_302600_NS10device_ptrIlEEjNS1_19radix_merge_compareILb0ELb1EiNS0_19identity_decomposerEEEEE10hipError_tT0_T1_T2_jT3_P12ihipStream_tbPNSt15iterator_traitsISG_E10value_typeEPNSM_ISH_E10value_typeEPSI_NS1_7vsmem_tEENKUlT_SG_SH_SI_E_clIS7_S7_SB_PlEESF_SV_SG_SH_SI_EUlSV_E0_NS1_11comp_targetILNS1_3genE4ELNS1_11target_archE910ELNS1_3gpuE8ELNS1_3repE0EEENS1_38merge_mergepath_config_static_selectorELNS0_4arch9wavefront6targetE1EEEvSH_,@function
_ZN7rocprim17ROCPRIM_400000_NS6detail17trampoline_kernelINS0_14default_configENS1_38merge_sort_block_merge_config_selectorIilEEZZNS1_27merge_sort_block_merge_implIS3_PiN6thrust23THRUST_200600_302600_NS10device_ptrIlEEjNS1_19radix_merge_compareILb0ELb1EiNS0_19identity_decomposerEEEEE10hipError_tT0_T1_T2_jT3_P12ihipStream_tbPNSt15iterator_traitsISG_E10value_typeEPNSM_ISH_E10value_typeEPSI_NS1_7vsmem_tEENKUlT_SG_SH_SI_E_clIS7_S7_SB_PlEESF_SV_SG_SH_SI_EUlSV_E0_NS1_11comp_targetILNS1_3genE4ELNS1_11target_archE910ELNS1_3gpuE8ELNS1_3repE0EEENS1_38merge_mergepath_config_static_selectorELNS0_4arch9wavefront6targetE1EEEvSH_: ; @_ZN7rocprim17ROCPRIM_400000_NS6detail17trampoline_kernelINS0_14default_configENS1_38merge_sort_block_merge_config_selectorIilEEZZNS1_27merge_sort_block_merge_implIS3_PiN6thrust23THRUST_200600_302600_NS10device_ptrIlEEjNS1_19radix_merge_compareILb0ELb1EiNS0_19identity_decomposerEEEEE10hipError_tT0_T1_T2_jT3_P12ihipStream_tbPNSt15iterator_traitsISG_E10value_typeEPNSM_ISH_E10value_typeEPSI_NS1_7vsmem_tEENKUlT_SG_SH_SI_E_clIS7_S7_SB_PlEESF_SV_SG_SH_SI_EUlSV_E0_NS1_11comp_targetILNS1_3genE4ELNS1_11target_archE910ELNS1_3gpuE8ELNS1_3repE0EEENS1_38merge_mergepath_config_static_selectorELNS0_4arch9wavefront6targetE1EEEvSH_
; %bb.0:
	s_load_dwordx2 s[22:23], s[4:5], 0x40
	s_load_dwordx2 s[16:17], s[4:5], 0x30
	s_add_u32 s0, s4, 64
	s_addc_u32 s1, s5, 0
	s_waitcnt lgkmcnt(0)
	s_mul_i32 s2, s23, s8
	s_add_i32 s2, s2, s7
	s_mul_i32 s2, s2, s22
	s_add_i32 s20, s2, s6
	s_cmp_ge_u32 s20, s16
	s_cbranch_scc1 .LBB835_46
; %bb.1:
	s_load_dwordx8 s[8:15], s[4:5], 0x10
	s_load_dwordx2 s[28:29], s[4:5], 0x8
	s_load_dwordx2 s[2:3], s[4:5], 0x38
	s_mov_b32 s21, 0
	v_mov_b32_e32 v3, 0
	s_waitcnt lgkmcnt(0)
	s_lshr_b32 s7, s14, 10
	s_cmp_lg_u32 s20, s7
	s_cselect_b64 s[18:19], -1, 0
	s_lshl_b64 s[4:5], s[20:21], 2
	s_add_u32 s2, s2, s4
	s_addc_u32 s3, s3, s5
	s_lshr_b32 s4, s15, 9
	s_and_b32 s4, s4, 0x7ffffe
	s_load_dwordx2 s[2:3], s[2:3], 0x0
	s_sub_i32 s5, 0, s4
	s_and_b32 s4, s20, s5
	s_lshl_b32 s23, s4, 10
	s_lshl_b32 s16, s20, 10
	;; [unrolled: 1-line block ×3, first 2 shown]
	s_sub_i32 s24, s16, s23
	s_add_i32 s25, s4, s15
	s_add_i32 s24, s25, s24
	s_waitcnt lgkmcnt(0)
	s_sub_i32 s4, s24, s2
	s_sub_i32 s24, s24, s3
	s_sub_i32 s23, s25, s23
	s_min_u32 s4, s14, s4
	s_addk_i32 s24, 0x400
	s_or_b32 s5, s20, s5
	s_min_u32 s25, s14, s23
	s_add_i32 s23, s23, s15
	s_cmp_eq_u32 s5, -1
	s_cselect_b32 s3, s25, s3
	s_cselect_b32 s5, s23, s24
	s_sub_i32 s15, s3, s2
	s_mov_b32 s3, s21
	s_min_u32 s26, s5, s14
	s_lshl_b64 s[24:25], s[2:3], 2
	s_add_u32 s24, s28, s24
	s_mov_b32 s5, s21
	s_addc_u32 s25, s29, s25
	s_lshl_b64 s[30:31], s[4:5], 2
	s_add_u32 s21, s28, s30
	s_addc_u32 s23, s29, s31
	s_cmp_lt_u32 s6, s22
	s_cselect_b32 s6, 12, 18
	global_load_dword v1, v3, s[0:1] offset:14
	s_add_u32 s0, s0, s6
	s_addc_u32 s1, s1, 0
	global_load_ushort v2, v3, s[0:1]
	s_cmp_eq_u32 s20, s7
	s_waitcnt vmcnt(1)
	v_lshrrev_b32_e32 v4, 16, v1
	v_and_b32_e32 v1, 0xffff, v1
	v_mul_lo_u32 v1, v1, v4
	s_waitcnt vmcnt(0)
	v_mul_lo_u32 v19, v1, v2
	v_add_u32_e32 v16, v19, v0
	v_lshlrev_b32_e32 v1, 2, v0
	v_add_u32_e32 v14, v16, v19
	s_cbranch_scc1 .LBB835_3
; %bb.2:
	v_mov_b32_e32 v2, s25
	v_add_co_u32_e32 v6, vcc, s24, v1
	v_addc_co_u32_e32 v7, vcc, 0, v2, vcc
	v_subrev_u32_e32 v2, s15, v0
	v_lshlrev_b64 v[4:5], 2, v[2:3]
	v_mov_b32_e32 v2, s23
	v_add_co_u32_e32 v4, vcc, s21, v4
	v_addc_co_u32_e32 v2, vcc, v2, v5, vcc
	v_cmp_gt_u32_e32 vcc, s15, v0
	v_cndmask_b32_e32 v5, v2, v7, vcc
	v_cndmask_b32_e32 v4, v4, v6, vcc
	v_mov_b32_e32 v17, v3
	global_load_dword v10, v[4:5], off
	v_lshlrev_b64 v[4:5], 2, v[16:17]
	v_mov_b32_e32 v2, s25
	v_add_co_u32_e32 v6, vcc, s24, v4
	v_addc_co_u32_e32 v7, vcc, v2, v5, vcc
	v_subrev_u32_e32 v2, s15, v16
	v_lshlrev_b64 v[4:5], 2, v[2:3]
	v_mov_b32_e32 v2, s23
	v_add_co_u32_e32 v4, vcc, s21, v4
	v_addc_co_u32_e32 v2, vcc, v2, v5, vcc
	v_cmp_gt_u32_e32 vcc, s15, v16
	v_cndmask_b32_e32 v5, v2, v7, vcc
	v_cndmask_b32_e32 v4, v4, v6, vcc
	v_mov_b32_e32 v15, v3
	global_load_dword v11, v[4:5], off
	v_lshlrev_b64 v[4:5], 2, v[14:15]
	v_mov_b32_e32 v2, s25
	v_add_co_u32_e32 v4, vcc, s24, v4
	v_addc_co_u32_e32 v5, vcc, v2, v5, vcc
	v_subrev_u32_e32 v2, s15, v14
	v_lshlrev_b64 v[2:3], 2, v[2:3]
	v_mov_b32_e32 v6, s23
	v_add_co_u32_e32 v2, vcc, s21, v2
	v_addc_co_u32_e32 v3, vcc, v6, v3, vcc
	v_cmp_gt_u32_e32 vcc, s15, v14
	v_cndmask_b32_e32 v3, v3, v5, vcc
	v_cndmask_b32_e32 v2, v2, v4, vcc
	global_load_dword v12, v[2:3], off
	v_add_u32_e32 v2, v14, v19
	s_mov_b64 s[0:1], -1
	s_sub_i32 s20, s26, s4
	s_cbranch_execz .LBB835_4
	s_branch .LBB835_9
.LBB835_3:
	s_mov_b64 s[0:1], 0
                                        ; implicit-def: $vgpr10_vgpr11_vgpr12_vgpr13
                                        ; implicit-def: $vgpr2
	s_sub_i32 s20, s26, s4
.LBB835_4:
	s_add_i32 s6, s20, s15
	v_cmp_gt_u32_e32 vcc, s6, v0
                                        ; implicit-def: $vgpr10_vgpr11_vgpr12_vgpr13
	s_and_saveexec_b64 s[0:1], vcc
	s_cbranch_execnz .LBB835_47
; %bb.5:
	s_or_b64 exec, exec, s[0:1]
	v_cmp_gt_u32_e32 vcc, s6, v16
	s_and_saveexec_b64 s[0:1], vcc
	s_cbranch_execnz .LBB835_48
.LBB835_6:
	s_or_b64 exec, exec, s[0:1]
	v_cmp_gt_u32_e32 vcc, s6, v14
	s_and_saveexec_b64 s[0:1], vcc
	s_cbranch_execz .LBB835_8
.LBB835_7:
	v_mov_b32_e32 v15, 0
	v_lshlrev_b64 v[2:3], 2, v[14:15]
	v_mov_b32_e32 v4, s25
	v_add_co_u32_e32 v5, vcc, s24, v2
	v_addc_co_u32_e32 v4, vcc, v4, v3, vcc
	v_subrev_u32_e32 v2, s15, v14
	v_mov_b32_e32 v3, v15
	v_lshlrev_b64 v[2:3], 2, v[2:3]
	v_mov_b32_e32 v6, s23
	v_add_co_u32_e32 v2, vcc, s21, v2
	v_addc_co_u32_e32 v3, vcc, v6, v3, vcc
	v_cmp_gt_u32_e32 vcc, s15, v14
	v_cndmask_b32_e32 v3, v3, v4, vcc
	v_cndmask_b32_e32 v2, v2, v5, vcc
	global_load_dword v12, v[2:3], off
.LBB835_8:
	s_or_b64 exec, exec, s[0:1]
	v_add_u32_e32 v2, v14, v19
	v_cmp_gt_u32_e64 s[0:1], s6, v2
.LBB835_9:
	s_and_saveexec_b64 s[6:7], s[0:1]
	s_cbranch_execz .LBB835_11
; %bb.10:
	v_mov_b32_e32 v3, 0
	v_lshlrev_b64 v[4:5], 2, v[2:3]
	v_mov_b32_e32 v6, s25
	v_add_co_u32_e32 v4, vcc, s24, v4
	v_addc_co_u32_e32 v5, vcc, v6, v5, vcc
	v_cmp_gt_u32_e32 vcc, s15, v2
	v_subrev_u32_e32 v2, s15, v2
	v_lshlrev_b64 v[2:3], 2, v[2:3]
	v_mov_b32_e32 v6, s23
	v_add_co_u32_e64 v2, s[0:1], s21, v2
	v_addc_co_u32_e64 v3, s[0:1], v6, v3, s[0:1]
	v_cndmask_b32_e32 v3, v3, v5, vcc
	v_cndmask_b32_e32 v2, v2, v4, vcc
	global_load_dword v13, v[2:3], off
.LBB835_11:
	s_or_b64 exec, exec, s[6:7]
	s_lshl_b64 s[0:1], s[2:3], 3
	s_add_u32 s6, s10, s0
	s_addc_u32 s7, s11, s1
	s_lshl_b64 s[0:1], s[4:5], 3
	s_add_u32 s4, s10, s0
	s_addc_u32 s5, s11, s1
	s_andn2_b64 vcc, exec, s[18:19]
	v_lshlrev_b32_e32 v20, 3, v0
	s_waitcnt vmcnt(0)
	ds_write2st64_b32 v1, v10, v11 offset1:4
	ds_write2st64_b32 v1, v12, v13 offset0:8 offset1:12
	s_cbranch_vccnz .LBB835_13
; %bb.12:
	v_subrev_u32_e32 v6, s15, v0
	v_mov_b32_e32 v7, 0
	v_lshlrev_b64 v[2:3], 3, v[6:7]
	v_mov_b32_e32 v4, s5
	v_add_co_u32_e32 v2, vcc, s4, v2
	v_addc_co_u32_e32 v3, vcc, v4, v3, vcc
	v_mov_b32_e32 v4, s7
	v_add_co_u32_e32 v5, vcc, s6, v20
	v_addc_co_u32_e32 v4, vcc, 0, v4, vcc
	v_cmp_gt_u32_e32 vcc, s15, v0
	v_subrev_u32_e32 v6, s15, v16
	v_cndmask_b32_e32 v3, v3, v4, vcc
	v_cndmask_b32_e32 v2, v2, v5, vcc
	v_lshlrev_b64 v[4:5], 3, v[6:7]
	v_mov_b32_e32 v6, s5
	v_add_co_u32_e32 v8, vcc, s4, v4
	v_mov_b32_e32 v17, v7
	v_addc_co_u32_e32 v6, vcc, v6, v5, vcc
	v_lshlrev_b64 v[4:5], 3, v[16:17]
	v_mov_b32_e32 v9, s7
	v_add_co_u32_e32 v4, vcc, s6, v4
	v_addc_co_u32_e32 v5, vcc, v9, v5, vcc
	v_cmp_gt_u32_e32 vcc, s15, v16
	v_cndmask_b32_e32 v5, v6, v5, vcc
	v_subrev_u32_e32 v6, s15, v14
	v_cndmask_b32_e32 v4, v8, v4, vcc
	v_lshlrev_b64 v[8:9], 3, v[6:7]
	v_mov_b32_e32 v6, s5
	v_add_co_u32_e32 v8, vcc, s4, v8
	v_mov_b32_e32 v15, v7
	v_addc_co_u32_e32 v9, vcc, v6, v9, vcc
	v_lshlrev_b64 v[6:7], 3, v[14:15]
	v_mov_b32_e32 v15, s7
	v_add_co_u32_e32 v6, vcc, s6, v6
	v_addc_co_u32_e32 v7, vcc, v15, v7, vcc
	v_cmp_gt_u32_e32 vcc, s15, v14
	v_cndmask_b32_e32 v7, v9, v7, vcc
	v_cndmask_b32_e32 v6, v8, v6, vcc
	global_load_dwordx2 v[2:3], v[2:3], off
	v_add_u32_e32 v18, v14, v19
	global_load_dwordx2 v[4:5], v[4:5], off
	s_add_i32 s10, s20, s15
	global_load_dwordx2 v[6:7], v[6:7], off
	s_mov_b64 s[0:1], -1
	s_cbranch_execz .LBB835_14
	s_branch .LBB835_19
.LBB835_13:
	s_mov_b64 s[0:1], 0
                                        ; implicit-def: $vgpr18
                                        ; implicit-def: $vgpr2_vgpr3_vgpr4_vgpr5_vgpr6_vgpr7_vgpr8_vgpr9
                                        ; implicit-def: $sgpr10
.LBB835_14:
	s_add_i32 s10, s20, s15
	v_cmp_gt_u32_e32 vcc, s10, v0
                                        ; implicit-def: $vgpr2_vgpr3_vgpr4_vgpr5_vgpr6_vgpr7_vgpr8_vgpr9
	s_and_saveexec_b64 s[0:1], vcc
	s_cbranch_execnz .LBB835_49
; %bb.15:
	s_or_b64 exec, exec, s[0:1]
	v_cmp_gt_u32_e32 vcc, s10, v16
	s_and_saveexec_b64 s[2:3], vcc
	s_cbranch_execnz .LBB835_50
.LBB835_16:
	s_or_b64 exec, exec, s[2:3]
	v_cmp_gt_u32_e32 vcc, s10, v14
	s_and_saveexec_b64 s[0:1], vcc
	s_cbranch_execz .LBB835_18
.LBB835_17:
	v_mov_b32_e32 v15, 0
	s_waitcnt vmcnt(0)
	v_lshlrev_b64 v[6:7], 3, v[14:15]
	v_mov_b32_e32 v16, s7
	v_add_co_u32_e32 v17, vcc, s6, v6
	v_addc_co_u32_e32 v16, vcc, v16, v7, vcc
	v_subrev_u32_e32 v6, s15, v14
	v_mov_b32_e32 v7, v15
	v_lshlrev_b64 v[6:7], 3, v[6:7]
	v_mov_b32_e32 v15, s5
	v_add_co_u32_e32 v6, vcc, s4, v6
	v_addc_co_u32_e32 v7, vcc, v15, v7, vcc
	v_cmp_gt_u32_e32 vcc, s15, v14
	v_cndmask_b32_e32 v7, v7, v16, vcc
	v_cndmask_b32_e32 v6, v6, v17, vcc
	global_load_dwordx2 v[6:7], v[6:7], off
.LBB835_18:
	s_or_b64 exec, exec, s[0:1]
	v_add_u32_e32 v18, v14, v19
	v_cmp_gt_u32_e64 s[0:1], s10, v18
.LBB835_19:
	v_mov_b32_e32 v14, s10
	s_and_saveexec_b64 s[2:3], s[0:1]
	s_cbranch_execz .LBB835_21
; %bb.20:
	v_subrev_u32_e32 v8, s15, v18
	v_mov_b32_e32 v9, 0
	v_lshlrev_b64 v[14:15], 3, v[8:9]
	v_mov_b32_e32 v8, s5
	v_add_co_u32_e32 v14, vcc, s4, v14
	v_mov_b32_e32 v19, v9
	v_addc_co_u32_e32 v15, vcc, v8, v15, vcc
	v_lshlrev_b64 v[8:9], 3, v[18:19]
	v_mov_b32_e32 v16, s7
	v_add_co_u32_e32 v8, vcc, s6, v8
	v_addc_co_u32_e32 v9, vcc, v16, v9, vcc
	v_cmp_gt_u32_e32 vcc, s15, v18
	v_cndmask_b32_e32 v9, v15, v9, vcc
	v_cndmask_b32_e32 v8, v14, v8, vcc
	global_load_dwordx2 v[8:9], v[8:9], off
	v_mov_b32_e32 v14, s10
.LBB835_21:
	s_or_b64 exec, exec, s[2:3]
	v_min_u32_e32 v16, v14, v1
	v_sub_u32_e64 v15, v16, s20 clamp
	v_min_u32_e32 v17, s15, v16
	v_cmp_lt_u32_e32 vcc, v15, v17
	s_waitcnt lgkmcnt(0)
	s_barrier
	s_and_saveexec_b64 s[0:1], vcc
	s_cbranch_execz .LBB835_25
; %bb.22:
	v_lshlrev_b32_e32 v18, 2, v16
	v_lshl_add_u32 v18, s15, 2, v18
	s_mov_b64 s[2:3], 0
.LBB835_23:                             ; =>This Inner Loop Header: Depth=1
	v_add_u32_e32 v19, v17, v15
	v_lshrrev_b32_e32 v19, 1, v19
	v_not_b32_e32 v21, v19
	v_lshlrev_b32_e32 v22, 2, v19
	v_lshl_add_u32 v21, v21, 2, v18
	ds_read_b32 v22, v22
	ds_read_b32 v21, v21
	v_add_u32_e32 v23, 1, v19
	s_waitcnt lgkmcnt(1)
	v_and_b32_e32 v22, s17, v22
	s_waitcnt lgkmcnt(0)
	v_and_b32_e32 v21, s17, v21
	v_cmp_gt_i32_e32 vcc, v22, v21
	v_cndmask_b32_e32 v17, v17, v19, vcc
	v_cndmask_b32_e32 v15, v23, v15, vcc
	v_cmp_ge_u32_e32 vcc, v15, v17
	s_or_b64 s[2:3], vcc, s[2:3]
	s_andn2_b64 exec, exec, s[2:3]
	s_cbranch_execnz .LBB835_23
; %bb.24:
	s_or_b64 exec, exec, s[2:3]
.LBB835_25:
	s_or_b64 exec, exec, s[0:1]
	v_sub_u32_e32 v16, v16, v15
	v_add_u32_e32 v21, s15, v16
	v_cmp_ge_u32_e32 vcc, s15, v15
	v_cmp_le_u32_e64 s[0:1], v21, v14
	s_or_b64 s[0:1], vcc, s[0:1]
                                        ; implicit-def: $vgpr19
                                        ; implicit-def: $vgpr18
                                        ; implicit-def: $vgpr17
                                        ; implicit-def: $vgpr16
	s_and_saveexec_b64 s[10:11], s[0:1]
	s_cbranch_execz .LBB835_31
; %bb.26:
	v_cmp_gt_u32_e32 vcc, s15, v15
                                        ; implicit-def: $vgpr10
	s_and_saveexec_b64 s[0:1], vcc
	s_cbranch_execz .LBB835_28
; %bb.27:
	v_lshlrev_b32_e32 v10, 2, v15
	ds_read_b32 v10, v10
.LBB835_28:
	s_or_b64 exec, exec, s[0:1]
	v_cmp_ge_u32_e64 s[0:1], v21, v14
	v_cmp_lt_u32_e64 s[2:3], v21, v14
                                        ; implicit-def: $vgpr11
	s_and_saveexec_b64 s[4:5], s[2:3]
	s_cbranch_execz .LBB835_30
; %bb.29:
	v_lshlrev_b32_e32 v11, 2, v21
	ds_read_b32 v11, v11
.LBB835_30:
	s_or_b64 exec, exec, s[4:5]
	s_waitcnt lgkmcnt(0)
	v_and_b32_e32 v12, s17, v11
	v_and_b32_e32 v13, s17, v10
	v_cmp_le_i32_e64 s[2:3], v13, v12
	s_and_b64 s[2:3], vcc, s[2:3]
	s_or_b64 vcc, s[0:1], s[2:3]
	v_mov_b32_e32 v12, s15
	v_cndmask_b32_e32 v16, v21, v15, vcc
	v_cndmask_b32_e32 v13, v14, v12, vcc
	v_add_u32_e32 v17, 1, v16
	v_add_u32_e32 v13, -1, v13
	v_min_u32_e32 v13, v17, v13
	v_lshlrev_b32_e32 v13, 2, v13
	ds_read_b32 v13, v13
	v_cndmask_b32_e32 v18, v17, v21, vcc
	v_cndmask_b32_e32 v15, v15, v17, vcc
	v_cmp_gt_u32_e64 s[2:3], s15, v15
	v_cmp_ge_u32_e64 s[0:1], v18, v14
	s_waitcnt lgkmcnt(0)
	v_cndmask_b32_e32 v19, v13, v11, vcc
	v_cndmask_b32_e32 v13, v10, v13, vcc
	v_and_b32_e32 v17, s17, v19
	v_and_b32_e32 v21, s17, v13
	v_cmp_le_i32_e64 s[4:5], v21, v17
	s_and_b64 s[2:3], s[2:3], s[4:5]
	s_or_b64 s[0:1], s[0:1], s[2:3]
	v_cndmask_b32_e64 v17, v18, v15, s[0:1]
	v_cndmask_b32_e64 v21, v14, v12, s[0:1]
	v_add_u32_e32 v22, 1, v17
	v_add_u32_e32 v21, -1, v21
	v_min_u32_e32 v21, v22, v21
	v_lshlrev_b32_e32 v21, 2, v21
	ds_read_b32 v21, v21
	v_cndmask_b32_e64 v24, v22, v18, s[0:1]
	v_cndmask_b32_e64 v15, v15, v22, s[0:1]
	v_cmp_gt_u32_e64 s[4:5], s15, v15
	v_cmp_ge_u32_e64 s[2:3], v24, v14
	s_waitcnt lgkmcnt(0)
	v_cndmask_b32_e64 v23, v21, v19, s[0:1]
	v_cndmask_b32_e64 v21, v13, v21, s[0:1]
	v_and_b32_e32 v18, s17, v23
	v_and_b32_e32 v22, s17, v21
	v_cmp_le_i32_e64 s[6:7], v22, v18
	s_and_b64 s[4:5], s[4:5], s[6:7]
	s_or_b64 s[2:3], s[2:3], s[4:5]
	v_cndmask_b32_e64 v18, v24, v15, s[2:3]
	v_cndmask_b32_e64 v12, v14, v12, s[2:3]
	v_add_u32_e32 v22, 1, v18
	v_add_u32_e32 v12, -1, v12
	v_min_u32_e32 v12, v22, v12
	v_lshlrev_b32_e32 v12, 2, v12
	ds_read_b32 v25, v12
	v_cndmask_b32_e32 v10, v11, v10, vcc
	v_cndmask_b32_e64 v11, v19, v13, s[0:1]
	v_cndmask_b32_e64 v12, v23, v21, s[2:3]
	;; [unrolled: 1-line block ×3, first 2 shown]
	s_waitcnt lgkmcnt(0)
	v_cndmask_b32_e64 v13, v25, v23, s[2:3]
	v_cndmask_b32_e64 v21, v21, v25, s[2:3]
	;; [unrolled: 1-line block ×3, first 2 shown]
	v_cmp_ge_u32_e32 vcc, v19, v14
	v_and_b32_e32 v14, s17, v13
	v_and_b32_e32 v22, s17, v21
	v_cmp_gt_u32_e64 s[0:1], s15, v15
	v_cmp_le_i32_e64 s[2:3], v22, v14
	s_and_b64 s[0:1], s[0:1], s[2:3]
	s_or_b64 vcc, vcc, s[0:1]
	v_cndmask_b32_e32 v19, v19, v15, vcc
	v_cndmask_b32_e32 v13, v13, v21, vcc
.LBB835_31:
	s_or_b64 exec, exec, s[10:11]
	v_add_u32_e32 v24, v1, v1
	s_barrier
	s_waitcnt vmcnt(0)
	ds_write2st64_b64 v24, v[2:3], v[4:5] offset1:4
	ds_write2st64_b64 v24, v[6:7], v[8:9] offset0:8 offset1:12
	v_lshlrev_b32_e32 v2, 3, v16
	v_lshlrev_b32_e32 v3, 3, v17
	;; [unrolled: 1-line block ×4, first 2 shown]
	s_waitcnt lgkmcnt(0)
	s_barrier
	ds_read_b64 v[6:7], v2
	ds_read_b64 v[8:9], v3
	;; [unrolled: 1-line block ×4, first 2 shown]
	s_mov_b32 s17, 0
	s_lshl_b64 s[0:1], s[16:17], 2
	v_lshrrev_b32_e32 v14, 3, v0
	s_add_u32 s0, s8, s0
	v_add_u32_e32 v16, v14, v1
	s_addc_u32 s1, s9, s1
	v_lshlrev_b32_e32 v17, 2, v16
	s_waitcnt lgkmcnt(0)
	s_barrier
	s_barrier
	ds_write2_b32 v17, v10, v11 offset1:1
	ds_write2_b32 v17, v12, v13 offset0:2 offset1:3
	v_or_b32_e32 v23, 0x100, v0
	v_or_b32_e32 v22, 0x200, v0
	;; [unrolled: 1-line block ×3, first 2 shown]
	v_mov_b32_e32 v11, s1
	v_add_co_u32_e32 v10, vcc, s0, v1
	v_lshrrev_b32_e32 v14, 5, v0
	v_lshrrev_b32_e32 v12, 5, v23
	;; [unrolled: 1-line block ×4, first 2 shown]
	v_addc_co_u32_e32 v11, vcc, 0, v11, vcc
	v_lshl_add_u32 v15, v14, 2, v1
	v_lshl_add_u32 v25, v12, 2, v1
	;; [unrolled: 1-line block ×4, first 2 shown]
	s_and_b64 vcc, exec, s[18:19]
	v_lshl_add_u32 v1, v12, 3, v24
	v_lshl_add_u32 v18, v13, 3, v24
	;; [unrolled: 1-line block ×3, first 2 shown]
	s_waitcnt lgkmcnt(0)
	s_cbranch_vccz .LBB835_33
; %bb.32:
	s_barrier
	ds_read_b32 v12, v15
	ds_read_b32 v13, v25 offset:1024
	ds_read_b32 v28, v26 offset:2048
	;; [unrolled: 1-line block ×3, first 2 shown]
	s_lshl_b64 s[0:1], s[16:17], 3
	s_add_u32 s0, s12, s0
	s_waitcnt lgkmcnt(3)
	global_store_dword v[10:11], v12, off
	s_waitcnt lgkmcnt(2)
	global_store_dword v[10:11], v13, off offset:1024
	s_waitcnt lgkmcnt(1)
	global_store_dword v[10:11], v28, off offset:2048
	;; [unrolled: 2-line block ×3, first 2 shown]
	v_lshlrev_b32_e32 v12, 3, v16
	s_barrier
	ds_write2_b64 v12, v[6:7], v[8:9] offset1:1
	ds_write2_b64 v12, v[2:3], v[4:5] offset0:2 offset1:3
	v_lshl_add_u32 v12, v14, 3, v24
	s_addc_u32 s1, s13, s1
	s_waitcnt lgkmcnt(0)
	s_barrier
	ds_read_b64 v[28:29], v12
	ds_read_b64 v[30:31], v1 offset:2048
	ds_read_b64 v[32:33], v18 offset:4096
	;; [unrolled: 1-line block ×3, first 2 shown]
	v_mov_b32_e32 v24, s1
	v_add_co_u32_e32 v34, vcc, s0, v20
	v_addc_co_u32_e32 v24, vcc, 0, v24, vcc
	s_waitcnt lgkmcnt(3)
	global_store_dwordx2 v20, v[28:29], s[0:1]
	s_waitcnt lgkmcnt(2)
	global_store_dwordx2 v20, v[30:31], s[0:1] offset:2048
	v_add_co_u32_e32 v28, vcc, 0x1000, v34
	v_addc_co_u32_e32 v29, vcc, 0, v24, vcc
	s_waitcnt lgkmcnt(1)
	global_store_dwordx2 v[28:29], v[32:33], off
	s_mov_b64 s[6:7], -1
	s_cbranch_execz .LBB835_34
	s_branch .LBB835_44
.LBB835_33:
	s_mov_b64 s[6:7], 0
                                        ; implicit-def: $vgpr12_vgpr13
.LBB835_34:
	s_barrier
	s_waitcnt lgkmcnt(0)
	ds_read_b32 v24, v25 offset:1024
	ds_read_b32 v13, v26 offset:2048
	;; [unrolled: 1-line block ×3, first 2 shown]
	s_sub_i32 s6, s14, s16
	v_cmp_gt_u32_e32 vcc, s6, v0
	s_and_saveexec_b64 s[0:1], vcc
	s_cbranch_execnz .LBB835_51
; %bb.35:
	s_or_b64 exec, exec, s[0:1]
	v_cmp_gt_u32_e64 s[0:1], s6, v23
	s_and_saveexec_b64 s[2:3], s[0:1]
	s_cbranch_execnz .LBB835_52
.LBB835_36:
	s_or_b64 exec, exec, s[2:3]
	v_cmp_gt_u32_e64 s[2:3], s6, v22
	s_and_saveexec_b64 s[4:5], s[2:3]
	s_cbranch_execnz .LBB835_53
.LBB835_37:
	s_or_b64 exec, exec, s[4:5]
	v_cmp_gt_u32_e64 s[6:7], s6, v21
	s_and_saveexec_b64 s[4:5], s[6:7]
	s_cbranch_execz .LBB835_39
.LBB835_38:
	s_waitcnt lgkmcnt(0)
	global_store_dword v[10:11], v12, off offset:3072
.LBB835_39:
	s_or_b64 exec, exec, s[4:5]
	v_lshl_add_u32 v10, v16, 2, v17
	s_waitcnt lgkmcnt(0)
	s_barrier
	ds_write2_b64 v10, v[6:7], v[8:9] offset1:1
	ds_write2_b64 v10, v[2:3], v[4:5] offset0:2 offset1:3
	s_waitcnt lgkmcnt(0)
	s_barrier
	ds_read_b64 v[6:7], v1 offset:2048
	ds_read_b64 v[2:3], v18 offset:4096
	;; [unrolled: 1-line block ×3, first 2 shown]
	s_lshl_b64 s[4:5], s[16:17], 3
	s_add_u32 s4, s12, s4
	s_addc_u32 s5, s13, s5
	v_mov_b32_e32 v1, s5
	v_add_co_u32_e64 v4, s[4:5], s4, v20
	v_addc_co_u32_e64 v5, s[4:5], 0, v1, s[4:5]
	s_and_saveexec_b64 s[4:5], vcc
	s_cbranch_execnz .LBB835_54
; %bb.40:
	s_or_b64 exec, exec, s[4:5]
	s_and_saveexec_b64 s[4:5], s[0:1]
	s_cbranch_execnz .LBB835_55
.LBB835_41:
	s_or_b64 exec, exec, s[4:5]
	s_and_saveexec_b64 s[0:1], s[2:3]
	s_cbranch_execz .LBB835_43
.LBB835_42:
	v_add_co_u32_e32 v0, vcc, 0x1000, v4
	v_addc_co_u32_e32 v1, vcc, 0, v5, vcc
	s_waitcnt lgkmcnt(1)
	global_store_dwordx2 v[0:1], v[2:3], off
.LBB835_43:
	s_or_b64 exec, exec, s[0:1]
.LBB835_44:
	s_and_saveexec_b64 s[0:1], s[6:7]
	s_cbranch_execz .LBB835_46
; %bb.45:
	s_lshl_b64 s[0:1], s[16:17], 3
	s_add_u32 s0, s12, s0
	s_addc_u32 s1, s13, s1
	v_mov_b32_e32 v0, s1
	v_add_co_u32_e32 v1, vcc, s0, v20
	s_waitcnt lgkmcnt(1)
	v_addc_co_u32_e32 v2, vcc, 0, v0, vcc
	v_add_co_u32_e32 v0, vcc, 0x1000, v1
	v_addc_co_u32_e32 v1, vcc, 0, v2, vcc
	s_waitcnt lgkmcnt(0)
	global_store_dwordx2 v[0:1], v[12:13], off offset:2048
.LBB835_46:
	s_endpgm
.LBB835_47:
	v_mov_b32_e32 v2, s25
	v_add_co_u32_e32 v4, vcc, s24, v1
	v_mov_b32_e32 v3, 0
	v_addc_co_u32_e32 v5, vcc, 0, v2, vcc
	v_subrev_u32_e32 v2, s15, v0
	v_lshlrev_b64 v[2:3], 2, v[2:3]
	v_mov_b32_e32 v6, s23
	v_add_co_u32_e32 v2, vcc, s21, v2
	v_addc_co_u32_e32 v3, vcc, v6, v3, vcc
	v_cmp_gt_u32_e32 vcc, s15, v0
	v_cndmask_b32_e32 v3, v3, v5, vcc
	v_cndmask_b32_e32 v2, v2, v4, vcc
	global_load_dword v10, v[2:3], off
	s_or_b64 exec, exec, s[0:1]
	v_cmp_gt_u32_e32 vcc, s6, v16
	s_and_saveexec_b64 s[0:1], vcc
	s_cbranch_execz .LBB835_6
.LBB835_48:
	v_mov_b32_e32 v17, 0
	v_lshlrev_b64 v[2:3], 2, v[16:17]
	v_mov_b32_e32 v4, s25
	v_add_co_u32_e32 v5, vcc, s24, v2
	v_addc_co_u32_e32 v4, vcc, v4, v3, vcc
	v_subrev_u32_e32 v2, s15, v16
	v_mov_b32_e32 v3, v17
	v_lshlrev_b64 v[2:3], 2, v[2:3]
	v_mov_b32_e32 v6, s23
	v_add_co_u32_e32 v2, vcc, s21, v2
	v_addc_co_u32_e32 v3, vcc, v6, v3, vcc
	v_cmp_gt_u32_e32 vcc, s15, v16
	v_cndmask_b32_e32 v3, v3, v4, vcc
	v_cndmask_b32_e32 v2, v2, v5, vcc
	global_load_dword v11, v[2:3], off
	s_or_b64 exec, exec, s[0:1]
	v_cmp_gt_u32_e32 vcc, s6, v14
	s_and_saveexec_b64 s[0:1], vcc
	s_cbranch_execnz .LBB835_7
	s_branch .LBB835_8
.LBB835_49:
	s_waitcnt vmcnt(2)
	v_mov_b32_e32 v2, s7
	s_waitcnt vmcnt(1)
	v_add_co_u32_e32 v4, vcc, s6, v20
	v_mov_b32_e32 v3, 0
	v_addc_co_u32_e32 v5, vcc, 0, v2, vcc
	v_subrev_u32_e32 v2, s15, v0
	v_lshlrev_b64 v[2:3], 3, v[2:3]
	s_waitcnt vmcnt(0)
	v_mov_b32_e32 v6, s5
	v_add_co_u32_e32 v2, vcc, s4, v2
	v_addc_co_u32_e32 v3, vcc, v6, v3, vcc
	v_cmp_gt_u32_e32 vcc, s15, v0
	v_cndmask_b32_e32 v3, v3, v5, vcc
	v_cndmask_b32_e32 v2, v2, v4, vcc
	global_load_dwordx2 v[2:3], v[2:3], off
	s_or_b64 exec, exec, s[0:1]
	v_cmp_gt_u32_e32 vcc, s10, v16
	s_and_saveexec_b64 s[2:3], vcc
	s_cbranch_execz .LBB835_16
.LBB835_50:
	v_mov_b32_e32 v17, 0
	s_waitcnt vmcnt(1)
	v_lshlrev_b64 v[4:5], 3, v[16:17]
	v_mov_b32_e32 v15, s7
	v_add_co_u32_e32 v18, vcc, s6, v4
	v_addc_co_u32_e32 v15, vcc, v15, v5, vcc
	v_cmp_gt_u32_e32 vcc, s15, v16
	v_subrev_u32_e32 v16, s15, v16
	v_lshlrev_b64 v[4:5], 3, v[16:17]
	v_mov_b32_e32 v16, s5
	v_add_co_u32_e64 v4, s[0:1], s4, v4
	v_addc_co_u32_e64 v5, s[0:1], v16, v5, s[0:1]
	v_cndmask_b32_e32 v5, v5, v15, vcc
	v_cndmask_b32_e32 v4, v4, v18, vcc
	global_load_dwordx2 v[4:5], v[4:5], off
	s_or_b64 exec, exec, s[2:3]
	v_cmp_gt_u32_e32 vcc, s10, v14
	s_and_saveexec_b64 s[0:1], vcc
	s_cbranch_execnz .LBB835_17
	s_branch .LBB835_18
.LBB835_51:
	ds_read_b32 v25, v15
	s_waitcnt lgkmcnt(0)
	global_store_dword v[10:11], v25, off
	s_or_b64 exec, exec, s[0:1]
	v_cmp_gt_u32_e64 s[0:1], s6, v23
	s_and_saveexec_b64 s[2:3], s[0:1]
	s_cbranch_execz .LBB835_36
.LBB835_52:
	s_waitcnt lgkmcnt(2)
	global_store_dword v[10:11], v24, off offset:1024
	s_or_b64 exec, exec, s[2:3]
	v_cmp_gt_u32_e64 s[2:3], s6, v22
	s_and_saveexec_b64 s[4:5], s[2:3]
	s_cbranch_execz .LBB835_37
.LBB835_53:
	s_waitcnt lgkmcnt(1)
	global_store_dword v[10:11], v13, off offset:2048
	s_or_b64 exec, exec, s[4:5]
	v_cmp_gt_u32_e64 s[6:7], s6, v21
	s_and_saveexec_b64 s[4:5], s[6:7]
	s_cbranch_execnz .LBB835_38
	s_branch .LBB835_39
.LBB835_54:
	v_add_u32_e32 v0, v14, v0
	v_lshl_add_u32 v0, v0, 2, v15
	ds_read_b64 v[0:1], v0
	s_waitcnt lgkmcnt(0)
	global_store_dwordx2 v[4:5], v[0:1], off
	s_or_b64 exec, exec, s[4:5]
	s_and_saveexec_b64 s[4:5], s[0:1]
	s_cbranch_execz .LBB835_41
.LBB835_55:
	s_waitcnt lgkmcnt(2)
	global_store_dwordx2 v[4:5], v[6:7], off offset:2048
	s_or_b64 exec, exec, s[4:5]
	s_and_saveexec_b64 s[0:1], s[2:3]
	s_cbranch_execnz .LBB835_42
	s_branch .LBB835_43
	.section	.rodata,"a",@progbits
	.p2align	6, 0x0
	.amdhsa_kernel _ZN7rocprim17ROCPRIM_400000_NS6detail17trampoline_kernelINS0_14default_configENS1_38merge_sort_block_merge_config_selectorIilEEZZNS1_27merge_sort_block_merge_implIS3_PiN6thrust23THRUST_200600_302600_NS10device_ptrIlEEjNS1_19radix_merge_compareILb0ELb1EiNS0_19identity_decomposerEEEEE10hipError_tT0_T1_T2_jT3_P12ihipStream_tbPNSt15iterator_traitsISG_E10value_typeEPNSM_ISH_E10value_typeEPSI_NS1_7vsmem_tEENKUlT_SG_SH_SI_E_clIS7_S7_SB_PlEESF_SV_SG_SH_SI_EUlSV_E0_NS1_11comp_targetILNS1_3genE4ELNS1_11target_archE910ELNS1_3gpuE8ELNS1_3repE0EEENS1_38merge_mergepath_config_static_selectorELNS0_4arch9wavefront6targetE1EEEvSH_
		.amdhsa_group_segment_fixed_size 8448
		.amdhsa_private_segment_fixed_size 0
		.amdhsa_kernarg_size 320
		.amdhsa_user_sgpr_count 6
		.amdhsa_user_sgpr_private_segment_buffer 1
		.amdhsa_user_sgpr_dispatch_ptr 0
		.amdhsa_user_sgpr_queue_ptr 0
		.amdhsa_user_sgpr_kernarg_segment_ptr 1
		.amdhsa_user_sgpr_dispatch_id 0
		.amdhsa_user_sgpr_flat_scratch_init 0
		.amdhsa_user_sgpr_kernarg_preload_length 0
		.amdhsa_user_sgpr_kernarg_preload_offset 0
		.amdhsa_user_sgpr_private_segment_size 0
		.amdhsa_uses_dynamic_stack 0
		.amdhsa_system_sgpr_private_segment_wavefront_offset 0
		.amdhsa_system_sgpr_workgroup_id_x 1
		.amdhsa_system_sgpr_workgroup_id_y 1
		.amdhsa_system_sgpr_workgroup_id_z 1
		.amdhsa_system_sgpr_workgroup_info 0
		.amdhsa_system_vgpr_workitem_id 0
		.amdhsa_next_free_vgpr 35
		.amdhsa_next_free_sgpr 32
		.amdhsa_accum_offset 36
		.amdhsa_reserve_vcc 1
		.amdhsa_reserve_flat_scratch 0
		.amdhsa_float_round_mode_32 0
		.amdhsa_float_round_mode_16_64 0
		.amdhsa_float_denorm_mode_32 3
		.amdhsa_float_denorm_mode_16_64 3
		.amdhsa_dx10_clamp 1
		.amdhsa_ieee_mode 1
		.amdhsa_fp16_overflow 0
		.amdhsa_tg_split 0
		.amdhsa_exception_fp_ieee_invalid_op 0
		.amdhsa_exception_fp_denorm_src 0
		.amdhsa_exception_fp_ieee_div_zero 0
		.amdhsa_exception_fp_ieee_overflow 0
		.amdhsa_exception_fp_ieee_underflow 0
		.amdhsa_exception_fp_ieee_inexact 0
		.amdhsa_exception_int_div_zero 0
	.end_amdhsa_kernel
	.section	.text._ZN7rocprim17ROCPRIM_400000_NS6detail17trampoline_kernelINS0_14default_configENS1_38merge_sort_block_merge_config_selectorIilEEZZNS1_27merge_sort_block_merge_implIS3_PiN6thrust23THRUST_200600_302600_NS10device_ptrIlEEjNS1_19radix_merge_compareILb0ELb1EiNS0_19identity_decomposerEEEEE10hipError_tT0_T1_T2_jT3_P12ihipStream_tbPNSt15iterator_traitsISG_E10value_typeEPNSM_ISH_E10value_typeEPSI_NS1_7vsmem_tEENKUlT_SG_SH_SI_E_clIS7_S7_SB_PlEESF_SV_SG_SH_SI_EUlSV_E0_NS1_11comp_targetILNS1_3genE4ELNS1_11target_archE910ELNS1_3gpuE8ELNS1_3repE0EEENS1_38merge_mergepath_config_static_selectorELNS0_4arch9wavefront6targetE1EEEvSH_,"axG",@progbits,_ZN7rocprim17ROCPRIM_400000_NS6detail17trampoline_kernelINS0_14default_configENS1_38merge_sort_block_merge_config_selectorIilEEZZNS1_27merge_sort_block_merge_implIS3_PiN6thrust23THRUST_200600_302600_NS10device_ptrIlEEjNS1_19radix_merge_compareILb0ELb1EiNS0_19identity_decomposerEEEEE10hipError_tT0_T1_T2_jT3_P12ihipStream_tbPNSt15iterator_traitsISG_E10value_typeEPNSM_ISH_E10value_typeEPSI_NS1_7vsmem_tEENKUlT_SG_SH_SI_E_clIS7_S7_SB_PlEESF_SV_SG_SH_SI_EUlSV_E0_NS1_11comp_targetILNS1_3genE4ELNS1_11target_archE910ELNS1_3gpuE8ELNS1_3repE0EEENS1_38merge_mergepath_config_static_selectorELNS0_4arch9wavefront6targetE1EEEvSH_,comdat
.Lfunc_end835:
	.size	_ZN7rocprim17ROCPRIM_400000_NS6detail17trampoline_kernelINS0_14default_configENS1_38merge_sort_block_merge_config_selectorIilEEZZNS1_27merge_sort_block_merge_implIS3_PiN6thrust23THRUST_200600_302600_NS10device_ptrIlEEjNS1_19radix_merge_compareILb0ELb1EiNS0_19identity_decomposerEEEEE10hipError_tT0_T1_T2_jT3_P12ihipStream_tbPNSt15iterator_traitsISG_E10value_typeEPNSM_ISH_E10value_typeEPSI_NS1_7vsmem_tEENKUlT_SG_SH_SI_E_clIS7_S7_SB_PlEESF_SV_SG_SH_SI_EUlSV_E0_NS1_11comp_targetILNS1_3genE4ELNS1_11target_archE910ELNS1_3gpuE8ELNS1_3repE0EEENS1_38merge_mergepath_config_static_selectorELNS0_4arch9wavefront6targetE1EEEvSH_, .Lfunc_end835-_ZN7rocprim17ROCPRIM_400000_NS6detail17trampoline_kernelINS0_14default_configENS1_38merge_sort_block_merge_config_selectorIilEEZZNS1_27merge_sort_block_merge_implIS3_PiN6thrust23THRUST_200600_302600_NS10device_ptrIlEEjNS1_19radix_merge_compareILb0ELb1EiNS0_19identity_decomposerEEEEE10hipError_tT0_T1_T2_jT3_P12ihipStream_tbPNSt15iterator_traitsISG_E10value_typeEPNSM_ISH_E10value_typeEPSI_NS1_7vsmem_tEENKUlT_SG_SH_SI_E_clIS7_S7_SB_PlEESF_SV_SG_SH_SI_EUlSV_E0_NS1_11comp_targetILNS1_3genE4ELNS1_11target_archE910ELNS1_3gpuE8ELNS1_3repE0EEENS1_38merge_mergepath_config_static_selectorELNS0_4arch9wavefront6targetE1EEEvSH_
                                        ; -- End function
	.section	.AMDGPU.csdata,"",@progbits
; Kernel info:
; codeLenInByte = 3308
; NumSgprs: 36
; NumVgprs: 35
; NumAgprs: 0
; TotalNumVgprs: 35
; ScratchSize: 0
; MemoryBound: 0
; FloatMode: 240
; IeeeMode: 1
; LDSByteSize: 8448 bytes/workgroup (compile time only)
; SGPRBlocks: 4
; VGPRBlocks: 4
; NumSGPRsForWavesPerEU: 36
; NumVGPRsForWavesPerEU: 35
; AccumOffset: 36
; Occupancy: 7
; WaveLimiterHint : 1
; COMPUTE_PGM_RSRC2:SCRATCH_EN: 0
; COMPUTE_PGM_RSRC2:USER_SGPR: 6
; COMPUTE_PGM_RSRC2:TRAP_HANDLER: 0
; COMPUTE_PGM_RSRC2:TGID_X_EN: 1
; COMPUTE_PGM_RSRC2:TGID_Y_EN: 1
; COMPUTE_PGM_RSRC2:TGID_Z_EN: 1
; COMPUTE_PGM_RSRC2:TIDIG_COMP_CNT: 0
; COMPUTE_PGM_RSRC3_GFX90A:ACCUM_OFFSET: 8
; COMPUTE_PGM_RSRC3_GFX90A:TG_SPLIT: 0
	.section	.text._ZN7rocprim17ROCPRIM_400000_NS6detail17trampoline_kernelINS0_14default_configENS1_38merge_sort_block_merge_config_selectorIilEEZZNS1_27merge_sort_block_merge_implIS3_PiN6thrust23THRUST_200600_302600_NS10device_ptrIlEEjNS1_19radix_merge_compareILb0ELb1EiNS0_19identity_decomposerEEEEE10hipError_tT0_T1_T2_jT3_P12ihipStream_tbPNSt15iterator_traitsISG_E10value_typeEPNSM_ISH_E10value_typeEPSI_NS1_7vsmem_tEENKUlT_SG_SH_SI_E_clIS7_S7_SB_PlEESF_SV_SG_SH_SI_EUlSV_E0_NS1_11comp_targetILNS1_3genE3ELNS1_11target_archE908ELNS1_3gpuE7ELNS1_3repE0EEENS1_38merge_mergepath_config_static_selectorELNS0_4arch9wavefront6targetE1EEEvSH_,"axG",@progbits,_ZN7rocprim17ROCPRIM_400000_NS6detail17trampoline_kernelINS0_14default_configENS1_38merge_sort_block_merge_config_selectorIilEEZZNS1_27merge_sort_block_merge_implIS3_PiN6thrust23THRUST_200600_302600_NS10device_ptrIlEEjNS1_19radix_merge_compareILb0ELb1EiNS0_19identity_decomposerEEEEE10hipError_tT0_T1_T2_jT3_P12ihipStream_tbPNSt15iterator_traitsISG_E10value_typeEPNSM_ISH_E10value_typeEPSI_NS1_7vsmem_tEENKUlT_SG_SH_SI_E_clIS7_S7_SB_PlEESF_SV_SG_SH_SI_EUlSV_E0_NS1_11comp_targetILNS1_3genE3ELNS1_11target_archE908ELNS1_3gpuE7ELNS1_3repE0EEENS1_38merge_mergepath_config_static_selectorELNS0_4arch9wavefront6targetE1EEEvSH_,comdat
	.protected	_ZN7rocprim17ROCPRIM_400000_NS6detail17trampoline_kernelINS0_14default_configENS1_38merge_sort_block_merge_config_selectorIilEEZZNS1_27merge_sort_block_merge_implIS3_PiN6thrust23THRUST_200600_302600_NS10device_ptrIlEEjNS1_19radix_merge_compareILb0ELb1EiNS0_19identity_decomposerEEEEE10hipError_tT0_T1_T2_jT3_P12ihipStream_tbPNSt15iterator_traitsISG_E10value_typeEPNSM_ISH_E10value_typeEPSI_NS1_7vsmem_tEENKUlT_SG_SH_SI_E_clIS7_S7_SB_PlEESF_SV_SG_SH_SI_EUlSV_E0_NS1_11comp_targetILNS1_3genE3ELNS1_11target_archE908ELNS1_3gpuE7ELNS1_3repE0EEENS1_38merge_mergepath_config_static_selectorELNS0_4arch9wavefront6targetE1EEEvSH_ ; -- Begin function _ZN7rocprim17ROCPRIM_400000_NS6detail17trampoline_kernelINS0_14default_configENS1_38merge_sort_block_merge_config_selectorIilEEZZNS1_27merge_sort_block_merge_implIS3_PiN6thrust23THRUST_200600_302600_NS10device_ptrIlEEjNS1_19radix_merge_compareILb0ELb1EiNS0_19identity_decomposerEEEEE10hipError_tT0_T1_T2_jT3_P12ihipStream_tbPNSt15iterator_traitsISG_E10value_typeEPNSM_ISH_E10value_typeEPSI_NS1_7vsmem_tEENKUlT_SG_SH_SI_E_clIS7_S7_SB_PlEESF_SV_SG_SH_SI_EUlSV_E0_NS1_11comp_targetILNS1_3genE3ELNS1_11target_archE908ELNS1_3gpuE7ELNS1_3repE0EEENS1_38merge_mergepath_config_static_selectorELNS0_4arch9wavefront6targetE1EEEvSH_
	.globl	_ZN7rocprim17ROCPRIM_400000_NS6detail17trampoline_kernelINS0_14default_configENS1_38merge_sort_block_merge_config_selectorIilEEZZNS1_27merge_sort_block_merge_implIS3_PiN6thrust23THRUST_200600_302600_NS10device_ptrIlEEjNS1_19radix_merge_compareILb0ELb1EiNS0_19identity_decomposerEEEEE10hipError_tT0_T1_T2_jT3_P12ihipStream_tbPNSt15iterator_traitsISG_E10value_typeEPNSM_ISH_E10value_typeEPSI_NS1_7vsmem_tEENKUlT_SG_SH_SI_E_clIS7_S7_SB_PlEESF_SV_SG_SH_SI_EUlSV_E0_NS1_11comp_targetILNS1_3genE3ELNS1_11target_archE908ELNS1_3gpuE7ELNS1_3repE0EEENS1_38merge_mergepath_config_static_selectorELNS0_4arch9wavefront6targetE1EEEvSH_
	.p2align	8
	.type	_ZN7rocprim17ROCPRIM_400000_NS6detail17trampoline_kernelINS0_14default_configENS1_38merge_sort_block_merge_config_selectorIilEEZZNS1_27merge_sort_block_merge_implIS3_PiN6thrust23THRUST_200600_302600_NS10device_ptrIlEEjNS1_19radix_merge_compareILb0ELb1EiNS0_19identity_decomposerEEEEE10hipError_tT0_T1_T2_jT3_P12ihipStream_tbPNSt15iterator_traitsISG_E10value_typeEPNSM_ISH_E10value_typeEPSI_NS1_7vsmem_tEENKUlT_SG_SH_SI_E_clIS7_S7_SB_PlEESF_SV_SG_SH_SI_EUlSV_E0_NS1_11comp_targetILNS1_3genE3ELNS1_11target_archE908ELNS1_3gpuE7ELNS1_3repE0EEENS1_38merge_mergepath_config_static_selectorELNS0_4arch9wavefront6targetE1EEEvSH_,@function
_ZN7rocprim17ROCPRIM_400000_NS6detail17trampoline_kernelINS0_14default_configENS1_38merge_sort_block_merge_config_selectorIilEEZZNS1_27merge_sort_block_merge_implIS3_PiN6thrust23THRUST_200600_302600_NS10device_ptrIlEEjNS1_19radix_merge_compareILb0ELb1EiNS0_19identity_decomposerEEEEE10hipError_tT0_T1_T2_jT3_P12ihipStream_tbPNSt15iterator_traitsISG_E10value_typeEPNSM_ISH_E10value_typeEPSI_NS1_7vsmem_tEENKUlT_SG_SH_SI_E_clIS7_S7_SB_PlEESF_SV_SG_SH_SI_EUlSV_E0_NS1_11comp_targetILNS1_3genE3ELNS1_11target_archE908ELNS1_3gpuE7ELNS1_3repE0EEENS1_38merge_mergepath_config_static_selectorELNS0_4arch9wavefront6targetE1EEEvSH_: ; @_ZN7rocprim17ROCPRIM_400000_NS6detail17trampoline_kernelINS0_14default_configENS1_38merge_sort_block_merge_config_selectorIilEEZZNS1_27merge_sort_block_merge_implIS3_PiN6thrust23THRUST_200600_302600_NS10device_ptrIlEEjNS1_19radix_merge_compareILb0ELb1EiNS0_19identity_decomposerEEEEE10hipError_tT0_T1_T2_jT3_P12ihipStream_tbPNSt15iterator_traitsISG_E10value_typeEPNSM_ISH_E10value_typeEPSI_NS1_7vsmem_tEENKUlT_SG_SH_SI_E_clIS7_S7_SB_PlEESF_SV_SG_SH_SI_EUlSV_E0_NS1_11comp_targetILNS1_3genE3ELNS1_11target_archE908ELNS1_3gpuE7ELNS1_3repE0EEENS1_38merge_mergepath_config_static_selectorELNS0_4arch9wavefront6targetE1EEEvSH_
; %bb.0:
	.section	.rodata,"a",@progbits
	.p2align	6, 0x0
	.amdhsa_kernel _ZN7rocprim17ROCPRIM_400000_NS6detail17trampoline_kernelINS0_14default_configENS1_38merge_sort_block_merge_config_selectorIilEEZZNS1_27merge_sort_block_merge_implIS3_PiN6thrust23THRUST_200600_302600_NS10device_ptrIlEEjNS1_19radix_merge_compareILb0ELb1EiNS0_19identity_decomposerEEEEE10hipError_tT0_T1_T2_jT3_P12ihipStream_tbPNSt15iterator_traitsISG_E10value_typeEPNSM_ISH_E10value_typeEPSI_NS1_7vsmem_tEENKUlT_SG_SH_SI_E_clIS7_S7_SB_PlEESF_SV_SG_SH_SI_EUlSV_E0_NS1_11comp_targetILNS1_3genE3ELNS1_11target_archE908ELNS1_3gpuE7ELNS1_3repE0EEENS1_38merge_mergepath_config_static_selectorELNS0_4arch9wavefront6targetE1EEEvSH_
		.amdhsa_group_segment_fixed_size 0
		.amdhsa_private_segment_fixed_size 0
		.amdhsa_kernarg_size 64
		.amdhsa_user_sgpr_count 6
		.amdhsa_user_sgpr_private_segment_buffer 1
		.amdhsa_user_sgpr_dispatch_ptr 0
		.amdhsa_user_sgpr_queue_ptr 0
		.amdhsa_user_sgpr_kernarg_segment_ptr 1
		.amdhsa_user_sgpr_dispatch_id 0
		.amdhsa_user_sgpr_flat_scratch_init 0
		.amdhsa_user_sgpr_kernarg_preload_length 0
		.amdhsa_user_sgpr_kernarg_preload_offset 0
		.amdhsa_user_sgpr_private_segment_size 0
		.amdhsa_uses_dynamic_stack 0
		.amdhsa_system_sgpr_private_segment_wavefront_offset 0
		.amdhsa_system_sgpr_workgroup_id_x 1
		.amdhsa_system_sgpr_workgroup_id_y 0
		.amdhsa_system_sgpr_workgroup_id_z 0
		.amdhsa_system_sgpr_workgroup_info 0
		.amdhsa_system_vgpr_workitem_id 0
		.amdhsa_next_free_vgpr 1
		.amdhsa_next_free_sgpr 0
		.amdhsa_accum_offset 4
		.amdhsa_reserve_vcc 0
		.amdhsa_reserve_flat_scratch 0
		.amdhsa_float_round_mode_32 0
		.amdhsa_float_round_mode_16_64 0
		.amdhsa_float_denorm_mode_32 3
		.amdhsa_float_denorm_mode_16_64 3
		.amdhsa_dx10_clamp 1
		.amdhsa_ieee_mode 1
		.amdhsa_fp16_overflow 0
		.amdhsa_tg_split 0
		.amdhsa_exception_fp_ieee_invalid_op 0
		.amdhsa_exception_fp_denorm_src 0
		.amdhsa_exception_fp_ieee_div_zero 0
		.amdhsa_exception_fp_ieee_overflow 0
		.amdhsa_exception_fp_ieee_underflow 0
		.amdhsa_exception_fp_ieee_inexact 0
		.amdhsa_exception_int_div_zero 0
	.end_amdhsa_kernel
	.section	.text._ZN7rocprim17ROCPRIM_400000_NS6detail17trampoline_kernelINS0_14default_configENS1_38merge_sort_block_merge_config_selectorIilEEZZNS1_27merge_sort_block_merge_implIS3_PiN6thrust23THRUST_200600_302600_NS10device_ptrIlEEjNS1_19radix_merge_compareILb0ELb1EiNS0_19identity_decomposerEEEEE10hipError_tT0_T1_T2_jT3_P12ihipStream_tbPNSt15iterator_traitsISG_E10value_typeEPNSM_ISH_E10value_typeEPSI_NS1_7vsmem_tEENKUlT_SG_SH_SI_E_clIS7_S7_SB_PlEESF_SV_SG_SH_SI_EUlSV_E0_NS1_11comp_targetILNS1_3genE3ELNS1_11target_archE908ELNS1_3gpuE7ELNS1_3repE0EEENS1_38merge_mergepath_config_static_selectorELNS0_4arch9wavefront6targetE1EEEvSH_,"axG",@progbits,_ZN7rocprim17ROCPRIM_400000_NS6detail17trampoline_kernelINS0_14default_configENS1_38merge_sort_block_merge_config_selectorIilEEZZNS1_27merge_sort_block_merge_implIS3_PiN6thrust23THRUST_200600_302600_NS10device_ptrIlEEjNS1_19radix_merge_compareILb0ELb1EiNS0_19identity_decomposerEEEEE10hipError_tT0_T1_T2_jT3_P12ihipStream_tbPNSt15iterator_traitsISG_E10value_typeEPNSM_ISH_E10value_typeEPSI_NS1_7vsmem_tEENKUlT_SG_SH_SI_E_clIS7_S7_SB_PlEESF_SV_SG_SH_SI_EUlSV_E0_NS1_11comp_targetILNS1_3genE3ELNS1_11target_archE908ELNS1_3gpuE7ELNS1_3repE0EEENS1_38merge_mergepath_config_static_selectorELNS0_4arch9wavefront6targetE1EEEvSH_,comdat
.Lfunc_end836:
	.size	_ZN7rocprim17ROCPRIM_400000_NS6detail17trampoline_kernelINS0_14default_configENS1_38merge_sort_block_merge_config_selectorIilEEZZNS1_27merge_sort_block_merge_implIS3_PiN6thrust23THRUST_200600_302600_NS10device_ptrIlEEjNS1_19radix_merge_compareILb0ELb1EiNS0_19identity_decomposerEEEEE10hipError_tT0_T1_T2_jT3_P12ihipStream_tbPNSt15iterator_traitsISG_E10value_typeEPNSM_ISH_E10value_typeEPSI_NS1_7vsmem_tEENKUlT_SG_SH_SI_E_clIS7_S7_SB_PlEESF_SV_SG_SH_SI_EUlSV_E0_NS1_11comp_targetILNS1_3genE3ELNS1_11target_archE908ELNS1_3gpuE7ELNS1_3repE0EEENS1_38merge_mergepath_config_static_selectorELNS0_4arch9wavefront6targetE1EEEvSH_, .Lfunc_end836-_ZN7rocprim17ROCPRIM_400000_NS6detail17trampoline_kernelINS0_14default_configENS1_38merge_sort_block_merge_config_selectorIilEEZZNS1_27merge_sort_block_merge_implIS3_PiN6thrust23THRUST_200600_302600_NS10device_ptrIlEEjNS1_19radix_merge_compareILb0ELb1EiNS0_19identity_decomposerEEEEE10hipError_tT0_T1_T2_jT3_P12ihipStream_tbPNSt15iterator_traitsISG_E10value_typeEPNSM_ISH_E10value_typeEPSI_NS1_7vsmem_tEENKUlT_SG_SH_SI_E_clIS7_S7_SB_PlEESF_SV_SG_SH_SI_EUlSV_E0_NS1_11comp_targetILNS1_3genE3ELNS1_11target_archE908ELNS1_3gpuE7ELNS1_3repE0EEENS1_38merge_mergepath_config_static_selectorELNS0_4arch9wavefront6targetE1EEEvSH_
                                        ; -- End function
	.section	.AMDGPU.csdata,"",@progbits
; Kernel info:
; codeLenInByte = 0
; NumSgprs: 4
; NumVgprs: 0
; NumAgprs: 0
; TotalNumVgprs: 0
; ScratchSize: 0
; MemoryBound: 0
; FloatMode: 240
; IeeeMode: 1
; LDSByteSize: 0 bytes/workgroup (compile time only)
; SGPRBlocks: 0
; VGPRBlocks: 0
; NumSGPRsForWavesPerEU: 4
; NumVGPRsForWavesPerEU: 1
; AccumOffset: 4
; Occupancy: 8
; WaveLimiterHint : 0
; COMPUTE_PGM_RSRC2:SCRATCH_EN: 0
; COMPUTE_PGM_RSRC2:USER_SGPR: 6
; COMPUTE_PGM_RSRC2:TRAP_HANDLER: 0
; COMPUTE_PGM_RSRC2:TGID_X_EN: 1
; COMPUTE_PGM_RSRC2:TGID_Y_EN: 0
; COMPUTE_PGM_RSRC2:TGID_Z_EN: 0
; COMPUTE_PGM_RSRC2:TIDIG_COMP_CNT: 0
; COMPUTE_PGM_RSRC3_GFX90A:ACCUM_OFFSET: 0
; COMPUTE_PGM_RSRC3_GFX90A:TG_SPLIT: 0
	.section	.text._ZN7rocprim17ROCPRIM_400000_NS6detail17trampoline_kernelINS0_14default_configENS1_38merge_sort_block_merge_config_selectorIilEEZZNS1_27merge_sort_block_merge_implIS3_PiN6thrust23THRUST_200600_302600_NS10device_ptrIlEEjNS1_19radix_merge_compareILb0ELb1EiNS0_19identity_decomposerEEEEE10hipError_tT0_T1_T2_jT3_P12ihipStream_tbPNSt15iterator_traitsISG_E10value_typeEPNSM_ISH_E10value_typeEPSI_NS1_7vsmem_tEENKUlT_SG_SH_SI_E_clIS7_S7_SB_PlEESF_SV_SG_SH_SI_EUlSV_E0_NS1_11comp_targetILNS1_3genE2ELNS1_11target_archE906ELNS1_3gpuE6ELNS1_3repE0EEENS1_38merge_mergepath_config_static_selectorELNS0_4arch9wavefront6targetE1EEEvSH_,"axG",@progbits,_ZN7rocprim17ROCPRIM_400000_NS6detail17trampoline_kernelINS0_14default_configENS1_38merge_sort_block_merge_config_selectorIilEEZZNS1_27merge_sort_block_merge_implIS3_PiN6thrust23THRUST_200600_302600_NS10device_ptrIlEEjNS1_19radix_merge_compareILb0ELb1EiNS0_19identity_decomposerEEEEE10hipError_tT0_T1_T2_jT3_P12ihipStream_tbPNSt15iterator_traitsISG_E10value_typeEPNSM_ISH_E10value_typeEPSI_NS1_7vsmem_tEENKUlT_SG_SH_SI_E_clIS7_S7_SB_PlEESF_SV_SG_SH_SI_EUlSV_E0_NS1_11comp_targetILNS1_3genE2ELNS1_11target_archE906ELNS1_3gpuE6ELNS1_3repE0EEENS1_38merge_mergepath_config_static_selectorELNS0_4arch9wavefront6targetE1EEEvSH_,comdat
	.protected	_ZN7rocprim17ROCPRIM_400000_NS6detail17trampoline_kernelINS0_14default_configENS1_38merge_sort_block_merge_config_selectorIilEEZZNS1_27merge_sort_block_merge_implIS3_PiN6thrust23THRUST_200600_302600_NS10device_ptrIlEEjNS1_19radix_merge_compareILb0ELb1EiNS0_19identity_decomposerEEEEE10hipError_tT0_T1_T2_jT3_P12ihipStream_tbPNSt15iterator_traitsISG_E10value_typeEPNSM_ISH_E10value_typeEPSI_NS1_7vsmem_tEENKUlT_SG_SH_SI_E_clIS7_S7_SB_PlEESF_SV_SG_SH_SI_EUlSV_E0_NS1_11comp_targetILNS1_3genE2ELNS1_11target_archE906ELNS1_3gpuE6ELNS1_3repE0EEENS1_38merge_mergepath_config_static_selectorELNS0_4arch9wavefront6targetE1EEEvSH_ ; -- Begin function _ZN7rocprim17ROCPRIM_400000_NS6detail17trampoline_kernelINS0_14default_configENS1_38merge_sort_block_merge_config_selectorIilEEZZNS1_27merge_sort_block_merge_implIS3_PiN6thrust23THRUST_200600_302600_NS10device_ptrIlEEjNS1_19radix_merge_compareILb0ELb1EiNS0_19identity_decomposerEEEEE10hipError_tT0_T1_T2_jT3_P12ihipStream_tbPNSt15iterator_traitsISG_E10value_typeEPNSM_ISH_E10value_typeEPSI_NS1_7vsmem_tEENKUlT_SG_SH_SI_E_clIS7_S7_SB_PlEESF_SV_SG_SH_SI_EUlSV_E0_NS1_11comp_targetILNS1_3genE2ELNS1_11target_archE906ELNS1_3gpuE6ELNS1_3repE0EEENS1_38merge_mergepath_config_static_selectorELNS0_4arch9wavefront6targetE1EEEvSH_
	.globl	_ZN7rocprim17ROCPRIM_400000_NS6detail17trampoline_kernelINS0_14default_configENS1_38merge_sort_block_merge_config_selectorIilEEZZNS1_27merge_sort_block_merge_implIS3_PiN6thrust23THRUST_200600_302600_NS10device_ptrIlEEjNS1_19radix_merge_compareILb0ELb1EiNS0_19identity_decomposerEEEEE10hipError_tT0_T1_T2_jT3_P12ihipStream_tbPNSt15iterator_traitsISG_E10value_typeEPNSM_ISH_E10value_typeEPSI_NS1_7vsmem_tEENKUlT_SG_SH_SI_E_clIS7_S7_SB_PlEESF_SV_SG_SH_SI_EUlSV_E0_NS1_11comp_targetILNS1_3genE2ELNS1_11target_archE906ELNS1_3gpuE6ELNS1_3repE0EEENS1_38merge_mergepath_config_static_selectorELNS0_4arch9wavefront6targetE1EEEvSH_
	.p2align	8
	.type	_ZN7rocprim17ROCPRIM_400000_NS6detail17trampoline_kernelINS0_14default_configENS1_38merge_sort_block_merge_config_selectorIilEEZZNS1_27merge_sort_block_merge_implIS3_PiN6thrust23THRUST_200600_302600_NS10device_ptrIlEEjNS1_19radix_merge_compareILb0ELb1EiNS0_19identity_decomposerEEEEE10hipError_tT0_T1_T2_jT3_P12ihipStream_tbPNSt15iterator_traitsISG_E10value_typeEPNSM_ISH_E10value_typeEPSI_NS1_7vsmem_tEENKUlT_SG_SH_SI_E_clIS7_S7_SB_PlEESF_SV_SG_SH_SI_EUlSV_E0_NS1_11comp_targetILNS1_3genE2ELNS1_11target_archE906ELNS1_3gpuE6ELNS1_3repE0EEENS1_38merge_mergepath_config_static_selectorELNS0_4arch9wavefront6targetE1EEEvSH_,@function
_ZN7rocprim17ROCPRIM_400000_NS6detail17trampoline_kernelINS0_14default_configENS1_38merge_sort_block_merge_config_selectorIilEEZZNS1_27merge_sort_block_merge_implIS3_PiN6thrust23THRUST_200600_302600_NS10device_ptrIlEEjNS1_19radix_merge_compareILb0ELb1EiNS0_19identity_decomposerEEEEE10hipError_tT0_T1_T2_jT3_P12ihipStream_tbPNSt15iterator_traitsISG_E10value_typeEPNSM_ISH_E10value_typeEPSI_NS1_7vsmem_tEENKUlT_SG_SH_SI_E_clIS7_S7_SB_PlEESF_SV_SG_SH_SI_EUlSV_E0_NS1_11comp_targetILNS1_3genE2ELNS1_11target_archE906ELNS1_3gpuE6ELNS1_3repE0EEENS1_38merge_mergepath_config_static_selectorELNS0_4arch9wavefront6targetE1EEEvSH_: ; @_ZN7rocprim17ROCPRIM_400000_NS6detail17trampoline_kernelINS0_14default_configENS1_38merge_sort_block_merge_config_selectorIilEEZZNS1_27merge_sort_block_merge_implIS3_PiN6thrust23THRUST_200600_302600_NS10device_ptrIlEEjNS1_19radix_merge_compareILb0ELb1EiNS0_19identity_decomposerEEEEE10hipError_tT0_T1_T2_jT3_P12ihipStream_tbPNSt15iterator_traitsISG_E10value_typeEPNSM_ISH_E10value_typeEPSI_NS1_7vsmem_tEENKUlT_SG_SH_SI_E_clIS7_S7_SB_PlEESF_SV_SG_SH_SI_EUlSV_E0_NS1_11comp_targetILNS1_3genE2ELNS1_11target_archE906ELNS1_3gpuE6ELNS1_3repE0EEENS1_38merge_mergepath_config_static_selectorELNS0_4arch9wavefront6targetE1EEEvSH_
; %bb.0:
	.section	.rodata,"a",@progbits
	.p2align	6, 0x0
	.amdhsa_kernel _ZN7rocprim17ROCPRIM_400000_NS6detail17trampoline_kernelINS0_14default_configENS1_38merge_sort_block_merge_config_selectorIilEEZZNS1_27merge_sort_block_merge_implIS3_PiN6thrust23THRUST_200600_302600_NS10device_ptrIlEEjNS1_19radix_merge_compareILb0ELb1EiNS0_19identity_decomposerEEEEE10hipError_tT0_T1_T2_jT3_P12ihipStream_tbPNSt15iterator_traitsISG_E10value_typeEPNSM_ISH_E10value_typeEPSI_NS1_7vsmem_tEENKUlT_SG_SH_SI_E_clIS7_S7_SB_PlEESF_SV_SG_SH_SI_EUlSV_E0_NS1_11comp_targetILNS1_3genE2ELNS1_11target_archE906ELNS1_3gpuE6ELNS1_3repE0EEENS1_38merge_mergepath_config_static_selectorELNS0_4arch9wavefront6targetE1EEEvSH_
		.amdhsa_group_segment_fixed_size 0
		.amdhsa_private_segment_fixed_size 0
		.amdhsa_kernarg_size 64
		.amdhsa_user_sgpr_count 6
		.amdhsa_user_sgpr_private_segment_buffer 1
		.amdhsa_user_sgpr_dispatch_ptr 0
		.amdhsa_user_sgpr_queue_ptr 0
		.amdhsa_user_sgpr_kernarg_segment_ptr 1
		.amdhsa_user_sgpr_dispatch_id 0
		.amdhsa_user_sgpr_flat_scratch_init 0
		.amdhsa_user_sgpr_kernarg_preload_length 0
		.amdhsa_user_sgpr_kernarg_preload_offset 0
		.amdhsa_user_sgpr_private_segment_size 0
		.amdhsa_uses_dynamic_stack 0
		.amdhsa_system_sgpr_private_segment_wavefront_offset 0
		.amdhsa_system_sgpr_workgroup_id_x 1
		.amdhsa_system_sgpr_workgroup_id_y 0
		.amdhsa_system_sgpr_workgroup_id_z 0
		.amdhsa_system_sgpr_workgroup_info 0
		.amdhsa_system_vgpr_workitem_id 0
		.amdhsa_next_free_vgpr 1
		.amdhsa_next_free_sgpr 0
		.amdhsa_accum_offset 4
		.amdhsa_reserve_vcc 0
		.amdhsa_reserve_flat_scratch 0
		.amdhsa_float_round_mode_32 0
		.amdhsa_float_round_mode_16_64 0
		.amdhsa_float_denorm_mode_32 3
		.amdhsa_float_denorm_mode_16_64 3
		.amdhsa_dx10_clamp 1
		.amdhsa_ieee_mode 1
		.amdhsa_fp16_overflow 0
		.amdhsa_tg_split 0
		.amdhsa_exception_fp_ieee_invalid_op 0
		.amdhsa_exception_fp_denorm_src 0
		.amdhsa_exception_fp_ieee_div_zero 0
		.amdhsa_exception_fp_ieee_overflow 0
		.amdhsa_exception_fp_ieee_underflow 0
		.amdhsa_exception_fp_ieee_inexact 0
		.amdhsa_exception_int_div_zero 0
	.end_amdhsa_kernel
	.section	.text._ZN7rocprim17ROCPRIM_400000_NS6detail17trampoline_kernelINS0_14default_configENS1_38merge_sort_block_merge_config_selectorIilEEZZNS1_27merge_sort_block_merge_implIS3_PiN6thrust23THRUST_200600_302600_NS10device_ptrIlEEjNS1_19radix_merge_compareILb0ELb1EiNS0_19identity_decomposerEEEEE10hipError_tT0_T1_T2_jT3_P12ihipStream_tbPNSt15iterator_traitsISG_E10value_typeEPNSM_ISH_E10value_typeEPSI_NS1_7vsmem_tEENKUlT_SG_SH_SI_E_clIS7_S7_SB_PlEESF_SV_SG_SH_SI_EUlSV_E0_NS1_11comp_targetILNS1_3genE2ELNS1_11target_archE906ELNS1_3gpuE6ELNS1_3repE0EEENS1_38merge_mergepath_config_static_selectorELNS0_4arch9wavefront6targetE1EEEvSH_,"axG",@progbits,_ZN7rocprim17ROCPRIM_400000_NS6detail17trampoline_kernelINS0_14default_configENS1_38merge_sort_block_merge_config_selectorIilEEZZNS1_27merge_sort_block_merge_implIS3_PiN6thrust23THRUST_200600_302600_NS10device_ptrIlEEjNS1_19radix_merge_compareILb0ELb1EiNS0_19identity_decomposerEEEEE10hipError_tT0_T1_T2_jT3_P12ihipStream_tbPNSt15iterator_traitsISG_E10value_typeEPNSM_ISH_E10value_typeEPSI_NS1_7vsmem_tEENKUlT_SG_SH_SI_E_clIS7_S7_SB_PlEESF_SV_SG_SH_SI_EUlSV_E0_NS1_11comp_targetILNS1_3genE2ELNS1_11target_archE906ELNS1_3gpuE6ELNS1_3repE0EEENS1_38merge_mergepath_config_static_selectorELNS0_4arch9wavefront6targetE1EEEvSH_,comdat
.Lfunc_end837:
	.size	_ZN7rocprim17ROCPRIM_400000_NS6detail17trampoline_kernelINS0_14default_configENS1_38merge_sort_block_merge_config_selectorIilEEZZNS1_27merge_sort_block_merge_implIS3_PiN6thrust23THRUST_200600_302600_NS10device_ptrIlEEjNS1_19radix_merge_compareILb0ELb1EiNS0_19identity_decomposerEEEEE10hipError_tT0_T1_T2_jT3_P12ihipStream_tbPNSt15iterator_traitsISG_E10value_typeEPNSM_ISH_E10value_typeEPSI_NS1_7vsmem_tEENKUlT_SG_SH_SI_E_clIS7_S7_SB_PlEESF_SV_SG_SH_SI_EUlSV_E0_NS1_11comp_targetILNS1_3genE2ELNS1_11target_archE906ELNS1_3gpuE6ELNS1_3repE0EEENS1_38merge_mergepath_config_static_selectorELNS0_4arch9wavefront6targetE1EEEvSH_, .Lfunc_end837-_ZN7rocprim17ROCPRIM_400000_NS6detail17trampoline_kernelINS0_14default_configENS1_38merge_sort_block_merge_config_selectorIilEEZZNS1_27merge_sort_block_merge_implIS3_PiN6thrust23THRUST_200600_302600_NS10device_ptrIlEEjNS1_19radix_merge_compareILb0ELb1EiNS0_19identity_decomposerEEEEE10hipError_tT0_T1_T2_jT3_P12ihipStream_tbPNSt15iterator_traitsISG_E10value_typeEPNSM_ISH_E10value_typeEPSI_NS1_7vsmem_tEENKUlT_SG_SH_SI_E_clIS7_S7_SB_PlEESF_SV_SG_SH_SI_EUlSV_E0_NS1_11comp_targetILNS1_3genE2ELNS1_11target_archE906ELNS1_3gpuE6ELNS1_3repE0EEENS1_38merge_mergepath_config_static_selectorELNS0_4arch9wavefront6targetE1EEEvSH_
                                        ; -- End function
	.section	.AMDGPU.csdata,"",@progbits
; Kernel info:
; codeLenInByte = 0
; NumSgprs: 4
; NumVgprs: 0
; NumAgprs: 0
; TotalNumVgprs: 0
; ScratchSize: 0
; MemoryBound: 0
; FloatMode: 240
; IeeeMode: 1
; LDSByteSize: 0 bytes/workgroup (compile time only)
; SGPRBlocks: 0
; VGPRBlocks: 0
; NumSGPRsForWavesPerEU: 4
; NumVGPRsForWavesPerEU: 1
; AccumOffset: 4
; Occupancy: 8
; WaveLimiterHint : 0
; COMPUTE_PGM_RSRC2:SCRATCH_EN: 0
; COMPUTE_PGM_RSRC2:USER_SGPR: 6
; COMPUTE_PGM_RSRC2:TRAP_HANDLER: 0
; COMPUTE_PGM_RSRC2:TGID_X_EN: 1
; COMPUTE_PGM_RSRC2:TGID_Y_EN: 0
; COMPUTE_PGM_RSRC2:TGID_Z_EN: 0
; COMPUTE_PGM_RSRC2:TIDIG_COMP_CNT: 0
; COMPUTE_PGM_RSRC3_GFX90A:ACCUM_OFFSET: 0
; COMPUTE_PGM_RSRC3_GFX90A:TG_SPLIT: 0
	.section	.text._ZN7rocprim17ROCPRIM_400000_NS6detail17trampoline_kernelINS0_14default_configENS1_38merge_sort_block_merge_config_selectorIilEEZZNS1_27merge_sort_block_merge_implIS3_PiN6thrust23THRUST_200600_302600_NS10device_ptrIlEEjNS1_19radix_merge_compareILb0ELb1EiNS0_19identity_decomposerEEEEE10hipError_tT0_T1_T2_jT3_P12ihipStream_tbPNSt15iterator_traitsISG_E10value_typeEPNSM_ISH_E10value_typeEPSI_NS1_7vsmem_tEENKUlT_SG_SH_SI_E_clIS7_S7_SB_PlEESF_SV_SG_SH_SI_EUlSV_E0_NS1_11comp_targetILNS1_3genE9ELNS1_11target_archE1100ELNS1_3gpuE3ELNS1_3repE0EEENS1_38merge_mergepath_config_static_selectorELNS0_4arch9wavefront6targetE1EEEvSH_,"axG",@progbits,_ZN7rocprim17ROCPRIM_400000_NS6detail17trampoline_kernelINS0_14default_configENS1_38merge_sort_block_merge_config_selectorIilEEZZNS1_27merge_sort_block_merge_implIS3_PiN6thrust23THRUST_200600_302600_NS10device_ptrIlEEjNS1_19radix_merge_compareILb0ELb1EiNS0_19identity_decomposerEEEEE10hipError_tT0_T1_T2_jT3_P12ihipStream_tbPNSt15iterator_traitsISG_E10value_typeEPNSM_ISH_E10value_typeEPSI_NS1_7vsmem_tEENKUlT_SG_SH_SI_E_clIS7_S7_SB_PlEESF_SV_SG_SH_SI_EUlSV_E0_NS1_11comp_targetILNS1_3genE9ELNS1_11target_archE1100ELNS1_3gpuE3ELNS1_3repE0EEENS1_38merge_mergepath_config_static_selectorELNS0_4arch9wavefront6targetE1EEEvSH_,comdat
	.protected	_ZN7rocprim17ROCPRIM_400000_NS6detail17trampoline_kernelINS0_14default_configENS1_38merge_sort_block_merge_config_selectorIilEEZZNS1_27merge_sort_block_merge_implIS3_PiN6thrust23THRUST_200600_302600_NS10device_ptrIlEEjNS1_19radix_merge_compareILb0ELb1EiNS0_19identity_decomposerEEEEE10hipError_tT0_T1_T2_jT3_P12ihipStream_tbPNSt15iterator_traitsISG_E10value_typeEPNSM_ISH_E10value_typeEPSI_NS1_7vsmem_tEENKUlT_SG_SH_SI_E_clIS7_S7_SB_PlEESF_SV_SG_SH_SI_EUlSV_E0_NS1_11comp_targetILNS1_3genE9ELNS1_11target_archE1100ELNS1_3gpuE3ELNS1_3repE0EEENS1_38merge_mergepath_config_static_selectorELNS0_4arch9wavefront6targetE1EEEvSH_ ; -- Begin function _ZN7rocprim17ROCPRIM_400000_NS6detail17trampoline_kernelINS0_14default_configENS1_38merge_sort_block_merge_config_selectorIilEEZZNS1_27merge_sort_block_merge_implIS3_PiN6thrust23THRUST_200600_302600_NS10device_ptrIlEEjNS1_19radix_merge_compareILb0ELb1EiNS0_19identity_decomposerEEEEE10hipError_tT0_T1_T2_jT3_P12ihipStream_tbPNSt15iterator_traitsISG_E10value_typeEPNSM_ISH_E10value_typeEPSI_NS1_7vsmem_tEENKUlT_SG_SH_SI_E_clIS7_S7_SB_PlEESF_SV_SG_SH_SI_EUlSV_E0_NS1_11comp_targetILNS1_3genE9ELNS1_11target_archE1100ELNS1_3gpuE3ELNS1_3repE0EEENS1_38merge_mergepath_config_static_selectorELNS0_4arch9wavefront6targetE1EEEvSH_
	.globl	_ZN7rocprim17ROCPRIM_400000_NS6detail17trampoline_kernelINS0_14default_configENS1_38merge_sort_block_merge_config_selectorIilEEZZNS1_27merge_sort_block_merge_implIS3_PiN6thrust23THRUST_200600_302600_NS10device_ptrIlEEjNS1_19radix_merge_compareILb0ELb1EiNS0_19identity_decomposerEEEEE10hipError_tT0_T1_T2_jT3_P12ihipStream_tbPNSt15iterator_traitsISG_E10value_typeEPNSM_ISH_E10value_typeEPSI_NS1_7vsmem_tEENKUlT_SG_SH_SI_E_clIS7_S7_SB_PlEESF_SV_SG_SH_SI_EUlSV_E0_NS1_11comp_targetILNS1_3genE9ELNS1_11target_archE1100ELNS1_3gpuE3ELNS1_3repE0EEENS1_38merge_mergepath_config_static_selectorELNS0_4arch9wavefront6targetE1EEEvSH_
	.p2align	8
	.type	_ZN7rocprim17ROCPRIM_400000_NS6detail17trampoline_kernelINS0_14default_configENS1_38merge_sort_block_merge_config_selectorIilEEZZNS1_27merge_sort_block_merge_implIS3_PiN6thrust23THRUST_200600_302600_NS10device_ptrIlEEjNS1_19radix_merge_compareILb0ELb1EiNS0_19identity_decomposerEEEEE10hipError_tT0_T1_T2_jT3_P12ihipStream_tbPNSt15iterator_traitsISG_E10value_typeEPNSM_ISH_E10value_typeEPSI_NS1_7vsmem_tEENKUlT_SG_SH_SI_E_clIS7_S7_SB_PlEESF_SV_SG_SH_SI_EUlSV_E0_NS1_11comp_targetILNS1_3genE9ELNS1_11target_archE1100ELNS1_3gpuE3ELNS1_3repE0EEENS1_38merge_mergepath_config_static_selectorELNS0_4arch9wavefront6targetE1EEEvSH_,@function
_ZN7rocprim17ROCPRIM_400000_NS6detail17trampoline_kernelINS0_14default_configENS1_38merge_sort_block_merge_config_selectorIilEEZZNS1_27merge_sort_block_merge_implIS3_PiN6thrust23THRUST_200600_302600_NS10device_ptrIlEEjNS1_19radix_merge_compareILb0ELb1EiNS0_19identity_decomposerEEEEE10hipError_tT0_T1_T2_jT3_P12ihipStream_tbPNSt15iterator_traitsISG_E10value_typeEPNSM_ISH_E10value_typeEPSI_NS1_7vsmem_tEENKUlT_SG_SH_SI_E_clIS7_S7_SB_PlEESF_SV_SG_SH_SI_EUlSV_E0_NS1_11comp_targetILNS1_3genE9ELNS1_11target_archE1100ELNS1_3gpuE3ELNS1_3repE0EEENS1_38merge_mergepath_config_static_selectorELNS0_4arch9wavefront6targetE1EEEvSH_: ; @_ZN7rocprim17ROCPRIM_400000_NS6detail17trampoline_kernelINS0_14default_configENS1_38merge_sort_block_merge_config_selectorIilEEZZNS1_27merge_sort_block_merge_implIS3_PiN6thrust23THRUST_200600_302600_NS10device_ptrIlEEjNS1_19radix_merge_compareILb0ELb1EiNS0_19identity_decomposerEEEEE10hipError_tT0_T1_T2_jT3_P12ihipStream_tbPNSt15iterator_traitsISG_E10value_typeEPNSM_ISH_E10value_typeEPSI_NS1_7vsmem_tEENKUlT_SG_SH_SI_E_clIS7_S7_SB_PlEESF_SV_SG_SH_SI_EUlSV_E0_NS1_11comp_targetILNS1_3genE9ELNS1_11target_archE1100ELNS1_3gpuE3ELNS1_3repE0EEENS1_38merge_mergepath_config_static_selectorELNS0_4arch9wavefront6targetE1EEEvSH_
; %bb.0:
	.section	.rodata,"a",@progbits
	.p2align	6, 0x0
	.amdhsa_kernel _ZN7rocprim17ROCPRIM_400000_NS6detail17trampoline_kernelINS0_14default_configENS1_38merge_sort_block_merge_config_selectorIilEEZZNS1_27merge_sort_block_merge_implIS3_PiN6thrust23THRUST_200600_302600_NS10device_ptrIlEEjNS1_19radix_merge_compareILb0ELb1EiNS0_19identity_decomposerEEEEE10hipError_tT0_T1_T2_jT3_P12ihipStream_tbPNSt15iterator_traitsISG_E10value_typeEPNSM_ISH_E10value_typeEPSI_NS1_7vsmem_tEENKUlT_SG_SH_SI_E_clIS7_S7_SB_PlEESF_SV_SG_SH_SI_EUlSV_E0_NS1_11comp_targetILNS1_3genE9ELNS1_11target_archE1100ELNS1_3gpuE3ELNS1_3repE0EEENS1_38merge_mergepath_config_static_selectorELNS0_4arch9wavefront6targetE1EEEvSH_
		.amdhsa_group_segment_fixed_size 0
		.amdhsa_private_segment_fixed_size 0
		.amdhsa_kernarg_size 64
		.amdhsa_user_sgpr_count 6
		.amdhsa_user_sgpr_private_segment_buffer 1
		.amdhsa_user_sgpr_dispatch_ptr 0
		.amdhsa_user_sgpr_queue_ptr 0
		.amdhsa_user_sgpr_kernarg_segment_ptr 1
		.amdhsa_user_sgpr_dispatch_id 0
		.amdhsa_user_sgpr_flat_scratch_init 0
		.amdhsa_user_sgpr_kernarg_preload_length 0
		.amdhsa_user_sgpr_kernarg_preload_offset 0
		.amdhsa_user_sgpr_private_segment_size 0
		.amdhsa_uses_dynamic_stack 0
		.amdhsa_system_sgpr_private_segment_wavefront_offset 0
		.amdhsa_system_sgpr_workgroup_id_x 1
		.amdhsa_system_sgpr_workgroup_id_y 0
		.amdhsa_system_sgpr_workgroup_id_z 0
		.amdhsa_system_sgpr_workgroup_info 0
		.amdhsa_system_vgpr_workitem_id 0
		.amdhsa_next_free_vgpr 1
		.amdhsa_next_free_sgpr 0
		.amdhsa_accum_offset 4
		.amdhsa_reserve_vcc 0
		.amdhsa_reserve_flat_scratch 0
		.amdhsa_float_round_mode_32 0
		.amdhsa_float_round_mode_16_64 0
		.amdhsa_float_denorm_mode_32 3
		.amdhsa_float_denorm_mode_16_64 3
		.amdhsa_dx10_clamp 1
		.amdhsa_ieee_mode 1
		.amdhsa_fp16_overflow 0
		.amdhsa_tg_split 0
		.amdhsa_exception_fp_ieee_invalid_op 0
		.amdhsa_exception_fp_denorm_src 0
		.amdhsa_exception_fp_ieee_div_zero 0
		.amdhsa_exception_fp_ieee_overflow 0
		.amdhsa_exception_fp_ieee_underflow 0
		.amdhsa_exception_fp_ieee_inexact 0
		.amdhsa_exception_int_div_zero 0
	.end_amdhsa_kernel
	.section	.text._ZN7rocprim17ROCPRIM_400000_NS6detail17trampoline_kernelINS0_14default_configENS1_38merge_sort_block_merge_config_selectorIilEEZZNS1_27merge_sort_block_merge_implIS3_PiN6thrust23THRUST_200600_302600_NS10device_ptrIlEEjNS1_19radix_merge_compareILb0ELb1EiNS0_19identity_decomposerEEEEE10hipError_tT0_T1_T2_jT3_P12ihipStream_tbPNSt15iterator_traitsISG_E10value_typeEPNSM_ISH_E10value_typeEPSI_NS1_7vsmem_tEENKUlT_SG_SH_SI_E_clIS7_S7_SB_PlEESF_SV_SG_SH_SI_EUlSV_E0_NS1_11comp_targetILNS1_3genE9ELNS1_11target_archE1100ELNS1_3gpuE3ELNS1_3repE0EEENS1_38merge_mergepath_config_static_selectorELNS0_4arch9wavefront6targetE1EEEvSH_,"axG",@progbits,_ZN7rocprim17ROCPRIM_400000_NS6detail17trampoline_kernelINS0_14default_configENS1_38merge_sort_block_merge_config_selectorIilEEZZNS1_27merge_sort_block_merge_implIS3_PiN6thrust23THRUST_200600_302600_NS10device_ptrIlEEjNS1_19radix_merge_compareILb0ELb1EiNS0_19identity_decomposerEEEEE10hipError_tT0_T1_T2_jT3_P12ihipStream_tbPNSt15iterator_traitsISG_E10value_typeEPNSM_ISH_E10value_typeEPSI_NS1_7vsmem_tEENKUlT_SG_SH_SI_E_clIS7_S7_SB_PlEESF_SV_SG_SH_SI_EUlSV_E0_NS1_11comp_targetILNS1_3genE9ELNS1_11target_archE1100ELNS1_3gpuE3ELNS1_3repE0EEENS1_38merge_mergepath_config_static_selectorELNS0_4arch9wavefront6targetE1EEEvSH_,comdat
.Lfunc_end838:
	.size	_ZN7rocprim17ROCPRIM_400000_NS6detail17trampoline_kernelINS0_14default_configENS1_38merge_sort_block_merge_config_selectorIilEEZZNS1_27merge_sort_block_merge_implIS3_PiN6thrust23THRUST_200600_302600_NS10device_ptrIlEEjNS1_19radix_merge_compareILb0ELb1EiNS0_19identity_decomposerEEEEE10hipError_tT0_T1_T2_jT3_P12ihipStream_tbPNSt15iterator_traitsISG_E10value_typeEPNSM_ISH_E10value_typeEPSI_NS1_7vsmem_tEENKUlT_SG_SH_SI_E_clIS7_S7_SB_PlEESF_SV_SG_SH_SI_EUlSV_E0_NS1_11comp_targetILNS1_3genE9ELNS1_11target_archE1100ELNS1_3gpuE3ELNS1_3repE0EEENS1_38merge_mergepath_config_static_selectorELNS0_4arch9wavefront6targetE1EEEvSH_, .Lfunc_end838-_ZN7rocprim17ROCPRIM_400000_NS6detail17trampoline_kernelINS0_14default_configENS1_38merge_sort_block_merge_config_selectorIilEEZZNS1_27merge_sort_block_merge_implIS3_PiN6thrust23THRUST_200600_302600_NS10device_ptrIlEEjNS1_19radix_merge_compareILb0ELb1EiNS0_19identity_decomposerEEEEE10hipError_tT0_T1_T2_jT3_P12ihipStream_tbPNSt15iterator_traitsISG_E10value_typeEPNSM_ISH_E10value_typeEPSI_NS1_7vsmem_tEENKUlT_SG_SH_SI_E_clIS7_S7_SB_PlEESF_SV_SG_SH_SI_EUlSV_E0_NS1_11comp_targetILNS1_3genE9ELNS1_11target_archE1100ELNS1_3gpuE3ELNS1_3repE0EEENS1_38merge_mergepath_config_static_selectorELNS0_4arch9wavefront6targetE1EEEvSH_
                                        ; -- End function
	.section	.AMDGPU.csdata,"",@progbits
; Kernel info:
; codeLenInByte = 0
; NumSgprs: 4
; NumVgprs: 0
; NumAgprs: 0
; TotalNumVgprs: 0
; ScratchSize: 0
; MemoryBound: 0
; FloatMode: 240
; IeeeMode: 1
; LDSByteSize: 0 bytes/workgroup (compile time only)
; SGPRBlocks: 0
; VGPRBlocks: 0
; NumSGPRsForWavesPerEU: 4
; NumVGPRsForWavesPerEU: 1
; AccumOffset: 4
; Occupancy: 8
; WaveLimiterHint : 0
; COMPUTE_PGM_RSRC2:SCRATCH_EN: 0
; COMPUTE_PGM_RSRC2:USER_SGPR: 6
; COMPUTE_PGM_RSRC2:TRAP_HANDLER: 0
; COMPUTE_PGM_RSRC2:TGID_X_EN: 1
; COMPUTE_PGM_RSRC2:TGID_Y_EN: 0
; COMPUTE_PGM_RSRC2:TGID_Z_EN: 0
; COMPUTE_PGM_RSRC2:TIDIG_COMP_CNT: 0
; COMPUTE_PGM_RSRC3_GFX90A:ACCUM_OFFSET: 0
; COMPUTE_PGM_RSRC3_GFX90A:TG_SPLIT: 0
	.section	.text._ZN7rocprim17ROCPRIM_400000_NS6detail17trampoline_kernelINS0_14default_configENS1_38merge_sort_block_merge_config_selectorIilEEZZNS1_27merge_sort_block_merge_implIS3_PiN6thrust23THRUST_200600_302600_NS10device_ptrIlEEjNS1_19radix_merge_compareILb0ELb1EiNS0_19identity_decomposerEEEEE10hipError_tT0_T1_T2_jT3_P12ihipStream_tbPNSt15iterator_traitsISG_E10value_typeEPNSM_ISH_E10value_typeEPSI_NS1_7vsmem_tEENKUlT_SG_SH_SI_E_clIS7_S7_SB_PlEESF_SV_SG_SH_SI_EUlSV_E0_NS1_11comp_targetILNS1_3genE8ELNS1_11target_archE1030ELNS1_3gpuE2ELNS1_3repE0EEENS1_38merge_mergepath_config_static_selectorELNS0_4arch9wavefront6targetE1EEEvSH_,"axG",@progbits,_ZN7rocprim17ROCPRIM_400000_NS6detail17trampoline_kernelINS0_14default_configENS1_38merge_sort_block_merge_config_selectorIilEEZZNS1_27merge_sort_block_merge_implIS3_PiN6thrust23THRUST_200600_302600_NS10device_ptrIlEEjNS1_19radix_merge_compareILb0ELb1EiNS0_19identity_decomposerEEEEE10hipError_tT0_T1_T2_jT3_P12ihipStream_tbPNSt15iterator_traitsISG_E10value_typeEPNSM_ISH_E10value_typeEPSI_NS1_7vsmem_tEENKUlT_SG_SH_SI_E_clIS7_S7_SB_PlEESF_SV_SG_SH_SI_EUlSV_E0_NS1_11comp_targetILNS1_3genE8ELNS1_11target_archE1030ELNS1_3gpuE2ELNS1_3repE0EEENS1_38merge_mergepath_config_static_selectorELNS0_4arch9wavefront6targetE1EEEvSH_,comdat
	.protected	_ZN7rocprim17ROCPRIM_400000_NS6detail17trampoline_kernelINS0_14default_configENS1_38merge_sort_block_merge_config_selectorIilEEZZNS1_27merge_sort_block_merge_implIS3_PiN6thrust23THRUST_200600_302600_NS10device_ptrIlEEjNS1_19radix_merge_compareILb0ELb1EiNS0_19identity_decomposerEEEEE10hipError_tT0_T1_T2_jT3_P12ihipStream_tbPNSt15iterator_traitsISG_E10value_typeEPNSM_ISH_E10value_typeEPSI_NS1_7vsmem_tEENKUlT_SG_SH_SI_E_clIS7_S7_SB_PlEESF_SV_SG_SH_SI_EUlSV_E0_NS1_11comp_targetILNS1_3genE8ELNS1_11target_archE1030ELNS1_3gpuE2ELNS1_3repE0EEENS1_38merge_mergepath_config_static_selectorELNS0_4arch9wavefront6targetE1EEEvSH_ ; -- Begin function _ZN7rocprim17ROCPRIM_400000_NS6detail17trampoline_kernelINS0_14default_configENS1_38merge_sort_block_merge_config_selectorIilEEZZNS1_27merge_sort_block_merge_implIS3_PiN6thrust23THRUST_200600_302600_NS10device_ptrIlEEjNS1_19radix_merge_compareILb0ELb1EiNS0_19identity_decomposerEEEEE10hipError_tT0_T1_T2_jT3_P12ihipStream_tbPNSt15iterator_traitsISG_E10value_typeEPNSM_ISH_E10value_typeEPSI_NS1_7vsmem_tEENKUlT_SG_SH_SI_E_clIS7_S7_SB_PlEESF_SV_SG_SH_SI_EUlSV_E0_NS1_11comp_targetILNS1_3genE8ELNS1_11target_archE1030ELNS1_3gpuE2ELNS1_3repE0EEENS1_38merge_mergepath_config_static_selectorELNS0_4arch9wavefront6targetE1EEEvSH_
	.globl	_ZN7rocprim17ROCPRIM_400000_NS6detail17trampoline_kernelINS0_14default_configENS1_38merge_sort_block_merge_config_selectorIilEEZZNS1_27merge_sort_block_merge_implIS3_PiN6thrust23THRUST_200600_302600_NS10device_ptrIlEEjNS1_19radix_merge_compareILb0ELb1EiNS0_19identity_decomposerEEEEE10hipError_tT0_T1_T2_jT3_P12ihipStream_tbPNSt15iterator_traitsISG_E10value_typeEPNSM_ISH_E10value_typeEPSI_NS1_7vsmem_tEENKUlT_SG_SH_SI_E_clIS7_S7_SB_PlEESF_SV_SG_SH_SI_EUlSV_E0_NS1_11comp_targetILNS1_3genE8ELNS1_11target_archE1030ELNS1_3gpuE2ELNS1_3repE0EEENS1_38merge_mergepath_config_static_selectorELNS0_4arch9wavefront6targetE1EEEvSH_
	.p2align	8
	.type	_ZN7rocprim17ROCPRIM_400000_NS6detail17trampoline_kernelINS0_14default_configENS1_38merge_sort_block_merge_config_selectorIilEEZZNS1_27merge_sort_block_merge_implIS3_PiN6thrust23THRUST_200600_302600_NS10device_ptrIlEEjNS1_19radix_merge_compareILb0ELb1EiNS0_19identity_decomposerEEEEE10hipError_tT0_T1_T2_jT3_P12ihipStream_tbPNSt15iterator_traitsISG_E10value_typeEPNSM_ISH_E10value_typeEPSI_NS1_7vsmem_tEENKUlT_SG_SH_SI_E_clIS7_S7_SB_PlEESF_SV_SG_SH_SI_EUlSV_E0_NS1_11comp_targetILNS1_3genE8ELNS1_11target_archE1030ELNS1_3gpuE2ELNS1_3repE0EEENS1_38merge_mergepath_config_static_selectorELNS0_4arch9wavefront6targetE1EEEvSH_,@function
_ZN7rocprim17ROCPRIM_400000_NS6detail17trampoline_kernelINS0_14default_configENS1_38merge_sort_block_merge_config_selectorIilEEZZNS1_27merge_sort_block_merge_implIS3_PiN6thrust23THRUST_200600_302600_NS10device_ptrIlEEjNS1_19radix_merge_compareILb0ELb1EiNS0_19identity_decomposerEEEEE10hipError_tT0_T1_T2_jT3_P12ihipStream_tbPNSt15iterator_traitsISG_E10value_typeEPNSM_ISH_E10value_typeEPSI_NS1_7vsmem_tEENKUlT_SG_SH_SI_E_clIS7_S7_SB_PlEESF_SV_SG_SH_SI_EUlSV_E0_NS1_11comp_targetILNS1_3genE8ELNS1_11target_archE1030ELNS1_3gpuE2ELNS1_3repE0EEENS1_38merge_mergepath_config_static_selectorELNS0_4arch9wavefront6targetE1EEEvSH_: ; @_ZN7rocprim17ROCPRIM_400000_NS6detail17trampoline_kernelINS0_14default_configENS1_38merge_sort_block_merge_config_selectorIilEEZZNS1_27merge_sort_block_merge_implIS3_PiN6thrust23THRUST_200600_302600_NS10device_ptrIlEEjNS1_19radix_merge_compareILb0ELb1EiNS0_19identity_decomposerEEEEE10hipError_tT0_T1_T2_jT3_P12ihipStream_tbPNSt15iterator_traitsISG_E10value_typeEPNSM_ISH_E10value_typeEPSI_NS1_7vsmem_tEENKUlT_SG_SH_SI_E_clIS7_S7_SB_PlEESF_SV_SG_SH_SI_EUlSV_E0_NS1_11comp_targetILNS1_3genE8ELNS1_11target_archE1030ELNS1_3gpuE2ELNS1_3repE0EEENS1_38merge_mergepath_config_static_selectorELNS0_4arch9wavefront6targetE1EEEvSH_
; %bb.0:
	.section	.rodata,"a",@progbits
	.p2align	6, 0x0
	.amdhsa_kernel _ZN7rocprim17ROCPRIM_400000_NS6detail17trampoline_kernelINS0_14default_configENS1_38merge_sort_block_merge_config_selectorIilEEZZNS1_27merge_sort_block_merge_implIS3_PiN6thrust23THRUST_200600_302600_NS10device_ptrIlEEjNS1_19radix_merge_compareILb0ELb1EiNS0_19identity_decomposerEEEEE10hipError_tT0_T1_T2_jT3_P12ihipStream_tbPNSt15iterator_traitsISG_E10value_typeEPNSM_ISH_E10value_typeEPSI_NS1_7vsmem_tEENKUlT_SG_SH_SI_E_clIS7_S7_SB_PlEESF_SV_SG_SH_SI_EUlSV_E0_NS1_11comp_targetILNS1_3genE8ELNS1_11target_archE1030ELNS1_3gpuE2ELNS1_3repE0EEENS1_38merge_mergepath_config_static_selectorELNS0_4arch9wavefront6targetE1EEEvSH_
		.amdhsa_group_segment_fixed_size 0
		.amdhsa_private_segment_fixed_size 0
		.amdhsa_kernarg_size 64
		.amdhsa_user_sgpr_count 6
		.amdhsa_user_sgpr_private_segment_buffer 1
		.amdhsa_user_sgpr_dispatch_ptr 0
		.amdhsa_user_sgpr_queue_ptr 0
		.amdhsa_user_sgpr_kernarg_segment_ptr 1
		.amdhsa_user_sgpr_dispatch_id 0
		.amdhsa_user_sgpr_flat_scratch_init 0
		.amdhsa_user_sgpr_kernarg_preload_length 0
		.amdhsa_user_sgpr_kernarg_preload_offset 0
		.amdhsa_user_sgpr_private_segment_size 0
		.amdhsa_uses_dynamic_stack 0
		.amdhsa_system_sgpr_private_segment_wavefront_offset 0
		.amdhsa_system_sgpr_workgroup_id_x 1
		.amdhsa_system_sgpr_workgroup_id_y 0
		.amdhsa_system_sgpr_workgroup_id_z 0
		.amdhsa_system_sgpr_workgroup_info 0
		.amdhsa_system_vgpr_workitem_id 0
		.amdhsa_next_free_vgpr 1
		.amdhsa_next_free_sgpr 0
		.amdhsa_accum_offset 4
		.amdhsa_reserve_vcc 0
		.amdhsa_reserve_flat_scratch 0
		.amdhsa_float_round_mode_32 0
		.amdhsa_float_round_mode_16_64 0
		.amdhsa_float_denorm_mode_32 3
		.amdhsa_float_denorm_mode_16_64 3
		.amdhsa_dx10_clamp 1
		.amdhsa_ieee_mode 1
		.amdhsa_fp16_overflow 0
		.amdhsa_tg_split 0
		.amdhsa_exception_fp_ieee_invalid_op 0
		.amdhsa_exception_fp_denorm_src 0
		.amdhsa_exception_fp_ieee_div_zero 0
		.amdhsa_exception_fp_ieee_overflow 0
		.amdhsa_exception_fp_ieee_underflow 0
		.amdhsa_exception_fp_ieee_inexact 0
		.amdhsa_exception_int_div_zero 0
	.end_amdhsa_kernel
	.section	.text._ZN7rocprim17ROCPRIM_400000_NS6detail17trampoline_kernelINS0_14default_configENS1_38merge_sort_block_merge_config_selectorIilEEZZNS1_27merge_sort_block_merge_implIS3_PiN6thrust23THRUST_200600_302600_NS10device_ptrIlEEjNS1_19radix_merge_compareILb0ELb1EiNS0_19identity_decomposerEEEEE10hipError_tT0_T1_T2_jT3_P12ihipStream_tbPNSt15iterator_traitsISG_E10value_typeEPNSM_ISH_E10value_typeEPSI_NS1_7vsmem_tEENKUlT_SG_SH_SI_E_clIS7_S7_SB_PlEESF_SV_SG_SH_SI_EUlSV_E0_NS1_11comp_targetILNS1_3genE8ELNS1_11target_archE1030ELNS1_3gpuE2ELNS1_3repE0EEENS1_38merge_mergepath_config_static_selectorELNS0_4arch9wavefront6targetE1EEEvSH_,"axG",@progbits,_ZN7rocprim17ROCPRIM_400000_NS6detail17trampoline_kernelINS0_14default_configENS1_38merge_sort_block_merge_config_selectorIilEEZZNS1_27merge_sort_block_merge_implIS3_PiN6thrust23THRUST_200600_302600_NS10device_ptrIlEEjNS1_19radix_merge_compareILb0ELb1EiNS0_19identity_decomposerEEEEE10hipError_tT0_T1_T2_jT3_P12ihipStream_tbPNSt15iterator_traitsISG_E10value_typeEPNSM_ISH_E10value_typeEPSI_NS1_7vsmem_tEENKUlT_SG_SH_SI_E_clIS7_S7_SB_PlEESF_SV_SG_SH_SI_EUlSV_E0_NS1_11comp_targetILNS1_3genE8ELNS1_11target_archE1030ELNS1_3gpuE2ELNS1_3repE0EEENS1_38merge_mergepath_config_static_selectorELNS0_4arch9wavefront6targetE1EEEvSH_,comdat
.Lfunc_end839:
	.size	_ZN7rocprim17ROCPRIM_400000_NS6detail17trampoline_kernelINS0_14default_configENS1_38merge_sort_block_merge_config_selectorIilEEZZNS1_27merge_sort_block_merge_implIS3_PiN6thrust23THRUST_200600_302600_NS10device_ptrIlEEjNS1_19radix_merge_compareILb0ELb1EiNS0_19identity_decomposerEEEEE10hipError_tT0_T1_T2_jT3_P12ihipStream_tbPNSt15iterator_traitsISG_E10value_typeEPNSM_ISH_E10value_typeEPSI_NS1_7vsmem_tEENKUlT_SG_SH_SI_E_clIS7_S7_SB_PlEESF_SV_SG_SH_SI_EUlSV_E0_NS1_11comp_targetILNS1_3genE8ELNS1_11target_archE1030ELNS1_3gpuE2ELNS1_3repE0EEENS1_38merge_mergepath_config_static_selectorELNS0_4arch9wavefront6targetE1EEEvSH_, .Lfunc_end839-_ZN7rocprim17ROCPRIM_400000_NS6detail17trampoline_kernelINS0_14default_configENS1_38merge_sort_block_merge_config_selectorIilEEZZNS1_27merge_sort_block_merge_implIS3_PiN6thrust23THRUST_200600_302600_NS10device_ptrIlEEjNS1_19radix_merge_compareILb0ELb1EiNS0_19identity_decomposerEEEEE10hipError_tT0_T1_T2_jT3_P12ihipStream_tbPNSt15iterator_traitsISG_E10value_typeEPNSM_ISH_E10value_typeEPSI_NS1_7vsmem_tEENKUlT_SG_SH_SI_E_clIS7_S7_SB_PlEESF_SV_SG_SH_SI_EUlSV_E0_NS1_11comp_targetILNS1_3genE8ELNS1_11target_archE1030ELNS1_3gpuE2ELNS1_3repE0EEENS1_38merge_mergepath_config_static_selectorELNS0_4arch9wavefront6targetE1EEEvSH_
                                        ; -- End function
	.section	.AMDGPU.csdata,"",@progbits
; Kernel info:
; codeLenInByte = 0
; NumSgprs: 4
; NumVgprs: 0
; NumAgprs: 0
; TotalNumVgprs: 0
; ScratchSize: 0
; MemoryBound: 0
; FloatMode: 240
; IeeeMode: 1
; LDSByteSize: 0 bytes/workgroup (compile time only)
; SGPRBlocks: 0
; VGPRBlocks: 0
; NumSGPRsForWavesPerEU: 4
; NumVGPRsForWavesPerEU: 1
; AccumOffset: 4
; Occupancy: 8
; WaveLimiterHint : 0
; COMPUTE_PGM_RSRC2:SCRATCH_EN: 0
; COMPUTE_PGM_RSRC2:USER_SGPR: 6
; COMPUTE_PGM_RSRC2:TRAP_HANDLER: 0
; COMPUTE_PGM_RSRC2:TGID_X_EN: 1
; COMPUTE_PGM_RSRC2:TGID_Y_EN: 0
; COMPUTE_PGM_RSRC2:TGID_Z_EN: 0
; COMPUTE_PGM_RSRC2:TIDIG_COMP_CNT: 0
; COMPUTE_PGM_RSRC3_GFX90A:ACCUM_OFFSET: 0
; COMPUTE_PGM_RSRC3_GFX90A:TG_SPLIT: 0
	.section	.text._ZN7rocprim17ROCPRIM_400000_NS6detail17trampoline_kernelINS0_14default_configENS1_38merge_sort_block_merge_config_selectorIilEEZZNS1_27merge_sort_block_merge_implIS3_PiN6thrust23THRUST_200600_302600_NS10device_ptrIlEEjNS1_19radix_merge_compareILb0ELb1EiNS0_19identity_decomposerEEEEE10hipError_tT0_T1_T2_jT3_P12ihipStream_tbPNSt15iterator_traitsISG_E10value_typeEPNSM_ISH_E10value_typeEPSI_NS1_7vsmem_tEENKUlT_SG_SH_SI_E_clIS7_S7_SB_PlEESF_SV_SG_SH_SI_EUlSV_E1_NS1_11comp_targetILNS1_3genE0ELNS1_11target_archE4294967295ELNS1_3gpuE0ELNS1_3repE0EEENS1_36merge_oddeven_config_static_selectorELNS0_4arch9wavefront6targetE1EEEvSH_,"axG",@progbits,_ZN7rocprim17ROCPRIM_400000_NS6detail17trampoline_kernelINS0_14default_configENS1_38merge_sort_block_merge_config_selectorIilEEZZNS1_27merge_sort_block_merge_implIS3_PiN6thrust23THRUST_200600_302600_NS10device_ptrIlEEjNS1_19radix_merge_compareILb0ELb1EiNS0_19identity_decomposerEEEEE10hipError_tT0_T1_T2_jT3_P12ihipStream_tbPNSt15iterator_traitsISG_E10value_typeEPNSM_ISH_E10value_typeEPSI_NS1_7vsmem_tEENKUlT_SG_SH_SI_E_clIS7_S7_SB_PlEESF_SV_SG_SH_SI_EUlSV_E1_NS1_11comp_targetILNS1_3genE0ELNS1_11target_archE4294967295ELNS1_3gpuE0ELNS1_3repE0EEENS1_36merge_oddeven_config_static_selectorELNS0_4arch9wavefront6targetE1EEEvSH_,comdat
	.protected	_ZN7rocprim17ROCPRIM_400000_NS6detail17trampoline_kernelINS0_14default_configENS1_38merge_sort_block_merge_config_selectorIilEEZZNS1_27merge_sort_block_merge_implIS3_PiN6thrust23THRUST_200600_302600_NS10device_ptrIlEEjNS1_19radix_merge_compareILb0ELb1EiNS0_19identity_decomposerEEEEE10hipError_tT0_T1_T2_jT3_P12ihipStream_tbPNSt15iterator_traitsISG_E10value_typeEPNSM_ISH_E10value_typeEPSI_NS1_7vsmem_tEENKUlT_SG_SH_SI_E_clIS7_S7_SB_PlEESF_SV_SG_SH_SI_EUlSV_E1_NS1_11comp_targetILNS1_3genE0ELNS1_11target_archE4294967295ELNS1_3gpuE0ELNS1_3repE0EEENS1_36merge_oddeven_config_static_selectorELNS0_4arch9wavefront6targetE1EEEvSH_ ; -- Begin function _ZN7rocprim17ROCPRIM_400000_NS6detail17trampoline_kernelINS0_14default_configENS1_38merge_sort_block_merge_config_selectorIilEEZZNS1_27merge_sort_block_merge_implIS3_PiN6thrust23THRUST_200600_302600_NS10device_ptrIlEEjNS1_19radix_merge_compareILb0ELb1EiNS0_19identity_decomposerEEEEE10hipError_tT0_T1_T2_jT3_P12ihipStream_tbPNSt15iterator_traitsISG_E10value_typeEPNSM_ISH_E10value_typeEPSI_NS1_7vsmem_tEENKUlT_SG_SH_SI_E_clIS7_S7_SB_PlEESF_SV_SG_SH_SI_EUlSV_E1_NS1_11comp_targetILNS1_3genE0ELNS1_11target_archE4294967295ELNS1_3gpuE0ELNS1_3repE0EEENS1_36merge_oddeven_config_static_selectorELNS0_4arch9wavefront6targetE1EEEvSH_
	.globl	_ZN7rocprim17ROCPRIM_400000_NS6detail17trampoline_kernelINS0_14default_configENS1_38merge_sort_block_merge_config_selectorIilEEZZNS1_27merge_sort_block_merge_implIS3_PiN6thrust23THRUST_200600_302600_NS10device_ptrIlEEjNS1_19radix_merge_compareILb0ELb1EiNS0_19identity_decomposerEEEEE10hipError_tT0_T1_T2_jT3_P12ihipStream_tbPNSt15iterator_traitsISG_E10value_typeEPNSM_ISH_E10value_typeEPSI_NS1_7vsmem_tEENKUlT_SG_SH_SI_E_clIS7_S7_SB_PlEESF_SV_SG_SH_SI_EUlSV_E1_NS1_11comp_targetILNS1_3genE0ELNS1_11target_archE4294967295ELNS1_3gpuE0ELNS1_3repE0EEENS1_36merge_oddeven_config_static_selectorELNS0_4arch9wavefront6targetE1EEEvSH_
	.p2align	8
	.type	_ZN7rocprim17ROCPRIM_400000_NS6detail17trampoline_kernelINS0_14default_configENS1_38merge_sort_block_merge_config_selectorIilEEZZNS1_27merge_sort_block_merge_implIS3_PiN6thrust23THRUST_200600_302600_NS10device_ptrIlEEjNS1_19radix_merge_compareILb0ELb1EiNS0_19identity_decomposerEEEEE10hipError_tT0_T1_T2_jT3_P12ihipStream_tbPNSt15iterator_traitsISG_E10value_typeEPNSM_ISH_E10value_typeEPSI_NS1_7vsmem_tEENKUlT_SG_SH_SI_E_clIS7_S7_SB_PlEESF_SV_SG_SH_SI_EUlSV_E1_NS1_11comp_targetILNS1_3genE0ELNS1_11target_archE4294967295ELNS1_3gpuE0ELNS1_3repE0EEENS1_36merge_oddeven_config_static_selectorELNS0_4arch9wavefront6targetE1EEEvSH_,@function
_ZN7rocprim17ROCPRIM_400000_NS6detail17trampoline_kernelINS0_14default_configENS1_38merge_sort_block_merge_config_selectorIilEEZZNS1_27merge_sort_block_merge_implIS3_PiN6thrust23THRUST_200600_302600_NS10device_ptrIlEEjNS1_19radix_merge_compareILb0ELb1EiNS0_19identity_decomposerEEEEE10hipError_tT0_T1_T2_jT3_P12ihipStream_tbPNSt15iterator_traitsISG_E10value_typeEPNSM_ISH_E10value_typeEPSI_NS1_7vsmem_tEENKUlT_SG_SH_SI_E_clIS7_S7_SB_PlEESF_SV_SG_SH_SI_EUlSV_E1_NS1_11comp_targetILNS1_3genE0ELNS1_11target_archE4294967295ELNS1_3gpuE0ELNS1_3repE0EEENS1_36merge_oddeven_config_static_selectorELNS0_4arch9wavefront6targetE1EEEvSH_: ; @_ZN7rocprim17ROCPRIM_400000_NS6detail17trampoline_kernelINS0_14default_configENS1_38merge_sort_block_merge_config_selectorIilEEZZNS1_27merge_sort_block_merge_implIS3_PiN6thrust23THRUST_200600_302600_NS10device_ptrIlEEjNS1_19radix_merge_compareILb0ELb1EiNS0_19identity_decomposerEEEEE10hipError_tT0_T1_T2_jT3_P12ihipStream_tbPNSt15iterator_traitsISG_E10value_typeEPNSM_ISH_E10value_typeEPSI_NS1_7vsmem_tEENKUlT_SG_SH_SI_E_clIS7_S7_SB_PlEESF_SV_SG_SH_SI_EUlSV_E1_NS1_11comp_targetILNS1_3genE0ELNS1_11target_archE4294967295ELNS1_3gpuE0ELNS1_3repE0EEENS1_36merge_oddeven_config_static_selectorELNS0_4arch9wavefront6targetE1EEEvSH_
; %bb.0:
	.section	.rodata,"a",@progbits
	.p2align	6, 0x0
	.amdhsa_kernel _ZN7rocprim17ROCPRIM_400000_NS6detail17trampoline_kernelINS0_14default_configENS1_38merge_sort_block_merge_config_selectorIilEEZZNS1_27merge_sort_block_merge_implIS3_PiN6thrust23THRUST_200600_302600_NS10device_ptrIlEEjNS1_19radix_merge_compareILb0ELb1EiNS0_19identity_decomposerEEEEE10hipError_tT0_T1_T2_jT3_P12ihipStream_tbPNSt15iterator_traitsISG_E10value_typeEPNSM_ISH_E10value_typeEPSI_NS1_7vsmem_tEENKUlT_SG_SH_SI_E_clIS7_S7_SB_PlEESF_SV_SG_SH_SI_EUlSV_E1_NS1_11comp_targetILNS1_3genE0ELNS1_11target_archE4294967295ELNS1_3gpuE0ELNS1_3repE0EEENS1_36merge_oddeven_config_static_selectorELNS0_4arch9wavefront6targetE1EEEvSH_
		.amdhsa_group_segment_fixed_size 0
		.amdhsa_private_segment_fixed_size 0
		.amdhsa_kernarg_size 48
		.amdhsa_user_sgpr_count 6
		.amdhsa_user_sgpr_private_segment_buffer 1
		.amdhsa_user_sgpr_dispatch_ptr 0
		.amdhsa_user_sgpr_queue_ptr 0
		.amdhsa_user_sgpr_kernarg_segment_ptr 1
		.amdhsa_user_sgpr_dispatch_id 0
		.amdhsa_user_sgpr_flat_scratch_init 0
		.amdhsa_user_sgpr_kernarg_preload_length 0
		.amdhsa_user_sgpr_kernarg_preload_offset 0
		.amdhsa_user_sgpr_private_segment_size 0
		.amdhsa_uses_dynamic_stack 0
		.amdhsa_system_sgpr_private_segment_wavefront_offset 0
		.amdhsa_system_sgpr_workgroup_id_x 1
		.amdhsa_system_sgpr_workgroup_id_y 0
		.amdhsa_system_sgpr_workgroup_id_z 0
		.amdhsa_system_sgpr_workgroup_info 0
		.amdhsa_system_vgpr_workitem_id 0
		.amdhsa_next_free_vgpr 1
		.amdhsa_next_free_sgpr 0
		.amdhsa_accum_offset 4
		.amdhsa_reserve_vcc 0
		.amdhsa_reserve_flat_scratch 0
		.amdhsa_float_round_mode_32 0
		.amdhsa_float_round_mode_16_64 0
		.amdhsa_float_denorm_mode_32 3
		.amdhsa_float_denorm_mode_16_64 3
		.amdhsa_dx10_clamp 1
		.amdhsa_ieee_mode 1
		.amdhsa_fp16_overflow 0
		.amdhsa_tg_split 0
		.amdhsa_exception_fp_ieee_invalid_op 0
		.amdhsa_exception_fp_denorm_src 0
		.amdhsa_exception_fp_ieee_div_zero 0
		.amdhsa_exception_fp_ieee_overflow 0
		.amdhsa_exception_fp_ieee_underflow 0
		.amdhsa_exception_fp_ieee_inexact 0
		.amdhsa_exception_int_div_zero 0
	.end_amdhsa_kernel
	.section	.text._ZN7rocprim17ROCPRIM_400000_NS6detail17trampoline_kernelINS0_14default_configENS1_38merge_sort_block_merge_config_selectorIilEEZZNS1_27merge_sort_block_merge_implIS3_PiN6thrust23THRUST_200600_302600_NS10device_ptrIlEEjNS1_19radix_merge_compareILb0ELb1EiNS0_19identity_decomposerEEEEE10hipError_tT0_T1_T2_jT3_P12ihipStream_tbPNSt15iterator_traitsISG_E10value_typeEPNSM_ISH_E10value_typeEPSI_NS1_7vsmem_tEENKUlT_SG_SH_SI_E_clIS7_S7_SB_PlEESF_SV_SG_SH_SI_EUlSV_E1_NS1_11comp_targetILNS1_3genE0ELNS1_11target_archE4294967295ELNS1_3gpuE0ELNS1_3repE0EEENS1_36merge_oddeven_config_static_selectorELNS0_4arch9wavefront6targetE1EEEvSH_,"axG",@progbits,_ZN7rocprim17ROCPRIM_400000_NS6detail17trampoline_kernelINS0_14default_configENS1_38merge_sort_block_merge_config_selectorIilEEZZNS1_27merge_sort_block_merge_implIS3_PiN6thrust23THRUST_200600_302600_NS10device_ptrIlEEjNS1_19radix_merge_compareILb0ELb1EiNS0_19identity_decomposerEEEEE10hipError_tT0_T1_T2_jT3_P12ihipStream_tbPNSt15iterator_traitsISG_E10value_typeEPNSM_ISH_E10value_typeEPSI_NS1_7vsmem_tEENKUlT_SG_SH_SI_E_clIS7_S7_SB_PlEESF_SV_SG_SH_SI_EUlSV_E1_NS1_11comp_targetILNS1_3genE0ELNS1_11target_archE4294967295ELNS1_3gpuE0ELNS1_3repE0EEENS1_36merge_oddeven_config_static_selectorELNS0_4arch9wavefront6targetE1EEEvSH_,comdat
.Lfunc_end840:
	.size	_ZN7rocprim17ROCPRIM_400000_NS6detail17trampoline_kernelINS0_14default_configENS1_38merge_sort_block_merge_config_selectorIilEEZZNS1_27merge_sort_block_merge_implIS3_PiN6thrust23THRUST_200600_302600_NS10device_ptrIlEEjNS1_19radix_merge_compareILb0ELb1EiNS0_19identity_decomposerEEEEE10hipError_tT0_T1_T2_jT3_P12ihipStream_tbPNSt15iterator_traitsISG_E10value_typeEPNSM_ISH_E10value_typeEPSI_NS1_7vsmem_tEENKUlT_SG_SH_SI_E_clIS7_S7_SB_PlEESF_SV_SG_SH_SI_EUlSV_E1_NS1_11comp_targetILNS1_3genE0ELNS1_11target_archE4294967295ELNS1_3gpuE0ELNS1_3repE0EEENS1_36merge_oddeven_config_static_selectorELNS0_4arch9wavefront6targetE1EEEvSH_, .Lfunc_end840-_ZN7rocprim17ROCPRIM_400000_NS6detail17trampoline_kernelINS0_14default_configENS1_38merge_sort_block_merge_config_selectorIilEEZZNS1_27merge_sort_block_merge_implIS3_PiN6thrust23THRUST_200600_302600_NS10device_ptrIlEEjNS1_19radix_merge_compareILb0ELb1EiNS0_19identity_decomposerEEEEE10hipError_tT0_T1_T2_jT3_P12ihipStream_tbPNSt15iterator_traitsISG_E10value_typeEPNSM_ISH_E10value_typeEPSI_NS1_7vsmem_tEENKUlT_SG_SH_SI_E_clIS7_S7_SB_PlEESF_SV_SG_SH_SI_EUlSV_E1_NS1_11comp_targetILNS1_3genE0ELNS1_11target_archE4294967295ELNS1_3gpuE0ELNS1_3repE0EEENS1_36merge_oddeven_config_static_selectorELNS0_4arch9wavefront6targetE1EEEvSH_
                                        ; -- End function
	.section	.AMDGPU.csdata,"",@progbits
; Kernel info:
; codeLenInByte = 0
; NumSgprs: 4
; NumVgprs: 0
; NumAgprs: 0
; TotalNumVgprs: 0
; ScratchSize: 0
; MemoryBound: 0
; FloatMode: 240
; IeeeMode: 1
; LDSByteSize: 0 bytes/workgroup (compile time only)
; SGPRBlocks: 0
; VGPRBlocks: 0
; NumSGPRsForWavesPerEU: 4
; NumVGPRsForWavesPerEU: 1
; AccumOffset: 4
; Occupancy: 8
; WaveLimiterHint : 0
; COMPUTE_PGM_RSRC2:SCRATCH_EN: 0
; COMPUTE_PGM_RSRC2:USER_SGPR: 6
; COMPUTE_PGM_RSRC2:TRAP_HANDLER: 0
; COMPUTE_PGM_RSRC2:TGID_X_EN: 1
; COMPUTE_PGM_RSRC2:TGID_Y_EN: 0
; COMPUTE_PGM_RSRC2:TGID_Z_EN: 0
; COMPUTE_PGM_RSRC2:TIDIG_COMP_CNT: 0
; COMPUTE_PGM_RSRC3_GFX90A:ACCUM_OFFSET: 0
; COMPUTE_PGM_RSRC3_GFX90A:TG_SPLIT: 0
	.section	.text._ZN7rocprim17ROCPRIM_400000_NS6detail17trampoline_kernelINS0_14default_configENS1_38merge_sort_block_merge_config_selectorIilEEZZNS1_27merge_sort_block_merge_implIS3_PiN6thrust23THRUST_200600_302600_NS10device_ptrIlEEjNS1_19radix_merge_compareILb0ELb1EiNS0_19identity_decomposerEEEEE10hipError_tT0_T1_T2_jT3_P12ihipStream_tbPNSt15iterator_traitsISG_E10value_typeEPNSM_ISH_E10value_typeEPSI_NS1_7vsmem_tEENKUlT_SG_SH_SI_E_clIS7_S7_SB_PlEESF_SV_SG_SH_SI_EUlSV_E1_NS1_11comp_targetILNS1_3genE10ELNS1_11target_archE1201ELNS1_3gpuE5ELNS1_3repE0EEENS1_36merge_oddeven_config_static_selectorELNS0_4arch9wavefront6targetE1EEEvSH_,"axG",@progbits,_ZN7rocprim17ROCPRIM_400000_NS6detail17trampoline_kernelINS0_14default_configENS1_38merge_sort_block_merge_config_selectorIilEEZZNS1_27merge_sort_block_merge_implIS3_PiN6thrust23THRUST_200600_302600_NS10device_ptrIlEEjNS1_19radix_merge_compareILb0ELb1EiNS0_19identity_decomposerEEEEE10hipError_tT0_T1_T2_jT3_P12ihipStream_tbPNSt15iterator_traitsISG_E10value_typeEPNSM_ISH_E10value_typeEPSI_NS1_7vsmem_tEENKUlT_SG_SH_SI_E_clIS7_S7_SB_PlEESF_SV_SG_SH_SI_EUlSV_E1_NS1_11comp_targetILNS1_3genE10ELNS1_11target_archE1201ELNS1_3gpuE5ELNS1_3repE0EEENS1_36merge_oddeven_config_static_selectorELNS0_4arch9wavefront6targetE1EEEvSH_,comdat
	.protected	_ZN7rocprim17ROCPRIM_400000_NS6detail17trampoline_kernelINS0_14default_configENS1_38merge_sort_block_merge_config_selectorIilEEZZNS1_27merge_sort_block_merge_implIS3_PiN6thrust23THRUST_200600_302600_NS10device_ptrIlEEjNS1_19radix_merge_compareILb0ELb1EiNS0_19identity_decomposerEEEEE10hipError_tT0_T1_T2_jT3_P12ihipStream_tbPNSt15iterator_traitsISG_E10value_typeEPNSM_ISH_E10value_typeEPSI_NS1_7vsmem_tEENKUlT_SG_SH_SI_E_clIS7_S7_SB_PlEESF_SV_SG_SH_SI_EUlSV_E1_NS1_11comp_targetILNS1_3genE10ELNS1_11target_archE1201ELNS1_3gpuE5ELNS1_3repE0EEENS1_36merge_oddeven_config_static_selectorELNS0_4arch9wavefront6targetE1EEEvSH_ ; -- Begin function _ZN7rocprim17ROCPRIM_400000_NS6detail17trampoline_kernelINS0_14default_configENS1_38merge_sort_block_merge_config_selectorIilEEZZNS1_27merge_sort_block_merge_implIS3_PiN6thrust23THRUST_200600_302600_NS10device_ptrIlEEjNS1_19radix_merge_compareILb0ELb1EiNS0_19identity_decomposerEEEEE10hipError_tT0_T1_T2_jT3_P12ihipStream_tbPNSt15iterator_traitsISG_E10value_typeEPNSM_ISH_E10value_typeEPSI_NS1_7vsmem_tEENKUlT_SG_SH_SI_E_clIS7_S7_SB_PlEESF_SV_SG_SH_SI_EUlSV_E1_NS1_11comp_targetILNS1_3genE10ELNS1_11target_archE1201ELNS1_3gpuE5ELNS1_3repE0EEENS1_36merge_oddeven_config_static_selectorELNS0_4arch9wavefront6targetE1EEEvSH_
	.globl	_ZN7rocprim17ROCPRIM_400000_NS6detail17trampoline_kernelINS0_14default_configENS1_38merge_sort_block_merge_config_selectorIilEEZZNS1_27merge_sort_block_merge_implIS3_PiN6thrust23THRUST_200600_302600_NS10device_ptrIlEEjNS1_19radix_merge_compareILb0ELb1EiNS0_19identity_decomposerEEEEE10hipError_tT0_T1_T2_jT3_P12ihipStream_tbPNSt15iterator_traitsISG_E10value_typeEPNSM_ISH_E10value_typeEPSI_NS1_7vsmem_tEENKUlT_SG_SH_SI_E_clIS7_S7_SB_PlEESF_SV_SG_SH_SI_EUlSV_E1_NS1_11comp_targetILNS1_3genE10ELNS1_11target_archE1201ELNS1_3gpuE5ELNS1_3repE0EEENS1_36merge_oddeven_config_static_selectorELNS0_4arch9wavefront6targetE1EEEvSH_
	.p2align	8
	.type	_ZN7rocprim17ROCPRIM_400000_NS6detail17trampoline_kernelINS0_14default_configENS1_38merge_sort_block_merge_config_selectorIilEEZZNS1_27merge_sort_block_merge_implIS3_PiN6thrust23THRUST_200600_302600_NS10device_ptrIlEEjNS1_19radix_merge_compareILb0ELb1EiNS0_19identity_decomposerEEEEE10hipError_tT0_T1_T2_jT3_P12ihipStream_tbPNSt15iterator_traitsISG_E10value_typeEPNSM_ISH_E10value_typeEPSI_NS1_7vsmem_tEENKUlT_SG_SH_SI_E_clIS7_S7_SB_PlEESF_SV_SG_SH_SI_EUlSV_E1_NS1_11comp_targetILNS1_3genE10ELNS1_11target_archE1201ELNS1_3gpuE5ELNS1_3repE0EEENS1_36merge_oddeven_config_static_selectorELNS0_4arch9wavefront6targetE1EEEvSH_,@function
_ZN7rocprim17ROCPRIM_400000_NS6detail17trampoline_kernelINS0_14default_configENS1_38merge_sort_block_merge_config_selectorIilEEZZNS1_27merge_sort_block_merge_implIS3_PiN6thrust23THRUST_200600_302600_NS10device_ptrIlEEjNS1_19radix_merge_compareILb0ELb1EiNS0_19identity_decomposerEEEEE10hipError_tT0_T1_T2_jT3_P12ihipStream_tbPNSt15iterator_traitsISG_E10value_typeEPNSM_ISH_E10value_typeEPSI_NS1_7vsmem_tEENKUlT_SG_SH_SI_E_clIS7_S7_SB_PlEESF_SV_SG_SH_SI_EUlSV_E1_NS1_11comp_targetILNS1_3genE10ELNS1_11target_archE1201ELNS1_3gpuE5ELNS1_3repE0EEENS1_36merge_oddeven_config_static_selectorELNS0_4arch9wavefront6targetE1EEEvSH_: ; @_ZN7rocprim17ROCPRIM_400000_NS6detail17trampoline_kernelINS0_14default_configENS1_38merge_sort_block_merge_config_selectorIilEEZZNS1_27merge_sort_block_merge_implIS3_PiN6thrust23THRUST_200600_302600_NS10device_ptrIlEEjNS1_19radix_merge_compareILb0ELb1EiNS0_19identity_decomposerEEEEE10hipError_tT0_T1_T2_jT3_P12ihipStream_tbPNSt15iterator_traitsISG_E10value_typeEPNSM_ISH_E10value_typeEPSI_NS1_7vsmem_tEENKUlT_SG_SH_SI_E_clIS7_S7_SB_PlEESF_SV_SG_SH_SI_EUlSV_E1_NS1_11comp_targetILNS1_3genE10ELNS1_11target_archE1201ELNS1_3gpuE5ELNS1_3repE0EEENS1_36merge_oddeven_config_static_selectorELNS0_4arch9wavefront6targetE1EEEvSH_
; %bb.0:
	.section	.rodata,"a",@progbits
	.p2align	6, 0x0
	.amdhsa_kernel _ZN7rocprim17ROCPRIM_400000_NS6detail17trampoline_kernelINS0_14default_configENS1_38merge_sort_block_merge_config_selectorIilEEZZNS1_27merge_sort_block_merge_implIS3_PiN6thrust23THRUST_200600_302600_NS10device_ptrIlEEjNS1_19radix_merge_compareILb0ELb1EiNS0_19identity_decomposerEEEEE10hipError_tT0_T1_T2_jT3_P12ihipStream_tbPNSt15iterator_traitsISG_E10value_typeEPNSM_ISH_E10value_typeEPSI_NS1_7vsmem_tEENKUlT_SG_SH_SI_E_clIS7_S7_SB_PlEESF_SV_SG_SH_SI_EUlSV_E1_NS1_11comp_targetILNS1_3genE10ELNS1_11target_archE1201ELNS1_3gpuE5ELNS1_3repE0EEENS1_36merge_oddeven_config_static_selectorELNS0_4arch9wavefront6targetE1EEEvSH_
		.amdhsa_group_segment_fixed_size 0
		.amdhsa_private_segment_fixed_size 0
		.amdhsa_kernarg_size 48
		.amdhsa_user_sgpr_count 6
		.amdhsa_user_sgpr_private_segment_buffer 1
		.amdhsa_user_sgpr_dispatch_ptr 0
		.amdhsa_user_sgpr_queue_ptr 0
		.amdhsa_user_sgpr_kernarg_segment_ptr 1
		.amdhsa_user_sgpr_dispatch_id 0
		.amdhsa_user_sgpr_flat_scratch_init 0
		.amdhsa_user_sgpr_kernarg_preload_length 0
		.amdhsa_user_sgpr_kernarg_preload_offset 0
		.amdhsa_user_sgpr_private_segment_size 0
		.amdhsa_uses_dynamic_stack 0
		.amdhsa_system_sgpr_private_segment_wavefront_offset 0
		.amdhsa_system_sgpr_workgroup_id_x 1
		.amdhsa_system_sgpr_workgroup_id_y 0
		.amdhsa_system_sgpr_workgroup_id_z 0
		.amdhsa_system_sgpr_workgroup_info 0
		.amdhsa_system_vgpr_workitem_id 0
		.amdhsa_next_free_vgpr 1
		.amdhsa_next_free_sgpr 0
		.amdhsa_accum_offset 4
		.amdhsa_reserve_vcc 0
		.amdhsa_reserve_flat_scratch 0
		.amdhsa_float_round_mode_32 0
		.amdhsa_float_round_mode_16_64 0
		.amdhsa_float_denorm_mode_32 3
		.amdhsa_float_denorm_mode_16_64 3
		.amdhsa_dx10_clamp 1
		.amdhsa_ieee_mode 1
		.amdhsa_fp16_overflow 0
		.amdhsa_tg_split 0
		.amdhsa_exception_fp_ieee_invalid_op 0
		.amdhsa_exception_fp_denorm_src 0
		.amdhsa_exception_fp_ieee_div_zero 0
		.amdhsa_exception_fp_ieee_overflow 0
		.amdhsa_exception_fp_ieee_underflow 0
		.amdhsa_exception_fp_ieee_inexact 0
		.amdhsa_exception_int_div_zero 0
	.end_amdhsa_kernel
	.section	.text._ZN7rocprim17ROCPRIM_400000_NS6detail17trampoline_kernelINS0_14default_configENS1_38merge_sort_block_merge_config_selectorIilEEZZNS1_27merge_sort_block_merge_implIS3_PiN6thrust23THRUST_200600_302600_NS10device_ptrIlEEjNS1_19radix_merge_compareILb0ELb1EiNS0_19identity_decomposerEEEEE10hipError_tT0_T1_T2_jT3_P12ihipStream_tbPNSt15iterator_traitsISG_E10value_typeEPNSM_ISH_E10value_typeEPSI_NS1_7vsmem_tEENKUlT_SG_SH_SI_E_clIS7_S7_SB_PlEESF_SV_SG_SH_SI_EUlSV_E1_NS1_11comp_targetILNS1_3genE10ELNS1_11target_archE1201ELNS1_3gpuE5ELNS1_3repE0EEENS1_36merge_oddeven_config_static_selectorELNS0_4arch9wavefront6targetE1EEEvSH_,"axG",@progbits,_ZN7rocprim17ROCPRIM_400000_NS6detail17trampoline_kernelINS0_14default_configENS1_38merge_sort_block_merge_config_selectorIilEEZZNS1_27merge_sort_block_merge_implIS3_PiN6thrust23THRUST_200600_302600_NS10device_ptrIlEEjNS1_19radix_merge_compareILb0ELb1EiNS0_19identity_decomposerEEEEE10hipError_tT0_T1_T2_jT3_P12ihipStream_tbPNSt15iterator_traitsISG_E10value_typeEPNSM_ISH_E10value_typeEPSI_NS1_7vsmem_tEENKUlT_SG_SH_SI_E_clIS7_S7_SB_PlEESF_SV_SG_SH_SI_EUlSV_E1_NS1_11comp_targetILNS1_3genE10ELNS1_11target_archE1201ELNS1_3gpuE5ELNS1_3repE0EEENS1_36merge_oddeven_config_static_selectorELNS0_4arch9wavefront6targetE1EEEvSH_,comdat
.Lfunc_end841:
	.size	_ZN7rocprim17ROCPRIM_400000_NS6detail17trampoline_kernelINS0_14default_configENS1_38merge_sort_block_merge_config_selectorIilEEZZNS1_27merge_sort_block_merge_implIS3_PiN6thrust23THRUST_200600_302600_NS10device_ptrIlEEjNS1_19radix_merge_compareILb0ELb1EiNS0_19identity_decomposerEEEEE10hipError_tT0_T1_T2_jT3_P12ihipStream_tbPNSt15iterator_traitsISG_E10value_typeEPNSM_ISH_E10value_typeEPSI_NS1_7vsmem_tEENKUlT_SG_SH_SI_E_clIS7_S7_SB_PlEESF_SV_SG_SH_SI_EUlSV_E1_NS1_11comp_targetILNS1_3genE10ELNS1_11target_archE1201ELNS1_3gpuE5ELNS1_3repE0EEENS1_36merge_oddeven_config_static_selectorELNS0_4arch9wavefront6targetE1EEEvSH_, .Lfunc_end841-_ZN7rocprim17ROCPRIM_400000_NS6detail17trampoline_kernelINS0_14default_configENS1_38merge_sort_block_merge_config_selectorIilEEZZNS1_27merge_sort_block_merge_implIS3_PiN6thrust23THRUST_200600_302600_NS10device_ptrIlEEjNS1_19radix_merge_compareILb0ELb1EiNS0_19identity_decomposerEEEEE10hipError_tT0_T1_T2_jT3_P12ihipStream_tbPNSt15iterator_traitsISG_E10value_typeEPNSM_ISH_E10value_typeEPSI_NS1_7vsmem_tEENKUlT_SG_SH_SI_E_clIS7_S7_SB_PlEESF_SV_SG_SH_SI_EUlSV_E1_NS1_11comp_targetILNS1_3genE10ELNS1_11target_archE1201ELNS1_3gpuE5ELNS1_3repE0EEENS1_36merge_oddeven_config_static_selectorELNS0_4arch9wavefront6targetE1EEEvSH_
                                        ; -- End function
	.section	.AMDGPU.csdata,"",@progbits
; Kernel info:
; codeLenInByte = 0
; NumSgprs: 4
; NumVgprs: 0
; NumAgprs: 0
; TotalNumVgprs: 0
; ScratchSize: 0
; MemoryBound: 0
; FloatMode: 240
; IeeeMode: 1
; LDSByteSize: 0 bytes/workgroup (compile time only)
; SGPRBlocks: 0
; VGPRBlocks: 0
; NumSGPRsForWavesPerEU: 4
; NumVGPRsForWavesPerEU: 1
; AccumOffset: 4
; Occupancy: 8
; WaveLimiterHint : 0
; COMPUTE_PGM_RSRC2:SCRATCH_EN: 0
; COMPUTE_PGM_RSRC2:USER_SGPR: 6
; COMPUTE_PGM_RSRC2:TRAP_HANDLER: 0
; COMPUTE_PGM_RSRC2:TGID_X_EN: 1
; COMPUTE_PGM_RSRC2:TGID_Y_EN: 0
; COMPUTE_PGM_RSRC2:TGID_Z_EN: 0
; COMPUTE_PGM_RSRC2:TIDIG_COMP_CNT: 0
; COMPUTE_PGM_RSRC3_GFX90A:ACCUM_OFFSET: 0
; COMPUTE_PGM_RSRC3_GFX90A:TG_SPLIT: 0
	.section	.text._ZN7rocprim17ROCPRIM_400000_NS6detail17trampoline_kernelINS0_14default_configENS1_38merge_sort_block_merge_config_selectorIilEEZZNS1_27merge_sort_block_merge_implIS3_PiN6thrust23THRUST_200600_302600_NS10device_ptrIlEEjNS1_19radix_merge_compareILb0ELb1EiNS0_19identity_decomposerEEEEE10hipError_tT0_T1_T2_jT3_P12ihipStream_tbPNSt15iterator_traitsISG_E10value_typeEPNSM_ISH_E10value_typeEPSI_NS1_7vsmem_tEENKUlT_SG_SH_SI_E_clIS7_S7_SB_PlEESF_SV_SG_SH_SI_EUlSV_E1_NS1_11comp_targetILNS1_3genE5ELNS1_11target_archE942ELNS1_3gpuE9ELNS1_3repE0EEENS1_36merge_oddeven_config_static_selectorELNS0_4arch9wavefront6targetE1EEEvSH_,"axG",@progbits,_ZN7rocprim17ROCPRIM_400000_NS6detail17trampoline_kernelINS0_14default_configENS1_38merge_sort_block_merge_config_selectorIilEEZZNS1_27merge_sort_block_merge_implIS3_PiN6thrust23THRUST_200600_302600_NS10device_ptrIlEEjNS1_19radix_merge_compareILb0ELb1EiNS0_19identity_decomposerEEEEE10hipError_tT0_T1_T2_jT3_P12ihipStream_tbPNSt15iterator_traitsISG_E10value_typeEPNSM_ISH_E10value_typeEPSI_NS1_7vsmem_tEENKUlT_SG_SH_SI_E_clIS7_S7_SB_PlEESF_SV_SG_SH_SI_EUlSV_E1_NS1_11comp_targetILNS1_3genE5ELNS1_11target_archE942ELNS1_3gpuE9ELNS1_3repE0EEENS1_36merge_oddeven_config_static_selectorELNS0_4arch9wavefront6targetE1EEEvSH_,comdat
	.protected	_ZN7rocprim17ROCPRIM_400000_NS6detail17trampoline_kernelINS0_14default_configENS1_38merge_sort_block_merge_config_selectorIilEEZZNS1_27merge_sort_block_merge_implIS3_PiN6thrust23THRUST_200600_302600_NS10device_ptrIlEEjNS1_19radix_merge_compareILb0ELb1EiNS0_19identity_decomposerEEEEE10hipError_tT0_T1_T2_jT3_P12ihipStream_tbPNSt15iterator_traitsISG_E10value_typeEPNSM_ISH_E10value_typeEPSI_NS1_7vsmem_tEENKUlT_SG_SH_SI_E_clIS7_S7_SB_PlEESF_SV_SG_SH_SI_EUlSV_E1_NS1_11comp_targetILNS1_3genE5ELNS1_11target_archE942ELNS1_3gpuE9ELNS1_3repE0EEENS1_36merge_oddeven_config_static_selectorELNS0_4arch9wavefront6targetE1EEEvSH_ ; -- Begin function _ZN7rocprim17ROCPRIM_400000_NS6detail17trampoline_kernelINS0_14default_configENS1_38merge_sort_block_merge_config_selectorIilEEZZNS1_27merge_sort_block_merge_implIS3_PiN6thrust23THRUST_200600_302600_NS10device_ptrIlEEjNS1_19radix_merge_compareILb0ELb1EiNS0_19identity_decomposerEEEEE10hipError_tT0_T1_T2_jT3_P12ihipStream_tbPNSt15iterator_traitsISG_E10value_typeEPNSM_ISH_E10value_typeEPSI_NS1_7vsmem_tEENKUlT_SG_SH_SI_E_clIS7_S7_SB_PlEESF_SV_SG_SH_SI_EUlSV_E1_NS1_11comp_targetILNS1_3genE5ELNS1_11target_archE942ELNS1_3gpuE9ELNS1_3repE0EEENS1_36merge_oddeven_config_static_selectorELNS0_4arch9wavefront6targetE1EEEvSH_
	.globl	_ZN7rocprim17ROCPRIM_400000_NS6detail17trampoline_kernelINS0_14default_configENS1_38merge_sort_block_merge_config_selectorIilEEZZNS1_27merge_sort_block_merge_implIS3_PiN6thrust23THRUST_200600_302600_NS10device_ptrIlEEjNS1_19radix_merge_compareILb0ELb1EiNS0_19identity_decomposerEEEEE10hipError_tT0_T1_T2_jT3_P12ihipStream_tbPNSt15iterator_traitsISG_E10value_typeEPNSM_ISH_E10value_typeEPSI_NS1_7vsmem_tEENKUlT_SG_SH_SI_E_clIS7_S7_SB_PlEESF_SV_SG_SH_SI_EUlSV_E1_NS1_11comp_targetILNS1_3genE5ELNS1_11target_archE942ELNS1_3gpuE9ELNS1_3repE0EEENS1_36merge_oddeven_config_static_selectorELNS0_4arch9wavefront6targetE1EEEvSH_
	.p2align	8
	.type	_ZN7rocprim17ROCPRIM_400000_NS6detail17trampoline_kernelINS0_14default_configENS1_38merge_sort_block_merge_config_selectorIilEEZZNS1_27merge_sort_block_merge_implIS3_PiN6thrust23THRUST_200600_302600_NS10device_ptrIlEEjNS1_19radix_merge_compareILb0ELb1EiNS0_19identity_decomposerEEEEE10hipError_tT0_T1_T2_jT3_P12ihipStream_tbPNSt15iterator_traitsISG_E10value_typeEPNSM_ISH_E10value_typeEPSI_NS1_7vsmem_tEENKUlT_SG_SH_SI_E_clIS7_S7_SB_PlEESF_SV_SG_SH_SI_EUlSV_E1_NS1_11comp_targetILNS1_3genE5ELNS1_11target_archE942ELNS1_3gpuE9ELNS1_3repE0EEENS1_36merge_oddeven_config_static_selectorELNS0_4arch9wavefront6targetE1EEEvSH_,@function
_ZN7rocprim17ROCPRIM_400000_NS6detail17trampoline_kernelINS0_14default_configENS1_38merge_sort_block_merge_config_selectorIilEEZZNS1_27merge_sort_block_merge_implIS3_PiN6thrust23THRUST_200600_302600_NS10device_ptrIlEEjNS1_19radix_merge_compareILb0ELb1EiNS0_19identity_decomposerEEEEE10hipError_tT0_T1_T2_jT3_P12ihipStream_tbPNSt15iterator_traitsISG_E10value_typeEPNSM_ISH_E10value_typeEPSI_NS1_7vsmem_tEENKUlT_SG_SH_SI_E_clIS7_S7_SB_PlEESF_SV_SG_SH_SI_EUlSV_E1_NS1_11comp_targetILNS1_3genE5ELNS1_11target_archE942ELNS1_3gpuE9ELNS1_3repE0EEENS1_36merge_oddeven_config_static_selectorELNS0_4arch9wavefront6targetE1EEEvSH_: ; @_ZN7rocprim17ROCPRIM_400000_NS6detail17trampoline_kernelINS0_14default_configENS1_38merge_sort_block_merge_config_selectorIilEEZZNS1_27merge_sort_block_merge_implIS3_PiN6thrust23THRUST_200600_302600_NS10device_ptrIlEEjNS1_19radix_merge_compareILb0ELb1EiNS0_19identity_decomposerEEEEE10hipError_tT0_T1_T2_jT3_P12ihipStream_tbPNSt15iterator_traitsISG_E10value_typeEPNSM_ISH_E10value_typeEPSI_NS1_7vsmem_tEENKUlT_SG_SH_SI_E_clIS7_S7_SB_PlEESF_SV_SG_SH_SI_EUlSV_E1_NS1_11comp_targetILNS1_3genE5ELNS1_11target_archE942ELNS1_3gpuE9ELNS1_3repE0EEENS1_36merge_oddeven_config_static_selectorELNS0_4arch9wavefront6targetE1EEEvSH_
; %bb.0:
	.section	.rodata,"a",@progbits
	.p2align	6, 0x0
	.amdhsa_kernel _ZN7rocprim17ROCPRIM_400000_NS6detail17trampoline_kernelINS0_14default_configENS1_38merge_sort_block_merge_config_selectorIilEEZZNS1_27merge_sort_block_merge_implIS3_PiN6thrust23THRUST_200600_302600_NS10device_ptrIlEEjNS1_19radix_merge_compareILb0ELb1EiNS0_19identity_decomposerEEEEE10hipError_tT0_T1_T2_jT3_P12ihipStream_tbPNSt15iterator_traitsISG_E10value_typeEPNSM_ISH_E10value_typeEPSI_NS1_7vsmem_tEENKUlT_SG_SH_SI_E_clIS7_S7_SB_PlEESF_SV_SG_SH_SI_EUlSV_E1_NS1_11comp_targetILNS1_3genE5ELNS1_11target_archE942ELNS1_3gpuE9ELNS1_3repE0EEENS1_36merge_oddeven_config_static_selectorELNS0_4arch9wavefront6targetE1EEEvSH_
		.amdhsa_group_segment_fixed_size 0
		.amdhsa_private_segment_fixed_size 0
		.amdhsa_kernarg_size 48
		.amdhsa_user_sgpr_count 6
		.amdhsa_user_sgpr_private_segment_buffer 1
		.amdhsa_user_sgpr_dispatch_ptr 0
		.amdhsa_user_sgpr_queue_ptr 0
		.amdhsa_user_sgpr_kernarg_segment_ptr 1
		.amdhsa_user_sgpr_dispatch_id 0
		.amdhsa_user_sgpr_flat_scratch_init 0
		.amdhsa_user_sgpr_kernarg_preload_length 0
		.amdhsa_user_sgpr_kernarg_preload_offset 0
		.amdhsa_user_sgpr_private_segment_size 0
		.amdhsa_uses_dynamic_stack 0
		.amdhsa_system_sgpr_private_segment_wavefront_offset 0
		.amdhsa_system_sgpr_workgroup_id_x 1
		.amdhsa_system_sgpr_workgroup_id_y 0
		.amdhsa_system_sgpr_workgroup_id_z 0
		.amdhsa_system_sgpr_workgroup_info 0
		.amdhsa_system_vgpr_workitem_id 0
		.amdhsa_next_free_vgpr 1
		.amdhsa_next_free_sgpr 0
		.amdhsa_accum_offset 4
		.amdhsa_reserve_vcc 0
		.amdhsa_reserve_flat_scratch 0
		.amdhsa_float_round_mode_32 0
		.amdhsa_float_round_mode_16_64 0
		.amdhsa_float_denorm_mode_32 3
		.amdhsa_float_denorm_mode_16_64 3
		.amdhsa_dx10_clamp 1
		.amdhsa_ieee_mode 1
		.amdhsa_fp16_overflow 0
		.amdhsa_tg_split 0
		.amdhsa_exception_fp_ieee_invalid_op 0
		.amdhsa_exception_fp_denorm_src 0
		.amdhsa_exception_fp_ieee_div_zero 0
		.amdhsa_exception_fp_ieee_overflow 0
		.amdhsa_exception_fp_ieee_underflow 0
		.amdhsa_exception_fp_ieee_inexact 0
		.amdhsa_exception_int_div_zero 0
	.end_amdhsa_kernel
	.section	.text._ZN7rocprim17ROCPRIM_400000_NS6detail17trampoline_kernelINS0_14default_configENS1_38merge_sort_block_merge_config_selectorIilEEZZNS1_27merge_sort_block_merge_implIS3_PiN6thrust23THRUST_200600_302600_NS10device_ptrIlEEjNS1_19radix_merge_compareILb0ELb1EiNS0_19identity_decomposerEEEEE10hipError_tT0_T1_T2_jT3_P12ihipStream_tbPNSt15iterator_traitsISG_E10value_typeEPNSM_ISH_E10value_typeEPSI_NS1_7vsmem_tEENKUlT_SG_SH_SI_E_clIS7_S7_SB_PlEESF_SV_SG_SH_SI_EUlSV_E1_NS1_11comp_targetILNS1_3genE5ELNS1_11target_archE942ELNS1_3gpuE9ELNS1_3repE0EEENS1_36merge_oddeven_config_static_selectorELNS0_4arch9wavefront6targetE1EEEvSH_,"axG",@progbits,_ZN7rocprim17ROCPRIM_400000_NS6detail17trampoline_kernelINS0_14default_configENS1_38merge_sort_block_merge_config_selectorIilEEZZNS1_27merge_sort_block_merge_implIS3_PiN6thrust23THRUST_200600_302600_NS10device_ptrIlEEjNS1_19radix_merge_compareILb0ELb1EiNS0_19identity_decomposerEEEEE10hipError_tT0_T1_T2_jT3_P12ihipStream_tbPNSt15iterator_traitsISG_E10value_typeEPNSM_ISH_E10value_typeEPSI_NS1_7vsmem_tEENKUlT_SG_SH_SI_E_clIS7_S7_SB_PlEESF_SV_SG_SH_SI_EUlSV_E1_NS1_11comp_targetILNS1_3genE5ELNS1_11target_archE942ELNS1_3gpuE9ELNS1_3repE0EEENS1_36merge_oddeven_config_static_selectorELNS0_4arch9wavefront6targetE1EEEvSH_,comdat
.Lfunc_end842:
	.size	_ZN7rocprim17ROCPRIM_400000_NS6detail17trampoline_kernelINS0_14default_configENS1_38merge_sort_block_merge_config_selectorIilEEZZNS1_27merge_sort_block_merge_implIS3_PiN6thrust23THRUST_200600_302600_NS10device_ptrIlEEjNS1_19radix_merge_compareILb0ELb1EiNS0_19identity_decomposerEEEEE10hipError_tT0_T1_T2_jT3_P12ihipStream_tbPNSt15iterator_traitsISG_E10value_typeEPNSM_ISH_E10value_typeEPSI_NS1_7vsmem_tEENKUlT_SG_SH_SI_E_clIS7_S7_SB_PlEESF_SV_SG_SH_SI_EUlSV_E1_NS1_11comp_targetILNS1_3genE5ELNS1_11target_archE942ELNS1_3gpuE9ELNS1_3repE0EEENS1_36merge_oddeven_config_static_selectorELNS0_4arch9wavefront6targetE1EEEvSH_, .Lfunc_end842-_ZN7rocprim17ROCPRIM_400000_NS6detail17trampoline_kernelINS0_14default_configENS1_38merge_sort_block_merge_config_selectorIilEEZZNS1_27merge_sort_block_merge_implIS3_PiN6thrust23THRUST_200600_302600_NS10device_ptrIlEEjNS1_19radix_merge_compareILb0ELb1EiNS0_19identity_decomposerEEEEE10hipError_tT0_T1_T2_jT3_P12ihipStream_tbPNSt15iterator_traitsISG_E10value_typeEPNSM_ISH_E10value_typeEPSI_NS1_7vsmem_tEENKUlT_SG_SH_SI_E_clIS7_S7_SB_PlEESF_SV_SG_SH_SI_EUlSV_E1_NS1_11comp_targetILNS1_3genE5ELNS1_11target_archE942ELNS1_3gpuE9ELNS1_3repE0EEENS1_36merge_oddeven_config_static_selectorELNS0_4arch9wavefront6targetE1EEEvSH_
                                        ; -- End function
	.section	.AMDGPU.csdata,"",@progbits
; Kernel info:
; codeLenInByte = 0
; NumSgprs: 4
; NumVgprs: 0
; NumAgprs: 0
; TotalNumVgprs: 0
; ScratchSize: 0
; MemoryBound: 0
; FloatMode: 240
; IeeeMode: 1
; LDSByteSize: 0 bytes/workgroup (compile time only)
; SGPRBlocks: 0
; VGPRBlocks: 0
; NumSGPRsForWavesPerEU: 4
; NumVGPRsForWavesPerEU: 1
; AccumOffset: 4
; Occupancy: 8
; WaveLimiterHint : 0
; COMPUTE_PGM_RSRC2:SCRATCH_EN: 0
; COMPUTE_PGM_RSRC2:USER_SGPR: 6
; COMPUTE_PGM_RSRC2:TRAP_HANDLER: 0
; COMPUTE_PGM_RSRC2:TGID_X_EN: 1
; COMPUTE_PGM_RSRC2:TGID_Y_EN: 0
; COMPUTE_PGM_RSRC2:TGID_Z_EN: 0
; COMPUTE_PGM_RSRC2:TIDIG_COMP_CNT: 0
; COMPUTE_PGM_RSRC3_GFX90A:ACCUM_OFFSET: 0
; COMPUTE_PGM_RSRC3_GFX90A:TG_SPLIT: 0
	.section	.text._ZN7rocprim17ROCPRIM_400000_NS6detail17trampoline_kernelINS0_14default_configENS1_38merge_sort_block_merge_config_selectorIilEEZZNS1_27merge_sort_block_merge_implIS3_PiN6thrust23THRUST_200600_302600_NS10device_ptrIlEEjNS1_19radix_merge_compareILb0ELb1EiNS0_19identity_decomposerEEEEE10hipError_tT0_T1_T2_jT3_P12ihipStream_tbPNSt15iterator_traitsISG_E10value_typeEPNSM_ISH_E10value_typeEPSI_NS1_7vsmem_tEENKUlT_SG_SH_SI_E_clIS7_S7_SB_PlEESF_SV_SG_SH_SI_EUlSV_E1_NS1_11comp_targetILNS1_3genE4ELNS1_11target_archE910ELNS1_3gpuE8ELNS1_3repE0EEENS1_36merge_oddeven_config_static_selectorELNS0_4arch9wavefront6targetE1EEEvSH_,"axG",@progbits,_ZN7rocprim17ROCPRIM_400000_NS6detail17trampoline_kernelINS0_14default_configENS1_38merge_sort_block_merge_config_selectorIilEEZZNS1_27merge_sort_block_merge_implIS3_PiN6thrust23THRUST_200600_302600_NS10device_ptrIlEEjNS1_19radix_merge_compareILb0ELb1EiNS0_19identity_decomposerEEEEE10hipError_tT0_T1_T2_jT3_P12ihipStream_tbPNSt15iterator_traitsISG_E10value_typeEPNSM_ISH_E10value_typeEPSI_NS1_7vsmem_tEENKUlT_SG_SH_SI_E_clIS7_S7_SB_PlEESF_SV_SG_SH_SI_EUlSV_E1_NS1_11comp_targetILNS1_3genE4ELNS1_11target_archE910ELNS1_3gpuE8ELNS1_3repE0EEENS1_36merge_oddeven_config_static_selectorELNS0_4arch9wavefront6targetE1EEEvSH_,comdat
	.protected	_ZN7rocprim17ROCPRIM_400000_NS6detail17trampoline_kernelINS0_14default_configENS1_38merge_sort_block_merge_config_selectorIilEEZZNS1_27merge_sort_block_merge_implIS3_PiN6thrust23THRUST_200600_302600_NS10device_ptrIlEEjNS1_19radix_merge_compareILb0ELb1EiNS0_19identity_decomposerEEEEE10hipError_tT0_T1_T2_jT3_P12ihipStream_tbPNSt15iterator_traitsISG_E10value_typeEPNSM_ISH_E10value_typeEPSI_NS1_7vsmem_tEENKUlT_SG_SH_SI_E_clIS7_S7_SB_PlEESF_SV_SG_SH_SI_EUlSV_E1_NS1_11comp_targetILNS1_3genE4ELNS1_11target_archE910ELNS1_3gpuE8ELNS1_3repE0EEENS1_36merge_oddeven_config_static_selectorELNS0_4arch9wavefront6targetE1EEEvSH_ ; -- Begin function _ZN7rocprim17ROCPRIM_400000_NS6detail17trampoline_kernelINS0_14default_configENS1_38merge_sort_block_merge_config_selectorIilEEZZNS1_27merge_sort_block_merge_implIS3_PiN6thrust23THRUST_200600_302600_NS10device_ptrIlEEjNS1_19radix_merge_compareILb0ELb1EiNS0_19identity_decomposerEEEEE10hipError_tT0_T1_T2_jT3_P12ihipStream_tbPNSt15iterator_traitsISG_E10value_typeEPNSM_ISH_E10value_typeEPSI_NS1_7vsmem_tEENKUlT_SG_SH_SI_E_clIS7_S7_SB_PlEESF_SV_SG_SH_SI_EUlSV_E1_NS1_11comp_targetILNS1_3genE4ELNS1_11target_archE910ELNS1_3gpuE8ELNS1_3repE0EEENS1_36merge_oddeven_config_static_selectorELNS0_4arch9wavefront6targetE1EEEvSH_
	.globl	_ZN7rocprim17ROCPRIM_400000_NS6detail17trampoline_kernelINS0_14default_configENS1_38merge_sort_block_merge_config_selectorIilEEZZNS1_27merge_sort_block_merge_implIS3_PiN6thrust23THRUST_200600_302600_NS10device_ptrIlEEjNS1_19radix_merge_compareILb0ELb1EiNS0_19identity_decomposerEEEEE10hipError_tT0_T1_T2_jT3_P12ihipStream_tbPNSt15iterator_traitsISG_E10value_typeEPNSM_ISH_E10value_typeEPSI_NS1_7vsmem_tEENKUlT_SG_SH_SI_E_clIS7_S7_SB_PlEESF_SV_SG_SH_SI_EUlSV_E1_NS1_11comp_targetILNS1_3genE4ELNS1_11target_archE910ELNS1_3gpuE8ELNS1_3repE0EEENS1_36merge_oddeven_config_static_selectorELNS0_4arch9wavefront6targetE1EEEvSH_
	.p2align	8
	.type	_ZN7rocprim17ROCPRIM_400000_NS6detail17trampoline_kernelINS0_14default_configENS1_38merge_sort_block_merge_config_selectorIilEEZZNS1_27merge_sort_block_merge_implIS3_PiN6thrust23THRUST_200600_302600_NS10device_ptrIlEEjNS1_19radix_merge_compareILb0ELb1EiNS0_19identity_decomposerEEEEE10hipError_tT0_T1_T2_jT3_P12ihipStream_tbPNSt15iterator_traitsISG_E10value_typeEPNSM_ISH_E10value_typeEPSI_NS1_7vsmem_tEENKUlT_SG_SH_SI_E_clIS7_S7_SB_PlEESF_SV_SG_SH_SI_EUlSV_E1_NS1_11comp_targetILNS1_3genE4ELNS1_11target_archE910ELNS1_3gpuE8ELNS1_3repE0EEENS1_36merge_oddeven_config_static_selectorELNS0_4arch9wavefront6targetE1EEEvSH_,@function
_ZN7rocprim17ROCPRIM_400000_NS6detail17trampoline_kernelINS0_14default_configENS1_38merge_sort_block_merge_config_selectorIilEEZZNS1_27merge_sort_block_merge_implIS3_PiN6thrust23THRUST_200600_302600_NS10device_ptrIlEEjNS1_19radix_merge_compareILb0ELb1EiNS0_19identity_decomposerEEEEE10hipError_tT0_T1_T2_jT3_P12ihipStream_tbPNSt15iterator_traitsISG_E10value_typeEPNSM_ISH_E10value_typeEPSI_NS1_7vsmem_tEENKUlT_SG_SH_SI_E_clIS7_S7_SB_PlEESF_SV_SG_SH_SI_EUlSV_E1_NS1_11comp_targetILNS1_3genE4ELNS1_11target_archE910ELNS1_3gpuE8ELNS1_3repE0EEENS1_36merge_oddeven_config_static_selectorELNS0_4arch9wavefront6targetE1EEEvSH_: ; @_ZN7rocprim17ROCPRIM_400000_NS6detail17trampoline_kernelINS0_14default_configENS1_38merge_sort_block_merge_config_selectorIilEEZZNS1_27merge_sort_block_merge_implIS3_PiN6thrust23THRUST_200600_302600_NS10device_ptrIlEEjNS1_19radix_merge_compareILb0ELb1EiNS0_19identity_decomposerEEEEE10hipError_tT0_T1_T2_jT3_P12ihipStream_tbPNSt15iterator_traitsISG_E10value_typeEPNSM_ISH_E10value_typeEPSI_NS1_7vsmem_tEENKUlT_SG_SH_SI_E_clIS7_S7_SB_PlEESF_SV_SG_SH_SI_EUlSV_E1_NS1_11comp_targetILNS1_3genE4ELNS1_11target_archE910ELNS1_3gpuE8ELNS1_3repE0EEENS1_36merge_oddeven_config_static_selectorELNS0_4arch9wavefront6targetE1EEEvSH_
; %bb.0:
	s_load_dword s21, s[4:5], 0x20
	s_waitcnt lgkmcnt(0)
	s_lshr_b32 s2, s21, 8
	s_cmp_lg_u32 s6, s2
	s_cselect_b64 s[0:1], -1, 0
	s_cmp_eq_u32 s6, s2
	s_cselect_b64 s[16:17], -1, 0
	s_lshl_b32 s18, s6, 8
	s_sub_i32 s2, s21, s18
	v_cmp_gt_u32_e64 s[2:3], s2, v0
	s_or_b64 s[0:1], s[0:1], s[2:3]
	s_and_saveexec_b64 s[8:9], s[0:1]
	s_cbranch_execz .LBB843_26
; %bb.1:
	s_load_dwordx8 s[8:15], s[4:5], 0x0
	s_mov_b32 s19, 0
	s_lshl_b64 s[0:1], s[18:19], 2
	v_lshlrev_b32_e32 v4, 3, v0
	v_lshlrev_b32_e32 v1, 2, v0
	s_waitcnt lgkmcnt(0)
	s_add_u32 s0, s8, s0
	s_addc_u32 s1, s9, s1
	s_lshl_b64 s[22:23], s[18:19], 3
	s_add_u32 s12, s12, s22
	s_addc_u32 s13, s13, s23
	global_load_dwordx2 v[2:3], v4, s[12:13]
	global_load_dword v6, v1, s[0:1]
	s_load_dword s22, s[4:5], 0x24
	v_add_u32_e32 v4, s18, v0
	s_waitcnt lgkmcnt(0)
	s_lshr_b32 s0, s22, 8
	s_sub_i32 s1, 0, s0
	s_and_b32 s1, s6, s1
	s_and_b32 s0, s1, s0
	s_lshl_b32 s23, s1, 8
	s_sub_i32 s12, 0, s22
	s_cmp_eq_u32 s0, 0
	s_cselect_b64 s[0:1], -1, 0
	s_and_b64 s[6:7], s[0:1], exec
	s_cselect_b32 s20, s22, s12
	s_add_i32 s20, s20, s23
	s_cmp_lt_u32 s20, s21
	s_cbranch_scc1 .LBB843_6
; %bb.2:
	s_and_b64 vcc, exec, s[16:17]
	s_cbranch_vccz .LBB843_7
; %bb.3:
	v_cmp_gt_u32_e32 vcc, s21, v4
	s_mov_b64 s[12:13], 0
	s_mov_b64 s[6:7], 0
                                        ; implicit-def: $vgpr0_vgpr1
	s_and_saveexec_b64 s[18:19], vcc
	s_cbranch_execz .LBB843_5
; %bb.4:
	v_mov_b32_e32 v5, 0
	v_lshlrev_b64 v[0:1], 3, v[4:5]
	v_mov_b32_e32 v7, s15
	v_add_co_u32_e32 v0, vcc, s14, v0
	v_addc_co_u32_e32 v1, vcc, v7, v1, vcc
	v_lshlrev_b64 v[8:9], 2, v[4:5]
	v_mov_b32_e32 v5, s11
	v_add_co_u32_e32 v8, vcc, s10, v8
	s_mov_b64 s[6:7], exec
	v_addc_co_u32_e32 v9, vcc, v5, v9, vcc
	s_waitcnt vmcnt(0)
	global_store_dword v[8:9], v6, off
.LBB843_5:
	s_or_b64 exec, exec, s[18:19]
	s_and_b64 vcc, exec, s[12:13]
	s_cbranch_vccnz .LBB843_8
	s_branch .LBB843_9
.LBB843_6:
	s_mov_b64 s[6:7], 0
                                        ; implicit-def: $vgpr0_vgpr1
	s_cbranch_execnz .LBB843_10
	s_branch .LBB843_24
.LBB843_7:
	s_mov_b64 s[6:7], 0
                                        ; implicit-def: $vgpr0_vgpr1
	s_cbranch_execz .LBB843_9
.LBB843_8:
	v_mov_b32_e32 v5, 0
	v_lshlrev_b64 v[0:1], 2, v[4:5]
	v_mov_b32_e32 v7, s11
	v_add_co_u32_e32 v0, vcc, s10, v0
	v_addc_co_u32_e32 v1, vcc, v7, v1, vcc
	s_waitcnt vmcnt(0)
	global_store_dword v[0:1], v6, off
	v_lshlrev_b64 v[0:1], 3, v[4:5]
	v_mov_b32_e32 v5, s15
	v_add_co_u32_e32 v0, vcc, s14, v0
	v_addc_co_u32_e32 v1, vcc, v5, v1, vcc
	s_or_b64 s[6:7], s[6:7], exec
.LBB843_9:
	s_branch .LBB843_24
.LBB843_10:
	s_load_dword s12, s[4:5], 0x28
	s_min_u32 s13, s20, s21
	s_add_i32 s4, s13, s22
	s_min_u32 s18, s4, s21
	s_min_u32 s4, s23, s13
	s_add_i32 s23, s23, s13
	v_subrev_u32_e32 v0, s23, v4
	v_add_u32_e32 v4, s4, v0
	s_and_b64 vcc, exec, s[16:17]
	s_cbranch_vccz .LBB843_18
; %bb.11:
                                        ; implicit-def: $vgpr0_vgpr1
	s_and_saveexec_b64 s[4:5], s[2:3]
	s_cbranch_execz .LBB843_17
; %bb.12:
	s_cmp_ge_u32 s20, s18
	v_mov_b32_e32 v5, s13
	s_cbranch_scc1 .LBB843_16
; %bb.13:
	s_waitcnt vmcnt(0) lgkmcnt(0)
	v_and_b32_e32 v7, s12, v6
	s_mov_b64 s[2:3], 0
	v_mov_b32_e32 v8, s18
	v_mov_b32_e32 v5, s13
	;; [unrolled: 1-line block ×4, first 2 shown]
.LBB843_14:                             ; =>This Inner Loop Header: Depth=1
	v_add_u32_e32 v0, v5, v8
	v_lshrrev_b32_e32 v0, 1, v0
	v_lshlrev_b64 v[10:11], 2, v[0:1]
	v_add_co_u32_e32 v10, vcc, s8, v10
	v_addc_co_u32_e32 v11, vcc, v9, v11, vcc
	global_load_dword v10, v[10:11], off
	v_add_u32_e32 v11, 1, v0
	s_waitcnt vmcnt(0)
	v_and_b32_e32 v10, s12, v10
	v_cmp_gt_i32_e32 vcc, v7, v10
	v_cndmask_b32_e64 v12, 0, 1, vcc
	v_cmp_le_i32_e32 vcc, v10, v7
	v_cndmask_b32_e64 v10, 0, 1, vcc
	v_cndmask_b32_e64 v10, v10, v12, s[0:1]
	v_and_b32_e32 v10, 1, v10
	v_cmp_eq_u32_e32 vcc, 1, v10
	v_cndmask_b32_e32 v8, v0, v8, vcc
	v_cndmask_b32_e32 v5, v5, v11, vcc
	v_cmp_ge_u32_e32 vcc, v5, v8
	s_or_b64 s[2:3], vcc, s[2:3]
	s_andn2_b64 exec, exec, s[2:3]
	s_cbranch_execnz .LBB843_14
; %bb.15:
	s_or_b64 exec, exec, s[2:3]
.LBB843_16:
	v_add_u32_e32 v0, v5, v4
	v_mov_b32_e32 v1, 0
	v_lshlrev_b64 v[8:9], 2, v[0:1]
	v_mov_b32_e32 v5, s11
	v_add_co_u32_e32 v8, vcc, s10, v8
	v_addc_co_u32_e32 v9, vcc, v5, v9, vcc
	v_lshlrev_b64 v[0:1], 3, v[0:1]
	v_mov_b32_e32 v5, s15
	v_add_co_u32_e32 v0, vcc, s14, v0
	s_waitcnt vmcnt(0)
	global_store_dword v[8:9], v6, off
	v_addc_co_u32_e32 v1, vcc, v5, v1, vcc
	s_or_b64 s[6:7], s[6:7], exec
.LBB843_17:
	s_or_b64 exec, exec, s[4:5]
	s_branch .LBB843_24
.LBB843_18:
                                        ; implicit-def: $vgpr0_vgpr1
	s_cbranch_execz .LBB843_24
; %bb.19:
	s_cmp_ge_u32 s20, s18
	v_mov_b32_e32 v5, s13
	s_cbranch_scc1 .LBB843_23
; %bb.20:
	s_waitcnt vmcnt(0) lgkmcnt(0)
	v_and_b32_e32 v7, s12, v6
	s_mov_b64 s[2:3], 0
	v_mov_b32_e32 v8, s18
	v_mov_b32_e32 v5, s13
	;; [unrolled: 1-line block ×4, first 2 shown]
.LBB843_21:                             ; =>This Inner Loop Header: Depth=1
	v_add_u32_e32 v0, v5, v8
	v_lshrrev_b32_e32 v0, 1, v0
	v_lshlrev_b64 v[10:11], 2, v[0:1]
	v_add_co_u32_e32 v10, vcc, s8, v10
	v_addc_co_u32_e32 v11, vcc, v9, v11, vcc
	global_load_dword v10, v[10:11], off
	v_add_u32_e32 v11, 1, v0
	s_waitcnt vmcnt(0)
	v_and_b32_e32 v10, s12, v10
	v_cmp_gt_i32_e32 vcc, v7, v10
	v_cndmask_b32_e64 v12, 0, 1, vcc
	v_cmp_le_i32_e32 vcc, v10, v7
	v_cndmask_b32_e64 v10, 0, 1, vcc
	v_cndmask_b32_e64 v10, v10, v12, s[0:1]
	v_and_b32_e32 v10, 1, v10
	v_cmp_eq_u32_e32 vcc, 1, v10
	v_cndmask_b32_e32 v8, v0, v8, vcc
	v_cndmask_b32_e32 v5, v5, v11, vcc
	v_cmp_ge_u32_e32 vcc, v5, v8
	s_or_b64 s[2:3], vcc, s[2:3]
	s_andn2_b64 exec, exec, s[2:3]
	s_cbranch_execnz .LBB843_21
; %bb.22:
	s_or_b64 exec, exec, s[2:3]
.LBB843_23:
	v_add_u32_e32 v0, v5, v4
	v_mov_b32_e32 v1, 0
	v_lshlrev_b64 v[4:5], 2, v[0:1]
	v_mov_b32_e32 v7, s11
	v_add_co_u32_e32 v4, vcc, s10, v4
	v_addc_co_u32_e32 v5, vcc, v7, v5, vcc
	v_lshlrev_b64 v[0:1], 3, v[0:1]
	s_waitcnt vmcnt(0)
	global_store_dword v[4:5], v6, off
	v_mov_b32_e32 v4, s15
	v_add_co_u32_e32 v0, vcc, s14, v0
	v_addc_co_u32_e32 v1, vcc, v4, v1, vcc
	s_mov_b64 s[6:7], -1
.LBB843_24:
	s_and_b64 exec, exec, s[6:7]
	s_cbranch_execz .LBB843_26
; %bb.25:
	s_waitcnt vmcnt(1)
	global_store_dwordx2 v[0:1], v[2:3], off
.LBB843_26:
	s_endpgm
	.section	.rodata,"a",@progbits
	.p2align	6, 0x0
	.amdhsa_kernel _ZN7rocprim17ROCPRIM_400000_NS6detail17trampoline_kernelINS0_14default_configENS1_38merge_sort_block_merge_config_selectorIilEEZZNS1_27merge_sort_block_merge_implIS3_PiN6thrust23THRUST_200600_302600_NS10device_ptrIlEEjNS1_19radix_merge_compareILb0ELb1EiNS0_19identity_decomposerEEEEE10hipError_tT0_T1_T2_jT3_P12ihipStream_tbPNSt15iterator_traitsISG_E10value_typeEPNSM_ISH_E10value_typeEPSI_NS1_7vsmem_tEENKUlT_SG_SH_SI_E_clIS7_S7_SB_PlEESF_SV_SG_SH_SI_EUlSV_E1_NS1_11comp_targetILNS1_3genE4ELNS1_11target_archE910ELNS1_3gpuE8ELNS1_3repE0EEENS1_36merge_oddeven_config_static_selectorELNS0_4arch9wavefront6targetE1EEEvSH_
		.amdhsa_group_segment_fixed_size 0
		.amdhsa_private_segment_fixed_size 0
		.amdhsa_kernarg_size 48
		.amdhsa_user_sgpr_count 6
		.amdhsa_user_sgpr_private_segment_buffer 1
		.amdhsa_user_sgpr_dispatch_ptr 0
		.amdhsa_user_sgpr_queue_ptr 0
		.amdhsa_user_sgpr_kernarg_segment_ptr 1
		.amdhsa_user_sgpr_dispatch_id 0
		.amdhsa_user_sgpr_flat_scratch_init 0
		.amdhsa_user_sgpr_kernarg_preload_length 0
		.amdhsa_user_sgpr_kernarg_preload_offset 0
		.amdhsa_user_sgpr_private_segment_size 0
		.amdhsa_uses_dynamic_stack 0
		.amdhsa_system_sgpr_private_segment_wavefront_offset 0
		.amdhsa_system_sgpr_workgroup_id_x 1
		.amdhsa_system_sgpr_workgroup_id_y 0
		.amdhsa_system_sgpr_workgroup_id_z 0
		.amdhsa_system_sgpr_workgroup_info 0
		.amdhsa_system_vgpr_workitem_id 0
		.amdhsa_next_free_vgpr 13
		.amdhsa_next_free_sgpr 24
		.amdhsa_accum_offset 16
		.amdhsa_reserve_vcc 1
		.amdhsa_reserve_flat_scratch 0
		.amdhsa_float_round_mode_32 0
		.amdhsa_float_round_mode_16_64 0
		.amdhsa_float_denorm_mode_32 3
		.amdhsa_float_denorm_mode_16_64 3
		.amdhsa_dx10_clamp 1
		.amdhsa_ieee_mode 1
		.amdhsa_fp16_overflow 0
		.amdhsa_tg_split 0
		.amdhsa_exception_fp_ieee_invalid_op 0
		.amdhsa_exception_fp_denorm_src 0
		.amdhsa_exception_fp_ieee_div_zero 0
		.amdhsa_exception_fp_ieee_overflow 0
		.amdhsa_exception_fp_ieee_underflow 0
		.amdhsa_exception_fp_ieee_inexact 0
		.amdhsa_exception_int_div_zero 0
	.end_amdhsa_kernel
	.section	.text._ZN7rocprim17ROCPRIM_400000_NS6detail17trampoline_kernelINS0_14default_configENS1_38merge_sort_block_merge_config_selectorIilEEZZNS1_27merge_sort_block_merge_implIS3_PiN6thrust23THRUST_200600_302600_NS10device_ptrIlEEjNS1_19radix_merge_compareILb0ELb1EiNS0_19identity_decomposerEEEEE10hipError_tT0_T1_T2_jT3_P12ihipStream_tbPNSt15iterator_traitsISG_E10value_typeEPNSM_ISH_E10value_typeEPSI_NS1_7vsmem_tEENKUlT_SG_SH_SI_E_clIS7_S7_SB_PlEESF_SV_SG_SH_SI_EUlSV_E1_NS1_11comp_targetILNS1_3genE4ELNS1_11target_archE910ELNS1_3gpuE8ELNS1_3repE0EEENS1_36merge_oddeven_config_static_selectorELNS0_4arch9wavefront6targetE1EEEvSH_,"axG",@progbits,_ZN7rocprim17ROCPRIM_400000_NS6detail17trampoline_kernelINS0_14default_configENS1_38merge_sort_block_merge_config_selectorIilEEZZNS1_27merge_sort_block_merge_implIS3_PiN6thrust23THRUST_200600_302600_NS10device_ptrIlEEjNS1_19radix_merge_compareILb0ELb1EiNS0_19identity_decomposerEEEEE10hipError_tT0_T1_T2_jT3_P12ihipStream_tbPNSt15iterator_traitsISG_E10value_typeEPNSM_ISH_E10value_typeEPSI_NS1_7vsmem_tEENKUlT_SG_SH_SI_E_clIS7_S7_SB_PlEESF_SV_SG_SH_SI_EUlSV_E1_NS1_11comp_targetILNS1_3genE4ELNS1_11target_archE910ELNS1_3gpuE8ELNS1_3repE0EEENS1_36merge_oddeven_config_static_selectorELNS0_4arch9wavefront6targetE1EEEvSH_,comdat
.Lfunc_end843:
	.size	_ZN7rocprim17ROCPRIM_400000_NS6detail17trampoline_kernelINS0_14default_configENS1_38merge_sort_block_merge_config_selectorIilEEZZNS1_27merge_sort_block_merge_implIS3_PiN6thrust23THRUST_200600_302600_NS10device_ptrIlEEjNS1_19radix_merge_compareILb0ELb1EiNS0_19identity_decomposerEEEEE10hipError_tT0_T1_T2_jT3_P12ihipStream_tbPNSt15iterator_traitsISG_E10value_typeEPNSM_ISH_E10value_typeEPSI_NS1_7vsmem_tEENKUlT_SG_SH_SI_E_clIS7_S7_SB_PlEESF_SV_SG_SH_SI_EUlSV_E1_NS1_11comp_targetILNS1_3genE4ELNS1_11target_archE910ELNS1_3gpuE8ELNS1_3repE0EEENS1_36merge_oddeven_config_static_selectorELNS0_4arch9wavefront6targetE1EEEvSH_, .Lfunc_end843-_ZN7rocprim17ROCPRIM_400000_NS6detail17trampoline_kernelINS0_14default_configENS1_38merge_sort_block_merge_config_selectorIilEEZZNS1_27merge_sort_block_merge_implIS3_PiN6thrust23THRUST_200600_302600_NS10device_ptrIlEEjNS1_19radix_merge_compareILb0ELb1EiNS0_19identity_decomposerEEEEE10hipError_tT0_T1_T2_jT3_P12ihipStream_tbPNSt15iterator_traitsISG_E10value_typeEPNSM_ISH_E10value_typeEPSI_NS1_7vsmem_tEENKUlT_SG_SH_SI_E_clIS7_S7_SB_PlEESF_SV_SG_SH_SI_EUlSV_E1_NS1_11comp_targetILNS1_3genE4ELNS1_11target_archE910ELNS1_3gpuE8ELNS1_3repE0EEENS1_36merge_oddeven_config_static_selectorELNS0_4arch9wavefront6targetE1EEEvSH_
                                        ; -- End function
	.section	.AMDGPU.csdata,"",@progbits
; Kernel info:
; codeLenInByte = 900
; NumSgprs: 28
; NumVgprs: 13
; NumAgprs: 0
; TotalNumVgprs: 13
; ScratchSize: 0
; MemoryBound: 0
; FloatMode: 240
; IeeeMode: 1
; LDSByteSize: 0 bytes/workgroup (compile time only)
; SGPRBlocks: 3
; VGPRBlocks: 1
; NumSGPRsForWavesPerEU: 28
; NumVGPRsForWavesPerEU: 13
; AccumOffset: 16
; Occupancy: 8
; WaveLimiterHint : 0
; COMPUTE_PGM_RSRC2:SCRATCH_EN: 0
; COMPUTE_PGM_RSRC2:USER_SGPR: 6
; COMPUTE_PGM_RSRC2:TRAP_HANDLER: 0
; COMPUTE_PGM_RSRC2:TGID_X_EN: 1
; COMPUTE_PGM_RSRC2:TGID_Y_EN: 0
; COMPUTE_PGM_RSRC2:TGID_Z_EN: 0
; COMPUTE_PGM_RSRC2:TIDIG_COMP_CNT: 0
; COMPUTE_PGM_RSRC3_GFX90A:ACCUM_OFFSET: 3
; COMPUTE_PGM_RSRC3_GFX90A:TG_SPLIT: 0
	.section	.text._ZN7rocprim17ROCPRIM_400000_NS6detail17trampoline_kernelINS0_14default_configENS1_38merge_sort_block_merge_config_selectorIilEEZZNS1_27merge_sort_block_merge_implIS3_PiN6thrust23THRUST_200600_302600_NS10device_ptrIlEEjNS1_19radix_merge_compareILb0ELb1EiNS0_19identity_decomposerEEEEE10hipError_tT0_T1_T2_jT3_P12ihipStream_tbPNSt15iterator_traitsISG_E10value_typeEPNSM_ISH_E10value_typeEPSI_NS1_7vsmem_tEENKUlT_SG_SH_SI_E_clIS7_S7_SB_PlEESF_SV_SG_SH_SI_EUlSV_E1_NS1_11comp_targetILNS1_3genE3ELNS1_11target_archE908ELNS1_3gpuE7ELNS1_3repE0EEENS1_36merge_oddeven_config_static_selectorELNS0_4arch9wavefront6targetE1EEEvSH_,"axG",@progbits,_ZN7rocprim17ROCPRIM_400000_NS6detail17trampoline_kernelINS0_14default_configENS1_38merge_sort_block_merge_config_selectorIilEEZZNS1_27merge_sort_block_merge_implIS3_PiN6thrust23THRUST_200600_302600_NS10device_ptrIlEEjNS1_19radix_merge_compareILb0ELb1EiNS0_19identity_decomposerEEEEE10hipError_tT0_T1_T2_jT3_P12ihipStream_tbPNSt15iterator_traitsISG_E10value_typeEPNSM_ISH_E10value_typeEPSI_NS1_7vsmem_tEENKUlT_SG_SH_SI_E_clIS7_S7_SB_PlEESF_SV_SG_SH_SI_EUlSV_E1_NS1_11comp_targetILNS1_3genE3ELNS1_11target_archE908ELNS1_3gpuE7ELNS1_3repE0EEENS1_36merge_oddeven_config_static_selectorELNS0_4arch9wavefront6targetE1EEEvSH_,comdat
	.protected	_ZN7rocprim17ROCPRIM_400000_NS6detail17trampoline_kernelINS0_14default_configENS1_38merge_sort_block_merge_config_selectorIilEEZZNS1_27merge_sort_block_merge_implIS3_PiN6thrust23THRUST_200600_302600_NS10device_ptrIlEEjNS1_19radix_merge_compareILb0ELb1EiNS0_19identity_decomposerEEEEE10hipError_tT0_T1_T2_jT3_P12ihipStream_tbPNSt15iterator_traitsISG_E10value_typeEPNSM_ISH_E10value_typeEPSI_NS1_7vsmem_tEENKUlT_SG_SH_SI_E_clIS7_S7_SB_PlEESF_SV_SG_SH_SI_EUlSV_E1_NS1_11comp_targetILNS1_3genE3ELNS1_11target_archE908ELNS1_3gpuE7ELNS1_3repE0EEENS1_36merge_oddeven_config_static_selectorELNS0_4arch9wavefront6targetE1EEEvSH_ ; -- Begin function _ZN7rocprim17ROCPRIM_400000_NS6detail17trampoline_kernelINS0_14default_configENS1_38merge_sort_block_merge_config_selectorIilEEZZNS1_27merge_sort_block_merge_implIS3_PiN6thrust23THRUST_200600_302600_NS10device_ptrIlEEjNS1_19radix_merge_compareILb0ELb1EiNS0_19identity_decomposerEEEEE10hipError_tT0_T1_T2_jT3_P12ihipStream_tbPNSt15iterator_traitsISG_E10value_typeEPNSM_ISH_E10value_typeEPSI_NS1_7vsmem_tEENKUlT_SG_SH_SI_E_clIS7_S7_SB_PlEESF_SV_SG_SH_SI_EUlSV_E1_NS1_11comp_targetILNS1_3genE3ELNS1_11target_archE908ELNS1_3gpuE7ELNS1_3repE0EEENS1_36merge_oddeven_config_static_selectorELNS0_4arch9wavefront6targetE1EEEvSH_
	.globl	_ZN7rocprim17ROCPRIM_400000_NS6detail17trampoline_kernelINS0_14default_configENS1_38merge_sort_block_merge_config_selectorIilEEZZNS1_27merge_sort_block_merge_implIS3_PiN6thrust23THRUST_200600_302600_NS10device_ptrIlEEjNS1_19radix_merge_compareILb0ELb1EiNS0_19identity_decomposerEEEEE10hipError_tT0_T1_T2_jT3_P12ihipStream_tbPNSt15iterator_traitsISG_E10value_typeEPNSM_ISH_E10value_typeEPSI_NS1_7vsmem_tEENKUlT_SG_SH_SI_E_clIS7_S7_SB_PlEESF_SV_SG_SH_SI_EUlSV_E1_NS1_11comp_targetILNS1_3genE3ELNS1_11target_archE908ELNS1_3gpuE7ELNS1_3repE0EEENS1_36merge_oddeven_config_static_selectorELNS0_4arch9wavefront6targetE1EEEvSH_
	.p2align	8
	.type	_ZN7rocprim17ROCPRIM_400000_NS6detail17trampoline_kernelINS0_14default_configENS1_38merge_sort_block_merge_config_selectorIilEEZZNS1_27merge_sort_block_merge_implIS3_PiN6thrust23THRUST_200600_302600_NS10device_ptrIlEEjNS1_19radix_merge_compareILb0ELb1EiNS0_19identity_decomposerEEEEE10hipError_tT0_T1_T2_jT3_P12ihipStream_tbPNSt15iterator_traitsISG_E10value_typeEPNSM_ISH_E10value_typeEPSI_NS1_7vsmem_tEENKUlT_SG_SH_SI_E_clIS7_S7_SB_PlEESF_SV_SG_SH_SI_EUlSV_E1_NS1_11comp_targetILNS1_3genE3ELNS1_11target_archE908ELNS1_3gpuE7ELNS1_3repE0EEENS1_36merge_oddeven_config_static_selectorELNS0_4arch9wavefront6targetE1EEEvSH_,@function
_ZN7rocprim17ROCPRIM_400000_NS6detail17trampoline_kernelINS0_14default_configENS1_38merge_sort_block_merge_config_selectorIilEEZZNS1_27merge_sort_block_merge_implIS3_PiN6thrust23THRUST_200600_302600_NS10device_ptrIlEEjNS1_19radix_merge_compareILb0ELb1EiNS0_19identity_decomposerEEEEE10hipError_tT0_T1_T2_jT3_P12ihipStream_tbPNSt15iterator_traitsISG_E10value_typeEPNSM_ISH_E10value_typeEPSI_NS1_7vsmem_tEENKUlT_SG_SH_SI_E_clIS7_S7_SB_PlEESF_SV_SG_SH_SI_EUlSV_E1_NS1_11comp_targetILNS1_3genE3ELNS1_11target_archE908ELNS1_3gpuE7ELNS1_3repE0EEENS1_36merge_oddeven_config_static_selectorELNS0_4arch9wavefront6targetE1EEEvSH_: ; @_ZN7rocprim17ROCPRIM_400000_NS6detail17trampoline_kernelINS0_14default_configENS1_38merge_sort_block_merge_config_selectorIilEEZZNS1_27merge_sort_block_merge_implIS3_PiN6thrust23THRUST_200600_302600_NS10device_ptrIlEEjNS1_19radix_merge_compareILb0ELb1EiNS0_19identity_decomposerEEEEE10hipError_tT0_T1_T2_jT3_P12ihipStream_tbPNSt15iterator_traitsISG_E10value_typeEPNSM_ISH_E10value_typeEPSI_NS1_7vsmem_tEENKUlT_SG_SH_SI_E_clIS7_S7_SB_PlEESF_SV_SG_SH_SI_EUlSV_E1_NS1_11comp_targetILNS1_3genE3ELNS1_11target_archE908ELNS1_3gpuE7ELNS1_3repE0EEENS1_36merge_oddeven_config_static_selectorELNS0_4arch9wavefront6targetE1EEEvSH_
; %bb.0:
	.section	.rodata,"a",@progbits
	.p2align	6, 0x0
	.amdhsa_kernel _ZN7rocprim17ROCPRIM_400000_NS6detail17trampoline_kernelINS0_14default_configENS1_38merge_sort_block_merge_config_selectorIilEEZZNS1_27merge_sort_block_merge_implIS3_PiN6thrust23THRUST_200600_302600_NS10device_ptrIlEEjNS1_19radix_merge_compareILb0ELb1EiNS0_19identity_decomposerEEEEE10hipError_tT0_T1_T2_jT3_P12ihipStream_tbPNSt15iterator_traitsISG_E10value_typeEPNSM_ISH_E10value_typeEPSI_NS1_7vsmem_tEENKUlT_SG_SH_SI_E_clIS7_S7_SB_PlEESF_SV_SG_SH_SI_EUlSV_E1_NS1_11comp_targetILNS1_3genE3ELNS1_11target_archE908ELNS1_3gpuE7ELNS1_3repE0EEENS1_36merge_oddeven_config_static_selectorELNS0_4arch9wavefront6targetE1EEEvSH_
		.amdhsa_group_segment_fixed_size 0
		.amdhsa_private_segment_fixed_size 0
		.amdhsa_kernarg_size 48
		.amdhsa_user_sgpr_count 6
		.amdhsa_user_sgpr_private_segment_buffer 1
		.amdhsa_user_sgpr_dispatch_ptr 0
		.amdhsa_user_sgpr_queue_ptr 0
		.amdhsa_user_sgpr_kernarg_segment_ptr 1
		.amdhsa_user_sgpr_dispatch_id 0
		.amdhsa_user_sgpr_flat_scratch_init 0
		.amdhsa_user_sgpr_kernarg_preload_length 0
		.amdhsa_user_sgpr_kernarg_preload_offset 0
		.amdhsa_user_sgpr_private_segment_size 0
		.amdhsa_uses_dynamic_stack 0
		.amdhsa_system_sgpr_private_segment_wavefront_offset 0
		.amdhsa_system_sgpr_workgroup_id_x 1
		.amdhsa_system_sgpr_workgroup_id_y 0
		.amdhsa_system_sgpr_workgroup_id_z 0
		.amdhsa_system_sgpr_workgroup_info 0
		.amdhsa_system_vgpr_workitem_id 0
		.amdhsa_next_free_vgpr 1
		.amdhsa_next_free_sgpr 0
		.amdhsa_accum_offset 4
		.amdhsa_reserve_vcc 0
		.amdhsa_reserve_flat_scratch 0
		.amdhsa_float_round_mode_32 0
		.amdhsa_float_round_mode_16_64 0
		.amdhsa_float_denorm_mode_32 3
		.amdhsa_float_denorm_mode_16_64 3
		.amdhsa_dx10_clamp 1
		.amdhsa_ieee_mode 1
		.amdhsa_fp16_overflow 0
		.amdhsa_tg_split 0
		.amdhsa_exception_fp_ieee_invalid_op 0
		.amdhsa_exception_fp_denorm_src 0
		.amdhsa_exception_fp_ieee_div_zero 0
		.amdhsa_exception_fp_ieee_overflow 0
		.amdhsa_exception_fp_ieee_underflow 0
		.amdhsa_exception_fp_ieee_inexact 0
		.amdhsa_exception_int_div_zero 0
	.end_amdhsa_kernel
	.section	.text._ZN7rocprim17ROCPRIM_400000_NS6detail17trampoline_kernelINS0_14default_configENS1_38merge_sort_block_merge_config_selectorIilEEZZNS1_27merge_sort_block_merge_implIS3_PiN6thrust23THRUST_200600_302600_NS10device_ptrIlEEjNS1_19radix_merge_compareILb0ELb1EiNS0_19identity_decomposerEEEEE10hipError_tT0_T1_T2_jT3_P12ihipStream_tbPNSt15iterator_traitsISG_E10value_typeEPNSM_ISH_E10value_typeEPSI_NS1_7vsmem_tEENKUlT_SG_SH_SI_E_clIS7_S7_SB_PlEESF_SV_SG_SH_SI_EUlSV_E1_NS1_11comp_targetILNS1_3genE3ELNS1_11target_archE908ELNS1_3gpuE7ELNS1_3repE0EEENS1_36merge_oddeven_config_static_selectorELNS0_4arch9wavefront6targetE1EEEvSH_,"axG",@progbits,_ZN7rocprim17ROCPRIM_400000_NS6detail17trampoline_kernelINS0_14default_configENS1_38merge_sort_block_merge_config_selectorIilEEZZNS1_27merge_sort_block_merge_implIS3_PiN6thrust23THRUST_200600_302600_NS10device_ptrIlEEjNS1_19radix_merge_compareILb0ELb1EiNS0_19identity_decomposerEEEEE10hipError_tT0_T1_T2_jT3_P12ihipStream_tbPNSt15iterator_traitsISG_E10value_typeEPNSM_ISH_E10value_typeEPSI_NS1_7vsmem_tEENKUlT_SG_SH_SI_E_clIS7_S7_SB_PlEESF_SV_SG_SH_SI_EUlSV_E1_NS1_11comp_targetILNS1_3genE3ELNS1_11target_archE908ELNS1_3gpuE7ELNS1_3repE0EEENS1_36merge_oddeven_config_static_selectorELNS0_4arch9wavefront6targetE1EEEvSH_,comdat
.Lfunc_end844:
	.size	_ZN7rocprim17ROCPRIM_400000_NS6detail17trampoline_kernelINS0_14default_configENS1_38merge_sort_block_merge_config_selectorIilEEZZNS1_27merge_sort_block_merge_implIS3_PiN6thrust23THRUST_200600_302600_NS10device_ptrIlEEjNS1_19radix_merge_compareILb0ELb1EiNS0_19identity_decomposerEEEEE10hipError_tT0_T1_T2_jT3_P12ihipStream_tbPNSt15iterator_traitsISG_E10value_typeEPNSM_ISH_E10value_typeEPSI_NS1_7vsmem_tEENKUlT_SG_SH_SI_E_clIS7_S7_SB_PlEESF_SV_SG_SH_SI_EUlSV_E1_NS1_11comp_targetILNS1_3genE3ELNS1_11target_archE908ELNS1_3gpuE7ELNS1_3repE0EEENS1_36merge_oddeven_config_static_selectorELNS0_4arch9wavefront6targetE1EEEvSH_, .Lfunc_end844-_ZN7rocprim17ROCPRIM_400000_NS6detail17trampoline_kernelINS0_14default_configENS1_38merge_sort_block_merge_config_selectorIilEEZZNS1_27merge_sort_block_merge_implIS3_PiN6thrust23THRUST_200600_302600_NS10device_ptrIlEEjNS1_19radix_merge_compareILb0ELb1EiNS0_19identity_decomposerEEEEE10hipError_tT0_T1_T2_jT3_P12ihipStream_tbPNSt15iterator_traitsISG_E10value_typeEPNSM_ISH_E10value_typeEPSI_NS1_7vsmem_tEENKUlT_SG_SH_SI_E_clIS7_S7_SB_PlEESF_SV_SG_SH_SI_EUlSV_E1_NS1_11comp_targetILNS1_3genE3ELNS1_11target_archE908ELNS1_3gpuE7ELNS1_3repE0EEENS1_36merge_oddeven_config_static_selectorELNS0_4arch9wavefront6targetE1EEEvSH_
                                        ; -- End function
	.section	.AMDGPU.csdata,"",@progbits
; Kernel info:
; codeLenInByte = 0
; NumSgprs: 4
; NumVgprs: 0
; NumAgprs: 0
; TotalNumVgprs: 0
; ScratchSize: 0
; MemoryBound: 0
; FloatMode: 240
; IeeeMode: 1
; LDSByteSize: 0 bytes/workgroup (compile time only)
; SGPRBlocks: 0
; VGPRBlocks: 0
; NumSGPRsForWavesPerEU: 4
; NumVGPRsForWavesPerEU: 1
; AccumOffset: 4
; Occupancy: 8
; WaveLimiterHint : 0
; COMPUTE_PGM_RSRC2:SCRATCH_EN: 0
; COMPUTE_PGM_RSRC2:USER_SGPR: 6
; COMPUTE_PGM_RSRC2:TRAP_HANDLER: 0
; COMPUTE_PGM_RSRC2:TGID_X_EN: 1
; COMPUTE_PGM_RSRC2:TGID_Y_EN: 0
; COMPUTE_PGM_RSRC2:TGID_Z_EN: 0
; COMPUTE_PGM_RSRC2:TIDIG_COMP_CNT: 0
; COMPUTE_PGM_RSRC3_GFX90A:ACCUM_OFFSET: 0
; COMPUTE_PGM_RSRC3_GFX90A:TG_SPLIT: 0
	.section	.text._ZN7rocprim17ROCPRIM_400000_NS6detail17trampoline_kernelINS0_14default_configENS1_38merge_sort_block_merge_config_selectorIilEEZZNS1_27merge_sort_block_merge_implIS3_PiN6thrust23THRUST_200600_302600_NS10device_ptrIlEEjNS1_19radix_merge_compareILb0ELb1EiNS0_19identity_decomposerEEEEE10hipError_tT0_T1_T2_jT3_P12ihipStream_tbPNSt15iterator_traitsISG_E10value_typeEPNSM_ISH_E10value_typeEPSI_NS1_7vsmem_tEENKUlT_SG_SH_SI_E_clIS7_S7_SB_PlEESF_SV_SG_SH_SI_EUlSV_E1_NS1_11comp_targetILNS1_3genE2ELNS1_11target_archE906ELNS1_3gpuE6ELNS1_3repE0EEENS1_36merge_oddeven_config_static_selectorELNS0_4arch9wavefront6targetE1EEEvSH_,"axG",@progbits,_ZN7rocprim17ROCPRIM_400000_NS6detail17trampoline_kernelINS0_14default_configENS1_38merge_sort_block_merge_config_selectorIilEEZZNS1_27merge_sort_block_merge_implIS3_PiN6thrust23THRUST_200600_302600_NS10device_ptrIlEEjNS1_19radix_merge_compareILb0ELb1EiNS0_19identity_decomposerEEEEE10hipError_tT0_T1_T2_jT3_P12ihipStream_tbPNSt15iterator_traitsISG_E10value_typeEPNSM_ISH_E10value_typeEPSI_NS1_7vsmem_tEENKUlT_SG_SH_SI_E_clIS7_S7_SB_PlEESF_SV_SG_SH_SI_EUlSV_E1_NS1_11comp_targetILNS1_3genE2ELNS1_11target_archE906ELNS1_3gpuE6ELNS1_3repE0EEENS1_36merge_oddeven_config_static_selectorELNS0_4arch9wavefront6targetE1EEEvSH_,comdat
	.protected	_ZN7rocprim17ROCPRIM_400000_NS6detail17trampoline_kernelINS0_14default_configENS1_38merge_sort_block_merge_config_selectorIilEEZZNS1_27merge_sort_block_merge_implIS3_PiN6thrust23THRUST_200600_302600_NS10device_ptrIlEEjNS1_19radix_merge_compareILb0ELb1EiNS0_19identity_decomposerEEEEE10hipError_tT0_T1_T2_jT3_P12ihipStream_tbPNSt15iterator_traitsISG_E10value_typeEPNSM_ISH_E10value_typeEPSI_NS1_7vsmem_tEENKUlT_SG_SH_SI_E_clIS7_S7_SB_PlEESF_SV_SG_SH_SI_EUlSV_E1_NS1_11comp_targetILNS1_3genE2ELNS1_11target_archE906ELNS1_3gpuE6ELNS1_3repE0EEENS1_36merge_oddeven_config_static_selectorELNS0_4arch9wavefront6targetE1EEEvSH_ ; -- Begin function _ZN7rocprim17ROCPRIM_400000_NS6detail17trampoline_kernelINS0_14default_configENS1_38merge_sort_block_merge_config_selectorIilEEZZNS1_27merge_sort_block_merge_implIS3_PiN6thrust23THRUST_200600_302600_NS10device_ptrIlEEjNS1_19radix_merge_compareILb0ELb1EiNS0_19identity_decomposerEEEEE10hipError_tT0_T1_T2_jT3_P12ihipStream_tbPNSt15iterator_traitsISG_E10value_typeEPNSM_ISH_E10value_typeEPSI_NS1_7vsmem_tEENKUlT_SG_SH_SI_E_clIS7_S7_SB_PlEESF_SV_SG_SH_SI_EUlSV_E1_NS1_11comp_targetILNS1_3genE2ELNS1_11target_archE906ELNS1_3gpuE6ELNS1_3repE0EEENS1_36merge_oddeven_config_static_selectorELNS0_4arch9wavefront6targetE1EEEvSH_
	.globl	_ZN7rocprim17ROCPRIM_400000_NS6detail17trampoline_kernelINS0_14default_configENS1_38merge_sort_block_merge_config_selectorIilEEZZNS1_27merge_sort_block_merge_implIS3_PiN6thrust23THRUST_200600_302600_NS10device_ptrIlEEjNS1_19radix_merge_compareILb0ELb1EiNS0_19identity_decomposerEEEEE10hipError_tT0_T1_T2_jT3_P12ihipStream_tbPNSt15iterator_traitsISG_E10value_typeEPNSM_ISH_E10value_typeEPSI_NS1_7vsmem_tEENKUlT_SG_SH_SI_E_clIS7_S7_SB_PlEESF_SV_SG_SH_SI_EUlSV_E1_NS1_11comp_targetILNS1_3genE2ELNS1_11target_archE906ELNS1_3gpuE6ELNS1_3repE0EEENS1_36merge_oddeven_config_static_selectorELNS0_4arch9wavefront6targetE1EEEvSH_
	.p2align	8
	.type	_ZN7rocprim17ROCPRIM_400000_NS6detail17trampoline_kernelINS0_14default_configENS1_38merge_sort_block_merge_config_selectorIilEEZZNS1_27merge_sort_block_merge_implIS3_PiN6thrust23THRUST_200600_302600_NS10device_ptrIlEEjNS1_19radix_merge_compareILb0ELb1EiNS0_19identity_decomposerEEEEE10hipError_tT0_T1_T2_jT3_P12ihipStream_tbPNSt15iterator_traitsISG_E10value_typeEPNSM_ISH_E10value_typeEPSI_NS1_7vsmem_tEENKUlT_SG_SH_SI_E_clIS7_S7_SB_PlEESF_SV_SG_SH_SI_EUlSV_E1_NS1_11comp_targetILNS1_3genE2ELNS1_11target_archE906ELNS1_3gpuE6ELNS1_3repE0EEENS1_36merge_oddeven_config_static_selectorELNS0_4arch9wavefront6targetE1EEEvSH_,@function
_ZN7rocprim17ROCPRIM_400000_NS6detail17trampoline_kernelINS0_14default_configENS1_38merge_sort_block_merge_config_selectorIilEEZZNS1_27merge_sort_block_merge_implIS3_PiN6thrust23THRUST_200600_302600_NS10device_ptrIlEEjNS1_19radix_merge_compareILb0ELb1EiNS0_19identity_decomposerEEEEE10hipError_tT0_T1_T2_jT3_P12ihipStream_tbPNSt15iterator_traitsISG_E10value_typeEPNSM_ISH_E10value_typeEPSI_NS1_7vsmem_tEENKUlT_SG_SH_SI_E_clIS7_S7_SB_PlEESF_SV_SG_SH_SI_EUlSV_E1_NS1_11comp_targetILNS1_3genE2ELNS1_11target_archE906ELNS1_3gpuE6ELNS1_3repE0EEENS1_36merge_oddeven_config_static_selectorELNS0_4arch9wavefront6targetE1EEEvSH_: ; @_ZN7rocprim17ROCPRIM_400000_NS6detail17trampoline_kernelINS0_14default_configENS1_38merge_sort_block_merge_config_selectorIilEEZZNS1_27merge_sort_block_merge_implIS3_PiN6thrust23THRUST_200600_302600_NS10device_ptrIlEEjNS1_19radix_merge_compareILb0ELb1EiNS0_19identity_decomposerEEEEE10hipError_tT0_T1_T2_jT3_P12ihipStream_tbPNSt15iterator_traitsISG_E10value_typeEPNSM_ISH_E10value_typeEPSI_NS1_7vsmem_tEENKUlT_SG_SH_SI_E_clIS7_S7_SB_PlEESF_SV_SG_SH_SI_EUlSV_E1_NS1_11comp_targetILNS1_3genE2ELNS1_11target_archE906ELNS1_3gpuE6ELNS1_3repE0EEENS1_36merge_oddeven_config_static_selectorELNS0_4arch9wavefront6targetE1EEEvSH_
; %bb.0:
	.section	.rodata,"a",@progbits
	.p2align	6, 0x0
	.amdhsa_kernel _ZN7rocprim17ROCPRIM_400000_NS6detail17trampoline_kernelINS0_14default_configENS1_38merge_sort_block_merge_config_selectorIilEEZZNS1_27merge_sort_block_merge_implIS3_PiN6thrust23THRUST_200600_302600_NS10device_ptrIlEEjNS1_19radix_merge_compareILb0ELb1EiNS0_19identity_decomposerEEEEE10hipError_tT0_T1_T2_jT3_P12ihipStream_tbPNSt15iterator_traitsISG_E10value_typeEPNSM_ISH_E10value_typeEPSI_NS1_7vsmem_tEENKUlT_SG_SH_SI_E_clIS7_S7_SB_PlEESF_SV_SG_SH_SI_EUlSV_E1_NS1_11comp_targetILNS1_3genE2ELNS1_11target_archE906ELNS1_3gpuE6ELNS1_3repE0EEENS1_36merge_oddeven_config_static_selectorELNS0_4arch9wavefront6targetE1EEEvSH_
		.amdhsa_group_segment_fixed_size 0
		.amdhsa_private_segment_fixed_size 0
		.amdhsa_kernarg_size 48
		.amdhsa_user_sgpr_count 6
		.amdhsa_user_sgpr_private_segment_buffer 1
		.amdhsa_user_sgpr_dispatch_ptr 0
		.amdhsa_user_sgpr_queue_ptr 0
		.amdhsa_user_sgpr_kernarg_segment_ptr 1
		.amdhsa_user_sgpr_dispatch_id 0
		.amdhsa_user_sgpr_flat_scratch_init 0
		.amdhsa_user_sgpr_kernarg_preload_length 0
		.amdhsa_user_sgpr_kernarg_preload_offset 0
		.amdhsa_user_sgpr_private_segment_size 0
		.amdhsa_uses_dynamic_stack 0
		.amdhsa_system_sgpr_private_segment_wavefront_offset 0
		.amdhsa_system_sgpr_workgroup_id_x 1
		.amdhsa_system_sgpr_workgroup_id_y 0
		.amdhsa_system_sgpr_workgroup_id_z 0
		.amdhsa_system_sgpr_workgroup_info 0
		.amdhsa_system_vgpr_workitem_id 0
		.amdhsa_next_free_vgpr 1
		.amdhsa_next_free_sgpr 0
		.amdhsa_accum_offset 4
		.amdhsa_reserve_vcc 0
		.amdhsa_reserve_flat_scratch 0
		.amdhsa_float_round_mode_32 0
		.amdhsa_float_round_mode_16_64 0
		.amdhsa_float_denorm_mode_32 3
		.amdhsa_float_denorm_mode_16_64 3
		.amdhsa_dx10_clamp 1
		.amdhsa_ieee_mode 1
		.amdhsa_fp16_overflow 0
		.amdhsa_tg_split 0
		.amdhsa_exception_fp_ieee_invalid_op 0
		.amdhsa_exception_fp_denorm_src 0
		.amdhsa_exception_fp_ieee_div_zero 0
		.amdhsa_exception_fp_ieee_overflow 0
		.amdhsa_exception_fp_ieee_underflow 0
		.amdhsa_exception_fp_ieee_inexact 0
		.amdhsa_exception_int_div_zero 0
	.end_amdhsa_kernel
	.section	.text._ZN7rocprim17ROCPRIM_400000_NS6detail17trampoline_kernelINS0_14default_configENS1_38merge_sort_block_merge_config_selectorIilEEZZNS1_27merge_sort_block_merge_implIS3_PiN6thrust23THRUST_200600_302600_NS10device_ptrIlEEjNS1_19radix_merge_compareILb0ELb1EiNS0_19identity_decomposerEEEEE10hipError_tT0_T1_T2_jT3_P12ihipStream_tbPNSt15iterator_traitsISG_E10value_typeEPNSM_ISH_E10value_typeEPSI_NS1_7vsmem_tEENKUlT_SG_SH_SI_E_clIS7_S7_SB_PlEESF_SV_SG_SH_SI_EUlSV_E1_NS1_11comp_targetILNS1_3genE2ELNS1_11target_archE906ELNS1_3gpuE6ELNS1_3repE0EEENS1_36merge_oddeven_config_static_selectorELNS0_4arch9wavefront6targetE1EEEvSH_,"axG",@progbits,_ZN7rocprim17ROCPRIM_400000_NS6detail17trampoline_kernelINS0_14default_configENS1_38merge_sort_block_merge_config_selectorIilEEZZNS1_27merge_sort_block_merge_implIS3_PiN6thrust23THRUST_200600_302600_NS10device_ptrIlEEjNS1_19radix_merge_compareILb0ELb1EiNS0_19identity_decomposerEEEEE10hipError_tT0_T1_T2_jT3_P12ihipStream_tbPNSt15iterator_traitsISG_E10value_typeEPNSM_ISH_E10value_typeEPSI_NS1_7vsmem_tEENKUlT_SG_SH_SI_E_clIS7_S7_SB_PlEESF_SV_SG_SH_SI_EUlSV_E1_NS1_11comp_targetILNS1_3genE2ELNS1_11target_archE906ELNS1_3gpuE6ELNS1_3repE0EEENS1_36merge_oddeven_config_static_selectorELNS0_4arch9wavefront6targetE1EEEvSH_,comdat
.Lfunc_end845:
	.size	_ZN7rocprim17ROCPRIM_400000_NS6detail17trampoline_kernelINS0_14default_configENS1_38merge_sort_block_merge_config_selectorIilEEZZNS1_27merge_sort_block_merge_implIS3_PiN6thrust23THRUST_200600_302600_NS10device_ptrIlEEjNS1_19radix_merge_compareILb0ELb1EiNS0_19identity_decomposerEEEEE10hipError_tT0_T1_T2_jT3_P12ihipStream_tbPNSt15iterator_traitsISG_E10value_typeEPNSM_ISH_E10value_typeEPSI_NS1_7vsmem_tEENKUlT_SG_SH_SI_E_clIS7_S7_SB_PlEESF_SV_SG_SH_SI_EUlSV_E1_NS1_11comp_targetILNS1_3genE2ELNS1_11target_archE906ELNS1_3gpuE6ELNS1_3repE0EEENS1_36merge_oddeven_config_static_selectorELNS0_4arch9wavefront6targetE1EEEvSH_, .Lfunc_end845-_ZN7rocprim17ROCPRIM_400000_NS6detail17trampoline_kernelINS0_14default_configENS1_38merge_sort_block_merge_config_selectorIilEEZZNS1_27merge_sort_block_merge_implIS3_PiN6thrust23THRUST_200600_302600_NS10device_ptrIlEEjNS1_19radix_merge_compareILb0ELb1EiNS0_19identity_decomposerEEEEE10hipError_tT0_T1_T2_jT3_P12ihipStream_tbPNSt15iterator_traitsISG_E10value_typeEPNSM_ISH_E10value_typeEPSI_NS1_7vsmem_tEENKUlT_SG_SH_SI_E_clIS7_S7_SB_PlEESF_SV_SG_SH_SI_EUlSV_E1_NS1_11comp_targetILNS1_3genE2ELNS1_11target_archE906ELNS1_3gpuE6ELNS1_3repE0EEENS1_36merge_oddeven_config_static_selectorELNS0_4arch9wavefront6targetE1EEEvSH_
                                        ; -- End function
	.section	.AMDGPU.csdata,"",@progbits
; Kernel info:
; codeLenInByte = 0
; NumSgprs: 4
; NumVgprs: 0
; NumAgprs: 0
; TotalNumVgprs: 0
; ScratchSize: 0
; MemoryBound: 0
; FloatMode: 240
; IeeeMode: 1
; LDSByteSize: 0 bytes/workgroup (compile time only)
; SGPRBlocks: 0
; VGPRBlocks: 0
; NumSGPRsForWavesPerEU: 4
; NumVGPRsForWavesPerEU: 1
; AccumOffset: 4
; Occupancy: 8
; WaveLimiterHint : 0
; COMPUTE_PGM_RSRC2:SCRATCH_EN: 0
; COMPUTE_PGM_RSRC2:USER_SGPR: 6
; COMPUTE_PGM_RSRC2:TRAP_HANDLER: 0
; COMPUTE_PGM_RSRC2:TGID_X_EN: 1
; COMPUTE_PGM_RSRC2:TGID_Y_EN: 0
; COMPUTE_PGM_RSRC2:TGID_Z_EN: 0
; COMPUTE_PGM_RSRC2:TIDIG_COMP_CNT: 0
; COMPUTE_PGM_RSRC3_GFX90A:ACCUM_OFFSET: 0
; COMPUTE_PGM_RSRC3_GFX90A:TG_SPLIT: 0
	.section	.text._ZN7rocprim17ROCPRIM_400000_NS6detail17trampoline_kernelINS0_14default_configENS1_38merge_sort_block_merge_config_selectorIilEEZZNS1_27merge_sort_block_merge_implIS3_PiN6thrust23THRUST_200600_302600_NS10device_ptrIlEEjNS1_19radix_merge_compareILb0ELb1EiNS0_19identity_decomposerEEEEE10hipError_tT0_T1_T2_jT3_P12ihipStream_tbPNSt15iterator_traitsISG_E10value_typeEPNSM_ISH_E10value_typeEPSI_NS1_7vsmem_tEENKUlT_SG_SH_SI_E_clIS7_S7_SB_PlEESF_SV_SG_SH_SI_EUlSV_E1_NS1_11comp_targetILNS1_3genE9ELNS1_11target_archE1100ELNS1_3gpuE3ELNS1_3repE0EEENS1_36merge_oddeven_config_static_selectorELNS0_4arch9wavefront6targetE1EEEvSH_,"axG",@progbits,_ZN7rocprim17ROCPRIM_400000_NS6detail17trampoline_kernelINS0_14default_configENS1_38merge_sort_block_merge_config_selectorIilEEZZNS1_27merge_sort_block_merge_implIS3_PiN6thrust23THRUST_200600_302600_NS10device_ptrIlEEjNS1_19radix_merge_compareILb0ELb1EiNS0_19identity_decomposerEEEEE10hipError_tT0_T1_T2_jT3_P12ihipStream_tbPNSt15iterator_traitsISG_E10value_typeEPNSM_ISH_E10value_typeEPSI_NS1_7vsmem_tEENKUlT_SG_SH_SI_E_clIS7_S7_SB_PlEESF_SV_SG_SH_SI_EUlSV_E1_NS1_11comp_targetILNS1_3genE9ELNS1_11target_archE1100ELNS1_3gpuE3ELNS1_3repE0EEENS1_36merge_oddeven_config_static_selectorELNS0_4arch9wavefront6targetE1EEEvSH_,comdat
	.protected	_ZN7rocprim17ROCPRIM_400000_NS6detail17trampoline_kernelINS0_14default_configENS1_38merge_sort_block_merge_config_selectorIilEEZZNS1_27merge_sort_block_merge_implIS3_PiN6thrust23THRUST_200600_302600_NS10device_ptrIlEEjNS1_19radix_merge_compareILb0ELb1EiNS0_19identity_decomposerEEEEE10hipError_tT0_T1_T2_jT3_P12ihipStream_tbPNSt15iterator_traitsISG_E10value_typeEPNSM_ISH_E10value_typeEPSI_NS1_7vsmem_tEENKUlT_SG_SH_SI_E_clIS7_S7_SB_PlEESF_SV_SG_SH_SI_EUlSV_E1_NS1_11comp_targetILNS1_3genE9ELNS1_11target_archE1100ELNS1_3gpuE3ELNS1_3repE0EEENS1_36merge_oddeven_config_static_selectorELNS0_4arch9wavefront6targetE1EEEvSH_ ; -- Begin function _ZN7rocprim17ROCPRIM_400000_NS6detail17trampoline_kernelINS0_14default_configENS1_38merge_sort_block_merge_config_selectorIilEEZZNS1_27merge_sort_block_merge_implIS3_PiN6thrust23THRUST_200600_302600_NS10device_ptrIlEEjNS1_19radix_merge_compareILb0ELb1EiNS0_19identity_decomposerEEEEE10hipError_tT0_T1_T2_jT3_P12ihipStream_tbPNSt15iterator_traitsISG_E10value_typeEPNSM_ISH_E10value_typeEPSI_NS1_7vsmem_tEENKUlT_SG_SH_SI_E_clIS7_S7_SB_PlEESF_SV_SG_SH_SI_EUlSV_E1_NS1_11comp_targetILNS1_3genE9ELNS1_11target_archE1100ELNS1_3gpuE3ELNS1_3repE0EEENS1_36merge_oddeven_config_static_selectorELNS0_4arch9wavefront6targetE1EEEvSH_
	.globl	_ZN7rocprim17ROCPRIM_400000_NS6detail17trampoline_kernelINS0_14default_configENS1_38merge_sort_block_merge_config_selectorIilEEZZNS1_27merge_sort_block_merge_implIS3_PiN6thrust23THRUST_200600_302600_NS10device_ptrIlEEjNS1_19radix_merge_compareILb0ELb1EiNS0_19identity_decomposerEEEEE10hipError_tT0_T1_T2_jT3_P12ihipStream_tbPNSt15iterator_traitsISG_E10value_typeEPNSM_ISH_E10value_typeEPSI_NS1_7vsmem_tEENKUlT_SG_SH_SI_E_clIS7_S7_SB_PlEESF_SV_SG_SH_SI_EUlSV_E1_NS1_11comp_targetILNS1_3genE9ELNS1_11target_archE1100ELNS1_3gpuE3ELNS1_3repE0EEENS1_36merge_oddeven_config_static_selectorELNS0_4arch9wavefront6targetE1EEEvSH_
	.p2align	8
	.type	_ZN7rocprim17ROCPRIM_400000_NS6detail17trampoline_kernelINS0_14default_configENS1_38merge_sort_block_merge_config_selectorIilEEZZNS1_27merge_sort_block_merge_implIS3_PiN6thrust23THRUST_200600_302600_NS10device_ptrIlEEjNS1_19radix_merge_compareILb0ELb1EiNS0_19identity_decomposerEEEEE10hipError_tT0_T1_T2_jT3_P12ihipStream_tbPNSt15iterator_traitsISG_E10value_typeEPNSM_ISH_E10value_typeEPSI_NS1_7vsmem_tEENKUlT_SG_SH_SI_E_clIS7_S7_SB_PlEESF_SV_SG_SH_SI_EUlSV_E1_NS1_11comp_targetILNS1_3genE9ELNS1_11target_archE1100ELNS1_3gpuE3ELNS1_3repE0EEENS1_36merge_oddeven_config_static_selectorELNS0_4arch9wavefront6targetE1EEEvSH_,@function
_ZN7rocprim17ROCPRIM_400000_NS6detail17trampoline_kernelINS0_14default_configENS1_38merge_sort_block_merge_config_selectorIilEEZZNS1_27merge_sort_block_merge_implIS3_PiN6thrust23THRUST_200600_302600_NS10device_ptrIlEEjNS1_19radix_merge_compareILb0ELb1EiNS0_19identity_decomposerEEEEE10hipError_tT0_T1_T2_jT3_P12ihipStream_tbPNSt15iterator_traitsISG_E10value_typeEPNSM_ISH_E10value_typeEPSI_NS1_7vsmem_tEENKUlT_SG_SH_SI_E_clIS7_S7_SB_PlEESF_SV_SG_SH_SI_EUlSV_E1_NS1_11comp_targetILNS1_3genE9ELNS1_11target_archE1100ELNS1_3gpuE3ELNS1_3repE0EEENS1_36merge_oddeven_config_static_selectorELNS0_4arch9wavefront6targetE1EEEvSH_: ; @_ZN7rocprim17ROCPRIM_400000_NS6detail17trampoline_kernelINS0_14default_configENS1_38merge_sort_block_merge_config_selectorIilEEZZNS1_27merge_sort_block_merge_implIS3_PiN6thrust23THRUST_200600_302600_NS10device_ptrIlEEjNS1_19radix_merge_compareILb0ELb1EiNS0_19identity_decomposerEEEEE10hipError_tT0_T1_T2_jT3_P12ihipStream_tbPNSt15iterator_traitsISG_E10value_typeEPNSM_ISH_E10value_typeEPSI_NS1_7vsmem_tEENKUlT_SG_SH_SI_E_clIS7_S7_SB_PlEESF_SV_SG_SH_SI_EUlSV_E1_NS1_11comp_targetILNS1_3genE9ELNS1_11target_archE1100ELNS1_3gpuE3ELNS1_3repE0EEENS1_36merge_oddeven_config_static_selectorELNS0_4arch9wavefront6targetE1EEEvSH_
; %bb.0:
	.section	.rodata,"a",@progbits
	.p2align	6, 0x0
	.amdhsa_kernel _ZN7rocprim17ROCPRIM_400000_NS6detail17trampoline_kernelINS0_14default_configENS1_38merge_sort_block_merge_config_selectorIilEEZZNS1_27merge_sort_block_merge_implIS3_PiN6thrust23THRUST_200600_302600_NS10device_ptrIlEEjNS1_19radix_merge_compareILb0ELb1EiNS0_19identity_decomposerEEEEE10hipError_tT0_T1_T2_jT3_P12ihipStream_tbPNSt15iterator_traitsISG_E10value_typeEPNSM_ISH_E10value_typeEPSI_NS1_7vsmem_tEENKUlT_SG_SH_SI_E_clIS7_S7_SB_PlEESF_SV_SG_SH_SI_EUlSV_E1_NS1_11comp_targetILNS1_3genE9ELNS1_11target_archE1100ELNS1_3gpuE3ELNS1_3repE0EEENS1_36merge_oddeven_config_static_selectorELNS0_4arch9wavefront6targetE1EEEvSH_
		.amdhsa_group_segment_fixed_size 0
		.amdhsa_private_segment_fixed_size 0
		.amdhsa_kernarg_size 48
		.amdhsa_user_sgpr_count 6
		.amdhsa_user_sgpr_private_segment_buffer 1
		.amdhsa_user_sgpr_dispatch_ptr 0
		.amdhsa_user_sgpr_queue_ptr 0
		.amdhsa_user_sgpr_kernarg_segment_ptr 1
		.amdhsa_user_sgpr_dispatch_id 0
		.amdhsa_user_sgpr_flat_scratch_init 0
		.amdhsa_user_sgpr_kernarg_preload_length 0
		.amdhsa_user_sgpr_kernarg_preload_offset 0
		.amdhsa_user_sgpr_private_segment_size 0
		.amdhsa_uses_dynamic_stack 0
		.amdhsa_system_sgpr_private_segment_wavefront_offset 0
		.amdhsa_system_sgpr_workgroup_id_x 1
		.amdhsa_system_sgpr_workgroup_id_y 0
		.amdhsa_system_sgpr_workgroup_id_z 0
		.amdhsa_system_sgpr_workgroup_info 0
		.amdhsa_system_vgpr_workitem_id 0
		.amdhsa_next_free_vgpr 1
		.amdhsa_next_free_sgpr 0
		.amdhsa_accum_offset 4
		.amdhsa_reserve_vcc 0
		.amdhsa_reserve_flat_scratch 0
		.amdhsa_float_round_mode_32 0
		.amdhsa_float_round_mode_16_64 0
		.amdhsa_float_denorm_mode_32 3
		.amdhsa_float_denorm_mode_16_64 3
		.amdhsa_dx10_clamp 1
		.amdhsa_ieee_mode 1
		.amdhsa_fp16_overflow 0
		.amdhsa_tg_split 0
		.amdhsa_exception_fp_ieee_invalid_op 0
		.amdhsa_exception_fp_denorm_src 0
		.amdhsa_exception_fp_ieee_div_zero 0
		.amdhsa_exception_fp_ieee_overflow 0
		.amdhsa_exception_fp_ieee_underflow 0
		.amdhsa_exception_fp_ieee_inexact 0
		.amdhsa_exception_int_div_zero 0
	.end_amdhsa_kernel
	.section	.text._ZN7rocprim17ROCPRIM_400000_NS6detail17trampoline_kernelINS0_14default_configENS1_38merge_sort_block_merge_config_selectorIilEEZZNS1_27merge_sort_block_merge_implIS3_PiN6thrust23THRUST_200600_302600_NS10device_ptrIlEEjNS1_19radix_merge_compareILb0ELb1EiNS0_19identity_decomposerEEEEE10hipError_tT0_T1_T2_jT3_P12ihipStream_tbPNSt15iterator_traitsISG_E10value_typeEPNSM_ISH_E10value_typeEPSI_NS1_7vsmem_tEENKUlT_SG_SH_SI_E_clIS7_S7_SB_PlEESF_SV_SG_SH_SI_EUlSV_E1_NS1_11comp_targetILNS1_3genE9ELNS1_11target_archE1100ELNS1_3gpuE3ELNS1_3repE0EEENS1_36merge_oddeven_config_static_selectorELNS0_4arch9wavefront6targetE1EEEvSH_,"axG",@progbits,_ZN7rocprim17ROCPRIM_400000_NS6detail17trampoline_kernelINS0_14default_configENS1_38merge_sort_block_merge_config_selectorIilEEZZNS1_27merge_sort_block_merge_implIS3_PiN6thrust23THRUST_200600_302600_NS10device_ptrIlEEjNS1_19radix_merge_compareILb0ELb1EiNS0_19identity_decomposerEEEEE10hipError_tT0_T1_T2_jT3_P12ihipStream_tbPNSt15iterator_traitsISG_E10value_typeEPNSM_ISH_E10value_typeEPSI_NS1_7vsmem_tEENKUlT_SG_SH_SI_E_clIS7_S7_SB_PlEESF_SV_SG_SH_SI_EUlSV_E1_NS1_11comp_targetILNS1_3genE9ELNS1_11target_archE1100ELNS1_3gpuE3ELNS1_3repE0EEENS1_36merge_oddeven_config_static_selectorELNS0_4arch9wavefront6targetE1EEEvSH_,comdat
.Lfunc_end846:
	.size	_ZN7rocprim17ROCPRIM_400000_NS6detail17trampoline_kernelINS0_14default_configENS1_38merge_sort_block_merge_config_selectorIilEEZZNS1_27merge_sort_block_merge_implIS3_PiN6thrust23THRUST_200600_302600_NS10device_ptrIlEEjNS1_19radix_merge_compareILb0ELb1EiNS0_19identity_decomposerEEEEE10hipError_tT0_T1_T2_jT3_P12ihipStream_tbPNSt15iterator_traitsISG_E10value_typeEPNSM_ISH_E10value_typeEPSI_NS1_7vsmem_tEENKUlT_SG_SH_SI_E_clIS7_S7_SB_PlEESF_SV_SG_SH_SI_EUlSV_E1_NS1_11comp_targetILNS1_3genE9ELNS1_11target_archE1100ELNS1_3gpuE3ELNS1_3repE0EEENS1_36merge_oddeven_config_static_selectorELNS0_4arch9wavefront6targetE1EEEvSH_, .Lfunc_end846-_ZN7rocprim17ROCPRIM_400000_NS6detail17trampoline_kernelINS0_14default_configENS1_38merge_sort_block_merge_config_selectorIilEEZZNS1_27merge_sort_block_merge_implIS3_PiN6thrust23THRUST_200600_302600_NS10device_ptrIlEEjNS1_19radix_merge_compareILb0ELb1EiNS0_19identity_decomposerEEEEE10hipError_tT0_T1_T2_jT3_P12ihipStream_tbPNSt15iterator_traitsISG_E10value_typeEPNSM_ISH_E10value_typeEPSI_NS1_7vsmem_tEENKUlT_SG_SH_SI_E_clIS7_S7_SB_PlEESF_SV_SG_SH_SI_EUlSV_E1_NS1_11comp_targetILNS1_3genE9ELNS1_11target_archE1100ELNS1_3gpuE3ELNS1_3repE0EEENS1_36merge_oddeven_config_static_selectorELNS0_4arch9wavefront6targetE1EEEvSH_
                                        ; -- End function
	.section	.AMDGPU.csdata,"",@progbits
; Kernel info:
; codeLenInByte = 0
; NumSgprs: 4
; NumVgprs: 0
; NumAgprs: 0
; TotalNumVgprs: 0
; ScratchSize: 0
; MemoryBound: 0
; FloatMode: 240
; IeeeMode: 1
; LDSByteSize: 0 bytes/workgroup (compile time only)
; SGPRBlocks: 0
; VGPRBlocks: 0
; NumSGPRsForWavesPerEU: 4
; NumVGPRsForWavesPerEU: 1
; AccumOffset: 4
; Occupancy: 8
; WaveLimiterHint : 0
; COMPUTE_PGM_RSRC2:SCRATCH_EN: 0
; COMPUTE_PGM_RSRC2:USER_SGPR: 6
; COMPUTE_PGM_RSRC2:TRAP_HANDLER: 0
; COMPUTE_PGM_RSRC2:TGID_X_EN: 1
; COMPUTE_PGM_RSRC2:TGID_Y_EN: 0
; COMPUTE_PGM_RSRC2:TGID_Z_EN: 0
; COMPUTE_PGM_RSRC2:TIDIG_COMP_CNT: 0
; COMPUTE_PGM_RSRC3_GFX90A:ACCUM_OFFSET: 0
; COMPUTE_PGM_RSRC3_GFX90A:TG_SPLIT: 0
	.section	.text._ZN7rocprim17ROCPRIM_400000_NS6detail17trampoline_kernelINS0_14default_configENS1_38merge_sort_block_merge_config_selectorIilEEZZNS1_27merge_sort_block_merge_implIS3_PiN6thrust23THRUST_200600_302600_NS10device_ptrIlEEjNS1_19radix_merge_compareILb0ELb1EiNS0_19identity_decomposerEEEEE10hipError_tT0_T1_T2_jT3_P12ihipStream_tbPNSt15iterator_traitsISG_E10value_typeEPNSM_ISH_E10value_typeEPSI_NS1_7vsmem_tEENKUlT_SG_SH_SI_E_clIS7_S7_SB_PlEESF_SV_SG_SH_SI_EUlSV_E1_NS1_11comp_targetILNS1_3genE8ELNS1_11target_archE1030ELNS1_3gpuE2ELNS1_3repE0EEENS1_36merge_oddeven_config_static_selectorELNS0_4arch9wavefront6targetE1EEEvSH_,"axG",@progbits,_ZN7rocprim17ROCPRIM_400000_NS6detail17trampoline_kernelINS0_14default_configENS1_38merge_sort_block_merge_config_selectorIilEEZZNS1_27merge_sort_block_merge_implIS3_PiN6thrust23THRUST_200600_302600_NS10device_ptrIlEEjNS1_19radix_merge_compareILb0ELb1EiNS0_19identity_decomposerEEEEE10hipError_tT0_T1_T2_jT3_P12ihipStream_tbPNSt15iterator_traitsISG_E10value_typeEPNSM_ISH_E10value_typeEPSI_NS1_7vsmem_tEENKUlT_SG_SH_SI_E_clIS7_S7_SB_PlEESF_SV_SG_SH_SI_EUlSV_E1_NS1_11comp_targetILNS1_3genE8ELNS1_11target_archE1030ELNS1_3gpuE2ELNS1_3repE0EEENS1_36merge_oddeven_config_static_selectorELNS0_4arch9wavefront6targetE1EEEvSH_,comdat
	.protected	_ZN7rocprim17ROCPRIM_400000_NS6detail17trampoline_kernelINS0_14default_configENS1_38merge_sort_block_merge_config_selectorIilEEZZNS1_27merge_sort_block_merge_implIS3_PiN6thrust23THRUST_200600_302600_NS10device_ptrIlEEjNS1_19radix_merge_compareILb0ELb1EiNS0_19identity_decomposerEEEEE10hipError_tT0_T1_T2_jT3_P12ihipStream_tbPNSt15iterator_traitsISG_E10value_typeEPNSM_ISH_E10value_typeEPSI_NS1_7vsmem_tEENKUlT_SG_SH_SI_E_clIS7_S7_SB_PlEESF_SV_SG_SH_SI_EUlSV_E1_NS1_11comp_targetILNS1_3genE8ELNS1_11target_archE1030ELNS1_3gpuE2ELNS1_3repE0EEENS1_36merge_oddeven_config_static_selectorELNS0_4arch9wavefront6targetE1EEEvSH_ ; -- Begin function _ZN7rocprim17ROCPRIM_400000_NS6detail17trampoline_kernelINS0_14default_configENS1_38merge_sort_block_merge_config_selectorIilEEZZNS1_27merge_sort_block_merge_implIS3_PiN6thrust23THRUST_200600_302600_NS10device_ptrIlEEjNS1_19radix_merge_compareILb0ELb1EiNS0_19identity_decomposerEEEEE10hipError_tT0_T1_T2_jT3_P12ihipStream_tbPNSt15iterator_traitsISG_E10value_typeEPNSM_ISH_E10value_typeEPSI_NS1_7vsmem_tEENKUlT_SG_SH_SI_E_clIS7_S7_SB_PlEESF_SV_SG_SH_SI_EUlSV_E1_NS1_11comp_targetILNS1_3genE8ELNS1_11target_archE1030ELNS1_3gpuE2ELNS1_3repE0EEENS1_36merge_oddeven_config_static_selectorELNS0_4arch9wavefront6targetE1EEEvSH_
	.globl	_ZN7rocprim17ROCPRIM_400000_NS6detail17trampoline_kernelINS0_14default_configENS1_38merge_sort_block_merge_config_selectorIilEEZZNS1_27merge_sort_block_merge_implIS3_PiN6thrust23THRUST_200600_302600_NS10device_ptrIlEEjNS1_19radix_merge_compareILb0ELb1EiNS0_19identity_decomposerEEEEE10hipError_tT0_T1_T2_jT3_P12ihipStream_tbPNSt15iterator_traitsISG_E10value_typeEPNSM_ISH_E10value_typeEPSI_NS1_7vsmem_tEENKUlT_SG_SH_SI_E_clIS7_S7_SB_PlEESF_SV_SG_SH_SI_EUlSV_E1_NS1_11comp_targetILNS1_3genE8ELNS1_11target_archE1030ELNS1_3gpuE2ELNS1_3repE0EEENS1_36merge_oddeven_config_static_selectorELNS0_4arch9wavefront6targetE1EEEvSH_
	.p2align	8
	.type	_ZN7rocprim17ROCPRIM_400000_NS6detail17trampoline_kernelINS0_14default_configENS1_38merge_sort_block_merge_config_selectorIilEEZZNS1_27merge_sort_block_merge_implIS3_PiN6thrust23THRUST_200600_302600_NS10device_ptrIlEEjNS1_19radix_merge_compareILb0ELb1EiNS0_19identity_decomposerEEEEE10hipError_tT0_T1_T2_jT3_P12ihipStream_tbPNSt15iterator_traitsISG_E10value_typeEPNSM_ISH_E10value_typeEPSI_NS1_7vsmem_tEENKUlT_SG_SH_SI_E_clIS7_S7_SB_PlEESF_SV_SG_SH_SI_EUlSV_E1_NS1_11comp_targetILNS1_3genE8ELNS1_11target_archE1030ELNS1_3gpuE2ELNS1_3repE0EEENS1_36merge_oddeven_config_static_selectorELNS0_4arch9wavefront6targetE1EEEvSH_,@function
_ZN7rocprim17ROCPRIM_400000_NS6detail17trampoline_kernelINS0_14default_configENS1_38merge_sort_block_merge_config_selectorIilEEZZNS1_27merge_sort_block_merge_implIS3_PiN6thrust23THRUST_200600_302600_NS10device_ptrIlEEjNS1_19radix_merge_compareILb0ELb1EiNS0_19identity_decomposerEEEEE10hipError_tT0_T1_T2_jT3_P12ihipStream_tbPNSt15iterator_traitsISG_E10value_typeEPNSM_ISH_E10value_typeEPSI_NS1_7vsmem_tEENKUlT_SG_SH_SI_E_clIS7_S7_SB_PlEESF_SV_SG_SH_SI_EUlSV_E1_NS1_11comp_targetILNS1_3genE8ELNS1_11target_archE1030ELNS1_3gpuE2ELNS1_3repE0EEENS1_36merge_oddeven_config_static_selectorELNS0_4arch9wavefront6targetE1EEEvSH_: ; @_ZN7rocprim17ROCPRIM_400000_NS6detail17trampoline_kernelINS0_14default_configENS1_38merge_sort_block_merge_config_selectorIilEEZZNS1_27merge_sort_block_merge_implIS3_PiN6thrust23THRUST_200600_302600_NS10device_ptrIlEEjNS1_19radix_merge_compareILb0ELb1EiNS0_19identity_decomposerEEEEE10hipError_tT0_T1_T2_jT3_P12ihipStream_tbPNSt15iterator_traitsISG_E10value_typeEPNSM_ISH_E10value_typeEPSI_NS1_7vsmem_tEENKUlT_SG_SH_SI_E_clIS7_S7_SB_PlEESF_SV_SG_SH_SI_EUlSV_E1_NS1_11comp_targetILNS1_3genE8ELNS1_11target_archE1030ELNS1_3gpuE2ELNS1_3repE0EEENS1_36merge_oddeven_config_static_selectorELNS0_4arch9wavefront6targetE1EEEvSH_
; %bb.0:
	.section	.rodata,"a",@progbits
	.p2align	6, 0x0
	.amdhsa_kernel _ZN7rocprim17ROCPRIM_400000_NS6detail17trampoline_kernelINS0_14default_configENS1_38merge_sort_block_merge_config_selectorIilEEZZNS1_27merge_sort_block_merge_implIS3_PiN6thrust23THRUST_200600_302600_NS10device_ptrIlEEjNS1_19radix_merge_compareILb0ELb1EiNS0_19identity_decomposerEEEEE10hipError_tT0_T1_T2_jT3_P12ihipStream_tbPNSt15iterator_traitsISG_E10value_typeEPNSM_ISH_E10value_typeEPSI_NS1_7vsmem_tEENKUlT_SG_SH_SI_E_clIS7_S7_SB_PlEESF_SV_SG_SH_SI_EUlSV_E1_NS1_11comp_targetILNS1_3genE8ELNS1_11target_archE1030ELNS1_3gpuE2ELNS1_3repE0EEENS1_36merge_oddeven_config_static_selectorELNS0_4arch9wavefront6targetE1EEEvSH_
		.amdhsa_group_segment_fixed_size 0
		.amdhsa_private_segment_fixed_size 0
		.amdhsa_kernarg_size 48
		.amdhsa_user_sgpr_count 6
		.amdhsa_user_sgpr_private_segment_buffer 1
		.amdhsa_user_sgpr_dispatch_ptr 0
		.amdhsa_user_sgpr_queue_ptr 0
		.amdhsa_user_sgpr_kernarg_segment_ptr 1
		.amdhsa_user_sgpr_dispatch_id 0
		.amdhsa_user_sgpr_flat_scratch_init 0
		.amdhsa_user_sgpr_kernarg_preload_length 0
		.amdhsa_user_sgpr_kernarg_preload_offset 0
		.amdhsa_user_sgpr_private_segment_size 0
		.amdhsa_uses_dynamic_stack 0
		.amdhsa_system_sgpr_private_segment_wavefront_offset 0
		.amdhsa_system_sgpr_workgroup_id_x 1
		.amdhsa_system_sgpr_workgroup_id_y 0
		.amdhsa_system_sgpr_workgroup_id_z 0
		.amdhsa_system_sgpr_workgroup_info 0
		.amdhsa_system_vgpr_workitem_id 0
		.amdhsa_next_free_vgpr 1
		.amdhsa_next_free_sgpr 0
		.amdhsa_accum_offset 4
		.amdhsa_reserve_vcc 0
		.amdhsa_reserve_flat_scratch 0
		.amdhsa_float_round_mode_32 0
		.amdhsa_float_round_mode_16_64 0
		.amdhsa_float_denorm_mode_32 3
		.amdhsa_float_denorm_mode_16_64 3
		.amdhsa_dx10_clamp 1
		.amdhsa_ieee_mode 1
		.amdhsa_fp16_overflow 0
		.amdhsa_tg_split 0
		.amdhsa_exception_fp_ieee_invalid_op 0
		.amdhsa_exception_fp_denorm_src 0
		.amdhsa_exception_fp_ieee_div_zero 0
		.amdhsa_exception_fp_ieee_overflow 0
		.amdhsa_exception_fp_ieee_underflow 0
		.amdhsa_exception_fp_ieee_inexact 0
		.amdhsa_exception_int_div_zero 0
	.end_amdhsa_kernel
	.section	.text._ZN7rocprim17ROCPRIM_400000_NS6detail17trampoline_kernelINS0_14default_configENS1_38merge_sort_block_merge_config_selectorIilEEZZNS1_27merge_sort_block_merge_implIS3_PiN6thrust23THRUST_200600_302600_NS10device_ptrIlEEjNS1_19radix_merge_compareILb0ELb1EiNS0_19identity_decomposerEEEEE10hipError_tT0_T1_T2_jT3_P12ihipStream_tbPNSt15iterator_traitsISG_E10value_typeEPNSM_ISH_E10value_typeEPSI_NS1_7vsmem_tEENKUlT_SG_SH_SI_E_clIS7_S7_SB_PlEESF_SV_SG_SH_SI_EUlSV_E1_NS1_11comp_targetILNS1_3genE8ELNS1_11target_archE1030ELNS1_3gpuE2ELNS1_3repE0EEENS1_36merge_oddeven_config_static_selectorELNS0_4arch9wavefront6targetE1EEEvSH_,"axG",@progbits,_ZN7rocprim17ROCPRIM_400000_NS6detail17trampoline_kernelINS0_14default_configENS1_38merge_sort_block_merge_config_selectorIilEEZZNS1_27merge_sort_block_merge_implIS3_PiN6thrust23THRUST_200600_302600_NS10device_ptrIlEEjNS1_19radix_merge_compareILb0ELb1EiNS0_19identity_decomposerEEEEE10hipError_tT0_T1_T2_jT3_P12ihipStream_tbPNSt15iterator_traitsISG_E10value_typeEPNSM_ISH_E10value_typeEPSI_NS1_7vsmem_tEENKUlT_SG_SH_SI_E_clIS7_S7_SB_PlEESF_SV_SG_SH_SI_EUlSV_E1_NS1_11comp_targetILNS1_3genE8ELNS1_11target_archE1030ELNS1_3gpuE2ELNS1_3repE0EEENS1_36merge_oddeven_config_static_selectorELNS0_4arch9wavefront6targetE1EEEvSH_,comdat
.Lfunc_end847:
	.size	_ZN7rocprim17ROCPRIM_400000_NS6detail17trampoline_kernelINS0_14default_configENS1_38merge_sort_block_merge_config_selectorIilEEZZNS1_27merge_sort_block_merge_implIS3_PiN6thrust23THRUST_200600_302600_NS10device_ptrIlEEjNS1_19radix_merge_compareILb0ELb1EiNS0_19identity_decomposerEEEEE10hipError_tT0_T1_T2_jT3_P12ihipStream_tbPNSt15iterator_traitsISG_E10value_typeEPNSM_ISH_E10value_typeEPSI_NS1_7vsmem_tEENKUlT_SG_SH_SI_E_clIS7_S7_SB_PlEESF_SV_SG_SH_SI_EUlSV_E1_NS1_11comp_targetILNS1_3genE8ELNS1_11target_archE1030ELNS1_3gpuE2ELNS1_3repE0EEENS1_36merge_oddeven_config_static_selectorELNS0_4arch9wavefront6targetE1EEEvSH_, .Lfunc_end847-_ZN7rocprim17ROCPRIM_400000_NS6detail17trampoline_kernelINS0_14default_configENS1_38merge_sort_block_merge_config_selectorIilEEZZNS1_27merge_sort_block_merge_implIS3_PiN6thrust23THRUST_200600_302600_NS10device_ptrIlEEjNS1_19radix_merge_compareILb0ELb1EiNS0_19identity_decomposerEEEEE10hipError_tT0_T1_T2_jT3_P12ihipStream_tbPNSt15iterator_traitsISG_E10value_typeEPNSM_ISH_E10value_typeEPSI_NS1_7vsmem_tEENKUlT_SG_SH_SI_E_clIS7_S7_SB_PlEESF_SV_SG_SH_SI_EUlSV_E1_NS1_11comp_targetILNS1_3genE8ELNS1_11target_archE1030ELNS1_3gpuE2ELNS1_3repE0EEENS1_36merge_oddeven_config_static_selectorELNS0_4arch9wavefront6targetE1EEEvSH_
                                        ; -- End function
	.section	.AMDGPU.csdata,"",@progbits
; Kernel info:
; codeLenInByte = 0
; NumSgprs: 4
; NumVgprs: 0
; NumAgprs: 0
; TotalNumVgprs: 0
; ScratchSize: 0
; MemoryBound: 0
; FloatMode: 240
; IeeeMode: 1
; LDSByteSize: 0 bytes/workgroup (compile time only)
; SGPRBlocks: 0
; VGPRBlocks: 0
; NumSGPRsForWavesPerEU: 4
; NumVGPRsForWavesPerEU: 1
; AccumOffset: 4
; Occupancy: 8
; WaveLimiterHint : 0
; COMPUTE_PGM_RSRC2:SCRATCH_EN: 0
; COMPUTE_PGM_RSRC2:USER_SGPR: 6
; COMPUTE_PGM_RSRC2:TRAP_HANDLER: 0
; COMPUTE_PGM_RSRC2:TGID_X_EN: 1
; COMPUTE_PGM_RSRC2:TGID_Y_EN: 0
; COMPUTE_PGM_RSRC2:TGID_Z_EN: 0
; COMPUTE_PGM_RSRC2:TIDIG_COMP_CNT: 0
; COMPUTE_PGM_RSRC3_GFX90A:ACCUM_OFFSET: 0
; COMPUTE_PGM_RSRC3_GFX90A:TG_SPLIT: 0
	.section	.text._ZN7rocprim17ROCPRIM_400000_NS6detail17trampoline_kernelINS0_14default_configENS1_35radix_sort_onesweep_config_selectorIilEEZNS1_34radix_sort_onesweep_global_offsetsIS3_Lb0EPiN6thrust23THRUST_200600_302600_NS10device_ptrIlEEjNS0_19identity_decomposerEEE10hipError_tT1_T2_PT3_SG_jT4_jjP12ihipStream_tbEUlT_E_NS1_11comp_targetILNS1_3genE0ELNS1_11target_archE4294967295ELNS1_3gpuE0ELNS1_3repE0EEENS1_52radix_sort_onesweep_histogram_config_static_selectorELNS0_4arch9wavefront6targetE1EEEvSE_,"axG",@progbits,_ZN7rocprim17ROCPRIM_400000_NS6detail17trampoline_kernelINS0_14default_configENS1_35radix_sort_onesweep_config_selectorIilEEZNS1_34radix_sort_onesweep_global_offsetsIS3_Lb0EPiN6thrust23THRUST_200600_302600_NS10device_ptrIlEEjNS0_19identity_decomposerEEE10hipError_tT1_T2_PT3_SG_jT4_jjP12ihipStream_tbEUlT_E_NS1_11comp_targetILNS1_3genE0ELNS1_11target_archE4294967295ELNS1_3gpuE0ELNS1_3repE0EEENS1_52radix_sort_onesweep_histogram_config_static_selectorELNS0_4arch9wavefront6targetE1EEEvSE_,comdat
	.protected	_ZN7rocprim17ROCPRIM_400000_NS6detail17trampoline_kernelINS0_14default_configENS1_35radix_sort_onesweep_config_selectorIilEEZNS1_34radix_sort_onesweep_global_offsetsIS3_Lb0EPiN6thrust23THRUST_200600_302600_NS10device_ptrIlEEjNS0_19identity_decomposerEEE10hipError_tT1_T2_PT3_SG_jT4_jjP12ihipStream_tbEUlT_E_NS1_11comp_targetILNS1_3genE0ELNS1_11target_archE4294967295ELNS1_3gpuE0ELNS1_3repE0EEENS1_52radix_sort_onesweep_histogram_config_static_selectorELNS0_4arch9wavefront6targetE1EEEvSE_ ; -- Begin function _ZN7rocprim17ROCPRIM_400000_NS6detail17trampoline_kernelINS0_14default_configENS1_35radix_sort_onesweep_config_selectorIilEEZNS1_34radix_sort_onesweep_global_offsetsIS3_Lb0EPiN6thrust23THRUST_200600_302600_NS10device_ptrIlEEjNS0_19identity_decomposerEEE10hipError_tT1_T2_PT3_SG_jT4_jjP12ihipStream_tbEUlT_E_NS1_11comp_targetILNS1_3genE0ELNS1_11target_archE4294967295ELNS1_3gpuE0ELNS1_3repE0EEENS1_52radix_sort_onesweep_histogram_config_static_selectorELNS0_4arch9wavefront6targetE1EEEvSE_
	.globl	_ZN7rocprim17ROCPRIM_400000_NS6detail17trampoline_kernelINS0_14default_configENS1_35radix_sort_onesweep_config_selectorIilEEZNS1_34radix_sort_onesweep_global_offsetsIS3_Lb0EPiN6thrust23THRUST_200600_302600_NS10device_ptrIlEEjNS0_19identity_decomposerEEE10hipError_tT1_T2_PT3_SG_jT4_jjP12ihipStream_tbEUlT_E_NS1_11comp_targetILNS1_3genE0ELNS1_11target_archE4294967295ELNS1_3gpuE0ELNS1_3repE0EEENS1_52radix_sort_onesweep_histogram_config_static_selectorELNS0_4arch9wavefront6targetE1EEEvSE_
	.p2align	8
	.type	_ZN7rocprim17ROCPRIM_400000_NS6detail17trampoline_kernelINS0_14default_configENS1_35radix_sort_onesweep_config_selectorIilEEZNS1_34radix_sort_onesweep_global_offsetsIS3_Lb0EPiN6thrust23THRUST_200600_302600_NS10device_ptrIlEEjNS0_19identity_decomposerEEE10hipError_tT1_T2_PT3_SG_jT4_jjP12ihipStream_tbEUlT_E_NS1_11comp_targetILNS1_3genE0ELNS1_11target_archE4294967295ELNS1_3gpuE0ELNS1_3repE0EEENS1_52radix_sort_onesweep_histogram_config_static_selectorELNS0_4arch9wavefront6targetE1EEEvSE_,@function
_ZN7rocprim17ROCPRIM_400000_NS6detail17trampoline_kernelINS0_14default_configENS1_35radix_sort_onesweep_config_selectorIilEEZNS1_34radix_sort_onesweep_global_offsetsIS3_Lb0EPiN6thrust23THRUST_200600_302600_NS10device_ptrIlEEjNS0_19identity_decomposerEEE10hipError_tT1_T2_PT3_SG_jT4_jjP12ihipStream_tbEUlT_E_NS1_11comp_targetILNS1_3genE0ELNS1_11target_archE4294967295ELNS1_3gpuE0ELNS1_3repE0EEENS1_52radix_sort_onesweep_histogram_config_static_selectorELNS0_4arch9wavefront6targetE1EEEvSE_: ; @_ZN7rocprim17ROCPRIM_400000_NS6detail17trampoline_kernelINS0_14default_configENS1_35radix_sort_onesweep_config_selectorIilEEZNS1_34radix_sort_onesweep_global_offsetsIS3_Lb0EPiN6thrust23THRUST_200600_302600_NS10device_ptrIlEEjNS0_19identity_decomposerEEE10hipError_tT1_T2_PT3_SG_jT4_jjP12ihipStream_tbEUlT_E_NS1_11comp_targetILNS1_3genE0ELNS1_11target_archE4294967295ELNS1_3gpuE0ELNS1_3repE0EEENS1_52radix_sort_onesweep_histogram_config_static_selectorELNS0_4arch9wavefront6targetE1EEEvSE_
; %bb.0:
	.section	.rodata,"a",@progbits
	.p2align	6, 0x0
	.amdhsa_kernel _ZN7rocprim17ROCPRIM_400000_NS6detail17trampoline_kernelINS0_14default_configENS1_35radix_sort_onesweep_config_selectorIilEEZNS1_34radix_sort_onesweep_global_offsetsIS3_Lb0EPiN6thrust23THRUST_200600_302600_NS10device_ptrIlEEjNS0_19identity_decomposerEEE10hipError_tT1_T2_PT3_SG_jT4_jjP12ihipStream_tbEUlT_E_NS1_11comp_targetILNS1_3genE0ELNS1_11target_archE4294967295ELNS1_3gpuE0ELNS1_3repE0EEENS1_52radix_sort_onesweep_histogram_config_static_selectorELNS0_4arch9wavefront6targetE1EEEvSE_
		.amdhsa_group_segment_fixed_size 0
		.amdhsa_private_segment_fixed_size 0
		.amdhsa_kernarg_size 40
		.amdhsa_user_sgpr_count 6
		.amdhsa_user_sgpr_private_segment_buffer 1
		.amdhsa_user_sgpr_dispatch_ptr 0
		.amdhsa_user_sgpr_queue_ptr 0
		.amdhsa_user_sgpr_kernarg_segment_ptr 1
		.amdhsa_user_sgpr_dispatch_id 0
		.amdhsa_user_sgpr_flat_scratch_init 0
		.amdhsa_user_sgpr_kernarg_preload_length 0
		.amdhsa_user_sgpr_kernarg_preload_offset 0
		.amdhsa_user_sgpr_private_segment_size 0
		.amdhsa_uses_dynamic_stack 0
		.amdhsa_system_sgpr_private_segment_wavefront_offset 0
		.amdhsa_system_sgpr_workgroup_id_x 1
		.amdhsa_system_sgpr_workgroup_id_y 0
		.amdhsa_system_sgpr_workgroup_id_z 0
		.amdhsa_system_sgpr_workgroup_info 0
		.amdhsa_system_vgpr_workitem_id 0
		.amdhsa_next_free_vgpr 1
		.amdhsa_next_free_sgpr 0
		.amdhsa_accum_offset 4
		.amdhsa_reserve_vcc 0
		.amdhsa_reserve_flat_scratch 0
		.amdhsa_float_round_mode_32 0
		.amdhsa_float_round_mode_16_64 0
		.amdhsa_float_denorm_mode_32 3
		.amdhsa_float_denorm_mode_16_64 3
		.amdhsa_dx10_clamp 1
		.amdhsa_ieee_mode 1
		.amdhsa_fp16_overflow 0
		.amdhsa_tg_split 0
		.amdhsa_exception_fp_ieee_invalid_op 0
		.amdhsa_exception_fp_denorm_src 0
		.amdhsa_exception_fp_ieee_div_zero 0
		.amdhsa_exception_fp_ieee_overflow 0
		.amdhsa_exception_fp_ieee_underflow 0
		.amdhsa_exception_fp_ieee_inexact 0
		.amdhsa_exception_int_div_zero 0
	.end_amdhsa_kernel
	.section	.text._ZN7rocprim17ROCPRIM_400000_NS6detail17trampoline_kernelINS0_14default_configENS1_35radix_sort_onesweep_config_selectorIilEEZNS1_34radix_sort_onesweep_global_offsetsIS3_Lb0EPiN6thrust23THRUST_200600_302600_NS10device_ptrIlEEjNS0_19identity_decomposerEEE10hipError_tT1_T2_PT3_SG_jT4_jjP12ihipStream_tbEUlT_E_NS1_11comp_targetILNS1_3genE0ELNS1_11target_archE4294967295ELNS1_3gpuE0ELNS1_3repE0EEENS1_52radix_sort_onesweep_histogram_config_static_selectorELNS0_4arch9wavefront6targetE1EEEvSE_,"axG",@progbits,_ZN7rocprim17ROCPRIM_400000_NS6detail17trampoline_kernelINS0_14default_configENS1_35radix_sort_onesweep_config_selectorIilEEZNS1_34radix_sort_onesweep_global_offsetsIS3_Lb0EPiN6thrust23THRUST_200600_302600_NS10device_ptrIlEEjNS0_19identity_decomposerEEE10hipError_tT1_T2_PT3_SG_jT4_jjP12ihipStream_tbEUlT_E_NS1_11comp_targetILNS1_3genE0ELNS1_11target_archE4294967295ELNS1_3gpuE0ELNS1_3repE0EEENS1_52radix_sort_onesweep_histogram_config_static_selectorELNS0_4arch9wavefront6targetE1EEEvSE_,comdat
.Lfunc_end848:
	.size	_ZN7rocprim17ROCPRIM_400000_NS6detail17trampoline_kernelINS0_14default_configENS1_35radix_sort_onesweep_config_selectorIilEEZNS1_34radix_sort_onesweep_global_offsetsIS3_Lb0EPiN6thrust23THRUST_200600_302600_NS10device_ptrIlEEjNS0_19identity_decomposerEEE10hipError_tT1_T2_PT3_SG_jT4_jjP12ihipStream_tbEUlT_E_NS1_11comp_targetILNS1_3genE0ELNS1_11target_archE4294967295ELNS1_3gpuE0ELNS1_3repE0EEENS1_52radix_sort_onesweep_histogram_config_static_selectorELNS0_4arch9wavefront6targetE1EEEvSE_, .Lfunc_end848-_ZN7rocprim17ROCPRIM_400000_NS6detail17trampoline_kernelINS0_14default_configENS1_35radix_sort_onesweep_config_selectorIilEEZNS1_34radix_sort_onesweep_global_offsetsIS3_Lb0EPiN6thrust23THRUST_200600_302600_NS10device_ptrIlEEjNS0_19identity_decomposerEEE10hipError_tT1_T2_PT3_SG_jT4_jjP12ihipStream_tbEUlT_E_NS1_11comp_targetILNS1_3genE0ELNS1_11target_archE4294967295ELNS1_3gpuE0ELNS1_3repE0EEENS1_52radix_sort_onesweep_histogram_config_static_selectorELNS0_4arch9wavefront6targetE1EEEvSE_
                                        ; -- End function
	.section	.AMDGPU.csdata,"",@progbits
; Kernel info:
; codeLenInByte = 0
; NumSgprs: 4
; NumVgprs: 0
; NumAgprs: 0
; TotalNumVgprs: 0
; ScratchSize: 0
; MemoryBound: 0
; FloatMode: 240
; IeeeMode: 1
; LDSByteSize: 0 bytes/workgroup (compile time only)
; SGPRBlocks: 0
; VGPRBlocks: 0
; NumSGPRsForWavesPerEU: 4
; NumVGPRsForWavesPerEU: 1
; AccumOffset: 4
; Occupancy: 8
; WaveLimiterHint : 0
; COMPUTE_PGM_RSRC2:SCRATCH_EN: 0
; COMPUTE_PGM_RSRC2:USER_SGPR: 6
; COMPUTE_PGM_RSRC2:TRAP_HANDLER: 0
; COMPUTE_PGM_RSRC2:TGID_X_EN: 1
; COMPUTE_PGM_RSRC2:TGID_Y_EN: 0
; COMPUTE_PGM_RSRC2:TGID_Z_EN: 0
; COMPUTE_PGM_RSRC2:TIDIG_COMP_CNT: 0
; COMPUTE_PGM_RSRC3_GFX90A:ACCUM_OFFSET: 0
; COMPUTE_PGM_RSRC3_GFX90A:TG_SPLIT: 0
	.section	.text._ZN7rocprim17ROCPRIM_400000_NS6detail17trampoline_kernelINS0_14default_configENS1_35radix_sort_onesweep_config_selectorIilEEZNS1_34radix_sort_onesweep_global_offsetsIS3_Lb0EPiN6thrust23THRUST_200600_302600_NS10device_ptrIlEEjNS0_19identity_decomposerEEE10hipError_tT1_T2_PT3_SG_jT4_jjP12ihipStream_tbEUlT_E_NS1_11comp_targetILNS1_3genE6ELNS1_11target_archE950ELNS1_3gpuE13ELNS1_3repE0EEENS1_52radix_sort_onesweep_histogram_config_static_selectorELNS0_4arch9wavefront6targetE1EEEvSE_,"axG",@progbits,_ZN7rocprim17ROCPRIM_400000_NS6detail17trampoline_kernelINS0_14default_configENS1_35radix_sort_onesweep_config_selectorIilEEZNS1_34radix_sort_onesweep_global_offsetsIS3_Lb0EPiN6thrust23THRUST_200600_302600_NS10device_ptrIlEEjNS0_19identity_decomposerEEE10hipError_tT1_T2_PT3_SG_jT4_jjP12ihipStream_tbEUlT_E_NS1_11comp_targetILNS1_3genE6ELNS1_11target_archE950ELNS1_3gpuE13ELNS1_3repE0EEENS1_52radix_sort_onesweep_histogram_config_static_selectorELNS0_4arch9wavefront6targetE1EEEvSE_,comdat
	.protected	_ZN7rocprim17ROCPRIM_400000_NS6detail17trampoline_kernelINS0_14default_configENS1_35radix_sort_onesweep_config_selectorIilEEZNS1_34radix_sort_onesweep_global_offsetsIS3_Lb0EPiN6thrust23THRUST_200600_302600_NS10device_ptrIlEEjNS0_19identity_decomposerEEE10hipError_tT1_T2_PT3_SG_jT4_jjP12ihipStream_tbEUlT_E_NS1_11comp_targetILNS1_3genE6ELNS1_11target_archE950ELNS1_3gpuE13ELNS1_3repE0EEENS1_52radix_sort_onesweep_histogram_config_static_selectorELNS0_4arch9wavefront6targetE1EEEvSE_ ; -- Begin function _ZN7rocprim17ROCPRIM_400000_NS6detail17trampoline_kernelINS0_14default_configENS1_35radix_sort_onesweep_config_selectorIilEEZNS1_34radix_sort_onesweep_global_offsetsIS3_Lb0EPiN6thrust23THRUST_200600_302600_NS10device_ptrIlEEjNS0_19identity_decomposerEEE10hipError_tT1_T2_PT3_SG_jT4_jjP12ihipStream_tbEUlT_E_NS1_11comp_targetILNS1_3genE6ELNS1_11target_archE950ELNS1_3gpuE13ELNS1_3repE0EEENS1_52radix_sort_onesweep_histogram_config_static_selectorELNS0_4arch9wavefront6targetE1EEEvSE_
	.globl	_ZN7rocprim17ROCPRIM_400000_NS6detail17trampoline_kernelINS0_14default_configENS1_35radix_sort_onesweep_config_selectorIilEEZNS1_34radix_sort_onesweep_global_offsetsIS3_Lb0EPiN6thrust23THRUST_200600_302600_NS10device_ptrIlEEjNS0_19identity_decomposerEEE10hipError_tT1_T2_PT3_SG_jT4_jjP12ihipStream_tbEUlT_E_NS1_11comp_targetILNS1_3genE6ELNS1_11target_archE950ELNS1_3gpuE13ELNS1_3repE0EEENS1_52radix_sort_onesweep_histogram_config_static_selectorELNS0_4arch9wavefront6targetE1EEEvSE_
	.p2align	8
	.type	_ZN7rocprim17ROCPRIM_400000_NS6detail17trampoline_kernelINS0_14default_configENS1_35radix_sort_onesweep_config_selectorIilEEZNS1_34radix_sort_onesweep_global_offsetsIS3_Lb0EPiN6thrust23THRUST_200600_302600_NS10device_ptrIlEEjNS0_19identity_decomposerEEE10hipError_tT1_T2_PT3_SG_jT4_jjP12ihipStream_tbEUlT_E_NS1_11comp_targetILNS1_3genE6ELNS1_11target_archE950ELNS1_3gpuE13ELNS1_3repE0EEENS1_52radix_sort_onesweep_histogram_config_static_selectorELNS0_4arch9wavefront6targetE1EEEvSE_,@function
_ZN7rocprim17ROCPRIM_400000_NS6detail17trampoline_kernelINS0_14default_configENS1_35radix_sort_onesweep_config_selectorIilEEZNS1_34radix_sort_onesweep_global_offsetsIS3_Lb0EPiN6thrust23THRUST_200600_302600_NS10device_ptrIlEEjNS0_19identity_decomposerEEE10hipError_tT1_T2_PT3_SG_jT4_jjP12ihipStream_tbEUlT_E_NS1_11comp_targetILNS1_3genE6ELNS1_11target_archE950ELNS1_3gpuE13ELNS1_3repE0EEENS1_52radix_sort_onesweep_histogram_config_static_selectorELNS0_4arch9wavefront6targetE1EEEvSE_: ; @_ZN7rocprim17ROCPRIM_400000_NS6detail17trampoline_kernelINS0_14default_configENS1_35radix_sort_onesweep_config_selectorIilEEZNS1_34radix_sort_onesweep_global_offsetsIS3_Lb0EPiN6thrust23THRUST_200600_302600_NS10device_ptrIlEEjNS0_19identity_decomposerEEE10hipError_tT1_T2_PT3_SG_jT4_jjP12ihipStream_tbEUlT_E_NS1_11comp_targetILNS1_3genE6ELNS1_11target_archE950ELNS1_3gpuE13ELNS1_3repE0EEENS1_52radix_sort_onesweep_histogram_config_static_selectorELNS0_4arch9wavefront6targetE1EEEvSE_
; %bb.0:
	.section	.rodata,"a",@progbits
	.p2align	6, 0x0
	.amdhsa_kernel _ZN7rocprim17ROCPRIM_400000_NS6detail17trampoline_kernelINS0_14default_configENS1_35radix_sort_onesweep_config_selectorIilEEZNS1_34radix_sort_onesweep_global_offsetsIS3_Lb0EPiN6thrust23THRUST_200600_302600_NS10device_ptrIlEEjNS0_19identity_decomposerEEE10hipError_tT1_T2_PT3_SG_jT4_jjP12ihipStream_tbEUlT_E_NS1_11comp_targetILNS1_3genE6ELNS1_11target_archE950ELNS1_3gpuE13ELNS1_3repE0EEENS1_52radix_sort_onesweep_histogram_config_static_selectorELNS0_4arch9wavefront6targetE1EEEvSE_
		.amdhsa_group_segment_fixed_size 0
		.amdhsa_private_segment_fixed_size 0
		.amdhsa_kernarg_size 40
		.amdhsa_user_sgpr_count 6
		.amdhsa_user_sgpr_private_segment_buffer 1
		.amdhsa_user_sgpr_dispatch_ptr 0
		.amdhsa_user_sgpr_queue_ptr 0
		.amdhsa_user_sgpr_kernarg_segment_ptr 1
		.amdhsa_user_sgpr_dispatch_id 0
		.amdhsa_user_sgpr_flat_scratch_init 0
		.amdhsa_user_sgpr_kernarg_preload_length 0
		.amdhsa_user_sgpr_kernarg_preload_offset 0
		.amdhsa_user_sgpr_private_segment_size 0
		.amdhsa_uses_dynamic_stack 0
		.amdhsa_system_sgpr_private_segment_wavefront_offset 0
		.amdhsa_system_sgpr_workgroup_id_x 1
		.amdhsa_system_sgpr_workgroup_id_y 0
		.amdhsa_system_sgpr_workgroup_id_z 0
		.amdhsa_system_sgpr_workgroup_info 0
		.amdhsa_system_vgpr_workitem_id 0
		.amdhsa_next_free_vgpr 1
		.amdhsa_next_free_sgpr 0
		.amdhsa_accum_offset 4
		.amdhsa_reserve_vcc 0
		.amdhsa_reserve_flat_scratch 0
		.amdhsa_float_round_mode_32 0
		.amdhsa_float_round_mode_16_64 0
		.amdhsa_float_denorm_mode_32 3
		.amdhsa_float_denorm_mode_16_64 3
		.amdhsa_dx10_clamp 1
		.amdhsa_ieee_mode 1
		.amdhsa_fp16_overflow 0
		.amdhsa_tg_split 0
		.amdhsa_exception_fp_ieee_invalid_op 0
		.amdhsa_exception_fp_denorm_src 0
		.amdhsa_exception_fp_ieee_div_zero 0
		.amdhsa_exception_fp_ieee_overflow 0
		.amdhsa_exception_fp_ieee_underflow 0
		.amdhsa_exception_fp_ieee_inexact 0
		.amdhsa_exception_int_div_zero 0
	.end_amdhsa_kernel
	.section	.text._ZN7rocprim17ROCPRIM_400000_NS6detail17trampoline_kernelINS0_14default_configENS1_35radix_sort_onesweep_config_selectorIilEEZNS1_34radix_sort_onesweep_global_offsetsIS3_Lb0EPiN6thrust23THRUST_200600_302600_NS10device_ptrIlEEjNS0_19identity_decomposerEEE10hipError_tT1_T2_PT3_SG_jT4_jjP12ihipStream_tbEUlT_E_NS1_11comp_targetILNS1_3genE6ELNS1_11target_archE950ELNS1_3gpuE13ELNS1_3repE0EEENS1_52radix_sort_onesweep_histogram_config_static_selectorELNS0_4arch9wavefront6targetE1EEEvSE_,"axG",@progbits,_ZN7rocprim17ROCPRIM_400000_NS6detail17trampoline_kernelINS0_14default_configENS1_35radix_sort_onesweep_config_selectorIilEEZNS1_34radix_sort_onesweep_global_offsetsIS3_Lb0EPiN6thrust23THRUST_200600_302600_NS10device_ptrIlEEjNS0_19identity_decomposerEEE10hipError_tT1_T2_PT3_SG_jT4_jjP12ihipStream_tbEUlT_E_NS1_11comp_targetILNS1_3genE6ELNS1_11target_archE950ELNS1_3gpuE13ELNS1_3repE0EEENS1_52radix_sort_onesweep_histogram_config_static_selectorELNS0_4arch9wavefront6targetE1EEEvSE_,comdat
.Lfunc_end849:
	.size	_ZN7rocprim17ROCPRIM_400000_NS6detail17trampoline_kernelINS0_14default_configENS1_35radix_sort_onesweep_config_selectorIilEEZNS1_34radix_sort_onesweep_global_offsetsIS3_Lb0EPiN6thrust23THRUST_200600_302600_NS10device_ptrIlEEjNS0_19identity_decomposerEEE10hipError_tT1_T2_PT3_SG_jT4_jjP12ihipStream_tbEUlT_E_NS1_11comp_targetILNS1_3genE6ELNS1_11target_archE950ELNS1_3gpuE13ELNS1_3repE0EEENS1_52radix_sort_onesweep_histogram_config_static_selectorELNS0_4arch9wavefront6targetE1EEEvSE_, .Lfunc_end849-_ZN7rocprim17ROCPRIM_400000_NS6detail17trampoline_kernelINS0_14default_configENS1_35radix_sort_onesweep_config_selectorIilEEZNS1_34radix_sort_onesweep_global_offsetsIS3_Lb0EPiN6thrust23THRUST_200600_302600_NS10device_ptrIlEEjNS0_19identity_decomposerEEE10hipError_tT1_T2_PT3_SG_jT4_jjP12ihipStream_tbEUlT_E_NS1_11comp_targetILNS1_3genE6ELNS1_11target_archE950ELNS1_3gpuE13ELNS1_3repE0EEENS1_52radix_sort_onesweep_histogram_config_static_selectorELNS0_4arch9wavefront6targetE1EEEvSE_
                                        ; -- End function
	.section	.AMDGPU.csdata,"",@progbits
; Kernel info:
; codeLenInByte = 0
; NumSgprs: 4
; NumVgprs: 0
; NumAgprs: 0
; TotalNumVgprs: 0
; ScratchSize: 0
; MemoryBound: 0
; FloatMode: 240
; IeeeMode: 1
; LDSByteSize: 0 bytes/workgroup (compile time only)
; SGPRBlocks: 0
; VGPRBlocks: 0
; NumSGPRsForWavesPerEU: 4
; NumVGPRsForWavesPerEU: 1
; AccumOffset: 4
; Occupancy: 8
; WaveLimiterHint : 0
; COMPUTE_PGM_RSRC2:SCRATCH_EN: 0
; COMPUTE_PGM_RSRC2:USER_SGPR: 6
; COMPUTE_PGM_RSRC2:TRAP_HANDLER: 0
; COMPUTE_PGM_RSRC2:TGID_X_EN: 1
; COMPUTE_PGM_RSRC2:TGID_Y_EN: 0
; COMPUTE_PGM_RSRC2:TGID_Z_EN: 0
; COMPUTE_PGM_RSRC2:TIDIG_COMP_CNT: 0
; COMPUTE_PGM_RSRC3_GFX90A:ACCUM_OFFSET: 0
; COMPUTE_PGM_RSRC3_GFX90A:TG_SPLIT: 0
	.section	.text._ZN7rocprim17ROCPRIM_400000_NS6detail17trampoline_kernelINS0_14default_configENS1_35radix_sort_onesweep_config_selectorIilEEZNS1_34radix_sort_onesweep_global_offsetsIS3_Lb0EPiN6thrust23THRUST_200600_302600_NS10device_ptrIlEEjNS0_19identity_decomposerEEE10hipError_tT1_T2_PT3_SG_jT4_jjP12ihipStream_tbEUlT_E_NS1_11comp_targetILNS1_3genE5ELNS1_11target_archE942ELNS1_3gpuE9ELNS1_3repE0EEENS1_52radix_sort_onesweep_histogram_config_static_selectorELNS0_4arch9wavefront6targetE1EEEvSE_,"axG",@progbits,_ZN7rocprim17ROCPRIM_400000_NS6detail17trampoline_kernelINS0_14default_configENS1_35radix_sort_onesweep_config_selectorIilEEZNS1_34radix_sort_onesweep_global_offsetsIS3_Lb0EPiN6thrust23THRUST_200600_302600_NS10device_ptrIlEEjNS0_19identity_decomposerEEE10hipError_tT1_T2_PT3_SG_jT4_jjP12ihipStream_tbEUlT_E_NS1_11comp_targetILNS1_3genE5ELNS1_11target_archE942ELNS1_3gpuE9ELNS1_3repE0EEENS1_52radix_sort_onesweep_histogram_config_static_selectorELNS0_4arch9wavefront6targetE1EEEvSE_,comdat
	.protected	_ZN7rocprim17ROCPRIM_400000_NS6detail17trampoline_kernelINS0_14default_configENS1_35radix_sort_onesweep_config_selectorIilEEZNS1_34radix_sort_onesweep_global_offsetsIS3_Lb0EPiN6thrust23THRUST_200600_302600_NS10device_ptrIlEEjNS0_19identity_decomposerEEE10hipError_tT1_T2_PT3_SG_jT4_jjP12ihipStream_tbEUlT_E_NS1_11comp_targetILNS1_3genE5ELNS1_11target_archE942ELNS1_3gpuE9ELNS1_3repE0EEENS1_52radix_sort_onesweep_histogram_config_static_selectorELNS0_4arch9wavefront6targetE1EEEvSE_ ; -- Begin function _ZN7rocprim17ROCPRIM_400000_NS6detail17trampoline_kernelINS0_14default_configENS1_35radix_sort_onesweep_config_selectorIilEEZNS1_34radix_sort_onesweep_global_offsetsIS3_Lb0EPiN6thrust23THRUST_200600_302600_NS10device_ptrIlEEjNS0_19identity_decomposerEEE10hipError_tT1_T2_PT3_SG_jT4_jjP12ihipStream_tbEUlT_E_NS1_11comp_targetILNS1_3genE5ELNS1_11target_archE942ELNS1_3gpuE9ELNS1_3repE0EEENS1_52radix_sort_onesweep_histogram_config_static_selectorELNS0_4arch9wavefront6targetE1EEEvSE_
	.globl	_ZN7rocprim17ROCPRIM_400000_NS6detail17trampoline_kernelINS0_14default_configENS1_35radix_sort_onesweep_config_selectorIilEEZNS1_34radix_sort_onesweep_global_offsetsIS3_Lb0EPiN6thrust23THRUST_200600_302600_NS10device_ptrIlEEjNS0_19identity_decomposerEEE10hipError_tT1_T2_PT3_SG_jT4_jjP12ihipStream_tbEUlT_E_NS1_11comp_targetILNS1_3genE5ELNS1_11target_archE942ELNS1_3gpuE9ELNS1_3repE0EEENS1_52radix_sort_onesweep_histogram_config_static_selectorELNS0_4arch9wavefront6targetE1EEEvSE_
	.p2align	8
	.type	_ZN7rocprim17ROCPRIM_400000_NS6detail17trampoline_kernelINS0_14default_configENS1_35radix_sort_onesweep_config_selectorIilEEZNS1_34radix_sort_onesweep_global_offsetsIS3_Lb0EPiN6thrust23THRUST_200600_302600_NS10device_ptrIlEEjNS0_19identity_decomposerEEE10hipError_tT1_T2_PT3_SG_jT4_jjP12ihipStream_tbEUlT_E_NS1_11comp_targetILNS1_3genE5ELNS1_11target_archE942ELNS1_3gpuE9ELNS1_3repE0EEENS1_52radix_sort_onesweep_histogram_config_static_selectorELNS0_4arch9wavefront6targetE1EEEvSE_,@function
_ZN7rocprim17ROCPRIM_400000_NS6detail17trampoline_kernelINS0_14default_configENS1_35radix_sort_onesweep_config_selectorIilEEZNS1_34radix_sort_onesweep_global_offsetsIS3_Lb0EPiN6thrust23THRUST_200600_302600_NS10device_ptrIlEEjNS0_19identity_decomposerEEE10hipError_tT1_T2_PT3_SG_jT4_jjP12ihipStream_tbEUlT_E_NS1_11comp_targetILNS1_3genE5ELNS1_11target_archE942ELNS1_3gpuE9ELNS1_3repE0EEENS1_52radix_sort_onesweep_histogram_config_static_selectorELNS0_4arch9wavefront6targetE1EEEvSE_: ; @_ZN7rocprim17ROCPRIM_400000_NS6detail17trampoline_kernelINS0_14default_configENS1_35radix_sort_onesweep_config_selectorIilEEZNS1_34radix_sort_onesweep_global_offsetsIS3_Lb0EPiN6thrust23THRUST_200600_302600_NS10device_ptrIlEEjNS0_19identity_decomposerEEE10hipError_tT1_T2_PT3_SG_jT4_jjP12ihipStream_tbEUlT_E_NS1_11comp_targetILNS1_3genE5ELNS1_11target_archE942ELNS1_3gpuE9ELNS1_3repE0EEENS1_52radix_sort_onesweep_histogram_config_static_selectorELNS0_4arch9wavefront6targetE1EEEvSE_
; %bb.0:
	.section	.rodata,"a",@progbits
	.p2align	6, 0x0
	.amdhsa_kernel _ZN7rocprim17ROCPRIM_400000_NS6detail17trampoline_kernelINS0_14default_configENS1_35radix_sort_onesweep_config_selectorIilEEZNS1_34radix_sort_onesweep_global_offsetsIS3_Lb0EPiN6thrust23THRUST_200600_302600_NS10device_ptrIlEEjNS0_19identity_decomposerEEE10hipError_tT1_T2_PT3_SG_jT4_jjP12ihipStream_tbEUlT_E_NS1_11comp_targetILNS1_3genE5ELNS1_11target_archE942ELNS1_3gpuE9ELNS1_3repE0EEENS1_52radix_sort_onesweep_histogram_config_static_selectorELNS0_4arch9wavefront6targetE1EEEvSE_
		.amdhsa_group_segment_fixed_size 0
		.amdhsa_private_segment_fixed_size 0
		.amdhsa_kernarg_size 40
		.amdhsa_user_sgpr_count 6
		.amdhsa_user_sgpr_private_segment_buffer 1
		.amdhsa_user_sgpr_dispatch_ptr 0
		.amdhsa_user_sgpr_queue_ptr 0
		.amdhsa_user_sgpr_kernarg_segment_ptr 1
		.amdhsa_user_sgpr_dispatch_id 0
		.amdhsa_user_sgpr_flat_scratch_init 0
		.amdhsa_user_sgpr_kernarg_preload_length 0
		.amdhsa_user_sgpr_kernarg_preload_offset 0
		.amdhsa_user_sgpr_private_segment_size 0
		.amdhsa_uses_dynamic_stack 0
		.amdhsa_system_sgpr_private_segment_wavefront_offset 0
		.amdhsa_system_sgpr_workgroup_id_x 1
		.amdhsa_system_sgpr_workgroup_id_y 0
		.amdhsa_system_sgpr_workgroup_id_z 0
		.amdhsa_system_sgpr_workgroup_info 0
		.amdhsa_system_vgpr_workitem_id 0
		.amdhsa_next_free_vgpr 1
		.amdhsa_next_free_sgpr 0
		.amdhsa_accum_offset 4
		.amdhsa_reserve_vcc 0
		.amdhsa_reserve_flat_scratch 0
		.amdhsa_float_round_mode_32 0
		.amdhsa_float_round_mode_16_64 0
		.amdhsa_float_denorm_mode_32 3
		.amdhsa_float_denorm_mode_16_64 3
		.amdhsa_dx10_clamp 1
		.amdhsa_ieee_mode 1
		.amdhsa_fp16_overflow 0
		.amdhsa_tg_split 0
		.amdhsa_exception_fp_ieee_invalid_op 0
		.amdhsa_exception_fp_denorm_src 0
		.amdhsa_exception_fp_ieee_div_zero 0
		.amdhsa_exception_fp_ieee_overflow 0
		.amdhsa_exception_fp_ieee_underflow 0
		.amdhsa_exception_fp_ieee_inexact 0
		.amdhsa_exception_int_div_zero 0
	.end_amdhsa_kernel
	.section	.text._ZN7rocprim17ROCPRIM_400000_NS6detail17trampoline_kernelINS0_14default_configENS1_35radix_sort_onesweep_config_selectorIilEEZNS1_34radix_sort_onesweep_global_offsetsIS3_Lb0EPiN6thrust23THRUST_200600_302600_NS10device_ptrIlEEjNS0_19identity_decomposerEEE10hipError_tT1_T2_PT3_SG_jT4_jjP12ihipStream_tbEUlT_E_NS1_11comp_targetILNS1_3genE5ELNS1_11target_archE942ELNS1_3gpuE9ELNS1_3repE0EEENS1_52radix_sort_onesweep_histogram_config_static_selectorELNS0_4arch9wavefront6targetE1EEEvSE_,"axG",@progbits,_ZN7rocprim17ROCPRIM_400000_NS6detail17trampoline_kernelINS0_14default_configENS1_35radix_sort_onesweep_config_selectorIilEEZNS1_34radix_sort_onesweep_global_offsetsIS3_Lb0EPiN6thrust23THRUST_200600_302600_NS10device_ptrIlEEjNS0_19identity_decomposerEEE10hipError_tT1_T2_PT3_SG_jT4_jjP12ihipStream_tbEUlT_E_NS1_11comp_targetILNS1_3genE5ELNS1_11target_archE942ELNS1_3gpuE9ELNS1_3repE0EEENS1_52radix_sort_onesweep_histogram_config_static_selectorELNS0_4arch9wavefront6targetE1EEEvSE_,comdat
.Lfunc_end850:
	.size	_ZN7rocprim17ROCPRIM_400000_NS6detail17trampoline_kernelINS0_14default_configENS1_35radix_sort_onesweep_config_selectorIilEEZNS1_34radix_sort_onesweep_global_offsetsIS3_Lb0EPiN6thrust23THRUST_200600_302600_NS10device_ptrIlEEjNS0_19identity_decomposerEEE10hipError_tT1_T2_PT3_SG_jT4_jjP12ihipStream_tbEUlT_E_NS1_11comp_targetILNS1_3genE5ELNS1_11target_archE942ELNS1_3gpuE9ELNS1_3repE0EEENS1_52radix_sort_onesweep_histogram_config_static_selectorELNS0_4arch9wavefront6targetE1EEEvSE_, .Lfunc_end850-_ZN7rocprim17ROCPRIM_400000_NS6detail17trampoline_kernelINS0_14default_configENS1_35radix_sort_onesweep_config_selectorIilEEZNS1_34radix_sort_onesweep_global_offsetsIS3_Lb0EPiN6thrust23THRUST_200600_302600_NS10device_ptrIlEEjNS0_19identity_decomposerEEE10hipError_tT1_T2_PT3_SG_jT4_jjP12ihipStream_tbEUlT_E_NS1_11comp_targetILNS1_3genE5ELNS1_11target_archE942ELNS1_3gpuE9ELNS1_3repE0EEENS1_52radix_sort_onesweep_histogram_config_static_selectorELNS0_4arch9wavefront6targetE1EEEvSE_
                                        ; -- End function
	.section	.AMDGPU.csdata,"",@progbits
; Kernel info:
; codeLenInByte = 0
; NumSgprs: 4
; NumVgprs: 0
; NumAgprs: 0
; TotalNumVgprs: 0
; ScratchSize: 0
; MemoryBound: 0
; FloatMode: 240
; IeeeMode: 1
; LDSByteSize: 0 bytes/workgroup (compile time only)
; SGPRBlocks: 0
; VGPRBlocks: 0
; NumSGPRsForWavesPerEU: 4
; NumVGPRsForWavesPerEU: 1
; AccumOffset: 4
; Occupancy: 8
; WaveLimiterHint : 0
; COMPUTE_PGM_RSRC2:SCRATCH_EN: 0
; COMPUTE_PGM_RSRC2:USER_SGPR: 6
; COMPUTE_PGM_RSRC2:TRAP_HANDLER: 0
; COMPUTE_PGM_RSRC2:TGID_X_EN: 1
; COMPUTE_PGM_RSRC2:TGID_Y_EN: 0
; COMPUTE_PGM_RSRC2:TGID_Z_EN: 0
; COMPUTE_PGM_RSRC2:TIDIG_COMP_CNT: 0
; COMPUTE_PGM_RSRC3_GFX90A:ACCUM_OFFSET: 0
; COMPUTE_PGM_RSRC3_GFX90A:TG_SPLIT: 0
	.section	.text._ZN7rocprim17ROCPRIM_400000_NS6detail17trampoline_kernelINS0_14default_configENS1_35radix_sort_onesweep_config_selectorIilEEZNS1_34radix_sort_onesweep_global_offsetsIS3_Lb0EPiN6thrust23THRUST_200600_302600_NS10device_ptrIlEEjNS0_19identity_decomposerEEE10hipError_tT1_T2_PT3_SG_jT4_jjP12ihipStream_tbEUlT_E_NS1_11comp_targetILNS1_3genE2ELNS1_11target_archE906ELNS1_3gpuE6ELNS1_3repE0EEENS1_52radix_sort_onesweep_histogram_config_static_selectorELNS0_4arch9wavefront6targetE1EEEvSE_,"axG",@progbits,_ZN7rocprim17ROCPRIM_400000_NS6detail17trampoline_kernelINS0_14default_configENS1_35radix_sort_onesweep_config_selectorIilEEZNS1_34radix_sort_onesweep_global_offsetsIS3_Lb0EPiN6thrust23THRUST_200600_302600_NS10device_ptrIlEEjNS0_19identity_decomposerEEE10hipError_tT1_T2_PT3_SG_jT4_jjP12ihipStream_tbEUlT_E_NS1_11comp_targetILNS1_3genE2ELNS1_11target_archE906ELNS1_3gpuE6ELNS1_3repE0EEENS1_52radix_sort_onesweep_histogram_config_static_selectorELNS0_4arch9wavefront6targetE1EEEvSE_,comdat
	.protected	_ZN7rocprim17ROCPRIM_400000_NS6detail17trampoline_kernelINS0_14default_configENS1_35radix_sort_onesweep_config_selectorIilEEZNS1_34radix_sort_onesweep_global_offsetsIS3_Lb0EPiN6thrust23THRUST_200600_302600_NS10device_ptrIlEEjNS0_19identity_decomposerEEE10hipError_tT1_T2_PT3_SG_jT4_jjP12ihipStream_tbEUlT_E_NS1_11comp_targetILNS1_3genE2ELNS1_11target_archE906ELNS1_3gpuE6ELNS1_3repE0EEENS1_52radix_sort_onesweep_histogram_config_static_selectorELNS0_4arch9wavefront6targetE1EEEvSE_ ; -- Begin function _ZN7rocprim17ROCPRIM_400000_NS6detail17trampoline_kernelINS0_14default_configENS1_35radix_sort_onesweep_config_selectorIilEEZNS1_34radix_sort_onesweep_global_offsetsIS3_Lb0EPiN6thrust23THRUST_200600_302600_NS10device_ptrIlEEjNS0_19identity_decomposerEEE10hipError_tT1_T2_PT3_SG_jT4_jjP12ihipStream_tbEUlT_E_NS1_11comp_targetILNS1_3genE2ELNS1_11target_archE906ELNS1_3gpuE6ELNS1_3repE0EEENS1_52radix_sort_onesweep_histogram_config_static_selectorELNS0_4arch9wavefront6targetE1EEEvSE_
	.globl	_ZN7rocprim17ROCPRIM_400000_NS6detail17trampoline_kernelINS0_14default_configENS1_35radix_sort_onesweep_config_selectorIilEEZNS1_34radix_sort_onesweep_global_offsetsIS3_Lb0EPiN6thrust23THRUST_200600_302600_NS10device_ptrIlEEjNS0_19identity_decomposerEEE10hipError_tT1_T2_PT3_SG_jT4_jjP12ihipStream_tbEUlT_E_NS1_11comp_targetILNS1_3genE2ELNS1_11target_archE906ELNS1_3gpuE6ELNS1_3repE0EEENS1_52radix_sort_onesweep_histogram_config_static_selectorELNS0_4arch9wavefront6targetE1EEEvSE_
	.p2align	8
	.type	_ZN7rocprim17ROCPRIM_400000_NS6detail17trampoline_kernelINS0_14default_configENS1_35radix_sort_onesweep_config_selectorIilEEZNS1_34radix_sort_onesweep_global_offsetsIS3_Lb0EPiN6thrust23THRUST_200600_302600_NS10device_ptrIlEEjNS0_19identity_decomposerEEE10hipError_tT1_T2_PT3_SG_jT4_jjP12ihipStream_tbEUlT_E_NS1_11comp_targetILNS1_3genE2ELNS1_11target_archE906ELNS1_3gpuE6ELNS1_3repE0EEENS1_52radix_sort_onesweep_histogram_config_static_selectorELNS0_4arch9wavefront6targetE1EEEvSE_,@function
_ZN7rocprim17ROCPRIM_400000_NS6detail17trampoline_kernelINS0_14default_configENS1_35radix_sort_onesweep_config_selectorIilEEZNS1_34radix_sort_onesweep_global_offsetsIS3_Lb0EPiN6thrust23THRUST_200600_302600_NS10device_ptrIlEEjNS0_19identity_decomposerEEE10hipError_tT1_T2_PT3_SG_jT4_jjP12ihipStream_tbEUlT_E_NS1_11comp_targetILNS1_3genE2ELNS1_11target_archE906ELNS1_3gpuE6ELNS1_3repE0EEENS1_52radix_sort_onesweep_histogram_config_static_selectorELNS0_4arch9wavefront6targetE1EEEvSE_: ; @_ZN7rocprim17ROCPRIM_400000_NS6detail17trampoline_kernelINS0_14default_configENS1_35radix_sort_onesweep_config_selectorIilEEZNS1_34radix_sort_onesweep_global_offsetsIS3_Lb0EPiN6thrust23THRUST_200600_302600_NS10device_ptrIlEEjNS0_19identity_decomposerEEE10hipError_tT1_T2_PT3_SG_jT4_jjP12ihipStream_tbEUlT_E_NS1_11comp_targetILNS1_3genE2ELNS1_11target_archE906ELNS1_3gpuE6ELNS1_3repE0EEENS1_52radix_sort_onesweep_histogram_config_static_selectorELNS0_4arch9wavefront6targetE1EEEvSE_
; %bb.0:
	.section	.rodata,"a",@progbits
	.p2align	6, 0x0
	.amdhsa_kernel _ZN7rocprim17ROCPRIM_400000_NS6detail17trampoline_kernelINS0_14default_configENS1_35radix_sort_onesweep_config_selectorIilEEZNS1_34radix_sort_onesweep_global_offsetsIS3_Lb0EPiN6thrust23THRUST_200600_302600_NS10device_ptrIlEEjNS0_19identity_decomposerEEE10hipError_tT1_T2_PT3_SG_jT4_jjP12ihipStream_tbEUlT_E_NS1_11comp_targetILNS1_3genE2ELNS1_11target_archE906ELNS1_3gpuE6ELNS1_3repE0EEENS1_52radix_sort_onesweep_histogram_config_static_selectorELNS0_4arch9wavefront6targetE1EEEvSE_
		.amdhsa_group_segment_fixed_size 0
		.amdhsa_private_segment_fixed_size 0
		.amdhsa_kernarg_size 40
		.amdhsa_user_sgpr_count 6
		.amdhsa_user_sgpr_private_segment_buffer 1
		.amdhsa_user_sgpr_dispatch_ptr 0
		.amdhsa_user_sgpr_queue_ptr 0
		.amdhsa_user_sgpr_kernarg_segment_ptr 1
		.amdhsa_user_sgpr_dispatch_id 0
		.amdhsa_user_sgpr_flat_scratch_init 0
		.amdhsa_user_sgpr_kernarg_preload_length 0
		.amdhsa_user_sgpr_kernarg_preload_offset 0
		.amdhsa_user_sgpr_private_segment_size 0
		.amdhsa_uses_dynamic_stack 0
		.amdhsa_system_sgpr_private_segment_wavefront_offset 0
		.amdhsa_system_sgpr_workgroup_id_x 1
		.amdhsa_system_sgpr_workgroup_id_y 0
		.amdhsa_system_sgpr_workgroup_id_z 0
		.amdhsa_system_sgpr_workgroup_info 0
		.amdhsa_system_vgpr_workitem_id 0
		.amdhsa_next_free_vgpr 1
		.amdhsa_next_free_sgpr 0
		.amdhsa_accum_offset 4
		.amdhsa_reserve_vcc 0
		.amdhsa_reserve_flat_scratch 0
		.amdhsa_float_round_mode_32 0
		.amdhsa_float_round_mode_16_64 0
		.amdhsa_float_denorm_mode_32 3
		.amdhsa_float_denorm_mode_16_64 3
		.amdhsa_dx10_clamp 1
		.amdhsa_ieee_mode 1
		.amdhsa_fp16_overflow 0
		.amdhsa_tg_split 0
		.amdhsa_exception_fp_ieee_invalid_op 0
		.amdhsa_exception_fp_denorm_src 0
		.amdhsa_exception_fp_ieee_div_zero 0
		.amdhsa_exception_fp_ieee_overflow 0
		.amdhsa_exception_fp_ieee_underflow 0
		.amdhsa_exception_fp_ieee_inexact 0
		.amdhsa_exception_int_div_zero 0
	.end_amdhsa_kernel
	.section	.text._ZN7rocprim17ROCPRIM_400000_NS6detail17trampoline_kernelINS0_14default_configENS1_35radix_sort_onesweep_config_selectorIilEEZNS1_34radix_sort_onesweep_global_offsetsIS3_Lb0EPiN6thrust23THRUST_200600_302600_NS10device_ptrIlEEjNS0_19identity_decomposerEEE10hipError_tT1_T2_PT3_SG_jT4_jjP12ihipStream_tbEUlT_E_NS1_11comp_targetILNS1_3genE2ELNS1_11target_archE906ELNS1_3gpuE6ELNS1_3repE0EEENS1_52radix_sort_onesweep_histogram_config_static_selectorELNS0_4arch9wavefront6targetE1EEEvSE_,"axG",@progbits,_ZN7rocprim17ROCPRIM_400000_NS6detail17trampoline_kernelINS0_14default_configENS1_35radix_sort_onesweep_config_selectorIilEEZNS1_34radix_sort_onesweep_global_offsetsIS3_Lb0EPiN6thrust23THRUST_200600_302600_NS10device_ptrIlEEjNS0_19identity_decomposerEEE10hipError_tT1_T2_PT3_SG_jT4_jjP12ihipStream_tbEUlT_E_NS1_11comp_targetILNS1_3genE2ELNS1_11target_archE906ELNS1_3gpuE6ELNS1_3repE0EEENS1_52radix_sort_onesweep_histogram_config_static_selectorELNS0_4arch9wavefront6targetE1EEEvSE_,comdat
.Lfunc_end851:
	.size	_ZN7rocprim17ROCPRIM_400000_NS6detail17trampoline_kernelINS0_14default_configENS1_35radix_sort_onesweep_config_selectorIilEEZNS1_34radix_sort_onesweep_global_offsetsIS3_Lb0EPiN6thrust23THRUST_200600_302600_NS10device_ptrIlEEjNS0_19identity_decomposerEEE10hipError_tT1_T2_PT3_SG_jT4_jjP12ihipStream_tbEUlT_E_NS1_11comp_targetILNS1_3genE2ELNS1_11target_archE906ELNS1_3gpuE6ELNS1_3repE0EEENS1_52radix_sort_onesweep_histogram_config_static_selectorELNS0_4arch9wavefront6targetE1EEEvSE_, .Lfunc_end851-_ZN7rocprim17ROCPRIM_400000_NS6detail17trampoline_kernelINS0_14default_configENS1_35radix_sort_onesweep_config_selectorIilEEZNS1_34radix_sort_onesweep_global_offsetsIS3_Lb0EPiN6thrust23THRUST_200600_302600_NS10device_ptrIlEEjNS0_19identity_decomposerEEE10hipError_tT1_T2_PT3_SG_jT4_jjP12ihipStream_tbEUlT_E_NS1_11comp_targetILNS1_3genE2ELNS1_11target_archE906ELNS1_3gpuE6ELNS1_3repE0EEENS1_52radix_sort_onesweep_histogram_config_static_selectorELNS0_4arch9wavefront6targetE1EEEvSE_
                                        ; -- End function
	.section	.AMDGPU.csdata,"",@progbits
; Kernel info:
; codeLenInByte = 0
; NumSgprs: 4
; NumVgprs: 0
; NumAgprs: 0
; TotalNumVgprs: 0
; ScratchSize: 0
; MemoryBound: 0
; FloatMode: 240
; IeeeMode: 1
; LDSByteSize: 0 bytes/workgroup (compile time only)
; SGPRBlocks: 0
; VGPRBlocks: 0
; NumSGPRsForWavesPerEU: 4
; NumVGPRsForWavesPerEU: 1
; AccumOffset: 4
; Occupancy: 8
; WaveLimiterHint : 0
; COMPUTE_PGM_RSRC2:SCRATCH_EN: 0
; COMPUTE_PGM_RSRC2:USER_SGPR: 6
; COMPUTE_PGM_RSRC2:TRAP_HANDLER: 0
; COMPUTE_PGM_RSRC2:TGID_X_EN: 1
; COMPUTE_PGM_RSRC2:TGID_Y_EN: 0
; COMPUTE_PGM_RSRC2:TGID_Z_EN: 0
; COMPUTE_PGM_RSRC2:TIDIG_COMP_CNT: 0
; COMPUTE_PGM_RSRC3_GFX90A:ACCUM_OFFSET: 0
; COMPUTE_PGM_RSRC3_GFX90A:TG_SPLIT: 0
	.section	.text._ZN7rocprim17ROCPRIM_400000_NS6detail17trampoline_kernelINS0_14default_configENS1_35radix_sort_onesweep_config_selectorIilEEZNS1_34radix_sort_onesweep_global_offsetsIS3_Lb0EPiN6thrust23THRUST_200600_302600_NS10device_ptrIlEEjNS0_19identity_decomposerEEE10hipError_tT1_T2_PT3_SG_jT4_jjP12ihipStream_tbEUlT_E_NS1_11comp_targetILNS1_3genE4ELNS1_11target_archE910ELNS1_3gpuE8ELNS1_3repE0EEENS1_52radix_sort_onesweep_histogram_config_static_selectorELNS0_4arch9wavefront6targetE1EEEvSE_,"axG",@progbits,_ZN7rocprim17ROCPRIM_400000_NS6detail17trampoline_kernelINS0_14default_configENS1_35radix_sort_onesweep_config_selectorIilEEZNS1_34radix_sort_onesweep_global_offsetsIS3_Lb0EPiN6thrust23THRUST_200600_302600_NS10device_ptrIlEEjNS0_19identity_decomposerEEE10hipError_tT1_T2_PT3_SG_jT4_jjP12ihipStream_tbEUlT_E_NS1_11comp_targetILNS1_3genE4ELNS1_11target_archE910ELNS1_3gpuE8ELNS1_3repE0EEENS1_52radix_sort_onesweep_histogram_config_static_selectorELNS0_4arch9wavefront6targetE1EEEvSE_,comdat
	.protected	_ZN7rocprim17ROCPRIM_400000_NS6detail17trampoline_kernelINS0_14default_configENS1_35radix_sort_onesweep_config_selectorIilEEZNS1_34radix_sort_onesweep_global_offsetsIS3_Lb0EPiN6thrust23THRUST_200600_302600_NS10device_ptrIlEEjNS0_19identity_decomposerEEE10hipError_tT1_T2_PT3_SG_jT4_jjP12ihipStream_tbEUlT_E_NS1_11comp_targetILNS1_3genE4ELNS1_11target_archE910ELNS1_3gpuE8ELNS1_3repE0EEENS1_52radix_sort_onesweep_histogram_config_static_selectorELNS0_4arch9wavefront6targetE1EEEvSE_ ; -- Begin function _ZN7rocprim17ROCPRIM_400000_NS6detail17trampoline_kernelINS0_14default_configENS1_35radix_sort_onesweep_config_selectorIilEEZNS1_34radix_sort_onesweep_global_offsetsIS3_Lb0EPiN6thrust23THRUST_200600_302600_NS10device_ptrIlEEjNS0_19identity_decomposerEEE10hipError_tT1_T2_PT3_SG_jT4_jjP12ihipStream_tbEUlT_E_NS1_11comp_targetILNS1_3genE4ELNS1_11target_archE910ELNS1_3gpuE8ELNS1_3repE0EEENS1_52radix_sort_onesweep_histogram_config_static_selectorELNS0_4arch9wavefront6targetE1EEEvSE_
	.globl	_ZN7rocprim17ROCPRIM_400000_NS6detail17trampoline_kernelINS0_14default_configENS1_35radix_sort_onesweep_config_selectorIilEEZNS1_34radix_sort_onesweep_global_offsetsIS3_Lb0EPiN6thrust23THRUST_200600_302600_NS10device_ptrIlEEjNS0_19identity_decomposerEEE10hipError_tT1_T2_PT3_SG_jT4_jjP12ihipStream_tbEUlT_E_NS1_11comp_targetILNS1_3genE4ELNS1_11target_archE910ELNS1_3gpuE8ELNS1_3repE0EEENS1_52radix_sort_onesweep_histogram_config_static_selectorELNS0_4arch9wavefront6targetE1EEEvSE_
	.p2align	8
	.type	_ZN7rocprim17ROCPRIM_400000_NS6detail17trampoline_kernelINS0_14default_configENS1_35radix_sort_onesweep_config_selectorIilEEZNS1_34radix_sort_onesweep_global_offsetsIS3_Lb0EPiN6thrust23THRUST_200600_302600_NS10device_ptrIlEEjNS0_19identity_decomposerEEE10hipError_tT1_T2_PT3_SG_jT4_jjP12ihipStream_tbEUlT_E_NS1_11comp_targetILNS1_3genE4ELNS1_11target_archE910ELNS1_3gpuE8ELNS1_3repE0EEENS1_52radix_sort_onesweep_histogram_config_static_selectorELNS0_4arch9wavefront6targetE1EEEvSE_,@function
_ZN7rocprim17ROCPRIM_400000_NS6detail17trampoline_kernelINS0_14default_configENS1_35radix_sort_onesweep_config_selectorIilEEZNS1_34radix_sort_onesweep_global_offsetsIS3_Lb0EPiN6thrust23THRUST_200600_302600_NS10device_ptrIlEEjNS0_19identity_decomposerEEE10hipError_tT1_T2_PT3_SG_jT4_jjP12ihipStream_tbEUlT_E_NS1_11comp_targetILNS1_3genE4ELNS1_11target_archE910ELNS1_3gpuE8ELNS1_3repE0EEENS1_52radix_sort_onesweep_histogram_config_static_selectorELNS0_4arch9wavefront6targetE1EEEvSE_: ; @_ZN7rocprim17ROCPRIM_400000_NS6detail17trampoline_kernelINS0_14default_configENS1_35radix_sort_onesweep_config_selectorIilEEZNS1_34radix_sort_onesweep_global_offsetsIS3_Lb0EPiN6thrust23THRUST_200600_302600_NS10device_ptrIlEEjNS0_19identity_decomposerEEE10hipError_tT1_T2_PT3_SG_jT4_jjP12ihipStream_tbEUlT_E_NS1_11comp_targetILNS1_3genE4ELNS1_11target_archE910ELNS1_3gpuE8ELNS1_3repE0EEENS1_52radix_sort_onesweep_histogram_config_static_selectorELNS0_4arch9wavefront6targetE1EEEvSE_
; %bb.0:
	s_load_dword s7, s[4:5], 0x14
	s_load_dwordx4 s[8:11], s[4:5], 0x0
	s_load_dwordx2 s[2:3], s[4:5], 0x1c
	s_lshl_b32 s12, s6, 13
	s_mov_b64 s[0:1], -1
	s_waitcnt lgkmcnt(0)
	s_cmp_ge_u32 s6, s7
	s_cbranch_scc0 .LBB852_319
; %bb.1:
	s_load_dword s4, s[4:5], 0x10
	s_lshl_b32 s5, s7, 13
	s_mov_b32 s13, 0
	s_lshl_b64 s[0:1], s[12:13], 2
                                        ; implicit-def: $vgpr32
	s_waitcnt lgkmcnt(0)
	s_sub_i32 s13, s4, s5
	s_add_u32 s0, s8, s0
	s_addc_u32 s1, s9, s1
	v_cmp_gt_u32_e32 vcc, s13, v0
	s_and_saveexec_b64 s[4:5], vcc
	s_cbranch_execz .LBB852_3
; %bb.2:
	v_lshlrev_b32_e32 v1, 2, v0
	global_load_dword v32, v1, s[0:1]
.LBB852_3:
	s_or_b64 exec, exec, s[4:5]
	v_or_b32_e32 v30, 0x200, v0
	v_cmp_gt_u32_e32 vcc, s13, v30
                                        ; implicit-def: $vgpr31
	s_and_saveexec_b64 s[4:5], vcc
	s_cbranch_execz .LBB852_5
; %bb.4:
	v_lshlrev_b32_e32 v1, 2, v0
	global_load_dword v31, v1, s[0:1] offset:2048
.LBB852_5:
	s_or_b64 exec, exec, s[4:5]
	v_or_b32_e32 v28, 0x400, v0
	v_cmp_gt_u32_e32 vcc, s13, v28
                                        ; implicit-def: $vgpr29
	s_and_saveexec_b64 s[4:5], vcc
	s_cbranch_execz .LBB852_7
; %bb.6:
	v_lshlrev_b32_e32 v1, 2, v28
	global_load_dword v29, v1, s[0:1]
.LBB852_7:
	s_or_b64 exec, exec, s[4:5]
	v_or_b32_e32 v26, 0x600, v0
	v_cmp_gt_u32_e32 vcc, s13, v26
                                        ; implicit-def: $vgpr27
	s_and_saveexec_b64 s[4:5], vcc
	s_cbranch_execz .LBB852_9
; %bb.8:
	v_lshlrev_b32_e32 v1, 2, v26
	global_load_dword v27, v1, s[0:1]
.LBB852_9:
	s_or_b64 exec, exec, s[4:5]
	v_or_b32_e32 v24, 0x800, v0
	v_cmp_gt_u32_e32 vcc, s13, v24
                                        ; implicit-def: $vgpr25
	s_and_saveexec_b64 s[4:5], vcc
	s_cbranch_execz .LBB852_11
; %bb.10:
	v_lshlrev_b32_e32 v1, 2, v24
	global_load_dword v25, v1, s[0:1]
.LBB852_11:
	s_or_b64 exec, exec, s[4:5]
	v_or_b32_e32 v22, 0xa00, v0
	v_cmp_gt_u32_e32 vcc, s13, v22
                                        ; implicit-def: $vgpr23
	s_and_saveexec_b64 s[4:5], vcc
	s_cbranch_execz .LBB852_13
; %bb.12:
	v_lshlrev_b32_e32 v1, 2, v22
	global_load_dword v23, v1, s[0:1]
.LBB852_13:
	s_or_b64 exec, exec, s[4:5]
	v_or_b32_e32 v20, 0xc00, v0
	v_cmp_gt_u32_e32 vcc, s13, v20
                                        ; implicit-def: $vgpr21
	s_and_saveexec_b64 s[4:5], vcc
	s_cbranch_execz .LBB852_15
; %bb.14:
	v_lshlrev_b32_e32 v1, 2, v20
	global_load_dword v21, v1, s[0:1]
.LBB852_15:
	s_or_b64 exec, exec, s[4:5]
	v_or_b32_e32 v18, 0xe00, v0
	v_cmp_gt_u32_e32 vcc, s13, v18
                                        ; implicit-def: $vgpr19
	s_and_saveexec_b64 s[4:5], vcc
	s_cbranch_execz .LBB852_17
; %bb.16:
	v_lshlrev_b32_e32 v1, 2, v18
	global_load_dword v19, v1, s[0:1]
.LBB852_17:
	s_or_b64 exec, exec, s[4:5]
	v_or_b32_e32 v16, 0x1000, v0
	v_cmp_gt_u32_e32 vcc, s13, v16
                                        ; implicit-def: $vgpr17
	s_and_saveexec_b64 s[4:5], vcc
	s_cbranch_execz .LBB852_19
; %bb.18:
	v_lshlrev_b32_e32 v1, 2, v16
	global_load_dword v17, v1, s[0:1]
.LBB852_19:
	s_or_b64 exec, exec, s[4:5]
	v_or_b32_e32 v14, 0x1200, v0
	v_cmp_gt_u32_e32 vcc, s13, v14
                                        ; implicit-def: $vgpr15
	s_and_saveexec_b64 s[4:5], vcc
	s_cbranch_execz .LBB852_21
; %bb.20:
	v_lshlrev_b32_e32 v1, 2, v14
	global_load_dword v15, v1, s[0:1]
.LBB852_21:
	s_or_b64 exec, exec, s[4:5]
	v_or_b32_e32 v12, 0x1400, v0
	v_cmp_gt_u32_e32 vcc, s13, v12
                                        ; implicit-def: $vgpr13
	s_and_saveexec_b64 s[4:5], vcc
	s_cbranch_execz .LBB852_23
; %bb.22:
	v_lshlrev_b32_e32 v1, 2, v12
	global_load_dword v13, v1, s[0:1]
.LBB852_23:
	s_or_b64 exec, exec, s[4:5]
	v_or_b32_e32 v10, 0x1600, v0
	v_cmp_gt_u32_e32 vcc, s13, v10
                                        ; implicit-def: $vgpr11
	s_and_saveexec_b64 s[4:5], vcc
	s_cbranch_execz .LBB852_25
; %bb.24:
	v_lshlrev_b32_e32 v1, 2, v10
	global_load_dword v11, v1, s[0:1]
.LBB852_25:
	s_or_b64 exec, exec, s[4:5]
	v_or_b32_e32 v8, 0x1800, v0
	v_cmp_gt_u32_e32 vcc, s13, v8
                                        ; implicit-def: $vgpr9
	s_and_saveexec_b64 s[4:5], vcc
	s_cbranch_execz .LBB852_27
; %bb.26:
	v_lshlrev_b32_e32 v1, 2, v8
	global_load_dword v9, v1, s[0:1]
.LBB852_27:
	s_or_b64 exec, exec, s[4:5]
	v_or_b32_e32 v6, 0x1a00, v0
	v_cmp_gt_u32_e32 vcc, s13, v6
                                        ; implicit-def: $vgpr7
	s_and_saveexec_b64 s[4:5], vcc
	s_cbranch_execz .LBB852_29
; %bb.28:
	v_lshlrev_b32_e32 v1, 2, v6
	global_load_dword v7, v1, s[0:1]
.LBB852_29:
	s_or_b64 exec, exec, s[4:5]
	v_or_b32_e32 v4, 0x1c00, v0
	v_cmp_gt_u32_e32 vcc, s13, v4
                                        ; implicit-def: $vgpr5
	s_and_saveexec_b64 s[4:5], vcc
	s_cbranch_execz .LBB852_31
; %bb.30:
	v_lshlrev_b32_e32 v1, 2, v4
	global_load_dword v5, v1, s[0:1]
.LBB852_31:
	s_or_b64 exec, exec, s[4:5]
	v_or_b32_e32 v2, 0x1e00, v0
	v_cmp_gt_u32_e32 vcc, s13, v2
                                        ; implicit-def: $vgpr3
	s_and_saveexec_b64 s[4:5], vcc
	s_cbranch_execz .LBB852_33
; %bb.32:
	v_lshlrev_b32_e32 v1, 2, v2
	global_load_dword v3, v1, s[0:1]
.LBB852_33:
	s_or_b64 exec, exec, s[4:5]
	v_lshlrev_b32_e32 v1, 2, v0
	v_mov_b32_e32 v33, 0
	s_mov_b64 s[0:1], -1
	ds_write2st64_b32 v1, v33, v33 offset1:8
	ds_write2st64_b32 v1, v33, v33 offset0:16 offset1:24
	s_and_saveexec_b64 s[4:5], s[0:1]
	s_cbranch_execz .LBB852_35
; %bb.34:
	ds_write_b32 v1, v33 offset:8192
.LBB852_35:
	s_or_b64 exec, exec, s[4:5]
	s_and_saveexec_b64 s[4:5], s[0:1]
	s_cbranch_execz .LBB852_37
; %bb.36:
	v_mov_b32_e32 v33, 0
	ds_write_b32 v1, v33 offset:10240
.LBB852_37:
	s_or_b64 exec, exec, s[4:5]
	v_cmp_gt_u32_e64 s[0:1], 7, 6
	v_cmp_gt_u32_e64 s[6:7], 7, 5
	s_and_saveexec_b64 s[4:5], s[6:7]
	s_cbranch_execz .LBB852_39
; %bb.38:
	v_mov_b32_e32 v33, 0
	ds_write_b32 v1, v33 offset:12288
.LBB852_39:
	s_or_b64 exec, exec, s[4:5]
	s_and_saveexec_b64 s[4:5], s[0:1]
	s_cbranch_execz .LBB852_41
; %bb.40:
	v_mov_b32_e32 v33, 0
	ds_write_b32 v1, v33 offset:14336
.LBB852_41:
	s_or_b64 exec, exec, s[4:5]
	s_cmp_ge_u32 s2, s3
	s_cselect_b64 s[4:5], -1, 0
	v_cmp_le_u32_e32 vcc, s13, v0
	s_and_b64 s[0:1], s[4:5], exec
	s_cselect_b32 s18, 8, 10
	s_or_b64 s[0:1], s[4:5], vcc
	v_and_b32_e32 v1, 3, v0
	s_waitcnt vmcnt(0)
	v_xor_b32_e32 v32, 0x80000000, v32
	s_xor_b64 s[6:7], s[0:1], -1
	v_mov_b32_e32 v33, s18
	s_waitcnt lgkmcnt(0)
	s_barrier
	s_and_saveexec_b64 s[0:1], s[6:7]
	s_cbranch_execz .LBB852_43
; %bb.42:
	s_sub_i32 s6, s3, s2
	s_min_u32 s6, s6, 8
	v_lshrrev_b32_e32 v33, s2, v32
	v_bfe_u32 v33, v33, 0, s6
	v_lshlrev_b32_e32 v34, 2, v1
	v_lshl_or_b32 v33, v33, 4, v34
	v_mov_b32_e32 v34, 1
	ds_add_u32 v33, v34
	v_mov_b32_e32 v33, 0
.LBB852_43:
	s_or_b64 exec, exec, s[0:1]
	v_cmp_gt_i32_e64 s[0:1], 10, v33
	s_mov_b64 s[14:15], -1
	s_and_saveexec_b64 s[6:7], s[0:1]
; %bb.44:
	v_cmp_eq_u32_e64 s[0:1], 0, v33
	s_orn2_b64 s[14:15], s[0:1], exec
; %bb.45:
	s_or_b64 exec, exec, s[6:7]
	s_and_saveexec_b64 s[6:7], s[14:15]
	s_cbranch_execz .LBB852_58
; %bb.46:
	s_add_i32 s14, s2, 8
	s_cmp_le_u32 s3, s14
	s_cselect_b64 s[0:1], -1, 0
	s_and_b64 s[16:17], s[0:1], exec
	s_cselect_b32 s15, 8, 10
	s_or_b64 s[0:1], s[0:1], vcc
	s_xor_b64 s[16:17], s[0:1], -1
	v_mov_b32_e32 v33, s15
	s_and_saveexec_b64 s[0:1], s[16:17]
	s_cbranch_execz .LBB852_48
; %bb.47:
	s_sub_i32 s15, s3, s14
	s_min_u32 s15, s15, 8
	v_lshrrev_b32_e32 v33, s14, v32
	v_bfe_u32 v33, v33, 0, s15
	v_lshlrev_b32_e32 v34, 2, v1
	v_lshl_or_b32 v33, v33, 4, v34
	v_mov_b32_e32 v34, 1
	ds_add_u32 v33, v34 offset:4096
	v_mov_b32_e32 v33, 0
.LBB852_48:
	s_or_b64 exec, exec, s[0:1]
	v_cmp_gt_i32_e64 s[0:1], 10, v33
	s_mov_b64 s[14:15], -1
	s_and_saveexec_b64 s[16:17], s[0:1]
; %bb.49:
	v_cmp_eq_u32_e64 s[0:1], 0, v33
	s_orn2_b64 s[14:15], s[0:1], exec
; %bb.50:
	s_or_b64 exec, exec, s[16:17]
	s_and_b64 exec, exec, s[14:15]
	s_cbranch_execz .LBB852_58
; %bb.51:
	s_add_i32 s14, s2, 16
	s_cmp_le_u32 s3, s14
	s_cselect_b64 s[0:1], -1, 0
	s_and_b64 s[16:17], s[0:1], exec
	s_cselect_b32 s15, 8, 10
	s_or_b64 s[0:1], s[0:1], vcc
	s_xor_b64 s[16:17], s[0:1], -1
	v_mov_b32_e32 v33, s15
	s_and_saveexec_b64 s[0:1], s[16:17]
	s_cbranch_execz .LBB852_53
; %bb.52:
	s_sub_i32 s15, s3, s14
	s_min_u32 s15, s15, 8
	v_lshrrev_b32_e32 v33, s14, v32
	v_bfe_u32 v33, v33, 0, s15
	v_lshlrev_b32_e32 v34, 2, v1
	v_lshl_or_b32 v33, v33, 4, v34
	v_mov_b32_e32 v34, 1
	ds_add_u32 v33, v34 offset:8192
	v_mov_b32_e32 v33, 0
.LBB852_53:
	s_or_b64 exec, exec, s[0:1]
	v_cmp_gt_i32_e64 s[0:1], 10, v33
	s_mov_b64 s[14:15], -1
	s_and_saveexec_b64 s[16:17], s[0:1]
; %bb.54:
	v_cmp_eq_u32_e64 s[0:1], 0, v33
	s_orn2_b64 s[14:15], s[0:1], exec
; %bb.55:
	s_or_b64 exec, exec, s[16:17]
	s_and_b64 exec, exec, s[14:15]
	s_cbranch_execz .LBB852_58
; %bb.56:
	s_add_i32 s0, s2, 24
	s_cmp_gt_u32 s3, s0
	s_cselect_b64 s[14:15], -1, 0
	s_xor_b64 s[16:17], vcc, -1
	s_and_b64 s[14:15], s[14:15], s[16:17]
	s_and_b64 exec, exec, s[14:15]
	s_cbranch_execz .LBB852_58
; %bb.57:
	s_sub_i32 s1, s3, s0
	s_min_u32 s1, s1, 8
	v_lshrrev_b32_e32 v32, s0, v32
	v_bfe_u32 v32, v32, 0, s1
	v_lshlrev_b32_e32 v33, 2, v1
	v_lshl_or_b32 v32, v32, 4, v33
	v_mov_b32_e32 v33, 1
	ds_add_u32 v32, v33 offset:12288
.LBB852_58:
	s_or_b64 exec, exec, s[6:7]
	v_cmp_le_u32_e32 vcc, s13, v30
	s_or_b64 s[0:1], s[4:5], vcc
	v_xor_b32_e32 v31, 0x80000000, v31
	s_xor_b64 s[6:7], s[0:1], -1
	v_mov_b32_e32 v30, s18
	s_and_saveexec_b64 s[0:1], s[6:7]
	s_cbranch_execz .LBB852_60
; %bb.59:
	s_sub_i32 s6, s3, s2
	s_min_u32 s6, s6, 8
	v_lshrrev_b32_e32 v30, s2, v31
	v_bfe_u32 v30, v30, 0, s6
	v_lshlrev_b32_e32 v32, 2, v1
	v_lshl_or_b32 v30, v30, 4, v32
	v_mov_b32_e32 v32, 1
	ds_add_u32 v30, v32
	v_mov_b32_e32 v30, 0
.LBB852_60:
	s_or_b64 exec, exec, s[0:1]
	v_cmp_gt_i32_e64 s[0:1], 10, v30
	s_mov_b64 s[14:15], -1
	s_and_saveexec_b64 s[6:7], s[0:1]
; %bb.61:
	v_cmp_eq_u32_e64 s[0:1], 0, v30
	s_orn2_b64 s[14:15], s[0:1], exec
; %bb.62:
	s_or_b64 exec, exec, s[6:7]
	s_and_saveexec_b64 s[6:7], s[14:15]
	s_cbranch_execz .LBB852_75
; %bb.63:
	s_add_i32 s14, s2, 8
	s_cmp_le_u32 s3, s14
	s_cselect_b64 s[0:1], -1, 0
	s_and_b64 s[16:17], s[0:1], exec
	s_cselect_b32 s15, 8, 10
	s_or_b64 s[0:1], s[0:1], vcc
	s_xor_b64 s[16:17], s[0:1], -1
	v_mov_b32_e32 v30, s15
	s_and_saveexec_b64 s[0:1], s[16:17]
	s_cbranch_execz .LBB852_65
; %bb.64:
	s_sub_i32 s15, s3, s14
	s_min_u32 s15, s15, 8
	v_lshrrev_b32_e32 v30, s14, v31
	v_bfe_u32 v30, v30, 0, s15
	v_lshlrev_b32_e32 v32, 2, v1
	v_lshl_or_b32 v30, v30, 4, v32
	v_mov_b32_e32 v32, 1
	ds_add_u32 v30, v32 offset:4096
	v_mov_b32_e32 v30, 0
.LBB852_65:
	s_or_b64 exec, exec, s[0:1]
	v_cmp_gt_i32_e64 s[0:1], 10, v30
	s_mov_b64 s[14:15], -1
	s_and_saveexec_b64 s[16:17], s[0:1]
; %bb.66:
	v_cmp_eq_u32_e64 s[0:1], 0, v30
	s_orn2_b64 s[14:15], s[0:1], exec
; %bb.67:
	s_or_b64 exec, exec, s[16:17]
	s_and_b64 exec, exec, s[14:15]
	s_cbranch_execz .LBB852_75
; %bb.68:
	s_add_i32 s14, s2, 16
	s_cmp_le_u32 s3, s14
	s_cselect_b64 s[0:1], -1, 0
	s_and_b64 s[16:17], s[0:1], exec
	s_cselect_b32 s15, 8, 10
	s_or_b64 s[0:1], s[0:1], vcc
	s_xor_b64 s[16:17], s[0:1], -1
	v_mov_b32_e32 v30, s15
	s_and_saveexec_b64 s[0:1], s[16:17]
	s_cbranch_execz .LBB852_70
; %bb.69:
	s_sub_i32 s15, s3, s14
	s_min_u32 s15, s15, 8
	v_lshrrev_b32_e32 v30, s14, v31
	v_bfe_u32 v30, v30, 0, s15
	v_lshlrev_b32_e32 v32, 2, v1
	v_lshl_or_b32 v30, v30, 4, v32
	v_mov_b32_e32 v32, 1
	ds_add_u32 v30, v32 offset:8192
	v_mov_b32_e32 v30, 0
.LBB852_70:
	s_or_b64 exec, exec, s[0:1]
	v_cmp_gt_i32_e64 s[0:1], 10, v30
	s_mov_b64 s[14:15], -1
	s_and_saveexec_b64 s[16:17], s[0:1]
; %bb.71:
	v_cmp_eq_u32_e64 s[0:1], 0, v30
	s_orn2_b64 s[14:15], s[0:1], exec
; %bb.72:
	s_or_b64 exec, exec, s[16:17]
	s_and_b64 exec, exec, s[14:15]
	s_cbranch_execz .LBB852_75
; %bb.73:
	s_add_i32 s0, s2, 24
	s_cmp_gt_u32 s3, s0
	s_cselect_b64 s[14:15], -1, 0
	s_xor_b64 s[16:17], vcc, -1
	s_and_b64 s[14:15], s[14:15], s[16:17]
	s_and_b64 exec, exec, s[14:15]
	s_cbranch_execz .LBB852_75
; %bb.74:
	s_sub_i32 s1, s3, s0
	s_min_u32 s1, s1, 8
	v_lshrrev_b32_e32 v30, s0, v31
	v_bfe_u32 v30, v30, 0, s1
	v_lshlrev_b32_e32 v31, 2, v1
	v_lshl_or_b32 v30, v30, 4, v31
	v_mov_b32_e32 v31, 1
	ds_add_u32 v30, v31 offset:12288
.LBB852_75:
	s_or_b64 exec, exec, s[6:7]
	v_cmp_le_u32_e32 vcc, s13, v28
	s_or_b64 s[0:1], s[4:5], vcc
	v_xor_b32_e32 v29, 0x80000000, v29
	s_xor_b64 s[6:7], s[0:1], -1
	v_mov_b32_e32 v28, s18
	s_and_saveexec_b64 s[0:1], s[6:7]
	s_cbranch_execz .LBB852_77
; %bb.76:
	s_sub_i32 s6, s3, s2
	s_min_u32 s6, s6, 8
	v_lshrrev_b32_e32 v28, s2, v29
	v_bfe_u32 v28, v28, 0, s6
	v_lshlrev_b32_e32 v30, 2, v1
	v_lshl_or_b32 v28, v28, 4, v30
	v_mov_b32_e32 v30, 1
	ds_add_u32 v28, v30
	v_mov_b32_e32 v28, 0
.LBB852_77:
	s_or_b64 exec, exec, s[0:1]
	v_cmp_gt_i32_e64 s[0:1], 10, v28
	s_mov_b64 s[14:15], -1
	s_and_saveexec_b64 s[6:7], s[0:1]
; %bb.78:
	v_cmp_eq_u32_e64 s[0:1], 0, v28
	s_orn2_b64 s[14:15], s[0:1], exec
; %bb.79:
	s_or_b64 exec, exec, s[6:7]
	s_and_saveexec_b64 s[6:7], s[14:15]
	s_cbranch_execz .LBB852_92
; %bb.80:
	s_add_i32 s14, s2, 8
	s_cmp_le_u32 s3, s14
	s_cselect_b64 s[0:1], -1, 0
	s_and_b64 s[16:17], s[0:1], exec
	s_cselect_b32 s15, 8, 10
	s_or_b64 s[0:1], s[0:1], vcc
	s_xor_b64 s[16:17], s[0:1], -1
	v_mov_b32_e32 v28, s15
	s_and_saveexec_b64 s[0:1], s[16:17]
	s_cbranch_execz .LBB852_82
; %bb.81:
	s_sub_i32 s15, s3, s14
	s_min_u32 s15, s15, 8
	v_lshrrev_b32_e32 v28, s14, v29
	v_bfe_u32 v28, v28, 0, s15
	v_lshlrev_b32_e32 v30, 2, v1
	v_lshl_or_b32 v28, v28, 4, v30
	v_mov_b32_e32 v30, 1
	ds_add_u32 v28, v30 offset:4096
	v_mov_b32_e32 v28, 0
.LBB852_82:
	s_or_b64 exec, exec, s[0:1]
	v_cmp_gt_i32_e64 s[0:1], 10, v28
	s_mov_b64 s[14:15], -1
	s_and_saveexec_b64 s[16:17], s[0:1]
; %bb.83:
	v_cmp_eq_u32_e64 s[0:1], 0, v28
	s_orn2_b64 s[14:15], s[0:1], exec
; %bb.84:
	s_or_b64 exec, exec, s[16:17]
	s_and_b64 exec, exec, s[14:15]
	s_cbranch_execz .LBB852_92
; %bb.85:
	s_add_i32 s14, s2, 16
	s_cmp_le_u32 s3, s14
	s_cselect_b64 s[0:1], -1, 0
	s_and_b64 s[16:17], s[0:1], exec
	s_cselect_b32 s15, 8, 10
	s_or_b64 s[0:1], s[0:1], vcc
	s_xor_b64 s[16:17], s[0:1], -1
	v_mov_b32_e32 v28, s15
	s_and_saveexec_b64 s[0:1], s[16:17]
	s_cbranch_execz .LBB852_87
; %bb.86:
	s_sub_i32 s15, s3, s14
	s_min_u32 s15, s15, 8
	v_lshrrev_b32_e32 v28, s14, v29
	v_bfe_u32 v28, v28, 0, s15
	v_lshlrev_b32_e32 v30, 2, v1
	v_lshl_or_b32 v28, v28, 4, v30
	v_mov_b32_e32 v30, 1
	ds_add_u32 v28, v30 offset:8192
	v_mov_b32_e32 v28, 0
.LBB852_87:
	s_or_b64 exec, exec, s[0:1]
	v_cmp_gt_i32_e64 s[0:1], 10, v28
	s_mov_b64 s[14:15], -1
	s_and_saveexec_b64 s[16:17], s[0:1]
; %bb.88:
	v_cmp_eq_u32_e64 s[0:1], 0, v28
	s_orn2_b64 s[14:15], s[0:1], exec
; %bb.89:
	s_or_b64 exec, exec, s[16:17]
	s_and_b64 exec, exec, s[14:15]
	s_cbranch_execz .LBB852_92
; %bb.90:
	s_add_i32 s0, s2, 24
	s_cmp_gt_u32 s3, s0
	s_cselect_b64 s[14:15], -1, 0
	s_xor_b64 s[16:17], vcc, -1
	s_and_b64 s[14:15], s[14:15], s[16:17]
	s_and_b64 exec, exec, s[14:15]
	s_cbranch_execz .LBB852_92
; %bb.91:
	s_sub_i32 s1, s3, s0
	s_min_u32 s1, s1, 8
	v_lshrrev_b32_e32 v28, s0, v29
	v_bfe_u32 v28, v28, 0, s1
	v_lshlrev_b32_e32 v29, 2, v1
	v_lshl_or_b32 v28, v28, 4, v29
	v_mov_b32_e32 v29, 1
	ds_add_u32 v28, v29 offset:12288
.LBB852_92:
	s_or_b64 exec, exec, s[6:7]
	v_cmp_le_u32_e32 vcc, s13, v26
	s_or_b64 s[0:1], s[4:5], vcc
	v_xor_b32_e32 v27, 0x80000000, v27
	s_xor_b64 s[6:7], s[0:1], -1
	v_mov_b32_e32 v26, s18
	s_and_saveexec_b64 s[0:1], s[6:7]
	s_cbranch_execz .LBB852_94
; %bb.93:
	s_sub_i32 s6, s3, s2
	s_min_u32 s6, s6, 8
	v_lshrrev_b32_e32 v26, s2, v27
	v_bfe_u32 v26, v26, 0, s6
	v_lshlrev_b32_e32 v28, 2, v1
	v_lshl_or_b32 v26, v26, 4, v28
	v_mov_b32_e32 v28, 1
	ds_add_u32 v26, v28
	v_mov_b32_e32 v26, 0
.LBB852_94:
	s_or_b64 exec, exec, s[0:1]
	v_cmp_gt_i32_e64 s[0:1], 10, v26
	s_mov_b64 s[14:15], -1
	s_and_saveexec_b64 s[6:7], s[0:1]
; %bb.95:
	v_cmp_eq_u32_e64 s[0:1], 0, v26
	s_orn2_b64 s[14:15], s[0:1], exec
; %bb.96:
	s_or_b64 exec, exec, s[6:7]
	s_and_saveexec_b64 s[6:7], s[14:15]
	s_cbranch_execz .LBB852_109
; %bb.97:
	s_add_i32 s14, s2, 8
	s_cmp_le_u32 s3, s14
	s_cselect_b64 s[0:1], -1, 0
	s_and_b64 s[16:17], s[0:1], exec
	s_cselect_b32 s15, 8, 10
	s_or_b64 s[0:1], s[0:1], vcc
	s_xor_b64 s[16:17], s[0:1], -1
	v_mov_b32_e32 v26, s15
	s_and_saveexec_b64 s[0:1], s[16:17]
	s_cbranch_execz .LBB852_99
; %bb.98:
	s_sub_i32 s15, s3, s14
	s_min_u32 s15, s15, 8
	v_lshrrev_b32_e32 v26, s14, v27
	v_bfe_u32 v26, v26, 0, s15
	v_lshlrev_b32_e32 v28, 2, v1
	v_lshl_or_b32 v26, v26, 4, v28
	v_mov_b32_e32 v28, 1
	ds_add_u32 v26, v28 offset:4096
	v_mov_b32_e32 v26, 0
.LBB852_99:
	s_or_b64 exec, exec, s[0:1]
	v_cmp_gt_i32_e64 s[0:1], 10, v26
	s_mov_b64 s[14:15], -1
	s_and_saveexec_b64 s[16:17], s[0:1]
; %bb.100:
	v_cmp_eq_u32_e64 s[0:1], 0, v26
	s_orn2_b64 s[14:15], s[0:1], exec
; %bb.101:
	s_or_b64 exec, exec, s[16:17]
	s_and_b64 exec, exec, s[14:15]
	s_cbranch_execz .LBB852_109
; %bb.102:
	s_add_i32 s14, s2, 16
	s_cmp_le_u32 s3, s14
	s_cselect_b64 s[0:1], -1, 0
	s_and_b64 s[16:17], s[0:1], exec
	s_cselect_b32 s15, 8, 10
	s_or_b64 s[0:1], s[0:1], vcc
	s_xor_b64 s[16:17], s[0:1], -1
	v_mov_b32_e32 v26, s15
	s_and_saveexec_b64 s[0:1], s[16:17]
	s_cbranch_execz .LBB852_104
; %bb.103:
	s_sub_i32 s15, s3, s14
	s_min_u32 s15, s15, 8
	v_lshrrev_b32_e32 v26, s14, v27
	v_bfe_u32 v26, v26, 0, s15
	v_lshlrev_b32_e32 v28, 2, v1
	v_lshl_or_b32 v26, v26, 4, v28
	v_mov_b32_e32 v28, 1
	ds_add_u32 v26, v28 offset:8192
	v_mov_b32_e32 v26, 0
.LBB852_104:
	s_or_b64 exec, exec, s[0:1]
	v_cmp_gt_i32_e64 s[0:1], 10, v26
	s_mov_b64 s[14:15], -1
	s_and_saveexec_b64 s[16:17], s[0:1]
; %bb.105:
	v_cmp_eq_u32_e64 s[0:1], 0, v26
	s_orn2_b64 s[14:15], s[0:1], exec
; %bb.106:
	s_or_b64 exec, exec, s[16:17]
	s_and_b64 exec, exec, s[14:15]
	s_cbranch_execz .LBB852_109
; %bb.107:
	s_add_i32 s0, s2, 24
	s_cmp_gt_u32 s3, s0
	s_cselect_b64 s[14:15], -1, 0
	s_xor_b64 s[16:17], vcc, -1
	s_and_b64 s[14:15], s[14:15], s[16:17]
	s_and_b64 exec, exec, s[14:15]
	s_cbranch_execz .LBB852_109
; %bb.108:
	s_sub_i32 s1, s3, s0
	s_min_u32 s1, s1, 8
	v_lshrrev_b32_e32 v26, s0, v27
	v_bfe_u32 v26, v26, 0, s1
	v_lshlrev_b32_e32 v27, 2, v1
	v_lshl_or_b32 v26, v26, 4, v27
	v_mov_b32_e32 v27, 1
	ds_add_u32 v26, v27 offset:12288
.LBB852_109:
	s_or_b64 exec, exec, s[6:7]
	v_cmp_le_u32_e32 vcc, s13, v24
	s_or_b64 s[0:1], s[4:5], vcc
	v_xor_b32_e32 v25, 0x80000000, v25
	s_xor_b64 s[6:7], s[0:1], -1
	v_mov_b32_e32 v24, s18
	s_and_saveexec_b64 s[0:1], s[6:7]
	s_cbranch_execz .LBB852_111
; %bb.110:
	s_sub_i32 s6, s3, s2
	s_min_u32 s6, s6, 8
	v_lshrrev_b32_e32 v24, s2, v25
	v_bfe_u32 v24, v24, 0, s6
	v_lshlrev_b32_e32 v26, 2, v1
	v_lshl_or_b32 v24, v24, 4, v26
	v_mov_b32_e32 v26, 1
	ds_add_u32 v24, v26
	v_mov_b32_e32 v24, 0
.LBB852_111:
	s_or_b64 exec, exec, s[0:1]
	v_cmp_gt_i32_e64 s[0:1], 10, v24
	s_mov_b64 s[14:15], -1
	s_and_saveexec_b64 s[6:7], s[0:1]
; %bb.112:
	v_cmp_eq_u32_e64 s[0:1], 0, v24
	s_orn2_b64 s[14:15], s[0:1], exec
; %bb.113:
	s_or_b64 exec, exec, s[6:7]
	s_and_saveexec_b64 s[6:7], s[14:15]
	s_cbranch_execz .LBB852_126
; %bb.114:
	s_add_i32 s14, s2, 8
	s_cmp_le_u32 s3, s14
	s_cselect_b64 s[0:1], -1, 0
	s_and_b64 s[16:17], s[0:1], exec
	s_cselect_b32 s15, 8, 10
	s_or_b64 s[0:1], s[0:1], vcc
	s_xor_b64 s[16:17], s[0:1], -1
	v_mov_b32_e32 v24, s15
	s_and_saveexec_b64 s[0:1], s[16:17]
	s_cbranch_execz .LBB852_116
; %bb.115:
	s_sub_i32 s15, s3, s14
	s_min_u32 s15, s15, 8
	v_lshrrev_b32_e32 v24, s14, v25
	v_bfe_u32 v24, v24, 0, s15
	v_lshlrev_b32_e32 v26, 2, v1
	v_lshl_or_b32 v24, v24, 4, v26
	v_mov_b32_e32 v26, 1
	ds_add_u32 v24, v26 offset:4096
	v_mov_b32_e32 v24, 0
.LBB852_116:
	s_or_b64 exec, exec, s[0:1]
	v_cmp_gt_i32_e64 s[0:1], 10, v24
	s_mov_b64 s[14:15], -1
	s_and_saveexec_b64 s[16:17], s[0:1]
; %bb.117:
	v_cmp_eq_u32_e64 s[0:1], 0, v24
	s_orn2_b64 s[14:15], s[0:1], exec
; %bb.118:
	s_or_b64 exec, exec, s[16:17]
	s_and_b64 exec, exec, s[14:15]
	s_cbranch_execz .LBB852_126
; %bb.119:
	s_add_i32 s14, s2, 16
	s_cmp_le_u32 s3, s14
	s_cselect_b64 s[0:1], -1, 0
	s_and_b64 s[16:17], s[0:1], exec
	s_cselect_b32 s15, 8, 10
	s_or_b64 s[0:1], s[0:1], vcc
	s_xor_b64 s[16:17], s[0:1], -1
	v_mov_b32_e32 v24, s15
	s_and_saveexec_b64 s[0:1], s[16:17]
	s_cbranch_execz .LBB852_121
; %bb.120:
	s_sub_i32 s15, s3, s14
	s_min_u32 s15, s15, 8
	v_lshrrev_b32_e32 v24, s14, v25
	v_bfe_u32 v24, v24, 0, s15
	v_lshlrev_b32_e32 v26, 2, v1
	v_lshl_or_b32 v24, v24, 4, v26
	v_mov_b32_e32 v26, 1
	ds_add_u32 v24, v26 offset:8192
	v_mov_b32_e32 v24, 0
.LBB852_121:
	s_or_b64 exec, exec, s[0:1]
	v_cmp_gt_i32_e64 s[0:1], 10, v24
	s_mov_b64 s[14:15], -1
	s_and_saveexec_b64 s[16:17], s[0:1]
; %bb.122:
	v_cmp_eq_u32_e64 s[0:1], 0, v24
	s_orn2_b64 s[14:15], s[0:1], exec
; %bb.123:
	s_or_b64 exec, exec, s[16:17]
	s_and_b64 exec, exec, s[14:15]
	s_cbranch_execz .LBB852_126
; %bb.124:
	s_add_i32 s0, s2, 24
	s_cmp_gt_u32 s3, s0
	s_cselect_b64 s[14:15], -1, 0
	s_xor_b64 s[16:17], vcc, -1
	s_and_b64 s[14:15], s[14:15], s[16:17]
	s_and_b64 exec, exec, s[14:15]
	s_cbranch_execz .LBB852_126
; %bb.125:
	s_sub_i32 s1, s3, s0
	s_min_u32 s1, s1, 8
	v_lshrrev_b32_e32 v24, s0, v25
	v_bfe_u32 v24, v24, 0, s1
	v_lshlrev_b32_e32 v25, 2, v1
	v_lshl_or_b32 v24, v24, 4, v25
	v_mov_b32_e32 v25, 1
	ds_add_u32 v24, v25 offset:12288
.LBB852_126:
	s_or_b64 exec, exec, s[6:7]
	v_cmp_le_u32_e32 vcc, s13, v22
	s_or_b64 s[0:1], s[4:5], vcc
	v_xor_b32_e32 v23, 0x80000000, v23
	s_xor_b64 s[6:7], s[0:1], -1
	v_mov_b32_e32 v22, s18
	s_and_saveexec_b64 s[0:1], s[6:7]
	s_cbranch_execz .LBB852_128
; %bb.127:
	s_sub_i32 s6, s3, s2
	s_min_u32 s6, s6, 8
	v_lshrrev_b32_e32 v22, s2, v23
	v_bfe_u32 v22, v22, 0, s6
	v_lshlrev_b32_e32 v24, 2, v1
	v_lshl_or_b32 v22, v22, 4, v24
	v_mov_b32_e32 v24, 1
	ds_add_u32 v22, v24
	v_mov_b32_e32 v22, 0
.LBB852_128:
	s_or_b64 exec, exec, s[0:1]
	v_cmp_gt_i32_e64 s[0:1], 10, v22
	s_mov_b64 s[14:15], -1
	s_and_saveexec_b64 s[6:7], s[0:1]
; %bb.129:
	v_cmp_eq_u32_e64 s[0:1], 0, v22
	s_orn2_b64 s[14:15], s[0:1], exec
; %bb.130:
	s_or_b64 exec, exec, s[6:7]
	s_and_saveexec_b64 s[6:7], s[14:15]
	s_cbranch_execz .LBB852_143
; %bb.131:
	s_add_i32 s14, s2, 8
	s_cmp_le_u32 s3, s14
	s_cselect_b64 s[0:1], -1, 0
	s_and_b64 s[16:17], s[0:1], exec
	s_cselect_b32 s15, 8, 10
	s_or_b64 s[0:1], s[0:1], vcc
	s_xor_b64 s[16:17], s[0:1], -1
	v_mov_b32_e32 v22, s15
	s_and_saveexec_b64 s[0:1], s[16:17]
	s_cbranch_execz .LBB852_133
; %bb.132:
	s_sub_i32 s15, s3, s14
	s_min_u32 s15, s15, 8
	v_lshrrev_b32_e32 v22, s14, v23
	v_bfe_u32 v22, v22, 0, s15
	v_lshlrev_b32_e32 v24, 2, v1
	v_lshl_or_b32 v22, v22, 4, v24
	v_mov_b32_e32 v24, 1
	ds_add_u32 v22, v24 offset:4096
	v_mov_b32_e32 v22, 0
.LBB852_133:
	s_or_b64 exec, exec, s[0:1]
	v_cmp_gt_i32_e64 s[0:1], 10, v22
	s_mov_b64 s[14:15], -1
	s_and_saveexec_b64 s[16:17], s[0:1]
; %bb.134:
	v_cmp_eq_u32_e64 s[0:1], 0, v22
	s_orn2_b64 s[14:15], s[0:1], exec
; %bb.135:
	s_or_b64 exec, exec, s[16:17]
	s_and_b64 exec, exec, s[14:15]
	s_cbranch_execz .LBB852_143
; %bb.136:
	s_add_i32 s14, s2, 16
	s_cmp_le_u32 s3, s14
	s_cselect_b64 s[0:1], -1, 0
	s_and_b64 s[16:17], s[0:1], exec
	s_cselect_b32 s15, 8, 10
	s_or_b64 s[0:1], s[0:1], vcc
	s_xor_b64 s[16:17], s[0:1], -1
	v_mov_b32_e32 v22, s15
	s_and_saveexec_b64 s[0:1], s[16:17]
	s_cbranch_execz .LBB852_138
; %bb.137:
	s_sub_i32 s15, s3, s14
	s_min_u32 s15, s15, 8
	v_lshrrev_b32_e32 v22, s14, v23
	v_bfe_u32 v22, v22, 0, s15
	v_lshlrev_b32_e32 v24, 2, v1
	v_lshl_or_b32 v22, v22, 4, v24
	v_mov_b32_e32 v24, 1
	ds_add_u32 v22, v24 offset:8192
	v_mov_b32_e32 v22, 0
.LBB852_138:
	s_or_b64 exec, exec, s[0:1]
	v_cmp_gt_i32_e64 s[0:1], 10, v22
	s_mov_b64 s[14:15], -1
	s_and_saveexec_b64 s[16:17], s[0:1]
; %bb.139:
	v_cmp_eq_u32_e64 s[0:1], 0, v22
	s_orn2_b64 s[14:15], s[0:1], exec
; %bb.140:
	s_or_b64 exec, exec, s[16:17]
	s_and_b64 exec, exec, s[14:15]
	s_cbranch_execz .LBB852_143
; %bb.141:
	s_add_i32 s0, s2, 24
	s_cmp_gt_u32 s3, s0
	s_cselect_b64 s[14:15], -1, 0
	s_xor_b64 s[16:17], vcc, -1
	s_and_b64 s[14:15], s[14:15], s[16:17]
	s_and_b64 exec, exec, s[14:15]
	s_cbranch_execz .LBB852_143
; %bb.142:
	s_sub_i32 s1, s3, s0
	s_min_u32 s1, s1, 8
	v_lshrrev_b32_e32 v22, s0, v23
	v_bfe_u32 v22, v22, 0, s1
	v_lshlrev_b32_e32 v23, 2, v1
	v_lshl_or_b32 v22, v22, 4, v23
	v_mov_b32_e32 v23, 1
	ds_add_u32 v22, v23 offset:12288
.LBB852_143:
	s_or_b64 exec, exec, s[6:7]
	v_cmp_le_u32_e32 vcc, s13, v20
	s_or_b64 s[0:1], s[4:5], vcc
	v_xor_b32_e32 v21, 0x80000000, v21
	s_xor_b64 s[6:7], s[0:1], -1
	v_mov_b32_e32 v20, s18
	s_and_saveexec_b64 s[0:1], s[6:7]
	s_cbranch_execz .LBB852_145
; %bb.144:
	s_sub_i32 s6, s3, s2
	s_min_u32 s6, s6, 8
	v_lshrrev_b32_e32 v20, s2, v21
	v_bfe_u32 v20, v20, 0, s6
	v_lshlrev_b32_e32 v22, 2, v1
	v_lshl_or_b32 v20, v20, 4, v22
	v_mov_b32_e32 v22, 1
	ds_add_u32 v20, v22
	v_mov_b32_e32 v20, 0
.LBB852_145:
	s_or_b64 exec, exec, s[0:1]
	v_cmp_gt_i32_e64 s[0:1], 10, v20
	s_mov_b64 s[14:15], -1
	s_and_saveexec_b64 s[6:7], s[0:1]
; %bb.146:
	v_cmp_eq_u32_e64 s[0:1], 0, v20
	s_orn2_b64 s[14:15], s[0:1], exec
; %bb.147:
	s_or_b64 exec, exec, s[6:7]
	s_and_saveexec_b64 s[6:7], s[14:15]
	s_cbranch_execz .LBB852_160
; %bb.148:
	s_add_i32 s14, s2, 8
	s_cmp_le_u32 s3, s14
	s_cselect_b64 s[0:1], -1, 0
	s_and_b64 s[16:17], s[0:1], exec
	s_cselect_b32 s15, 8, 10
	s_or_b64 s[0:1], s[0:1], vcc
	s_xor_b64 s[16:17], s[0:1], -1
	v_mov_b32_e32 v20, s15
	s_and_saveexec_b64 s[0:1], s[16:17]
	s_cbranch_execz .LBB852_150
; %bb.149:
	s_sub_i32 s15, s3, s14
	s_min_u32 s15, s15, 8
	v_lshrrev_b32_e32 v20, s14, v21
	v_bfe_u32 v20, v20, 0, s15
	v_lshlrev_b32_e32 v22, 2, v1
	v_lshl_or_b32 v20, v20, 4, v22
	v_mov_b32_e32 v22, 1
	ds_add_u32 v20, v22 offset:4096
	v_mov_b32_e32 v20, 0
.LBB852_150:
	s_or_b64 exec, exec, s[0:1]
	v_cmp_gt_i32_e64 s[0:1], 10, v20
	s_mov_b64 s[14:15], -1
	s_and_saveexec_b64 s[16:17], s[0:1]
; %bb.151:
	v_cmp_eq_u32_e64 s[0:1], 0, v20
	s_orn2_b64 s[14:15], s[0:1], exec
; %bb.152:
	s_or_b64 exec, exec, s[16:17]
	s_and_b64 exec, exec, s[14:15]
	s_cbranch_execz .LBB852_160
; %bb.153:
	s_add_i32 s14, s2, 16
	s_cmp_le_u32 s3, s14
	s_cselect_b64 s[0:1], -1, 0
	s_and_b64 s[16:17], s[0:1], exec
	s_cselect_b32 s15, 8, 10
	s_or_b64 s[0:1], s[0:1], vcc
	s_xor_b64 s[16:17], s[0:1], -1
	v_mov_b32_e32 v20, s15
	s_and_saveexec_b64 s[0:1], s[16:17]
	s_cbranch_execz .LBB852_155
; %bb.154:
	s_sub_i32 s15, s3, s14
	s_min_u32 s15, s15, 8
	v_lshrrev_b32_e32 v20, s14, v21
	v_bfe_u32 v20, v20, 0, s15
	v_lshlrev_b32_e32 v22, 2, v1
	v_lshl_or_b32 v20, v20, 4, v22
	v_mov_b32_e32 v22, 1
	ds_add_u32 v20, v22 offset:8192
	v_mov_b32_e32 v20, 0
.LBB852_155:
	s_or_b64 exec, exec, s[0:1]
	v_cmp_gt_i32_e64 s[0:1], 10, v20
	s_mov_b64 s[14:15], -1
	s_and_saveexec_b64 s[16:17], s[0:1]
; %bb.156:
	v_cmp_eq_u32_e64 s[0:1], 0, v20
	s_orn2_b64 s[14:15], s[0:1], exec
; %bb.157:
	s_or_b64 exec, exec, s[16:17]
	s_and_b64 exec, exec, s[14:15]
	s_cbranch_execz .LBB852_160
; %bb.158:
	s_add_i32 s0, s2, 24
	s_cmp_gt_u32 s3, s0
	s_cselect_b64 s[14:15], -1, 0
	s_xor_b64 s[16:17], vcc, -1
	s_and_b64 s[14:15], s[14:15], s[16:17]
	s_and_b64 exec, exec, s[14:15]
	s_cbranch_execz .LBB852_160
; %bb.159:
	s_sub_i32 s1, s3, s0
	s_min_u32 s1, s1, 8
	v_lshrrev_b32_e32 v20, s0, v21
	v_bfe_u32 v20, v20, 0, s1
	v_lshlrev_b32_e32 v21, 2, v1
	v_lshl_or_b32 v20, v20, 4, v21
	v_mov_b32_e32 v21, 1
	ds_add_u32 v20, v21 offset:12288
.LBB852_160:
	s_or_b64 exec, exec, s[6:7]
	v_cmp_le_u32_e32 vcc, s13, v18
	s_or_b64 s[0:1], s[4:5], vcc
	v_xor_b32_e32 v19, 0x80000000, v19
	s_xor_b64 s[6:7], s[0:1], -1
	v_mov_b32_e32 v18, s18
	s_and_saveexec_b64 s[0:1], s[6:7]
	s_cbranch_execz .LBB852_162
; %bb.161:
	s_sub_i32 s6, s3, s2
	s_min_u32 s6, s6, 8
	v_lshrrev_b32_e32 v18, s2, v19
	v_bfe_u32 v18, v18, 0, s6
	v_lshlrev_b32_e32 v20, 2, v1
	v_lshl_or_b32 v18, v18, 4, v20
	v_mov_b32_e32 v20, 1
	ds_add_u32 v18, v20
	v_mov_b32_e32 v18, 0
.LBB852_162:
	s_or_b64 exec, exec, s[0:1]
	v_cmp_gt_i32_e64 s[0:1], 10, v18
	s_mov_b64 s[14:15], -1
	s_and_saveexec_b64 s[6:7], s[0:1]
; %bb.163:
	v_cmp_eq_u32_e64 s[0:1], 0, v18
	s_orn2_b64 s[14:15], s[0:1], exec
; %bb.164:
	s_or_b64 exec, exec, s[6:7]
	s_and_saveexec_b64 s[6:7], s[14:15]
	s_cbranch_execz .LBB852_177
; %bb.165:
	s_add_i32 s14, s2, 8
	s_cmp_le_u32 s3, s14
	s_cselect_b64 s[0:1], -1, 0
	s_and_b64 s[16:17], s[0:1], exec
	s_cselect_b32 s15, 8, 10
	s_or_b64 s[0:1], s[0:1], vcc
	s_xor_b64 s[16:17], s[0:1], -1
	v_mov_b32_e32 v18, s15
	s_and_saveexec_b64 s[0:1], s[16:17]
	s_cbranch_execz .LBB852_167
; %bb.166:
	s_sub_i32 s15, s3, s14
	s_min_u32 s15, s15, 8
	v_lshrrev_b32_e32 v18, s14, v19
	v_bfe_u32 v18, v18, 0, s15
	v_lshlrev_b32_e32 v20, 2, v1
	v_lshl_or_b32 v18, v18, 4, v20
	v_mov_b32_e32 v20, 1
	ds_add_u32 v18, v20 offset:4096
	v_mov_b32_e32 v18, 0
.LBB852_167:
	s_or_b64 exec, exec, s[0:1]
	v_cmp_gt_i32_e64 s[0:1], 10, v18
	s_mov_b64 s[14:15], -1
	s_and_saveexec_b64 s[16:17], s[0:1]
; %bb.168:
	v_cmp_eq_u32_e64 s[0:1], 0, v18
	s_orn2_b64 s[14:15], s[0:1], exec
; %bb.169:
	s_or_b64 exec, exec, s[16:17]
	s_and_b64 exec, exec, s[14:15]
	s_cbranch_execz .LBB852_177
; %bb.170:
	s_add_i32 s14, s2, 16
	s_cmp_le_u32 s3, s14
	s_cselect_b64 s[0:1], -1, 0
	s_and_b64 s[16:17], s[0:1], exec
	s_cselect_b32 s15, 8, 10
	s_or_b64 s[0:1], s[0:1], vcc
	s_xor_b64 s[16:17], s[0:1], -1
	v_mov_b32_e32 v18, s15
	s_and_saveexec_b64 s[0:1], s[16:17]
	s_cbranch_execz .LBB852_172
; %bb.171:
	s_sub_i32 s15, s3, s14
	s_min_u32 s15, s15, 8
	v_lshrrev_b32_e32 v18, s14, v19
	v_bfe_u32 v18, v18, 0, s15
	v_lshlrev_b32_e32 v20, 2, v1
	v_lshl_or_b32 v18, v18, 4, v20
	v_mov_b32_e32 v20, 1
	ds_add_u32 v18, v20 offset:8192
	v_mov_b32_e32 v18, 0
.LBB852_172:
	s_or_b64 exec, exec, s[0:1]
	v_cmp_gt_i32_e64 s[0:1], 10, v18
	s_mov_b64 s[14:15], -1
	s_and_saveexec_b64 s[16:17], s[0:1]
; %bb.173:
	v_cmp_eq_u32_e64 s[0:1], 0, v18
	s_orn2_b64 s[14:15], s[0:1], exec
; %bb.174:
	s_or_b64 exec, exec, s[16:17]
	s_and_b64 exec, exec, s[14:15]
	s_cbranch_execz .LBB852_177
; %bb.175:
	s_add_i32 s0, s2, 24
	s_cmp_gt_u32 s3, s0
	s_cselect_b64 s[14:15], -1, 0
	s_xor_b64 s[16:17], vcc, -1
	s_and_b64 s[14:15], s[14:15], s[16:17]
	s_and_b64 exec, exec, s[14:15]
	s_cbranch_execz .LBB852_177
; %bb.176:
	s_sub_i32 s1, s3, s0
	s_min_u32 s1, s1, 8
	v_lshrrev_b32_e32 v18, s0, v19
	v_bfe_u32 v18, v18, 0, s1
	v_lshlrev_b32_e32 v19, 2, v1
	v_lshl_or_b32 v18, v18, 4, v19
	v_mov_b32_e32 v19, 1
	ds_add_u32 v18, v19 offset:12288
.LBB852_177:
	s_or_b64 exec, exec, s[6:7]
	v_cmp_le_u32_e32 vcc, s13, v16
	s_or_b64 s[0:1], s[4:5], vcc
	v_xor_b32_e32 v17, 0x80000000, v17
	s_xor_b64 s[6:7], s[0:1], -1
	v_mov_b32_e32 v16, s18
	s_and_saveexec_b64 s[0:1], s[6:7]
	s_cbranch_execz .LBB852_179
; %bb.178:
	s_sub_i32 s6, s3, s2
	s_min_u32 s6, s6, 8
	v_lshrrev_b32_e32 v16, s2, v17
	v_bfe_u32 v16, v16, 0, s6
	v_lshlrev_b32_e32 v18, 2, v1
	v_lshl_or_b32 v16, v16, 4, v18
	v_mov_b32_e32 v18, 1
	ds_add_u32 v16, v18
	v_mov_b32_e32 v16, 0
.LBB852_179:
	s_or_b64 exec, exec, s[0:1]
	v_cmp_gt_i32_e64 s[0:1], 10, v16
	s_mov_b64 s[14:15], -1
	s_and_saveexec_b64 s[6:7], s[0:1]
; %bb.180:
	v_cmp_eq_u32_e64 s[0:1], 0, v16
	s_orn2_b64 s[14:15], s[0:1], exec
; %bb.181:
	s_or_b64 exec, exec, s[6:7]
	s_and_saveexec_b64 s[6:7], s[14:15]
	s_cbranch_execz .LBB852_194
; %bb.182:
	s_add_i32 s14, s2, 8
	s_cmp_le_u32 s3, s14
	s_cselect_b64 s[0:1], -1, 0
	s_and_b64 s[16:17], s[0:1], exec
	s_cselect_b32 s15, 8, 10
	s_or_b64 s[0:1], s[0:1], vcc
	s_xor_b64 s[16:17], s[0:1], -1
	v_mov_b32_e32 v16, s15
	s_and_saveexec_b64 s[0:1], s[16:17]
	s_cbranch_execz .LBB852_184
; %bb.183:
	s_sub_i32 s15, s3, s14
	s_min_u32 s15, s15, 8
	v_lshrrev_b32_e32 v16, s14, v17
	v_bfe_u32 v16, v16, 0, s15
	v_lshlrev_b32_e32 v18, 2, v1
	v_lshl_or_b32 v16, v16, 4, v18
	v_mov_b32_e32 v18, 1
	ds_add_u32 v16, v18 offset:4096
	v_mov_b32_e32 v16, 0
.LBB852_184:
	s_or_b64 exec, exec, s[0:1]
	v_cmp_gt_i32_e64 s[0:1], 10, v16
	s_mov_b64 s[14:15], -1
	s_and_saveexec_b64 s[16:17], s[0:1]
; %bb.185:
	v_cmp_eq_u32_e64 s[0:1], 0, v16
	s_orn2_b64 s[14:15], s[0:1], exec
; %bb.186:
	s_or_b64 exec, exec, s[16:17]
	s_and_b64 exec, exec, s[14:15]
	s_cbranch_execz .LBB852_194
; %bb.187:
	s_add_i32 s14, s2, 16
	s_cmp_le_u32 s3, s14
	s_cselect_b64 s[0:1], -1, 0
	s_and_b64 s[16:17], s[0:1], exec
	s_cselect_b32 s15, 8, 10
	s_or_b64 s[0:1], s[0:1], vcc
	s_xor_b64 s[16:17], s[0:1], -1
	v_mov_b32_e32 v16, s15
	s_and_saveexec_b64 s[0:1], s[16:17]
	s_cbranch_execz .LBB852_189
; %bb.188:
	s_sub_i32 s15, s3, s14
	s_min_u32 s15, s15, 8
	v_lshrrev_b32_e32 v16, s14, v17
	v_bfe_u32 v16, v16, 0, s15
	v_lshlrev_b32_e32 v18, 2, v1
	v_lshl_or_b32 v16, v16, 4, v18
	v_mov_b32_e32 v18, 1
	ds_add_u32 v16, v18 offset:8192
	v_mov_b32_e32 v16, 0
.LBB852_189:
	s_or_b64 exec, exec, s[0:1]
	v_cmp_gt_i32_e64 s[0:1], 10, v16
	s_mov_b64 s[14:15], -1
	s_and_saveexec_b64 s[16:17], s[0:1]
; %bb.190:
	v_cmp_eq_u32_e64 s[0:1], 0, v16
	s_orn2_b64 s[14:15], s[0:1], exec
; %bb.191:
	s_or_b64 exec, exec, s[16:17]
	s_and_b64 exec, exec, s[14:15]
	s_cbranch_execz .LBB852_194
; %bb.192:
	s_add_i32 s0, s2, 24
	s_cmp_gt_u32 s3, s0
	s_cselect_b64 s[14:15], -1, 0
	s_xor_b64 s[16:17], vcc, -1
	s_and_b64 s[14:15], s[14:15], s[16:17]
	s_and_b64 exec, exec, s[14:15]
	s_cbranch_execz .LBB852_194
; %bb.193:
	s_sub_i32 s1, s3, s0
	s_min_u32 s1, s1, 8
	v_lshrrev_b32_e32 v16, s0, v17
	v_bfe_u32 v16, v16, 0, s1
	v_lshlrev_b32_e32 v17, 2, v1
	v_lshl_or_b32 v16, v16, 4, v17
	v_mov_b32_e32 v17, 1
	ds_add_u32 v16, v17 offset:12288
.LBB852_194:
	s_or_b64 exec, exec, s[6:7]
	v_cmp_le_u32_e32 vcc, s13, v14
	s_or_b64 s[0:1], s[4:5], vcc
	v_xor_b32_e32 v15, 0x80000000, v15
	s_xor_b64 s[6:7], s[0:1], -1
	v_mov_b32_e32 v14, s18
	s_and_saveexec_b64 s[0:1], s[6:7]
	s_cbranch_execz .LBB852_196
; %bb.195:
	s_sub_i32 s6, s3, s2
	s_min_u32 s6, s6, 8
	v_lshrrev_b32_e32 v14, s2, v15
	v_bfe_u32 v14, v14, 0, s6
	v_lshlrev_b32_e32 v16, 2, v1
	v_lshl_or_b32 v14, v14, 4, v16
	v_mov_b32_e32 v16, 1
	ds_add_u32 v14, v16
	v_mov_b32_e32 v14, 0
.LBB852_196:
	s_or_b64 exec, exec, s[0:1]
	v_cmp_gt_i32_e64 s[0:1], 10, v14
	s_mov_b64 s[14:15], -1
	s_and_saveexec_b64 s[6:7], s[0:1]
; %bb.197:
	v_cmp_eq_u32_e64 s[0:1], 0, v14
	s_orn2_b64 s[14:15], s[0:1], exec
; %bb.198:
	s_or_b64 exec, exec, s[6:7]
	s_and_saveexec_b64 s[6:7], s[14:15]
	s_cbranch_execz .LBB852_211
; %bb.199:
	s_add_i32 s14, s2, 8
	s_cmp_le_u32 s3, s14
	s_cselect_b64 s[0:1], -1, 0
	s_and_b64 s[16:17], s[0:1], exec
	s_cselect_b32 s15, 8, 10
	s_or_b64 s[0:1], s[0:1], vcc
	s_xor_b64 s[16:17], s[0:1], -1
	v_mov_b32_e32 v14, s15
	s_and_saveexec_b64 s[0:1], s[16:17]
	s_cbranch_execz .LBB852_201
; %bb.200:
	s_sub_i32 s15, s3, s14
	s_min_u32 s15, s15, 8
	v_lshrrev_b32_e32 v14, s14, v15
	v_bfe_u32 v14, v14, 0, s15
	v_lshlrev_b32_e32 v16, 2, v1
	v_lshl_or_b32 v14, v14, 4, v16
	v_mov_b32_e32 v16, 1
	ds_add_u32 v14, v16 offset:4096
	v_mov_b32_e32 v14, 0
.LBB852_201:
	s_or_b64 exec, exec, s[0:1]
	v_cmp_gt_i32_e64 s[0:1], 10, v14
	s_mov_b64 s[14:15], -1
	s_and_saveexec_b64 s[16:17], s[0:1]
; %bb.202:
	v_cmp_eq_u32_e64 s[0:1], 0, v14
	s_orn2_b64 s[14:15], s[0:1], exec
; %bb.203:
	s_or_b64 exec, exec, s[16:17]
	s_and_b64 exec, exec, s[14:15]
	s_cbranch_execz .LBB852_211
; %bb.204:
	s_add_i32 s14, s2, 16
	s_cmp_le_u32 s3, s14
	s_cselect_b64 s[0:1], -1, 0
	s_and_b64 s[16:17], s[0:1], exec
	s_cselect_b32 s15, 8, 10
	s_or_b64 s[0:1], s[0:1], vcc
	s_xor_b64 s[16:17], s[0:1], -1
	v_mov_b32_e32 v14, s15
	s_and_saveexec_b64 s[0:1], s[16:17]
	s_cbranch_execz .LBB852_206
; %bb.205:
	s_sub_i32 s15, s3, s14
	s_min_u32 s15, s15, 8
	v_lshrrev_b32_e32 v14, s14, v15
	v_bfe_u32 v14, v14, 0, s15
	v_lshlrev_b32_e32 v16, 2, v1
	v_lshl_or_b32 v14, v14, 4, v16
	v_mov_b32_e32 v16, 1
	ds_add_u32 v14, v16 offset:8192
	v_mov_b32_e32 v14, 0
.LBB852_206:
	s_or_b64 exec, exec, s[0:1]
	v_cmp_gt_i32_e64 s[0:1], 10, v14
	s_mov_b64 s[14:15], -1
	s_and_saveexec_b64 s[16:17], s[0:1]
; %bb.207:
	v_cmp_eq_u32_e64 s[0:1], 0, v14
	s_orn2_b64 s[14:15], s[0:1], exec
; %bb.208:
	s_or_b64 exec, exec, s[16:17]
	s_and_b64 exec, exec, s[14:15]
	s_cbranch_execz .LBB852_211
; %bb.209:
	s_add_i32 s0, s2, 24
	s_cmp_gt_u32 s3, s0
	s_cselect_b64 s[14:15], -1, 0
	s_xor_b64 s[16:17], vcc, -1
	s_and_b64 s[14:15], s[14:15], s[16:17]
	s_and_b64 exec, exec, s[14:15]
	s_cbranch_execz .LBB852_211
; %bb.210:
	s_sub_i32 s1, s3, s0
	s_min_u32 s1, s1, 8
	v_lshrrev_b32_e32 v14, s0, v15
	v_bfe_u32 v14, v14, 0, s1
	v_lshlrev_b32_e32 v15, 2, v1
	v_lshl_or_b32 v14, v14, 4, v15
	v_mov_b32_e32 v15, 1
	ds_add_u32 v14, v15 offset:12288
.LBB852_211:
	s_or_b64 exec, exec, s[6:7]
	v_cmp_le_u32_e32 vcc, s13, v12
	s_or_b64 s[0:1], s[4:5], vcc
	v_xor_b32_e32 v13, 0x80000000, v13
	s_xor_b64 s[6:7], s[0:1], -1
	v_mov_b32_e32 v12, s18
	s_and_saveexec_b64 s[0:1], s[6:7]
	s_cbranch_execz .LBB852_213
; %bb.212:
	s_sub_i32 s6, s3, s2
	s_min_u32 s6, s6, 8
	v_lshrrev_b32_e32 v12, s2, v13
	v_bfe_u32 v12, v12, 0, s6
	v_lshlrev_b32_e32 v14, 2, v1
	v_lshl_or_b32 v12, v12, 4, v14
	v_mov_b32_e32 v14, 1
	ds_add_u32 v12, v14
	v_mov_b32_e32 v12, 0
.LBB852_213:
	s_or_b64 exec, exec, s[0:1]
	v_cmp_gt_i32_e64 s[0:1], 10, v12
	s_mov_b64 s[14:15], -1
	s_and_saveexec_b64 s[6:7], s[0:1]
; %bb.214:
	v_cmp_eq_u32_e64 s[0:1], 0, v12
	s_orn2_b64 s[14:15], s[0:1], exec
; %bb.215:
	s_or_b64 exec, exec, s[6:7]
	s_and_saveexec_b64 s[6:7], s[14:15]
	s_cbranch_execz .LBB852_228
; %bb.216:
	s_add_i32 s14, s2, 8
	s_cmp_le_u32 s3, s14
	s_cselect_b64 s[0:1], -1, 0
	s_and_b64 s[16:17], s[0:1], exec
	s_cselect_b32 s15, 8, 10
	s_or_b64 s[0:1], s[0:1], vcc
	s_xor_b64 s[16:17], s[0:1], -1
	v_mov_b32_e32 v12, s15
	s_and_saveexec_b64 s[0:1], s[16:17]
	s_cbranch_execz .LBB852_218
; %bb.217:
	s_sub_i32 s15, s3, s14
	s_min_u32 s15, s15, 8
	v_lshrrev_b32_e32 v12, s14, v13
	v_bfe_u32 v12, v12, 0, s15
	v_lshlrev_b32_e32 v14, 2, v1
	v_lshl_or_b32 v12, v12, 4, v14
	v_mov_b32_e32 v14, 1
	ds_add_u32 v12, v14 offset:4096
	v_mov_b32_e32 v12, 0
.LBB852_218:
	s_or_b64 exec, exec, s[0:1]
	v_cmp_gt_i32_e64 s[0:1], 10, v12
	s_mov_b64 s[14:15], -1
	s_and_saveexec_b64 s[16:17], s[0:1]
; %bb.219:
	v_cmp_eq_u32_e64 s[0:1], 0, v12
	s_orn2_b64 s[14:15], s[0:1], exec
; %bb.220:
	s_or_b64 exec, exec, s[16:17]
	s_and_b64 exec, exec, s[14:15]
	s_cbranch_execz .LBB852_228
; %bb.221:
	s_add_i32 s14, s2, 16
	s_cmp_le_u32 s3, s14
	s_cselect_b64 s[0:1], -1, 0
	s_and_b64 s[16:17], s[0:1], exec
	s_cselect_b32 s15, 8, 10
	s_or_b64 s[0:1], s[0:1], vcc
	s_xor_b64 s[16:17], s[0:1], -1
	v_mov_b32_e32 v12, s15
	s_and_saveexec_b64 s[0:1], s[16:17]
	s_cbranch_execz .LBB852_223
; %bb.222:
	s_sub_i32 s15, s3, s14
	s_min_u32 s15, s15, 8
	v_lshrrev_b32_e32 v12, s14, v13
	v_bfe_u32 v12, v12, 0, s15
	v_lshlrev_b32_e32 v14, 2, v1
	v_lshl_or_b32 v12, v12, 4, v14
	v_mov_b32_e32 v14, 1
	ds_add_u32 v12, v14 offset:8192
	v_mov_b32_e32 v12, 0
.LBB852_223:
	s_or_b64 exec, exec, s[0:1]
	v_cmp_gt_i32_e64 s[0:1], 10, v12
	s_mov_b64 s[14:15], -1
	s_and_saveexec_b64 s[16:17], s[0:1]
; %bb.224:
	v_cmp_eq_u32_e64 s[0:1], 0, v12
	s_orn2_b64 s[14:15], s[0:1], exec
; %bb.225:
	s_or_b64 exec, exec, s[16:17]
	s_and_b64 exec, exec, s[14:15]
	s_cbranch_execz .LBB852_228
; %bb.226:
	s_add_i32 s0, s2, 24
	s_cmp_gt_u32 s3, s0
	s_cselect_b64 s[14:15], -1, 0
	s_xor_b64 s[16:17], vcc, -1
	s_and_b64 s[14:15], s[14:15], s[16:17]
	s_and_b64 exec, exec, s[14:15]
	s_cbranch_execz .LBB852_228
; %bb.227:
	s_sub_i32 s1, s3, s0
	s_min_u32 s1, s1, 8
	v_lshrrev_b32_e32 v12, s0, v13
	v_bfe_u32 v12, v12, 0, s1
	v_lshlrev_b32_e32 v13, 2, v1
	v_lshl_or_b32 v12, v12, 4, v13
	v_mov_b32_e32 v13, 1
	ds_add_u32 v12, v13 offset:12288
.LBB852_228:
	s_or_b64 exec, exec, s[6:7]
	v_cmp_le_u32_e32 vcc, s13, v10
	s_or_b64 s[0:1], s[4:5], vcc
	v_xor_b32_e32 v11, 0x80000000, v11
	s_xor_b64 s[6:7], s[0:1], -1
	v_mov_b32_e32 v10, s18
	s_and_saveexec_b64 s[0:1], s[6:7]
	s_cbranch_execz .LBB852_230
; %bb.229:
	s_sub_i32 s6, s3, s2
	s_min_u32 s6, s6, 8
	v_lshrrev_b32_e32 v10, s2, v11
	v_bfe_u32 v10, v10, 0, s6
	v_lshlrev_b32_e32 v12, 2, v1
	v_lshl_or_b32 v10, v10, 4, v12
	v_mov_b32_e32 v12, 1
	ds_add_u32 v10, v12
	v_mov_b32_e32 v10, 0
.LBB852_230:
	s_or_b64 exec, exec, s[0:1]
	v_cmp_gt_i32_e64 s[0:1], 10, v10
	s_mov_b64 s[14:15], -1
	s_and_saveexec_b64 s[6:7], s[0:1]
; %bb.231:
	v_cmp_eq_u32_e64 s[0:1], 0, v10
	s_orn2_b64 s[14:15], s[0:1], exec
; %bb.232:
	s_or_b64 exec, exec, s[6:7]
	s_and_saveexec_b64 s[6:7], s[14:15]
	s_cbranch_execz .LBB852_245
; %bb.233:
	s_add_i32 s14, s2, 8
	s_cmp_le_u32 s3, s14
	s_cselect_b64 s[0:1], -1, 0
	s_and_b64 s[16:17], s[0:1], exec
	s_cselect_b32 s15, 8, 10
	s_or_b64 s[0:1], s[0:1], vcc
	s_xor_b64 s[16:17], s[0:1], -1
	v_mov_b32_e32 v10, s15
	s_and_saveexec_b64 s[0:1], s[16:17]
	s_cbranch_execz .LBB852_235
; %bb.234:
	s_sub_i32 s15, s3, s14
	s_min_u32 s15, s15, 8
	v_lshrrev_b32_e32 v10, s14, v11
	v_bfe_u32 v10, v10, 0, s15
	v_lshlrev_b32_e32 v12, 2, v1
	v_lshl_or_b32 v10, v10, 4, v12
	v_mov_b32_e32 v12, 1
	ds_add_u32 v10, v12 offset:4096
	v_mov_b32_e32 v10, 0
.LBB852_235:
	s_or_b64 exec, exec, s[0:1]
	v_cmp_gt_i32_e64 s[0:1], 10, v10
	s_mov_b64 s[14:15], -1
	s_and_saveexec_b64 s[16:17], s[0:1]
; %bb.236:
	v_cmp_eq_u32_e64 s[0:1], 0, v10
	s_orn2_b64 s[14:15], s[0:1], exec
; %bb.237:
	s_or_b64 exec, exec, s[16:17]
	s_and_b64 exec, exec, s[14:15]
	s_cbranch_execz .LBB852_245
; %bb.238:
	s_add_i32 s14, s2, 16
	s_cmp_le_u32 s3, s14
	s_cselect_b64 s[0:1], -1, 0
	s_and_b64 s[16:17], s[0:1], exec
	s_cselect_b32 s15, 8, 10
	s_or_b64 s[0:1], s[0:1], vcc
	s_xor_b64 s[16:17], s[0:1], -1
	v_mov_b32_e32 v10, s15
	s_and_saveexec_b64 s[0:1], s[16:17]
	s_cbranch_execz .LBB852_240
; %bb.239:
	s_sub_i32 s15, s3, s14
	s_min_u32 s15, s15, 8
	v_lshrrev_b32_e32 v10, s14, v11
	v_bfe_u32 v10, v10, 0, s15
	v_lshlrev_b32_e32 v12, 2, v1
	v_lshl_or_b32 v10, v10, 4, v12
	v_mov_b32_e32 v12, 1
	ds_add_u32 v10, v12 offset:8192
	v_mov_b32_e32 v10, 0
.LBB852_240:
	s_or_b64 exec, exec, s[0:1]
	v_cmp_gt_i32_e64 s[0:1], 10, v10
	s_mov_b64 s[14:15], -1
	s_and_saveexec_b64 s[16:17], s[0:1]
; %bb.241:
	v_cmp_eq_u32_e64 s[0:1], 0, v10
	s_orn2_b64 s[14:15], s[0:1], exec
; %bb.242:
	s_or_b64 exec, exec, s[16:17]
	s_and_b64 exec, exec, s[14:15]
	s_cbranch_execz .LBB852_245
; %bb.243:
	s_add_i32 s0, s2, 24
	s_cmp_gt_u32 s3, s0
	s_cselect_b64 s[14:15], -1, 0
	s_xor_b64 s[16:17], vcc, -1
	s_and_b64 s[14:15], s[14:15], s[16:17]
	s_and_b64 exec, exec, s[14:15]
	s_cbranch_execz .LBB852_245
; %bb.244:
	s_sub_i32 s1, s3, s0
	s_min_u32 s1, s1, 8
	v_lshrrev_b32_e32 v10, s0, v11
	v_bfe_u32 v10, v10, 0, s1
	v_lshlrev_b32_e32 v11, 2, v1
	v_lshl_or_b32 v10, v10, 4, v11
	v_mov_b32_e32 v11, 1
	ds_add_u32 v10, v11 offset:12288
.LBB852_245:
	s_or_b64 exec, exec, s[6:7]
	v_cmp_le_u32_e32 vcc, s13, v8
	s_or_b64 s[0:1], s[4:5], vcc
	v_xor_b32_e32 v9, 0x80000000, v9
	s_xor_b64 s[6:7], s[0:1], -1
	v_mov_b32_e32 v8, s18
	s_and_saveexec_b64 s[0:1], s[6:7]
	s_cbranch_execz .LBB852_247
; %bb.246:
	s_sub_i32 s6, s3, s2
	s_min_u32 s6, s6, 8
	v_lshrrev_b32_e32 v8, s2, v9
	v_bfe_u32 v8, v8, 0, s6
	v_lshlrev_b32_e32 v10, 2, v1
	v_lshl_or_b32 v8, v8, 4, v10
	v_mov_b32_e32 v10, 1
	ds_add_u32 v8, v10
	v_mov_b32_e32 v8, 0
.LBB852_247:
	s_or_b64 exec, exec, s[0:1]
	v_cmp_gt_i32_e64 s[0:1], 10, v8
	s_mov_b64 s[14:15], -1
	s_and_saveexec_b64 s[6:7], s[0:1]
; %bb.248:
	v_cmp_eq_u32_e64 s[0:1], 0, v8
	s_orn2_b64 s[14:15], s[0:1], exec
; %bb.249:
	s_or_b64 exec, exec, s[6:7]
	s_and_saveexec_b64 s[6:7], s[14:15]
	s_cbranch_execz .LBB852_262
; %bb.250:
	s_add_i32 s14, s2, 8
	s_cmp_le_u32 s3, s14
	s_cselect_b64 s[0:1], -1, 0
	s_and_b64 s[16:17], s[0:1], exec
	s_cselect_b32 s15, 8, 10
	s_or_b64 s[0:1], s[0:1], vcc
	s_xor_b64 s[16:17], s[0:1], -1
	v_mov_b32_e32 v8, s15
	s_and_saveexec_b64 s[0:1], s[16:17]
	s_cbranch_execz .LBB852_252
; %bb.251:
	s_sub_i32 s15, s3, s14
	s_min_u32 s15, s15, 8
	v_lshrrev_b32_e32 v8, s14, v9
	v_bfe_u32 v8, v8, 0, s15
	v_lshlrev_b32_e32 v10, 2, v1
	v_lshl_or_b32 v8, v8, 4, v10
	v_mov_b32_e32 v10, 1
	ds_add_u32 v8, v10 offset:4096
	v_mov_b32_e32 v8, 0
.LBB852_252:
	s_or_b64 exec, exec, s[0:1]
	v_cmp_gt_i32_e64 s[0:1], 10, v8
	s_mov_b64 s[14:15], -1
	s_and_saveexec_b64 s[16:17], s[0:1]
; %bb.253:
	v_cmp_eq_u32_e64 s[0:1], 0, v8
	s_orn2_b64 s[14:15], s[0:1], exec
; %bb.254:
	s_or_b64 exec, exec, s[16:17]
	s_and_b64 exec, exec, s[14:15]
	s_cbranch_execz .LBB852_262
; %bb.255:
	s_add_i32 s14, s2, 16
	s_cmp_le_u32 s3, s14
	s_cselect_b64 s[0:1], -1, 0
	s_and_b64 s[16:17], s[0:1], exec
	s_cselect_b32 s15, 8, 10
	s_or_b64 s[0:1], s[0:1], vcc
	s_xor_b64 s[16:17], s[0:1], -1
	v_mov_b32_e32 v8, s15
	s_and_saveexec_b64 s[0:1], s[16:17]
	s_cbranch_execz .LBB852_257
; %bb.256:
	s_sub_i32 s15, s3, s14
	s_min_u32 s15, s15, 8
	v_lshrrev_b32_e32 v8, s14, v9
	v_bfe_u32 v8, v8, 0, s15
	v_lshlrev_b32_e32 v10, 2, v1
	v_lshl_or_b32 v8, v8, 4, v10
	v_mov_b32_e32 v10, 1
	ds_add_u32 v8, v10 offset:8192
	v_mov_b32_e32 v8, 0
.LBB852_257:
	s_or_b64 exec, exec, s[0:1]
	v_cmp_gt_i32_e64 s[0:1], 10, v8
	s_mov_b64 s[14:15], -1
	s_and_saveexec_b64 s[16:17], s[0:1]
; %bb.258:
	v_cmp_eq_u32_e64 s[0:1], 0, v8
	s_orn2_b64 s[14:15], s[0:1], exec
; %bb.259:
	s_or_b64 exec, exec, s[16:17]
	s_and_b64 exec, exec, s[14:15]
	s_cbranch_execz .LBB852_262
; %bb.260:
	s_add_i32 s0, s2, 24
	s_cmp_gt_u32 s3, s0
	s_cselect_b64 s[14:15], -1, 0
	s_xor_b64 s[16:17], vcc, -1
	s_and_b64 s[14:15], s[14:15], s[16:17]
	s_and_b64 exec, exec, s[14:15]
	s_cbranch_execz .LBB852_262
; %bb.261:
	s_sub_i32 s1, s3, s0
	s_min_u32 s1, s1, 8
	v_lshrrev_b32_e32 v8, s0, v9
	v_bfe_u32 v8, v8, 0, s1
	v_lshlrev_b32_e32 v9, 2, v1
	v_lshl_or_b32 v8, v8, 4, v9
	v_mov_b32_e32 v9, 1
	ds_add_u32 v8, v9 offset:12288
.LBB852_262:
	s_or_b64 exec, exec, s[6:7]
	v_cmp_le_u32_e32 vcc, s13, v6
	s_or_b64 s[0:1], s[4:5], vcc
	v_xor_b32_e32 v7, 0x80000000, v7
	s_xor_b64 s[6:7], s[0:1], -1
	v_mov_b32_e32 v6, s18
	s_and_saveexec_b64 s[0:1], s[6:7]
	s_cbranch_execz .LBB852_264
; %bb.263:
	s_sub_i32 s6, s3, s2
	s_min_u32 s6, s6, 8
	v_lshrrev_b32_e32 v6, s2, v7
	v_bfe_u32 v6, v6, 0, s6
	v_lshlrev_b32_e32 v8, 2, v1
	v_lshl_or_b32 v6, v6, 4, v8
	v_mov_b32_e32 v8, 1
	ds_add_u32 v6, v8
	v_mov_b32_e32 v6, 0
.LBB852_264:
	s_or_b64 exec, exec, s[0:1]
	v_cmp_gt_i32_e64 s[0:1], 10, v6
	s_mov_b64 s[14:15], -1
	s_and_saveexec_b64 s[6:7], s[0:1]
; %bb.265:
	v_cmp_eq_u32_e64 s[0:1], 0, v6
	s_orn2_b64 s[14:15], s[0:1], exec
; %bb.266:
	s_or_b64 exec, exec, s[6:7]
	s_and_saveexec_b64 s[6:7], s[14:15]
	s_cbranch_execz .LBB852_279
; %bb.267:
	s_add_i32 s14, s2, 8
	s_cmp_le_u32 s3, s14
	s_cselect_b64 s[0:1], -1, 0
	s_and_b64 s[16:17], s[0:1], exec
	s_cselect_b32 s15, 8, 10
	s_or_b64 s[0:1], s[0:1], vcc
	s_xor_b64 s[16:17], s[0:1], -1
	v_mov_b32_e32 v6, s15
	s_and_saveexec_b64 s[0:1], s[16:17]
	s_cbranch_execz .LBB852_269
; %bb.268:
	s_sub_i32 s15, s3, s14
	s_min_u32 s15, s15, 8
	v_lshrrev_b32_e32 v6, s14, v7
	v_bfe_u32 v6, v6, 0, s15
	v_lshlrev_b32_e32 v8, 2, v1
	v_lshl_or_b32 v6, v6, 4, v8
	v_mov_b32_e32 v8, 1
	ds_add_u32 v6, v8 offset:4096
	v_mov_b32_e32 v6, 0
.LBB852_269:
	s_or_b64 exec, exec, s[0:1]
	v_cmp_gt_i32_e64 s[0:1], 10, v6
	s_mov_b64 s[14:15], -1
	s_and_saveexec_b64 s[16:17], s[0:1]
; %bb.270:
	v_cmp_eq_u32_e64 s[0:1], 0, v6
	s_orn2_b64 s[14:15], s[0:1], exec
; %bb.271:
	s_or_b64 exec, exec, s[16:17]
	s_and_b64 exec, exec, s[14:15]
	s_cbranch_execz .LBB852_279
; %bb.272:
	s_add_i32 s14, s2, 16
	s_cmp_le_u32 s3, s14
	s_cselect_b64 s[0:1], -1, 0
	s_and_b64 s[16:17], s[0:1], exec
	s_cselect_b32 s15, 8, 10
	s_or_b64 s[0:1], s[0:1], vcc
	s_xor_b64 s[16:17], s[0:1], -1
	v_mov_b32_e32 v6, s15
	s_and_saveexec_b64 s[0:1], s[16:17]
	s_cbranch_execz .LBB852_274
; %bb.273:
	s_sub_i32 s15, s3, s14
	s_min_u32 s15, s15, 8
	v_lshrrev_b32_e32 v6, s14, v7
	v_bfe_u32 v6, v6, 0, s15
	v_lshlrev_b32_e32 v8, 2, v1
	v_lshl_or_b32 v6, v6, 4, v8
	v_mov_b32_e32 v8, 1
	ds_add_u32 v6, v8 offset:8192
	v_mov_b32_e32 v6, 0
.LBB852_274:
	s_or_b64 exec, exec, s[0:1]
	v_cmp_gt_i32_e64 s[0:1], 10, v6
	s_mov_b64 s[14:15], -1
	s_and_saveexec_b64 s[16:17], s[0:1]
; %bb.275:
	v_cmp_eq_u32_e64 s[0:1], 0, v6
	s_orn2_b64 s[14:15], s[0:1], exec
; %bb.276:
	s_or_b64 exec, exec, s[16:17]
	s_and_b64 exec, exec, s[14:15]
	s_cbranch_execz .LBB852_279
; %bb.277:
	s_add_i32 s0, s2, 24
	s_cmp_gt_u32 s3, s0
	s_cselect_b64 s[14:15], -1, 0
	s_xor_b64 s[16:17], vcc, -1
	s_and_b64 s[14:15], s[14:15], s[16:17]
	s_and_b64 exec, exec, s[14:15]
	s_cbranch_execz .LBB852_279
; %bb.278:
	s_sub_i32 s1, s3, s0
	s_min_u32 s1, s1, 8
	v_lshrrev_b32_e32 v6, s0, v7
	v_bfe_u32 v6, v6, 0, s1
	v_lshlrev_b32_e32 v7, 2, v1
	v_lshl_or_b32 v6, v6, 4, v7
	v_mov_b32_e32 v7, 1
	ds_add_u32 v6, v7 offset:12288
.LBB852_279:
	s_or_b64 exec, exec, s[6:7]
	v_cmp_le_u32_e32 vcc, s13, v4
	s_or_b64 s[0:1], s[4:5], vcc
	v_xor_b32_e32 v5, 0x80000000, v5
	s_xor_b64 s[6:7], s[0:1], -1
	v_mov_b32_e32 v4, s18
	s_and_saveexec_b64 s[0:1], s[6:7]
	s_cbranch_execz .LBB852_281
; %bb.280:
	s_sub_i32 s6, s3, s2
	s_min_u32 s6, s6, 8
	v_lshrrev_b32_e32 v4, s2, v5
	v_bfe_u32 v4, v4, 0, s6
	v_lshlrev_b32_e32 v6, 2, v1
	v_lshl_or_b32 v4, v4, 4, v6
	v_mov_b32_e32 v6, 1
	ds_add_u32 v4, v6
	v_mov_b32_e32 v4, 0
.LBB852_281:
	s_or_b64 exec, exec, s[0:1]
	v_cmp_gt_i32_e64 s[0:1], 10, v4
	s_mov_b64 s[14:15], -1
	s_and_saveexec_b64 s[6:7], s[0:1]
; %bb.282:
	v_cmp_eq_u32_e64 s[0:1], 0, v4
	s_orn2_b64 s[14:15], s[0:1], exec
; %bb.283:
	s_or_b64 exec, exec, s[6:7]
	s_and_saveexec_b64 s[6:7], s[14:15]
	s_cbranch_execz .LBB852_296
; %bb.284:
	s_add_i32 s14, s2, 8
	s_cmp_le_u32 s3, s14
	s_cselect_b64 s[0:1], -1, 0
	s_and_b64 s[16:17], s[0:1], exec
	s_cselect_b32 s15, 8, 10
	s_or_b64 s[0:1], s[0:1], vcc
	s_xor_b64 s[16:17], s[0:1], -1
	v_mov_b32_e32 v4, s15
	s_and_saveexec_b64 s[0:1], s[16:17]
	s_cbranch_execz .LBB852_286
; %bb.285:
	s_sub_i32 s15, s3, s14
	s_min_u32 s15, s15, 8
	v_lshrrev_b32_e32 v4, s14, v5
	v_bfe_u32 v4, v4, 0, s15
	v_lshlrev_b32_e32 v6, 2, v1
	v_lshl_or_b32 v4, v4, 4, v6
	v_mov_b32_e32 v6, 1
	ds_add_u32 v4, v6 offset:4096
	v_mov_b32_e32 v4, 0
.LBB852_286:
	s_or_b64 exec, exec, s[0:1]
	v_cmp_gt_i32_e64 s[0:1], 10, v4
	s_mov_b64 s[14:15], -1
	s_and_saveexec_b64 s[16:17], s[0:1]
; %bb.287:
	v_cmp_eq_u32_e64 s[0:1], 0, v4
	s_orn2_b64 s[14:15], s[0:1], exec
; %bb.288:
	s_or_b64 exec, exec, s[16:17]
	s_and_b64 exec, exec, s[14:15]
	s_cbranch_execz .LBB852_296
; %bb.289:
	s_add_i32 s14, s2, 16
	s_cmp_le_u32 s3, s14
	s_cselect_b64 s[0:1], -1, 0
	s_and_b64 s[16:17], s[0:1], exec
	s_cselect_b32 s15, 8, 10
	s_or_b64 s[0:1], s[0:1], vcc
	s_xor_b64 s[16:17], s[0:1], -1
	v_mov_b32_e32 v4, s15
	s_and_saveexec_b64 s[0:1], s[16:17]
	s_cbranch_execz .LBB852_291
; %bb.290:
	s_sub_i32 s15, s3, s14
	s_min_u32 s15, s15, 8
	v_lshrrev_b32_e32 v4, s14, v5
	v_bfe_u32 v4, v4, 0, s15
	v_lshlrev_b32_e32 v6, 2, v1
	v_lshl_or_b32 v4, v4, 4, v6
	v_mov_b32_e32 v6, 1
	ds_add_u32 v4, v6 offset:8192
	v_mov_b32_e32 v4, 0
.LBB852_291:
	s_or_b64 exec, exec, s[0:1]
	v_cmp_gt_i32_e64 s[0:1], 10, v4
	s_mov_b64 s[14:15], -1
	s_and_saveexec_b64 s[16:17], s[0:1]
; %bb.292:
	v_cmp_eq_u32_e64 s[0:1], 0, v4
	s_orn2_b64 s[14:15], s[0:1], exec
; %bb.293:
	s_or_b64 exec, exec, s[16:17]
	s_and_b64 exec, exec, s[14:15]
	s_cbranch_execz .LBB852_296
; %bb.294:
	s_add_i32 s0, s2, 24
	s_cmp_gt_u32 s3, s0
	s_cselect_b64 s[14:15], -1, 0
	s_xor_b64 s[16:17], vcc, -1
	s_and_b64 s[14:15], s[14:15], s[16:17]
	s_and_b64 exec, exec, s[14:15]
	s_cbranch_execz .LBB852_296
; %bb.295:
	s_sub_i32 s1, s3, s0
	s_min_u32 s1, s1, 8
	v_lshrrev_b32_e32 v4, s0, v5
	v_bfe_u32 v4, v4, 0, s1
	v_lshlrev_b32_e32 v5, 2, v1
	v_lshl_or_b32 v4, v4, 4, v5
	v_mov_b32_e32 v5, 1
	ds_add_u32 v4, v5 offset:12288
.LBB852_296:
	s_or_b64 exec, exec, s[6:7]
	v_cmp_le_u32_e32 vcc, s13, v2
	s_or_b64 s[0:1], s[4:5], vcc
	v_xor_b32_e32 v3, 0x80000000, v3
	s_xor_b64 s[4:5], s[0:1], -1
	v_mov_b32_e32 v2, s18
	s_and_saveexec_b64 s[0:1], s[4:5]
	s_cbranch_execz .LBB852_298
; %bb.297:
	s_sub_i32 s4, s3, s2
	s_min_u32 s4, s4, 8
	v_lshrrev_b32_e32 v2, s2, v3
	v_bfe_u32 v2, v2, 0, s4
	v_lshlrev_b32_e32 v4, 2, v1
	v_lshl_or_b32 v2, v2, 4, v4
	v_mov_b32_e32 v4, 1
	ds_add_u32 v2, v4
	v_mov_b32_e32 v2, 0
.LBB852_298:
	s_or_b64 exec, exec, s[0:1]
	v_cmp_gt_i32_e64 s[0:1], 10, v2
	s_mov_b64 s[6:7], -1
	s_and_saveexec_b64 s[4:5], s[0:1]
; %bb.299:
	v_cmp_eq_u32_e64 s[0:1], 0, v2
	s_orn2_b64 s[6:7], s[0:1], exec
; %bb.300:
	s_or_b64 exec, exec, s[4:5]
	s_and_saveexec_b64 s[4:5], s[6:7]
	s_cbranch_execz .LBB852_313
; %bb.301:
	s_add_i32 s6, s2, 8
	s_cmp_le_u32 s3, s6
	s_cselect_b64 s[0:1], -1, 0
	s_and_b64 s[14:15], s[0:1], exec
	s_cselect_b32 s7, 8, 10
	s_or_b64 s[0:1], s[0:1], vcc
	s_xor_b64 s[14:15], s[0:1], -1
	v_mov_b32_e32 v2, s7
	s_and_saveexec_b64 s[0:1], s[14:15]
	s_cbranch_execz .LBB852_303
; %bb.302:
	s_sub_i32 s7, s3, s6
	s_min_u32 s7, s7, 8
	v_lshrrev_b32_e32 v2, s6, v3
	v_bfe_u32 v2, v2, 0, s7
	v_lshlrev_b32_e32 v4, 2, v1
	v_lshl_or_b32 v2, v2, 4, v4
	v_mov_b32_e32 v4, 1
	ds_add_u32 v2, v4 offset:4096
	v_mov_b32_e32 v2, 0
.LBB852_303:
	s_or_b64 exec, exec, s[0:1]
	v_cmp_gt_i32_e64 s[0:1], 10, v2
	s_mov_b64 s[6:7], -1
	s_and_saveexec_b64 s[14:15], s[0:1]
; %bb.304:
	v_cmp_eq_u32_e64 s[0:1], 0, v2
	s_orn2_b64 s[6:7], s[0:1], exec
; %bb.305:
	s_or_b64 exec, exec, s[14:15]
	s_and_b64 exec, exec, s[6:7]
	s_cbranch_execz .LBB852_313
; %bb.306:
	s_add_i32 s6, s2, 16
	s_cmp_le_u32 s3, s6
	s_cselect_b64 s[0:1], -1, 0
	s_and_b64 s[14:15], s[0:1], exec
	s_cselect_b32 s7, 8, 10
	s_or_b64 s[0:1], s[0:1], vcc
	s_xor_b64 s[14:15], s[0:1], -1
	v_mov_b32_e32 v2, s7
	s_and_saveexec_b64 s[0:1], s[14:15]
	s_cbranch_execz .LBB852_308
; %bb.307:
	s_sub_i32 s7, s3, s6
	s_min_u32 s7, s7, 8
	v_lshrrev_b32_e32 v2, s6, v3
	v_bfe_u32 v2, v2, 0, s7
	v_lshlrev_b32_e32 v4, 2, v1
	v_lshl_or_b32 v2, v2, 4, v4
	v_mov_b32_e32 v4, 1
	ds_add_u32 v2, v4 offset:8192
	v_mov_b32_e32 v2, 0
.LBB852_308:
	s_or_b64 exec, exec, s[0:1]
	v_cmp_gt_i32_e64 s[0:1], 10, v2
	s_mov_b64 s[6:7], -1
	s_and_saveexec_b64 s[14:15], s[0:1]
; %bb.309:
	v_cmp_eq_u32_e64 s[0:1], 0, v2
	s_orn2_b64 s[6:7], s[0:1], exec
; %bb.310:
	s_or_b64 exec, exec, s[14:15]
	s_and_b64 exec, exec, s[6:7]
	s_cbranch_execz .LBB852_313
; %bb.311:
	s_add_i32 s0, s2, 24
	s_cmp_gt_u32 s3, s0
	s_cselect_b64 s[6:7], -1, 0
	s_xor_b64 s[14:15], vcc, -1
	s_and_b64 s[6:7], s[6:7], s[14:15]
	s_and_b64 exec, exec, s[6:7]
	s_cbranch_execz .LBB852_313
; %bb.312:
	s_sub_i32 s1, s3, s0
	s_min_u32 s1, s1, 8
	v_lshrrev_b32_e32 v2, s0, v3
	v_bfe_u32 v2, v2, 0, s1
	v_lshlrev_b32_e32 v1, 2, v1
	v_lshl_or_b32 v1, v2, 4, v1
	v_mov_b32_e32 v2, 1
	ds_add_u32 v1, v2 offset:12288
.LBB852_313:
	s_or_b64 exec, exec, s[4:5]
	s_cmp_lt_u32 s2, s3
	s_waitcnt lgkmcnt(0)
	s_barrier
	s_cbranch_scc0 .LBB852_318
; %bb.314:
	s_movk_i32 s0, 0x100
	v_cmp_gt_u32_e32 vcc, s0, v0
	v_lshlrev_b32_e32 v1, 4, v0
	v_mov_b32_e32 v3, 0
	v_mov_b32_e32 v2, v0
	s_mov_b32 s6, s2
	s_branch .LBB852_316
.LBB852_315:                            ;   in Loop: Header=BB852_316 Depth=1
	s_or_b64 exec, exec, s[4:5]
	s_add_i32 s6, s6, 8
	v_add_u32_e32 v2, 0x100, v2
	s_cmp_lt_u32 s6, s3
	v_add_u32_e32 v1, 0x1000, v1
	s_cbranch_scc0 .LBB852_318
.LBB852_316:                            ; =>This Inner Loop Header: Depth=1
	s_and_saveexec_b64 s[4:5], vcc
	s_cbranch_execz .LBB852_315
; %bb.317:                              ;   in Loop: Header=BB852_316 Depth=1
	ds_read2_b32 v[4:5], v1 offset1:1
	ds_read2_b32 v[6:7], v1 offset0:2 offset1:3
	v_lshlrev_b64 v[8:9], 2, v[2:3]
	v_mov_b32_e32 v10, s11
	s_waitcnt lgkmcnt(1)
	v_add_u32_e32 v4, v5, v4
	s_waitcnt lgkmcnt(0)
	v_add3_u32 v6, v4, v6, v7
	v_add_co_u32_e64 v4, s[0:1], s10, v8
	v_addc_co_u32_e64 v5, s[0:1], v10, v9, s[0:1]
	global_atomic_add v[4:5], v6, off
	s_branch .LBB852_315
.LBB852_318:
	s_mov_b64 s[0:1], 0
.LBB852_319:
	s_and_b64 vcc, exec, s[0:1]
	s_cbranch_vccz .LBB852_443
; %bb.320:
	s_cmp_eq_u32 s2, 0
	s_cselect_b64 s[0:1], -1, 0
	s_cmp_eq_u32 s3, 32
	s_mov_b32 s13, 0
	s_cselect_b64 s[4:5], -1, 0
	s_and_b64 s[0:1], s[0:1], s[4:5]
	s_lshl_b64 s[4:5], s[12:13], 2
	s_add_u32 s4, s8, s4
	s_addc_u32 s5, s9, s5
	v_lshlrev_b32_e32 v1, 2, v0
	v_mov_b32_e32 v2, s5
	v_add_co_u32_e32 v18, vcc, s4, v1
	v_addc_co_u32_e32 v26, vcc, 0, v2, vcc
	s_movk_i32 s6, 0x1000
	v_add_co_u32_e32 v2, vcc, s6, v18
	v_addc_co_u32_e32 v3, vcc, 0, v26, vcc
	s_movk_i32 s6, 0x2000
	v_add_co_u32_e32 v20, vcc, s6, v18
	v_addc_co_u32_e32 v21, vcc, 0, v26, vcc
	s_movk_i32 s6, 0x3000
	v_add_co_u32_e32 v4, vcc, s6, v18
	v_addc_co_u32_e32 v5, vcc, 0, v26, vcc
	s_movk_i32 s6, 0x4000
	v_add_co_u32_e32 v6, vcc, s6, v18
	v_addc_co_u32_e32 v7, vcc, 0, v26, vcc
	s_movk_i32 s6, 0x5000
	v_add_co_u32_e32 v22, vcc, s6, v18
	v_addc_co_u32_e32 v23, vcc, 0, v26, vcc
	v_add_co_u32_e32 v24, vcc, 0x6000, v18
	global_load_dword v15, v[20:21], off
	global_load_dword v14, v[20:21], off offset:2048
	global_load_dword v12, v[6:7], off offset:-4096
	global_load_dword v11, v[6:7], off
	global_load_dword v9, v[6:7], off offset:2048
	v_addc_co_u32_e32 v25, vcc, 0, v26, vcc
	global_load_dword v19, v1, s[4:5]
	global_load_dword v17, v1, s[4:5] offset:2048
	global_load_dword v16, v[2:3], off offset:2048
	global_load_dword v13, v[4:5], off offset:2048
	global_load_dword v10, v[22:23], off
	global_load_dword v8, v[22:23], off offset:2048
	global_load_dword v7, v[24:25], off
	global_load_dword v6, v[24:25], off offset:2048
	v_add_co_u32_e32 v2, vcc, 0x7000, v18
	v_addc_co_u32_e32 v3, vcc, 0, v26, vcc
	global_load_dword v5, v[2:3], off
	global_load_dword v18, v[20:21], off offset:-4096
	global_load_dword v4, v[2:3], off offset:2048
	s_mov_b64 s[4:5], -1
	s_and_b64 vcc, exec, s[0:1]
	v_cmp_gt_u32_e64 s[0:1], 7, 4
	v_cmp_gt_u32_e64 s[6:7], 7, 3
	s_cbranch_vccnz .LBB852_432
; %bb.321:
	v_mov_b32_e32 v2, 0
	ds_write2st64_b32 v1, v2, v2 offset1:8
	ds_write2st64_b32 v1, v2, v2 offset0:16 offset1:24
	s_and_saveexec_b64 s[4:5], s[6:7]
	s_cbranch_execz .LBB852_323
; %bb.322:
	ds_write_b32 v1, v2 offset:8192
.LBB852_323:
	s_or_b64 exec, exec, s[4:5]
	s_and_saveexec_b64 s[4:5], s[0:1]
	s_cbranch_execz .LBB852_325
; %bb.324:
	v_mov_b32_e32 v2, 0
	ds_write_b32 v1, v2 offset:10240
.LBB852_325:
	s_or_b64 exec, exec, s[4:5]
	v_cmp_gt_u32_e64 s[0:1], 7, 6
	v_cmp_gt_u32_e64 s[6:7], 7, 5
	s_and_saveexec_b64 s[4:5], s[6:7]
	s_cbranch_execz .LBB852_327
; %bb.326:
	v_mov_b32_e32 v2, 0
	ds_write_b32 v1, v2 offset:12288
.LBB852_327:
	s_or_b64 exec, exec, s[4:5]
	s_and_saveexec_b64 s[4:5], s[0:1]
	s_cbranch_execz .LBB852_329
; %bb.328:
	v_mov_b32_e32 v2, 0
	ds_write_b32 v1, v2 offset:14336
.LBB852_329:
	s_or_b64 exec, exec, s[4:5]
	s_cmp_lt_u32 s2, s3
	s_cselect_b64 s[0:1], -1, 0
	s_and_b64 vcc, exec, s[0:1]
	s_waitcnt lgkmcnt(0)
	s_barrier
	s_cbranch_vccz .LBB852_426
; %bb.330:
	s_sub_i32 s4, s3, s2
	s_min_u32 s4, s4, 8
	s_waitcnt vmcnt(10)
	v_xor_b32_e32 v21, 0x80000000, v19
	s_lshl_b32 s4, -1, s4
	v_and_b32_e32 v2, 3, v0
	s_not_b32 s13, s4
	v_lshrrev_b32_e32 v3, s2, v21
	v_and_b32_e32 v22, s13, v3
	v_lshlrev_b32_e32 v3, 2, v2
	v_lshl_or_b32 v22, v22, 4, v3
	v_mov_b32_e32 v23, 1
	ds_add_u32 v22, v23
	s_add_i32 s12, s2, 8
	s_waitcnt vmcnt(9)
	v_xor_b32_e32 v20, 0x80000000, v17
	s_cmp_le_u32 s3, s12
	s_cselect_b64 s[4:5], -1, 0
	v_lshrrev_b32_e32 v22, s2, v20
	s_and_b64 vcc, exec, s[4:5]
	v_and_b32_e32 v22, s13, v22
	s_cbranch_vccz .LBB852_332
; %bb.331:
	v_lshl_or_b32 v23, v22, 2, v2
	s_mov_b64 s[6:7], -1
	s_cbranch_execz .LBB852_333
	s_branch .LBB852_340
.LBB852_332:
	s_mov_b64 s[6:7], 0
                                        ; implicit-def: $vgpr23
.LBB852_333:
	s_sub_i32 s8, s3, s12
	s_min_u32 s8, s8, 8
	s_lshl_b32 s8, -1, s8
	s_not_b32 s15, s8
	v_lshrrev_b32_e32 v23, s12, v21
	v_and_b32_e32 v23, s15, v23
	v_lshl_or_b32 v24, v23, 4, v3
	v_mov_b32_e32 v23, 1
	ds_add_u32 v24, v23 offset:4096
	s_add_i32 s14, s2, 16
	s_cmp_gt_u32 s3, s14
	s_cselect_b64 s[8:9], -1, 0
	s_cmp_le_u32 s3, s14
	s_cbranch_scc1 .LBB852_336
; %bb.334:
	s_sub_i32 s16, s3, s14
	s_min_u32 s16, s16, 8
	v_lshrrev_b32_e32 v24, s14, v21
	v_bfe_u32 v24, v24, 0, s16
	v_lshl_or_b32 v24, v24, 4, v3
	ds_add_u32 v24, v23 offset:8192
	s_add_i32 s16, s2, 24
	s_cmp_le_u32 s3, s16
	s_cbranch_scc1 .LBB852_336
; %bb.335:
	s_sub_i32 s17, s3, s16
	s_min_u32 s17, s17, 8
	v_lshrrev_b32_e32 v21, s16, v21
	v_bfe_u32 v21, v21, 0, s17
	v_lshl_or_b32 v21, v21, 4, v3
	v_mov_b32_e32 v24, 1
	ds_add_u32 v21, v24 offset:12288
.LBB852_336:
	v_lshl_or_b32 v21, v22, 4, v3
	ds_add_u32 v21, v23
	v_lshrrev_b32_e32 v21, s12, v20
	v_and_b32_e32 v21, s15, v21
	v_lshl_or_b32 v21, v21, 4, v3
	ds_add_u32 v21, v23 offset:4096
	s_andn2_b64 vcc, exec, s[8:9]
	s_cbranch_vccnz .LBB852_339
; %bb.337:
	s_sub_i32 s8, s3, s14
	s_min_u32 s8, s8, 8
	v_lshrrev_b32_e32 v21, s14, v20
	v_bfe_u32 v21, v21, 0, s8
	v_lshl_or_b32 v21, v21, 4, v3
	v_mov_b32_e32 v22, 1
	ds_add_u32 v21, v22 offset:8192
	s_add_i32 s8, s2, 24
	s_cmp_gt_u32 s3, s8
	s_cbranch_scc0 .LBB852_339
; %bb.338:
	s_sub_i32 s6, s3, s8
	s_min_u32 s6, s6, 8
	v_lshrrev_b32_e32 v20, s8, v20
	v_bfe_u32 v20, v20, 0, s6
	v_lshl_or_b32 v20, v20, 2, v2
	v_add_u32_e32 v23, 0xc00, v20
	s_mov_b64 s[6:7], -1
	s_branch .LBB852_340
.LBB852_339:
                                        ; implicit-def: $vgpr23
.LBB852_340:
	s_and_b64 vcc, exec, s[6:7]
	s_cbranch_vccz .LBB852_342
; %bb.341:
	v_lshlrev_b32_e32 v20, 2, v23
	v_mov_b32_e32 v21, 1
	ds_add_u32 v20, v21
.LBB852_342:
	s_waitcnt vmcnt(1)
	v_xor_b32_e32 v21, 0x80000000, v18
	v_lshrrev_b32_e32 v22, s2, v21
	v_and_b32_e32 v22, s13, v22
	v_lshl_or_b32 v22, v22, 4, v3
	v_mov_b32_e32 v23, 1
	ds_add_u32 v22, v23
	v_xor_b32_e32 v20, 0x80000000, v16
	v_lshrrev_b32_e32 v22, s2, v20
	s_and_b64 vcc, exec, s[4:5]
	v_and_b32_e32 v22, s13, v22
	s_cbranch_vccz .LBB852_344
; %bb.343:
	v_lshl_or_b32 v23, v22, 2, v2
	s_mov_b64 s[6:7], -1
	s_cbranch_execz .LBB852_345
	s_branch .LBB852_352
.LBB852_344:
	s_mov_b64 s[6:7], 0
                                        ; implicit-def: $vgpr23
.LBB852_345:
	s_sub_i32 s8, s3, s12
	s_min_u32 s8, s8, 8
	s_lshl_b32 s8, -1, s8
	s_not_b32 s15, s8
	v_lshrrev_b32_e32 v23, s12, v21
	v_and_b32_e32 v23, s15, v23
	v_lshl_or_b32 v24, v23, 4, v3
	v_mov_b32_e32 v23, 1
	ds_add_u32 v24, v23 offset:4096
	s_add_i32 s14, s2, 16
	s_cmp_gt_u32 s3, s14
	s_cselect_b64 s[8:9], -1, 0
	s_cmp_le_u32 s3, s14
	s_cbranch_scc1 .LBB852_348
; %bb.346:
	s_sub_i32 s16, s3, s14
	s_min_u32 s16, s16, 8
	v_lshrrev_b32_e32 v24, s14, v21
	v_bfe_u32 v24, v24, 0, s16
	v_lshl_or_b32 v24, v24, 4, v3
	ds_add_u32 v24, v23 offset:8192
	s_add_i32 s16, s2, 24
	s_cmp_le_u32 s3, s16
	s_cbranch_scc1 .LBB852_348
; %bb.347:
	s_sub_i32 s17, s3, s16
	s_min_u32 s17, s17, 8
	v_lshrrev_b32_e32 v21, s16, v21
	v_bfe_u32 v21, v21, 0, s17
	v_lshl_or_b32 v21, v21, 4, v3
	v_mov_b32_e32 v24, 1
	ds_add_u32 v21, v24 offset:12288
.LBB852_348:
	v_lshl_or_b32 v21, v22, 4, v3
	ds_add_u32 v21, v23
	v_lshrrev_b32_e32 v21, s12, v20
	v_and_b32_e32 v21, s15, v21
	v_lshl_or_b32 v21, v21, 4, v3
	ds_add_u32 v21, v23 offset:4096
	s_andn2_b64 vcc, exec, s[8:9]
	s_cbranch_vccnz .LBB852_351
; %bb.349:
	s_sub_i32 s8, s3, s14
	s_min_u32 s8, s8, 8
	v_lshrrev_b32_e32 v21, s14, v20
	v_bfe_u32 v21, v21, 0, s8
	v_lshl_or_b32 v21, v21, 4, v3
	v_mov_b32_e32 v22, 1
	ds_add_u32 v21, v22 offset:8192
	s_add_i32 s8, s2, 24
	s_cmp_gt_u32 s3, s8
	s_cbranch_scc0 .LBB852_351
; %bb.350:
	s_sub_i32 s6, s3, s8
	s_min_u32 s6, s6, 8
	v_lshrrev_b32_e32 v20, s8, v20
	v_bfe_u32 v20, v20, 0, s6
	v_lshl_or_b32 v20, v20, 2, v2
	v_add_u32_e32 v23, 0xc00, v20
	s_mov_b64 s[6:7], -1
	s_branch .LBB852_352
.LBB852_351:
                                        ; implicit-def: $vgpr23
.LBB852_352:
	s_and_b64 vcc, exec, s[6:7]
	s_cbranch_vccz .LBB852_354
; %bb.353:
	v_lshlrev_b32_e32 v20, 2, v23
	v_mov_b32_e32 v21, 1
	ds_add_u32 v20, v21
.LBB852_354:
	v_xor_b32_e32 v21, 0x80000000, v15
	v_lshrrev_b32_e32 v22, s2, v21
	v_and_b32_e32 v22, s13, v22
	v_lshl_or_b32 v22, v22, 4, v3
	v_mov_b32_e32 v23, 1
	ds_add_u32 v22, v23
	v_xor_b32_e32 v20, 0x80000000, v14
	v_lshrrev_b32_e32 v22, s2, v20
	s_and_b64 vcc, exec, s[4:5]
	v_and_b32_e32 v22, s13, v22
	s_cbranch_vccz .LBB852_356
; %bb.355:
	v_lshl_or_b32 v23, v22, 2, v2
	s_mov_b64 s[6:7], -1
	s_cbranch_execz .LBB852_357
	s_branch .LBB852_364
.LBB852_356:
	s_mov_b64 s[6:7], 0
                                        ; implicit-def: $vgpr23
.LBB852_357:
	s_sub_i32 s8, s3, s12
	s_min_u32 s8, s8, 8
	s_lshl_b32 s8, -1, s8
	s_not_b32 s15, s8
	v_lshrrev_b32_e32 v23, s12, v21
	v_and_b32_e32 v23, s15, v23
	v_lshl_or_b32 v24, v23, 4, v3
	v_mov_b32_e32 v23, 1
	ds_add_u32 v24, v23 offset:4096
	s_add_i32 s14, s2, 16
	s_cmp_gt_u32 s3, s14
	s_cselect_b64 s[8:9], -1, 0
	s_cmp_le_u32 s3, s14
	s_cbranch_scc1 .LBB852_360
; %bb.358:
	s_sub_i32 s16, s3, s14
	s_min_u32 s16, s16, 8
	v_lshrrev_b32_e32 v24, s14, v21
	v_bfe_u32 v24, v24, 0, s16
	v_lshl_or_b32 v24, v24, 4, v3
	ds_add_u32 v24, v23 offset:8192
	s_add_i32 s16, s2, 24
	s_cmp_le_u32 s3, s16
	s_cbranch_scc1 .LBB852_360
; %bb.359:
	s_sub_i32 s17, s3, s16
	s_min_u32 s17, s17, 8
	v_lshrrev_b32_e32 v21, s16, v21
	v_bfe_u32 v21, v21, 0, s17
	v_lshl_or_b32 v21, v21, 4, v3
	v_mov_b32_e32 v24, 1
	ds_add_u32 v21, v24 offset:12288
.LBB852_360:
	v_lshl_or_b32 v21, v22, 4, v3
	ds_add_u32 v21, v23
	v_lshrrev_b32_e32 v21, s12, v20
	v_and_b32_e32 v21, s15, v21
	v_lshl_or_b32 v21, v21, 4, v3
	ds_add_u32 v21, v23 offset:4096
	s_andn2_b64 vcc, exec, s[8:9]
	s_cbranch_vccnz .LBB852_363
; %bb.361:
	s_sub_i32 s8, s3, s14
	s_min_u32 s8, s8, 8
	v_lshrrev_b32_e32 v21, s14, v20
	v_bfe_u32 v21, v21, 0, s8
	v_lshl_or_b32 v21, v21, 4, v3
	v_mov_b32_e32 v22, 1
	ds_add_u32 v21, v22 offset:8192
	s_add_i32 s8, s2, 24
	s_cmp_gt_u32 s3, s8
	s_cbranch_scc0 .LBB852_363
; %bb.362:
	s_sub_i32 s6, s3, s8
	s_min_u32 s6, s6, 8
	v_lshrrev_b32_e32 v20, s8, v20
	v_bfe_u32 v20, v20, 0, s6
	v_lshl_or_b32 v20, v20, 2, v2
	v_add_u32_e32 v23, 0xc00, v20
	s_mov_b64 s[6:7], -1
	s_branch .LBB852_364
.LBB852_363:
                                        ; implicit-def: $vgpr23
.LBB852_364:
	s_and_b64 vcc, exec, s[6:7]
	s_cbranch_vccz .LBB852_366
; %bb.365:
	v_lshlrev_b32_e32 v20, 2, v23
	v_mov_b32_e32 v21, 1
	ds_add_u32 v20, v21
.LBB852_366:
	v_xor_b32_e32 v21, 0x80000000, v12
	v_lshrrev_b32_e32 v22, s2, v21
	v_and_b32_e32 v22, s13, v22
	v_lshl_or_b32 v22, v22, 4, v3
	v_mov_b32_e32 v23, 1
	ds_add_u32 v22, v23
	v_xor_b32_e32 v20, 0x80000000, v13
	v_lshrrev_b32_e32 v22, s2, v20
	s_and_b64 vcc, exec, s[4:5]
	v_and_b32_e32 v22, s13, v22
	s_cbranch_vccz .LBB852_368
; %bb.367:
	v_lshl_or_b32 v23, v22, 2, v2
	s_mov_b64 s[6:7], -1
	s_cbranch_execz .LBB852_369
	s_branch .LBB852_376
.LBB852_368:
	s_mov_b64 s[6:7], 0
                                        ; implicit-def: $vgpr23
.LBB852_369:
	s_sub_i32 s8, s3, s12
	s_min_u32 s8, s8, 8
	s_lshl_b32 s8, -1, s8
	s_not_b32 s15, s8
	v_lshrrev_b32_e32 v23, s12, v21
	v_and_b32_e32 v23, s15, v23
	v_lshl_or_b32 v24, v23, 4, v3
	v_mov_b32_e32 v23, 1
	ds_add_u32 v24, v23 offset:4096
	s_add_i32 s14, s2, 16
	s_cmp_gt_u32 s3, s14
	s_cselect_b64 s[8:9], -1, 0
	s_cmp_le_u32 s3, s14
	s_cbranch_scc1 .LBB852_372
; %bb.370:
	s_sub_i32 s16, s3, s14
	s_min_u32 s16, s16, 8
	v_lshrrev_b32_e32 v24, s14, v21
	v_bfe_u32 v24, v24, 0, s16
	v_lshl_or_b32 v24, v24, 4, v3
	ds_add_u32 v24, v23 offset:8192
	s_add_i32 s16, s2, 24
	s_cmp_le_u32 s3, s16
	s_cbranch_scc1 .LBB852_372
; %bb.371:
	s_sub_i32 s17, s3, s16
	s_min_u32 s17, s17, 8
	v_lshrrev_b32_e32 v21, s16, v21
	v_bfe_u32 v21, v21, 0, s17
	v_lshl_or_b32 v21, v21, 4, v3
	v_mov_b32_e32 v24, 1
	ds_add_u32 v21, v24 offset:12288
.LBB852_372:
	v_lshl_or_b32 v21, v22, 4, v3
	ds_add_u32 v21, v23
	v_lshrrev_b32_e32 v21, s12, v20
	v_and_b32_e32 v21, s15, v21
	v_lshl_or_b32 v21, v21, 4, v3
	ds_add_u32 v21, v23 offset:4096
	s_andn2_b64 vcc, exec, s[8:9]
	s_cbranch_vccnz .LBB852_375
; %bb.373:
	s_sub_i32 s8, s3, s14
	s_min_u32 s8, s8, 8
	v_lshrrev_b32_e32 v21, s14, v20
	v_bfe_u32 v21, v21, 0, s8
	v_lshl_or_b32 v21, v21, 4, v3
	v_mov_b32_e32 v22, 1
	ds_add_u32 v21, v22 offset:8192
	s_add_i32 s8, s2, 24
	s_cmp_gt_u32 s3, s8
	s_cbranch_scc0 .LBB852_375
; %bb.374:
	s_sub_i32 s6, s3, s8
	s_min_u32 s6, s6, 8
	v_lshrrev_b32_e32 v20, s8, v20
	v_bfe_u32 v20, v20, 0, s6
	v_lshl_or_b32 v20, v20, 2, v2
	v_add_u32_e32 v23, 0xc00, v20
	s_mov_b64 s[6:7], -1
	s_branch .LBB852_376
.LBB852_375:
                                        ; implicit-def: $vgpr23
.LBB852_376:
	s_and_b64 vcc, exec, s[6:7]
	s_cbranch_vccz .LBB852_378
; %bb.377:
	v_lshlrev_b32_e32 v20, 2, v23
	v_mov_b32_e32 v21, 1
	ds_add_u32 v20, v21
.LBB852_378:
	v_xor_b32_e32 v21, 0x80000000, v11
	v_lshrrev_b32_e32 v22, s2, v21
	v_and_b32_e32 v22, s13, v22
	v_lshl_or_b32 v22, v22, 4, v3
	v_mov_b32_e32 v23, 1
	ds_add_u32 v22, v23
	v_xor_b32_e32 v20, 0x80000000, v9
	v_lshrrev_b32_e32 v22, s2, v20
	s_and_b64 vcc, exec, s[4:5]
	v_and_b32_e32 v22, s13, v22
	s_cbranch_vccz .LBB852_380
; %bb.379:
	v_lshl_or_b32 v23, v22, 2, v2
	s_mov_b64 s[6:7], -1
	s_cbranch_execz .LBB852_381
	s_branch .LBB852_388
.LBB852_380:
	s_mov_b64 s[6:7], 0
                                        ; implicit-def: $vgpr23
.LBB852_381:
	s_sub_i32 s8, s3, s12
	s_min_u32 s8, s8, 8
	s_lshl_b32 s8, -1, s8
	s_not_b32 s15, s8
	v_lshrrev_b32_e32 v23, s12, v21
	v_and_b32_e32 v23, s15, v23
	v_lshl_or_b32 v24, v23, 4, v3
	v_mov_b32_e32 v23, 1
	ds_add_u32 v24, v23 offset:4096
	s_add_i32 s14, s2, 16
	s_cmp_gt_u32 s3, s14
	s_cselect_b64 s[8:9], -1, 0
	s_cmp_le_u32 s3, s14
	s_cbranch_scc1 .LBB852_384
; %bb.382:
	s_sub_i32 s16, s3, s14
	s_min_u32 s16, s16, 8
	v_lshrrev_b32_e32 v24, s14, v21
	v_bfe_u32 v24, v24, 0, s16
	v_lshl_or_b32 v24, v24, 4, v3
	ds_add_u32 v24, v23 offset:8192
	s_add_i32 s16, s2, 24
	s_cmp_le_u32 s3, s16
	s_cbranch_scc1 .LBB852_384
; %bb.383:
	s_sub_i32 s17, s3, s16
	s_min_u32 s17, s17, 8
	v_lshrrev_b32_e32 v21, s16, v21
	v_bfe_u32 v21, v21, 0, s17
	v_lshl_or_b32 v21, v21, 4, v3
	v_mov_b32_e32 v24, 1
	ds_add_u32 v21, v24 offset:12288
.LBB852_384:
	v_lshl_or_b32 v21, v22, 4, v3
	ds_add_u32 v21, v23
	v_lshrrev_b32_e32 v21, s12, v20
	v_and_b32_e32 v21, s15, v21
	v_lshl_or_b32 v21, v21, 4, v3
	ds_add_u32 v21, v23 offset:4096
	s_andn2_b64 vcc, exec, s[8:9]
	s_cbranch_vccnz .LBB852_387
; %bb.385:
	s_sub_i32 s8, s3, s14
	s_min_u32 s8, s8, 8
	v_lshrrev_b32_e32 v21, s14, v20
	v_bfe_u32 v21, v21, 0, s8
	v_lshl_or_b32 v21, v21, 4, v3
	v_mov_b32_e32 v22, 1
	ds_add_u32 v21, v22 offset:8192
	s_add_i32 s8, s2, 24
	s_cmp_gt_u32 s3, s8
	s_cbranch_scc0 .LBB852_387
; %bb.386:
	s_sub_i32 s6, s3, s8
	s_min_u32 s6, s6, 8
	v_lshrrev_b32_e32 v20, s8, v20
	v_bfe_u32 v20, v20, 0, s6
	v_lshl_or_b32 v20, v20, 2, v2
	v_add_u32_e32 v23, 0xc00, v20
	s_mov_b64 s[6:7], -1
	s_branch .LBB852_388
.LBB852_387:
                                        ; implicit-def: $vgpr23
.LBB852_388:
	s_and_b64 vcc, exec, s[6:7]
	s_cbranch_vccz .LBB852_390
; %bb.389:
	v_lshlrev_b32_e32 v20, 2, v23
	v_mov_b32_e32 v21, 1
	ds_add_u32 v20, v21
.LBB852_390:
	v_xor_b32_e32 v21, 0x80000000, v10
	v_lshrrev_b32_e32 v22, s2, v21
	v_and_b32_e32 v22, s13, v22
	v_lshl_or_b32 v22, v22, 4, v3
	v_mov_b32_e32 v23, 1
	ds_add_u32 v22, v23
	v_xor_b32_e32 v20, 0x80000000, v8
	v_lshrrev_b32_e32 v22, s2, v20
	s_and_b64 vcc, exec, s[4:5]
	v_and_b32_e32 v22, s13, v22
	s_cbranch_vccz .LBB852_392
; %bb.391:
	v_lshl_or_b32 v23, v22, 2, v2
	s_mov_b64 s[6:7], -1
	s_cbranch_execz .LBB852_393
	s_branch .LBB852_400
.LBB852_392:
	s_mov_b64 s[6:7], 0
                                        ; implicit-def: $vgpr23
.LBB852_393:
	s_sub_i32 s8, s3, s12
	s_min_u32 s8, s8, 8
	s_lshl_b32 s8, -1, s8
	s_not_b32 s15, s8
	v_lshrrev_b32_e32 v23, s12, v21
	v_and_b32_e32 v23, s15, v23
	v_lshl_or_b32 v24, v23, 4, v3
	v_mov_b32_e32 v23, 1
	ds_add_u32 v24, v23 offset:4096
	s_add_i32 s14, s2, 16
	s_cmp_gt_u32 s3, s14
	s_cselect_b64 s[8:9], -1, 0
	s_cmp_le_u32 s3, s14
	s_cbranch_scc1 .LBB852_396
; %bb.394:
	s_sub_i32 s16, s3, s14
	s_min_u32 s16, s16, 8
	v_lshrrev_b32_e32 v24, s14, v21
	v_bfe_u32 v24, v24, 0, s16
	v_lshl_or_b32 v24, v24, 4, v3
	ds_add_u32 v24, v23 offset:8192
	s_add_i32 s16, s2, 24
	s_cmp_le_u32 s3, s16
	s_cbranch_scc1 .LBB852_396
; %bb.395:
	v_lshrrev_b32_e32 v21, s16, v21
	s_sub_i32 s16, s3, s16
	s_min_u32 s16, s16, 8
	v_bfe_u32 v21, v21, 0, s16
	v_lshl_or_b32 v21, v21, 4, v3
	v_mov_b32_e32 v24, 1
	ds_add_u32 v21, v24 offset:12288
.LBB852_396:
	v_lshl_or_b32 v21, v22, 4, v3
	ds_add_u32 v21, v23
	v_lshrrev_b32_e32 v21, s12, v20
	v_and_b32_e32 v21, s15, v21
	v_lshl_or_b32 v21, v21, 4, v3
	ds_add_u32 v21, v23 offset:4096
	s_andn2_b64 vcc, exec, s[8:9]
	s_cbranch_vccnz .LBB852_399
; %bb.397:
	s_sub_i32 s8, s3, s14
	s_min_u32 s8, s8, 8
	v_lshrrev_b32_e32 v21, s14, v20
	v_bfe_u32 v21, v21, 0, s8
	v_lshl_or_b32 v21, v21, 4, v3
	v_mov_b32_e32 v22, 1
	ds_add_u32 v21, v22 offset:8192
	s_add_i32 s8, s2, 24
	s_cmp_gt_u32 s3, s8
	s_cbranch_scc0 .LBB852_399
; %bb.398:
	s_sub_i32 s6, s3, s8
	s_min_u32 s6, s6, 8
	v_lshrrev_b32_e32 v20, s8, v20
	v_bfe_u32 v20, v20, 0, s6
	v_lshl_or_b32 v20, v20, 2, v2
	v_add_u32_e32 v23, 0xc00, v20
	s_mov_b64 s[6:7], -1
	s_branch .LBB852_400
.LBB852_399:
                                        ; implicit-def: $vgpr23
.LBB852_400:
	s_and_b64 vcc, exec, s[6:7]
	s_cbranch_vccz .LBB852_402
; %bb.401:
	v_lshlrev_b32_e32 v20, 2, v23
	v_mov_b32_e32 v21, 1
	ds_add_u32 v20, v21
.LBB852_402:
	v_xor_b32_e32 v21, 0x80000000, v7
	v_lshrrev_b32_e32 v22, s2, v21
	v_and_b32_e32 v22, s13, v22
	v_lshl_or_b32 v22, v22, 4, v3
	v_mov_b32_e32 v23, 1
	ds_add_u32 v22, v23
	v_xor_b32_e32 v20, 0x80000000, v6
	v_lshrrev_b32_e32 v22, s2, v20
	s_and_b64 vcc, exec, s[4:5]
	v_and_b32_e32 v22, s13, v22
	s_cbranch_vccz .LBB852_404
; %bb.403:
	v_lshl_or_b32 v23, v22, 2, v2
	s_mov_b64 s[6:7], -1
	s_cbranch_execz .LBB852_405
	s_branch .LBB852_412
.LBB852_404:
	s_mov_b64 s[6:7], 0
                                        ; implicit-def: $vgpr23
.LBB852_405:
	s_sub_i32 s8, s3, s12
	s_min_u32 s8, s8, 8
	s_lshl_b32 s8, -1, s8
	s_not_b32 s15, s8
	v_lshrrev_b32_e32 v23, s12, v21
	v_and_b32_e32 v23, s15, v23
	v_lshl_or_b32 v24, v23, 4, v3
	v_mov_b32_e32 v23, 1
	ds_add_u32 v24, v23 offset:4096
	s_add_i32 s14, s2, 16
	s_cmp_gt_u32 s3, s14
	s_cselect_b64 s[8:9], -1, 0
	s_cmp_le_u32 s3, s14
	s_cbranch_scc1 .LBB852_408
; %bb.406:
	s_sub_i32 s16, s3, s14
	s_min_u32 s16, s16, 8
	v_lshrrev_b32_e32 v24, s14, v21
	v_bfe_u32 v24, v24, 0, s16
	v_lshl_or_b32 v24, v24, 4, v3
	ds_add_u32 v24, v23 offset:8192
	s_add_i32 s16, s2, 24
	s_cmp_le_u32 s3, s16
	s_cbranch_scc1 .LBB852_408
; %bb.407:
	s_sub_i32 s17, s3, s16
	s_min_u32 s17, s17, 8
	v_lshrrev_b32_e32 v21, s16, v21
	v_bfe_u32 v21, v21, 0, s17
	v_lshl_or_b32 v21, v21, 4, v3
	v_mov_b32_e32 v24, 1
	ds_add_u32 v21, v24 offset:12288
.LBB852_408:
	v_lshl_or_b32 v21, v22, 4, v3
	ds_add_u32 v21, v23
	v_lshrrev_b32_e32 v21, s12, v20
	v_and_b32_e32 v21, s15, v21
	v_lshl_or_b32 v21, v21, 4, v3
	ds_add_u32 v21, v23 offset:4096
	s_andn2_b64 vcc, exec, s[8:9]
	s_cbranch_vccnz .LBB852_411
; %bb.409:
	s_sub_i32 s8, s3, s14
	s_min_u32 s8, s8, 8
	v_lshrrev_b32_e32 v21, s14, v20
	v_bfe_u32 v21, v21, 0, s8
	v_lshl_or_b32 v21, v21, 4, v3
	v_mov_b32_e32 v22, 1
	ds_add_u32 v21, v22 offset:8192
	s_add_i32 s8, s2, 24
	s_cmp_gt_u32 s3, s8
	s_cbranch_scc0 .LBB852_411
; %bb.410:
	s_sub_i32 s6, s3, s8
	s_min_u32 s6, s6, 8
	v_lshrrev_b32_e32 v20, s8, v20
	v_bfe_u32 v20, v20, 0, s6
	v_lshl_or_b32 v20, v20, 2, v2
	v_add_u32_e32 v23, 0xc00, v20
	s_mov_b64 s[6:7], -1
	s_branch .LBB852_412
.LBB852_411:
                                        ; implicit-def: $vgpr23
.LBB852_412:
	s_and_b64 vcc, exec, s[6:7]
	s_cbranch_vccz .LBB852_414
; %bb.413:
	v_lshlrev_b32_e32 v20, 2, v23
	v_mov_b32_e32 v21, 1
	ds_add_u32 v20, v21
.LBB852_414:
	v_xor_b32_e32 v21, 0x80000000, v5
	v_lshrrev_b32_e32 v22, s2, v21
	v_and_b32_e32 v22, s13, v22
	v_lshl_or_b32 v22, v22, 4, v3
	v_mov_b32_e32 v23, 1
	ds_add_u32 v22, v23
	s_waitcnt vmcnt(0)
	v_xor_b32_e32 v20, 0x80000000, v4
	v_lshrrev_b32_e32 v22, s2, v20
	s_and_b64 vcc, exec, s[4:5]
	v_and_b32_e32 v22, s13, v22
	s_cbranch_vccz .LBB852_416
; %bb.415:
	v_lshl_or_b32 v23, v22, 2, v2
	s_mov_b64 s[4:5], -1
	s_cbranch_execz .LBB852_417
	s_branch .LBB852_424
.LBB852_416:
	s_mov_b64 s[4:5], 0
                                        ; implicit-def: $vgpr23
.LBB852_417:
	s_sub_i32 s6, s3, s12
	s_min_u32 s6, s6, 8
	s_lshl_b32 s6, -1, s6
	s_not_b32 s9, s6
	v_lshrrev_b32_e32 v23, s12, v21
	v_and_b32_e32 v23, s9, v23
	v_lshl_or_b32 v24, v23, 4, v3
	v_mov_b32_e32 v23, 1
	ds_add_u32 v24, v23 offset:4096
	s_add_i32 s8, s2, 16
	s_cmp_gt_u32 s3, s8
	s_cselect_b64 s[6:7], -1, 0
	s_cmp_le_u32 s3, s8
	s_cbranch_scc1 .LBB852_420
; %bb.418:
	s_sub_i32 s13, s3, s8
	s_min_u32 s13, s13, 8
	v_lshrrev_b32_e32 v24, s8, v21
	v_bfe_u32 v24, v24, 0, s13
	v_lshl_or_b32 v24, v24, 4, v3
	ds_add_u32 v24, v23 offset:8192
	s_add_i32 s13, s2, 24
	s_cmp_le_u32 s3, s13
	s_cbranch_scc1 .LBB852_420
; %bb.419:
	s_sub_i32 s14, s3, s13
	s_min_u32 s14, s14, 8
	v_lshrrev_b32_e32 v21, s13, v21
	v_bfe_u32 v21, v21, 0, s14
	v_lshl_or_b32 v21, v21, 4, v3
	v_mov_b32_e32 v24, 1
	ds_add_u32 v21, v24 offset:12288
.LBB852_420:
	v_lshl_or_b32 v21, v22, 4, v3
	ds_add_u32 v21, v23
	v_lshrrev_b32_e32 v21, s12, v20
	v_and_b32_e32 v21, s9, v21
	v_lshl_or_b32 v21, v21, 4, v3
	ds_add_u32 v21, v23 offset:4096
	s_andn2_b64 vcc, exec, s[6:7]
	s_cbranch_vccnz .LBB852_423
; %bb.421:
	s_sub_i32 s6, s3, s8
	s_min_u32 s6, s6, 8
	v_lshrrev_b32_e32 v21, s8, v20
	v_bfe_u32 v21, v21, 0, s6
	v_lshl_or_b32 v3, v21, 4, v3
	v_mov_b32_e32 v21, 1
	ds_add_u32 v3, v21 offset:8192
	s_add_i32 s6, s2, 24
	s_cmp_gt_u32 s3, s6
	s_cbranch_scc0 .LBB852_423
; %bb.422:
	s_sub_i32 s4, s3, s6
	s_min_u32 s4, s4, 8
	v_lshrrev_b32_e32 v3, s6, v20
	v_bfe_u32 v3, v3, 0, s4
	v_lshl_or_b32 v2, v3, 2, v2
	v_add_u32_e32 v23, 0xc00, v2
	s_mov_b64 s[4:5], -1
	s_branch .LBB852_424
.LBB852_423:
                                        ; implicit-def: $vgpr23
.LBB852_424:
	s_and_b64 vcc, exec, s[4:5]
	s_cbranch_vccz .LBB852_426
; %bb.425:
	v_lshlrev_b32_e32 v2, 2, v23
	v_mov_b32_e32 v3, 1
	ds_add_u32 v2, v3
.LBB852_426:
	s_and_b64 vcc, exec, s[0:1]
	s_waitcnt lgkmcnt(0)
	s_barrier
	s_cbranch_vccz .LBB852_431
; %bb.427:
	s_movk_i32 s0, 0x100
	v_cmp_gt_u32_e32 vcc, s0, v0
	v_lshlrev_b32_e32 v20, 4, v0
	v_mov_b32_e32 v3, 0
	v_mov_b32_e32 v2, v0
	s_branch .LBB852_429
.LBB852_428:                            ;   in Loop: Header=BB852_429 Depth=1
	s_or_b64 exec, exec, s[4:5]
	s_add_i32 s2, s2, 8
	v_add_u32_e32 v2, 0x100, v2
	s_cmp_ge_u32 s2, s3
	v_add_u32_e32 v20, 0x1000, v20
	s_cbranch_scc1 .LBB852_431
.LBB852_429:                            ; =>This Inner Loop Header: Depth=1
	s_and_saveexec_b64 s[4:5], vcc
	s_cbranch_execz .LBB852_428
; %bb.430:                              ;   in Loop: Header=BB852_429 Depth=1
	ds_read2_b32 v[22:23], v20 offset1:1
	ds_read2_b32 v[24:25], v20 offset0:2 offset1:3
	v_lshlrev_b64 v[26:27], 2, v[2:3]
	v_mov_b32_e32 v21, s11
	s_waitcnt lgkmcnt(1)
	v_add_u32_e32 v22, v23, v22
	s_waitcnt lgkmcnt(0)
	v_add3_u32 v24, v22, v24, v25
	v_add_co_u32_e64 v22, s[0:1], s10, v26
	v_addc_co_u32_e64 v23, s[0:1], v21, v27, s[0:1]
	global_atomic_add v[22:23], v24, off
	s_branch .LBB852_428
.LBB852_431:
	s_mov_b64 s[4:5], 0
.LBB852_432:
	s_and_b64 vcc, exec, s[4:5]
	s_cbranch_vccz .LBB852_443
; %bb.433:
	v_mov_b32_e32 v2, 0
	v_cmp_gt_u32_e64 s[0:1], 7, 4
	v_cmp_gt_u32_e64 s[4:5], 7, 3
	ds_write2st64_b32 v1, v2, v2 offset1:8
	ds_write2st64_b32 v1, v2, v2 offset0:16 offset1:24
	s_and_saveexec_b64 s[2:3], s[4:5]
	s_cbranch_execz .LBB852_435
; %bb.434:
	ds_write_b32 v1, v2 offset:8192
.LBB852_435:
	s_or_b64 exec, exec, s[2:3]
	s_and_saveexec_b64 s[2:3], s[0:1]
	s_cbranch_execz .LBB852_437
; %bb.436:
	v_mov_b32_e32 v2, 0
	ds_write_b32 v1, v2 offset:10240
.LBB852_437:
	s_or_b64 exec, exec, s[2:3]
	v_cmp_gt_u32_e64 s[0:1], 7, 6
	v_cmp_gt_u32_e64 s[4:5], 7, 5
	s_and_saveexec_b64 s[2:3], s[4:5]
	s_cbranch_execz .LBB852_439
; %bb.438:
	v_mov_b32_e32 v2, 0
	ds_write_b32 v1, v2 offset:12288
.LBB852_439:
	s_or_b64 exec, exec, s[2:3]
	s_and_saveexec_b64 s[2:3], s[0:1]
	s_cbranch_execz .LBB852_441
; %bb.440:
	v_mov_b32_e32 v2, 0
	ds_write_b32 v1, v2 offset:14336
.LBB852_441:
	s_or_b64 exec, exec, s[2:3]
	v_and_b32_e32 v2, 3, v0
	s_waitcnt vmcnt(10)
	v_lshlrev_b32_e32 v3, 2, v19
	s_movk_i32 s0, 0x3fc
	v_and_or_b32 v3, v3, s0, v2
	v_lshlrev_b32_e32 v3, 2, v3
	v_mov_b32_e32 v20, 1
	s_waitcnt lgkmcnt(0)
	s_barrier
	ds_add_u32 v3, v20
	v_bfe_u32 v3, v19, 8, 8
	v_lshl_or_b32 v3, v3, 2, v2
	v_lshlrev_b32_e32 v3, 2, v3
	ds_add_u32 v3, v20 offset:4096
	v_bfe_u32 v3, v19, 16, 8
	v_lshl_or_b32 v3, v3, 2, v2
	v_lshlrev_b32_e32 v3, 2, v3
	ds_add_u32 v3, v20 offset:8192
	v_lshrrev_b32_e32 v3, 24, v19
	v_or_b32_e32 v19, 0xc00, v2
	v_lshl_or_b32 v3, v3, 2, v19
	v_xor_b32_e32 v3, 0x200, v3
	v_lshlrev_b32_e32 v3, 2, v3
	ds_add_u32 v3, v20
	s_waitcnt vmcnt(9)
	v_lshlrev_b32_e32 v3, 2, v17
	v_and_or_b32 v3, v3, s0, v2
	v_lshlrev_b32_e32 v3, 2, v3
	ds_add_u32 v3, v20
	v_bfe_u32 v3, v17, 8, 8
	v_lshl_or_b32 v3, v3, 2, v2
	v_lshlrev_b32_e32 v3, 2, v3
	ds_add_u32 v3, v20 offset:4096
	v_bfe_u32 v3, v17, 16, 8
	v_lshl_or_b32 v3, v3, 2, v2
	v_lshlrev_b32_e32 v3, 2, v3
	ds_add_u32 v3, v20 offset:8192
	v_lshrrev_b32_e32 v3, 24, v17
	v_lshl_or_b32 v3, v3, 2, v19
	v_xor_b32_e32 v3, 0x200, v3
	v_lshlrev_b32_e32 v3, 2, v3
	ds_add_u32 v3, v20
	s_waitcnt vmcnt(1)
	v_lshlrev_b32_e32 v3, 2, v18
	v_and_or_b32 v3, v3, s0, v2
	v_lshlrev_b32_e32 v3, 2, v3
	ds_add_u32 v3, v20
	v_bfe_u32 v3, v18, 8, 8
	v_lshl_or_b32 v3, v3, 2, v2
	v_lshlrev_b32_e32 v3, 2, v3
	ds_add_u32 v3, v20 offset:4096
	v_bfe_u32 v3, v18, 16, 8
	v_lshl_or_b32 v3, v3, 2, v2
	v_lshlrev_b32_e32 v3, 2, v3
	ds_add_u32 v3, v20 offset:8192
	v_lshrrev_b32_e32 v3, 24, v18
	v_lshl_or_b32 v3, v3, 2, v19
	v_xor_b32_e32 v3, 0x200, v3
	v_lshlrev_b32_e32 v3, 2, v3
	ds_add_u32 v3, v20
	v_lshlrev_b32_e32 v3, 2, v16
	v_and_or_b32 v3, v3, s0, v2
	v_lshlrev_b32_e32 v3, 2, v3
	ds_add_u32 v3, v20
	v_bfe_u32 v3, v16, 8, 8
	v_lshl_or_b32 v3, v3, 2, v2
	v_lshlrev_b32_e32 v3, 2, v3
	ds_add_u32 v3, v20 offset:4096
	v_bfe_u32 v3, v16, 16, 8
	v_lshl_or_b32 v3, v3, 2, v2
	v_lshlrev_b32_e32 v3, 2, v3
	ds_add_u32 v3, v20 offset:8192
	v_lshrrev_b32_e32 v3, 24, v16
	v_lshl_or_b32 v3, v3, 2, v19
	v_xor_b32_e32 v3, 0x200, v3
	v_lshlrev_b32_e32 v3, 2, v3
	ds_add_u32 v3, v20
	v_lshlrev_b32_e32 v3, 2, v15
	v_and_or_b32 v3, v3, s0, v2
	v_lshlrev_b32_e32 v3, 2, v3
	ds_add_u32 v3, v20
	v_bfe_u32 v3, v15, 8, 8
	v_lshl_or_b32 v3, v3, 2, v2
	v_lshlrev_b32_e32 v3, 2, v3
	ds_add_u32 v3, v20 offset:4096
	v_bfe_u32 v3, v15, 16, 8
	v_lshl_or_b32 v3, v3, 2, v2
	v_lshlrev_b32_e32 v3, 2, v3
	ds_add_u32 v3, v20 offset:8192
	v_lshrrev_b32_e32 v3, 24, v15
	v_lshl_or_b32 v3, v3, 2, v19
	v_xor_b32_e32 v3, 0x200, v3
	v_lshlrev_b32_e32 v3, 2, v3
	ds_add_u32 v3, v20
	v_lshlrev_b32_e32 v3, 2, v14
	v_and_or_b32 v3, v3, s0, v2
	v_lshlrev_b32_e32 v3, 2, v3
	ds_add_u32 v3, v20
	v_bfe_u32 v3, v14, 8, 8
	v_lshl_or_b32 v3, v3, 2, v2
	v_lshlrev_b32_e32 v3, 2, v3
	ds_add_u32 v3, v20 offset:4096
	v_bfe_u32 v3, v14, 16, 8
	v_lshl_or_b32 v3, v3, 2, v2
	v_lshlrev_b32_e32 v3, 2, v3
	ds_add_u32 v3, v20 offset:8192
	v_lshrrev_b32_e32 v3, 24, v14
	v_lshl_or_b32 v3, v3, 2, v19
	v_xor_b32_e32 v3, 0x200, v3
	v_lshlrev_b32_e32 v3, 2, v3
	ds_add_u32 v3, v20
	v_lshlrev_b32_e32 v3, 2, v12
	v_and_or_b32 v3, v3, s0, v2
	v_lshlrev_b32_e32 v3, 2, v3
	ds_add_u32 v3, v20
	v_bfe_u32 v3, v12, 8, 8
	v_lshl_or_b32 v3, v3, 2, v2
	v_lshlrev_b32_e32 v3, 2, v3
	ds_add_u32 v3, v20 offset:4096
	v_bfe_u32 v3, v12, 16, 8
	v_lshl_or_b32 v3, v3, 2, v2
	v_lshlrev_b32_e32 v3, 2, v3
	ds_add_u32 v3, v20 offset:8192
	v_lshrrev_b32_e32 v3, 24, v12
	v_lshl_or_b32 v3, v3, 2, v19
	v_xor_b32_e32 v3, 0x200, v3
	v_lshlrev_b32_e32 v3, 2, v3
	ds_add_u32 v3, v20
	v_lshlrev_b32_e32 v3, 2, v13
	v_and_or_b32 v3, v3, s0, v2
	v_lshlrev_b32_e32 v3, 2, v3
	ds_add_u32 v3, v20
	v_bfe_u32 v3, v13, 8, 8
	v_lshl_or_b32 v3, v3, 2, v2
	v_lshlrev_b32_e32 v3, 2, v3
	ds_add_u32 v3, v20 offset:4096
	v_bfe_u32 v3, v13, 16, 8
	v_lshl_or_b32 v3, v3, 2, v2
	v_lshlrev_b32_e32 v3, 2, v3
	ds_add_u32 v3, v20 offset:8192
	v_lshrrev_b32_e32 v3, 24, v13
	v_lshl_or_b32 v3, v3, 2, v19
	v_xor_b32_e32 v3, 0x200, v3
	v_lshlrev_b32_e32 v3, 2, v3
	ds_add_u32 v3, v20
	v_lshlrev_b32_e32 v3, 2, v11
	v_and_or_b32 v3, v3, s0, v2
	v_lshlrev_b32_e32 v3, 2, v3
	ds_add_u32 v3, v20
	v_bfe_u32 v3, v11, 8, 8
	v_lshl_or_b32 v3, v3, 2, v2
	v_lshlrev_b32_e32 v3, 2, v3
	ds_add_u32 v3, v20 offset:4096
	v_bfe_u32 v3, v11, 16, 8
	v_lshl_or_b32 v3, v3, 2, v2
	v_lshlrev_b32_e32 v3, 2, v3
	ds_add_u32 v3, v20 offset:8192
	v_lshrrev_b32_e32 v3, 24, v11
	v_lshl_or_b32 v3, v3, 2, v19
	v_xor_b32_e32 v3, 0x200, v3
	v_lshlrev_b32_e32 v3, 2, v3
	ds_add_u32 v3, v20
	v_lshlrev_b32_e32 v3, 2, v9
	v_and_or_b32 v3, v3, s0, v2
	v_lshlrev_b32_e32 v3, 2, v3
	ds_add_u32 v3, v20
	v_bfe_u32 v3, v9, 8, 8
	v_lshl_or_b32 v3, v3, 2, v2
	v_lshlrev_b32_e32 v3, 2, v3
	ds_add_u32 v3, v20 offset:4096
	v_bfe_u32 v3, v9, 16, 8
	v_lshl_or_b32 v3, v3, 2, v2
	v_lshlrev_b32_e32 v3, 2, v3
	ds_add_u32 v3, v20 offset:8192
	v_lshrrev_b32_e32 v3, 24, v9
	v_lshl_or_b32 v3, v3, 2, v19
	v_xor_b32_e32 v3, 0x200, v3
	v_lshlrev_b32_e32 v3, 2, v3
	ds_add_u32 v3, v20
	v_lshlrev_b32_e32 v3, 2, v10
	v_and_or_b32 v3, v3, s0, v2
	v_lshlrev_b32_e32 v3, 2, v3
	ds_add_u32 v3, v20
	v_bfe_u32 v3, v10, 8, 8
	v_lshl_or_b32 v3, v3, 2, v2
	v_lshlrev_b32_e32 v3, 2, v3
	ds_add_u32 v3, v20 offset:4096
	v_bfe_u32 v3, v10, 16, 8
	v_lshl_or_b32 v3, v3, 2, v2
	v_lshlrev_b32_e32 v3, 2, v3
	ds_add_u32 v3, v20 offset:8192
	v_lshrrev_b32_e32 v3, 24, v10
	v_lshl_or_b32 v3, v3, 2, v19
	v_xor_b32_e32 v3, 0x200, v3
	v_lshlrev_b32_e32 v3, 2, v3
	ds_add_u32 v3, v20
	v_lshlrev_b32_e32 v3, 2, v8
	v_and_or_b32 v3, v3, s0, v2
	v_lshlrev_b32_e32 v3, 2, v3
	ds_add_u32 v3, v20
	v_bfe_u32 v3, v8, 8, 8
	v_lshl_or_b32 v3, v3, 2, v2
	v_lshlrev_b32_e32 v3, 2, v3
	ds_add_u32 v3, v20 offset:4096
	v_bfe_u32 v3, v8, 16, 8
	v_lshl_or_b32 v3, v3, 2, v2
	v_lshlrev_b32_e32 v3, 2, v3
	ds_add_u32 v3, v20 offset:8192
	v_lshrrev_b32_e32 v3, 24, v8
	v_lshl_or_b32 v3, v3, 2, v19
	v_xor_b32_e32 v3, 0x200, v3
	v_lshlrev_b32_e32 v3, 2, v3
	ds_add_u32 v3, v20
	v_lshlrev_b32_e32 v3, 2, v7
	v_and_or_b32 v3, v3, s0, v2
	v_lshlrev_b32_e32 v3, 2, v3
	ds_add_u32 v3, v20
	v_bfe_u32 v3, v7, 8, 8
	v_lshl_or_b32 v3, v3, 2, v2
	v_lshlrev_b32_e32 v3, 2, v3
	ds_add_u32 v3, v20 offset:4096
	v_bfe_u32 v3, v7, 16, 8
	v_lshl_or_b32 v3, v3, 2, v2
	v_lshlrev_b32_e32 v3, 2, v3
	ds_add_u32 v3, v20 offset:8192
	v_lshrrev_b32_e32 v3, 24, v7
	v_lshl_or_b32 v3, v3, 2, v19
	v_xor_b32_e32 v3, 0x200, v3
	v_lshlrev_b32_e32 v3, 2, v3
	ds_add_u32 v3, v20
	v_lshlrev_b32_e32 v3, 2, v6
	v_and_or_b32 v3, v3, s0, v2
	v_lshlrev_b32_e32 v3, 2, v3
	ds_add_u32 v3, v20
	v_bfe_u32 v3, v6, 8, 8
	v_lshl_or_b32 v3, v3, 2, v2
	v_lshlrev_b32_e32 v3, 2, v3
	ds_add_u32 v3, v20 offset:4096
	v_bfe_u32 v3, v6, 16, 8
	v_lshl_or_b32 v3, v3, 2, v2
	v_lshlrev_b32_e32 v3, 2, v3
	ds_add_u32 v3, v20 offset:8192
	v_lshrrev_b32_e32 v3, 24, v6
	v_lshl_or_b32 v3, v3, 2, v19
	v_xor_b32_e32 v3, 0x200, v3
	v_lshlrev_b32_e32 v3, 2, v3
	ds_add_u32 v3, v20
	v_lshlrev_b32_e32 v3, 2, v5
	v_and_or_b32 v3, v3, s0, v2
	v_lshlrev_b32_e32 v3, 2, v3
	ds_add_u32 v3, v20
	v_bfe_u32 v3, v5, 8, 8
	v_lshl_or_b32 v3, v3, 2, v2
	v_lshlrev_b32_e32 v3, 2, v3
	ds_add_u32 v3, v20 offset:4096
	v_bfe_u32 v3, v5, 16, 8
	v_lshl_or_b32 v3, v3, 2, v2
	v_lshlrev_b32_e32 v3, 2, v3
	ds_add_u32 v3, v20 offset:8192
	v_lshrrev_b32_e32 v3, 24, v5
	v_lshl_or_b32 v3, v3, 2, v19
	v_xor_b32_e32 v3, 0x200, v3
	v_lshlrev_b32_e32 v3, 2, v3
	ds_add_u32 v3, v20
	s_waitcnt vmcnt(0)
	v_lshlrev_b32_e32 v3, 2, v4
	v_and_or_b32 v3, v3, s0, v2
	v_lshlrev_b32_e32 v3, 2, v3
	ds_add_u32 v3, v20
	v_bfe_u32 v3, v4, 8, 8
	v_lshl_or_b32 v3, v3, 2, v2
	v_lshlrev_b32_e32 v3, 2, v3
	ds_add_u32 v3, v20 offset:4096
	v_bfe_u32 v3, v4, 16, 8
	v_lshl_or_b32 v2, v3, 2, v2
	v_lshlrev_b32_e32 v2, 2, v2
	ds_add_u32 v2, v20 offset:8192
	v_lshrrev_b32_e32 v2, 24, v4
	v_lshl_or_b32 v2, v2, 2, v19
	v_xor_b32_e32 v2, 0x200, v2
	v_lshlrev_b32_e32 v2, 2, v2
	ds_add_u32 v2, v20
	s_movk_i32 s0, 0x100
	v_cmp_gt_u32_e32 vcc, s0, v0
	s_waitcnt lgkmcnt(0)
	s_barrier
	s_and_saveexec_b64 s[0:1], vcc
	s_cbranch_execz .LBB852_443
; %bb.442:
	v_lshlrev_b32_e32 v0, 4, v0
	ds_read2_b32 v[2:3], v0 offset1:1
	ds_read2_b32 v[4:5], v0 offset0:2 offset1:3
	v_add_u32_e32 v6, 0x1000, v0
	v_add_u32_e32 v7, 0x1008, v0
	s_waitcnt lgkmcnt(1)
	v_add_u32_e32 v2, v3, v2
	s_waitcnt lgkmcnt(0)
	v_add3_u32 v2, v2, v4, v5
	global_atomic_add v1, v2, s[10:11]
	ds_read2_b32 v[2:3], v6 offset1:1
	ds_read2_b32 v[4:5], v7 offset1:1
	v_or_b32_e32 v6, 0x2000, v0
	v_or_b32_e32 v7, 0x2008, v0
	s_waitcnt lgkmcnt(1)
	v_add_u32_e32 v2, v3, v2
	s_waitcnt lgkmcnt(0)
	v_add3_u32 v2, v2, v4, v5
	global_atomic_add v1, v2, s[10:11] offset:1024
	ds_read2_b32 v[2:3], v6 offset1:1
	ds_read2_b32 v[4:5], v7 offset1:1
	v_add_u32_e32 v6, 0x3000, v0
	v_add_u32_e32 v0, 0x3008, v0
	s_waitcnt lgkmcnt(1)
	v_add_u32_e32 v2, v3, v2
	s_waitcnt lgkmcnt(0)
	v_add3_u32 v2, v2, v4, v5
	global_atomic_add v1, v2, s[10:11] offset:2048
	ds_read2_b32 v[2:3], v6 offset1:1
	ds_read2_b32 v[4:5], v0 offset1:1
	s_waitcnt lgkmcnt(1)
	v_add_u32_e32 v0, v3, v2
	s_waitcnt lgkmcnt(0)
	v_add3_u32 v0, v0, v4, v5
	global_atomic_add v1, v0, s[10:11] offset:3072
.LBB852_443:
	s_endpgm
	.section	.rodata,"a",@progbits
	.p2align	6, 0x0
	.amdhsa_kernel _ZN7rocprim17ROCPRIM_400000_NS6detail17trampoline_kernelINS0_14default_configENS1_35radix_sort_onesweep_config_selectorIilEEZNS1_34radix_sort_onesweep_global_offsetsIS3_Lb0EPiN6thrust23THRUST_200600_302600_NS10device_ptrIlEEjNS0_19identity_decomposerEEE10hipError_tT1_T2_PT3_SG_jT4_jjP12ihipStream_tbEUlT_E_NS1_11comp_targetILNS1_3genE4ELNS1_11target_archE910ELNS1_3gpuE8ELNS1_3repE0EEENS1_52radix_sort_onesweep_histogram_config_static_selectorELNS0_4arch9wavefront6targetE1EEEvSE_
		.amdhsa_group_segment_fixed_size 16384
		.amdhsa_private_segment_fixed_size 0
		.amdhsa_kernarg_size 40
		.amdhsa_user_sgpr_count 6
		.amdhsa_user_sgpr_private_segment_buffer 1
		.amdhsa_user_sgpr_dispatch_ptr 0
		.amdhsa_user_sgpr_queue_ptr 0
		.amdhsa_user_sgpr_kernarg_segment_ptr 1
		.amdhsa_user_sgpr_dispatch_id 0
		.amdhsa_user_sgpr_flat_scratch_init 0
		.amdhsa_user_sgpr_kernarg_preload_length 0
		.amdhsa_user_sgpr_kernarg_preload_offset 0
		.amdhsa_user_sgpr_private_segment_size 0
		.amdhsa_uses_dynamic_stack 0
		.amdhsa_system_sgpr_private_segment_wavefront_offset 0
		.amdhsa_system_sgpr_workgroup_id_x 1
		.amdhsa_system_sgpr_workgroup_id_y 0
		.amdhsa_system_sgpr_workgroup_id_z 0
		.amdhsa_system_sgpr_workgroup_info 0
		.amdhsa_system_vgpr_workitem_id 0
		.amdhsa_next_free_vgpr 35
		.amdhsa_next_free_sgpr 19
		.amdhsa_accum_offset 36
		.amdhsa_reserve_vcc 1
		.amdhsa_reserve_flat_scratch 0
		.amdhsa_float_round_mode_32 0
		.amdhsa_float_round_mode_16_64 0
		.amdhsa_float_denorm_mode_32 3
		.amdhsa_float_denorm_mode_16_64 3
		.amdhsa_dx10_clamp 1
		.amdhsa_ieee_mode 1
		.amdhsa_fp16_overflow 0
		.amdhsa_tg_split 0
		.amdhsa_exception_fp_ieee_invalid_op 0
		.amdhsa_exception_fp_denorm_src 0
		.amdhsa_exception_fp_ieee_div_zero 0
		.amdhsa_exception_fp_ieee_overflow 0
		.amdhsa_exception_fp_ieee_underflow 0
		.amdhsa_exception_fp_ieee_inexact 0
		.amdhsa_exception_int_div_zero 0
	.end_amdhsa_kernel
	.section	.text._ZN7rocprim17ROCPRIM_400000_NS6detail17trampoline_kernelINS0_14default_configENS1_35radix_sort_onesweep_config_selectorIilEEZNS1_34radix_sort_onesweep_global_offsetsIS3_Lb0EPiN6thrust23THRUST_200600_302600_NS10device_ptrIlEEjNS0_19identity_decomposerEEE10hipError_tT1_T2_PT3_SG_jT4_jjP12ihipStream_tbEUlT_E_NS1_11comp_targetILNS1_3genE4ELNS1_11target_archE910ELNS1_3gpuE8ELNS1_3repE0EEENS1_52radix_sort_onesweep_histogram_config_static_selectorELNS0_4arch9wavefront6targetE1EEEvSE_,"axG",@progbits,_ZN7rocprim17ROCPRIM_400000_NS6detail17trampoline_kernelINS0_14default_configENS1_35radix_sort_onesweep_config_selectorIilEEZNS1_34radix_sort_onesweep_global_offsetsIS3_Lb0EPiN6thrust23THRUST_200600_302600_NS10device_ptrIlEEjNS0_19identity_decomposerEEE10hipError_tT1_T2_PT3_SG_jT4_jjP12ihipStream_tbEUlT_E_NS1_11comp_targetILNS1_3genE4ELNS1_11target_archE910ELNS1_3gpuE8ELNS1_3repE0EEENS1_52radix_sort_onesweep_histogram_config_static_selectorELNS0_4arch9wavefront6targetE1EEEvSE_,comdat
.Lfunc_end852:
	.size	_ZN7rocprim17ROCPRIM_400000_NS6detail17trampoline_kernelINS0_14default_configENS1_35radix_sort_onesweep_config_selectorIilEEZNS1_34radix_sort_onesweep_global_offsetsIS3_Lb0EPiN6thrust23THRUST_200600_302600_NS10device_ptrIlEEjNS0_19identity_decomposerEEE10hipError_tT1_T2_PT3_SG_jT4_jjP12ihipStream_tbEUlT_E_NS1_11comp_targetILNS1_3genE4ELNS1_11target_archE910ELNS1_3gpuE8ELNS1_3repE0EEENS1_52radix_sort_onesweep_histogram_config_static_selectorELNS0_4arch9wavefront6targetE1EEEvSE_, .Lfunc_end852-_ZN7rocprim17ROCPRIM_400000_NS6detail17trampoline_kernelINS0_14default_configENS1_35radix_sort_onesweep_config_selectorIilEEZNS1_34radix_sort_onesweep_global_offsetsIS3_Lb0EPiN6thrust23THRUST_200600_302600_NS10device_ptrIlEEjNS0_19identity_decomposerEEE10hipError_tT1_T2_PT3_SG_jT4_jjP12ihipStream_tbEUlT_E_NS1_11comp_targetILNS1_3genE4ELNS1_11target_archE910ELNS1_3gpuE8ELNS1_3repE0EEENS1_52radix_sort_onesweep_histogram_config_static_selectorELNS0_4arch9wavefront6targetE1EEEvSE_
                                        ; -- End function
	.section	.AMDGPU.csdata,"",@progbits
; Kernel info:
; codeLenInByte = 14544
; NumSgprs: 23
; NumVgprs: 35
; NumAgprs: 0
; TotalNumVgprs: 35
; ScratchSize: 0
; MemoryBound: 0
; FloatMode: 240
; IeeeMode: 1
; LDSByteSize: 16384 bytes/workgroup (compile time only)
; SGPRBlocks: 2
; VGPRBlocks: 4
; NumSGPRsForWavesPerEU: 23
; NumVGPRsForWavesPerEU: 35
; AccumOffset: 36
; Occupancy: 8
; WaveLimiterHint : 1
; COMPUTE_PGM_RSRC2:SCRATCH_EN: 0
; COMPUTE_PGM_RSRC2:USER_SGPR: 6
; COMPUTE_PGM_RSRC2:TRAP_HANDLER: 0
; COMPUTE_PGM_RSRC2:TGID_X_EN: 1
; COMPUTE_PGM_RSRC2:TGID_Y_EN: 0
; COMPUTE_PGM_RSRC2:TGID_Z_EN: 0
; COMPUTE_PGM_RSRC2:TIDIG_COMP_CNT: 0
; COMPUTE_PGM_RSRC3_GFX90A:ACCUM_OFFSET: 8
; COMPUTE_PGM_RSRC3_GFX90A:TG_SPLIT: 0
	.section	.text._ZN7rocprim17ROCPRIM_400000_NS6detail17trampoline_kernelINS0_14default_configENS1_35radix_sort_onesweep_config_selectorIilEEZNS1_34radix_sort_onesweep_global_offsetsIS3_Lb0EPiN6thrust23THRUST_200600_302600_NS10device_ptrIlEEjNS0_19identity_decomposerEEE10hipError_tT1_T2_PT3_SG_jT4_jjP12ihipStream_tbEUlT_E_NS1_11comp_targetILNS1_3genE3ELNS1_11target_archE908ELNS1_3gpuE7ELNS1_3repE0EEENS1_52radix_sort_onesweep_histogram_config_static_selectorELNS0_4arch9wavefront6targetE1EEEvSE_,"axG",@progbits,_ZN7rocprim17ROCPRIM_400000_NS6detail17trampoline_kernelINS0_14default_configENS1_35radix_sort_onesweep_config_selectorIilEEZNS1_34radix_sort_onesweep_global_offsetsIS3_Lb0EPiN6thrust23THRUST_200600_302600_NS10device_ptrIlEEjNS0_19identity_decomposerEEE10hipError_tT1_T2_PT3_SG_jT4_jjP12ihipStream_tbEUlT_E_NS1_11comp_targetILNS1_3genE3ELNS1_11target_archE908ELNS1_3gpuE7ELNS1_3repE0EEENS1_52radix_sort_onesweep_histogram_config_static_selectorELNS0_4arch9wavefront6targetE1EEEvSE_,comdat
	.protected	_ZN7rocprim17ROCPRIM_400000_NS6detail17trampoline_kernelINS0_14default_configENS1_35radix_sort_onesweep_config_selectorIilEEZNS1_34radix_sort_onesweep_global_offsetsIS3_Lb0EPiN6thrust23THRUST_200600_302600_NS10device_ptrIlEEjNS0_19identity_decomposerEEE10hipError_tT1_T2_PT3_SG_jT4_jjP12ihipStream_tbEUlT_E_NS1_11comp_targetILNS1_3genE3ELNS1_11target_archE908ELNS1_3gpuE7ELNS1_3repE0EEENS1_52radix_sort_onesweep_histogram_config_static_selectorELNS0_4arch9wavefront6targetE1EEEvSE_ ; -- Begin function _ZN7rocprim17ROCPRIM_400000_NS6detail17trampoline_kernelINS0_14default_configENS1_35radix_sort_onesweep_config_selectorIilEEZNS1_34radix_sort_onesweep_global_offsetsIS3_Lb0EPiN6thrust23THRUST_200600_302600_NS10device_ptrIlEEjNS0_19identity_decomposerEEE10hipError_tT1_T2_PT3_SG_jT4_jjP12ihipStream_tbEUlT_E_NS1_11comp_targetILNS1_3genE3ELNS1_11target_archE908ELNS1_3gpuE7ELNS1_3repE0EEENS1_52radix_sort_onesweep_histogram_config_static_selectorELNS0_4arch9wavefront6targetE1EEEvSE_
	.globl	_ZN7rocprim17ROCPRIM_400000_NS6detail17trampoline_kernelINS0_14default_configENS1_35radix_sort_onesweep_config_selectorIilEEZNS1_34radix_sort_onesweep_global_offsetsIS3_Lb0EPiN6thrust23THRUST_200600_302600_NS10device_ptrIlEEjNS0_19identity_decomposerEEE10hipError_tT1_T2_PT3_SG_jT4_jjP12ihipStream_tbEUlT_E_NS1_11comp_targetILNS1_3genE3ELNS1_11target_archE908ELNS1_3gpuE7ELNS1_3repE0EEENS1_52radix_sort_onesweep_histogram_config_static_selectorELNS0_4arch9wavefront6targetE1EEEvSE_
	.p2align	8
	.type	_ZN7rocprim17ROCPRIM_400000_NS6detail17trampoline_kernelINS0_14default_configENS1_35radix_sort_onesweep_config_selectorIilEEZNS1_34radix_sort_onesweep_global_offsetsIS3_Lb0EPiN6thrust23THRUST_200600_302600_NS10device_ptrIlEEjNS0_19identity_decomposerEEE10hipError_tT1_T2_PT3_SG_jT4_jjP12ihipStream_tbEUlT_E_NS1_11comp_targetILNS1_3genE3ELNS1_11target_archE908ELNS1_3gpuE7ELNS1_3repE0EEENS1_52radix_sort_onesweep_histogram_config_static_selectorELNS0_4arch9wavefront6targetE1EEEvSE_,@function
_ZN7rocprim17ROCPRIM_400000_NS6detail17trampoline_kernelINS0_14default_configENS1_35radix_sort_onesweep_config_selectorIilEEZNS1_34radix_sort_onesweep_global_offsetsIS3_Lb0EPiN6thrust23THRUST_200600_302600_NS10device_ptrIlEEjNS0_19identity_decomposerEEE10hipError_tT1_T2_PT3_SG_jT4_jjP12ihipStream_tbEUlT_E_NS1_11comp_targetILNS1_3genE3ELNS1_11target_archE908ELNS1_3gpuE7ELNS1_3repE0EEENS1_52radix_sort_onesweep_histogram_config_static_selectorELNS0_4arch9wavefront6targetE1EEEvSE_: ; @_ZN7rocprim17ROCPRIM_400000_NS6detail17trampoline_kernelINS0_14default_configENS1_35radix_sort_onesweep_config_selectorIilEEZNS1_34radix_sort_onesweep_global_offsetsIS3_Lb0EPiN6thrust23THRUST_200600_302600_NS10device_ptrIlEEjNS0_19identity_decomposerEEE10hipError_tT1_T2_PT3_SG_jT4_jjP12ihipStream_tbEUlT_E_NS1_11comp_targetILNS1_3genE3ELNS1_11target_archE908ELNS1_3gpuE7ELNS1_3repE0EEENS1_52radix_sort_onesweep_histogram_config_static_selectorELNS0_4arch9wavefront6targetE1EEEvSE_
; %bb.0:
	.section	.rodata,"a",@progbits
	.p2align	6, 0x0
	.amdhsa_kernel _ZN7rocprim17ROCPRIM_400000_NS6detail17trampoline_kernelINS0_14default_configENS1_35radix_sort_onesweep_config_selectorIilEEZNS1_34radix_sort_onesweep_global_offsetsIS3_Lb0EPiN6thrust23THRUST_200600_302600_NS10device_ptrIlEEjNS0_19identity_decomposerEEE10hipError_tT1_T2_PT3_SG_jT4_jjP12ihipStream_tbEUlT_E_NS1_11comp_targetILNS1_3genE3ELNS1_11target_archE908ELNS1_3gpuE7ELNS1_3repE0EEENS1_52radix_sort_onesweep_histogram_config_static_selectorELNS0_4arch9wavefront6targetE1EEEvSE_
		.amdhsa_group_segment_fixed_size 0
		.amdhsa_private_segment_fixed_size 0
		.amdhsa_kernarg_size 40
		.amdhsa_user_sgpr_count 6
		.amdhsa_user_sgpr_private_segment_buffer 1
		.amdhsa_user_sgpr_dispatch_ptr 0
		.amdhsa_user_sgpr_queue_ptr 0
		.amdhsa_user_sgpr_kernarg_segment_ptr 1
		.amdhsa_user_sgpr_dispatch_id 0
		.amdhsa_user_sgpr_flat_scratch_init 0
		.amdhsa_user_sgpr_kernarg_preload_length 0
		.amdhsa_user_sgpr_kernarg_preload_offset 0
		.amdhsa_user_sgpr_private_segment_size 0
		.amdhsa_uses_dynamic_stack 0
		.amdhsa_system_sgpr_private_segment_wavefront_offset 0
		.amdhsa_system_sgpr_workgroup_id_x 1
		.amdhsa_system_sgpr_workgroup_id_y 0
		.amdhsa_system_sgpr_workgroup_id_z 0
		.amdhsa_system_sgpr_workgroup_info 0
		.amdhsa_system_vgpr_workitem_id 0
		.amdhsa_next_free_vgpr 1
		.amdhsa_next_free_sgpr 0
		.amdhsa_accum_offset 4
		.amdhsa_reserve_vcc 0
		.amdhsa_reserve_flat_scratch 0
		.amdhsa_float_round_mode_32 0
		.amdhsa_float_round_mode_16_64 0
		.amdhsa_float_denorm_mode_32 3
		.amdhsa_float_denorm_mode_16_64 3
		.amdhsa_dx10_clamp 1
		.amdhsa_ieee_mode 1
		.amdhsa_fp16_overflow 0
		.amdhsa_tg_split 0
		.amdhsa_exception_fp_ieee_invalid_op 0
		.amdhsa_exception_fp_denorm_src 0
		.amdhsa_exception_fp_ieee_div_zero 0
		.amdhsa_exception_fp_ieee_overflow 0
		.amdhsa_exception_fp_ieee_underflow 0
		.amdhsa_exception_fp_ieee_inexact 0
		.amdhsa_exception_int_div_zero 0
	.end_amdhsa_kernel
	.section	.text._ZN7rocprim17ROCPRIM_400000_NS6detail17trampoline_kernelINS0_14default_configENS1_35radix_sort_onesweep_config_selectorIilEEZNS1_34radix_sort_onesweep_global_offsetsIS3_Lb0EPiN6thrust23THRUST_200600_302600_NS10device_ptrIlEEjNS0_19identity_decomposerEEE10hipError_tT1_T2_PT3_SG_jT4_jjP12ihipStream_tbEUlT_E_NS1_11comp_targetILNS1_3genE3ELNS1_11target_archE908ELNS1_3gpuE7ELNS1_3repE0EEENS1_52radix_sort_onesweep_histogram_config_static_selectorELNS0_4arch9wavefront6targetE1EEEvSE_,"axG",@progbits,_ZN7rocprim17ROCPRIM_400000_NS6detail17trampoline_kernelINS0_14default_configENS1_35radix_sort_onesweep_config_selectorIilEEZNS1_34radix_sort_onesweep_global_offsetsIS3_Lb0EPiN6thrust23THRUST_200600_302600_NS10device_ptrIlEEjNS0_19identity_decomposerEEE10hipError_tT1_T2_PT3_SG_jT4_jjP12ihipStream_tbEUlT_E_NS1_11comp_targetILNS1_3genE3ELNS1_11target_archE908ELNS1_3gpuE7ELNS1_3repE0EEENS1_52radix_sort_onesweep_histogram_config_static_selectorELNS0_4arch9wavefront6targetE1EEEvSE_,comdat
.Lfunc_end853:
	.size	_ZN7rocprim17ROCPRIM_400000_NS6detail17trampoline_kernelINS0_14default_configENS1_35radix_sort_onesweep_config_selectorIilEEZNS1_34radix_sort_onesweep_global_offsetsIS3_Lb0EPiN6thrust23THRUST_200600_302600_NS10device_ptrIlEEjNS0_19identity_decomposerEEE10hipError_tT1_T2_PT3_SG_jT4_jjP12ihipStream_tbEUlT_E_NS1_11comp_targetILNS1_3genE3ELNS1_11target_archE908ELNS1_3gpuE7ELNS1_3repE0EEENS1_52radix_sort_onesweep_histogram_config_static_selectorELNS0_4arch9wavefront6targetE1EEEvSE_, .Lfunc_end853-_ZN7rocprim17ROCPRIM_400000_NS6detail17trampoline_kernelINS0_14default_configENS1_35radix_sort_onesweep_config_selectorIilEEZNS1_34radix_sort_onesweep_global_offsetsIS3_Lb0EPiN6thrust23THRUST_200600_302600_NS10device_ptrIlEEjNS0_19identity_decomposerEEE10hipError_tT1_T2_PT3_SG_jT4_jjP12ihipStream_tbEUlT_E_NS1_11comp_targetILNS1_3genE3ELNS1_11target_archE908ELNS1_3gpuE7ELNS1_3repE0EEENS1_52radix_sort_onesweep_histogram_config_static_selectorELNS0_4arch9wavefront6targetE1EEEvSE_
                                        ; -- End function
	.section	.AMDGPU.csdata,"",@progbits
; Kernel info:
; codeLenInByte = 0
; NumSgprs: 4
; NumVgprs: 0
; NumAgprs: 0
; TotalNumVgprs: 0
; ScratchSize: 0
; MemoryBound: 0
; FloatMode: 240
; IeeeMode: 1
; LDSByteSize: 0 bytes/workgroup (compile time only)
; SGPRBlocks: 0
; VGPRBlocks: 0
; NumSGPRsForWavesPerEU: 4
; NumVGPRsForWavesPerEU: 1
; AccumOffset: 4
; Occupancy: 8
; WaveLimiterHint : 0
; COMPUTE_PGM_RSRC2:SCRATCH_EN: 0
; COMPUTE_PGM_RSRC2:USER_SGPR: 6
; COMPUTE_PGM_RSRC2:TRAP_HANDLER: 0
; COMPUTE_PGM_RSRC2:TGID_X_EN: 1
; COMPUTE_PGM_RSRC2:TGID_Y_EN: 0
; COMPUTE_PGM_RSRC2:TGID_Z_EN: 0
; COMPUTE_PGM_RSRC2:TIDIG_COMP_CNT: 0
; COMPUTE_PGM_RSRC3_GFX90A:ACCUM_OFFSET: 0
; COMPUTE_PGM_RSRC3_GFX90A:TG_SPLIT: 0
	.section	.text._ZN7rocprim17ROCPRIM_400000_NS6detail17trampoline_kernelINS0_14default_configENS1_35radix_sort_onesweep_config_selectorIilEEZNS1_34radix_sort_onesweep_global_offsetsIS3_Lb0EPiN6thrust23THRUST_200600_302600_NS10device_ptrIlEEjNS0_19identity_decomposerEEE10hipError_tT1_T2_PT3_SG_jT4_jjP12ihipStream_tbEUlT_E_NS1_11comp_targetILNS1_3genE10ELNS1_11target_archE1201ELNS1_3gpuE5ELNS1_3repE0EEENS1_52radix_sort_onesweep_histogram_config_static_selectorELNS0_4arch9wavefront6targetE1EEEvSE_,"axG",@progbits,_ZN7rocprim17ROCPRIM_400000_NS6detail17trampoline_kernelINS0_14default_configENS1_35radix_sort_onesweep_config_selectorIilEEZNS1_34radix_sort_onesweep_global_offsetsIS3_Lb0EPiN6thrust23THRUST_200600_302600_NS10device_ptrIlEEjNS0_19identity_decomposerEEE10hipError_tT1_T2_PT3_SG_jT4_jjP12ihipStream_tbEUlT_E_NS1_11comp_targetILNS1_3genE10ELNS1_11target_archE1201ELNS1_3gpuE5ELNS1_3repE0EEENS1_52radix_sort_onesweep_histogram_config_static_selectorELNS0_4arch9wavefront6targetE1EEEvSE_,comdat
	.protected	_ZN7rocprim17ROCPRIM_400000_NS6detail17trampoline_kernelINS0_14default_configENS1_35radix_sort_onesweep_config_selectorIilEEZNS1_34radix_sort_onesweep_global_offsetsIS3_Lb0EPiN6thrust23THRUST_200600_302600_NS10device_ptrIlEEjNS0_19identity_decomposerEEE10hipError_tT1_T2_PT3_SG_jT4_jjP12ihipStream_tbEUlT_E_NS1_11comp_targetILNS1_3genE10ELNS1_11target_archE1201ELNS1_3gpuE5ELNS1_3repE0EEENS1_52radix_sort_onesweep_histogram_config_static_selectorELNS0_4arch9wavefront6targetE1EEEvSE_ ; -- Begin function _ZN7rocprim17ROCPRIM_400000_NS6detail17trampoline_kernelINS0_14default_configENS1_35radix_sort_onesweep_config_selectorIilEEZNS1_34radix_sort_onesweep_global_offsetsIS3_Lb0EPiN6thrust23THRUST_200600_302600_NS10device_ptrIlEEjNS0_19identity_decomposerEEE10hipError_tT1_T2_PT3_SG_jT4_jjP12ihipStream_tbEUlT_E_NS1_11comp_targetILNS1_3genE10ELNS1_11target_archE1201ELNS1_3gpuE5ELNS1_3repE0EEENS1_52radix_sort_onesweep_histogram_config_static_selectorELNS0_4arch9wavefront6targetE1EEEvSE_
	.globl	_ZN7rocprim17ROCPRIM_400000_NS6detail17trampoline_kernelINS0_14default_configENS1_35radix_sort_onesweep_config_selectorIilEEZNS1_34radix_sort_onesweep_global_offsetsIS3_Lb0EPiN6thrust23THRUST_200600_302600_NS10device_ptrIlEEjNS0_19identity_decomposerEEE10hipError_tT1_T2_PT3_SG_jT4_jjP12ihipStream_tbEUlT_E_NS1_11comp_targetILNS1_3genE10ELNS1_11target_archE1201ELNS1_3gpuE5ELNS1_3repE0EEENS1_52radix_sort_onesweep_histogram_config_static_selectorELNS0_4arch9wavefront6targetE1EEEvSE_
	.p2align	8
	.type	_ZN7rocprim17ROCPRIM_400000_NS6detail17trampoline_kernelINS0_14default_configENS1_35radix_sort_onesweep_config_selectorIilEEZNS1_34radix_sort_onesweep_global_offsetsIS3_Lb0EPiN6thrust23THRUST_200600_302600_NS10device_ptrIlEEjNS0_19identity_decomposerEEE10hipError_tT1_T2_PT3_SG_jT4_jjP12ihipStream_tbEUlT_E_NS1_11comp_targetILNS1_3genE10ELNS1_11target_archE1201ELNS1_3gpuE5ELNS1_3repE0EEENS1_52radix_sort_onesweep_histogram_config_static_selectorELNS0_4arch9wavefront6targetE1EEEvSE_,@function
_ZN7rocprim17ROCPRIM_400000_NS6detail17trampoline_kernelINS0_14default_configENS1_35radix_sort_onesweep_config_selectorIilEEZNS1_34radix_sort_onesweep_global_offsetsIS3_Lb0EPiN6thrust23THRUST_200600_302600_NS10device_ptrIlEEjNS0_19identity_decomposerEEE10hipError_tT1_T2_PT3_SG_jT4_jjP12ihipStream_tbEUlT_E_NS1_11comp_targetILNS1_3genE10ELNS1_11target_archE1201ELNS1_3gpuE5ELNS1_3repE0EEENS1_52radix_sort_onesweep_histogram_config_static_selectorELNS0_4arch9wavefront6targetE1EEEvSE_: ; @_ZN7rocprim17ROCPRIM_400000_NS6detail17trampoline_kernelINS0_14default_configENS1_35radix_sort_onesweep_config_selectorIilEEZNS1_34radix_sort_onesweep_global_offsetsIS3_Lb0EPiN6thrust23THRUST_200600_302600_NS10device_ptrIlEEjNS0_19identity_decomposerEEE10hipError_tT1_T2_PT3_SG_jT4_jjP12ihipStream_tbEUlT_E_NS1_11comp_targetILNS1_3genE10ELNS1_11target_archE1201ELNS1_3gpuE5ELNS1_3repE0EEENS1_52radix_sort_onesweep_histogram_config_static_selectorELNS0_4arch9wavefront6targetE1EEEvSE_
; %bb.0:
	.section	.rodata,"a",@progbits
	.p2align	6, 0x0
	.amdhsa_kernel _ZN7rocprim17ROCPRIM_400000_NS6detail17trampoline_kernelINS0_14default_configENS1_35radix_sort_onesweep_config_selectorIilEEZNS1_34radix_sort_onesweep_global_offsetsIS3_Lb0EPiN6thrust23THRUST_200600_302600_NS10device_ptrIlEEjNS0_19identity_decomposerEEE10hipError_tT1_T2_PT3_SG_jT4_jjP12ihipStream_tbEUlT_E_NS1_11comp_targetILNS1_3genE10ELNS1_11target_archE1201ELNS1_3gpuE5ELNS1_3repE0EEENS1_52radix_sort_onesweep_histogram_config_static_selectorELNS0_4arch9wavefront6targetE1EEEvSE_
		.amdhsa_group_segment_fixed_size 0
		.amdhsa_private_segment_fixed_size 0
		.amdhsa_kernarg_size 40
		.amdhsa_user_sgpr_count 6
		.amdhsa_user_sgpr_private_segment_buffer 1
		.amdhsa_user_sgpr_dispatch_ptr 0
		.amdhsa_user_sgpr_queue_ptr 0
		.amdhsa_user_sgpr_kernarg_segment_ptr 1
		.amdhsa_user_sgpr_dispatch_id 0
		.amdhsa_user_sgpr_flat_scratch_init 0
		.amdhsa_user_sgpr_kernarg_preload_length 0
		.amdhsa_user_sgpr_kernarg_preload_offset 0
		.amdhsa_user_sgpr_private_segment_size 0
		.amdhsa_uses_dynamic_stack 0
		.amdhsa_system_sgpr_private_segment_wavefront_offset 0
		.amdhsa_system_sgpr_workgroup_id_x 1
		.amdhsa_system_sgpr_workgroup_id_y 0
		.amdhsa_system_sgpr_workgroup_id_z 0
		.amdhsa_system_sgpr_workgroup_info 0
		.amdhsa_system_vgpr_workitem_id 0
		.amdhsa_next_free_vgpr 1
		.amdhsa_next_free_sgpr 0
		.amdhsa_accum_offset 4
		.amdhsa_reserve_vcc 0
		.amdhsa_reserve_flat_scratch 0
		.amdhsa_float_round_mode_32 0
		.amdhsa_float_round_mode_16_64 0
		.amdhsa_float_denorm_mode_32 3
		.amdhsa_float_denorm_mode_16_64 3
		.amdhsa_dx10_clamp 1
		.amdhsa_ieee_mode 1
		.amdhsa_fp16_overflow 0
		.amdhsa_tg_split 0
		.amdhsa_exception_fp_ieee_invalid_op 0
		.amdhsa_exception_fp_denorm_src 0
		.amdhsa_exception_fp_ieee_div_zero 0
		.amdhsa_exception_fp_ieee_overflow 0
		.amdhsa_exception_fp_ieee_underflow 0
		.amdhsa_exception_fp_ieee_inexact 0
		.amdhsa_exception_int_div_zero 0
	.end_amdhsa_kernel
	.section	.text._ZN7rocprim17ROCPRIM_400000_NS6detail17trampoline_kernelINS0_14default_configENS1_35radix_sort_onesweep_config_selectorIilEEZNS1_34radix_sort_onesweep_global_offsetsIS3_Lb0EPiN6thrust23THRUST_200600_302600_NS10device_ptrIlEEjNS0_19identity_decomposerEEE10hipError_tT1_T2_PT3_SG_jT4_jjP12ihipStream_tbEUlT_E_NS1_11comp_targetILNS1_3genE10ELNS1_11target_archE1201ELNS1_3gpuE5ELNS1_3repE0EEENS1_52radix_sort_onesweep_histogram_config_static_selectorELNS0_4arch9wavefront6targetE1EEEvSE_,"axG",@progbits,_ZN7rocprim17ROCPRIM_400000_NS6detail17trampoline_kernelINS0_14default_configENS1_35radix_sort_onesweep_config_selectorIilEEZNS1_34radix_sort_onesweep_global_offsetsIS3_Lb0EPiN6thrust23THRUST_200600_302600_NS10device_ptrIlEEjNS0_19identity_decomposerEEE10hipError_tT1_T2_PT3_SG_jT4_jjP12ihipStream_tbEUlT_E_NS1_11comp_targetILNS1_3genE10ELNS1_11target_archE1201ELNS1_3gpuE5ELNS1_3repE0EEENS1_52radix_sort_onesweep_histogram_config_static_selectorELNS0_4arch9wavefront6targetE1EEEvSE_,comdat
.Lfunc_end854:
	.size	_ZN7rocprim17ROCPRIM_400000_NS6detail17trampoline_kernelINS0_14default_configENS1_35radix_sort_onesweep_config_selectorIilEEZNS1_34radix_sort_onesweep_global_offsetsIS3_Lb0EPiN6thrust23THRUST_200600_302600_NS10device_ptrIlEEjNS0_19identity_decomposerEEE10hipError_tT1_T2_PT3_SG_jT4_jjP12ihipStream_tbEUlT_E_NS1_11comp_targetILNS1_3genE10ELNS1_11target_archE1201ELNS1_3gpuE5ELNS1_3repE0EEENS1_52radix_sort_onesweep_histogram_config_static_selectorELNS0_4arch9wavefront6targetE1EEEvSE_, .Lfunc_end854-_ZN7rocprim17ROCPRIM_400000_NS6detail17trampoline_kernelINS0_14default_configENS1_35radix_sort_onesweep_config_selectorIilEEZNS1_34radix_sort_onesweep_global_offsetsIS3_Lb0EPiN6thrust23THRUST_200600_302600_NS10device_ptrIlEEjNS0_19identity_decomposerEEE10hipError_tT1_T2_PT3_SG_jT4_jjP12ihipStream_tbEUlT_E_NS1_11comp_targetILNS1_3genE10ELNS1_11target_archE1201ELNS1_3gpuE5ELNS1_3repE0EEENS1_52radix_sort_onesweep_histogram_config_static_selectorELNS0_4arch9wavefront6targetE1EEEvSE_
                                        ; -- End function
	.section	.AMDGPU.csdata,"",@progbits
; Kernel info:
; codeLenInByte = 0
; NumSgprs: 4
; NumVgprs: 0
; NumAgprs: 0
; TotalNumVgprs: 0
; ScratchSize: 0
; MemoryBound: 0
; FloatMode: 240
; IeeeMode: 1
; LDSByteSize: 0 bytes/workgroup (compile time only)
; SGPRBlocks: 0
; VGPRBlocks: 0
; NumSGPRsForWavesPerEU: 4
; NumVGPRsForWavesPerEU: 1
; AccumOffset: 4
; Occupancy: 8
; WaveLimiterHint : 0
; COMPUTE_PGM_RSRC2:SCRATCH_EN: 0
; COMPUTE_PGM_RSRC2:USER_SGPR: 6
; COMPUTE_PGM_RSRC2:TRAP_HANDLER: 0
; COMPUTE_PGM_RSRC2:TGID_X_EN: 1
; COMPUTE_PGM_RSRC2:TGID_Y_EN: 0
; COMPUTE_PGM_RSRC2:TGID_Z_EN: 0
; COMPUTE_PGM_RSRC2:TIDIG_COMP_CNT: 0
; COMPUTE_PGM_RSRC3_GFX90A:ACCUM_OFFSET: 0
; COMPUTE_PGM_RSRC3_GFX90A:TG_SPLIT: 0
	.section	.text._ZN7rocprim17ROCPRIM_400000_NS6detail17trampoline_kernelINS0_14default_configENS1_35radix_sort_onesweep_config_selectorIilEEZNS1_34radix_sort_onesweep_global_offsetsIS3_Lb0EPiN6thrust23THRUST_200600_302600_NS10device_ptrIlEEjNS0_19identity_decomposerEEE10hipError_tT1_T2_PT3_SG_jT4_jjP12ihipStream_tbEUlT_E_NS1_11comp_targetILNS1_3genE9ELNS1_11target_archE1100ELNS1_3gpuE3ELNS1_3repE0EEENS1_52radix_sort_onesweep_histogram_config_static_selectorELNS0_4arch9wavefront6targetE1EEEvSE_,"axG",@progbits,_ZN7rocprim17ROCPRIM_400000_NS6detail17trampoline_kernelINS0_14default_configENS1_35radix_sort_onesweep_config_selectorIilEEZNS1_34radix_sort_onesweep_global_offsetsIS3_Lb0EPiN6thrust23THRUST_200600_302600_NS10device_ptrIlEEjNS0_19identity_decomposerEEE10hipError_tT1_T2_PT3_SG_jT4_jjP12ihipStream_tbEUlT_E_NS1_11comp_targetILNS1_3genE9ELNS1_11target_archE1100ELNS1_3gpuE3ELNS1_3repE0EEENS1_52radix_sort_onesweep_histogram_config_static_selectorELNS0_4arch9wavefront6targetE1EEEvSE_,comdat
	.protected	_ZN7rocprim17ROCPRIM_400000_NS6detail17trampoline_kernelINS0_14default_configENS1_35radix_sort_onesweep_config_selectorIilEEZNS1_34radix_sort_onesweep_global_offsetsIS3_Lb0EPiN6thrust23THRUST_200600_302600_NS10device_ptrIlEEjNS0_19identity_decomposerEEE10hipError_tT1_T2_PT3_SG_jT4_jjP12ihipStream_tbEUlT_E_NS1_11comp_targetILNS1_3genE9ELNS1_11target_archE1100ELNS1_3gpuE3ELNS1_3repE0EEENS1_52radix_sort_onesweep_histogram_config_static_selectorELNS0_4arch9wavefront6targetE1EEEvSE_ ; -- Begin function _ZN7rocprim17ROCPRIM_400000_NS6detail17trampoline_kernelINS0_14default_configENS1_35radix_sort_onesweep_config_selectorIilEEZNS1_34radix_sort_onesweep_global_offsetsIS3_Lb0EPiN6thrust23THRUST_200600_302600_NS10device_ptrIlEEjNS0_19identity_decomposerEEE10hipError_tT1_T2_PT3_SG_jT4_jjP12ihipStream_tbEUlT_E_NS1_11comp_targetILNS1_3genE9ELNS1_11target_archE1100ELNS1_3gpuE3ELNS1_3repE0EEENS1_52radix_sort_onesweep_histogram_config_static_selectorELNS0_4arch9wavefront6targetE1EEEvSE_
	.globl	_ZN7rocprim17ROCPRIM_400000_NS6detail17trampoline_kernelINS0_14default_configENS1_35radix_sort_onesweep_config_selectorIilEEZNS1_34radix_sort_onesweep_global_offsetsIS3_Lb0EPiN6thrust23THRUST_200600_302600_NS10device_ptrIlEEjNS0_19identity_decomposerEEE10hipError_tT1_T2_PT3_SG_jT4_jjP12ihipStream_tbEUlT_E_NS1_11comp_targetILNS1_3genE9ELNS1_11target_archE1100ELNS1_3gpuE3ELNS1_3repE0EEENS1_52radix_sort_onesweep_histogram_config_static_selectorELNS0_4arch9wavefront6targetE1EEEvSE_
	.p2align	8
	.type	_ZN7rocprim17ROCPRIM_400000_NS6detail17trampoline_kernelINS0_14default_configENS1_35radix_sort_onesweep_config_selectorIilEEZNS1_34radix_sort_onesweep_global_offsetsIS3_Lb0EPiN6thrust23THRUST_200600_302600_NS10device_ptrIlEEjNS0_19identity_decomposerEEE10hipError_tT1_T2_PT3_SG_jT4_jjP12ihipStream_tbEUlT_E_NS1_11comp_targetILNS1_3genE9ELNS1_11target_archE1100ELNS1_3gpuE3ELNS1_3repE0EEENS1_52radix_sort_onesweep_histogram_config_static_selectorELNS0_4arch9wavefront6targetE1EEEvSE_,@function
_ZN7rocprim17ROCPRIM_400000_NS6detail17trampoline_kernelINS0_14default_configENS1_35radix_sort_onesweep_config_selectorIilEEZNS1_34radix_sort_onesweep_global_offsetsIS3_Lb0EPiN6thrust23THRUST_200600_302600_NS10device_ptrIlEEjNS0_19identity_decomposerEEE10hipError_tT1_T2_PT3_SG_jT4_jjP12ihipStream_tbEUlT_E_NS1_11comp_targetILNS1_3genE9ELNS1_11target_archE1100ELNS1_3gpuE3ELNS1_3repE0EEENS1_52radix_sort_onesweep_histogram_config_static_selectorELNS0_4arch9wavefront6targetE1EEEvSE_: ; @_ZN7rocprim17ROCPRIM_400000_NS6detail17trampoline_kernelINS0_14default_configENS1_35radix_sort_onesweep_config_selectorIilEEZNS1_34radix_sort_onesweep_global_offsetsIS3_Lb0EPiN6thrust23THRUST_200600_302600_NS10device_ptrIlEEjNS0_19identity_decomposerEEE10hipError_tT1_T2_PT3_SG_jT4_jjP12ihipStream_tbEUlT_E_NS1_11comp_targetILNS1_3genE9ELNS1_11target_archE1100ELNS1_3gpuE3ELNS1_3repE0EEENS1_52radix_sort_onesweep_histogram_config_static_selectorELNS0_4arch9wavefront6targetE1EEEvSE_
; %bb.0:
	.section	.rodata,"a",@progbits
	.p2align	6, 0x0
	.amdhsa_kernel _ZN7rocprim17ROCPRIM_400000_NS6detail17trampoline_kernelINS0_14default_configENS1_35radix_sort_onesweep_config_selectorIilEEZNS1_34radix_sort_onesweep_global_offsetsIS3_Lb0EPiN6thrust23THRUST_200600_302600_NS10device_ptrIlEEjNS0_19identity_decomposerEEE10hipError_tT1_T2_PT3_SG_jT4_jjP12ihipStream_tbEUlT_E_NS1_11comp_targetILNS1_3genE9ELNS1_11target_archE1100ELNS1_3gpuE3ELNS1_3repE0EEENS1_52radix_sort_onesweep_histogram_config_static_selectorELNS0_4arch9wavefront6targetE1EEEvSE_
		.amdhsa_group_segment_fixed_size 0
		.amdhsa_private_segment_fixed_size 0
		.amdhsa_kernarg_size 40
		.amdhsa_user_sgpr_count 6
		.amdhsa_user_sgpr_private_segment_buffer 1
		.amdhsa_user_sgpr_dispatch_ptr 0
		.amdhsa_user_sgpr_queue_ptr 0
		.amdhsa_user_sgpr_kernarg_segment_ptr 1
		.amdhsa_user_sgpr_dispatch_id 0
		.amdhsa_user_sgpr_flat_scratch_init 0
		.amdhsa_user_sgpr_kernarg_preload_length 0
		.amdhsa_user_sgpr_kernarg_preload_offset 0
		.amdhsa_user_sgpr_private_segment_size 0
		.amdhsa_uses_dynamic_stack 0
		.amdhsa_system_sgpr_private_segment_wavefront_offset 0
		.amdhsa_system_sgpr_workgroup_id_x 1
		.amdhsa_system_sgpr_workgroup_id_y 0
		.amdhsa_system_sgpr_workgroup_id_z 0
		.amdhsa_system_sgpr_workgroup_info 0
		.amdhsa_system_vgpr_workitem_id 0
		.amdhsa_next_free_vgpr 1
		.amdhsa_next_free_sgpr 0
		.amdhsa_accum_offset 4
		.amdhsa_reserve_vcc 0
		.amdhsa_reserve_flat_scratch 0
		.amdhsa_float_round_mode_32 0
		.amdhsa_float_round_mode_16_64 0
		.amdhsa_float_denorm_mode_32 3
		.amdhsa_float_denorm_mode_16_64 3
		.amdhsa_dx10_clamp 1
		.amdhsa_ieee_mode 1
		.amdhsa_fp16_overflow 0
		.amdhsa_tg_split 0
		.amdhsa_exception_fp_ieee_invalid_op 0
		.amdhsa_exception_fp_denorm_src 0
		.amdhsa_exception_fp_ieee_div_zero 0
		.amdhsa_exception_fp_ieee_overflow 0
		.amdhsa_exception_fp_ieee_underflow 0
		.amdhsa_exception_fp_ieee_inexact 0
		.amdhsa_exception_int_div_zero 0
	.end_amdhsa_kernel
	.section	.text._ZN7rocprim17ROCPRIM_400000_NS6detail17trampoline_kernelINS0_14default_configENS1_35radix_sort_onesweep_config_selectorIilEEZNS1_34radix_sort_onesweep_global_offsetsIS3_Lb0EPiN6thrust23THRUST_200600_302600_NS10device_ptrIlEEjNS0_19identity_decomposerEEE10hipError_tT1_T2_PT3_SG_jT4_jjP12ihipStream_tbEUlT_E_NS1_11comp_targetILNS1_3genE9ELNS1_11target_archE1100ELNS1_3gpuE3ELNS1_3repE0EEENS1_52radix_sort_onesweep_histogram_config_static_selectorELNS0_4arch9wavefront6targetE1EEEvSE_,"axG",@progbits,_ZN7rocprim17ROCPRIM_400000_NS6detail17trampoline_kernelINS0_14default_configENS1_35radix_sort_onesweep_config_selectorIilEEZNS1_34radix_sort_onesweep_global_offsetsIS3_Lb0EPiN6thrust23THRUST_200600_302600_NS10device_ptrIlEEjNS0_19identity_decomposerEEE10hipError_tT1_T2_PT3_SG_jT4_jjP12ihipStream_tbEUlT_E_NS1_11comp_targetILNS1_3genE9ELNS1_11target_archE1100ELNS1_3gpuE3ELNS1_3repE0EEENS1_52radix_sort_onesweep_histogram_config_static_selectorELNS0_4arch9wavefront6targetE1EEEvSE_,comdat
.Lfunc_end855:
	.size	_ZN7rocprim17ROCPRIM_400000_NS6detail17trampoline_kernelINS0_14default_configENS1_35radix_sort_onesweep_config_selectorIilEEZNS1_34radix_sort_onesweep_global_offsetsIS3_Lb0EPiN6thrust23THRUST_200600_302600_NS10device_ptrIlEEjNS0_19identity_decomposerEEE10hipError_tT1_T2_PT3_SG_jT4_jjP12ihipStream_tbEUlT_E_NS1_11comp_targetILNS1_3genE9ELNS1_11target_archE1100ELNS1_3gpuE3ELNS1_3repE0EEENS1_52radix_sort_onesweep_histogram_config_static_selectorELNS0_4arch9wavefront6targetE1EEEvSE_, .Lfunc_end855-_ZN7rocprim17ROCPRIM_400000_NS6detail17trampoline_kernelINS0_14default_configENS1_35radix_sort_onesweep_config_selectorIilEEZNS1_34radix_sort_onesweep_global_offsetsIS3_Lb0EPiN6thrust23THRUST_200600_302600_NS10device_ptrIlEEjNS0_19identity_decomposerEEE10hipError_tT1_T2_PT3_SG_jT4_jjP12ihipStream_tbEUlT_E_NS1_11comp_targetILNS1_3genE9ELNS1_11target_archE1100ELNS1_3gpuE3ELNS1_3repE0EEENS1_52radix_sort_onesweep_histogram_config_static_selectorELNS0_4arch9wavefront6targetE1EEEvSE_
                                        ; -- End function
	.section	.AMDGPU.csdata,"",@progbits
; Kernel info:
; codeLenInByte = 0
; NumSgprs: 4
; NumVgprs: 0
; NumAgprs: 0
; TotalNumVgprs: 0
; ScratchSize: 0
; MemoryBound: 0
; FloatMode: 240
; IeeeMode: 1
; LDSByteSize: 0 bytes/workgroup (compile time only)
; SGPRBlocks: 0
; VGPRBlocks: 0
; NumSGPRsForWavesPerEU: 4
; NumVGPRsForWavesPerEU: 1
; AccumOffset: 4
; Occupancy: 8
; WaveLimiterHint : 0
; COMPUTE_PGM_RSRC2:SCRATCH_EN: 0
; COMPUTE_PGM_RSRC2:USER_SGPR: 6
; COMPUTE_PGM_RSRC2:TRAP_HANDLER: 0
; COMPUTE_PGM_RSRC2:TGID_X_EN: 1
; COMPUTE_PGM_RSRC2:TGID_Y_EN: 0
; COMPUTE_PGM_RSRC2:TGID_Z_EN: 0
; COMPUTE_PGM_RSRC2:TIDIG_COMP_CNT: 0
; COMPUTE_PGM_RSRC3_GFX90A:ACCUM_OFFSET: 0
; COMPUTE_PGM_RSRC3_GFX90A:TG_SPLIT: 0
	.section	.text._ZN7rocprim17ROCPRIM_400000_NS6detail17trampoline_kernelINS0_14default_configENS1_35radix_sort_onesweep_config_selectorIilEEZNS1_34radix_sort_onesweep_global_offsetsIS3_Lb0EPiN6thrust23THRUST_200600_302600_NS10device_ptrIlEEjNS0_19identity_decomposerEEE10hipError_tT1_T2_PT3_SG_jT4_jjP12ihipStream_tbEUlT_E_NS1_11comp_targetILNS1_3genE8ELNS1_11target_archE1030ELNS1_3gpuE2ELNS1_3repE0EEENS1_52radix_sort_onesweep_histogram_config_static_selectorELNS0_4arch9wavefront6targetE1EEEvSE_,"axG",@progbits,_ZN7rocprim17ROCPRIM_400000_NS6detail17trampoline_kernelINS0_14default_configENS1_35radix_sort_onesweep_config_selectorIilEEZNS1_34radix_sort_onesweep_global_offsetsIS3_Lb0EPiN6thrust23THRUST_200600_302600_NS10device_ptrIlEEjNS0_19identity_decomposerEEE10hipError_tT1_T2_PT3_SG_jT4_jjP12ihipStream_tbEUlT_E_NS1_11comp_targetILNS1_3genE8ELNS1_11target_archE1030ELNS1_3gpuE2ELNS1_3repE0EEENS1_52radix_sort_onesweep_histogram_config_static_selectorELNS0_4arch9wavefront6targetE1EEEvSE_,comdat
	.protected	_ZN7rocprim17ROCPRIM_400000_NS6detail17trampoline_kernelINS0_14default_configENS1_35radix_sort_onesweep_config_selectorIilEEZNS1_34radix_sort_onesweep_global_offsetsIS3_Lb0EPiN6thrust23THRUST_200600_302600_NS10device_ptrIlEEjNS0_19identity_decomposerEEE10hipError_tT1_T2_PT3_SG_jT4_jjP12ihipStream_tbEUlT_E_NS1_11comp_targetILNS1_3genE8ELNS1_11target_archE1030ELNS1_3gpuE2ELNS1_3repE0EEENS1_52radix_sort_onesweep_histogram_config_static_selectorELNS0_4arch9wavefront6targetE1EEEvSE_ ; -- Begin function _ZN7rocprim17ROCPRIM_400000_NS6detail17trampoline_kernelINS0_14default_configENS1_35radix_sort_onesweep_config_selectorIilEEZNS1_34radix_sort_onesweep_global_offsetsIS3_Lb0EPiN6thrust23THRUST_200600_302600_NS10device_ptrIlEEjNS0_19identity_decomposerEEE10hipError_tT1_T2_PT3_SG_jT4_jjP12ihipStream_tbEUlT_E_NS1_11comp_targetILNS1_3genE8ELNS1_11target_archE1030ELNS1_3gpuE2ELNS1_3repE0EEENS1_52radix_sort_onesweep_histogram_config_static_selectorELNS0_4arch9wavefront6targetE1EEEvSE_
	.globl	_ZN7rocprim17ROCPRIM_400000_NS6detail17trampoline_kernelINS0_14default_configENS1_35radix_sort_onesweep_config_selectorIilEEZNS1_34radix_sort_onesweep_global_offsetsIS3_Lb0EPiN6thrust23THRUST_200600_302600_NS10device_ptrIlEEjNS0_19identity_decomposerEEE10hipError_tT1_T2_PT3_SG_jT4_jjP12ihipStream_tbEUlT_E_NS1_11comp_targetILNS1_3genE8ELNS1_11target_archE1030ELNS1_3gpuE2ELNS1_3repE0EEENS1_52radix_sort_onesweep_histogram_config_static_selectorELNS0_4arch9wavefront6targetE1EEEvSE_
	.p2align	8
	.type	_ZN7rocprim17ROCPRIM_400000_NS6detail17trampoline_kernelINS0_14default_configENS1_35radix_sort_onesweep_config_selectorIilEEZNS1_34radix_sort_onesweep_global_offsetsIS3_Lb0EPiN6thrust23THRUST_200600_302600_NS10device_ptrIlEEjNS0_19identity_decomposerEEE10hipError_tT1_T2_PT3_SG_jT4_jjP12ihipStream_tbEUlT_E_NS1_11comp_targetILNS1_3genE8ELNS1_11target_archE1030ELNS1_3gpuE2ELNS1_3repE0EEENS1_52radix_sort_onesweep_histogram_config_static_selectorELNS0_4arch9wavefront6targetE1EEEvSE_,@function
_ZN7rocprim17ROCPRIM_400000_NS6detail17trampoline_kernelINS0_14default_configENS1_35radix_sort_onesweep_config_selectorIilEEZNS1_34radix_sort_onesweep_global_offsetsIS3_Lb0EPiN6thrust23THRUST_200600_302600_NS10device_ptrIlEEjNS0_19identity_decomposerEEE10hipError_tT1_T2_PT3_SG_jT4_jjP12ihipStream_tbEUlT_E_NS1_11comp_targetILNS1_3genE8ELNS1_11target_archE1030ELNS1_3gpuE2ELNS1_3repE0EEENS1_52radix_sort_onesweep_histogram_config_static_selectorELNS0_4arch9wavefront6targetE1EEEvSE_: ; @_ZN7rocprim17ROCPRIM_400000_NS6detail17trampoline_kernelINS0_14default_configENS1_35radix_sort_onesweep_config_selectorIilEEZNS1_34radix_sort_onesweep_global_offsetsIS3_Lb0EPiN6thrust23THRUST_200600_302600_NS10device_ptrIlEEjNS0_19identity_decomposerEEE10hipError_tT1_T2_PT3_SG_jT4_jjP12ihipStream_tbEUlT_E_NS1_11comp_targetILNS1_3genE8ELNS1_11target_archE1030ELNS1_3gpuE2ELNS1_3repE0EEENS1_52radix_sort_onesweep_histogram_config_static_selectorELNS0_4arch9wavefront6targetE1EEEvSE_
; %bb.0:
	.section	.rodata,"a",@progbits
	.p2align	6, 0x0
	.amdhsa_kernel _ZN7rocprim17ROCPRIM_400000_NS6detail17trampoline_kernelINS0_14default_configENS1_35radix_sort_onesweep_config_selectorIilEEZNS1_34radix_sort_onesweep_global_offsetsIS3_Lb0EPiN6thrust23THRUST_200600_302600_NS10device_ptrIlEEjNS0_19identity_decomposerEEE10hipError_tT1_T2_PT3_SG_jT4_jjP12ihipStream_tbEUlT_E_NS1_11comp_targetILNS1_3genE8ELNS1_11target_archE1030ELNS1_3gpuE2ELNS1_3repE0EEENS1_52radix_sort_onesweep_histogram_config_static_selectorELNS0_4arch9wavefront6targetE1EEEvSE_
		.amdhsa_group_segment_fixed_size 0
		.amdhsa_private_segment_fixed_size 0
		.amdhsa_kernarg_size 40
		.amdhsa_user_sgpr_count 6
		.amdhsa_user_sgpr_private_segment_buffer 1
		.amdhsa_user_sgpr_dispatch_ptr 0
		.amdhsa_user_sgpr_queue_ptr 0
		.amdhsa_user_sgpr_kernarg_segment_ptr 1
		.amdhsa_user_sgpr_dispatch_id 0
		.amdhsa_user_sgpr_flat_scratch_init 0
		.amdhsa_user_sgpr_kernarg_preload_length 0
		.amdhsa_user_sgpr_kernarg_preload_offset 0
		.amdhsa_user_sgpr_private_segment_size 0
		.amdhsa_uses_dynamic_stack 0
		.amdhsa_system_sgpr_private_segment_wavefront_offset 0
		.amdhsa_system_sgpr_workgroup_id_x 1
		.amdhsa_system_sgpr_workgroup_id_y 0
		.amdhsa_system_sgpr_workgroup_id_z 0
		.amdhsa_system_sgpr_workgroup_info 0
		.amdhsa_system_vgpr_workitem_id 0
		.amdhsa_next_free_vgpr 1
		.amdhsa_next_free_sgpr 0
		.amdhsa_accum_offset 4
		.amdhsa_reserve_vcc 0
		.amdhsa_reserve_flat_scratch 0
		.amdhsa_float_round_mode_32 0
		.amdhsa_float_round_mode_16_64 0
		.amdhsa_float_denorm_mode_32 3
		.amdhsa_float_denorm_mode_16_64 3
		.amdhsa_dx10_clamp 1
		.amdhsa_ieee_mode 1
		.amdhsa_fp16_overflow 0
		.amdhsa_tg_split 0
		.amdhsa_exception_fp_ieee_invalid_op 0
		.amdhsa_exception_fp_denorm_src 0
		.amdhsa_exception_fp_ieee_div_zero 0
		.amdhsa_exception_fp_ieee_overflow 0
		.amdhsa_exception_fp_ieee_underflow 0
		.amdhsa_exception_fp_ieee_inexact 0
		.amdhsa_exception_int_div_zero 0
	.end_amdhsa_kernel
	.section	.text._ZN7rocprim17ROCPRIM_400000_NS6detail17trampoline_kernelINS0_14default_configENS1_35radix_sort_onesweep_config_selectorIilEEZNS1_34radix_sort_onesweep_global_offsetsIS3_Lb0EPiN6thrust23THRUST_200600_302600_NS10device_ptrIlEEjNS0_19identity_decomposerEEE10hipError_tT1_T2_PT3_SG_jT4_jjP12ihipStream_tbEUlT_E_NS1_11comp_targetILNS1_3genE8ELNS1_11target_archE1030ELNS1_3gpuE2ELNS1_3repE0EEENS1_52radix_sort_onesweep_histogram_config_static_selectorELNS0_4arch9wavefront6targetE1EEEvSE_,"axG",@progbits,_ZN7rocprim17ROCPRIM_400000_NS6detail17trampoline_kernelINS0_14default_configENS1_35radix_sort_onesweep_config_selectorIilEEZNS1_34radix_sort_onesweep_global_offsetsIS3_Lb0EPiN6thrust23THRUST_200600_302600_NS10device_ptrIlEEjNS0_19identity_decomposerEEE10hipError_tT1_T2_PT3_SG_jT4_jjP12ihipStream_tbEUlT_E_NS1_11comp_targetILNS1_3genE8ELNS1_11target_archE1030ELNS1_3gpuE2ELNS1_3repE0EEENS1_52radix_sort_onesweep_histogram_config_static_selectorELNS0_4arch9wavefront6targetE1EEEvSE_,comdat
.Lfunc_end856:
	.size	_ZN7rocprim17ROCPRIM_400000_NS6detail17trampoline_kernelINS0_14default_configENS1_35radix_sort_onesweep_config_selectorIilEEZNS1_34radix_sort_onesweep_global_offsetsIS3_Lb0EPiN6thrust23THRUST_200600_302600_NS10device_ptrIlEEjNS0_19identity_decomposerEEE10hipError_tT1_T2_PT3_SG_jT4_jjP12ihipStream_tbEUlT_E_NS1_11comp_targetILNS1_3genE8ELNS1_11target_archE1030ELNS1_3gpuE2ELNS1_3repE0EEENS1_52radix_sort_onesweep_histogram_config_static_selectorELNS0_4arch9wavefront6targetE1EEEvSE_, .Lfunc_end856-_ZN7rocprim17ROCPRIM_400000_NS6detail17trampoline_kernelINS0_14default_configENS1_35radix_sort_onesweep_config_selectorIilEEZNS1_34radix_sort_onesweep_global_offsetsIS3_Lb0EPiN6thrust23THRUST_200600_302600_NS10device_ptrIlEEjNS0_19identity_decomposerEEE10hipError_tT1_T2_PT3_SG_jT4_jjP12ihipStream_tbEUlT_E_NS1_11comp_targetILNS1_3genE8ELNS1_11target_archE1030ELNS1_3gpuE2ELNS1_3repE0EEENS1_52radix_sort_onesweep_histogram_config_static_selectorELNS0_4arch9wavefront6targetE1EEEvSE_
                                        ; -- End function
	.section	.AMDGPU.csdata,"",@progbits
; Kernel info:
; codeLenInByte = 0
; NumSgprs: 4
; NumVgprs: 0
; NumAgprs: 0
; TotalNumVgprs: 0
; ScratchSize: 0
; MemoryBound: 0
; FloatMode: 240
; IeeeMode: 1
; LDSByteSize: 0 bytes/workgroup (compile time only)
; SGPRBlocks: 0
; VGPRBlocks: 0
; NumSGPRsForWavesPerEU: 4
; NumVGPRsForWavesPerEU: 1
; AccumOffset: 4
; Occupancy: 8
; WaveLimiterHint : 0
; COMPUTE_PGM_RSRC2:SCRATCH_EN: 0
; COMPUTE_PGM_RSRC2:USER_SGPR: 6
; COMPUTE_PGM_RSRC2:TRAP_HANDLER: 0
; COMPUTE_PGM_RSRC2:TGID_X_EN: 1
; COMPUTE_PGM_RSRC2:TGID_Y_EN: 0
; COMPUTE_PGM_RSRC2:TGID_Z_EN: 0
; COMPUTE_PGM_RSRC2:TIDIG_COMP_CNT: 0
; COMPUTE_PGM_RSRC3_GFX90A:ACCUM_OFFSET: 0
; COMPUTE_PGM_RSRC3_GFX90A:TG_SPLIT: 0
	.section	.text._ZN7rocprim17ROCPRIM_400000_NS6detail17trampoline_kernelINS0_14default_configENS1_35radix_sort_onesweep_config_selectorIilEEZNS1_34radix_sort_onesweep_global_offsetsIS3_Lb0EPiN6thrust23THRUST_200600_302600_NS10device_ptrIlEEjNS0_19identity_decomposerEEE10hipError_tT1_T2_PT3_SG_jT4_jjP12ihipStream_tbEUlT_E0_NS1_11comp_targetILNS1_3genE0ELNS1_11target_archE4294967295ELNS1_3gpuE0ELNS1_3repE0EEENS1_52radix_sort_onesweep_histogram_config_static_selectorELNS0_4arch9wavefront6targetE1EEEvSE_,"axG",@progbits,_ZN7rocprim17ROCPRIM_400000_NS6detail17trampoline_kernelINS0_14default_configENS1_35radix_sort_onesweep_config_selectorIilEEZNS1_34radix_sort_onesweep_global_offsetsIS3_Lb0EPiN6thrust23THRUST_200600_302600_NS10device_ptrIlEEjNS0_19identity_decomposerEEE10hipError_tT1_T2_PT3_SG_jT4_jjP12ihipStream_tbEUlT_E0_NS1_11comp_targetILNS1_3genE0ELNS1_11target_archE4294967295ELNS1_3gpuE0ELNS1_3repE0EEENS1_52radix_sort_onesweep_histogram_config_static_selectorELNS0_4arch9wavefront6targetE1EEEvSE_,comdat
	.protected	_ZN7rocprim17ROCPRIM_400000_NS6detail17trampoline_kernelINS0_14default_configENS1_35radix_sort_onesweep_config_selectorIilEEZNS1_34radix_sort_onesweep_global_offsetsIS3_Lb0EPiN6thrust23THRUST_200600_302600_NS10device_ptrIlEEjNS0_19identity_decomposerEEE10hipError_tT1_T2_PT3_SG_jT4_jjP12ihipStream_tbEUlT_E0_NS1_11comp_targetILNS1_3genE0ELNS1_11target_archE4294967295ELNS1_3gpuE0ELNS1_3repE0EEENS1_52radix_sort_onesweep_histogram_config_static_selectorELNS0_4arch9wavefront6targetE1EEEvSE_ ; -- Begin function _ZN7rocprim17ROCPRIM_400000_NS6detail17trampoline_kernelINS0_14default_configENS1_35radix_sort_onesweep_config_selectorIilEEZNS1_34radix_sort_onesweep_global_offsetsIS3_Lb0EPiN6thrust23THRUST_200600_302600_NS10device_ptrIlEEjNS0_19identity_decomposerEEE10hipError_tT1_T2_PT3_SG_jT4_jjP12ihipStream_tbEUlT_E0_NS1_11comp_targetILNS1_3genE0ELNS1_11target_archE4294967295ELNS1_3gpuE0ELNS1_3repE0EEENS1_52radix_sort_onesweep_histogram_config_static_selectorELNS0_4arch9wavefront6targetE1EEEvSE_
	.globl	_ZN7rocprim17ROCPRIM_400000_NS6detail17trampoline_kernelINS0_14default_configENS1_35radix_sort_onesweep_config_selectorIilEEZNS1_34radix_sort_onesweep_global_offsetsIS3_Lb0EPiN6thrust23THRUST_200600_302600_NS10device_ptrIlEEjNS0_19identity_decomposerEEE10hipError_tT1_T2_PT3_SG_jT4_jjP12ihipStream_tbEUlT_E0_NS1_11comp_targetILNS1_3genE0ELNS1_11target_archE4294967295ELNS1_3gpuE0ELNS1_3repE0EEENS1_52radix_sort_onesweep_histogram_config_static_selectorELNS0_4arch9wavefront6targetE1EEEvSE_
	.p2align	8
	.type	_ZN7rocprim17ROCPRIM_400000_NS6detail17trampoline_kernelINS0_14default_configENS1_35radix_sort_onesweep_config_selectorIilEEZNS1_34radix_sort_onesweep_global_offsetsIS3_Lb0EPiN6thrust23THRUST_200600_302600_NS10device_ptrIlEEjNS0_19identity_decomposerEEE10hipError_tT1_T2_PT3_SG_jT4_jjP12ihipStream_tbEUlT_E0_NS1_11comp_targetILNS1_3genE0ELNS1_11target_archE4294967295ELNS1_3gpuE0ELNS1_3repE0EEENS1_52radix_sort_onesweep_histogram_config_static_selectorELNS0_4arch9wavefront6targetE1EEEvSE_,@function
_ZN7rocprim17ROCPRIM_400000_NS6detail17trampoline_kernelINS0_14default_configENS1_35radix_sort_onesweep_config_selectorIilEEZNS1_34radix_sort_onesweep_global_offsetsIS3_Lb0EPiN6thrust23THRUST_200600_302600_NS10device_ptrIlEEjNS0_19identity_decomposerEEE10hipError_tT1_T2_PT3_SG_jT4_jjP12ihipStream_tbEUlT_E0_NS1_11comp_targetILNS1_3genE0ELNS1_11target_archE4294967295ELNS1_3gpuE0ELNS1_3repE0EEENS1_52radix_sort_onesweep_histogram_config_static_selectorELNS0_4arch9wavefront6targetE1EEEvSE_: ; @_ZN7rocprim17ROCPRIM_400000_NS6detail17trampoline_kernelINS0_14default_configENS1_35radix_sort_onesweep_config_selectorIilEEZNS1_34radix_sort_onesweep_global_offsetsIS3_Lb0EPiN6thrust23THRUST_200600_302600_NS10device_ptrIlEEjNS0_19identity_decomposerEEE10hipError_tT1_T2_PT3_SG_jT4_jjP12ihipStream_tbEUlT_E0_NS1_11comp_targetILNS1_3genE0ELNS1_11target_archE4294967295ELNS1_3gpuE0ELNS1_3repE0EEENS1_52radix_sort_onesweep_histogram_config_static_selectorELNS0_4arch9wavefront6targetE1EEEvSE_
; %bb.0:
	.section	.rodata,"a",@progbits
	.p2align	6, 0x0
	.amdhsa_kernel _ZN7rocprim17ROCPRIM_400000_NS6detail17trampoline_kernelINS0_14default_configENS1_35radix_sort_onesweep_config_selectorIilEEZNS1_34radix_sort_onesweep_global_offsetsIS3_Lb0EPiN6thrust23THRUST_200600_302600_NS10device_ptrIlEEjNS0_19identity_decomposerEEE10hipError_tT1_T2_PT3_SG_jT4_jjP12ihipStream_tbEUlT_E0_NS1_11comp_targetILNS1_3genE0ELNS1_11target_archE4294967295ELNS1_3gpuE0ELNS1_3repE0EEENS1_52radix_sort_onesweep_histogram_config_static_selectorELNS0_4arch9wavefront6targetE1EEEvSE_
		.amdhsa_group_segment_fixed_size 0
		.amdhsa_private_segment_fixed_size 0
		.amdhsa_kernarg_size 8
		.amdhsa_user_sgpr_count 6
		.amdhsa_user_sgpr_private_segment_buffer 1
		.amdhsa_user_sgpr_dispatch_ptr 0
		.amdhsa_user_sgpr_queue_ptr 0
		.amdhsa_user_sgpr_kernarg_segment_ptr 1
		.amdhsa_user_sgpr_dispatch_id 0
		.amdhsa_user_sgpr_flat_scratch_init 0
		.amdhsa_user_sgpr_kernarg_preload_length 0
		.amdhsa_user_sgpr_kernarg_preload_offset 0
		.amdhsa_user_sgpr_private_segment_size 0
		.amdhsa_uses_dynamic_stack 0
		.amdhsa_system_sgpr_private_segment_wavefront_offset 0
		.amdhsa_system_sgpr_workgroup_id_x 1
		.amdhsa_system_sgpr_workgroup_id_y 0
		.amdhsa_system_sgpr_workgroup_id_z 0
		.amdhsa_system_sgpr_workgroup_info 0
		.amdhsa_system_vgpr_workitem_id 0
		.amdhsa_next_free_vgpr 1
		.amdhsa_next_free_sgpr 0
		.amdhsa_accum_offset 4
		.amdhsa_reserve_vcc 0
		.amdhsa_reserve_flat_scratch 0
		.amdhsa_float_round_mode_32 0
		.amdhsa_float_round_mode_16_64 0
		.amdhsa_float_denorm_mode_32 3
		.amdhsa_float_denorm_mode_16_64 3
		.amdhsa_dx10_clamp 1
		.amdhsa_ieee_mode 1
		.amdhsa_fp16_overflow 0
		.amdhsa_tg_split 0
		.amdhsa_exception_fp_ieee_invalid_op 0
		.amdhsa_exception_fp_denorm_src 0
		.amdhsa_exception_fp_ieee_div_zero 0
		.amdhsa_exception_fp_ieee_overflow 0
		.amdhsa_exception_fp_ieee_underflow 0
		.amdhsa_exception_fp_ieee_inexact 0
		.amdhsa_exception_int_div_zero 0
	.end_amdhsa_kernel
	.section	.text._ZN7rocprim17ROCPRIM_400000_NS6detail17trampoline_kernelINS0_14default_configENS1_35radix_sort_onesweep_config_selectorIilEEZNS1_34radix_sort_onesweep_global_offsetsIS3_Lb0EPiN6thrust23THRUST_200600_302600_NS10device_ptrIlEEjNS0_19identity_decomposerEEE10hipError_tT1_T2_PT3_SG_jT4_jjP12ihipStream_tbEUlT_E0_NS1_11comp_targetILNS1_3genE0ELNS1_11target_archE4294967295ELNS1_3gpuE0ELNS1_3repE0EEENS1_52radix_sort_onesweep_histogram_config_static_selectorELNS0_4arch9wavefront6targetE1EEEvSE_,"axG",@progbits,_ZN7rocprim17ROCPRIM_400000_NS6detail17trampoline_kernelINS0_14default_configENS1_35radix_sort_onesweep_config_selectorIilEEZNS1_34radix_sort_onesweep_global_offsetsIS3_Lb0EPiN6thrust23THRUST_200600_302600_NS10device_ptrIlEEjNS0_19identity_decomposerEEE10hipError_tT1_T2_PT3_SG_jT4_jjP12ihipStream_tbEUlT_E0_NS1_11comp_targetILNS1_3genE0ELNS1_11target_archE4294967295ELNS1_3gpuE0ELNS1_3repE0EEENS1_52radix_sort_onesweep_histogram_config_static_selectorELNS0_4arch9wavefront6targetE1EEEvSE_,comdat
.Lfunc_end857:
	.size	_ZN7rocprim17ROCPRIM_400000_NS6detail17trampoline_kernelINS0_14default_configENS1_35radix_sort_onesweep_config_selectorIilEEZNS1_34radix_sort_onesweep_global_offsetsIS3_Lb0EPiN6thrust23THRUST_200600_302600_NS10device_ptrIlEEjNS0_19identity_decomposerEEE10hipError_tT1_T2_PT3_SG_jT4_jjP12ihipStream_tbEUlT_E0_NS1_11comp_targetILNS1_3genE0ELNS1_11target_archE4294967295ELNS1_3gpuE0ELNS1_3repE0EEENS1_52radix_sort_onesweep_histogram_config_static_selectorELNS0_4arch9wavefront6targetE1EEEvSE_, .Lfunc_end857-_ZN7rocprim17ROCPRIM_400000_NS6detail17trampoline_kernelINS0_14default_configENS1_35radix_sort_onesweep_config_selectorIilEEZNS1_34radix_sort_onesweep_global_offsetsIS3_Lb0EPiN6thrust23THRUST_200600_302600_NS10device_ptrIlEEjNS0_19identity_decomposerEEE10hipError_tT1_T2_PT3_SG_jT4_jjP12ihipStream_tbEUlT_E0_NS1_11comp_targetILNS1_3genE0ELNS1_11target_archE4294967295ELNS1_3gpuE0ELNS1_3repE0EEENS1_52radix_sort_onesweep_histogram_config_static_selectorELNS0_4arch9wavefront6targetE1EEEvSE_
                                        ; -- End function
	.section	.AMDGPU.csdata,"",@progbits
; Kernel info:
; codeLenInByte = 0
; NumSgprs: 4
; NumVgprs: 0
; NumAgprs: 0
; TotalNumVgprs: 0
; ScratchSize: 0
; MemoryBound: 0
; FloatMode: 240
; IeeeMode: 1
; LDSByteSize: 0 bytes/workgroup (compile time only)
; SGPRBlocks: 0
; VGPRBlocks: 0
; NumSGPRsForWavesPerEU: 4
; NumVGPRsForWavesPerEU: 1
; AccumOffset: 4
; Occupancy: 8
; WaveLimiterHint : 0
; COMPUTE_PGM_RSRC2:SCRATCH_EN: 0
; COMPUTE_PGM_RSRC2:USER_SGPR: 6
; COMPUTE_PGM_RSRC2:TRAP_HANDLER: 0
; COMPUTE_PGM_RSRC2:TGID_X_EN: 1
; COMPUTE_PGM_RSRC2:TGID_Y_EN: 0
; COMPUTE_PGM_RSRC2:TGID_Z_EN: 0
; COMPUTE_PGM_RSRC2:TIDIG_COMP_CNT: 0
; COMPUTE_PGM_RSRC3_GFX90A:ACCUM_OFFSET: 0
; COMPUTE_PGM_RSRC3_GFX90A:TG_SPLIT: 0
	.section	.text._ZN7rocprim17ROCPRIM_400000_NS6detail17trampoline_kernelINS0_14default_configENS1_35radix_sort_onesweep_config_selectorIilEEZNS1_34radix_sort_onesweep_global_offsetsIS3_Lb0EPiN6thrust23THRUST_200600_302600_NS10device_ptrIlEEjNS0_19identity_decomposerEEE10hipError_tT1_T2_PT3_SG_jT4_jjP12ihipStream_tbEUlT_E0_NS1_11comp_targetILNS1_3genE6ELNS1_11target_archE950ELNS1_3gpuE13ELNS1_3repE0EEENS1_52radix_sort_onesweep_histogram_config_static_selectorELNS0_4arch9wavefront6targetE1EEEvSE_,"axG",@progbits,_ZN7rocprim17ROCPRIM_400000_NS6detail17trampoline_kernelINS0_14default_configENS1_35radix_sort_onesweep_config_selectorIilEEZNS1_34radix_sort_onesweep_global_offsetsIS3_Lb0EPiN6thrust23THRUST_200600_302600_NS10device_ptrIlEEjNS0_19identity_decomposerEEE10hipError_tT1_T2_PT3_SG_jT4_jjP12ihipStream_tbEUlT_E0_NS1_11comp_targetILNS1_3genE6ELNS1_11target_archE950ELNS1_3gpuE13ELNS1_3repE0EEENS1_52radix_sort_onesweep_histogram_config_static_selectorELNS0_4arch9wavefront6targetE1EEEvSE_,comdat
	.protected	_ZN7rocprim17ROCPRIM_400000_NS6detail17trampoline_kernelINS0_14default_configENS1_35radix_sort_onesweep_config_selectorIilEEZNS1_34radix_sort_onesweep_global_offsetsIS3_Lb0EPiN6thrust23THRUST_200600_302600_NS10device_ptrIlEEjNS0_19identity_decomposerEEE10hipError_tT1_T2_PT3_SG_jT4_jjP12ihipStream_tbEUlT_E0_NS1_11comp_targetILNS1_3genE6ELNS1_11target_archE950ELNS1_3gpuE13ELNS1_3repE0EEENS1_52radix_sort_onesweep_histogram_config_static_selectorELNS0_4arch9wavefront6targetE1EEEvSE_ ; -- Begin function _ZN7rocprim17ROCPRIM_400000_NS6detail17trampoline_kernelINS0_14default_configENS1_35radix_sort_onesweep_config_selectorIilEEZNS1_34radix_sort_onesweep_global_offsetsIS3_Lb0EPiN6thrust23THRUST_200600_302600_NS10device_ptrIlEEjNS0_19identity_decomposerEEE10hipError_tT1_T2_PT3_SG_jT4_jjP12ihipStream_tbEUlT_E0_NS1_11comp_targetILNS1_3genE6ELNS1_11target_archE950ELNS1_3gpuE13ELNS1_3repE0EEENS1_52radix_sort_onesweep_histogram_config_static_selectorELNS0_4arch9wavefront6targetE1EEEvSE_
	.globl	_ZN7rocprim17ROCPRIM_400000_NS6detail17trampoline_kernelINS0_14default_configENS1_35radix_sort_onesweep_config_selectorIilEEZNS1_34radix_sort_onesweep_global_offsetsIS3_Lb0EPiN6thrust23THRUST_200600_302600_NS10device_ptrIlEEjNS0_19identity_decomposerEEE10hipError_tT1_T2_PT3_SG_jT4_jjP12ihipStream_tbEUlT_E0_NS1_11comp_targetILNS1_3genE6ELNS1_11target_archE950ELNS1_3gpuE13ELNS1_3repE0EEENS1_52radix_sort_onesweep_histogram_config_static_selectorELNS0_4arch9wavefront6targetE1EEEvSE_
	.p2align	8
	.type	_ZN7rocprim17ROCPRIM_400000_NS6detail17trampoline_kernelINS0_14default_configENS1_35radix_sort_onesweep_config_selectorIilEEZNS1_34radix_sort_onesweep_global_offsetsIS3_Lb0EPiN6thrust23THRUST_200600_302600_NS10device_ptrIlEEjNS0_19identity_decomposerEEE10hipError_tT1_T2_PT3_SG_jT4_jjP12ihipStream_tbEUlT_E0_NS1_11comp_targetILNS1_3genE6ELNS1_11target_archE950ELNS1_3gpuE13ELNS1_3repE0EEENS1_52radix_sort_onesweep_histogram_config_static_selectorELNS0_4arch9wavefront6targetE1EEEvSE_,@function
_ZN7rocprim17ROCPRIM_400000_NS6detail17trampoline_kernelINS0_14default_configENS1_35radix_sort_onesweep_config_selectorIilEEZNS1_34radix_sort_onesweep_global_offsetsIS3_Lb0EPiN6thrust23THRUST_200600_302600_NS10device_ptrIlEEjNS0_19identity_decomposerEEE10hipError_tT1_T2_PT3_SG_jT4_jjP12ihipStream_tbEUlT_E0_NS1_11comp_targetILNS1_3genE6ELNS1_11target_archE950ELNS1_3gpuE13ELNS1_3repE0EEENS1_52radix_sort_onesweep_histogram_config_static_selectorELNS0_4arch9wavefront6targetE1EEEvSE_: ; @_ZN7rocprim17ROCPRIM_400000_NS6detail17trampoline_kernelINS0_14default_configENS1_35radix_sort_onesweep_config_selectorIilEEZNS1_34radix_sort_onesweep_global_offsetsIS3_Lb0EPiN6thrust23THRUST_200600_302600_NS10device_ptrIlEEjNS0_19identity_decomposerEEE10hipError_tT1_T2_PT3_SG_jT4_jjP12ihipStream_tbEUlT_E0_NS1_11comp_targetILNS1_3genE6ELNS1_11target_archE950ELNS1_3gpuE13ELNS1_3repE0EEENS1_52radix_sort_onesweep_histogram_config_static_selectorELNS0_4arch9wavefront6targetE1EEEvSE_
; %bb.0:
	.section	.rodata,"a",@progbits
	.p2align	6, 0x0
	.amdhsa_kernel _ZN7rocprim17ROCPRIM_400000_NS6detail17trampoline_kernelINS0_14default_configENS1_35radix_sort_onesweep_config_selectorIilEEZNS1_34radix_sort_onesweep_global_offsetsIS3_Lb0EPiN6thrust23THRUST_200600_302600_NS10device_ptrIlEEjNS0_19identity_decomposerEEE10hipError_tT1_T2_PT3_SG_jT4_jjP12ihipStream_tbEUlT_E0_NS1_11comp_targetILNS1_3genE6ELNS1_11target_archE950ELNS1_3gpuE13ELNS1_3repE0EEENS1_52radix_sort_onesweep_histogram_config_static_selectorELNS0_4arch9wavefront6targetE1EEEvSE_
		.amdhsa_group_segment_fixed_size 0
		.amdhsa_private_segment_fixed_size 0
		.amdhsa_kernarg_size 8
		.amdhsa_user_sgpr_count 6
		.amdhsa_user_sgpr_private_segment_buffer 1
		.amdhsa_user_sgpr_dispatch_ptr 0
		.amdhsa_user_sgpr_queue_ptr 0
		.amdhsa_user_sgpr_kernarg_segment_ptr 1
		.amdhsa_user_sgpr_dispatch_id 0
		.amdhsa_user_sgpr_flat_scratch_init 0
		.amdhsa_user_sgpr_kernarg_preload_length 0
		.amdhsa_user_sgpr_kernarg_preload_offset 0
		.amdhsa_user_sgpr_private_segment_size 0
		.amdhsa_uses_dynamic_stack 0
		.amdhsa_system_sgpr_private_segment_wavefront_offset 0
		.amdhsa_system_sgpr_workgroup_id_x 1
		.amdhsa_system_sgpr_workgroup_id_y 0
		.amdhsa_system_sgpr_workgroup_id_z 0
		.amdhsa_system_sgpr_workgroup_info 0
		.amdhsa_system_vgpr_workitem_id 0
		.amdhsa_next_free_vgpr 1
		.amdhsa_next_free_sgpr 0
		.amdhsa_accum_offset 4
		.amdhsa_reserve_vcc 0
		.amdhsa_reserve_flat_scratch 0
		.amdhsa_float_round_mode_32 0
		.amdhsa_float_round_mode_16_64 0
		.amdhsa_float_denorm_mode_32 3
		.amdhsa_float_denorm_mode_16_64 3
		.amdhsa_dx10_clamp 1
		.amdhsa_ieee_mode 1
		.amdhsa_fp16_overflow 0
		.amdhsa_tg_split 0
		.amdhsa_exception_fp_ieee_invalid_op 0
		.amdhsa_exception_fp_denorm_src 0
		.amdhsa_exception_fp_ieee_div_zero 0
		.amdhsa_exception_fp_ieee_overflow 0
		.amdhsa_exception_fp_ieee_underflow 0
		.amdhsa_exception_fp_ieee_inexact 0
		.amdhsa_exception_int_div_zero 0
	.end_amdhsa_kernel
	.section	.text._ZN7rocprim17ROCPRIM_400000_NS6detail17trampoline_kernelINS0_14default_configENS1_35radix_sort_onesweep_config_selectorIilEEZNS1_34radix_sort_onesweep_global_offsetsIS3_Lb0EPiN6thrust23THRUST_200600_302600_NS10device_ptrIlEEjNS0_19identity_decomposerEEE10hipError_tT1_T2_PT3_SG_jT4_jjP12ihipStream_tbEUlT_E0_NS1_11comp_targetILNS1_3genE6ELNS1_11target_archE950ELNS1_3gpuE13ELNS1_3repE0EEENS1_52radix_sort_onesweep_histogram_config_static_selectorELNS0_4arch9wavefront6targetE1EEEvSE_,"axG",@progbits,_ZN7rocprim17ROCPRIM_400000_NS6detail17trampoline_kernelINS0_14default_configENS1_35radix_sort_onesweep_config_selectorIilEEZNS1_34radix_sort_onesweep_global_offsetsIS3_Lb0EPiN6thrust23THRUST_200600_302600_NS10device_ptrIlEEjNS0_19identity_decomposerEEE10hipError_tT1_T2_PT3_SG_jT4_jjP12ihipStream_tbEUlT_E0_NS1_11comp_targetILNS1_3genE6ELNS1_11target_archE950ELNS1_3gpuE13ELNS1_3repE0EEENS1_52radix_sort_onesweep_histogram_config_static_selectorELNS0_4arch9wavefront6targetE1EEEvSE_,comdat
.Lfunc_end858:
	.size	_ZN7rocprim17ROCPRIM_400000_NS6detail17trampoline_kernelINS0_14default_configENS1_35radix_sort_onesweep_config_selectorIilEEZNS1_34radix_sort_onesweep_global_offsetsIS3_Lb0EPiN6thrust23THRUST_200600_302600_NS10device_ptrIlEEjNS0_19identity_decomposerEEE10hipError_tT1_T2_PT3_SG_jT4_jjP12ihipStream_tbEUlT_E0_NS1_11comp_targetILNS1_3genE6ELNS1_11target_archE950ELNS1_3gpuE13ELNS1_3repE0EEENS1_52radix_sort_onesweep_histogram_config_static_selectorELNS0_4arch9wavefront6targetE1EEEvSE_, .Lfunc_end858-_ZN7rocprim17ROCPRIM_400000_NS6detail17trampoline_kernelINS0_14default_configENS1_35radix_sort_onesweep_config_selectorIilEEZNS1_34radix_sort_onesweep_global_offsetsIS3_Lb0EPiN6thrust23THRUST_200600_302600_NS10device_ptrIlEEjNS0_19identity_decomposerEEE10hipError_tT1_T2_PT3_SG_jT4_jjP12ihipStream_tbEUlT_E0_NS1_11comp_targetILNS1_3genE6ELNS1_11target_archE950ELNS1_3gpuE13ELNS1_3repE0EEENS1_52radix_sort_onesweep_histogram_config_static_selectorELNS0_4arch9wavefront6targetE1EEEvSE_
                                        ; -- End function
	.section	.AMDGPU.csdata,"",@progbits
; Kernel info:
; codeLenInByte = 0
; NumSgprs: 4
; NumVgprs: 0
; NumAgprs: 0
; TotalNumVgprs: 0
; ScratchSize: 0
; MemoryBound: 0
; FloatMode: 240
; IeeeMode: 1
; LDSByteSize: 0 bytes/workgroup (compile time only)
; SGPRBlocks: 0
; VGPRBlocks: 0
; NumSGPRsForWavesPerEU: 4
; NumVGPRsForWavesPerEU: 1
; AccumOffset: 4
; Occupancy: 8
; WaveLimiterHint : 0
; COMPUTE_PGM_RSRC2:SCRATCH_EN: 0
; COMPUTE_PGM_RSRC2:USER_SGPR: 6
; COMPUTE_PGM_RSRC2:TRAP_HANDLER: 0
; COMPUTE_PGM_RSRC2:TGID_X_EN: 1
; COMPUTE_PGM_RSRC2:TGID_Y_EN: 0
; COMPUTE_PGM_RSRC2:TGID_Z_EN: 0
; COMPUTE_PGM_RSRC2:TIDIG_COMP_CNT: 0
; COMPUTE_PGM_RSRC3_GFX90A:ACCUM_OFFSET: 0
; COMPUTE_PGM_RSRC3_GFX90A:TG_SPLIT: 0
	.section	.text._ZN7rocprim17ROCPRIM_400000_NS6detail17trampoline_kernelINS0_14default_configENS1_35radix_sort_onesweep_config_selectorIilEEZNS1_34radix_sort_onesweep_global_offsetsIS3_Lb0EPiN6thrust23THRUST_200600_302600_NS10device_ptrIlEEjNS0_19identity_decomposerEEE10hipError_tT1_T2_PT3_SG_jT4_jjP12ihipStream_tbEUlT_E0_NS1_11comp_targetILNS1_3genE5ELNS1_11target_archE942ELNS1_3gpuE9ELNS1_3repE0EEENS1_52radix_sort_onesweep_histogram_config_static_selectorELNS0_4arch9wavefront6targetE1EEEvSE_,"axG",@progbits,_ZN7rocprim17ROCPRIM_400000_NS6detail17trampoline_kernelINS0_14default_configENS1_35radix_sort_onesweep_config_selectorIilEEZNS1_34radix_sort_onesweep_global_offsetsIS3_Lb0EPiN6thrust23THRUST_200600_302600_NS10device_ptrIlEEjNS0_19identity_decomposerEEE10hipError_tT1_T2_PT3_SG_jT4_jjP12ihipStream_tbEUlT_E0_NS1_11comp_targetILNS1_3genE5ELNS1_11target_archE942ELNS1_3gpuE9ELNS1_3repE0EEENS1_52radix_sort_onesweep_histogram_config_static_selectorELNS0_4arch9wavefront6targetE1EEEvSE_,comdat
	.protected	_ZN7rocprim17ROCPRIM_400000_NS6detail17trampoline_kernelINS0_14default_configENS1_35radix_sort_onesweep_config_selectorIilEEZNS1_34radix_sort_onesweep_global_offsetsIS3_Lb0EPiN6thrust23THRUST_200600_302600_NS10device_ptrIlEEjNS0_19identity_decomposerEEE10hipError_tT1_T2_PT3_SG_jT4_jjP12ihipStream_tbEUlT_E0_NS1_11comp_targetILNS1_3genE5ELNS1_11target_archE942ELNS1_3gpuE9ELNS1_3repE0EEENS1_52radix_sort_onesweep_histogram_config_static_selectorELNS0_4arch9wavefront6targetE1EEEvSE_ ; -- Begin function _ZN7rocprim17ROCPRIM_400000_NS6detail17trampoline_kernelINS0_14default_configENS1_35radix_sort_onesweep_config_selectorIilEEZNS1_34radix_sort_onesweep_global_offsetsIS3_Lb0EPiN6thrust23THRUST_200600_302600_NS10device_ptrIlEEjNS0_19identity_decomposerEEE10hipError_tT1_T2_PT3_SG_jT4_jjP12ihipStream_tbEUlT_E0_NS1_11comp_targetILNS1_3genE5ELNS1_11target_archE942ELNS1_3gpuE9ELNS1_3repE0EEENS1_52radix_sort_onesweep_histogram_config_static_selectorELNS0_4arch9wavefront6targetE1EEEvSE_
	.globl	_ZN7rocprim17ROCPRIM_400000_NS6detail17trampoline_kernelINS0_14default_configENS1_35radix_sort_onesweep_config_selectorIilEEZNS1_34radix_sort_onesweep_global_offsetsIS3_Lb0EPiN6thrust23THRUST_200600_302600_NS10device_ptrIlEEjNS0_19identity_decomposerEEE10hipError_tT1_T2_PT3_SG_jT4_jjP12ihipStream_tbEUlT_E0_NS1_11comp_targetILNS1_3genE5ELNS1_11target_archE942ELNS1_3gpuE9ELNS1_3repE0EEENS1_52radix_sort_onesweep_histogram_config_static_selectorELNS0_4arch9wavefront6targetE1EEEvSE_
	.p2align	8
	.type	_ZN7rocprim17ROCPRIM_400000_NS6detail17trampoline_kernelINS0_14default_configENS1_35radix_sort_onesweep_config_selectorIilEEZNS1_34radix_sort_onesweep_global_offsetsIS3_Lb0EPiN6thrust23THRUST_200600_302600_NS10device_ptrIlEEjNS0_19identity_decomposerEEE10hipError_tT1_T2_PT3_SG_jT4_jjP12ihipStream_tbEUlT_E0_NS1_11comp_targetILNS1_3genE5ELNS1_11target_archE942ELNS1_3gpuE9ELNS1_3repE0EEENS1_52radix_sort_onesweep_histogram_config_static_selectorELNS0_4arch9wavefront6targetE1EEEvSE_,@function
_ZN7rocprim17ROCPRIM_400000_NS6detail17trampoline_kernelINS0_14default_configENS1_35radix_sort_onesweep_config_selectorIilEEZNS1_34radix_sort_onesweep_global_offsetsIS3_Lb0EPiN6thrust23THRUST_200600_302600_NS10device_ptrIlEEjNS0_19identity_decomposerEEE10hipError_tT1_T2_PT3_SG_jT4_jjP12ihipStream_tbEUlT_E0_NS1_11comp_targetILNS1_3genE5ELNS1_11target_archE942ELNS1_3gpuE9ELNS1_3repE0EEENS1_52radix_sort_onesweep_histogram_config_static_selectorELNS0_4arch9wavefront6targetE1EEEvSE_: ; @_ZN7rocprim17ROCPRIM_400000_NS6detail17trampoline_kernelINS0_14default_configENS1_35radix_sort_onesweep_config_selectorIilEEZNS1_34radix_sort_onesweep_global_offsetsIS3_Lb0EPiN6thrust23THRUST_200600_302600_NS10device_ptrIlEEjNS0_19identity_decomposerEEE10hipError_tT1_T2_PT3_SG_jT4_jjP12ihipStream_tbEUlT_E0_NS1_11comp_targetILNS1_3genE5ELNS1_11target_archE942ELNS1_3gpuE9ELNS1_3repE0EEENS1_52radix_sort_onesweep_histogram_config_static_selectorELNS0_4arch9wavefront6targetE1EEEvSE_
; %bb.0:
	.section	.rodata,"a",@progbits
	.p2align	6, 0x0
	.amdhsa_kernel _ZN7rocprim17ROCPRIM_400000_NS6detail17trampoline_kernelINS0_14default_configENS1_35radix_sort_onesweep_config_selectorIilEEZNS1_34radix_sort_onesweep_global_offsetsIS3_Lb0EPiN6thrust23THRUST_200600_302600_NS10device_ptrIlEEjNS0_19identity_decomposerEEE10hipError_tT1_T2_PT3_SG_jT4_jjP12ihipStream_tbEUlT_E0_NS1_11comp_targetILNS1_3genE5ELNS1_11target_archE942ELNS1_3gpuE9ELNS1_3repE0EEENS1_52radix_sort_onesweep_histogram_config_static_selectorELNS0_4arch9wavefront6targetE1EEEvSE_
		.amdhsa_group_segment_fixed_size 0
		.amdhsa_private_segment_fixed_size 0
		.amdhsa_kernarg_size 8
		.amdhsa_user_sgpr_count 6
		.amdhsa_user_sgpr_private_segment_buffer 1
		.amdhsa_user_sgpr_dispatch_ptr 0
		.amdhsa_user_sgpr_queue_ptr 0
		.amdhsa_user_sgpr_kernarg_segment_ptr 1
		.amdhsa_user_sgpr_dispatch_id 0
		.amdhsa_user_sgpr_flat_scratch_init 0
		.amdhsa_user_sgpr_kernarg_preload_length 0
		.amdhsa_user_sgpr_kernarg_preload_offset 0
		.amdhsa_user_sgpr_private_segment_size 0
		.amdhsa_uses_dynamic_stack 0
		.amdhsa_system_sgpr_private_segment_wavefront_offset 0
		.amdhsa_system_sgpr_workgroup_id_x 1
		.amdhsa_system_sgpr_workgroup_id_y 0
		.amdhsa_system_sgpr_workgroup_id_z 0
		.amdhsa_system_sgpr_workgroup_info 0
		.amdhsa_system_vgpr_workitem_id 0
		.amdhsa_next_free_vgpr 1
		.amdhsa_next_free_sgpr 0
		.amdhsa_accum_offset 4
		.amdhsa_reserve_vcc 0
		.amdhsa_reserve_flat_scratch 0
		.amdhsa_float_round_mode_32 0
		.amdhsa_float_round_mode_16_64 0
		.amdhsa_float_denorm_mode_32 3
		.amdhsa_float_denorm_mode_16_64 3
		.amdhsa_dx10_clamp 1
		.amdhsa_ieee_mode 1
		.amdhsa_fp16_overflow 0
		.amdhsa_tg_split 0
		.amdhsa_exception_fp_ieee_invalid_op 0
		.amdhsa_exception_fp_denorm_src 0
		.amdhsa_exception_fp_ieee_div_zero 0
		.amdhsa_exception_fp_ieee_overflow 0
		.amdhsa_exception_fp_ieee_underflow 0
		.amdhsa_exception_fp_ieee_inexact 0
		.amdhsa_exception_int_div_zero 0
	.end_amdhsa_kernel
	.section	.text._ZN7rocprim17ROCPRIM_400000_NS6detail17trampoline_kernelINS0_14default_configENS1_35radix_sort_onesweep_config_selectorIilEEZNS1_34radix_sort_onesweep_global_offsetsIS3_Lb0EPiN6thrust23THRUST_200600_302600_NS10device_ptrIlEEjNS0_19identity_decomposerEEE10hipError_tT1_T2_PT3_SG_jT4_jjP12ihipStream_tbEUlT_E0_NS1_11comp_targetILNS1_3genE5ELNS1_11target_archE942ELNS1_3gpuE9ELNS1_3repE0EEENS1_52radix_sort_onesweep_histogram_config_static_selectorELNS0_4arch9wavefront6targetE1EEEvSE_,"axG",@progbits,_ZN7rocprim17ROCPRIM_400000_NS6detail17trampoline_kernelINS0_14default_configENS1_35radix_sort_onesweep_config_selectorIilEEZNS1_34radix_sort_onesweep_global_offsetsIS3_Lb0EPiN6thrust23THRUST_200600_302600_NS10device_ptrIlEEjNS0_19identity_decomposerEEE10hipError_tT1_T2_PT3_SG_jT4_jjP12ihipStream_tbEUlT_E0_NS1_11comp_targetILNS1_3genE5ELNS1_11target_archE942ELNS1_3gpuE9ELNS1_3repE0EEENS1_52radix_sort_onesweep_histogram_config_static_selectorELNS0_4arch9wavefront6targetE1EEEvSE_,comdat
.Lfunc_end859:
	.size	_ZN7rocprim17ROCPRIM_400000_NS6detail17trampoline_kernelINS0_14default_configENS1_35radix_sort_onesweep_config_selectorIilEEZNS1_34radix_sort_onesweep_global_offsetsIS3_Lb0EPiN6thrust23THRUST_200600_302600_NS10device_ptrIlEEjNS0_19identity_decomposerEEE10hipError_tT1_T2_PT3_SG_jT4_jjP12ihipStream_tbEUlT_E0_NS1_11comp_targetILNS1_3genE5ELNS1_11target_archE942ELNS1_3gpuE9ELNS1_3repE0EEENS1_52radix_sort_onesweep_histogram_config_static_selectorELNS0_4arch9wavefront6targetE1EEEvSE_, .Lfunc_end859-_ZN7rocprim17ROCPRIM_400000_NS6detail17trampoline_kernelINS0_14default_configENS1_35radix_sort_onesweep_config_selectorIilEEZNS1_34radix_sort_onesweep_global_offsetsIS3_Lb0EPiN6thrust23THRUST_200600_302600_NS10device_ptrIlEEjNS0_19identity_decomposerEEE10hipError_tT1_T2_PT3_SG_jT4_jjP12ihipStream_tbEUlT_E0_NS1_11comp_targetILNS1_3genE5ELNS1_11target_archE942ELNS1_3gpuE9ELNS1_3repE0EEENS1_52radix_sort_onesweep_histogram_config_static_selectorELNS0_4arch9wavefront6targetE1EEEvSE_
                                        ; -- End function
	.section	.AMDGPU.csdata,"",@progbits
; Kernel info:
; codeLenInByte = 0
; NumSgprs: 4
; NumVgprs: 0
; NumAgprs: 0
; TotalNumVgprs: 0
; ScratchSize: 0
; MemoryBound: 0
; FloatMode: 240
; IeeeMode: 1
; LDSByteSize: 0 bytes/workgroup (compile time only)
; SGPRBlocks: 0
; VGPRBlocks: 0
; NumSGPRsForWavesPerEU: 4
; NumVGPRsForWavesPerEU: 1
; AccumOffset: 4
; Occupancy: 8
; WaveLimiterHint : 0
; COMPUTE_PGM_RSRC2:SCRATCH_EN: 0
; COMPUTE_PGM_RSRC2:USER_SGPR: 6
; COMPUTE_PGM_RSRC2:TRAP_HANDLER: 0
; COMPUTE_PGM_RSRC2:TGID_X_EN: 1
; COMPUTE_PGM_RSRC2:TGID_Y_EN: 0
; COMPUTE_PGM_RSRC2:TGID_Z_EN: 0
; COMPUTE_PGM_RSRC2:TIDIG_COMP_CNT: 0
; COMPUTE_PGM_RSRC3_GFX90A:ACCUM_OFFSET: 0
; COMPUTE_PGM_RSRC3_GFX90A:TG_SPLIT: 0
	.section	.text._ZN7rocprim17ROCPRIM_400000_NS6detail17trampoline_kernelINS0_14default_configENS1_35radix_sort_onesweep_config_selectorIilEEZNS1_34radix_sort_onesweep_global_offsetsIS3_Lb0EPiN6thrust23THRUST_200600_302600_NS10device_ptrIlEEjNS0_19identity_decomposerEEE10hipError_tT1_T2_PT3_SG_jT4_jjP12ihipStream_tbEUlT_E0_NS1_11comp_targetILNS1_3genE2ELNS1_11target_archE906ELNS1_3gpuE6ELNS1_3repE0EEENS1_52radix_sort_onesweep_histogram_config_static_selectorELNS0_4arch9wavefront6targetE1EEEvSE_,"axG",@progbits,_ZN7rocprim17ROCPRIM_400000_NS6detail17trampoline_kernelINS0_14default_configENS1_35radix_sort_onesweep_config_selectorIilEEZNS1_34radix_sort_onesweep_global_offsetsIS3_Lb0EPiN6thrust23THRUST_200600_302600_NS10device_ptrIlEEjNS0_19identity_decomposerEEE10hipError_tT1_T2_PT3_SG_jT4_jjP12ihipStream_tbEUlT_E0_NS1_11comp_targetILNS1_3genE2ELNS1_11target_archE906ELNS1_3gpuE6ELNS1_3repE0EEENS1_52radix_sort_onesweep_histogram_config_static_selectorELNS0_4arch9wavefront6targetE1EEEvSE_,comdat
	.protected	_ZN7rocprim17ROCPRIM_400000_NS6detail17trampoline_kernelINS0_14default_configENS1_35radix_sort_onesweep_config_selectorIilEEZNS1_34radix_sort_onesweep_global_offsetsIS3_Lb0EPiN6thrust23THRUST_200600_302600_NS10device_ptrIlEEjNS0_19identity_decomposerEEE10hipError_tT1_T2_PT3_SG_jT4_jjP12ihipStream_tbEUlT_E0_NS1_11comp_targetILNS1_3genE2ELNS1_11target_archE906ELNS1_3gpuE6ELNS1_3repE0EEENS1_52radix_sort_onesweep_histogram_config_static_selectorELNS0_4arch9wavefront6targetE1EEEvSE_ ; -- Begin function _ZN7rocprim17ROCPRIM_400000_NS6detail17trampoline_kernelINS0_14default_configENS1_35radix_sort_onesweep_config_selectorIilEEZNS1_34radix_sort_onesweep_global_offsetsIS3_Lb0EPiN6thrust23THRUST_200600_302600_NS10device_ptrIlEEjNS0_19identity_decomposerEEE10hipError_tT1_T2_PT3_SG_jT4_jjP12ihipStream_tbEUlT_E0_NS1_11comp_targetILNS1_3genE2ELNS1_11target_archE906ELNS1_3gpuE6ELNS1_3repE0EEENS1_52radix_sort_onesweep_histogram_config_static_selectorELNS0_4arch9wavefront6targetE1EEEvSE_
	.globl	_ZN7rocprim17ROCPRIM_400000_NS6detail17trampoline_kernelINS0_14default_configENS1_35radix_sort_onesweep_config_selectorIilEEZNS1_34radix_sort_onesweep_global_offsetsIS3_Lb0EPiN6thrust23THRUST_200600_302600_NS10device_ptrIlEEjNS0_19identity_decomposerEEE10hipError_tT1_T2_PT3_SG_jT4_jjP12ihipStream_tbEUlT_E0_NS1_11comp_targetILNS1_3genE2ELNS1_11target_archE906ELNS1_3gpuE6ELNS1_3repE0EEENS1_52radix_sort_onesweep_histogram_config_static_selectorELNS0_4arch9wavefront6targetE1EEEvSE_
	.p2align	8
	.type	_ZN7rocprim17ROCPRIM_400000_NS6detail17trampoline_kernelINS0_14default_configENS1_35radix_sort_onesweep_config_selectorIilEEZNS1_34radix_sort_onesweep_global_offsetsIS3_Lb0EPiN6thrust23THRUST_200600_302600_NS10device_ptrIlEEjNS0_19identity_decomposerEEE10hipError_tT1_T2_PT3_SG_jT4_jjP12ihipStream_tbEUlT_E0_NS1_11comp_targetILNS1_3genE2ELNS1_11target_archE906ELNS1_3gpuE6ELNS1_3repE0EEENS1_52radix_sort_onesweep_histogram_config_static_selectorELNS0_4arch9wavefront6targetE1EEEvSE_,@function
_ZN7rocprim17ROCPRIM_400000_NS6detail17trampoline_kernelINS0_14default_configENS1_35radix_sort_onesweep_config_selectorIilEEZNS1_34radix_sort_onesweep_global_offsetsIS3_Lb0EPiN6thrust23THRUST_200600_302600_NS10device_ptrIlEEjNS0_19identity_decomposerEEE10hipError_tT1_T2_PT3_SG_jT4_jjP12ihipStream_tbEUlT_E0_NS1_11comp_targetILNS1_3genE2ELNS1_11target_archE906ELNS1_3gpuE6ELNS1_3repE0EEENS1_52radix_sort_onesweep_histogram_config_static_selectorELNS0_4arch9wavefront6targetE1EEEvSE_: ; @_ZN7rocprim17ROCPRIM_400000_NS6detail17trampoline_kernelINS0_14default_configENS1_35radix_sort_onesweep_config_selectorIilEEZNS1_34radix_sort_onesweep_global_offsetsIS3_Lb0EPiN6thrust23THRUST_200600_302600_NS10device_ptrIlEEjNS0_19identity_decomposerEEE10hipError_tT1_T2_PT3_SG_jT4_jjP12ihipStream_tbEUlT_E0_NS1_11comp_targetILNS1_3genE2ELNS1_11target_archE906ELNS1_3gpuE6ELNS1_3repE0EEENS1_52radix_sort_onesweep_histogram_config_static_selectorELNS0_4arch9wavefront6targetE1EEEvSE_
; %bb.0:
	.section	.rodata,"a",@progbits
	.p2align	6, 0x0
	.amdhsa_kernel _ZN7rocprim17ROCPRIM_400000_NS6detail17trampoline_kernelINS0_14default_configENS1_35radix_sort_onesweep_config_selectorIilEEZNS1_34radix_sort_onesweep_global_offsetsIS3_Lb0EPiN6thrust23THRUST_200600_302600_NS10device_ptrIlEEjNS0_19identity_decomposerEEE10hipError_tT1_T2_PT3_SG_jT4_jjP12ihipStream_tbEUlT_E0_NS1_11comp_targetILNS1_3genE2ELNS1_11target_archE906ELNS1_3gpuE6ELNS1_3repE0EEENS1_52radix_sort_onesweep_histogram_config_static_selectorELNS0_4arch9wavefront6targetE1EEEvSE_
		.amdhsa_group_segment_fixed_size 0
		.amdhsa_private_segment_fixed_size 0
		.amdhsa_kernarg_size 8
		.amdhsa_user_sgpr_count 6
		.amdhsa_user_sgpr_private_segment_buffer 1
		.amdhsa_user_sgpr_dispatch_ptr 0
		.amdhsa_user_sgpr_queue_ptr 0
		.amdhsa_user_sgpr_kernarg_segment_ptr 1
		.amdhsa_user_sgpr_dispatch_id 0
		.amdhsa_user_sgpr_flat_scratch_init 0
		.amdhsa_user_sgpr_kernarg_preload_length 0
		.amdhsa_user_sgpr_kernarg_preload_offset 0
		.amdhsa_user_sgpr_private_segment_size 0
		.amdhsa_uses_dynamic_stack 0
		.amdhsa_system_sgpr_private_segment_wavefront_offset 0
		.amdhsa_system_sgpr_workgroup_id_x 1
		.amdhsa_system_sgpr_workgroup_id_y 0
		.amdhsa_system_sgpr_workgroup_id_z 0
		.amdhsa_system_sgpr_workgroup_info 0
		.amdhsa_system_vgpr_workitem_id 0
		.amdhsa_next_free_vgpr 1
		.amdhsa_next_free_sgpr 0
		.amdhsa_accum_offset 4
		.amdhsa_reserve_vcc 0
		.amdhsa_reserve_flat_scratch 0
		.amdhsa_float_round_mode_32 0
		.amdhsa_float_round_mode_16_64 0
		.amdhsa_float_denorm_mode_32 3
		.amdhsa_float_denorm_mode_16_64 3
		.amdhsa_dx10_clamp 1
		.amdhsa_ieee_mode 1
		.amdhsa_fp16_overflow 0
		.amdhsa_tg_split 0
		.amdhsa_exception_fp_ieee_invalid_op 0
		.amdhsa_exception_fp_denorm_src 0
		.amdhsa_exception_fp_ieee_div_zero 0
		.amdhsa_exception_fp_ieee_overflow 0
		.amdhsa_exception_fp_ieee_underflow 0
		.amdhsa_exception_fp_ieee_inexact 0
		.amdhsa_exception_int_div_zero 0
	.end_amdhsa_kernel
	.section	.text._ZN7rocprim17ROCPRIM_400000_NS6detail17trampoline_kernelINS0_14default_configENS1_35radix_sort_onesweep_config_selectorIilEEZNS1_34radix_sort_onesweep_global_offsetsIS3_Lb0EPiN6thrust23THRUST_200600_302600_NS10device_ptrIlEEjNS0_19identity_decomposerEEE10hipError_tT1_T2_PT3_SG_jT4_jjP12ihipStream_tbEUlT_E0_NS1_11comp_targetILNS1_3genE2ELNS1_11target_archE906ELNS1_3gpuE6ELNS1_3repE0EEENS1_52radix_sort_onesweep_histogram_config_static_selectorELNS0_4arch9wavefront6targetE1EEEvSE_,"axG",@progbits,_ZN7rocprim17ROCPRIM_400000_NS6detail17trampoline_kernelINS0_14default_configENS1_35radix_sort_onesweep_config_selectorIilEEZNS1_34radix_sort_onesweep_global_offsetsIS3_Lb0EPiN6thrust23THRUST_200600_302600_NS10device_ptrIlEEjNS0_19identity_decomposerEEE10hipError_tT1_T2_PT3_SG_jT4_jjP12ihipStream_tbEUlT_E0_NS1_11comp_targetILNS1_3genE2ELNS1_11target_archE906ELNS1_3gpuE6ELNS1_3repE0EEENS1_52radix_sort_onesweep_histogram_config_static_selectorELNS0_4arch9wavefront6targetE1EEEvSE_,comdat
.Lfunc_end860:
	.size	_ZN7rocprim17ROCPRIM_400000_NS6detail17trampoline_kernelINS0_14default_configENS1_35radix_sort_onesweep_config_selectorIilEEZNS1_34radix_sort_onesweep_global_offsetsIS3_Lb0EPiN6thrust23THRUST_200600_302600_NS10device_ptrIlEEjNS0_19identity_decomposerEEE10hipError_tT1_T2_PT3_SG_jT4_jjP12ihipStream_tbEUlT_E0_NS1_11comp_targetILNS1_3genE2ELNS1_11target_archE906ELNS1_3gpuE6ELNS1_3repE0EEENS1_52radix_sort_onesweep_histogram_config_static_selectorELNS0_4arch9wavefront6targetE1EEEvSE_, .Lfunc_end860-_ZN7rocprim17ROCPRIM_400000_NS6detail17trampoline_kernelINS0_14default_configENS1_35radix_sort_onesweep_config_selectorIilEEZNS1_34radix_sort_onesweep_global_offsetsIS3_Lb0EPiN6thrust23THRUST_200600_302600_NS10device_ptrIlEEjNS0_19identity_decomposerEEE10hipError_tT1_T2_PT3_SG_jT4_jjP12ihipStream_tbEUlT_E0_NS1_11comp_targetILNS1_3genE2ELNS1_11target_archE906ELNS1_3gpuE6ELNS1_3repE0EEENS1_52radix_sort_onesweep_histogram_config_static_selectorELNS0_4arch9wavefront6targetE1EEEvSE_
                                        ; -- End function
	.section	.AMDGPU.csdata,"",@progbits
; Kernel info:
; codeLenInByte = 0
; NumSgprs: 4
; NumVgprs: 0
; NumAgprs: 0
; TotalNumVgprs: 0
; ScratchSize: 0
; MemoryBound: 0
; FloatMode: 240
; IeeeMode: 1
; LDSByteSize: 0 bytes/workgroup (compile time only)
; SGPRBlocks: 0
; VGPRBlocks: 0
; NumSGPRsForWavesPerEU: 4
; NumVGPRsForWavesPerEU: 1
; AccumOffset: 4
; Occupancy: 8
; WaveLimiterHint : 0
; COMPUTE_PGM_RSRC2:SCRATCH_EN: 0
; COMPUTE_PGM_RSRC2:USER_SGPR: 6
; COMPUTE_PGM_RSRC2:TRAP_HANDLER: 0
; COMPUTE_PGM_RSRC2:TGID_X_EN: 1
; COMPUTE_PGM_RSRC2:TGID_Y_EN: 0
; COMPUTE_PGM_RSRC2:TGID_Z_EN: 0
; COMPUTE_PGM_RSRC2:TIDIG_COMP_CNT: 0
; COMPUTE_PGM_RSRC3_GFX90A:ACCUM_OFFSET: 0
; COMPUTE_PGM_RSRC3_GFX90A:TG_SPLIT: 0
	.section	.text._ZN7rocprim17ROCPRIM_400000_NS6detail17trampoline_kernelINS0_14default_configENS1_35radix_sort_onesweep_config_selectorIilEEZNS1_34radix_sort_onesweep_global_offsetsIS3_Lb0EPiN6thrust23THRUST_200600_302600_NS10device_ptrIlEEjNS0_19identity_decomposerEEE10hipError_tT1_T2_PT3_SG_jT4_jjP12ihipStream_tbEUlT_E0_NS1_11comp_targetILNS1_3genE4ELNS1_11target_archE910ELNS1_3gpuE8ELNS1_3repE0EEENS1_52radix_sort_onesweep_histogram_config_static_selectorELNS0_4arch9wavefront6targetE1EEEvSE_,"axG",@progbits,_ZN7rocprim17ROCPRIM_400000_NS6detail17trampoline_kernelINS0_14default_configENS1_35radix_sort_onesweep_config_selectorIilEEZNS1_34radix_sort_onesweep_global_offsetsIS3_Lb0EPiN6thrust23THRUST_200600_302600_NS10device_ptrIlEEjNS0_19identity_decomposerEEE10hipError_tT1_T2_PT3_SG_jT4_jjP12ihipStream_tbEUlT_E0_NS1_11comp_targetILNS1_3genE4ELNS1_11target_archE910ELNS1_3gpuE8ELNS1_3repE0EEENS1_52radix_sort_onesweep_histogram_config_static_selectorELNS0_4arch9wavefront6targetE1EEEvSE_,comdat
	.protected	_ZN7rocprim17ROCPRIM_400000_NS6detail17trampoline_kernelINS0_14default_configENS1_35radix_sort_onesweep_config_selectorIilEEZNS1_34radix_sort_onesweep_global_offsetsIS3_Lb0EPiN6thrust23THRUST_200600_302600_NS10device_ptrIlEEjNS0_19identity_decomposerEEE10hipError_tT1_T2_PT3_SG_jT4_jjP12ihipStream_tbEUlT_E0_NS1_11comp_targetILNS1_3genE4ELNS1_11target_archE910ELNS1_3gpuE8ELNS1_3repE0EEENS1_52radix_sort_onesweep_histogram_config_static_selectorELNS0_4arch9wavefront6targetE1EEEvSE_ ; -- Begin function _ZN7rocprim17ROCPRIM_400000_NS6detail17trampoline_kernelINS0_14default_configENS1_35radix_sort_onesweep_config_selectorIilEEZNS1_34radix_sort_onesweep_global_offsetsIS3_Lb0EPiN6thrust23THRUST_200600_302600_NS10device_ptrIlEEjNS0_19identity_decomposerEEE10hipError_tT1_T2_PT3_SG_jT4_jjP12ihipStream_tbEUlT_E0_NS1_11comp_targetILNS1_3genE4ELNS1_11target_archE910ELNS1_3gpuE8ELNS1_3repE0EEENS1_52radix_sort_onesweep_histogram_config_static_selectorELNS0_4arch9wavefront6targetE1EEEvSE_
	.globl	_ZN7rocprim17ROCPRIM_400000_NS6detail17trampoline_kernelINS0_14default_configENS1_35radix_sort_onesweep_config_selectorIilEEZNS1_34radix_sort_onesweep_global_offsetsIS3_Lb0EPiN6thrust23THRUST_200600_302600_NS10device_ptrIlEEjNS0_19identity_decomposerEEE10hipError_tT1_T2_PT3_SG_jT4_jjP12ihipStream_tbEUlT_E0_NS1_11comp_targetILNS1_3genE4ELNS1_11target_archE910ELNS1_3gpuE8ELNS1_3repE0EEENS1_52radix_sort_onesweep_histogram_config_static_selectorELNS0_4arch9wavefront6targetE1EEEvSE_
	.p2align	8
	.type	_ZN7rocprim17ROCPRIM_400000_NS6detail17trampoline_kernelINS0_14default_configENS1_35radix_sort_onesweep_config_selectorIilEEZNS1_34radix_sort_onesweep_global_offsetsIS3_Lb0EPiN6thrust23THRUST_200600_302600_NS10device_ptrIlEEjNS0_19identity_decomposerEEE10hipError_tT1_T2_PT3_SG_jT4_jjP12ihipStream_tbEUlT_E0_NS1_11comp_targetILNS1_3genE4ELNS1_11target_archE910ELNS1_3gpuE8ELNS1_3repE0EEENS1_52radix_sort_onesweep_histogram_config_static_selectorELNS0_4arch9wavefront6targetE1EEEvSE_,@function
_ZN7rocprim17ROCPRIM_400000_NS6detail17trampoline_kernelINS0_14default_configENS1_35radix_sort_onesweep_config_selectorIilEEZNS1_34radix_sort_onesweep_global_offsetsIS3_Lb0EPiN6thrust23THRUST_200600_302600_NS10device_ptrIlEEjNS0_19identity_decomposerEEE10hipError_tT1_T2_PT3_SG_jT4_jjP12ihipStream_tbEUlT_E0_NS1_11comp_targetILNS1_3genE4ELNS1_11target_archE910ELNS1_3gpuE8ELNS1_3repE0EEENS1_52radix_sort_onesweep_histogram_config_static_selectorELNS0_4arch9wavefront6targetE1EEEvSE_: ; @_ZN7rocprim17ROCPRIM_400000_NS6detail17trampoline_kernelINS0_14default_configENS1_35radix_sort_onesweep_config_selectorIilEEZNS1_34radix_sort_onesweep_global_offsetsIS3_Lb0EPiN6thrust23THRUST_200600_302600_NS10device_ptrIlEEjNS0_19identity_decomposerEEE10hipError_tT1_T2_PT3_SG_jT4_jjP12ihipStream_tbEUlT_E0_NS1_11comp_targetILNS1_3genE4ELNS1_11target_archE910ELNS1_3gpuE8ELNS1_3repE0EEENS1_52radix_sort_onesweep_histogram_config_static_selectorELNS0_4arch9wavefront6targetE1EEEvSE_
; %bb.0:
	s_load_dwordx2 s[0:1], s[4:5], 0x0
	s_lshl_b32 s2, s6, 8
	s_mov_b32 s3, 0
	s_lshl_b64 s[2:3], s[2:3], 2
	v_lshlrev_b32_e32 v1, 2, v0
	s_waitcnt lgkmcnt(0)
	s_add_u32 s2, s0, s2
	s_movk_i32 s0, 0x100
	s_addc_u32 s3, s1, s3
	v_cmp_gt_u32_e32 vcc, s0, v0
                                        ; implicit-def: $vgpr3
	s_and_saveexec_b64 s[0:1], vcc
	s_cbranch_execz .LBB861_2
; %bb.1:
	global_load_dword v3, v1, s[2:3]
.LBB861_2:
	s_or_b64 exec, exec, s[0:1]
	v_mbcnt_lo_u32_b32 v2, -1, 0
	v_mbcnt_hi_u32_b32 v2, -1, v2
	v_and_b32_e32 v4, 15, v2
	s_waitcnt vmcnt(0)
	v_mov_b32_dpp v5, v3 row_shr:1 row_mask:0xf bank_mask:0xf
	v_cmp_ne_u32_e64 s[0:1], 0, v4
	v_cndmask_b32_e64 v5, 0, v5, s[0:1]
	v_add_u32_e32 v3, v5, v3
	v_cmp_lt_u32_e64 s[0:1], 1, v4
	s_nop 0
	v_mov_b32_dpp v5, v3 row_shr:2 row_mask:0xf bank_mask:0xf
	v_cndmask_b32_e64 v5, 0, v5, s[0:1]
	v_add_u32_e32 v3, v3, v5
	v_cmp_lt_u32_e64 s[0:1], 3, v4
	s_nop 0
	v_mov_b32_dpp v5, v3 row_shr:4 row_mask:0xf bank_mask:0xf
	;; [unrolled: 5-line block ×3, first 2 shown]
	v_cndmask_b32_e64 v4, 0, v5, s[0:1]
	v_add_u32_e32 v3, v3, v4
	v_bfe_i32 v5, v2, 4, 1
	v_cmp_lt_u32_e64 s[0:1], 31, v2
	v_mov_b32_dpp v4, v3 row_bcast:15 row_mask:0xf bank_mask:0xf
	v_and_b32_e32 v4, v5, v4
	v_add_u32_e32 v3, v3, v4
	v_or_b32_e32 v5, 63, v0
	s_nop 0
	v_mov_b32_dpp v4, v3 row_bcast:31 row_mask:0xf bank_mask:0xf
	v_cndmask_b32_e64 v4, 0, v4, s[0:1]
	v_add_u32_e32 v3, v3, v4
	v_lshrrev_b32_e32 v4, 6, v0
	v_cmp_eq_u32_e64 s[0:1], v5, v0
	s_and_saveexec_b64 s[4:5], s[0:1]
	s_cbranch_execz .LBB861_4
; %bb.3:
	v_lshlrev_b32_e32 v5, 2, v4
	ds_write_b32 v5, v3
.LBB861_4:
	s_or_b64 exec, exec, s[4:5]
	v_cmp_gt_u32_e64 s[0:1], 8, v0
	s_waitcnt lgkmcnt(0)
	s_barrier
	s_and_saveexec_b64 s[4:5], s[0:1]
	s_cbranch_execz .LBB861_6
; %bb.5:
	ds_read_b32 v5, v1
	v_and_b32_e32 v6, 7, v2
	v_cmp_ne_u32_e64 s[0:1], 0, v6
	s_waitcnt lgkmcnt(0)
	v_mov_b32_dpp v7, v5 row_shr:1 row_mask:0xf bank_mask:0xf
	v_cndmask_b32_e64 v7, 0, v7, s[0:1]
	v_add_u32_e32 v5, v7, v5
	v_cmp_lt_u32_e64 s[0:1], 1, v6
	s_nop 0
	v_mov_b32_dpp v7, v5 row_shr:2 row_mask:0xf bank_mask:0xf
	v_cndmask_b32_e64 v7, 0, v7, s[0:1]
	v_add_u32_e32 v5, v5, v7
	v_cmp_lt_u32_e64 s[0:1], 3, v6
	s_nop 0
	v_mov_b32_dpp v7, v5 row_shr:4 row_mask:0xf bank_mask:0xf
	v_cndmask_b32_e64 v6, 0, v7, s[0:1]
	v_add_u32_e32 v5, v5, v6
	ds_write_b32 v1, v5
.LBB861_6:
	s_or_b64 exec, exec, s[4:5]
	v_cmp_lt_u32_e64 s[0:1], 63, v0
	v_mov_b32_e32 v0, 0
	s_waitcnt lgkmcnt(0)
	s_barrier
	s_and_saveexec_b64 s[4:5], s[0:1]
	s_cbranch_execz .LBB861_8
; %bb.7:
	v_lshl_add_u32 v0, v4, 2, -4
	ds_read_b32 v0, v0
.LBB861_8:
	s_or_b64 exec, exec, s[4:5]
	v_add_u32_e32 v4, -1, v2
	v_and_b32_e32 v5, 64, v2
	v_cmp_lt_i32_e64 s[0:1], v4, v5
	v_cndmask_b32_e64 v4, v4, v2, s[0:1]
	s_waitcnt lgkmcnt(0)
	v_add_u32_e32 v3, v0, v3
	v_lshlrev_b32_e32 v4, 2, v4
	ds_bpermute_b32 v3, v4, v3
	s_and_saveexec_b64 s[0:1], vcc
	s_cbranch_execz .LBB861_10
; %bb.9:
	v_cmp_eq_u32_e32 vcc, 0, v2
	s_waitcnt lgkmcnt(0)
	v_cndmask_b32_e32 v0, v3, v0, vcc
	global_store_dword v1, v0, s[2:3]
.LBB861_10:
	s_endpgm
	.section	.rodata,"a",@progbits
	.p2align	6, 0x0
	.amdhsa_kernel _ZN7rocprim17ROCPRIM_400000_NS6detail17trampoline_kernelINS0_14default_configENS1_35radix_sort_onesweep_config_selectorIilEEZNS1_34radix_sort_onesweep_global_offsetsIS3_Lb0EPiN6thrust23THRUST_200600_302600_NS10device_ptrIlEEjNS0_19identity_decomposerEEE10hipError_tT1_T2_PT3_SG_jT4_jjP12ihipStream_tbEUlT_E0_NS1_11comp_targetILNS1_3genE4ELNS1_11target_archE910ELNS1_3gpuE8ELNS1_3repE0EEENS1_52radix_sort_onesweep_histogram_config_static_selectorELNS0_4arch9wavefront6targetE1EEEvSE_
		.amdhsa_group_segment_fixed_size 32
		.amdhsa_private_segment_fixed_size 0
		.amdhsa_kernarg_size 8
		.amdhsa_user_sgpr_count 6
		.amdhsa_user_sgpr_private_segment_buffer 1
		.amdhsa_user_sgpr_dispatch_ptr 0
		.amdhsa_user_sgpr_queue_ptr 0
		.amdhsa_user_sgpr_kernarg_segment_ptr 1
		.amdhsa_user_sgpr_dispatch_id 0
		.amdhsa_user_sgpr_flat_scratch_init 0
		.amdhsa_user_sgpr_kernarg_preload_length 0
		.amdhsa_user_sgpr_kernarg_preload_offset 0
		.amdhsa_user_sgpr_private_segment_size 0
		.amdhsa_uses_dynamic_stack 0
		.amdhsa_system_sgpr_private_segment_wavefront_offset 0
		.amdhsa_system_sgpr_workgroup_id_x 1
		.amdhsa_system_sgpr_workgroup_id_y 0
		.amdhsa_system_sgpr_workgroup_id_z 0
		.amdhsa_system_sgpr_workgroup_info 0
		.amdhsa_system_vgpr_workitem_id 0
		.amdhsa_next_free_vgpr 8
		.amdhsa_next_free_sgpr 7
		.amdhsa_accum_offset 8
		.amdhsa_reserve_vcc 1
		.amdhsa_reserve_flat_scratch 0
		.amdhsa_float_round_mode_32 0
		.amdhsa_float_round_mode_16_64 0
		.amdhsa_float_denorm_mode_32 3
		.amdhsa_float_denorm_mode_16_64 3
		.amdhsa_dx10_clamp 1
		.amdhsa_ieee_mode 1
		.amdhsa_fp16_overflow 0
		.amdhsa_tg_split 0
		.amdhsa_exception_fp_ieee_invalid_op 0
		.amdhsa_exception_fp_denorm_src 0
		.amdhsa_exception_fp_ieee_div_zero 0
		.amdhsa_exception_fp_ieee_overflow 0
		.amdhsa_exception_fp_ieee_underflow 0
		.amdhsa_exception_fp_ieee_inexact 0
		.amdhsa_exception_int_div_zero 0
	.end_amdhsa_kernel
	.section	.text._ZN7rocprim17ROCPRIM_400000_NS6detail17trampoline_kernelINS0_14default_configENS1_35radix_sort_onesweep_config_selectorIilEEZNS1_34radix_sort_onesweep_global_offsetsIS3_Lb0EPiN6thrust23THRUST_200600_302600_NS10device_ptrIlEEjNS0_19identity_decomposerEEE10hipError_tT1_T2_PT3_SG_jT4_jjP12ihipStream_tbEUlT_E0_NS1_11comp_targetILNS1_3genE4ELNS1_11target_archE910ELNS1_3gpuE8ELNS1_3repE0EEENS1_52radix_sort_onesweep_histogram_config_static_selectorELNS0_4arch9wavefront6targetE1EEEvSE_,"axG",@progbits,_ZN7rocprim17ROCPRIM_400000_NS6detail17trampoline_kernelINS0_14default_configENS1_35radix_sort_onesweep_config_selectorIilEEZNS1_34radix_sort_onesweep_global_offsetsIS3_Lb0EPiN6thrust23THRUST_200600_302600_NS10device_ptrIlEEjNS0_19identity_decomposerEEE10hipError_tT1_T2_PT3_SG_jT4_jjP12ihipStream_tbEUlT_E0_NS1_11comp_targetILNS1_3genE4ELNS1_11target_archE910ELNS1_3gpuE8ELNS1_3repE0EEENS1_52radix_sort_onesweep_histogram_config_static_selectorELNS0_4arch9wavefront6targetE1EEEvSE_,comdat
.Lfunc_end861:
	.size	_ZN7rocprim17ROCPRIM_400000_NS6detail17trampoline_kernelINS0_14default_configENS1_35radix_sort_onesweep_config_selectorIilEEZNS1_34radix_sort_onesweep_global_offsetsIS3_Lb0EPiN6thrust23THRUST_200600_302600_NS10device_ptrIlEEjNS0_19identity_decomposerEEE10hipError_tT1_T2_PT3_SG_jT4_jjP12ihipStream_tbEUlT_E0_NS1_11comp_targetILNS1_3genE4ELNS1_11target_archE910ELNS1_3gpuE8ELNS1_3repE0EEENS1_52radix_sort_onesweep_histogram_config_static_selectorELNS0_4arch9wavefront6targetE1EEEvSE_, .Lfunc_end861-_ZN7rocprim17ROCPRIM_400000_NS6detail17trampoline_kernelINS0_14default_configENS1_35radix_sort_onesweep_config_selectorIilEEZNS1_34radix_sort_onesweep_global_offsetsIS3_Lb0EPiN6thrust23THRUST_200600_302600_NS10device_ptrIlEEjNS0_19identity_decomposerEEE10hipError_tT1_T2_PT3_SG_jT4_jjP12ihipStream_tbEUlT_E0_NS1_11comp_targetILNS1_3genE4ELNS1_11target_archE910ELNS1_3gpuE8ELNS1_3repE0EEENS1_52radix_sort_onesweep_histogram_config_static_selectorELNS0_4arch9wavefront6targetE1EEEvSE_
                                        ; -- End function
	.section	.AMDGPU.csdata,"",@progbits
; Kernel info:
; codeLenInByte = 576
; NumSgprs: 11
; NumVgprs: 8
; NumAgprs: 0
; TotalNumVgprs: 8
; ScratchSize: 0
; MemoryBound: 0
; FloatMode: 240
; IeeeMode: 1
; LDSByteSize: 32 bytes/workgroup (compile time only)
; SGPRBlocks: 1
; VGPRBlocks: 0
; NumSGPRsForWavesPerEU: 11
; NumVGPRsForWavesPerEU: 8
; AccumOffset: 8
; Occupancy: 8
; WaveLimiterHint : 0
; COMPUTE_PGM_RSRC2:SCRATCH_EN: 0
; COMPUTE_PGM_RSRC2:USER_SGPR: 6
; COMPUTE_PGM_RSRC2:TRAP_HANDLER: 0
; COMPUTE_PGM_RSRC2:TGID_X_EN: 1
; COMPUTE_PGM_RSRC2:TGID_Y_EN: 0
; COMPUTE_PGM_RSRC2:TGID_Z_EN: 0
; COMPUTE_PGM_RSRC2:TIDIG_COMP_CNT: 0
; COMPUTE_PGM_RSRC3_GFX90A:ACCUM_OFFSET: 1
; COMPUTE_PGM_RSRC3_GFX90A:TG_SPLIT: 0
	.section	.text._ZN7rocprim17ROCPRIM_400000_NS6detail17trampoline_kernelINS0_14default_configENS1_35radix_sort_onesweep_config_selectorIilEEZNS1_34radix_sort_onesweep_global_offsetsIS3_Lb0EPiN6thrust23THRUST_200600_302600_NS10device_ptrIlEEjNS0_19identity_decomposerEEE10hipError_tT1_T2_PT3_SG_jT4_jjP12ihipStream_tbEUlT_E0_NS1_11comp_targetILNS1_3genE3ELNS1_11target_archE908ELNS1_3gpuE7ELNS1_3repE0EEENS1_52radix_sort_onesweep_histogram_config_static_selectorELNS0_4arch9wavefront6targetE1EEEvSE_,"axG",@progbits,_ZN7rocprim17ROCPRIM_400000_NS6detail17trampoline_kernelINS0_14default_configENS1_35radix_sort_onesweep_config_selectorIilEEZNS1_34radix_sort_onesweep_global_offsetsIS3_Lb0EPiN6thrust23THRUST_200600_302600_NS10device_ptrIlEEjNS0_19identity_decomposerEEE10hipError_tT1_T2_PT3_SG_jT4_jjP12ihipStream_tbEUlT_E0_NS1_11comp_targetILNS1_3genE3ELNS1_11target_archE908ELNS1_3gpuE7ELNS1_3repE0EEENS1_52radix_sort_onesweep_histogram_config_static_selectorELNS0_4arch9wavefront6targetE1EEEvSE_,comdat
	.protected	_ZN7rocprim17ROCPRIM_400000_NS6detail17trampoline_kernelINS0_14default_configENS1_35radix_sort_onesweep_config_selectorIilEEZNS1_34radix_sort_onesweep_global_offsetsIS3_Lb0EPiN6thrust23THRUST_200600_302600_NS10device_ptrIlEEjNS0_19identity_decomposerEEE10hipError_tT1_T2_PT3_SG_jT4_jjP12ihipStream_tbEUlT_E0_NS1_11comp_targetILNS1_3genE3ELNS1_11target_archE908ELNS1_3gpuE7ELNS1_3repE0EEENS1_52radix_sort_onesweep_histogram_config_static_selectorELNS0_4arch9wavefront6targetE1EEEvSE_ ; -- Begin function _ZN7rocprim17ROCPRIM_400000_NS6detail17trampoline_kernelINS0_14default_configENS1_35radix_sort_onesweep_config_selectorIilEEZNS1_34radix_sort_onesweep_global_offsetsIS3_Lb0EPiN6thrust23THRUST_200600_302600_NS10device_ptrIlEEjNS0_19identity_decomposerEEE10hipError_tT1_T2_PT3_SG_jT4_jjP12ihipStream_tbEUlT_E0_NS1_11comp_targetILNS1_3genE3ELNS1_11target_archE908ELNS1_3gpuE7ELNS1_3repE0EEENS1_52radix_sort_onesweep_histogram_config_static_selectorELNS0_4arch9wavefront6targetE1EEEvSE_
	.globl	_ZN7rocprim17ROCPRIM_400000_NS6detail17trampoline_kernelINS0_14default_configENS1_35radix_sort_onesweep_config_selectorIilEEZNS1_34radix_sort_onesweep_global_offsetsIS3_Lb0EPiN6thrust23THRUST_200600_302600_NS10device_ptrIlEEjNS0_19identity_decomposerEEE10hipError_tT1_T2_PT3_SG_jT4_jjP12ihipStream_tbEUlT_E0_NS1_11comp_targetILNS1_3genE3ELNS1_11target_archE908ELNS1_3gpuE7ELNS1_3repE0EEENS1_52radix_sort_onesweep_histogram_config_static_selectorELNS0_4arch9wavefront6targetE1EEEvSE_
	.p2align	8
	.type	_ZN7rocprim17ROCPRIM_400000_NS6detail17trampoline_kernelINS0_14default_configENS1_35radix_sort_onesweep_config_selectorIilEEZNS1_34radix_sort_onesweep_global_offsetsIS3_Lb0EPiN6thrust23THRUST_200600_302600_NS10device_ptrIlEEjNS0_19identity_decomposerEEE10hipError_tT1_T2_PT3_SG_jT4_jjP12ihipStream_tbEUlT_E0_NS1_11comp_targetILNS1_3genE3ELNS1_11target_archE908ELNS1_3gpuE7ELNS1_3repE0EEENS1_52radix_sort_onesweep_histogram_config_static_selectorELNS0_4arch9wavefront6targetE1EEEvSE_,@function
_ZN7rocprim17ROCPRIM_400000_NS6detail17trampoline_kernelINS0_14default_configENS1_35radix_sort_onesweep_config_selectorIilEEZNS1_34radix_sort_onesweep_global_offsetsIS3_Lb0EPiN6thrust23THRUST_200600_302600_NS10device_ptrIlEEjNS0_19identity_decomposerEEE10hipError_tT1_T2_PT3_SG_jT4_jjP12ihipStream_tbEUlT_E0_NS1_11comp_targetILNS1_3genE3ELNS1_11target_archE908ELNS1_3gpuE7ELNS1_3repE0EEENS1_52radix_sort_onesweep_histogram_config_static_selectorELNS0_4arch9wavefront6targetE1EEEvSE_: ; @_ZN7rocprim17ROCPRIM_400000_NS6detail17trampoline_kernelINS0_14default_configENS1_35radix_sort_onesweep_config_selectorIilEEZNS1_34radix_sort_onesweep_global_offsetsIS3_Lb0EPiN6thrust23THRUST_200600_302600_NS10device_ptrIlEEjNS0_19identity_decomposerEEE10hipError_tT1_T2_PT3_SG_jT4_jjP12ihipStream_tbEUlT_E0_NS1_11comp_targetILNS1_3genE3ELNS1_11target_archE908ELNS1_3gpuE7ELNS1_3repE0EEENS1_52radix_sort_onesweep_histogram_config_static_selectorELNS0_4arch9wavefront6targetE1EEEvSE_
; %bb.0:
	.section	.rodata,"a",@progbits
	.p2align	6, 0x0
	.amdhsa_kernel _ZN7rocprim17ROCPRIM_400000_NS6detail17trampoline_kernelINS0_14default_configENS1_35radix_sort_onesweep_config_selectorIilEEZNS1_34radix_sort_onesweep_global_offsetsIS3_Lb0EPiN6thrust23THRUST_200600_302600_NS10device_ptrIlEEjNS0_19identity_decomposerEEE10hipError_tT1_T2_PT3_SG_jT4_jjP12ihipStream_tbEUlT_E0_NS1_11comp_targetILNS1_3genE3ELNS1_11target_archE908ELNS1_3gpuE7ELNS1_3repE0EEENS1_52radix_sort_onesweep_histogram_config_static_selectorELNS0_4arch9wavefront6targetE1EEEvSE_
		.amdhsa_group_segment_fixed_size 0
		.amdhsa_private_segment_fixed_size 0
		.amdhsa_kernarg_size 8
		.amdhsa_user_sgpr_count 6
		.amdhsa_user_sgpr_private_segment_buffer 1
		.amdhsa_user_sgpr_dispatch_ptr 0
		.amdhsa_user_sgpr_queue_ptr 0
		.amdhsa_user_sgpr_kernarg_segment_ptr 1
		.amdhsa_user_sgpr_dispatch_id 0
		.amdhsa_user_sgpr_flat_scratch_init 0
		.amdhsa_user_sgpr_kernarg_preload_length 0
		.amdhsa_user_sgpr_kernarg_preload_offset 0
		.amdhsa_user_sgpr_private_segment_size 0
		.amdhsa_uses_dynamic_stack 0
		.amdhsa_system_sgpr_private_segment_wavefront_offset 0
		.amdhsa_system_sgpr_workgroup_id_x 1
		.amdhsa_system_sgpr_workgroup_id_y 0
		.amdhsa_system_sgpr_workgroup_id_z 0
		.amdhsa_system_sgpr_workgroup_info 0
		.amdhsa_system_vgpr_workitem_id 0
		.amdhsa_next_free_vgpr 1
		.amdhsa_next_free_sgpr 0
		.amdhsa_accum_offset 4
		.amdhsa_reserve_vcc 0
		.amdhsa_reserve_flat_scratch 0
		.amdhsa_float_round_mode_32 0
		.amdhsa_float_round_mode_16_64 0
		.amdhsa_float_denorm_mode_32 3
		.amdhsa_float_denorm_mode_16_64 3
		.amdhsa_dx10_clamp 1
		.amdhsa_ieee_mode 1
		.amdhsa_fp16_overflow 0
		.amdhsa_tg_split 0
		.amdhsa_exception_fp_ieee_invalid_op 0
		.amdhsa_exception_fp_denorm_src 0
		.amdhsa_exception_fp_ieee_div_zero 0
		.amdhsa_exception_fp_ieee_overflow 0
		.amdhsa_exception_fp_ieee_underflow 0
		.amdhsa_exception_fp_ieee_inexact 0
		.amdhsa_exception_int_div_zero 0
	.end_amdhsa_kernel
	.section	.text._ZN7rocprim17ROCPRIM_400000_NS6detail17trampoline_kernelINS0_14default_configENS1_35radix_sort_onesweep_config_selectorIilEEZNS1_34radix_sort_onesweep_global_offsetsIS3_Lb0EPiN6thrust23THRUST_200600_302600_NS10device_ptrIlEEjNS0_19identity_decomposerEEE10hipError_tT1_T2_PT3_SG_jT4_jjP12ihipStream_tbEUlT_E0_NS1_11comp_targetILNS1_3genE3ELNS1_11target_archE908ELNS1_3gpuE7ELNS1_3repE0EEENS1_52radix_sort_onesweep_histogram_config_static_selectorELNS0_4arch9wavefront6targetE1EEEvSE_,"axG",@progbits,_ZN7rocprim17ROCPRIM_400000_NS6detail17trampoline_kernelINS0_14default_configENS1_35radix_sort_onesweep_config_selectorIilEEZNS1_34radix_sort_onesweep_global_offsetsIS3_Lb0EPiN6thrust23THRUST_200600_302600_NS10device_ptrIlEEjNS0_19identity_decomposerEEE10hipError_tT1_T2_PT3_SG_jT4_jjP12ihipStream_tbEUlT_E0_NS1_11comp_targetILNS1_3genE3ELNS1_11target_archE908ELNS1_3gpuE7ELNS1_3repE0EEENS1_52radix_sort_onesweep_histogram_config_static_selectorELNS0_4arch9wavefront6targetE1EEEvSE_,comdat
.Lfunc_end862:
	.size	_ZN7rocprim17ROCPRIM_400000_NS6detail17trampoline_kernelINS0_14default_configENS1_35radix_sort_onesweep_config_selectorIilEEZNS1_34radix_sort_onesweep_global_offsetsIS3_Lb0EPiN6thrust23THRUST_200600_302600_NS10device_ptrIlEEjNS0_19identity_decomposerEEE10hipError_tT1_T2_PT3_SG_jT4_jjP12ihipStream_tbEUlT_E0_NS1_11comp_targetILNS1_3genE3ELNS1_11target_archE908ELNS1_3gpuE7ELNS1_3repE0EEENS1_52radix_sort_onesweep_histogram_config_static_selectorELNS0_4arch9wavefront6targetE1EEEvSE_, .Lfunc_end862-_ZN7rocprim17ROCPRIM_400000_NS6detail17trampoline_kernelINS0_14default_configENS1_35radix_sort_onesweep_config_selectorIilEEZNS1_34radix_sort_onesweep_global_offsetsIS3_Lb0EPiN6thrust23THRUST_200600_302600_NS10device_ptrIlEEjNS0_19identity_decomposerEEE10hipError_tT1_T2_PT3_SG_jT4_jjP12ihipStream_tbEUlT_E0_NS1_11comp_targetILNS1_3genE3ELNS1_11target_archE908ELNS1_3gpuE7ELNS1_3repE0EEENS1_52radix_sort_onesweep_histogram_config_static_selectorELNS0_4arch9wavefront6targetE1EEEvSE_
                                        ; -- End function
	.section	.AMDGPU.csdata,"",@progbits
; Kernel info:
; codeLenInByte = 0
; NumSgprs: 4
; NumVgprs: 0
; NumAgprs: 0
; TotalNumVgprs: 0
; ScratchSize: 0
; MemoryBound: 0
; FloatMode: 240
; IeeeMode: 1
; LDSByteSize: 0 bytes/workgroup (compile time only)
; SGPRBlocks: 0
; VGPRBlocks: 0
; NumSGPRsForWavesPerEU: 4
; NumVGPRsForWavesPerEU: 1
; AccumOffset: 4
; Occupancy: 8
; WaveLimiterHint : 0
; COMPUTE_PGM_RSRC2:SCRATCH_EN: 0
; COMPUTE_PGM_RSRC2:USER_SGPR: 6
; COMPUTE_PGM_RSRC2:TRAP_HANDLER: 0
; COMPUTE_PGM_RSRC2:TGID_X_EN: 1
; COMPUTE_PGM_RSRC2:TGID_Y_EN: 0
; COMPUTE_PGM_RSRC2:TGID_Z_EN: 0
; COMPUTE_PGM_RSRC2:TIDIG_COMP_CNT: 0
; COMPUTE_PGM_RSRC3_GFX90A:ACCUM_OFFSET: 0
; COMPUTE_PGM_RSRC3_GFX90A:TG_SPLIT: 0
	.section	.text._ZN7rocprim17ROCPRIM_400000_NS6detail17trampoline_kernelINS0_14default_configENS1_35radix_sort_onesweep_config_selectorIilEEZNS1_34radix_sort_onesweep_global_offsetsIS3_Lb0EPiN6thrust23THRUST_200600_302600_NS10device_ptrIlEEjNS0_19identity_decomposerEEE10hipError_tT1_T2_PT3_SG_jT4_jjP12ihipStream_tbEUlT_E0_NS1_11comp_targetILNS1_3genE10ELNS1_11target_archE1201ELNS1_3gpuE5ELNS1_3repE0EEENS1_52radix_sort_onesweep_histogram_config_static_selectorELNS0_4arch9wavefront6targetE1EEEvSE_,"axG",@progbits,_ZN7rocprim17ROCPRIM_400000_NS6detail17trampoline_kernelINS0_14default_configENS1_35radix_sort_onesweep_config_selectorIilEEZNS1_34radix_sort_onesweep_global_offsetsIS3_Lb0EPiN6thrust23THRUST_200600_302600_NS10device_ptrIlEEjNS0_19identity_decomposerEEE10hipError_tT1_T2_PT3_SG_jT4_jjP12ihipStream_tbEUlT_E0_NS1_11comp_targetILNS1_3genE10ELNS1_11target_archE1201ELNS1_3gpuE5ELNS1_3repE0EEENS1_52radix_sort_onesweep_histogram_config_static_selectorELNS0_4arch9wavefront6targetE1EEEvSE_,comdat
	.protected	_ZN7rocprim17ROCPRIM_400000_NS6detail17trampoline_kernelINS0_14default_configENS1_35radix_sort_onesweep_config_selectorIilEEZNS1_34radix_sort_onesweep_global_offsetsIS3_Lb0EPiN6thrust23THRUST_200600_302600_NS10device_ptrIlEEjNS0_19identity_decomposerEEE10hipError_tT1_T2_PT3_SG_jT4_jjP12ihipStream_tbEUlT_E0_NS1_11comp_targetILNS1_3genE10ELNS1_11target_archE1201ELNS1_3gpuE5ELNS1_3repE0EEENS1_52radix_sort_onesweep_histogram_config_static_selectorELNS0_4arch9wavefront6targetE1EEEvSE_ ; -- Begin function _ZN7rocprim17ROCPRIM_400000_NS6detail17trampoline_kernelINS0_14default_configENS1_35radix_sort_onesweep_config_selectorIilEEZNS1_34radix_sort_onesweep_global_offsetsIS3_Lb0EPiN6thrust23THRUST_200600_302600_NS10device_ptrIlEEjNS0_19identity_decomposerEEE10hipError_tT1_T2_PT3_SG_jT4_jjP12ihipStream_tbEUlT_E0_NS1_11comp_targetILNS1_3genE10ELNS1_11target_archE1201ELNS1_3gpuE5ELNS1_3repE0EEENS1_52radix_sort_onesweep_histogram_config_static_selectorELNS0_4arch9wavefront6targetE1EEEvSE_
	.globl	_ZN7rocprim17ROCPRIM_400000_NS6detail17trampoline_kernelINS0_14default_configENS1_35radix_sort_onesweep_config_selectorIilEEZNS1_34radix_sort_onesweep_global_offsetsIS3_Lb0EPiN6thrust23THRUST_200600_302600_NS10device_ptrIlEEjNS0_19identity_decomposerEEE10hipError_tT1_T2_PT3_SG_jT4_jjP12ihipStream_tbEUlT_E0_NS1_11comp_targetILNS1_3genE10ELNS1_11target_archE1201ELNS1_3gpuE5ELNS1_3repE0EEENS1_52radix_sort_onesweep_histogram_config_static_selectorELNS0_4arch9wavefront6targetE1EEEvSE_
	.p2align	8
	.type	_ZN7rocprim17ROCPRIM_400000_NS6detail17trampoline_kernelINS0_14default_configENS1_35radix_sort_onesweep_config_selectorIilEEZNS1_34radix_sort_onesweep_global_offsetsIS3_Lb0EPiN6thrust23THRUST_200600_302600_NS10device_ptrIlEEjNS0_19identity_decomposerEEE10hipError_tT1_T2_PT3_SG_jT4_jjP12ihipStream_tbEUlT_E0_NS1_11comp_targetILNS1_3genE10ELNS1_11target_archE1201ELNS1_3gpuE5ELNS1_3repE0EEENS1_52radix_sort_onesweep_histogram_config_static_selectorELNS0_4arch9wavefront6targetE1EEEvSE_,@function
_ZN7rocprim17ROCPRIM_400000_NS6detail17trampoline_kernelINS0_14default_configENS1_35radix_sort_onesweep_config_selectorIilEEZNS1_34radix_sort_onesweep_global_offsetsIS3_Lb0EPiN6thrust23THRUST_200600_302600_NS10device_ptrIlEEjNS0_19identity_decomposerEEE10hipError_tT1_T2_PT3_SG_jT4_jjP12ihipStream_tbEUlT_E0_NS1_11comp_targetILNS1_3genE10ELNS1_11target_archE1201ELNS1_3gpuE5ELNS1_3repE0EEENS1_52radix_sort_onesweep_histogram_config_static_selectorELNS0_4arch9wavefront6targetE1EEEvSE_: ; @_ZN7rocprim17ROCPRIM_400000_NS6detail17trampoline_kernelINS0_14default_configENS1_35radix_sort_onesweep_config_selectorIilEEZNS1_34radix_sort_onesweep_global_offsetsIS3_Lb0EPiN6thrust23THRUST_200600_302600_NS10device_ptrIlEEjNS0_19identity_decomposerEEE10hipError_tT1_T2_PT3_SG_jT4_jjP12ihipStream_tbEUlT_E0_NS1_11comp_targetILNS1_3genE10ELNS1_11target_archE1201ELNS1_3gpuE5ELNS1_3repE0EEENS1_52radix_sort_onesweep_histogram_config_static_selectorELNS0_4arch9wavefront6targetE1EEEvSE_
; %bb.0:
	.section	.rodata,"a",@progbits
	.p2align	6, 0x0
	.amdhsa_kernel _ZN7rocprim17ROCPRIM_400000_NS6detail17trampoline_kernelINS0_14default_configENS1_35radix_sort_onesweep_config_selectorIilEEZNS1_34radix_sort_onesweep_global_offsetsIS3_Lb0EPiN6thrust23THRUST_200600_302600_NS10device_ptrIlEEjNS0_19identity_decomposerEEE10hipError_tT1_T2_PT3_SG_jT4_jjP12ihipStream_tbEUlT_E0_NS1_11comp_targetILNS1_3genE10ELNS1_11target_archE1201ELNS1_3gpuE5ELNS1_3repE0EEENS1_52radix_sort_onesweep_histogram_config_static_selectorELNS0_4arch9wavefront6targetE1EEEvSE_
		.amdhsa_group_segment_fixed_size 0
		.amdhsa_private_segment_fixed_size 0
		.amdhsa_kernarg_size 8
		.amdhsa_user_sgpr_count 6
		.amdhsa_user_sgpr_private_segment_buffer 1
		.amdhsa_user_sgpr_dispatch_ptr 0
		.amdhsa_user_sgpr_queue_ptr 0
		.amdhsa_user_sgpr_kernarg_segment_ptr 1
		.amdhsa_user_sgpr_dispatch_id 0
		.amdhsa_user_sgpr_flat_scratch_init 0
		.amdhsa_user_sgpr_kernarg_preload_length 0
		.amdhsa_user_sgpr_kernarg_preload_offset 0
		.amdhsa_user_sgpr_private_segment_size 0
		.amdhsa_uses_dynamic_stack 0
		.amdhsa_system_sgpr_private_segment_wavefront_offset 0
		.amdhsa_system_sgpr_workgroup_id_x 1
		.amdhsa_system_sgpr_workgroup_id_y 0
		.amdhsa_system_sgpr_workgroup_id_z 0
		.amdhsa_system_sgpr_workgroup_info 0
		.amdhsa_system_vgpr_workitem_id 0
		.amdhsa_next_free_vgpr 1
		.amdhsa_next_free_sgpr 0
		.amdhsa_accum_offset 4
		.amdhsa_reserve_vcc 0
		.amdhsa_reserve_flat_scratch 0
		.amdhsa_float_round_mode_32 0
		.amdhsa_float_round_mode_16_64 0
		.amdhsa_float_denorm_mode_32 3
		.amdhsa_float_denorm_mode_16_64 3
		.amdhsa_dx10_clamp 1
		.amdhsa_ieee_mode 1
		.amdhsa_fp16_overflow 0
		.amdhsa_tg_split 0
		.amdhsa_exception_fp_ieee_invalid_op 0
		.amdhsa_exception_fp_denorm_src 0
		.amdhsa_exception_fp_ieee_div_zero 0
		.amdhsa_exception_fp_ieee_overflow 0
		.amdhsa_exception_fp_ieee_underflow 0
		.amdhsa_exception_fp_ieee_inexact 0
		.amdhsa_exception_int_div_zero 0
	.end_amdhsa_kernel
	.section	.text._ZN7rocprim17ROCPRIM_400000_NS6detail17trampoline_kernelINS0_14default_configENS1_35radix_sort_onesweep_config_selectorIilEEZNS1_34radix_sort_onesweep_global_offsetsIS3_Lb0EPiN6thrust23THRUST_200600_302600_NS10device_ptrIlEEjNS0_19identity_decomposerEEE10hipError_tT1_T2_PT3_SG_jT4_jjP12ihipStream_tbEUlT_E0_NS1_11comp_targetILNS1_3genE10ELNS1_11target_archE1201ELNS1_3gpuE5ELNS1_3repE0EEENS1_52radix_sort_onesweep_histogram_config_static_selectorELNS0_4arch9wavefront6targetE1EEEvSE_,"axG",@progbits,_ZN7rocprim17ROCPRIM_400000_NS6detail17trampoline_kernelINS0_14default_configENS1_35radix_sort_onesweep_config_selectorIilEEZNS1_34radix_sort_onesweep_global_offsetsIS3_Lb0EPiN6thrust23THRUST_200600_302600_NS10device_ptrIlEEjNS0_19identity_decomposerEEE10hipError_tT1_T2_PT3_SG_jT4_jjP12ihipStream_tbEUlT_E0_NS1_11comp_targetILNS1_3genE10ELNS1_11target_archE1201ELNS1_3gpuE5ELNS1_3repE0EEENS1_52radix_sort_onesweep_histogram_config_static_selectorELNS0_4arch9wavefront6targetE1EEEvSE_,comdat
.Lfunc_end863:
	.size	_ZN7rocprim17ROCPRIM_400000_NS6detail17trampoline_kernelINS0_14default_configENS1_35radix_sort_onesweep_config_selectorIilEEZNS1_34radix_sort_onesweep_global_offsetsIS3_Lb0EPiN6thrust23THRUST_200600_302600_NS10device_ptrIlEEjNS0_19identity_decomposerEEE10hipError_tT1_T2_PT3_SG_jT4_jjP12ihipStream_tbEUlT_E0_NS1_11comp_targetILNS1_3genE10ELNS1_11target_archE1201ELNS1_3gpuE5ELNS1_3repE0EEENS1_52radix_sort_onesweep_histogram_config_static_selectorELNS0_4arch9wavefront6targetE1EEEvSE_, .Lfunc_end863-_ZN7rocprim17ROCPRIM_400000_NS6detail17trampoline_kernelINS0_14default_configENS1_35radix_sort_onesweep_config_selectorIilEEZNS1_34radix_sort_onesweep_global_offsetsIS3_Lb0EPiN6thrust23THRUST_200600_302600_NS10device_ptrIlEEjNS0_19identity_decomposerEEE10hipError_tT1_T2_PT3_SG_jT4_jjP12ihipStream_tbEUlT_E0_NS1_11comp_targetILNS1_3genE10ELNS1_11target_archE1201ELNS1_3gpuE5ELNS1_3repE0EEENS1_52radix_sort_onesweep_histogram_config_static_selectorELNS0_4arch9wavefront6targetE1EEEvSE_
                                        ; -- End function
	.section	.AMDGPU.csdata,"",@progbits
; Kernel info:
; codeLenInByte = 0
; NumSgprs: 4
; NumVgprs: 0
; NumAgprs: 0
; TotalNumVgprs: 0
; ScratchSize: 0
; MemoryBound: 0
; FloatMode: 240
; IeeeMode: 1
; LDSByteSize: 0 bytes/workgroup (compile time only)
; SGPRBlocks: 0
; VGPRBlocks: 0
; NumSGPRsForWavesPerEU: 4
; NumVGPRsForWavesPerEU: 1
; AccumOffset: 4
; Occupancy: 8
; WaveLimiterHint : 0
; COMPUTE_PGM_RSRC2:SCRATCH_EN: 0
; COMPUTE_PGM_RSRC2:USER_SGPR: 6
; COMPUTE_PGM_RSRC2:TRAP_HANDLER: 0
; COMPUTE_PGM_RSRC2:TGID_X_EN: 1
; COMPUTE_PGM_RSRC2:TGID_Y_EN: 0
; COMPUTE_PGM_RSRC2:TGID_Z_EN: 0
; COMPUTE_PGM_RSRC2:TIDIG_COMP_CNT: 0
; COMPUTE_PGM_RSRC3_GFX90A:ACCUM_OFFSET: 0
; COMPUTE_PGM_RSRC3_GFX90A:TG_SPLIT: 0
	.section	.text._ZN7rocprim17ROCPRIM_400000_NS6detail17trampoline_kernelINS0_14default_configENS1_35radix_sort_onesweep_config_selectorIilEEZNS1_34radix_sort_onesweep_global_offsetsIS3_Lb0EPiN6thrust23THRUST_200600_302600_NS10device_ptrIlEEjNS0_19identity_decomposerEEE10hipError_tT1_T2_PT3_SG_jT4_jjP12ihipStream_tbEUlT_E0_NS1_11comp_targetILNS1_3genE9ELNS1_11target_archE1100ELNS1_3gpuE3ELNS1_3repE0EEENS1_52radix_sort_onesweep_histogram_config_static_selectorELNS0_4arch9wavefront6targetE1EEEvSE_,"axG",@progbits,_ZN7rocprim17ROCPRIM_400000_NS6detail17trampoline_kernelINS0_14default_configENS1_35radix_sort_onesweep_config_selectorIilEEZNS1_34radix_sort_onesweep_global_offsetsIS3_Lb0EPiN6thrust23THRUST_200600_302600_NS10device_ptrIlEEjNS0_19identity_decomposerEEE10hipError_tT1_T2_PT3_SG_jT4_jjP12ihipStream_tbEUlT_E0_NS1_11comp_targetILNS1_3genE9ELNS1_11target_archE1100ELNS1_3gpuE3ELNS1_3repE0EEENS1_52radix_sort_onesweep_histogram_config_static_selectorELNS0_4arch9wavefront6targetE1EEEvSE_,comdat
	.protected	_ZN7rocprim17ROCPRIM_400000_NS6detail17trampoline_kernelINS0_14default_configENS1_35radix_sort_onesweep_config_selectorIilEEZNS1_34radix_sort_onesweep_global_offsetsIS3_Lb0EPiN6thrust23THRUST_200600_302600_NS10device_ptrIlEEjNS0_19identity_decomposerEEE10hipError_tT1_T2_PT3_SG_jT4_jjP12ihipStream_tbEUlT_E0_NS1_11comp_targetILNS1_3genE9ELNS1_11target_archE1100ELNS1_3gpuE3ELNS1_3repE0EEENS1_52radix_sort_onesweep_histogram_config_static_selectorELNS0_4arch9wavefront6targetE1EEEvSE_ ; -- Begin function _ZN7rocprim17ROCPRIM_400000_NS6detail17trampoline_kernelINS0_14default_configENS1_35radix_sort_onesweep_config_selectorIilEEZNS1_34radix_sort_onesweep_global_offsetsIS3_Lb0EPiN6thrust23THRUST_200600_302600_NS10device_ptrIlEEjNS0_19identity_decomposerEEE10hipError_tT1_T2_PT3_SG_jT4_jjP12ihipStream_tbEUlT_E0_NS1_11comp_targetILNS1_3genE9ELNS1_11target_archE1100ELNS1_3gpuE3ELNS1_3repE0EEENS1_52radix_sort_onesweep_histogram_config_static_selectorELNS0_4arch9wavefront6targetE1EEEvSE_
	.globl	_ZN7rocprim17ROCPRIM_400000_NS6detail17trampoline_kernelINS0_14default_configENS1_35radix_sort_onesweep_config_selectorIilEEZNS1_34radix_sort_onesweep_global_offsetsIS3_Lb0EPiN6thrust23THRUST_200600_302600_NS10device_ptrIlEEjNS0_19identity_decomposerEEE10hipError_tT1_T2_PT3_SG_jT4_jjP12ihipStream_tbEUlT_E0_NS1_11comp_targetILNS1_3genE9ELNS1_11target_archE1100ELNS1_3gpuE3ELNS1_3repE0EEENS1_52radix_sort_onesweep_histogram_config_static_selectorELNS0_4arch9wavefront6targetE1EEEvSE_
	.p2align	8
	.type	_ZN7rocprim17ROCPRIM_400000_NS6detail17trampoline_kernelINS0_14default_configENS1_35radix_sort_onesweep_config_selectorIilEEZNS1_34radix_sort_onesweep_global_offsetsIS3_Lb0EPiN6thrust23THRUST_200600_302600_NS10device_ptrIlEEjNS0_19identity_decomposerEEE10hipError_tT1_T2_PT3_SG_jT4_jjP12ihipStream_tbEUlT_E0_NS1_11comp_targetILNS1_3genE9ELNS1_11target_archE1100ELNS1_3gpuE3ELNS1_3repE0EEENS1_52radix_sort_onesweep_histogram_config_static_selectorELNS0_4arch9wavefront6targetE1EEEvSE_,@function
_ZN7rocprim17ROCPRIM_400000_NS6detail17trampoline_kernelINS0_14default_configENS1_35radix_sort_onesweep_config_selectorIilEEZNS1_34radix_sort_onesweep_global_offsetsIS3_Lb0EPiN6thrust23THRUST_200600_302600_NS10device_ptrIlEEjNS0_19identity_decomposerEEE10hipError_tT1_T2_PT3_SG_jT4_jjP12ihipStream_tbEUlT_E0_NS1_11comp_targetILNS1_3genE9ELNS1_11target_archE1100ELNS1_3gpuE3ELNS1_3repE0EEENS1_52radix_sort_onesweep_histogram_config_static_selectorELNS0_4arch9wavefront6targetE1EEEvSE_: ; @_ZN7rocprim17ROCPRIM_400000_NS6detail17trampoline_kernelINS0_14default_configENS1_35radix_sort_onesweep_config_selectorIilEEZNS1_34radix_sort_onesweep_global_offsetsIS3_Lb0EPiN6thrust23THRUST_200600_302600_NS10device_ptrIlEEjNS0_19identity_decomposerEEE10hipError_tT1_T2_PT3_SG_jT4_jjP12ihipStream_tbEUlT_E0_NS1_11comp_targetILNS1_3genE9ELNS1_11target_archE1100ELNS1_3gpuE3ELNS1_3repE0EEENS1_52radix_sort_onesweep_histogram_config_static_selectorELNS0_4arch9wavefront6targetE1EEEvSE_
; %bb.0:
	.section	.rodata,"a",@progbits
	.p2align	6, 0x0
	.amdhsa_kernel _ZN7rocprim17ROCPRIM_400000_NS6detail17trampoline_kernelINS0_14default_configENS1_35radix_sort_onesweep_config_selectorIilEEZNS1_34radix_sort_onesweep_global_offsetsIS3_Lb0EPiN6thrust23THRUST_200600_302600_NS10device_ptrIlEEjNS0_19identity_decomposerEEE10hipError_tT1_T2_PT3_SG_jT4_jjP12ihipStream_tbEUlT_E0_NS1_11comp_targetILNS1_3genE9ELNS1_11target_archE1100ELNS1_3gpuE3ELNS1_3repE0EEENS1_52radix_sort_onesweep_histogram_config_static_selectorELNS0_4arch9wavefront6targetE1EEEvSE_
		.amdhsa_group_segment_fixed_size 0
		.amdhsa_private_segment_fixed_size 0
		.amdhsa_kernarg_size 8
		.amdhsa_user_sgpr_count 6
		.amdhsa_user_sgpr_private_segment_buffer 1
		.amdhsa_user_sgpr_dispatch_ptr 0
		.amdhsa_user_sgpr_queue_ptr 0
		.amdhsa_user_sgpr_kernarg_segment_ptr 1
		.amdhsa_user_sgpr_dispatch_id 0
		.amdhsa_user_sgpr_flat_scratch_init 0
		.amdhsa_user_sgpr_kernarg_preload_length 0
		.amdhsa_user_sgpr_kernarg_preload_offset 0
		.amdhsa_user_sgpr_private_segment_size 0
		.amdhsa_uses_dynamic_stack 0
		.amdhsa_system_sgpr_private_segment_wavefront_offset 0
		.amdhsa_system_sgpr_workgroup_id_x 1
		.amdhsa_system_sgpr_workgroup_id_y 0
		.amdhsa_system_sgpr_workgroup_id_z 0
		.amdhsa_system_sgpr_workgroup_info 0
		.amdhsa_system_vgpr_workitem_id 0
		.amdhsa_next_free_vgpr 1
		.amdhsa_next_free_sgpr 0
		.amdhsa_accum_offset 4
		.amdhsa_reserve_vcc 0
		.amdhsa_reserve_flat_scratch 0
		.amdhsa_float_round_mode_32 0
		.amdhsa_float_round_mode_16_64 0
		.amdhsa_float_denorm_mode_32 3
		.amdhsa_float_denorm_mode_16_64 3
		.amdhsa_dx10_clamp 1
		.amdhsa_ieee_mode 1
		.amdhsa_fp16_overflow 0
		.amdhsa_tg_split 0
		.amdhsa_exception_fp_ieee_invalid_op 0
		.amdhsa_exception_fp_denorm_src 0
		.amdhsa_exception_fp_ieee_div_zero 0
		.amdhsa_exception_fp_ieee_overflow 0
		.amdhsa_exception_fp_ieee_underflow 0
		.amdhsa_exception_fp_ieee_inexact 0
		.amdhsa_exception_int_div_zero 0
	.end_amdhsa_kernel
	.section	.text._ZN7rocprim17ROCPRIM_400000_NS6detail17trampoline_kernelINS0_14default_configENS1_35radix_sort_onesweep_config_selectorIilEEZNS1_34radix_sort_onesweep_global_offsetsIS3_Lb0EPiN6thrust23THRUST_200600_302600_NS10device_ptrIlEEjNS0_19identity_decomposerEEE10hipError_tT1_T2_PT3_SG_jT4_jjP12ihipStream_tbEUlT_E0_NS1_11comp_targetILNS1_3genE9ELNS1_11target_archE1100ELNS1_3gpuE3ELNS1_3repE0EEENS1_52radix_sort_onesweep_histogram_config_static_selectorELNS0_4arch9wavefront6targetE1EEEvSE_,"axG",@progbits,_ZN7rocprim17ROCPRIM_400000_NS6detail17trampoline_kernelINS0_14default_configENS1_35radix_sort_onesweep_config_selectorIilEEZNS1_34radix_sort_onesweep_global_offsetsIS3_Lb0EPiN6thrust23THRUST_200600_302600_NS10device_ptrIlEEjNS0_19identity_decomposerEEE10hipError_tT1_T2_PT3_SG_jT4_jjP12ihipStream_tbEUlT_E0_NS1_11comp_targetILNS1_3genE9ELNS1_11target_archE1100ELNS1_3gpuE3ELNS1_3repE0EEENS1_52radix_sort_onesweep_histogram_config_static_selectorELNS0_4arch9wavefront6targetE1EEEvSE_,comdat
.Lfunc_end864:
	.size	_ZN7rocprim17ROCPRIM_400000_NS6detail17trampoline_kernelINS0_14default_configENS1_35radix_sort_onesweep_config_selectorIilEEZNS1_34radix_sort_onesweep_global_offsetsIS3_Lb0EPiN6thrust23THRUST_200600_302600_NS10device_ptrIlEEjNS0_19identity_decomposerEEE10hipError_tT1_T2_PT3_SG_jT4_jjP12ihipStream_tbEUlT_E0_NS1_11comp_targetILNS1_3genE9ELNS1_11target_archE1100ELNS1_3gpuE3ELNS1_3repE0EEENS1_52radix_sort_onesweep_histogram_config_static_selectorELNS0_4arch9wavefront6targetE1EEEvSE_, .Lfunc_end864-_ZN7rocprim17ROCPRIM_400000_NS6detail17trampoline_kernelINS0_14default_configENS1_35radix_sort_onesweep_config_selectorIilEEZNS1_34radix_sort_onesweep_global_offsetsIS3_Lb0EPiN6thrust23THRUST_200600_302600_NS10device_ptrIlEEjNS0_19identity_decomposerEEE10hipError_tT1_T2_PT3_SG_jT4_jjP12ihipStream_tbEUlT_E0_NS1_11comp_targetILNS1_3genE9ELNS1_11target_archE1100ELNS1_3gpuE3ELNS1_3repE0EEENS1_52radix_sort_onesweep_histogram_config_static_selectorELNS0_4arch9wavefront6targetE1EEEvSE_
                                        ; -- End function
	.section	.AMDGPU.csdata,"",@progbits
; Kernel info:
; codeLenInByte = 0
; NumSgprs: 4
; NumVgprs: 0
; NumAgprs: 0
; TotalNumVgprs: 0
; ScratchSize: 0
; MemoryBound: 0
; FloatMode: 240
; IeeeMode: 1
; LDSByteSize: 0 bytes/workgroup (compile time only)
; SGPRBlocks: 0
; VGPRBlocks: 0
; NumSGPRsForWavesPerEU: 4
; NumVGPRsForWavesPerEU: 1
; AccumOffset: 4
; Occupancy: 8
; WaveLimiterHint : 0
; COMPUTE_PGM_RSRC2:SCRATCH_EN: 0
; COMPUTE_PGM_RSRC2:USER_SGPR: 6
; COMPUTE_PGM_RSRC2:TRAP_HANDLER: 0
; COMPUTE_PGM_RSRC2:TGID_X_EN: 1
; COMPUTE_PGM_RSRC2:TGID_Y_EN: 0
; COMPUTE_PGM_RSRC2:TGID_Z_EN: 0
; COMPUTE_PGM_RSRC2:TIDIG_COMP_CNT: 0
; COMPUTE_PGM_RSRC3_GFX90A:ACCUM_OFFSET: 0
; COMPUTE_PGM_RSRC3_GFX90A:TG_SPLIT: 0
	.section	.text._ZN7rocprim17ROCPRIM_400000_NS6detail17trampoline_kernelINS0_14default_configENS1_35radix_sort_onesweep_config_selectorIilEEZNS1_34radix_sort_onesweep_global_offsetsIS3_Lb0EPiN6thrust23THRUST_200600_302600_NS10device_ptrIlEEjNS0_19identity_decomposerEEE10hipError_tT1_T2_PT3_SG_jT4_jjP12ihipStream_tbEUlT_E0_NS1_11comp_targetILNS1_3genE8ELNS1_11target_archE1030ELNS1_3gpuE2ELNS1_3repE0EEENS1_52radix_sort_onesweep_histogram_config_static_selectorELNS0_4arch9wavefront6targetE1EEEvSE_,"axG",@progbits,_ZN7rocprim17ROCPRIM_400000_NS6detail17trampoline_kernelINS0_14default_configENS1_35radix_sort_onesweep_config_selectorIilEEZNS1_34radix_sort_onesweep_global_offsetsIS3_Lb0EPiN6thrust23THRUST_200600_302600_NS10device_ptrIlEEjNS0_19identity_decomposerEEE10hipError_tT1_T2_PT3_SG_jT4_jjP12ihipStream_tbEUlT_E0_NS1_11comp_targetILNS1_3genE8ELNS1_11target_archE1030ELNS1_3gpuE2ELNS1_3repE0EEENS1_52radix_sort_onesweep_histogram_config_static_selectorELNS0_4arch9wavefront6targetE1EEEvSE_,comdat
	.protected	_ZN7rocprim17ROCPRIM_400000_NS6detail17trampoline_kernelINS0_14default_configENS1_35radix_sort_onesweep_config_selectorIilEEZNS1_34radix_sort_onesweep_global_offsetsIS3_Lb0EPiN6thrust23THRUST_200600_302600_NS10device_ptrIlEEjNS0_19identity_decomposerEEE10hipError_tT1_T2_PT3_SG_jT4_jjP12ihipStream_tbEUlT_E0_NS1_11comp_targetILNS1_3genE8ELNS1_11target_archE1030ELNS1_3gpuE2ELNS1_3repE0EEENS1_52radix_sort_onesweep_histogram_config_static_selectorELNS0_4arch9wavefront6targetE1EEEvSE_ ; -- Begin function _ZN7rocprim17ROCPRIM_400000_NS6detail17trampoline_kernelINS0_14default_configENS1_35radix_sort_onesweep_config_selectorIilEEZNS1_34radix_sort_onesweep_global_offsetsIS3_Lb0EPiN6thrust23THRUST_200600_302600_NS10device_ptrIlEEjNS0_19identity_decomposerEEE10hipError_tT1_T2_PT3_SG_jT4_jjP12ihipStream_tbEUlT_E0_NS1_11comp_targetILNS1_3genE8ELNS1_11target_archE1030ELNS1_3gpuE2ELNS1_3repE0EEENS1_52radix_sort_onesweep_histogram_config_static_selectorELNS0_4arch9wavefront6targetE1EEEvSE_
	.globl	_ZN7rocprim17ROCPRIM_400000_NS6detail17trampoline_kernelINS0_14default_configENS1_35radix_sort_onesweep_config_selectorIilEEZNS1_34radix_sort_onesweep_global_offsetsIS3_Lb0EPiN6thrust23THRUST_200600_302600_NS10device_ptrIlEEjNS0_19identity_decomposerEEE10hipError_tT1_T2_PT3_SG_jT4_jjP12ihipStream_tbEUlT_E0_NS1_11comp_targetILNS1_3genE8ELNS1_11target_archE1030ELNS1_3gpuE2ELNS1_3repE0EEENS1_52radix_sort_onesweep_histogram_config_static_selectorELNS0_4arch9wavefront6targetE1EEEvSE_
	.p2align	8
	.type	_ZN7rocprim17ROCPRIM_400000_NS6detail17trampoline_kernelINS0_14default_configENS1_35radix_sort_onesweep_config_selectorIilEEZNS1_34radix_sort_onesweep_global_offsetsIS3_Lb0EPiN6thrust23THRUST_200600_302600_NS10device_ptrIlEEjNS0_19identity_decomposerEEE10hipError_tT1_T2_PT3_SG_jT4_jjP12ihipStream_tbEUlT_E0_NS1_11comp_targetILNS1_3genE8ELNS1_11target_archE1030ELNS1_3gpuE2ELNS1_3repE0EEENS1_52radix_sort_onesweep_histogram_config_static_selectorELNS0_4arch9wavefront6targetE1EEEvSE_,@function
_ZN7rocprim17ROCPRIM_400000_NS6detail17trampoline_kernelINS0_14default_configENS1_35radix_sort_onesweep_config_selectorIilEEZNS1_34radix_sort_onesweep_global_offsetsIS3_Lb0EPiN6thrust23THRUST_200600_302600_NS10device_ptrIlEEjNS0_19identity_decomposerEEE10hipError_tT1_T2_PT3_SG_jT4_jjP12ihipStream_tbEUlT_E0_NS1_11comp_targetILNS1_3genE8ELNS1_11target_archE1030ELNS1_3gpuE2ELNS1_3repE0EEENS1_52radix_sort_onesweep_histogram_config_static_selectorELNS0_4arch9wavefront6targetE1EEEvSE_: ; @_ZN7rocprim17ROCPRIM_400000_NS6detail17trampoline_kernelINS0_14default_configENS1_35radix_sort_onesweep_config_selectorIilEEZNS1_34radix_sort_onesweep_global_offsetsIS3_Lb0EPiN6thrust23THRUST_200600_302600_NS10device_ptrIlEEjNS0_19identity_decomposerEEE10hipError_tT1_T2_PT3_SG_jT4_jjP12ihipStream_tbEUlT_E0_NS1_11comp_targetILNS1_3genE8ELNS1_11target_archE1030ELNS1_3gpuE2ELNS1_3repE0EEENS1_52radix_sort_onesweep_histogram_config_static_selectorELNS0_4arch9wavefront6targetE1EEEvSE_
; %bb.0:
	.section	.rodata,"a",@progbits
	.p2align	6, 0x0
	.amdhsa_kernel _ZN7rocprim17ROCPRIM_400000_NS6detail17trampoline_kernelINS0_14default_configENS1_35radix_sort_onesweep_config_selectorIilEEZNS1_34radix_sort_onesweep_global_offsetsIS3_Lb0EPiN6thrust23THRUST_200600_302600_NS10device_ptrIlEEjNS0_19identity_decomposerEEE10hipError_tT1_T2_PT3_SG_jT4_jjP12ihipStream_tbEUlT_E0_NS1_11comp_targetILNS1_3genE8ELNS1_11target_archE1030ELNS1_3gpuE2ELNS1_3repE0EEENS1_52radix_sort_onesweep_histogram_config_static_selectorELNS0_4arch9wavefront6targetE1EEEvSE_
		.amdhsa_group_segment_fixed_size 0
		.amdhsa_private_segment_fixed_size 0
		.amdhsa_kernarg_size 8
		.amdhsa_user_sgpr_count 6
		.amdhsa_user_sgpr_private_segment_buffer 1
		.amdhsa_user_sgpr_dispatch_ptr 0
		.amdhsa_user_sgpr_queue_ptr 0
		.amdhsa_user_sgpr_kernarg_segment_ptr 1
		.amdhsa_user_sgpr_dispatch_id 0
		.amdhsa_user_sgpr_flat_scratch_init 0
		.amdhsa_user_sgpr_kernarg_preload_length 0
		.amdhsa_user_sgpr_kernarg_preload_offset 0
		.amdhsa_user_sgpr_private_segment_size 0
		.amdhsa_uses_dynamic_stack 0
		.amdhsa_system_sgpr_private_segment_wavefront_offset 0
		.amdhsa_system_sgpr_workgroup_id_x 1
		.amdhsa_system_sgpr_workgroup_id_y 0
		.amdhsa_system_sgpr_workgroup_id_z 0
		.amdhsa_system_sgpr_workgroup_info 0
		.amdhsa_system_vgpr_workitem_id 0
		.amdhsa_next_free_vgpr 1
		.amdhsa_next_free_sgpr 0
		.amdhsa_accum_offset 4
		.amdhsa_reserve_vcc 0
		.amdhsa_reserve_flat_scratch 0
		.amdhsa_float_round_mode_32 0
		.amdhsa_float_round_mode_16_64 0
		.amdhsa_float_denorm_mode_32 3
		.amdhsa_float_denorm_mode_16_64 3
		.amdhsa_dx10_clamp 1
		.amdhsa_ieee_mode 1
		.amdhsa_fp16_overflow 0
		.amdhsa_tg_split 0
		.amdhsa_exception_fp_ieee_invalid_op 0
		.amdhsa_exception_fp_denorm_src 0
		.amdhsa_exception_fp_ieee_div_zero 0
		.amdhsa_exception_fp_ieee_overflow 0
		.amdhsa_exception_fp_ieee_underflow 0
		.amdhsa_exception_fp_ieee_inexact 0
		.amdhsa_exception_int_div_zero 0
	.end_amdhsa_kernel
	.section	.text._ZN7rocprim17ROCPRIM_400000_NS6detail17trampoline_kernelINS0_14default_configENS1_35radix_sort_onesweep_config_selectorIilEEZNS1_34radix_sort_onesweep_global_offsetsIS3_Lb0EPiN6thrust23THRUST_200600_302600_NS10device_ptrIlEEjNS0_19identity_decomposerEEE10hipError_tT1_T2_PT3_SG_jT4_jjP12ihipStream_tbEUlT_E0_NS1_11comp_targetILNS1_3genE8ELNS1_11target_archE1030ELNS1_3gpuE2ELNS1_3repE0EEENS1_52radix_sort_onesweep_histogram_config_static_selectorELNS0_4arch9wavefront6targetE1EEEvSE_,"axG",@progbits,_ZN7rocprim17ROCPRIM_400000_NS6detail17trampoline_kernelINS0_14default_configENS1_35radix_sort_onesweep_config_selectorIilEEZNS1_34radix_sort_onesweep_global_offsetsIS3_Lb0EPiN6thrust23THRUST_200600_302600_NS10device_ptrIlEEjNS0_19identity_decomposerEEE10hipError_tT1_T2_PT3_SG_jT4_jjP12ihipStream_tbEUlT_E0_NS1_11comp_targetILNS1_3genE8ELNS1_11target_archE1030ELNS1_3gpuE2ELNS1_3repE0EEENS1_52radix_sort_onesweep_histogram_config_static_selectorELNS0_4arch9wavefront6targetE1EEEvSE_,comdat
.Lfunc_end865:
	.size	_ZN7rocprim17ROCPRIM_400000_NS6detail17trampoline_kernelINS0_14default_configENS1_35radix_sort_onesweep_config_selectorIilEEZNS1_34radix_sort_onesweep_global_offsetsIS3_Lb0EPiN6thrust23THRUST_200600_302600_NS10device_ptrIlEEjNS0_19identity_decomposerEEE10hipError_tT1_T2_PT3_SG_jT4_jjP12ihipStream_tbEUlT_E0_NS1_11comp_targetILNS1_3genE8ELNS1_11target_archE1030ELNS1_3gpuE2ELNS1_3repE0EEENS1_52radix_sort_onesweep_histogram_config_static_selectorELNS0_4arch9wavefront6targetE1EEEvSE_, .Lfunc_end865-_ZN7rocprim17ROCPRIM_400000_NS6detail17trampoline_kernelINS0_14default_configENS1_35radix_sort_onesweep_config_selectorIilEEZNS1_34radix_sort_onesweep_global_offsetsIS3_Lb0EPiN6thrust23THRUST_200600_302600_NS10device_ptrIlEEjNS0_19identity_decomposerEEE10hipError_tT1_T2_PT3_SG_jT4_jjP12ihipStream_tbEUlT_E0_NS1_11comp_targetILNS1_3genE8ELNS1_11target_archE1030ELNS1_3gpuE2ELNS1_3repE0EEENS1_52radix_sort_onesweep_histogram_config_static_selectorELNS0_4arch9wavefront6targetE1EEEvSE_
                                        ; -- End function
	.section	.AMDGPU.csdata,"",@progbits
; Kernel info:
; codeLenInByte = 0
; NumSgprs: 4
; NumVgprs: 0
; NumAgprs: 0
; TotalNumVgprs: 0
; ScratchSize: 0
; MemoryBound: 0
; FloatMode: 240
; IeeeMode: 1
; LDSByteSize: 0 bytes/workgroup (compile time only)
; SGPRBlocks: 0
; VGPRBlocks: 0
; NumSGPRsForWavesPerEU: 4
; NumVGPRsForWavesPerEU: 1
; AccumOffset: 4
; Occupancy: 8
; WaveLimiterHint : 0
; COMPUTE_PGM_RSRC2:SCRATCH_EN: 0
; COMPUTE_PGM_RSRC2:USER_SGPR: 6
; COMPUTE_PGM_RSRC2:TRAP_HANDLER: 0
; COMPUTE_PGM_RSRC2:TGID_X_EN: 1
; COMPUTE_PGM_RSRC2:TGID_Y_EN: 0
; COMPUTE_PGM_RSRC2:TGID_Z_EN: 0
; COMPUTE_PGM_RSRC2:TIDIG_COMP_CNT: 0
; COMPUTE_PGM_RSRC3_GFX90A:ACCUM_OFFSET: 0
; COMPUTE_PGM_RSRC3_GFX90A:TG_SPLIT: 0
	.section	.text._ZN7rocprim17ROCPRIM_400000_NS6detail17trampoline_kernelINS0_14default_configENS1_35radix_sort_onesweep_config_selectorIilEEZZNS1_29radix_sort_onesweep_iterationIS3_Lb0EPiS7_N6thrust23THRUST_200600_302600_NS10device_ptrIlEESB_jNS0_19identity_decomposerENS1_16block_id_wrapperIjLb1EEEEE10hipError_tT1_PNSt15iterator_traitsISG_E10value_typeET2_T3_PNSH_ISM_E10value_typeET4_T5_PSR_SS_PNS1_23onesweep_lookback_stateEbbT6_jjT7_P12ihipStream_tbENKUlT_T0_SG_SL_E_clIS7_S7_SB_SB_EEDaSZ_S10_SG_SL_EUlSZ_E_NS1_11comp_targetILNS1_3genE0ELNS1_11target_archE4294967295ELNS1_3gpuE0ELNS1_3repE0EEENS1_47radix_sort_onesweep_sort_config_static_selectorELNS0_4arch9wavefront6targetE1EEEvSG_,"axG",@progbits,_ZN7rocprim17ROCPRIM_400000_NS6detail17trampoline_kernelINS0_14default_configENS1_35radix_sort_onesweep_config_selectorIilEEZZNS1_29radix_sort_onesweep_iterationIS3_Lb0EPiS7_N6thrust23THRUST_200600_302600_NS10device_ptrIlEESB_jNS0_19identity_decomposerENS1_16block_id_wrapperIjLb1EEEEE10hipError_tT1_PNSt15iterator_traitsISG_E10value_typeET2_T3_PNSH_ISM_E10value_typeET4_T5_PSR_SS_PNS1_23onesweep_lookback_stateEbbT6_jjT7_P12ihipStream_tbENKUlT_T0_SG_SL_E_clIS7_S7_SB_SB_EEDaSZ_S10_SG_SL_EUlSZ_E_NS1_11comp_targetILNS1_3genE0ELNS1_11target_archE4294967295ELNS1_3gpuE0ELNS1_3repE0EEENS1_47radix_sort_onesweep_sort_config_static_selectorELNS0_4arch9wavefront6targetE1EEEvSG_,comdat
	.protected	_ZN7rocprim17ROCPRIM_400000_NS6detail17trampoline_kernelINS0_14default_configENS1_35radix_sort_onesweep_config_selectorIilEEZZNS1_29radix_sort_onesweep_iterationIS3_Lb0EPiS7_N6thrust23THRUST_200600_302600_NS10device_ptrIlEESB_jNS0_19identity_decomposerENS1_16block_id_wrapperIjLb1EEEEE10hipError_tT1_PNSt15iterator_traitsISG_E10value_typeET2_T3_PNSH_ISM_E10value_typeET4_T5_PSR_SS_PNS1_23onesweep_lookback_stateEbbT6_jjT7_P12ihipStream_tbENKUlT_T0_SG_SL_E_clIS7_S7_SB_SB_EEDaSZ_S10_SG_SL_EUlSZ_E_NS1_11comp_targetILNS1_3genE0ELNS1_11target_archE4294967295ELNS1_3gpuE0ELNS1_3repE0EEENS1_47radix_sort_onesweep_sort_config_static_selectorELNS0_4arch9wavefront6targetE1EEEvSG_ ; -- Begin function _ZN7rocprim17ROCPRIM_400000_NS6detail17trampoline_kernelINS0_14default_configENS1_35radix_sort_onesweep_config_selectorIilEEZZNS1_29radix_sort_onesweep_iterationIS3_Lb0EPiS7_N6thrust23THRUST_200600_302600_NS10device_ptrIlEESB_jNS0_19identity_decomposerENS1_16block_id_wrapperIjLb1EEEEE10hipError_tT1_PNSt15iterator_traitsISG_E10value_typeET2_T3_PNSH_ISM_E10value_typeET4_T5_PSR_SS_PNS1_23onesweep_lookback_stateEbbT6_jjT7_P12ihipStream_tbENKUlT_T0_SG_SL_E_clIS7_S7_SB_SB_EEDaSZ_S10_SG_SL_EUlSZ_E_NS1_11comp_targetILNS1_3genE0ELNS1_11target_archE4294967295ELNS1_3gpuE0ELNS1_3repE0EEENS1_47radix_sort_onesweep_sort_config_static_selectorELNS0_4arch9wavefront6targetE1EEEvSG_
	.globl	_ZN7rocprim17ROCPRIM_400000_NS6detail17trampoline_kernelINS0_14default_configENS1_35radix_sort_onesweep_config_selectorIilEEZZNS1_29radix_sort_onesweep_iterationIS3_Lb0EPiS7_N6thrust23THRUST_200600_302600_NS10device_ptrIlEESB_jNS0_19identity_decomposerENS1_16block_id_wrapperIjLb1EEEEE10hipError_tT1_PNSt15iterator_traitsISG_E10value_typeET2_T3_PNSH_ISM_E10value_typeET4_T5_PSR_SS_PNS1_23onesweep_lookback_stateEbbT6_jjT7_P12ihipStream_tbENKUlT_T0_SG_SL_E_clIS7_S7_SB_SB_EEDaSZ_S10_SG_SL_EUlSZ_E_NS1_11comp_targetILNS1_3genE0ELNS1_11target_archE4294967295ELNS1_3gpuE0ELNS1_3repE0EEENS1_47radix_sort_onesweep_sort_config_static_selectorELNS0_4arch9wavefront6targetE1EEEvSG_
	.p2align	8
	.type	_ZN7rocprim17ROCPRIM_400000_NS6detail17trampoline_kernelINS0_14default_configENS1_35radix_sort_onesweep_config_selectorIilEEZZNS1_29radix_sort_onesweep_iterationIS3_Lb0EPiS7_N6thrust23THRUST_200600_302600_NS10device_ptrIlEESB_jNS0_19identity_decomposerENS1_16block_id_wrapperIjLb1EEEEE10hipError_tT1_PNSt15iterator_traitsISG_E10value_typeET2_T3_PNSH_ISM_E10value_typeET4_T5_PSR_SS_PNS1_23onesweep_lookback_stateEbbT6_jjT7_P12ihipStream_tbENKUlT_T0_SG_SL_E_clIS7_S7_SB_SB_EEDaSZ_S10_SG_SL_EUlSZ_E_NS1_11comp_targetILNS1_3genE0ELNS1_11target_archE4294967295ELNS1_3gpuE0ELNS1_3repE0EEENS1_47radix_sort_onesweep_sort_config_static_selectorELNS0_4arch9wavefront6targetE1EEEvSG_,@function
_ZN7rocprim17ROCPRIM_400000_NS6detail17trampoline_kernelINS0_14default_configENS1_35radix_sort_onesweep_config_selectorIilEEZZNS1_29radix_sort_onesweep_iterationIS3_Lb0EPiS7_N6thrust23THRUST_200600_302600_NS10device_ptrIlEESB_jNS0_19identity_decomposerENS1_16block_id_wrapperIjLb1EEEEE10hipError_tT1_PNSt15iterator_traitsISG_E10value_typeET2_T3_PNSH_ISM_E10value_typeET4_T5_PSR_SS_PNS1_23onesweep_lookback_stateEbbT6_jjT7_P12ihipStream_tbENKUlT_T0_SG_SL_E_clIS7_S7_SB_SB_EEDaSZ_S10_SG_SL_EUlSZ_E_NS1_11comp_targetILNS1_3genE0ELNS1_11target_archE4294967295ELNS1_3gpuE0ELNS1_3repE0EEENS1_47radix_sort_onesweep_sort_config_static_selectorELNS0_4arch9wavefront6targetE1EEEvSG_: ; @_ZN7rocprim17ROCPRIM_400000_NS6detail17trampoline_kernelINS0_14default_configENS1_35radix_sort_onesweep_config_selectorIilEEZZNS1_29radix_sort_onesweep_iterationIS3_Lb0EPiS7_N6thrust23THRUST_200600_302600_NS10device_ptrIlEESB_jNS0_19identity_decomposerENS1_16block_id_wrapperIjLb1EEEEE10hipError_tT1_PNSt15iterator_traitsISG_E10value_typeET2_T3_PNSH_ISM_E10value_typeET4_T5_PSR_SS_PNS1_23onesweep_lookback_stateEbbT6_jjT7_P12ihipStream_tbENKUlT_T0_SG_SL_E_clIS7_S7_SB_SB_EEDaSZ_S10_SG_SL_EUlSZ_E_NS1_11comp_targetILNS1_3genE0ELNS1_11target_archE4294967295ELNS1_3gpuE0ELNS1_3repE0EEENS1_47radix_sort_onesweep_sort_config_static_selectorELNS0_4arch9wavefront6targetE1EEEvSG_
; %bb.0:
	.section	.rodata,"a",@progbits
	.p2align	6, 0x0
	.amdhsa_kernel _ZN7rocprim17ROCPRIM_400000_NS6detail17trampoline_kernelINS0_14default_configENS1_35radix_sort_onesweep_config_selectorIilEEZZNS1_29radix_sort_onesweep_iterationIS3_Lb0EPiS7_N6thrust23THRUST_200600_302600_NS10device_ptrIlEESB_jNS0_19identity_decomposerENS1_16block_id_wrapperIjLb1EEEEE10hipError_tT1_PNSt15iterator_traitsISG_E10value_typeET2_T3_PNSH_ISM_E10value_typeET4_T5_PSR_SS_PNS1_23onesweep_lookback_stateEbbT6_jjT7_P12ihipStream_tbENKUlT_T0_SG_SL_E_clIS7_S7_SB_SB_EEDaSZ_S10_SG_SL_EUlSZ_E_NS1_11comp_targetILNS1_3genE0ELNS1_11target_archE4294967295ELNS1_3gpuE0ELNS1_3repE0EEENS1_47radix_sort_onesweep_sort_config_static_selectorELNS0_4arch9wavefront6targetE1EEEvSG_
		.amdhsa_group_segment_fixed_size 0
		.amdhsa_private_segment_fixed_size 0
		.amdhsa_kernarg_size 88
		.amdhsa_user_sgpr_count 6
		.amdhsa_user_sgpr_private_segment_buffer 1
		.amdhsa_user_sgpr_dispatch_ptr 0
		.amdhsa_user_sgpr_queue_ptr 0
		.amdhsa_user_sgpr_kernarg_segment_ptr 1
		.amdhsa_user_sgpr_dispatch_id 0
		.amdhsa_user_sgpr_flat_scratch_init 0
		.amdhsa_user_sgpr_kernarg_preload_length 0
		.amdhsa_user_sgpr_kernarg_preload_offset 0
		.amdhsa_user_sgpr_private_segment_size 0
		.amdhsa_uses_dynamic_stack 0
		.amdhsa_system_sgpr_private_segment_wavefront_offset 0
		.amdhsa_system_sgpr_workgroup_id_x 1
		.amdhsa_system_sgpr_workgroup_id_y 0
		.amdhsa_system_sgpr_workgroup_id_z 0
		.amdhsa_system_sgpr_workgroup_info 0
		.amdhsa_system_vgpr_workitem_id 0
		.amdhsa_next_free_vgpr 1
		.amdhsa_next_free_sgpr 0
		.amdhsa_accum_offset 4
		.amdhsa_reserve_vcc 0
		.amdhsa_reserve_flat_scratch 0
		.amdhsa_float_round_mode_32 0
		.amdhsa_float_round_mode_16_64 0
		.amdhsa_float_denorm_mode_32 3
		.amdhsa_float_denorm_mode_16_64 3
		.amdhsa_dx10_clamp 1
		.amdhsa_ieee_mode 1
		.amdhsa_fp16_overflow 0
		.amdhsa_tg_split 0
		.amdhsa_exception_fp_ieee_invalid_op 0
		.amdhsa_exception_fp_denorm_src 0
		.amdhsa_exception_fp_ieee_div_zero 0
		.amdhsa_exception_fp_ieee_overflow 0
		.amdhsa_exception_fp_ieee_underflow 0
		.amdhsa_exception_fp_ieee_inexact 0
		.amdhsa_exception_int_div_zero 0
	.end_amdhsa_kernel
	.section	.text._ZN7rocprim17ROCPRIM_400000_NS6detail17trampoline_kernelINS0_14default_configENS1_35radix_sort_onesweep_config_selectorIilEEZZNS1_29radix_sort_onesweep_iterationIS3_Lb0EPiS7_N6thrust23THRUST_200600_302600_NS10device_ptrIlEESB_jNS0_19identity_decomposerENS1_16block_id_wrapperIjLb1EEEEE10hipError_tT1_PNSt15iterator_traitsISG_E10value_typeET2_T3_PNSH_ISM_E10value_typeET4_T5_PSR_SS_PNS1_23onesweep_lookback_stateEbbT6_jjT7_P12ihipStream_tbENKUlT_T0_SG_SL_E_clIS7_S7_SB_SB_EEDaSZ_S10_SG_SL_EUlSZ_E_NS1_11comp_targetILNS1_3genE0ELNS1_11target_archE4294967295ELNS1_3gpuE0ELNS1_3repE0EEENS1_47radix_sort_onesweep_sort_config_static_selectorELNS0_4arch9wavefront6targetE1EEEvSG_,"axG",@progbits,_ZN7rocprim17ROCPRIM_400000_NS6detail17trampoline_kernelINS0_14default_configENS1_35radix_sort_onesweep_config_selectorIilEEZZNS1_29radix_sort_onesweep_iterationIS3_Lb0EPiS7_N6thrust23THRUST_200600_302600_NS10device_ptrIlEESB_jNS0_19identity_decomposerENS1_16block_id_wrapperIjLb1EEEEE10hipError_tT1_PNSt15iterator_traitsISG_E10value_typeET2_T3_PNSH_ISM_E10value_typeET4_T5_PSR_SS_PNS1_23onesweep_lookback_stateEbbT6_jjT7_P12ihipStream_tbENKUlT_T0_SG_SL_E_clIS7_S7_SB_SB_EEDaSZ_S10_SG_SL_EUlSZ_E_NS1_11comp_targetILNS1_3genE0ELNS1_11target_archE4294967295ELNS1_3gpuE0ELNS1_3repE0EEENS1_47radix_sort_onesweep_sort_config_static_selectorELNS0_4arch9wavefront6targetE1EEEvSG_,comdat
.Lfunc_end866:
	.size	_ZN7rocprim17ROCPRIM_400000_NS6detail17trampoline_kernelINS0_14default_configENS1_35radix_sort_onesweep_config_selectorIilEEZZNS1_29radix_sort_onesweep_iterationIS3_Lb0EPiS7_N6thrust23THRUST_200600_302600_NS10device_ptrIlEESB_jNS0_19identity_decomposerENS1_16block_id_wrapperIjLb1EEEEE10hipError_tT1_PNSt15iterator_traitsISG_E10value_typeET2_T3_PNSH_ISM_E10value_typeET4_T5_PSR_SS_PNS1_23onesweep_lookback_stateEbbT6_jjT7_P12ihipStream_tbENKUlT_T0_SG_SL_E_clIS7_S7_SB_SB_EEDaSZ_S10_SG_SL_EUlSZ_E_NS1_11comp_targetILNS1_3genE0ELNS1_11target_archE4294967295ELNS1_3gpuE0ELNS1_3repE0EEENS1_47radix_sort_onesweep_sort_config_static_selectorELNS0_4arch9wavefront6targetE1EEEvSG_, .Lfunc_end866-_ZN7rocprim17ROCPRIM_400000_NS6detail17trampoline_kernelINS0_14default_configENS1_35radix_sort_onesweep_config_selectorIilEEZZNS1_29radix_sort_onesweep_iterationIS3_Lb0EPiS7_N6thrust23THRUST_200600_302600_NS10device_ptrIlEESB_jNS0_19identity_decomposerENS1_16block_id_wrapperIjLb1EEEEE10hipError_tT1_PNSt15iterator_traitsISG_E10value_typeET2_T3_PNSH_ISM_E10value_typeET4_T5_PSR_SS_PNS1_23onesweep_lookback_stateEbbT6_jjT7_P12ihipStream_tbENKUlT_T0_SG_SL_E_clIS7_S7_SB_SB_EEDaSZ_S10_SG_SL_EUlSZ_E_NS1_11comp_targetILNS1_3genE0ELNS1_11target_archE4294967295ELNS1_3gpuE0ELNS1_3repE0EEENS1_47radix_sort_onesweep_sort_config_static_selectorELNS0_4arch9wavefront6targetE1EEEvSG_
                                        ; -- End function
	.section	.AMDGPU.csdata,"",@progbits
; Kernel info:
; codeLenInByte = 0
; NumSgprs: 4
; NumVgprs: 0
; NumAgprs: 0
; TotalNumVgprs: 0
; ScratchSize: 0
; MemoryBound: 0
; FloatMode: 240
; IeeeMode: 1
; LDSByteSize: 0 bytes/workgroup (compile time only)
; SGPRBlocks: 0
; VGPRBlocks: 0
; NumSGPRsForWavesPerEU: 4
; NumVGPRsForWavesPerEU: 1
; AccumOffset: 4
; Occupancy: 8
; WaveLimiterHint : 0
; COMPUTE_PGM_RSRC2:SCRATCH_EN: 0
; COMPUTE_PGM_RSRC2:USER_SGPR: 6
; COMPUTE_PGM_RSRC2:TRAP_HANDLER: 0
; COMPUTE_PGM_RSRC2:TGID_X_EN: 1
; COMPUTE_PGM_RSRC2:TGID_Y_EN: 0
; COMPUTE_PGM_RSRC2:TGID_Z_EN: 0
; COMPUTE_PGM_RSRC2:TIDIG_COMP_CNT: 0
; COMPUTE_PGM_RSRC3_GFX90A:ACCUM_OFFSET: 0
; COMPUTE_PGM_RSRC3_GFX90A:TG_SPLIT: 0
	.section	.text._ZN7rocprim17ROCPRIM_400000_NS6detail17trampoline_kernelINS0_14default_configENS1_35radix_sort_onesweep_config_selectorIilEEZZNS1_29radix_sort_onesweep_iterationIS3_Lb0EPiS7_N6thrust23THRUST_200600_302600_NS10device_ptrIlEESB_jNS0_19identity_decomposerENS1_16block_id_wrapperIjLb1EEEEE10hipError_tT1_PNSt15iterator_traitsISG_E10value_typeET2_T3_PNSH_ISM_E10value_typeET4_T5_PSR_SS_PNS1_23onesweep_lookback_stateEbbT6_jjT7_P12ihipStream_tbENKUlT_T0_SG_SL_E_clIS7_S7_SB_SB_EEDaSZ_S10_SG_SL_EUlSZ_E_NS1_11comp_targetILNS1_3genE6ELNS1_11target_archE950ELNS1_3gpuE13ELNS1_3repE0EEENS1_47radix_sort_onesweep_sort_config_static_selectorELNS0_4arch9wavefront6targetE1EEEvSG_,"axG",@progbits,_ZN7rocprim17ROCPRIM_400000_NS6detail17trampoline_kernelINS0_14default_configENS1_35radix_sort_onesweep_config_selectorIilEEZZNS1_29radix_sort_onesweep_iterationIS3_Lb0EPiS7_N6thrust23THRUST_200600_302600_NS10device_ptrIlEESB_jNS0_19identity_decomposerENS1_16block_id_wrapperIjLb1EEEEE10hipError_tT1_PNSt15iterator_traitsISG_E10value_typeET2_T3_PNSH_ISM_E10value_typeET4_T5_PSR_SS_PNS1_23onesweep_lookback_stateEbbT6_jjT7_P12ihipStream_tbENKUlT_T0_SG_SL_E_clIS7_S7_SB_SB_EEDaSZ_S10_SG_SL_EUlSZ_E_NS1_11comp_targetILNS1_3genE6ELNS1_11target_archE950ELNS1_3gpuE13ELNS1_3repE0EEENS1_47radix_sort_onesweep_sort_config_static_selectorELNS0_4arch9wavefront6targetE1EEEvSG_,comdat
	.protected	_ZN7rocprim17ROCPRIM_400000_NS6detail17trampoline_kernelINS0_14default_configENS1_35radix_sort_onesweep_config_selectorIilEEZZNS1_29radix_sort_onesweep_iterationIS3_Lb0EPiS7_N6thrust23THRUST_200600_302600_NS10device_ptrIlEESB_jNS0_19identity_decomposerENS1_16block_id_wrapperIjLb1EEEEE10hipError_tT1_PNSt15iterator_traitsISG_E10value_typeET2_T3_PNSH_ISM_E10value_typeET4_T5_PSR_SS_PNS1_23onesweep_lookback_stateEbbT6_jjT7_P12ihipStream_tbENKUlT_T0_SG_SL_E_clIS7_S7_SB_SB_EEDaSZ_S10_SG_SL_EUlSZ_E_NS1_11comp_targetILNS1_3genE6ELNS1_11target_archE950ELNS1_3gpuE13ELNS1_3repE0EEENS1_47radix_sort_onesweep_sort_config_static_selectorELNS0_4arch9wavefront6targetE1EEEvSG_ ; -- Begin function _ZN7rocprim17ROCPRIM_400000_NS6detail17trampoline_kernelINS0_14default_configENS1_35radix_sort_onesweep_config_selectorIilEEZZNS1_29radix_sort_onesweep_iterationIS3_Lb0EPiS7_N6thrust23THRUST_200600_302600_NS10device_ptrIlEESB_jNS0_19identity_decomposerENS1_16block_id_wrapperIjLb1EEEEE10hipError_tT1_PNSt15iterator_traitsISG_E10value_typeET2_T3_PNSH_ISM_E10value_typeET4_T5_PSR_SS_PNS1_23onesweep_lookback_stateEbbT6_jjT7_P12ihipStream_tbENKUlT_T0_SG_SL_E_clIS7_S7_SB_SB_EEDaSZ_S10_SG_SL_EUlSZ_E_NS1_11comp_targetILNS1_3genE6ELNS1_11target_archE950ELNS1_3gpuE13ELNS1_3repE0EEENS1_47radix_sort_onesweep_sort_config_static_selectorELNS0_4arch9wavefront6targetE1EEEvSG_
	.globl	_ZN7rocprim17ROCPRIM_400000_NS6detail17trampoline_kernelINS0_14default_configENS1_35radix_sort_onesweep_config_selectorIilEEZZNS1_29radix_sort_onesweep_iterationIS3_Lb0EPiS7_N6thrust23THRUST_200600_302600_NS10device_ptrIlEESB_jNS0_19identity_decomposerENS1_16block_id_wrapperIjLb1EEEEE10hipError_tT1_PNSt15iterator_traitsISG_E10value_typeET2_T3_PNSH_ISM_E10value_typeET4_T5_PSR_SS_PNS1_23onesweep_lookback_stateEbbT6_jjT7_P12ihipStream_tbENKUlT_T0_SG_SL_E_clIS7_S7_SB_SB_EEDaSZ_S10_SG_SL_EUlSZ_E_NS1_11comp_targetILNS1_3genE6ELNS1_11target_archE950ELNS1_3gpuE13ELNS1_3repE0EEENS1_47radix_sort_onesweep_sort_config_static_selectorELNS0_4arch9wavefront6targetE1EEEvSG_
	.p2align	8
	.type	_ZN7rocprim17ROCPRIM_400000_NS6detail17trampoline_kernelINS0_14default_configENS1_35radix_sort_onesweep_config_selectorIilEEZZNS1_29radix_sort_onesweep_iterationIS3_Lb0EPiS7_N6thrust23THRUST_200600_302600_NS10device_ptrIlEESB_jNS0_19identity_decomposerENS1_16block_id_wrapperIjLb1EEEEE10hipError_tT1_PNSt15iterator_traitsISG_E10value_typeET2_T3_PNSH_ISM_E10value_typeET4_T5_PSR_SS_PNS1_23onesweep_lookback_stateEbbT6_jjT7_P12ihipStream_tbENKUlT_T0_SG_SL_E_clIS7_S7_SB_SB_EEDaSZ_S10_SG_SL_EUlSZ_E_NS1_11comp_targetILNS1_3genE6ELNS1_11target_archE950ELNS1_3gpuE13ELNS1_3repE0EEENS1_47radix_sort_onesweep_sort_config_static_selectorELNS0_4arch9wavefront6targetE1EEEvSG_,@function
_ZN7rocprim17ROCPRIM_400000_NS6detail17trampoline_kernelINS0_14default_configENS1_35radix_sort_onesweep_config_selectorIilEEZZNS1_29radix_sort_onesweep_iterationIS3_Lb0EPiS7_N6thrust23THRUST_200600_302600_NS10device_ptrIlEESB_jNS0_19identity_decomposerENS1_16block_id_wrapperIjLb1EEEEE10hipError_tT1_PNSt15iterator_traitsISG_E10value_typeET2_T3_PNSH_ISM_E10value_typeET4_T5_PSR_SS_PNS1_23onesweep_lookback_stateEbbT6_jjT7_P12ihipStream_tbENKUlT_T0_SG_SL_E_clIS7_S7_SB_SB_EEDaSZ_S10_SG_SL_EUlSZ_E_NS1_11comp_targetILNS1_3genE6ELNS1_11target_archE950ELNS1_3gpuE13ELNS1_3repE0EEENS1_47radix_sort_onesweep_sort_config_static_selectorELNS0_4arch9wavefront6targetE1EEEvSG_: ; @_ZN7rocprim17ROCPRIM_400000_NS6detail17trampoline_kernelINS0_14default_configENS1_35radix_sort_onesweep_config_selectorIilEEZZNS1_29radix_sort_onesweep_iterationIS3_Lb0EPiS7_N6thrust23THRUST_200600_302600_NS10device_ptrIlEESB_jNS0_19identity_decomposerENS1_16block_id_wrapperIjLb1EEEEE10hipError_tT1_PNSt15iterator_traitsISG_E10value_typeET2_T3_PNSH_ISM_E10value_typeET4_T5_PSR_SS_PNS1_23onesweep_lookback_stateEbbT6_jjT7_P12ihipStream_tbENKUlT_T0_SG_SL_E_clIS7_S7_SB_SB_EEDaSZ_S10_SG_SL_EUlSZ_E_NS1_11comp_targetILNS1_3genE6ELNS1_11target_archE950ELNS1_3gpuE13ELNS1_3repE0EEENS1_47radix_sort_onesweep_sort_config_static_selectorELNS0_4arch9wavefront6targetE1EEEvSG_
; %bb.0:
	.section	.rodata,"a",@progbits
	.p2align	6, 0x0
	.amdhsa_kernel _ZN7rocprim17ROCPRIM_400000_NS6detail17trampoline_kernelINS0_14default_configENS1_35radix_sort_onesweep_config_selectorIilEEZZNS1_29radix_sort_onesweep_iterationIS3_Lb0EPiS7_N6thrust23THRUST_200600_302600_NS10device_ptrIlEESB_jNS0_19identity_decomposerENS1_16block_id_wrapperIjLb1EEEEE10hipError_tT1_PNSt15iterator_traitsISG_E10value_typeET2_T3_PNSH_ISM_E10value_typeET4_T5_PSR_SS_PNS1_23onesweep_lookback_stateEbbT6_jjT7_P12ihipStream_tbENKUlT_T0_SG_SL_E_clIS7_S7_SB_SB_EEDaSZ_S10_SG_SL_EUlSZ_E_NS1_11comp_targetILNS1_3genE6ELNS1_11target_archE950ELNS1_3gpuE13ELNS1_3repE0EEENS1_47radix_sort_onesweep_sort_config_static_selectorELNS0_4arch9wavefront6targetE1EEEvSG_
		.amdhsa_group_segment_fixed_size 0
		.amdhsa_private_segment_fixed_size 0
		.amdhsa_kernarg_size 88
		.amdhsa_user_sgpr_count 6
		.amdhsa_user_sgpr_private_segment_buffer 1
		.amdhsa_user_sgpr_dispatch_ptr 0
		.amdhsa_user_sgpr_queue_ptr 0
		.amdhsa_user_sgpr_kernarg_segment_ptr 1
		.amdhsa_user_sgpr_dispatch_id 0
		.amdhsa_user_sgpr_flat_scratch_init 0
		.amdhsa_user_sgpr_kernarg_preload_length 0
		.amdhsa_user_sgpr_kernarg_preload_offset 0
		.amdhsa_user_sgpr_private_segment_size 0
		.amdhsa_uses_dynamic_stack 0
		.amdhsa_system_sgpr_private_segment_wavefront_offset 0
		.amdhsa_system_sgpr_workgroup_id_x 1
		.amdhsa_system_sgpr_workgroup_id_y 0
		.amdhsa_system_sgpr_workgroup_id_z 0
		.amdhsa_system_sgpr_workgroup_info 0
		.amdhsa_system_vgpr_workitem_id 0
		.amdhsa_next_free_vgpr 1
		.amdhsa_next_free_sgpr 0
		.amdhsa_accum_offset 4
		.amdhsa_reserve_vcc 0
		.amdhsa_reserve_flat_scratch 0
		.amdhsa_float_round_mode_32 0
		.amdhsa_float_round_mode_16_64 0
		.amdhsa_float_denorm_mode_32 3
		.amdhsa_float_denorm_mode_16_64 3
		.amdhsa_dx10_clamp 1
		.amdhsa_ieee_mode 1
		.amdhsa_fp16_overflow 0
		.amdhsa_tg_split 0
		.amdhsa_exception_fp_ieee_invalid_op 0
		.amdhsa_exception_fp_denorm_src 0
		.amdhsa_exception_fp_ieee_div_zero 0
		.amdhsa_exception_fp_ieee_overflow 0
		.amdhsa_exception_fp_ieee_underflow 0
		.amdhsa_exception_fp_ieee_inexact 0
		.amdhsa_exception_int_div_zero 0
	.end_amdhsa_kernel
	.section	.text._ZN7rocprim17ROCPRIM_400000_NS6detail17trampoline_kernelINS0_14default_configENS1_35radix_sort_onesweep_config_selectorIilEEZZNS1_29radix_sort_onesweep_iterationIS3_Lb0EPiS7_N6thrust23THRUST_200600_302600_NS10device_ptrIlEESB_jNS0_19identity_decomposerENS1_16block_id_wrapperIjLb1EEEEE10hipError_tT1_PNSt15iterator_traitsISG_E10value_typeET2_T3_PNSH_ISM_E10value_typeET4_T5_PSR_SS_PNS1_23onesweep_lookback_stateEbbT6_jjT7_P12ihipStream_tbENKUlT_T0_SG_SL_E_clIS7_S7_SB_SB_EEDaSZ_S10_SG_SL_EUlSZ_E_NS1_11comp_targetILNS1_3genE6ELNS1_11target_archE950ELNS1_3gpuE13ELNS1_3repE0EEENS1_47radix_sort_onesweep_sort_config_static_selectorELNS0_4arch9wavefront6targetE1EEEvSG_,"axG",@progbits,_ZN7rocprim17ROCPRIM_400000_NS6detail17trampoline_kernelINS0_14default_configENS1_35radix_sort_onesweep_config_selectorIilEEZZNS1_29radix_sort_onesweep_iterationIS3_Lb0EPiS7_N6thrust23THRUST_200600_302600_NS10device_ptrIlEESB_jNS0_19identity_decomposerENS1_16block_id_wrapperIjLb1EEEEE10hipError_tT1_PNSt15iterator_traitsISG_E10value_typeET2_T3_PNSH_ISM_E10value_typeET4_T5_PSR_SS_PNS1_23onesweep_lookback_stateEbbT6_jjT7_P12ihipStream_tbENKUlT_T0_SG_SL_E_clIS7_S7_SB_SB_EEDaSZ_S10_SG_SL_EUlSZ_E_NS1_11comp_targetILNS1_3genE6ELNS1_11target_archE950ELNS1_3gpuE13ELNS1_3repE0EEENS1_47radix_sort_onesweep_sort_config_static_selectorELNS0_4arch9wavefront6targetE1EEEvSG_,comdat
.Lfunc_end867:
	.size	_ZN7rocprim17ROCPRIM_400000_NS6detail17trampoline_kernelINS0_14default_configENS1_35radix_sort_onesweep_config_selectorIilEEZZNS1_29radix_sort_onesweep_iterationIS3_Lb0EPiS7_N6thrust23THRUST_200600_302600_NS10device_ptrIlEESB_jNS0_19identity_decomposerENS1_16block_id_wrapperIjLb1EEEEE10hipError_tT1_PNSt15iterator_traitsISG_E10value_typeET2_T3_PNSH_ISM_E10value_typeET4_T5_PSR_SS_PNS1_23onesweep_lookback_stateEbbT6_jjT7_P12ihipStream_tbENKUlT_T0_SG_SL_E_clIS7_S7_SB_SB_EEDaSZ_S10_SG_SL_EUlSZ_E_NS1_11comp_targetILNS1_3genE6ELNS1_11target_archE950ELNS1_3gpuE13ELNS1_3repE0EEENS1_47radix_sort_onesweep_sort_config_static_selectorELNS0_4arch9wavefront6targetE1EEEvSG_, .Lfunc_end867-_ZN7rocprim17ROCPRIM_400000_NS6detail17trampoline_kernelINS0_14default_configENS1_35radix_sort_onesweep_config_selectorIilEEZZNS1_29radix_sort_onesweep_iterationIS3_Lb0EPiS7_N6thrust23THRUST_200600_302600_NS10device_ptrIlEESB_jNS0_19identity_decomposerENS1_16block_id_wrapperIjLb1EEEEE10hipError_tT1_PNSt15iterator_traitsISG_E10value_typeET2_T3_PNSH_ISM_E10value_typeET4_T5_PSR_SS_PNS1_23onesweep_lookback_stateEbbT6_jjT7_P12ihipStream_tbENKUlT_T0_SG_SL_E_clIS7_S7_SB_SB_EEDaSZ_S10_SG_SL_EUlSZ_E_NS1_11comp_targetILNS1_3genE6ELNS1_11target_archE950ELNS1_3gpuE13ELNS1_3repE0EEENS1_47radix_sort_onesweep_sort_config_static_selectorELNS0_4arch9wavefront6targetE1EEEvSG_
                                        ; -- End function
	.section	.AMDGPU.csdata,"",@progbits
; Kernel info:
; codeLenInByte = 0
; NumSgprs: 4
; NumVgprs: 0
; NumAgprs: 0
; TotalNumVgprs: 0
; ScratchSize: 0
; MemoryBound: 0
; FloatMode: 240
; IeeeMode: 1
; LDSByteSize: 0 bytes/workgroup (compile time only)
; SGPRBlocks: 0
; VGPRBlocks: 0
; NumSGPRsForWavesPerEU: 4
; NumVGPRsForWavesPerEU: 1
; AccumOffset: 4
; Occupancy: 8
; WaveLimiterHint : 0
; COMPUTE_PGM_RSRC2:SCRATCH_EN: 0
; COMPUTE_PGM_RSRC2:USER_SGPR: 6
; COMPUTE_PGM_RSRC2:TRAP_HANDLER: 0
; COMPUTE_PGM_RSRC2:TGID_X_EN: 1
; COMPUTE_PGM_RSRC2:TGID_Y_EN: 0
; COMPUTE_PGM_RSRC2:TGID_Z_EN: 0
; COMPUTE_PGM_RSRC2:TIDIG_COMP_CNT: 0
; COMPUTE_PGM_RSRC3_GFX90A:ACCUM_OFFSET: 0
; COMPUTE_PGM_RSRC3_GFX90A:TG_SPLIT: 0
	.section	.text._ZN7rocprim17ROCPRIM_400000_NS6detail17trampoline_kernelINS0_14default_configENS1_35radix_sort_onesweep_config_selectorIilEEZZNS1_29radix_sort_onesweep_iterationIS3_Lb0EPiS7_N6thrust23THRUST_200600_302600_NS10device_ptrIlEESB_jNS0_19identity_decomposerENS1_16block_id_wrapperIjLb1EEEEE10hipError_tT1_PNSt15iterator_traitsISG_E10value_typeET2_T3_PNSH_ISM_E10value_typeET4_T5_PSR_SS_PNS1_23onesweep_lookback_stateEbbT6_jjT7_P12ihipStream_tbENKUlT_T0_SG_SL_E_clIS7_S7_SB_SB_EEDaSZ_S10_SG_SL_EUlSZ_E_NS1_11comp_targetILNS1_3genE5ELNS1_11target_archE942ELNS1_3gpuE9ELNS1_3repE0EEENS1_47radix_sort_onesweep_sort_config_static_selectorELNS0_4arch9wavefront6targetE1EEEvSG_,"axG",@progbits,_ZN7rocprim17ROCPRIM_400000_NS6detail17trampoline_kernelINS0_14default_configENS1_35radix_sort_onesweep_config_selectorIilEEZZNS1_29radix_sort_onesweep_iterationIS3_Lb0EPiS7_N6thrust23THRUST_200600_302600_NS10device_ptrIlEESB_jNS0_19identity_decomposerENS1_16block_id_wrapperIjLb1EEEEE10hipError_tT1_PNSt15iterator_traitsISG_E10value_typeET2_T3_PNSH_ISM_E10value_typeET4_T5_PSR_SS_PNS1_23onesweep_lookback_stateEbbT6_jjT7_P12ihipStream_tbENKUlT_T0_SG_SL_E_clIS7_S7_SB_SB_EEDaSZ_S10_SG_SL_EUlSZ_E_NS1_11comp_targetILNS1_3genE5ELNS1_11target_archE942ELNS1_3gpuE9ELNS1_3repE0EEENS1_47radix_sort_onesweep_sort_config_static_selectorELNS0_4arch9wavefront6targetE1EEEvSG_,comdat
	.protected	_ZN7rocprim17ROCPRIM_400000_NS6detail17trampoline_kernelINS0_14default_configENS1_35radix_sort_onesweep_config_selectorIilEEZZNS1_29radix_sort_onesweep_iterationIS3_Lb0EPiS7_N6thrust23THRUST_200600_302600_NS10device_ptrIlEESB_jNS0_19identity_decomposerENS1_16block_id_wrapperIjLb1EEEEE10hipError_tT1_PNSt15iterator_traitsISG_E10value_typeET2_T3_PNSH_ISM_E10value_typeET4_T5_PSR_SS_PNS1_23onesweep_lookback_stateEbbT6_jjT7_P12ihipStream_tbENKUlT_T0_SG_SL_E_clIS7_S7_SB_SB_EEDaSZ_S10_SG_SL_EUlSZ_E_NS1_11comp_targetILNS1_3genE5ELNS1_11target_archE942ELNS1_3gpuE9ELNS1_3repE0EEENS1_47radix_sort_onesweep_sort_config_static_selectorELNS0_4arch9wavefront6targetE1EEEvSG_ ; -- Begin function _ZN7rocprim17ROCPRIM_400000_NS6detail17trampoline_kernelINS0_14default_configENS1_35radix_sort_onesweep_config_selectorIilEEZZNS1_29radix_sort_onesweep_iterationIS3_Lb0EPiS7_N6thrust23THRUST_200600_302600_NS10device_ptrIlEESB_jNS0_19identity_decomposerENS1_16block_id_wrapperIjLb1EEEEE10hipError_tT1_PNSt15iterator_traitsISG_E10value_typeET2_T3_PNSH_ISM_E10value_typeET4_T5_PSR_SS_PNS1_23onesweep_lookback_stateEbbT6_jjT7_P12ihipStream_tbENKUlT_T0_SG_SL_E_clIS7_S7_SB_SB_EEDaSZ_S10_SG_SL_EUlSZ_E_NS1_11comp_targetILNS1_3genE5ELNS1_11target_archE942ELNS1_3gpuE9ELNS1_3repE0EEENS1_47radix_sort_onesweep_sort_config_static_selectorELNS0_4arch9wavefront6targetE1EEEvSG_
	.globl	_ZN7rocprim17ROCPRIM_400000_NS6detail17trampoline_kernelINS0_14default_configENS1_35radix_sort_onesweep_config_selectorIilEEZZNS1_29radix_sort_onesweep_iterationIS3_Lb0EPiS7_N6thrust23THRUST_200600_302600_NS10device_ptrIlEESB_jNS0_19identity_decomposerENS1_16block_id_wrapperIjLb1EEEEE10hipError_tT1_PNSt15iterator_traitsISG_E10value_typeET2_T3_PNSH_ISM_E10value_typeET4_T5_PSR_SS_PNS1_23onesweep_lookback_stateEbbT6_jjT7_P12ihipStream_tbENKUlT_T0_SG_SL_E_clIS7_S7_SB_SB_EEDaSZ_S10_SG_SL_EUlSZ_E_NS1_11comp_targetILNS1_3genE5ELNS1_11target_archE942ELNS1_3gpuE9ELNS1_3repE0EEENS1_47radix_sort_onesweep_sort_config_static_selectorELNS0_4arch9wavefront6targetE1EEEvSG_
	.p2align	8
	.type	_ZN7rocprim17ROCPRIM_400000_NS6detail17trampoline_kernelINS0_14default_configENS1_35radix_sort_onesweep_config_selectorIilEEZZNS1_29radix_sort_onesweep_iterationIS3_Lb0EPiS7_N6thrust23THRUST_200600_302600_NS10device_ptrIlEESB_jNS0_19identity_decomposerENS1_16block_id_wrapperIjLb1EEEEE10hipError_tT1_PNSt15iterator_traitsISG_E10value_typeET2_T3_PNSH_ISM_E10value_typeET4_T5_PSR_SS_PNS1_23onesweep_lookback_stateEbbT6_jjT7_P12ihipStream_tbENKUlT_T0_SG_SL_E_clIS7_S7_SB_SB_EEDaSZ_S10_SG_SL_EUlSZ_E_NS1_11comp_targetILNS1_3genE5ELNS1_11target_archE942ELNS1_3gpuE9ELNS1_3repE0EEENS1_47radix_sort_onesweep_sort_config_static_selectorELNS0_4arch9wavefront6targetE1EEEvSG_,@function
_ZN7rocprim17ROCPRIM_400000_NS6detail17trampoline_kernelINS0_14default_configENS1_35radix_sort_onesweep_config_selectorIilEEZZNS1_29radix_sort_onesweep_iterationIS3_Lb0EPiS7_N6thrust23THRUST_200600_302600_NS10device_ptrIlEESB_jNS0_19identity_decomposerENS1_16block_id_wrapperIjLb1EEEEE10hipError_tT1_PNSt15iterator_traitsISG_E10value_typeET2_T3_PNSH_ISM_E10value_typeET4_T5_PSR_SS_PNS1_23onesweep_lookback_stateEbbT6_jjT7_P12ihipStream_tbENKUlT_T0_SG_SL_E_clIS7_S7_SB_SB_EEDaSZ_S10_SG_SL_EUlSZ_E_NS1_11comp_targetILNS1_3genE5ELNS1_11target_archE942ELNS1_3gpuE9ELNS1_3repE0EEENS1_47radix_sort_onesweep_sort_config_static_selectorELNS0_4arch9wavefront6targetE1EEEvSG_: ; @_ZN7rocprim17ROCPRIM_400000_NS6detail17trampoline_kernelINS0_14default_configENS1_35radix_sort_onesweep_config_selectorIilEEZZNS1_29radix_sort_onesweep_iterationIS3_Lb0EPiS7_N6thrust23THRUST_200600_302600_NS10device_ptrIlEESB_jNS0_19identity_decomposerENS1_16block_id_wrapperIjLb1EEEEE10hipError_tT1_PNSt15iterator_traitsISG_E10value_typeET2_T3_PNSH_ISM_E10value_typeET4_T5_PSR_SS_PNS1_23onesweep_lookback_stateEbbT6_jjT7_P12ihipStream_tbENKUlT_T0_SG_SL_E_clIS7_S7_SB_SB_EEDaSZ_S10_SG_SL_EUlSZ_E_NS1_11comp_targetILNS1_3genE5ELNS1_11target_archE942ELNS1_3gpuE9ELNS1_3repE0EEENS1_47radix_sort_onesweep_sort_config_static_selectorELNS0_4arch9wavefront6targetE1EEEvSG_
; %bb.0:
	.section	.rodata,"a",@progbits
	.p2align	6, 0x0
	.amdhsa_kernel _ZN7rocprim17ROCPRIM_400000_NS6detail17trampoline_kernelINS0_14default_configENS1_35radix_sort_onesweep_config_selectorIilEEZZNS1_29radix_sort_onesweep_iterationIS3_Lb0EPiS7_N6thrust23THRUST_200600_302600_NS10device_ptrIlEESB_jNS0_19identity_decomposerENS1_16block_id_wrapperIjLb1EEEEE10hipError_tT1_PNSt15iterator_traitsISG_E10value_typeET2_T3_PNSH_ISM_E10value_typeET4_T5_PSR_SS_PNS1_23onesweep_lookback_stateEbbT6_jjT7_P12ihipStream_tbENKUlT_T0_SG_SL_E_clIS7_S7_SB_SB_EEDaSZ_S10_SG_SL_EUlSZ_E_NS1_11comp_targetILNS1_3genE5ELNS1_11target_archE942ELNS1_3gpuE9ELNS1_3repE0EEENS1_47radix_sort_onesweep_sort_config_static_selectorELNS0_4arch9wavefront6targetE1EEEvSG_
		.amdhsa_group_segment_fixed_size 0
		.amdhsa_private_segment_fixed_size 0
		.amdhsa_kernarg_size 88
		.amdhsa_user_sgpr_count 6
		.amdhsa_user_sgpr_private_segment_buffer 1
		.amdhsa_user_sgpr_dispatch_ptr 0
		.amdhsa_user_sgpr_queue_ptr 0
		.amdhsa_user_sgpr_kernarg_segment_ptr 1
		.amdhsa_user_sgpr_dispatch_id 0
		.amdhsa_user_sgpr_flat_scratch_init 0
		.amdhsa_user_sgpr_kernarg_preload_length 0
		.amdhsa_user_sgpr_kernarg_preload_offset 0
		.amdhsa_user_sgpr_private_segment_size 0
		.amdhsa_uses_dynamic_stack 0
		.amdhsa_system_sgpr_private_segment_wavefront_offset 0
		.amdhsa_system_sgpr_workgroup_id_x 1
		.amdhsa_system_sgpr_workgroup_id_y 0
		.amdhsa_system_sgpr_workgroup_id_z 0
		.amdhsa_system_sgpr_workgroup_info 0
		.amdhsa_system_vgpr_workitem_id 0
		.amdhsa_next_free_vgpr 1
		.amdhsa_next_free_sgpr 0
		.amdhsa_accum_offset 4
		.amdhsa_reserve_vcc 0
		.amdhsa_reserve_flat_scratch 0
		.amdhsa_float_round_mode_32 0
		.amdhsa_float_round_mode_16_64 0
		.amdhsa_float_denorm_mode_32 3
		.amdhsa_float_denorm_mode_16_64 3
		.amdhsa_dx10_clamp 1
		.amdhsa_ieee_mode 1
		.amdhsa_fp16_overflow 0
		.amdhsa_tg_split 0
		.amdhsa_exception_fp_ieee_invalid_op 0
		.amdhsa_exception_fp_denorm_src 0
		.amdhsa_exception_fp_ieee_div_zero 0
		.amdhsa_exception_fp_ieee_overflow 0
		.amdhsa_exception_fp_ieee_underflow 0
		.amdhsa_exception_fp_ieee_inexact 0
		.amdhsa_exception_int_div_zero 0
	.end_amdhsa_kernel
	.section	.text._ZN7rocprim17ROCPRIM_400000_NS6detail17trampoline_kernelINS0_14default_configENS1_35radix_sort_onesweep_config_selectorIilEEZZNS1_29radix_sort_onesweep_iterationIS3_Lb0EPiS7_N6thrust23THRUST_200600_302600_NS10device_ptrIlEESB_jNS0_19identity_decomposerENS1_16block_id_wrapperIjLb1EEEEE10hipError_tT1_PNSt15iterator_traitsISG_E10value_typeET2_T3_PNSH_ISM_E10value_typeET4_T5_PSR_SS_PNS1_23onesweep_lookback_stateEbbT6_jjT7_P12ihipStream_tbENKUlT_T0_SG_SL_E_clIS7_S7_SB_SB_EEDaSZ_S10_SG_SL_EUlSZ_E_NS1_11comp_targetILNS1_3genE5ELNS1_11target_archE942ELNS1_3gpuE9ELNS1_3repE0EEENS1_47radix_sort_onesweep_sort_config_static_selectorELNS0_4arch9wavefront6targetE1EEEvSG_,"axG",@progbits,_ZN7rocprim17ROCPRIM_400000_NS6detail17trampoline_kernelINS0_14default_configENS1_35radix_sort_onesweep_config_selectorIilEEZZNS1_29radix_sort_onesweep_iterationIS3_Lb0EPiS7_N6thrust23THRUST_200600_302600_NS10device_ptrIlEESB_jNS0_19identity_decomposerENS1_16block_id_wrapperIjLb1EEEEE10hipError_tT1_PNSt15iterator_traitsISG_E10value_typeET2_T3_PNSH_ISM_E10value_typeET4_T5_PSR_SS_PNS1_23onesweep_lookback_stateEbbT6_jjT7_P12ihipStream_tbENKUlT_T0_SG_SL_E_clIS7_S7_SB_SB_EEDaSZ_S10_SG_SL_EUlSZ_E_NS1_11comp_targetILNS1_3genE5ELNS1_11target_archE942ELNS1_3gpuE9ELNS1_3repE0EEENS1_47radix_sort_onesweep_sort_config_static_selectorELNS0_4arch9wavefront6targetE1EEEvSG_,comdat
.Lfunc_end868:
	.size	_ZN7rocprim17ROCPRIM_400000_NS6detail17trampoline_kernelINS0_14default_configENS1_35radix_sort_onesweep_config_selectorIilEEZZNS1_29radix_sort_onesweep_iterationIS3_Lb0EPiS7_N6thrust23THRUST_200600_302600_NS10device_ptrIlEESB_jNS0_19identity_decomposerENS1_16block_id_wrapperIjLb1EEEEE10hipError_tT1_PNSt15iterator_traitsISG_E10value_typeET2_T3_PNSH_ISM_E10value_typeET4_T5_PSR_SS_PNS1_23onesweep_lookback_stateEbbT6_jjT7_P12ihipStream_tbENKUlT_T0_SG_SL_E_clIS7_S7_SB_SB_EEDaSZ_S10_SG_SL_EUlSZ_E_NS1_11comp_targetILNS1_3genE5ELNS1_11target_archE942ELNS1_3gpuE9ELNS1_3repE0EEENS1_47radix_sort_onesweep_sort_config_static_selectorELNS0_4arch9wavefront6targetE1EEEvSG_, .Lfunc_end868-_ZN7rocprim17ROCPRIM_400000_NS6detail17trampoline_kernelINS0_14default_configENS1_35radix_sort_onesweep_config_selectorIilEEZZNS1_29radix_sort_onesweep_iterationIS3_Lb0EPiS7_N6thrust23THRUST_200600_302600_NS10device_ptrIlEESB_jNS0_19identity_decomposerENS1_16block_id_wrapperIjLb1EEEEE10hipError_tT1_PNSt15iterator_traitsISG_E10value_typeET2_T3_PNSH_ISM_E10value_typeET4_T5_PSR_SS_PNS1_23onesweep_lookback_stateEbbT6_jjT7_P12ihipStream_tbENKUlT_T0_SG_SL_E_clIS7_S7_SB_SB_EEDaSZ_S10_SG_SL_EUlSZ_E_NS1_11comp_targetILNS1_3genE5ELNS1_11target_archE942ELNS1_3gpuE9ELNS1_3repE0EEENS1_47radix_sort_onesweep_sort_config_static_selectorELNS0_4arch9wavefront6targetE1EEEvSG_
                                        ; -- End function
	.section	.AMDGPU.csdata,"",@progbits
; Kernel info:
; codeLenInByte = 0
; NumSgprs: 4
; NumVgprs: 0
; NumAgprs: 0
; TotalNumVgprs: 0
; ScratchSize: 0
; MemoryBound: 0
; FloatMode: 240
; IeeeMode: 1
; LDSByteSize: 0 bytes/workgroup (compile time only)
; SGPRBlocks: 0
; VGPRBlocks: 0
; NumSGPRsForWavesPerEU: 4
; NumVGPRsForWavesPerEU: 1
; AccumOffset: 4
; Occupancy: 8
; WaveLimiterHint : 0
; COMPUTE_PGM_RSRC2:SCRATCH_EN: 0
; COMPUTE_PGM_RSRC2:USER_SGPR: 6
; COMPUTE_PGM_RSRC2:TRAP_HANDLER: 0
; COMPUTE_PGM_RSRC2:TGID_X_EN: 1
; COMPUTE_PGM_RSRC2:TGID_Y_EN: 0
; COMPUTE_PGM_RSRC2:TGID_Z_EN: 0
; COMPUTE_PGM_RSRC2:TIDIG_COMP_CNT: 0
; COMPUTE_PGM_RSRC3_GFX90A:ACCUM_OFFSET: 0
; COMPUTE_PGM_RSRC3_GFX90A:TG_SPLIT: 0
	.section	.text._ZN7rocprim17ROCPRIM_400000_NS6detail17trampoline_kernelINS0_14default_configENS1_35radix_sort_onesweep_config_selectorIilEEZZNS1_29radix_sort_onesweep_iterationIS3_Lb0EPiS7_N6thrust23THRUST_200600_302600_NS10device_ptrIlEESB_jNS0_19identity_decomposerENS1_16block_id_wrapperIjLb1EEEEE10hipError_tT1_PNSt15iterator_traitsISG_E10value_typeET2_T3_PNSH_ISM_E10value_typeET4_T5_PSR_SS_PNS1_23onesweep_lookback_stateEbbT6_jjT7_P12ihipStream_tbENKUlT_T0_SG_SL_E_clIS7_S7_SB_SB_EEDaSZ_S10_SG_SL_EUlSZ_E_NS1_11comp_targetILNS1_3genE2ELNS1_11target_archE906ELNS1_3gpuE6ELNS1_3repE0EEENS1_47radix_sort_onesweep_sort_config_static_selectorELNS0_4arch9wavefront6targetE1EEEvSG_,"axG",@progbits,_ZN7rocprim17ROCPRIM_400000_NS6detail17trampoline_kernelINS0_14default_configENS1_35radix_sort_onesweep_config_selectorIilEEZZNS1_29radix_sort_onesweep_iterationIS3_Lb0EPiS7_N6thrust23THRUST_200600_302600_NS10device_ptrIlEESB_jNS0_19identity_decomposerENS1_16block_id_wrapperIjLb1EEEEE10hipError_tT1_PNSt15iterator_traitsISG_E10value_typeET2_T3_PNSH_ISM_E10value_typeET4_T5_PSR_SS_PNS1_23onesweep_lookback_stateEbbT6_jjT7_P12ihipStream_tbENKUlT_T0_SG_SL_E_clIS7_S7_SB_SB_EEDaSZ_S10_SG_SL_EUlSZ_E_NS1_11comp_targetILNS1_3genE2ELNS1_11target_archE906ELNS1_3gpuE6ELNS1_3repE0EEENS1_47radix_sort_onesweep_sort_config_static_selectorELNS0_4arch9wavefront6targetE1EEEvSG_,comdat
	.protected	_ZN7rocprim17ROCPRIM_400000_NS6detail17trampoline_kernelINS0_14default_configENS1_35radix_sort_onesweep_config_selectorIilEEZZNS1_29radix_sort_onesweep_iterationIS3_Lb0EPiS7_N6thrust23THRUST_200600_302600_NS10device_ptrIlEESB_jNS0_19identity_decomposerENS1_16block_id_wrapperIjLb1EEEEE10hipError_tT1_PNSt15iterator_traitsISG_E10value_typeET2_T3_PNSH_ISM_E10value_typeET4_T5_PSR_SS_PNS1_23onesweep_lookback_stateEbbT6_jjT7_P12ihipStream_tbENKUlT_T0_SG_SL_E_clIS7_S7_SB_SB_EEDaSZ_S10_SG_SL_EUlSZ_E_NS1_11comp_targetILNS1_3genE2ELNS1_11target_archE906ELNS1_3gpuE6ELNS1_3repE0EEENS1_47radix_sort_onesweep_sort_config_static_selectorELNS0_4arch9wavefront6targetE1EEEvSG_ ; -- Begin function _ZN7rocprim17ROCPRIM_400000_NS6detail17trampoline_kernelINS0_14default_configENS1_35radix_sort_onesweep_config_selectorIilEEZZNS1_29radix_sort_onesweep_iterationIS3_Lb0EPiS7_N6thrust23THRUST_200600_302600_NS10device_ptrIlEESB_jNS0_19identity_decomposerENS1_16block_id_wrapperIjLb1EEEEE10hipError_tT1_PNSt15iterator_traitsISG_E10value_typeET2_T3_PNSH_ISM_E10value_typeET4_T5_PSR_SS_PNS1_23onesweep_lookback_stateEbbT6_jjT7_P12ihipStream_tbENKUlT_T0_SG_SL_E_clIS7_S7_SB_SB_EEDaSZ_S10_SG_SL_EUlSZ_E_NS1_11comp_targetILNS1_3genE2ELNS1_11target_archE906ELNS1_3gpuE6ELNS1_3repE0EEENS1_47radix_sort_onesweep_sort_config_static_selectorELNS0_4arch9wavefront6targetE1EEEvSG_
	.globl	_ZN7rocprim17ROCPRIM_400000_NS6detail17trampoline_kernelINS0_14default_configENS1_35radix_sort_onesweep_config_selectorIilEEZZNS1_29radix_sort_onesweep_iterationIS3_Lb0EPiS7_N6thrust23THRUST_200600_302600_NS10device_ptrIlEESB_jNS0_19identity_decomposerENS1_16block_id_wrapperIjLb1EEEEE10hipError_tT1_PNSt15iterator_traitsISG_E10value_typeET2_T3_PNSH_ISM_E10value_typeET4_T5_PSR_SS_PNS1_23onesweep_lookback_stateEbbT6_jjT7_P12ihipStream_tbENKUlT_T0_SG_SL_E_clIS7_S7_SB_SB_EEDaSZ_S10_SG_SL_EUlSZ_E_NS1_11comp_targetILNS1_3genE2ELNS1_11target_archE906ELNS1_3gpuE6ELNS1_3repE0EEENS1_47radix_sort_onesweep_sort_config_static_selectorELNS0_4arch9wavefront6targetE1EEEvSG_
	.p2align	8
	.type	_ZN7rocprim17ROCPRIM_400000_NS6detail17trampoline_kernelINS0_14default_configENS1_35radix_sort_onesweep_config_selectorIilEEZZNS1_29radix_sort_onesweep_iterationIS3_Lb0EPiS7_N6thrust23THRUST_200600_302600_NS10device_ptrIlEESB_jNS0_19identity_decomposerENS1_16block_id_wrapperIjLb1EEEEE10hipError_tT1_PNSt15iterator_traitsISG_E10value_typeET2_T3_PNSH_ISM_E10value_typeET4_T5_PSR_SS_PNS1_23onesweep_lookback_stateEbbT6_jjT7_P12ihipStream_tbENKUlT_T0_SG_SL_E_clIS7_S7_SB_SB_EEDaSZ_S10_SG_SL_EUlSZ_E_NS1_11comp_targetILNS1_3genE2ELNS1_11target_archE906ELNS1_3gpuE6ELNS1_3repE0EEENS1_47radix_sort_onesweep_sort_config_static_selectorELNS0_4arch9wavefront6targetE1EEEvSG_,@function
_ZN7rocprim17ROCPRIM_400000_NS6detail17trampoline_kernelINS0_14default_configENS1_35radix_sort_onesweep_config_selectorIilEEZZNS1_29radix_sort_onesweep_iterationIS3_Lb0EPiS7_N6thrust23THRUST_200600_302600_NS10device_ptrIlEESB_jNS0_19identity_decomposerENS1_16block_id_wrapperIjLb1EEEEE10hipError_tT1_PNSt15iterator_traitsISG_E10value_typeET2_T3_PNSH_ISM_E10value_typeET4_T5_PSR_SS_PNS1_23onesweep_lookback_stateEbbT6_jjT7_P12ihipStream_tbENKUlT_T0_SG_SL_E_clIS7_S7_SB_SB_EEDaSZ_S10_SG_SL_EUlSZ_E_NS1_11comp_targetILNS1_3genE2ELNS1_11target_archE906ELNS1_3gpuE6ELNS1_3repE0EEENS1_47radix_sort_onesweep_sort_config_static_selectorELNS0_4arch9wavefront6targetE1EEEvSG_: ; @_ZN7rocprim17ROCPRIM_400000_NS6detail17trampoline_kernelINS0_14default_configENS1_35radix_sort_onesweep_config_selectorIilEEZZNS1_29radix_sort_onesweep_iterationIS3_Lb0EPiS7_N6thrust23THRUST_200600_302600_NS10device_ptrIlEESB_jNS0_19identity_decomposerENS1_16block_id_wrapperIjLb1EEEEE10hipError_tT1_PNSt15iterator_traitsISG_E10value_typeET2_T3_PNSH_ISM_E10value_typeET4_T5_PSR_SS_PNS1_23onesweep_lookback_stateEbbT6_jjT7_P12ihipStream_tbENKUlT_T0_SG_SL_E_clIS7_S7_SB_SB_EEDaSZ_S10_SG_SL_EUlSZ_E_NS1_11comp_targetILNS1_3genE2ELNS1_11target_archE906ELNS1_3gpuE6ELNS1_3repE0EEENS1_47radix_sort_onesweep_sort_config_static_selectorELNS0_4arch9wavefront6targetE1EEEvSG_
; %bb.0:
	.section	.rodata,"a",@progbits
	.p2align	6, 0x0
	.amdhsa_kernel _ZN7rocprim17ROCPRIM_400000_NS6detail17trampoline_kernelINS0_14default_configENS1_35radix_sort_onesweep_config_selectorIilEEZZNS1_29radix_sort_onesweep_iterationIS3_Lb0EPiS7_N6thrust23THRUST_200600_302600_NS10device_ptrIlEESB_jNS0_19identity_decomposerENS1_16block_id_wrapperIjLb1EEEEE10hipError_tT1_PNSt15iterator_traitsISG_E10value_typeET2_T3_PNSH_ISM_E10value_typeET4_T5_PSR_SS_PNS1_23onesweep_lookback_stateEbbT6_jjT7_P12ihipStream_tbENKUlT_T0_SG_SL_E_clIS7_S7_SB_SB_EEDaSZ_S10_SG_SL_EUlSZ_E_NS1_11comp_targetILNS1_3genE2ELNS1_11target_archE906ELNS1_3gpuE6ELNS1_3repE0EEENS1_47radix_sort_onesweep_sort_config_static_selectorELNS0_4arch9wavefront6targetE1EEEvSG_
		.amdhsa_group_segment_fixed_size 0
		.amdhsa_private_segment_fixed_size 0
		.amdhsa_kernarg_size 88
		.amdhsa_user_sgpr_count 6
		.amdhsa_user_sgpr_private_segment_buffer 1
		.amdhsa_user_sgpr_dispatch_ptr 0
		.amdhsa_user_sgpr_queue_ptr 0
		.amdhsa_user_sgpr_kernarg_segment_ptr 1
		.amdhsa_user_sgpr_dispatch_id 0
		.amdhsa_user_sgpr_flat_scratch_init 0
		.amdhsa_user_sgpr_kernarg_preload_length 0
		.amdhsa_user_sgpr_kernarg_preload_offset 0
		.amdhsa_user_sgpr_private_segment_size 0
		.amdhsa_uses_dynamic_stack 0
		.amdhsa_system_sgpr_private_segment_wavefront_offset 0
		.amdhsa_system_sgpr_workgroup_id_x 1
		.amdhsa_system_sgpr_workgroup_id_y 0
		.amdhsa_system_sgpr_workgroup_id_z 0
		.amdhsa_system_sgpr_workgroup_info 0
		.amdhsa_system_vgpr_workitem_id 0
		.amdhsa_next_free_vgpr 1
		.amdhsa_next_free_sgpr 0
		.amdhsa_accum_offset 4
		.amdhsa_reserve_vcc 0
		.amdhsa_reserve_flat_scratch 0
		.amdhsa_float_round_mode_32 0
		.amdhsa_float_round_mode_16_64 0
		.amdhsa_float_denorm_mode_32 3
		.amdhsa_float_denorm_mode_16_64 3
		.amdhsa_dx10_clamp 1
		.amdhsa_ieee_mode 1
		.amdhsa_fp16_overflow 0
		.amdhsa_tg_split 0
		.amdhsa_exception_fp_ieee_invalid_op 0
		.amdhsa_exception_fp_denorm_src 0
		.amdhsa_exception_fp_ieee_div_zero 0
		.amdhsa_exception_fp_ieee_overflow 0
		.amdhsa_exception_fp_ieee_underflow 0
		.amdhsa_exception_fp_ieee_inexact 0
		.amdhsa_exception_int_div_zero 0
	.end_amdhsa_kernel
	.section	.text._ZN7rocprim17ROCPRIM_400000_NS6detail17trampoline_kernelINS0_14default_configENS1_35radix_sort_onesweep_config_selectorIilEEZZNS1_29radix_sort_onesweep_iterationIS3_Lb0EPiS7_N6thrust23THRUST_200600_302600_NS10device_ptrIlEESB_jNS0_19identity_decomposerENS1_16block_id_wrapperIjLb1EEEEE10hipError_tT1_PNSt15iterator_traitsISG_E10value_typeET2_T3_PNSH_ISM_E10value_typeET4_T5_PSR_SS_PNS1_23onesweep_lookback_stateEbbT6_jjT7_P12ihipStream_tbENKUlT_T0_SG_SL_E_clIS7_S7_SB_SB_EEDaSZ_S10_SG_SL_EUlSZ_E_NS1_11comp_targetILNS1_3genE2ELNS1_11target_archE906ELNS1_3gpuE6ELNS1_3repE0EEENS1_47radix_sort_onesweep_sort_config_static_selectorELNS0_4arch9wavefront6targetE1EEEvSG_,"axG",@progbits,_ZN7rocprim17ROCPRIM_400000_NS6detail17trampoline_kernelINS0_14default_configENS1_35radix_sort_onesweep_config_selectorIilEEZZNS1_29radix_sort_onesweep_iterationIS3_Lb0EPiS7_N6thrust23THRUST_200600_302600_NS10device_ptrIlEESB_jNS0_19identity_decomposerENS1_16block_id_wrapperIjLb1EEEEE10hipError_tT1_PNSt15iterator_traitsISG_E10value_typeET2_T3_PNSH_ISM_E10value_typeET4_T5_PSR_SS_PNS1_23onesweep_lookback_stateEbbT6_jjT7_P12ihipStream_tbENKUlT_T0_SG_SL_E_clIS7_S7_SB_SB_EEDaSZ_S10_SG_SL_EUlSZ_E_NS1_11comp_targetILNS1_3genE2ELNS1_11target_archE906ELNS1_3gpuE6ELNS1_3repE0EEENS1_47radix_sort_onesweep_sort_config_static_selectorELNS0_4arch9wavefront6targetE1EEEvSG_,comdat
.Lfunc_end869:
	.size	_ZN7rocprim17ROCPRIM_400000_NS6detail17trampoline_kernelINS0_14default_configENS1_35radix_sort_onesweep_config_selectorIilEEZZNS1_29radix_sort_onesweep_iterationIS3_Lb0EPiS7_N6thrust23THRUST_200600_302600_NS10device_ptrIlEESB_jNS0_19identity_decomposerENS1_16block_id_wrapperIjLb1EEEEE10hipError_tT1_PNSt15iterator_traitsISG_E10value_typeET2_T3_PNSH_ISM_E10value_typeET4_T5_PSR_SS_PNS1_23onesweep_lookback_stateEbbT6_jjT7_P12ihipStream_tbENKUlT_T0_SG_SL_E_clIS7_S7_SB_SB_EEDaSZ_S10_SG_SL_EUlSZ_E_NS1_11comp_targetILNS1_3genE2ELNS1_11target_archE906ELNS1_3gpuE6ELNS1_3repE0EEENS1_47radix_sort_onesweep_sort_config_static_selectorELNS0_4arch9wavefront6targetE1EEEvSG_, .Lfunc_end869-_ZN7rocprim17ROCPRIM_400000_NS6detail17trampoline_kernelINS0_14default_configENS1_35radix_sort_onesweep_config_selectorIilEEZZNS1_29radix_sort_onesweep_iterationIS3_Lb0EPiS7_N6thrust23THRUST_200600_302600_NS10device_ptrIlEESB_jNS0_19identity_decomposerENS1_16block_id_wrapperIjLb1EEEEE10hipError_tT1_PNSt15iterator_traitsISG_E10value_typeET2_T3_PNSH_ISM_E10value_typeET4_T5_PSR_SS_PNS1_23onesweep_lookback_stateEbbT6_jjT7_P12ihipStream_tbENKUlT_T0_SG_SL_E_clIS7_S7_SB_SB_EEDaSZ_S10_SG_SL_EUlSZ_E_NS1_11comp_targetILNS1_3genE2ELNS1_11target_archE906ELNS1_3gpuE6ELNS1_3repE0EEENS1_47radix_sort_onesweep_sort_config_static_selectorELNS0_4arch9wavefront6targetE1EEEvSG_
                                        ; -- End function
	.section	.AMDGPU.csdata,"",@progbits
; Kernel info:
; codeLenInByte = 0
; NumSgprs: 4
; NumVgprs: 0
; NumAgprs: 0
; TotalNumVgprs: 0
; ScratchSize: 0
; MemoryBound: 0
; FloatMode: 240
; IeeeMode: 1
; LDSByteSize: 0 bytes/workgroup (compile time only)
; SGPRBlocks: 0
; VGPRBlocks: 0
; NumSGPRsForWavesPerEU: 4
; NumVGPRsForWavesPerEU: 1
; AccumOffset: 4
; Occupancy: 8
; WaveLimiterHint : 0
; COMPUTE_PGM_RSRC2:SCRATCH_EN: 0
; COMPUTE_PGM_RSRC2:USER_SGPR: 6
; COMPUTE_PGM_RSRC2:TRAP_HANDLER: 0
; COMPUTE_PGM_RSRC2:TGID_X_EN: 1
; COMPUTE_PGM_RSRC2:TGID_Y_EN: 0
; COMPUTE_PGM_RSRC2:TGID_Z_EN: 0
; COMPUTE_PGM_RSRC2:TIDIG_COMP_CNT: 0
; COMPUTE_PGM_RSRC3_GFX90A:ACCUM_OFFSET: 0
; COMPUTE_PGM_RSRC3_GFX90A:TG_SPLIT: 0
	.section	.text._ZN7rocprim17ROCPRIM_400000_NS6detail17trampoline_kernelINS0_14default_configENS1_35radix_sort_onesweep_config_selectorIilEEZZNS1_29radix_sort_onesweep_iterationIS3_Lb0EPiS7_N6thrust23THRUST_200600_302600_NS10device_ptrIlEESB_jNS0_19identity_decomposerENS1_16block_id_wrapperIjLb1EEEEE10hipError_tT1_PNSt15iterator_traitsISG_E10value_typeET2_T3_PNSH_ISM_E10value_typeET4_T5_PSR_SS_PNS1_23onesweep_lookback_stateEbbT6_jjT7_P12ihipStream_tbENKUlT_T0_SG_SL_E_clIS7_S7_SB_SB_EEDaSZ_S10_SG_SL_EUlSZ_E_NS1_11comp_targetILNS1_3genE4ELNS1_11target_archE910ELNS1_3gpuE8ELNS1_3repE0EEENS1_47radix_sort_onesweep_sort_config_static_selectorELNS0_4arch9wavefront6targetE1EEEvSG_,"axG",@progbits,_ZN7rocprim17ROCPRIM_400000_NS6detail17trampoline_kernelINS0_14default_configENS1_35radix_sort_onesweep_config_selectorIilEEZZNS1_29radix_sort_onesweep_iterationIS3_Lb0EPiS7_N6thrust23THRUST_200600_302600_NS10device_ptrIlEESB_jNS0_19identity_decomposerENS1_16block_id_wrapperIjLb1EEEEE10hipError_tT1_PNSt15iterator_traitsISG_E10value_typeET2_T3_PNSH_ISM_E10value_typeET4_T5_PSR_SS_PNS1_23onesweep_lookback_stateEbbT6_jjT7_P12ihipStream_tbENKUlT_T0_SG_SL_E_clIS7_S7_SB_SB_EEDaSZ_S10_SG_SL_EUlSZ_E_NS1_11comp_targetILNS1_3genE4ELNS1_11target_archE910ELNS1_3gpuE8ELNS1_3repE0EEENS1_47radix_sort_onesweep_sort_config_static_selectorELNS0_4arch9wavefront6targetE1EEEvSG_,comdat
	.protected	_ZN7rocprim17ROCPRIM_400000_NS6detail17trampoline_kernelINS0_14default_configENS1_35radix_sort_onesweep_config_selectorIilEEZZNS1_29radix_sort_onesweep_iterationIS3_Lb0EPiS7_N6thrust23THRUST_200600_302600_NS10device_ptrIlEESB_jNS0_19identity_decomposerENS1_16block_id_wrapperIjLb1EEEEE10hipError_tT1_PNSt15iterator_traitsISG_E10value_typeET2_T3_PNSH_ISM_E10value_typeET4_T5_PSR_SS_PNS1_23onesweep_lookback_stateEbbT6_jjT7_P12ihipStream_tbENKUlT_T0_SG_SL_E_clIS7_S7_SB_SB_EEDaSZ_S10_SG_SL_EUlSZ_E_NS1_11comp_targetILNS1_3genE4ELNS1_11target_archE910ELNS1_3gpuE8ELNS1_3repE0EEENS1_47radix_sort_onesweep_sort_config_static_selectorELNS0_4arch9wavefront6targetE1EEEvSG_ ; -- Begin function _ZN7rocprim17ROCPRIM_400000_NS6detail17trampoline_kernelINS0_14default_configENS1_35radix_sort_onesweep_config_selectorIilEEZZNS1_29radix_sort_onesweep_iterationIS3_Lb0EPiS7_N6thrust23THRUST_200600_302600_NS10device_ptrIlEESB_jNS0_19identity_decomposerENS1_16block_id_wrapperIjLb1EEEEE10hipError_tT1_PNSt15iterator_traitsISG_E10value_typeET2_T3_PNSH_ISM_E10value_typeET4_T5_PSR_SS_PNS1_23onesweep_lookback_stateEbbT6_jjT7_P12ihipStream_tbENKUlT_T0_SG_SL_E_clIS7_S7_SB_SB_EEDaSZ_S10_SG_SL_EUlSZ_E_NS1_11comp_targetILNS1_3genE4ELNS1_11target_archE910ELNS1_3gpuE8ELNS1_3repE0EEENS1_47radix_sort_onesweep_sort_config_static_selectorELNS0_4arch9wavefront6targetE1EEEvSG_
	.globl	_ZN7rocprim17ROCPRIM_400000_NS6detail17trampoline_kernelINS0_14default_configENS1_35radix_sort_onesweep_config_selectorIilEEZZNS1_29radix_sort_onesweep_iterationIS3_Lb0EPiS7_N6thrust23THRUST_200600_302600_NS10device_ptrIlEESB_jNS0_19identity_decomposerENS1_16block_id_wrapperIjLb1EEEEE10hipError_tT1_PNSt15iterator_traitsISG_E10value_typeET2_T3_PNSH_ISM_E10value_typeET4_T5_PSR_SS_PNS1_23onesweep_lookback_stateEbbT6_jjT7_P12ihipStream_tbENKUlT_T0_SG_SL_E_clIS7_S7_SB_SB_EEDaSZ_S10_SG_SL_EUlSZ_E_NS1_11comp_targetILNS1_3genE4ELNS1_11target_archE910ELNS1_3gpuE8ELNS1_3repE0EEENS1_47radix_sort_onesweep_sort_config_static_selectorELNS0_4arch9wavefront6targetE1EEEvSG_
	.p2align	8
	.type	_ZN7rocprim17ROCPRIM_400000_NS6detail17trampoline_kernelINS0_14default_configENS1_35radix_sort_onesweep_config_selectorIilEEZZNS1_29radix_sort_onesweep_iterationIS3_Lb0EPiS7_N6thrust23THRUST_200600_302600_NS10device_ptrIlEESB_jNS0_19identity_decomposerENS1_16block_id_wrapperIjLb1EEEEE10hipError_tT1_PNSt15iterator_traitsISG_E10value_typeET2_T3_PNSH_ISM_E10value_typeET4_T5_PSR_SS_PNS1_23onesweep_lookback_stateEbbT6_jjT7_P12ihipStream_tbENKUlT_T0_SG_SL_E_clIS7_S7_SB_SB_EEDaSZ_S10_SG_SL_EUlSZ_E_NS1_11comp_targetILNS1_3genE4ELNS1_11target_archE910ELNS1_3gpuE8ELNS1_3repE0EEENS1_47radix_sort_onesweep_sort_config_static_selectorELNS0_4arch9wavefront6targetE1EEEvSG_,@function
_ZN7rocprim17ROCPRIM_400000_NS6detail17trampoline_kernelINS0_14default_configENS1_35radix_sort_onesweep_config_selectorIilEEZZNS1_29radix_sort_onesweep_iterationIS3_Lb0EPiS7_N6thrust23THRUST_200600_302600_NS10device_ptrIlEESB_jNS0_19identity_decomposerENS1_16block_id_wrapperIjLb1EEEEE10hipError_tT1_PNSt15iterator_traitsISG_E10value_typeET2_T3_PNSH_ISM_E10value_typeET4_T5_PSR_SS_PNS1_23onesweep_lookback_stateEbbT6_jjT7_P12ihipStream_tbENKUlT_T0_SG_SL_E_clIS7_S7_SB_SB_EEDaSZ_S10_SG_SL_EUlSZ_E_NS1_11comp_targetILNS1_3genE4ELNS1_11target_archE910ELNS1_3gpuE8ELNS1_3repE0EEENS1_47radix_sort_onesweep_sort_config_static_selectorELNS0_4arch9wavefront6targetE1EEEvSG_: ; @_ZN7rocprim17ROCPRIM_400000_NS6detail17trampoline_kernelINS0_14default_configENS1_35radix_sort_onesweep_config_selectorIilEEZZNS1_29radix_sort_onesweep_iterationIS3_Lb0EPiS7_N6thrust23THRUST_200600_302600_NS10device_ptrIlEESB_jNS0_19identity_decomposerENS1_16block_id_wrapperIjLb1EEEEE10hipError_tT1_PNSt15iterator_traitsISG_E10value_typeET2_T3_PNSH_ISM_E10value_typeET4_T5_PSR_SS_PNS1_23onesweep_lookback_stateEbbT6_jjT7_P12ihipStream_tbENKUlT_T0_SG_SL_E_clIS7_S7_SB_SB_EEDaSZ_S10_SG_SL_EUlSZ_E_NS1_11comp_targetILNS1_3genE4ELNS1_11target_archE910ELNS1_3gpuE8ELNS1_3repE0EEENS1_47radix_sort_onesweep_sort_config_static_selectorELNS0_4arch9wavefront6targetE1EEEvSG_
; %bb.0:
	s_load_dwordx4 s[52:55], s[4:5], 0x28
	s_load_dwordx2 s[42:43], s[4:5], 0x38
	s_load_dwordx4 s[56:59], s[4:5], 0x44
	v_and_b32_e32 v18, 0x3ff, v0
	v_cmp_eq_u32_e64 s[0:1], 0, v18
	s_and_saveexec_b64 s[2:3], s[0:1]
	s_cbranch_execz .LBB870_4
; %bb.1:
	s_mov_b64 s[10:11], exec
	v_mbcnt_lo_u32_b32 v1, s10, 0
	v_mbcnt_hi_u32_b32 v1, s11, v1
	v_cmp_eq_u32_e32 vcc, 0, v1
                                        ; implicit-def: $vgpr2
	s_and_saveexec_b64 s[8:9], vcc
	s_cbranch_execz .LBB870_3
; %bb.2:
	s_load_dwordx2 s[12:13], s[4:5], 0x50
	s_bcnt1_i32_b64 s7, s[10:11]
	v_mov_b32_e32 v2, 0
	v_mov_b32_e32 v3, s7
	s_waitcnt lgkmcnt(0)
	global_atomic_add v2, v2, v3, s[12:13] glc
.LBB870_3:
	s_or_b64 exec, exec, s[8:9]
	s_waitcnt vmcnt(0)
	v_readfirstlane_b32 s7, v2
	v_add_u32_e32 v1, s7, v1
	v_mov_b32_e32 v2, 0
	ds_write_b32 v2, v1 offset:10272
.LBB870_4:
	s_or_b64 exec, exec, s[2:3]
	v_mov_b32_e32 v1, 0
	s_load_dwordx8 s[44:51], s[4:5], 0x0
	s_load_dword s2, s[4:5], 0x20
	s_waitcnt lgkmcnt(0)
	s_barrier
	ds_read_b32 v1, v1 offset:10272
	v_mbcnt_lo_u32_b32 v19, -1, 0
	s_waitcnt lgkmcnt(0)
	s_barrier
	v_cmp_le_u32_e32 vcc, s58, v1
	v_readfirstlane_b32 s33, v1
	v_lshlrev_b32_e32 v1, 4, v18
	s_cbranch_vccz .LBB870_99
; %bb.5:
	s_lshl_b32 s3, s58, 13
	s_lshl_b32 s58, s33, 13
	s_mov_b32 s59, 0
	s_sub_i32 s7, s2, s3
	s_lshl_b64 s[2:3], s[58:59], 2
	v_mbcnt_hi_u32_b32 v6, -1, v19
	s_add_u32 s2, s44, s2
	v_and_b32_e32 v23, 63, v6
	s_addc_u32 s3, s45, s3
	v_lshlrev_b32_e32 v2, 2, v23
	v_and_b32_e32 v22, 0x3c00, v1
	v_mov_b32_e32 v3, s3
	v_add_co_u32_e32 v2, vcc, s2, v2
	v_addc_co_u32_e32 v3, vcc, 0, v3, vcc
	v_lshlrev_b32_e32 v4, 2, v22
	v_add_co_u32_e32 v2, vcc, v2, v4
	v_addc_co_u32_e32 v3, vcc, 0, v3, vcc
	v_or_b32_e32 v5, v23, v22
	v_cmp_gt_u32_e32 vcc, s7, v5
	v_bfrev_b32_e32 v9, -2
	v_bfrev_b32_e32 v4, -2
	s_and_saveexec_b64 s[2:3], vcc
	s_cbranch_execz .LBB870_7
; %bb.6:
	global_load_dword v4, v[2:3], off
.LBB870_7:
	s_or_b64 exec, exec, s[2:3]
	v_or_b32_e32 v7, 64, v5
	v_cmp_gt_u32_e64 s[8:9], s7, v7
	s_and_saveexec_b64 s[2:3], s[8:9]
	s_cbranch_execz .LBB870_9
; %bb.8:
	global_load_dword v9, v[2:3], off offset:256
.LBB870_9:
	s_or_b64 exec, exec, s[2:3]
	v_or_b32_e32 v7, 0x80, v5
	v_cmp_gt_u32_e64 s[12:13], s7, v7
	v_bfrev_b32_e32 v16, -2
	v_bfrev_b32_e32 v11, -2
	s_and_saveexec_b64 s[2:3], s[12:13]
	s_cbranch_execz .LBB870_11
; %bb.10:
	global_load_dword v11, v[2:3], off offset:512
.LBB870_11:
	s_or_b64 exec, exec, s[2:3]
	v_or_b32_e32 v7, 0xc0, v5
	v_cmp_gt_u32_e64 s[16:17], s7, v7
	s_and_saveexec_b64 s[2:3], s[16:17]
	s_cbranch_execz .LBB870_13
; %bb.12:
	global_load_dword v16, v[2:3], off offset:768
.LBB870_13:
	s_or_b64 exec, exec, s[2:3]
	v_or_b32_e32 v7, 0x100, v5
	v_cmp_gt_u32_e64 s[18:19], s7, v7
	v_bfrev_b32_e32 v29, -2
	v_bfrev_b32_e32 v28, -2
	s_and_saveexec_b64 s[2:3], s[18:19]
	s_cbranch_execz .LBB870_15
; %bb.14:
	global_load_dword v28, v[2:3], off offset:1024
.LBB870_15:
	;; [unrolled: 18-line block ×7, first 2 shown]
	s_or_b64 exec, exec, s[2:3]
	v_or_b32_e32 v5, 0x3c0, v5
	v_cmp_gt_u32_e64 s[2:3], s7, v5
	s_and_saveexec_b64 s[36:37], s[2:3]
	s_cbranch_execz .LBB870_37
; %bb.36:
	global_load_dword v15, v[2:3], off offset:3840
.LBB870_37:
	s_or_b64 exec, exec, s[36:37]
	s_load_dword s36, s[4:5], 0x64
	s_load_dword s68, s[4:5], 0x58
	s_add_u32 s37, s4, 0x58
	s_addc_u32 s40, s5, 0
	v_mov_b32_e32 v2, 0
	s_waitcnt lgkmcnt(0)
	s_lshr_b32 s41, s36, 16
	s_cmp_lt_u32 s6, s68
	s_cselect_b32 s36, 12, 18
	s_add_u32 s36, s37, s36
	s_addc_u32 s37, s40, 0
	global_load_ushort v5, v2, s[36:37]
	s_waitcnt vmcnt(1)
	v_xor_b32_e32 v24, 0x80000000, v4
	s_lshl_b32 s36, -1, s57
	v_lshrrev_b32_e32 v8, s56, v24
	s_not_b32 s69, s36
	v_and_b32_e32 v8, s69, v8
	v_and_b32_e32 v12, 1, v8
	v_bfe_u32 v3, v0, 10, 10
	v_bfe_u32 v4, v0, 20, 10
	v_add_co_u32_e64 v13, s[36:37], -1, v12
	v_mad_u32_u24 v4, v4, s41, v3
	v_lshlrev_b32_e32 v3, 30, v8
	v_addc_co_u32_e64 v14, s[36:37], 0, -1, s[36:37]
	v_cmp_ne_u32_e64 s[36:37], 0, v12
	v_cmp_gt_i64_e64 s[40:41], 0, v[2:3]
	v_not_b32_e32 v12, v3
	v_lshlrev_b32_e32 v3, 29, v8
	v_xor_b32_e32 v14, s37, v14
	v_xor_b32_e32 v13, s36, v13
	v_ashrrev_i32_e32 v12, 31, v12
	v_cmp_gt_i64_e64 s[36:37], 0, v[2:3]
	v_not_b32_e32 v17, v3
	v_lshlrev_b32_e32 v3, 28, v8
	v_and_b32_e32 v14, exec_hi, v14
	v_and_b32_e32 v13, exec_lo, v13
	v_xor_b32_e32 v20, s41, v12
	v_xor_b32_e32 v12, s40, v12
	v_ashrrev_i32_e32 v17, 31, v17
	v_cmp_gt_i64_e64 s[40:41], 0, v[2:3]
	v_not_b32_e32 v25, v3
	v_lshlrev_b32_e32 v3, 27, v8
	v_and_b32_e32 v14, v14, v20
	v_and_b32_e32 v12, v13, v12
	v_xor_b32_e32 v13, s37, v17
	v_xor_b32_e32 v17, s36, v17
	v_ashrrev_i32_e32 v20, 31, v25
	v_cmp_gt_i64_e64 s[36:37], 0, v[2:3]
	v_not_b32_e32 v25, v3
	v_lshlrev_b32_e32 v3, 26, v8
	v_and_b32_e32 v13, v14, v13
	v_and_b32_e32 v12, v12, v17
	;; [unrolled: 8-line block ×3, first 2 shown]
	v_xor_b32_e32 v14, s37, v20
	v_xor_b32_e32 v17, s36, v20
	v_ashrrev_i32_e32 v20, 31, v25
	v_cmp_gt_i64_e64 s[36:37], 0, v[2:3]
	v_not_b32_e32 v25, v3
	v_lshlrev_b32_e32 v3, 24, v8
	v_lshl_add_u32 v10, v8, 3, v8
	v_and_b32_e32 v8, v13, v14
	v_and_b32_e32 v12, v12, v17
	v_xor_b32_e32 v13, s41, v20
	v_xor_b32_e32 v14, s40, v20
	v_ashrrev_i32_e32 v17, 31, v25
	v_cmp_gt_i64_e64 s[40:41], 0, v[2:3]
	v_not_b32_e32 v3, v3
	v_and_b32_e32 v8, v8, v13
	v_and_b32_e32 v12, v12, v14
	v_xor_b32_e32 v13, s37, v17
	v_xor_b32_e32 v14, s36, v17
	v_ashrrev_i32_e32 v3, 31, v3
	v_and_b32_e32 v8, v8, v13
	v_and_b32_e32 v13, v12, v14
	v_mul_u32_u24_e32 v7, 5, v18
	v_lshlrev_b32_e32 v7, 2, v7
	ds_write2_b32 v7, v2, v2 offset0:8 offset1:9
	ds_write2_b32 v7, v2, v2 offset0:10 offset1:11
	ds_write_b32 v7, v2 offset:48
	s_waitcnt lgkmcnt(0)
	s_barrier
	s_waitcnt lgkmcnt(0)
	; wave barrier
	s_waitcnt vmcnt(0)
	v_mad_u64_u32 v[4:5], s[36:37], v4, v5, v[18:19]
	v_lshrrev_b32_e32 v32, 6, v4
	v_xor_b32_e32 v4, s41, v3
	v_xor_b32_e32 v3, s40, v3
	v_and_b32_e32 v5, v8, v4
	v_and_b32_e32 v4, v13, v3
	v_mbcnt_lo_u32_b32 v3, v4, 0
	v_mbcnt_hi_u32_b32 v8, v5, v3
	v_cmp_eq_u32_e64 s[36:37], 0, v8
	v_cmp_ne_u64_e64 s[40:41], 0, v[4:5]
	v_add_lshl_u32 v12, v32, v10, 2
	s_and_b64 s[40:41], s[40:41], s[36:37]
	s_and_saveexec_b64 s[36:37], s[40:41]
	s_cbranch_execz .LBB870_39
; %bb.38:
	v_bcnt_u32_b32 v3, v4, 0
	v_bcnt_u32_b32 v3, v5, v3
	ds_write_b32 v12, v3 offset:32
.LBB870_39:
	s_or_b64 exec, exec, s[36:37]
	v_xor_b32_e32 v25, 0x80000000, v9
	v_lshrrev_b32_e32 v3, s56, v25
	v_and_b32_e32 v4, s69, v3
	v_lshl_add_u32 v3, v4, 3, v4
	v_add_lshl_u32 v13, v32, v3, 2
	v_and_b32_e32 v3, 1, v4
	v_add_co_u32_e64 v5, s[36:37], -1, v3
	v_addc_co_u32_e64 v10, s[36:37], 0, -1, s[36:37]
	v_cmp_ne_u32_e64 s[36:37], 0, v3
	v_xor_b32_e32 v3, s37, v10
	v_and_b32_e32 v10, exec_hi, v3
	v_lshlrev_b32_e32 v3, 30, v4
	v_xor_b32_e32 v5, s36, v5
	v_cmp_gt_i64_e64 s[36:37], 0, v[2:3]
	v_not_b32_e32 v3, v3
	v_ashrrev_i32_e32 v3, 31, v3
	v_and_b32_e32 v5, exec_lo, v5
	v_xor_b32_e32 v14, s37, v3
	v_xor_b32_e32 v3, s36, v3
	v_and_b32_e32 v5, v5, v3
	v_lshlrev_b32_e32 v3, 29, v4
	v_cmp_gt_i64_e64 s[36:37], 0, v[2:3]
	v_not_b32_e32 v3, v3
	v_ashrrev_i32_e32 v3, 31, v3
	v_and_b32_e32 v10, v10, v14
	v_xor_b32_e32 v14, s37, v3
	v_xor_b32_e32 v3, s36, v3
	v_and_b32_e32 v5, v5, v3
	v_lshlrev_b32_e32 v3, 28, v4
	v_cmp_gt_i64_e64 s[36:37], 0, v[2:3]
	v_not_b32_e32 v3, v3
	v_ashrrev_i32_e32 v3, 31, v3
	v_and_b32_e32 v10, v10, v14
	;; [unrolled: 8-line block ×5, first 2 shown]
	v_xor_b32_e32 v14, s37, v3
	v_xor_b32_e32 v3, s36, v3
	v_and_b32_e32 v5, v5, v3
	v_lshlrev_b32_e32 v3, 24, v4
	v_cmp_gt_i64_e64 s[36:37], 0, v[2:3]
	v_not_b32_e32 v2, v3
	v_ashrrev_i32_e32 v2, 31, v2
	v_xor_b32_e32 v3, s37, v2
	v_xor_b32_e32 v2, s36, v2
	; wave barrier
	ds_read_b32 v9, v13 offset:32
	v_and_b32_e32 v10, v10, v14
	v_and_b32_e32 v2, v5, v2
	;; [unrolled: 1-line block ×3, first 2 shown]
	v_mbcnt_lo_u32_b32 v4, v2, 0
	v_mbcnt_hi_u32_b32 v10, v3, v4
	v_cmp_eq_u32_e64 s[36:37], 0, v10
	v_cmp_ne_u64_e64 s[40:41], 0, v[2:3]
	s_and_b64 s[40:41], s[40:41], s[36:37]
	; wave barrier
	s_and_saveexec_b64 s[36:37], s[40:41]
	s_cbranch_execz .LBB870_41
; %bb.40:
	v_bcnt_u32_b32 v2, v2, 0
	v_bcnt_u32_b32 v2, v3, v2
	s_waitcnt lgkmcnt(0)
	v_add_u32_e32 v2, v9, v2
	ds_write_b32 v13, v2 offset:32
.LBB870_41:
	s_or_b64 exec, exec, s[36:37]
	v_xor_b32_e32 v26, 0x80000000, v11
	v_lshrrev_b32_e32 v2, s56, v26
	v_and_b32_e32 v4, s69, v2
	v_and_b32_e32 v3, 1, v4
	v_add_co_u32_e64 v5, s[36:37], -1, v3
	v_addc_co_u32_e64 v14, s[36:37], 0, -1, s[36:37]
	v_cmp_ne_u32_e64 s[36:37], 0, v3
	v_lshl_add_u32 v2, v4, 3, v4
	v_xor_b32_e32 v3, s37, v14
	v_add_lshl_u32 v17, v32, v2, 2
	v_mov_b32_e32 v2, 0
	v_and_b32_e32 v14, exec_hi, v3
	v_lshlrev_b32_e32 v3, 30, v4
	v_xor_b32_e32 v5, s36, v5
	v_cmp_gt_i64_e64 s[36:37], 0, v[2:3]
	v_not_b32_e32 v3, v3
	v_ashrrev_i32_e32 v3, 31, v3
	v_and_b32_e32 v5, exec_lo, v5
	v_xor_b32_e32 v20, s37, v3
	v_xor_b32_e32 v3, s36, v3
	v_and_b32_e32 v5, v5, v3
	v_lshlrev_b32_e32 v3, 29, v4
	v_cmp_gt_i64_e64 s[36:37], 0, v[2:3]
	v_not_b32_e32 v3, v3
	v_ashrrev_i32_e32 v3, 31, v3
	v_and_b32_e32 v14, v14, v20
	v_xor_b32_e32 v20, s37, v3
	v_xor_b32_e32 v3, s36, v3
	v_and_b32_e32 v5, v5, v3
	v_lshlrev_b32_e32 v3, 28, v4
	v_cmp_gt_i64_e64 s[36:37], 0, v[2:3]
	v_not_b32_e32 v3, v3
	v_ashrrev_i32_e32 v3, 31, v3
	v_and_b32_e32 v14, v14, v20
	;; [unrolled: 8-line block ×5, first 2 shown]
	v_xor_b32_e32 v20, s37, v3
	v_xor_b32_e32 v3, s36, v3
	v_and_b32_e32 v14, v14, v20
	v_and_b32_e32 v20, v5, v3
	v_lshlrev_b32_e32 v3, 24, v4
	v_cmp_gt_i64_e64 s[36:37], 0, v[2:3]
	v_not_b32_e32 v3, v3
	v_ashrrev_i32_e32 v3, 31, v3
	v_xor_b32_e32 v4, s37, v3
	v_xor_b32_e32 v3, s36, v3
	; wave barrier
	ds_read_b32 v11, v17 offset:32
	v_and_b32_e32 v5, v14, v4
	v_and_b32_e32 v4, v20, v3
	v_mbcnt_lo_u32_b32 v3, v4, 0
	v_mbcnt_hi_u32_b32 v14, v5, v3
	v_cmp_eq_u32_e64 s[36:37], 0, v14
	v_cmp_ne_u64_e64 s[40:41], 0, v[4:5]
	s_and_b64 s[40:41], s[40:41], s[36:37]
	; wave barrier
	s_and_saveexec_b64 s[36:37], s[40:41]
	s_cbranch_execz .LBB870_43
; %bb.42:
	v_bcnt_u32_b32 v3, v4, 0
	v_bcnt_u32_b32 v3, v5, v3
	s_waitcnt lgkmcnt(0)
	v_add_u32_e32 v3, v11, v3
	ds_write_b32 v17, v3 offset:32
.LBB870_43:
	s_or_b64 exec, exec, s[36:37]
	v_xor_b32_e32 v27, 0x80000000, v16
	v_lshrrev_b32_e32 v3, s56, v27
	v_and_b32_e32 v4, s69, v3
	v_lshl_add_u32 v3, v4, 3, v4
	v_add_lshl_u32 v35, v32, v3, 2
	v_and_b32_e32 v3, 1, v4
	v_add_co_u32_e64 v5, s[36:37], -1, v3
	v_addc_co_u32_e64 v20, s[36:37], 0, -1, s[36:37]
	v_cmp_ne_u32_e64 s[36:37], 0, v3
	v_xor_b32_e32 v3, s37, v20
	v_and_b32_e32 v20, exec_hi, v3
	v_lshlrev_b32_e32 v3, 30, v4
	v_xor_b32_e32 v5, s36, v5
	v_cmp_gt_i64_e64 s[36:37], 0, v[2:3]
	v_not_b32_e32 v3, v3
	v_ashrrev_i32_e32 v3, 31, v3
	v_and_b32_e32 v5, exec_lo, v5
	v_xor_b32_e32 v31, s37, v3
	v_xor_b32_e32 v3, s36, v3
	v_and_b32_e32 v5, v5, v3
	v_lshlrev_b32_e32 v3, 29, v4
	v_cmp_gt_i64_e64 s[36:37], 0, v[2:3]
	v_not_b32_e32 v3, v3
	v_ashrrev_i32_e32 v3, 31, v3
	v_and_b32_e32 v20, v20, v31
	v_xor_b32_e32 v31, s37, v3
	v_xor_b32_e32 v3, s36, v3
	v_and_b32_e32 v5, v5, v3
	v_lshlrev_b32_e32 v3, 28, v4
	v_cmp_gt_i64_e64 s[36:37], 0, v[2:3]
	v_not_b32_e32 v3, v3
	v_ashrrev_i32_e32 v3, 31, v3
	v_and_b32_e32 v20, v20, v31
	;; [unrolled: 8-line block ×5, first 2 shown]
	v_xor_b32_e32 v31, s37, v3
	v_xor_b32_e32 v3, s36, v3
	v_and_b32_e32 v5, v5, v3
	v_lshlrev_b32_e32 v3, 24, v4
	v_cmp_gt_i64_e64 s[36:37], 0, v[2:3]
	v_not_b32_e32 v2, v3
	v_ashrrev_i32_e32 v2, 31, v2
	v_xor_b32_e32 v3, s37, v2
	v_xor_b32_e32 v2, s36, v2
	; wave barrier
	ds_read_b32 v16, v35 offset:32
	v_and_b32_e32 v20, v20, v31
	v_and_b32_e32 v2, v5, v2
	v_and_b32_e32 v3, v20, v3
	v_mbcnt_lo_u32_b32 v4, v2, 0
	v_mbcnt_hi_u32_b32 v20, v3, v4
	v_cmp_eq_u32_e64 s[36:37], 0, v20
	v_cmp_ne_u64_e64 s[40:41], 0, v[2:3]
	s_and_b64 s[40:41], s[40:41], s[36:37]
	; wave barrier
	s_and_saveexec_b64 s[36:37], s[40:41]
	s_cbranch_execz .LBB870_45
; %bb.44:
	v_bcnt_u32_b32 v2, v2, 0
	v_bcnt_u32_b32 v2, v3, v2
	s_waitcnt lgkmcnt(0)
	v_add_u32_e32 v2, v16, v2
	ds_write_b32 v35, v2 offset:32
.LBB870_45:
	s_or_b64 exec, exec, s[36:37]
	v_xor_b32_e32 v28, 0x80000000, v28
	v_lshrrev_b32_e32 v2, s56, v28
	v_and_b32_e32 v4, s69, v2
	v_and_b32_e32 v3, 1, v4
	v_add_co_u32_e64 v5, s[36:37], -1, v3
	v_addc_co_u32_e64 v36, s[36:37], 0, -1, s[36:37]
	v_cmp_ne_u32_e64 s[36:37], 0, v3
	v_lshl_add_u32 v2, v4, 3, v4
	v_xor_b32_e32 v3, s37, v36
	v_add_lshl_u32 v40, v32, v2, 2
	v_mov_b32_e32 v2, 0
	v_and_b32_e32 v36, exec_hi, v3
	v_lshlrev_b32_e32 v3, 30, v4
	v_xor_b32_e32 v5, s36, v5
	v_cmp_gt_i64_e64 s[36:37], 0, v[2:3]
	v_not_b32_e32 v3, v3
	v_ashrrev_i32_e32 v3, 31, v3
	v_and_b32_e32 v5, exec_lo, v5
	v_xor_b32_e32 v37, s37, v3
	v_xor_b32_e32 v3, s36, v3
	v_and_b32_e32 v5, v5, v3
	v_lshlrev_b32_e32 v3, 29, v4
	v_cmp_gt_i64_e64 s[36:37], 0, v[2:3]
	v_not_b32_e32 v3, v3
	v_ashrrev_i32_e32 v3, 31, v3
	v_and_b32_e32 v36, v36, v37
	v_xor_b32_e32 v37, s37, v3
	v_xor_b32_e32 v3, s36, v3
	v_and_b32_e32 v5, v5, v3
	v_lshlrev_b32_e32 v3, 28, v4
	v_cmp_gt_i64_e64 s[36:37], 0, v[2:3]
	v_not_b32_e32 v3, v3
	v_ashrrev_i32_e32 v3, 31, v3
	v_and_b32_e32 v36, v36, v37
	;; [unrolled: 8-line block ×5, first 2 shown]
	v_xor_b32_e32 v37, s37, v3
	v_xor_b32_e32 v3, s36, v3
	v_and_b32_e32 v36, v36, v37
	v_and_b32_e32 v37, v5, v3
	v_lshlrev_b32_e32 v3, 24, v4
	v_cmp_gt_i64_e64 s[36:37], 0, v[2:3]
	v_not_b32_e32 v3, v3
	v_ashrrev_i32_e32 v3, 31, v3
	v_xor_b32_e32 v4, s37, v3
	v_xor_b32_e32 v3, s36, v3
	; wave barrier
	ds_read_b32 v31, v40 offset:32
	v_and_b32_e32 v5, v36, v4
	v_and_b32_e32 v4, v37, v3
	v_mbcnt_lo_u32_b32 v3, v4, 0
	v_mbcnt_hi_u32_b32 v36, v5, v3
	v_cmp_eq_u32_e64 s[36:37], 0, v36
	v_cmp_ne_u64_e64 s[40:41], 0, v[4:5]
	s_and_b64 s[40:41], s[40:41], s[36:37]
	; wave barrier
	s_and_saveexec_b64 s[36:37], s[40:41]
	s_cbranch_execz .LBB870_47
; %bb.46:
	v_bcnt_u32_b32 v3, v4, 0
	v_bcnt_u32_b32 v3, v5, v3
	s_waitcnt lgkmcnt(0)
	v_add_u32_e32 v3, v31, v3
	ds_write_b32 v40, v3 offset:32
.LBB870_47:
	s_or_b64 exec, exec, s[36:37]
	v_xor_b32_e32 v29, 0x80000000, v29
	v_lshrrev_b32_e32 v3, s56, v29
	v_and_b32_e32 v4, s69, v3
	v_lshl_add_u32 v3, v4, 3, v4
	v_add_lshl_u32 v45, v32, v3, 2
	v_and_b32_e32 v3, 1, v4
	v_add_co_u32_e64 v5, s[36:37], -1, v3
	v_addc_co_u32_e64 v41, s[36:37], 0, -1, s[36:37]
	v_cmp_ne_u32_e64 s[36:37], 0, v3
	v_xor_b32_e32 v3, s37, v41
	v_and_b32_e32 v41, exec_hi, v3
	v_lshlrev_b32_e32 v3, 30, v4
	v_xor_b32_e32 v5, s36, v5
	v_cmp_gt_i64_e64 s[36:37], 0, v[2:3]
	v_not_b32_e32 v3, v3
	v_ashrrev_i32_e32 v3, 31, v3
	v_and_b32_e32 v5, exec_lo, v5
	v_xor_b32_e32 v42, s37, v3
	v_xor_b32_e32 v3, s36, v3
	v_and_b32_e32 v5, v5, v3
	v_lshlrev_b32_e32 v3, 29, v4
	v_cmp_gt_i64_e64 s[36:37], 0, v[2:3]
	v_not_b32_e32 v3, v3
	v_ashrrev_i32_e32 v3, 31, v3
	v_and_b32_e32 v41, v41, v42
	v_xor_b32_e32 v42, s37, v3
	v_xor_b32_e32 v3, s36, v3
	v_and_b32_e32 v5, v5, v3
	v_lshlrev_b32_e32 v3, 28, v4
	v_cmp_gt_i64_e64 s[36:37], 0, v[2:3]
	v_not_b32_e32 v3, v3
	v_ashrrev_i32_e32 v3, 31, v3
	v_and_b32_e32 v41, v41, v42
	;; [unrolled: 8-line block ×5, first 2 shown]
	v_xor_b32_e32 v42, s37, v3
	v_xor_b32_e32 v3, s36, v3
	v_and_b32_e32 v5, v5, v3
	v_lshlrev_b32_e32 v3, 24, v4
	v_cmp_gt_i64_e64 s[36:37], 0, v[2:3]
	v_not_b32_e32 v2, v3
	v_ashrrev_i32_e32 v2, 31, v2
	v_xor_b32_e32 v3, s37, v2
	v_xor_b32_e32 v2, s36, v2
	; wave barrier
	ds_read_b32 v37, v45 offset:32
	v_and_b32_e32 v41, v41, v42
	v_and_b32_e32 v2, v5, v2
	;; [unrolled: 1-line block ×3, first 2 shown]
	v_mbcnt_lo_u32_b32 v4, v2, 0
	v_mbcnt_hi_u32_b32 v41, v3, v4
	v_cmp_eq_u32_e64 s[36:37], 0, v41
	v_cmp_ne_u64_e64 s[40:41], 0, v[2:3]
	s_and_b64 s[40:41], s[40:41], s[36:37]
	; wave barrier
	s_and_saveexec_b64 s[36:37], s[40:41]
	s_cbranch_execz .LBB870_49
; %bb.48:
	v_bcnt_u32_b32 v2, v2, 0
	v_bcnt_u32_b32 v2, v3, v2
	s_waitcnt lgkmcnt(0)
	v_add_u32_e32 v2, v37, v2
	ds_write_b32 v45, v2 offset:32
.LBB870_49:
	s_or_b64 exec, exec, s[36:37]
	v_xor_b32_e32 v30, 0x80000000, v30
	v_lshrrev_b32_e32 v2, s56, v30
	v_and_b32_e32 v4, s69, v2
	v_and_b32_e32 v3, 1, v4
	v_add_co_u32_e64 v5, s[36:37], -1, v3
	v_addc_co_u32_e64 v46, s[36:37], 0, -1, s[36:37]
	v_cmp_ne_u32_e64 s[36:37], 0, v3
	v_lshl_add_u32 v2, v4, 3, v4
	v_xor_b32_e32 v3, s37, v46
	v_add_lshl_u32 v49, v32, v2, 2
	v_mov_b32_e32 v2, 0
	v_and_b32_e32 v46, exec_hi, v3
	v_lshlrev_b32_e32 v3, 30, v4
	v_xor_b32_e32 v5, s36, v5
	v_cmp_gt_i64_e64 s[36:37], 0, v[2:3]
	v_not_b32_e32 v3, v3
	v_ashrrev_i32_e32 v3, 31, v3
	v_and_b32_e32 v5, exec_lo, v5
	v_xor_b32_e32 v47, s37, v3
	v_xor_b32_e32 v3, s36, v3
	v_and_b32_e32 v5, v5, v3
	v_lshlrev_b32_e32 v3, 29, v4
	v_cmp_gt_i64_e64 s[36:37], 0, v[2:3]
	v_not_b32_e32 v3, v3
	v_ashrrev_i32_e32 v3, 31, v3
	v_and_b32_e32 v46, v46, v47
	v_xor_b32_e32 v47, s37, v3
	v_xor_b32_e32 v3, s36, v3
	v_and_b32_e32 v5, v5, v3
	v_lshlrev_b32_e32 v3, 28, v4
	v_cmp_gt_i64_e64 s[36:37], 0, v[2:3]
	v_not_b32_e32 v3, v3
	v_ashrrev_i32_e32 v3, 31, v3
	v_and_b32_e32 v46, v46, v47
	;; [unrolled: 8-line block ×5, first 2 shown]
	v_xor_b32_e32 v47, s37, v3
	v_xor_b32_e32 v3, s36, v3
	v_and_b32_e32 v46, v46, v47
	v_and_b32_e32 v47, v5, v3
	v_lshlrev_b32_e32 v3, 24, v4
	v_cmp_gt_i64_e64 s[36:37], 0, v[2:3]
	v_not_b32_e32 v3, v3
	v_ashrrev_i32_e32 v3, 31, v3
	v_xor_b32_e32 v4, s37, v3
	v_xor_b32_e32 v3, s36, v3
	; wave barrier
	ds_read_b32 v42, v49 offset:32
	v_and_b32_e32 v5, v46, v4
	v_and_b32_e32 v4, v47, v3
	v_mbcnt_lo_u32_b32 v3, v4, 0
	v_mbcnt_hi_u32_b32 v46, v5, v3
	v_cmp_eq_u32_e64 s[36:37], 0, v46
	v_cmp_ne_u64_e64 s[40:41], 0, v[4:5]
	s_and_b64 s[40:41], s[40:41], s[36:37]
	; wave barrier
	s_and_saveexec_b64 s[36:37], s[40:41]
	s_cbranch_execz .LBB870_51
; %bb.50:
	v_bcnt_u32_b32 v3, v4, 0
	v_bcnt_u32_b32 v3, v5, v3
	s_waitcnt lgkmcnt(0)
	v_add_u32_e32 v3, v42, v3
	ds_write_b32 v49, v3 offset:32
.LBB870_51:
	s_or_b64 exec, exec, s[36:37]
	v_xor_b32_e32 v34, 0x80000000, v34
	v_lshrrev_b32_e32 v3, s56, v34
	v_and_b32_e32 v4, s69, v3
	v_lshl_add_u32 v3, v4, 3, v4
	v_add_lshl_u32 v52, v32, v3, 2
	v_and_b32_e32 v3, 1, v4
	v_add_co_u32_e64 v5, s[36:37], -1, v3
	v_addc_co_u32_e64 v50, s[36:37], 0, -1, s[36:37]
	v_cmp_ne_u32_e64 s[36:37], 0, v3
	v_xor_b32_e32 v3, s37, v50
	v_and_b32_e32 v50, exec_hi, v3
	v_lshlrev_b32_e32 v3, 30, v4
	v_xor_b32_e32 v5, s36, v5
	v_cmp_gt_i64_e64 s[36:37], 0, v[2:3]
	v_not_b32_e32 v3, v3
	v_ashrrev_i32_e32 v3, 31, v3
	v_and_b32_e32 v5, exec_lo, v5
	v_xor_b32_e32 v51, s37, v3
	v_xor_b32_e32 v3, s36, v3
	v_and_b32_e32 v5, v5, v3
	v_lshlrev_b32_e32 v3, 29, v4
	v_cmp_gt_i64_e64 s[36:37], 0, v[2:3]
	v_not_b32_e32 v3, v3
	v_ashrrev_i32_e32 v3, 31, v3
	v_and_b32_e32 v50, v50, v51
	v_xor_b32_e32 v51, s37, v3
	v_xor_b32_e32 v3, s36, v3
	v_and_b32_e32 v5, v5, v3
	v_lshlrev_b32_e32 v3, 28, v4
	v_cmp_gt_i64_e64 s[36:37], 0, v[2:3]
	v_not_b32_e32 v3, v3
	v_ashrrev_i32_e32 v3, 31, v3
	v_and_b32_e32 v50, v50, v51
	;; [unrolled: 8-line block ×5, first 2 shown]
	v_xor_b32_e32 v51, s37, v3
	v_xor_b32_e32 v3, s36, v3
	v_and_b32_e32 v5, v5, v3
	v_lshlrev_b32_e32 v3, 24, v4
	v_cmp_gt_i64_e64 s[36:37], 0, v[2:3]
	v_not_b32_e32 v2, v3
	v_ashrrev_i32_e32 v2, 31, v2
	v_xor_b32_e32 v3, s37, v2
	v_xor_b32_e32 v2, s36, v2
	; wave barrier
	ds_read_b32 v47, v52 offset:32
	v_and_b32_e32 v50, v50, v51
	v_and_b32_e32 v2, v5, v2
	;; [unrolled: 1-line block ×3, first 2 shown]
	v_mbcnt_lo_u32_b32 v4, v2, 0
	v_mbcnt_hi_u32_b32 v50, v3, v4
	v_cmp_eq_u32_e64 s[36:37], 0, v50
	v_cmp_ne_u64_e64 s[40:41], 0, v[2:3]
	s_and_b64 s[40:41], s[40:41], s[36:37]
	; wave barrier
	s_and_saveexec_b64 s[36:37], s[40:41]
	s_cbranch_execz .LBB870_53
; %bb.52:
	v_bcnt_u32_b32 v2, v2, 0
	v_bcnt_u32_b32 v2, v3, v2
	s_waitcnt lgkmcnt(0)
	v_add_u32_e32 v2, v47, v2
	ds_write_b32 v52, v2 offset:32
.LBB870_53:
	s_or_b64 exec, exec, s[36:37]
	v_xor_b32_e32 v39, 0x80000000, v39
	v_lshrrev_b32_e32 v2, s56, v39
	v_and_b32_e32 v4, s69, v2
	v_and_b32_e32 v3, 1, v4
	v_add_co_u32_e64 v5, s[36:37], -1, v3
	v_addc_co_u32_e64 v53, s[36:37], 0, -1, s[36:37]
	v_cmp_ne_u32_e64 s[36:37], 0, v3
	v_lshl_add_u32 v2, v4, 3, v4
	v_xor_b32_e32 v3, s37, v53
	v_add_lshl_u32 v55, v32, v2, 2
	v_mov_b32_e32 v2, 0
	v_and_b32_e32 v53, exec_hi, v3
	v_lshlrev_b32_e32 v3, 30, v4
	v_xor_b32_e32 v5, s36, v5
	v_cmp_gt_i64_e64 s[36:37], 0, v[2:3]
	v_not_b32_e32 v3, v3
	v_ashrrev_i32_e32 v3, 31, v3
	v_and_b32_e32 v5, exec_lo, v5
	v_xor_b32_e32 v54, s37, v3
	v_xor_b32_e32 v3, s36, v3
	v_and_b32_e32 v5, v5, v3
	v_lshlrev_b32_e32 v3, 29, v4
	v_cmp_gt_i64_e64 s[36:37], 0, v[2:3]
	v_not_b32_e32 v3, v3
	v_ashrrev_i32_e32 v3, 31, v3
	v_and_b32_e32 v53, v53, v54
	v_xor_b32_e32 v54, s37, v3
	v_xor_b32_e32 v3, s36, v3
	v_and_b32_e32 v5, v5, v3
	v_lshlrev_b32_e32 v3, 28, v4
	v_cmp_gt_i64_e64 s[36:37], 0, v[2:3]
	v_not_b32_e32 v3, v3
	v_ashrrev_i32_e32 v3, 31, v3
	v_and_b32_e32 v53, v53, v54
	;; [unrolled: 8-line block ×5, first 2 shown]
	v_xor_b32_e32 v54, s37, v3
	v_xor_b32_e32 v3, s36, v3
	v_and_b32_e32 v53, v53, v54
	v_and_b32_e32 v54, v5, v3
	v_lshlrev_b32_e32 v3, 24, v4
	v_cmp_gt_i64_e64 s[36:37], 0, v[2:3]
	v_not_b32_e32 v3, v3
	v_ashrrev_i32_e32 v3, 31, v3
	v_xor_b32_e32 v4, s37, v3
	v_xor_b32_e32 v3, s36, v3
	; wave barrier
	ds_read_b32 v51, v55 offset:32
	v_and_b32_e32 v5, v53, v4
	v_and_b32_e32 v4, v54, v3
	v_mbcnt_lo_u32_b32 v3, v4, 0
	v_mbcnt_hi_u32_b32 v53, v5, v3
	v_cmp_eq_u32_e64 s[36:37], 0, v53
	v_cmp_ne_u64_e64 s[40:41], 0, v[4:5]
	s_and_b64 s[40:41], s[40:41], s[36:37]
	; wave barrier
	s_and_saveexec_b64 s[36:37], s[40:41]
	s_cbranch_execz .LBB870_55
; %bb.54:
	v_bcnt_u32_b32 v3, v4, 0
	v_bcnt_u32_b32 v3, v5, v3
	s_waitcnt lgkmcnt(0)
	v_add_u32_e32 v3, v51, v3
	ds_write_b32 v55, v3 offset:32
.LBB870_55:
	s_or_b64 exec, exec, s[36:37]
	v_xor_b32_e32 v44, 0x80000000, v44
	v_lshrrev_b32_e32 v3, s56, v44
	v_and_b32_e32 v4, s69, v3
	v_lshl_add_u32 v3, v4, 3, v4
	v_add_lshl_u32 v58, v32, v3, 2
	v_and_b32_e32 v3, 1, v4
	v_add_co_u32_e64 v5, s[36:37], -1, v3
	v_addc_co_u32_e64 v56, s[36:37], 0, -1, s[36:37]
	v_cmp_ne_u32_e64 s[36:37], 0, v3
	v_xor_b32_e32 v3, s37, v56
	v_and_b32_e32 v56, exec_hi, v3
	v_lshlrev_b32_e32 v3, 30, v4
	v_xor_b32_e32 v5, s36, v5
	v_cmp_gt_i64_e64 s[36:37], 0, v[2:3]
	v_not_b32_e32 v3, v3
	v_ashrrev_i32_e32 v3, 31, v3
	v_and_b32_e32 v5, exec_lo, v5
	v_xor_b32_e32 v57, s37, v3
	v_xor_b32_e32 v3, s36, v3
	v_and_b32_e32 v5, v5, v3
	v_lshlrev_b32_e32 v3, 29, v4
	v_cmp_gt_i64_e64 s[36:37], 0, v[2:3]
	v_not_b32_e32 v3, v3
	v_ashrrev_i32_e32 v3, 31, v3
	v_and_b32_e32 v56, v56, v57
	v_xor_b32_e32 v57, s37, v3
	v_xor_b32_e32 v3, s36, v3
	v_and_b32_e32 v5, v5, v3
	v_lshlrev_b32_e32 v3, 28, v4
	v_cmp_gt_i64_e64 s[36:37], 0, v[2:3]
	v_not_b32_e32 v3, v3
	v_ashrrev_i32_e32 v3, 31, v3
	v_and_b32_e32 v56, v56, v57
	;; [unrolled: 8-line block ×5, first 2 shown]
	v_xor_b32_e32 v57, s37, v3
	v_xor_b32_e32 v3, s36, v3
	v_and_b32_e32 v5, v5, v3
	v_lshlrev_b32_e32 v3, 24, v4
	v_cmp_gt_i64_e64 s[36:37], 0, v[2:3]
	v_not_b32_e32 v2, v3
	v_ashrrev_i32_e32 v2, 31, v2
	v_xor_b32_e32 v3, s37, v2
	v_xor_b32_e32 v2, s36, v2
	; wave barrier
	ds_read_b32 v54, v58 offset:32
	v_and_b32_e32 v56, v56, v57
	v_and_b32_e32 v2, v5, v2
	;; [unrolled: 1-line block ×3, first 2 shown]
	v_mbcnt_lo_u32_b32 v4, v2, 0
	v_mbcnt_hi_u32_b32 v56, v3, v4
	v_cmp_eq_u32_e64 s[36:37], 0, v56
	v_cmp_ne_u64_e64 s[40:41], 0, v[2:3]
	s_and_b64 s[40:41], s[40:41], s[36:37]
	; wave barrier
	s_and_saveexec_b64 s[36:37], s[40:41]
	s_cbranch_execz .LBB870_57
; %bb.56:
	v_bcnt_u32_b32 v2, v2, 0
	v_bcnt_u32_b32 v2, v3, v2
	s_waitcnt lgkmcnt(0)
	v_add_u32_e32 v2, v54, v2
	ds_write_b32 v58, v2 offset:32
.LBB870_57:
	s_or_b64 exec, exec, s[36:37]
	v_xor_b32_e32 v48, 0x80000000, v48
	v_lshrrev_b32_e32 v2, s56, v48
	v_and_b32_e32 v4, s69, v2
	v_and_b32_e32 v3, 1, v4
	v_add_co_u32_e64 v5, s[36:37], -1, v3
	v_addc_co_u32_e64 v59, s[36:37], 0, -1, s[36:37]
	v_cmp_ne_u32_e64 s[36:37], 0, v3
	v_lshl_add_u32 v2, v4, 3, v4
	v_xor_b32_e32 v3, s37, v59
	v_add_lshl_u32 v61, v32, v2, 2
	v_mov_b32_e32 v2, 0
	v_and_b32_e32 v59, exec_hi, v3
	v_lshlrev_b32_e32 v3, 30, v4
	v_xor_b32_e32 v5, s36, v5
	v_cmp_gt_i64_e64 s[36:37], 0, v[2:3]
	v_not_b32_e32 v3, v3
	v_ashrrev_i32_e32 v3, 31, v3
	v_and_b32_e32 v5, exec_lo, v5
	v_xor_b32_e32 v60, s37, v3
	v_xor_b32_e32 v3, s36, v3
	v_and_b32_e32 v5, v5, v3
	v_lshlrev_b32_e32 v3, 29, v4
	v_cmp_gt_i64_e64 s[36:37], 0, v[2:3]
	v_not_b32_e32 v3, v3
	v_ashrrev_i32_e32 v3, 31, v3
	v_and_b32_e32 v59, v59, v60
	v_xor_b32_e32 v60, s37, v3
	v_xor_b32_e32 v3, s36, v3
	v_and_b32_e32 v5, v5, v3
	v_lshlrev_b32_e32 v3, 28, v4
	v_cmp_gt_i64_e64 s[36:37], 0, v[2:3]
	v_not_b32_e32 v3, v3
	v_ashrrev_i32_e32 v3, 31, v3
	v_and_b32_e32 v59, v59, v60
	;; [unrolled: 8-line block ×5, first 2 shown]
	v_xor_b32_e32 v60, s37, v3
	v_xor_b32_e32 v3, s36, v3
	v_and_b32_e32 v59, v59, v60
	v_and_b32_e32 v60, v5, v3
	v_lshlrev_b32_e32 v3, 24, v4
	v_cmp_gt_i64_e64 s[36:37], 0, v[2:3]
	v_not_b32_e32 v3, v3
	v_ashrrev_i32_e32 v3, 31, v3
	v_xor_b32_e32 v4, s37, v3
	v_xor_b32_e32 v3, s36, v3
	; wave barrier
	ds_read_b32 v57, v61 offset:32
	v_and_b32_e32 v5, v59, v4
	v_and_b32_e32 v4, v60, v3
	v_mbcnt_lo_u32_b32 v3, v4, 0
	v_mbcnt_hi_u32_b32 v59, v5, v3
	v_cmp_eq_u32_e64 s[36:37], 0, v59
	v_cmp_ne_u64_e64 s[40:41], 0, v[4:5]
	s_and_b64 s[40:41], s[40:41], s[36:37]
	; wave barrier
	s_and_saveexec_b64 s[36:37], s[40:41]
	s_cbranch_execz .LBB870_59
; %bb.58:
	v_bcnt_u32_b32 v3, v4, 0
	v_bcnt_u32_b32 v3, v5, v3
	s_waitcnt lgkmcnt(0)
	v_add_u32_e32 v3, v57, v3
	ds_write_b32 v61, v3 offset:32
.LBB870_59:
	s_or_b64 exec, exec, s[36:37]
	v_xor_b32_e32 v43, 0x80000000, v43
	v_lshrrev_b32_e32 v3, s56, v43
	v_and_b32_e32 v4, s69, v3
	v_lshl_add_u32 v3, v4, 3, v4
	v_add_lshl_u32 v65, v32, v3, 2
	v_and_b32_e32 v3, 1, v4
	v_add_co_u32_e64 v5, s[36:37], -1, v3
	v_addc_co_u32_e64 v62, s[36:37], 0, -1, s[36:37]
	v_cmp_ne_u32_e64 s[36:37], 0, v3
	v_xor_b32_e32 v3, s37, v62
	v_and_b32_e32 v62, exec_hi, v3
	v_lshlrev_b32_e32 v3, 30, v4
	v_xor_b32_e32 v5, s36, v5
	v_cmp_gt_i64_e64 s[36:37], 0, v[2:3]
	v_not_b32_e32 v3, v3
	v_ashrrev_i32_e32 v3, 31, v3
	v_and_b32_e32 v5, exec_lo, v5
	v_xor_b32_e32 v63, s37, v3
	v_xor_b32_e32 v3, s36, v3
	v_and_b32_e32 v5, v5, v3
	v_lshlrev_b32_e32 v3, 29, v4
	v_cmp_gt_i64_e64 s[36:37], 0, v[2:3]
	v_not_b32_e32 v3, v3
	v_ashrrev_i32_e32 v3, 31, v3
	v_and_b32_e32 v62, v62, v63
	v_xor_b32_e32 v63, s37, v3
	v_xor_b32_e32 v3, s36, v3
	v_and_b32_e32 v5, v5, v3
	v_lshlrev_b32_e32 v3, 28, v4
	v_cmp_gt_i64_e64 s[36:37], 0, v[2:3]
	v_not_b32_e32 v3, v3
	v_ashrrev_i32_e32 v3, 31, v3
	v_and_b32_e32 v62, v62, v63
	;; [unrolled: 8-line block ×5, first 2 shown]
	v_xor_b32_e32 v63, s37, v3
	v_xor_b32_e32 v3, s36, v3
	v_and_b32_e32 v5, v5, v3
	v_lshlrev_b32_e32 v3, 24, v4
	v_cmp_gt_i64_e64 s[36:37], 0, v[2:3]
	v_not_b32_e32 v2, v3
	v_ashrrev_i32_e32 v2, 31, v2
	v_xor_b32_e32 v3, s37, v2
	v_xor_b32_e32 v2, s36, v2
	; wave barrier
	ds_read_b32 v60, v65 offset:32
	v_and_b32_e32 v62, v62, v63
	v_and_b32_e32 v2, v5, v2
	;; [unrolled: 1-line block ×3, first 2 shown]
	v_mbcnt_lo_u32_b32 v4, v2, 0
	v_mbcnt_hi_u32_b32 v63, v3, v4
	v_cmp_eq_u32_e64 s[36:37], 0, v63
	v_cmp_ne_u64_e64 s[40:41], 0, v[2:3]
	s_and_b64 s[40:41], s[40:41], s[36:37]
	; wave barrier
	s_and_saveexec_b64 s[36:37], s[40:41]
	s_cbranch_execz .LBB870_61
; %bb.60:
	v_bcnt_u32_b32 v2, v2, 0
	v_bcnt_u32_b32 v2, v3, v2
	s_waitcnt lgkmcnt(0)
	v_add_u32_e32 v2, v60, v2
	ds_write_b32 v65, v2 offset:32
.LBB870_61:
	s_or_b64 exec, exec, s[36:37]
	v_xor_b32_e32 v38, 0x80000000, v38
	v_lshrrev_b32_e32 v2, s56, v38
	v_and_b32_e32 v4, s69, v2
	v_and_b32_e32 v3, 1, v4
	v_add_co_u32_e64 v5, s[36:37], -1, v3
	v_addc_co_u32_e64 v62, s[36:37], 0, -1, s[36:37]
	v_cmp_ne_u32_e64 s[36:37], 0, v3
	v_lshl_add_u32 v2, v4, 3, v4
	v_xor_b32_e32 v3, s37, v62
	v_add_lshl_u32 v67, v32, v2, 2
	v_mov_b32_e32 v2, 0
	v_and_b32_e32 v62, exec_hi, v3
	v_lshlrev_b32_e32 v3, 30, v4
	v_xor_b32_e32 v5, s36, v5
	v_cmp_gt_i64_e64 s[36:37], 0, v[2:3]
	v_not_b32_e32 v3, v3
	v_ashrrev_i32_e32 v3, 31, v3
	v_and_b32_e32 v5, exec_lo, v5
	v_xor_b32_e32 v66, s37, v3
	v_xor_b32_e32 v3, s36, v3
	v_and_b32_e32 v5, v5, v3
	v_lshlrev_b32_e32 v3, 29, v4
	v_cmp_gt_i64_e64 s[36:37], 0, v[2:3]
	v_not_b32_e32 v3, v3
	v_ashrrev_i32_e32 v3, 31, v3
	v_and_b32_e32 v62, v62, v66
	v_xor_b32_e32 v66, s37, v3
	v_xor_b32_e32 v3, s36, v3
	v_and_b32_e32 v5, v5, v3
	v_lshlrev_b32_e32 v3, 28, v4
	v_cmp_gt_i64_e64 s[36:37], 0, v[2:3]
	v_not_b32_e32 v3, v3
	v_ashrrev_i32_e32 v3, 31, v3
	v_and_b32_e32 v62, v62, v66
	;; [unrolled: 8-line block ×5, first 2 shown]
	v_xor_b32_e32 v66, s37, v3
	v_xor_b32_e32 v3, s36, v3
	v_and_b32_e32 v62, v62, v66
	v_and_b32_e32 v66, v5, v3
	v_lshlrev_b32_e32 v3, 24, v4
	v_cmp_gt_i64_e64 s[36:37], 0, v[2:3]
	v_not_b32_e32 v3, v3
	v_ashrrev_i32_e32 v3, 31, v3
	v_xor_b32_e32 v4, s37, v3
	v_xor_b32_e32 v3, s36, v3
	; wave barrier
	ds_read_b32 v64, v67 offset:32
	v_and_b32_e32 v5, v62, v4
	v_and_b32_e32 v4, v66, v3
	v_mbcnt_lo_u32_b32 v3, v4, 0
	v_mbcnt_hi_u32_b32 v69, v5, v3
	v_cmp_eq_u32_e64 s[36:37], 0, v69
	v_cmp_ne_u64_e64 s[40:41], 0, v[4:5]
	s_and_b64 s[40:41], s[40:41], s[36:37]
	; wave barrier
	s_and_saveexec_b64 s[36:37], s[40:41]
	s_cbranch_execz .LBB870_63
; %bb.62:
	v_bcnt_u32_b32 v3, v4, 0
	v_bcnt_u32_b32 v3, v5, v3
	s_waitcnt lgkmcnt(0)
	v_add_u32_e32 v3, v64, v3
	ds_write_b32 v67, v3 offset:32
.LBB870_63:
	s_or_b64 exec, exec, s[36:37]
	v_xor_b32_e32 v33, 0x80000000, v33
	v_lshrrev_b32_e32 v3, s56, v33
	v_and_b32_e32 v4, s69, v3
	v_lshl_add_u32 v3, v4, 3, v4
	v_add_lshl_u32 v71, v32, v3, 2
	v_and_b32_e32 v3, 1, v4
	v_add_co_u32_e64 v5, s[36:37], -1, v3
	v_addc_co_u32_e64 v62, s[36:37], 0, -1, s[36:37]
	v_cmp_ne_u32_e64 s[36:37], 0, v3
	v_xor_b32_e32 v3, s37, v62
	v_and_b32_e32 v62, exec_hi, v3
	v_lshlrev_b32_e32 v3, 30, v4
	v_xor_b32_e32 v5, s36, v5
	v_cmp_gt_i64_e64 s[36:37], 0, v[2:3]
	v_not_b32_e32 v3, v3
	v_ashrrev_i32_e32 v3, 31, v3
	v_and_b32_e32 v5, exec_lo, v5
	v_xor_b32_e32 v66, s37, v3
	v_xor_b32_e32 v3, s36, v3
	v_and_b32_e32 v5, v5, v3
	v_lshlrev_b32_e32 v3, 29, v4
	v_cmp_gt_i64_e64 s[36:37], 0, v[2:3]
	v_not_b32_e32 v3, v3
	v_ashrrev_i32_e32 v3, 31, v3
	v_and_b32_e32 v62, v62, v66
	v_xor_b32_e32 v66, s37, v3
	v_xor_b32_e32 v3, s36, v3
	v_and_b32_e32 v5, v5, v3
	v_lshlrev_b32_e32 v3, 28, v4
	v_cmp_gt_i64_e64 s[36:37], 0, v[2:3]
	v_not_b32_e32 v3, v3
	v_ashrrev_i32_e32 v3, 31, v3
	v_and_b32_e32 v62, v62, v66
	;; [unrolled: 8-line block ×5, first 2 shown]
	v_xor_b32_e32 v66, s37, v3
	v_xor_b32_e32 v3, s36, v3
	v_and_b32_e32 v5, v5, v3
	v_lshlrev_b32_e32 v3, 24, v4
	v_cmp_gt_i64_e64 s[36:37], 0, v[2:3]
	v_not_b32_e32 v2, v3
	v_ashrrev_i32_e32 v2, 31, v2
	v_xor_b32_e32 v3, s37, v2
	v_xor_b32_e32 v2, s36, v2
	; wave barrier
	ds_read_b32 v68, v71 offset:32
	v_and_b32_e32 v62, v62, v66
	v_and_b32_e32 v2, v5, v2
	;; [unrolled: 1-line block ×3, first 2 shown]
	v_mbcnt_lo_u32_b32 v4, v2, 0
	v_mbcnt_hi_u32_b32 v70, v3, v4
	v_cmp_eq_u32_e64 s[36:37], 0, v70
	v_cmp_ne_u64_e64 s[40:41], 0, v[2:3]
	s_and_b64 s[40:41], s[40:41], s[36:37]
	; wave barrier
	s_and_saveexec_b64 s[36:37], s[40:41]
	s_cbranch_execz .LBB870_65
; %bb.64:
	v_bcnt_u32_b32 v2, v2, 0
	v_bcnt_u32_b32 v2, v3, v2
	s_waitcnt lgkmcnt(0)
	v_add_u32_e32 v2, v68, v2
	ds_write_b32 v71, v2 offset:32
.LBB870_65:
	s_or_b64 exec, exec, s[36:37]
	v_xor_b32_e32 v62, 0x80000000, v21
	v_lshrrev_b32_e32 v2, s56, v62
	v_and_b32_e32 v4, s69, v2
	v_and_b32_e32 v3, 1, v4
	v_add_co_u32_e64 v5, s[36:37], -1, v3
	v_addc_co_u32_e64 v66, s[36:37], 0, -1, s[36:37]
	v_cmp_ne_u32_e64 s[36:37], 0, v3
	v_lshl_add_u32 v2, v4, 3, v4
	v_xor_b32_e32 v3, s37, v66
	v_add_lshl_u32 v73, v32, v2, 2
	v_mov_b32_e32 v2, 0
	v_and_b32_e32 v66, exec_hi, v3
	v_lshlrev_b32_e32 v3, 30, v4
	v_xor_b32_e32 v5, s36, v5
	v_cmp_gt_i64_e64 s[36:37], 0, v[2:3]
	v_not_b32_e32 v3, v3
	v_ashrrev_i32_e32 v3, 31, v3
	v_and_b32_e32 v5, exec_lo, v5
	v_xor_b32_e32 v72, s37, v3
	v_xor_b32_e32 v3, s36, v3
	v_and_b32_e32 v5, v5, v3
	v_lshlrev_b32_e32 v3, 29, v4
	v_cmp_gt_i64_e64 s[36:37], 0, v[2:3]
	v_not_b32_e32 v3, v3
	v_ashrrev_i32_e32 v3, 31, v3
	v_and_b32_e32 v66, v66, v72
	v_xor_b32_e32 v72, s37, v3
	v_xor_b32_e32 v3, s36, v3
	v_and_b32_e32 v5, v5, v3
	v_lshlrev_b32_e32 v3, 28, v4
	v_cmp_gt_i64_e64 s[36:37], 0, v[2:3]
	v_not_b32_e32 v3, v3
	v_ashrrev_i32_e32 v3, 31, v3
	v_and_b32_e32 v66, v66, v72
	;; [unrolled: 8-line block ×5, first 2 shown]
	v_xor_b32_e32 v72, s37, v3
	v_xor_b32_e32 v3, s36, v3
	v_and_b32_e32 v66, v66, v72
	v_and_b32_e32 v72, v5, v3
	v_lshlrev_b32_e32 v3, 24, v4
	v_cmp_gt_i64_e64 s[36:37], 0, v[2:3]
	v_not_b32_e32 v3, v3
	v_ashrrev_i32_e32 v3, 31, v3
	v_xor_b32_e32 v4, s37, v3
	v_xor_b32_e32 v3, s36, v3
	; wave barrier
	ds_read_b32 v21, v73 offset:32
	v_and_b32_e32 v5, v66, v4
	v_and_b32_e32 v4, v72, v3
	v_mbcnt_lo_u32_b32 v3, v4, 0
	v_mbcnt_hi_u32_b32 v72, v5, v3
	v_cmp_eq_u32_e64 s[36:37], 0, v72
	v_cmp_ne_u64_e64 s[40:41], 0, v[4:5]
	s_and_b64 s[40:41], s[40:41], s[36:37]
	; wave barrier
	s_and_saveexec_b64 s[36:37], s[40:41]
	s_cbranch_execz .LBB870_67
; %bb.66:
	v_bcnt_u32_b32 v3, v4, 0
	v_bcnt_u32_b32 v3, v5, v3
	s_waitcnt lgkmcnt(0)
	v_add_u32_e32 v3, v21, v3
	ds_write_b32 v73, v3 offset:32
.LBB870_67:
	s_or_b64 exec, exec, s[36:37]
	v_xor_b32_e32 v66, 0x80000000, v15
	v_lshrrev_b32_e32 v3, s56, v66
	v_and_b32_e32 v4, s69, v3
	v_lshl_add_u32 v3, v4, 3, v4
	v_add_lshl_u32 v74, v32, v3, 2
	v_and_b32_e32 v3, 1, v4
	v_add_co_u32_e64 v5, s[36:37], -1, v3
	v_addc_co_u32_e64 v32, s[36:37], 0, -1, s[36:37]
	v_cmp_ne_u32_e64 s[36:37], 0, v3
	v_xor_b32_e32 v3, s37, v32
	v_and_b32_e32 v32, exec_hi, v3
	v_lshlrev_b32_e32 v3, 30, v4
	v_xor_b32_e32 v5, s36, v5
	v_cmp_gt_i64_e64 s[36:37], 0, v[2:3]
	v_not_b32_e32 v3, v3
	v_ashrrev_i32_e32 v3, 31, v3
	v_and_b32_e32 v5, exec_lo, v5
	v_xor_b32_e32 v76, s37, v3
	v_xor_b32_e32 v3, s36, v3
	v_and_b32_e32 v5, v5, v3
	v_lshlrev_b32_e32 v3, 29, v4
	v_cmp_gt_i64_e64 s[36:37], 0, v[2:3]
	v_not_b32_e32 v3, v3
	v_ashrrev_i32_e32 v3, 31, v3
	v_and_b32_e32 v32, v32, v76
	v_xor_b32_e32 v76, s37, v3
	v_xor_b32_e32 v3, s36, v3
	v_and_b32_e32 v5, v5, v3
	v_lshlrev_b32_e32 v3, 28, v4
	v_cmp_gt_i64_e64 s[36:37], 0, v[2:3]
	v_not_b32_e32 v3, v3
	v_ashrrev_i32_e32 v3, 31, v3
	v_and_b32_e32 v32, v32, v76
	;; [unrolled: 8-line block ×5, first 2 shown]
	v_xor_b32_e32 v76, s37, v3
	v_xor_b32_e32 v3, s36, v3
	v_and_b32_e32 v5, v5, v3
	v_lshlrev_b32_e32 v3, 24, v4
	v_cmp_gt_i64_e64 s[36:37], 0, v[2:3]
	v_not_b32_e32 v2, v3
	v_ashrrev_i32_e32 v2, 31, v2
	v_xor_b32_e32 v3, s37, v2
	v_xor_b32_e32 v2, s36, v2
	; wave barrier
	ds_read_b32 v15, v74 offset:32
	v_and_b32_e32 v32, v32, v76
	v_and_b32_e32 v2, v5, v2
	;; [unrolled: 1-line block ×3, first 2 shown]
	v_mbcnt_lo_u32_b32 v4, v2, 0
	v_mbcnt_hi_u32_b32 v32, v3, v4
	v_cmp_eq_u32_e64 s[36:37], 0, v32
	v_cmp_ne_u64_e64 s[40:41], 0, v[2:3]
	v_add_u32_e32 v75, 32, v7
	s_and_b64 s[40:41], s[40:41], s[36:37]
	; wave barrier
	s_and_saveexec_b64 s[36:37], s[40:41]
	s_cbranch_execz .LBB870_69
; %bb.68:
	v_bcnt_u32_b32 v2, v2, 0
	v_bcnt_u32_b32 v2, v3, v2
	s_waitcnt lgkmcnt(0)
	v_add_u32_e32 v2, v15, v2
	ds_write_b32 v74, v2 offset:32
.LBB870_69:
	s_or_b64 exec, exec, s[36:37]
	; wave barrier
	s_waitcnt lgkmcnt(0)
	s_barrier
	ds_read2_b32 v[4:5], v7 offset0:8 offset1:9
	ds_read2_b32 v[2:3], v75 offset0:2 offset1:3
	ds_read_b32 v76, v75 offset:16
	s_waitcnt lgkmcnt(1)
	v_add3_u32 v77, v5, v4, v2
	s_waitcnt lgkmcnt(0)
	v_add3_u32 v76, v77, v3, v76
	v_and_b32_e32 v77, 15, v6
	v_cmp_ne_u32_e64 s[36:37], 0, v77
	v_mov_b32_dpp v78, v76 row_shr:1 row_mask:0xf bank_mask:0xf
	v_cndmask_b32_e64 v78, 0, v78, s[36:37]
	v_add_u32_e32 v76, v78, v76
	v_cmp_lt_u32_e64 s[36:37], 1, v77
	s_nop 0
	v_mov_b32_dpp v78, v76 row_shr:2 row_mask:0xf bank_mask:0xf
	v_cndmask_b32_e64 v78, 0, v78, s[36:37]
	v_add_u32_e32 v76, v76, v78
	v_cmp_lt_u32_e64 s[36:37], 3, v77
	s_nop 0
	;; [unrolled: 5-line block ×3, first 2 shown]
	v_mov_b32_dpp v78, v76 row_shr:8 row_mask:0xf bank_mask:0xf
	v_cndmask_b32_e64 v77, 0, v78, s[36:37]
	v_add_u32_e32 v76, v76, v77
	v_bfe_i32 v78, v6, 4, 1
	v_cmp_lt_u32_e64 s[36:37], 31, v6
	v_mov_b32_dpp v77, v76 row_bcast:15 row_mask:0xf bank_mask:0xf
	v_and_b32_e32 v77, v78, v77
	v_add_u32_e32 v76, v76, v77
	v_and_b32_e32 v78, 0x3c0, v18
	v_min_u32_e32 v78, 0x1c0, v78
	v_mov_b32_dpp v77, v76 row_bcast:31 row_mask:0xf bank_mask:0xf
	v_cndmask_b32_e64 v77, 0, v77, s[36:37]
	v_or_b32_e32 v78, 63, v78
	v_add_u32_e32 v76, v76, v77
	v_lshrrev_b32_e32 v77, 6, v18
	v_cmp_eq_u32_e64 s[36:37], v78, v18
	s_and_saveexec_b64 s[40:41], s[36:37]
	s_cbranch_execz .LBB870_71
; %bb.70:
	v_lshlrev_b32_e32 v78, 2, v77
	ds_write_b32 v78, v76
.LBB870_71:
	s_or_b64 exec, exec, s[40:41]
	v_cmp_gt_u32_e64 s[36:37], 8, v18
	s_waitcnt lgkmcnt(0)
	s_barrier
	s_and_saveexec_b64 s[60:61], s[36:37]
	s_cbranch_execz .LBB870_73
; %bb.72:
	v_lshlrev_b32_e32 v78, 2, v18
	ds_read_b32 v79, v78
	v_and_b32_e32 v80, 7, v6
	v_cmp_ne_u32_e64 s[36:37], 0, v80
	v_cmp_lt_u32_e64 s[40:41], 1, v80
	s_waitcnt lgkmcnt(0)
	v_mov_b32_dpp v81, v79 row_shr:1 row_mask:0xf bank_mask:0xf
	v_cndmask_b32_e64 v81, 0, v81, s[36:37]
	v_add_u32_e32 v79, v81, v79
	v_cmp_lt_u32_e64 s[36:37], 3, v80
	s_nop 0
	v_mov_b32_dpp v81, v79 row_shr:2 row_mask:0xf bank_mask:0xf
	v_cndmask_b32_e64 v81, 0, v81, s[40:41]
	v_add_u32_e32 v79, v79, v81
	s_nop 1
	v_mov_b32_dpp v81, v79 row_shr:4 row_mask:0xf bank_mask:0xf
	v_cndmask_b32_e64 v80, 0, v81, s[36:37]
	v_add_u32_e32 v79, v79, v80
	ds_write_b32 v78, v79
.LBB870_73:
	s_or_b64 exec, exec, s[60:61]
	v_cmp_lt_u32_e64 s[36:37], 63, v18
	v_mov_b32_e32 v78, 0
	s_waitcnt lgkmcnt(0)
	s_barrier
	s_and_saveexec_b64 s[40:41], s[36:37]
	s_cbranch_execz .LBB870_75
; %bb.74:
	v_lshl_add_u32 v77, v77, 2, -4
	ds_read_b32 v78, v77
.LBB870_75:
	s_or_b64 exec, exec, s[40:41]
	v_add_u32_e32 v77, -1, v6
	v_and_b32_e32 v79, 64, v6
	v_cmp_lt_i32_e64 s[36:37], v77, v79
	v_cndmask_b32_e64 v77, v77, v6, s[36:37]
	s_waitcnt lgkmcnt(0)
	v_add_u32_e32 v76, v78, v76
	v_lshlrev_b32_e32 v77, 2, v77
	ds_bpermute_b32 v76, v77, v76
	v_cmp_eq_u32_e64 s[36:37], 0, v6
	s_waitcnt lgkmcnt(0)
	v_cndmask_b32_e64 v6, v76, v78, s[36:37]
	v_cndmask_b32_e64 v6, v6, 0, s[0:1]
	v_add_u32_e32 v4, v6, v4
	v_add_u32_e32 v5, v4, v5
	;; [unrolled: 1-line block ×4, first 2 shown]
	ds_write2_b32 v7, v6, v4 offset0:8 offset1:9
	ds_write2_b32 v75, v5, v2 offset0:2 offset1:3
	ds_write_b32 v75, v3 offset:16
	s_waitcnt lgkmcnt(0)
	s_barrier
	ds_read_b32 v78, v12 offset:32
	ds_read_b32 v12, v13 offset:32
	ds_read_b32 v13, v17 offset:32
	ds_read_b32 v17, v35 offset:32
	ds_read_b32 v75, v40 offset:32
	ds_read_b32 v45, v45 offset:32
	ds_read_b32 v49, v49 offset:32
	ds_read_b32 v52, v52 offset:32
	ds_read_b32 v76, v55 offset:32
	ds_read_b32 v77, v58 offset:32
	ds_read_b32 v79, v61 offset:32
	ds_read_b32 v80, v65 offset:32
	ds_read_b32 v81, v67 offset:32
	ds_read_b32 v71, v71 offset:32
	ds_read_b32 v67, v73 offset:32
	ds_read_b32 v65, v74 offset:32
	s_movk_i32 s36, 0x100
	v_cmp_gt_u32_e64 s[36:37], s36, v18
                                        ; implicit-def: $vgpr55
                                        ; implicit-def: $vgpr58
	s_and_saveexec_b64 s[60:61], s[36:37]
	s_cbranch_execz .LBB870_79
; %bb.76:
	v_mul_u32_u24_e32 v2, 9, v18
	v_lshlrev_b32_e32 v3, 2, v2
	ds_read_b32 v55, v3 offset:32
	s_movk_i32 s40, 0xff
	v_cmp_ne_u32_e64 s[40:41], s40, v18
	v_mov_b32_e32 v2, 0x2000
	s_and_saveexec_b64 s[62:63], s[40:41]
	s_cbranch_execz .LBB870_78
; %bb.77:
	ds_read_b32 v2, v3 offset:68
.LBB870_78:
	s_or_b64 exec, exec, s[62:63]
	s_waitcnt lgkmcnt(0)
	v_sub_u32_e32 v58, v2, v55
.LBB870_79:
	s_or_b64 exec, exec, s[60:61]
	s_waitcnt lgkmcnt(0)
	s_barrier
	s_and_saveexec_b64 s[60:61], s[36:37]
	s_cbranch_execz .LBB870_89
; %bb.80:
	v_lshl_or_b32 v2, s33, 8, v18
	v_mov_b32_e32 v3, 0
	v_lshlrev_b64 v[4:5], 2, v[2:3]
	v_mov_b32_e32 v35, s43
	v_add_co_u32_e64 v4, s[40:41], s42, v4
	v_addc_co_u32_e64 v5, s[40:41], v35, v5, s[40:41]
	v_or_b32_e32 v2, 2.0, v58
	s_mov_b64 s[62:63], 0
	s_brev_b32 s70, 1
	s_mov_b32 s71, s33
	v_mov_b32_e32 v40, 0
	global_store_dword v[4:5], v2, off
                                        ; implicit-def: $sgpr40_sgpr41
	s_branch .LBB870_82
.LBB870_81:                             ;   in Loop: Header=BB870_82 Depth=1
	s_or_b64 exec, exec, s[64:65]
	v_and_b32_e32 v6, 0x3fffffff, v61
	v_add_u32_e32 v40, v6, v40
	v_cmp_eq_u32_e64 s[40:41], s70, v2
	s_and_b64 s[64:65], exec, s[40:41]
	s_or_b64 s[62:63], s[64:65], s[62:63]
	s_andn2_b64 exec, exec, s[62:63]
	s_cbranch_execz .LBB870_88
.LBB870_82:                             ; =>This Loop Header: Depth=1
                                        ;     Child Loop BB870_85 Depth 2
	s_or_b64 s[40:41], s[40:41], exec
	s_cmp_eq_u32 s71, 0
	s_cbranch_scc1 .LBB870_87
; %bb.83:                               ;   in Loop: Header=BB870_82 Depth=1
	s_add_i32 s71, s71, -1
	v_lshl_or_b32 v2, s71, 8, v18
	v_lshlrev_b64 v[6:7], 2, v[2:3]
	v_add_co_u32_e64 v6, s[40:41], s42, v6
	v_addc_co_u32_e64 v7, s[40:41], v35, v7, s[40:41]
	global_load_dword v61, v[6:7], off glc
	s_waitcnt vmcnt(0)
	v_and_b32_e32 v2, -2.0, v61
	v_cmp_eq_u32_e64 s[40:41], 0, v2
	s_and_saveexec_b64 s[64:65], s[40:41]
	s_cbranch_execz .LBB870_81
; %bb.84:                               ;   in Loop: Header=BB870_82 Depth=1
	s_mov_b64 s[66:67], 0
.LBB870_85:                             ;   Parent Loop BB870_82 Depth=1
                                        ; =>  This Inner Loop Header: Depth=2
	global_load_dword v61, v[6:7], off glc
	s_waitcnt vmcnt(0)
	v_and_b32_e32 v2, -2.0, v61
	v_cmp_ne_u32_e64 s[40:41], 0, v2
	s_or_b64 s[66:67], s[40:41], s[66:67]
	s_andn2_b64 exec, exec, s[66:67]
	s_cbranch_execnz .LBB870_85
; %bb.86:                               ;   in Loop: Header=BB870_82 Depth=1
	s_or_b64 exec, exec, s[66:67]
	s_branch .LBB870_81
.LBB870_87:                             ;   in Loop: Header=BB870_82 Depth=1
                                        ; implicit-def: $sgpr71
	s_and_b64 s[64:65], exec, s[40:41]
	s_or_b64 s[62:63], s[64:65], s[62:63]
	s_andn2_b64 exec, exec, s[62:63]
	s_cbranch_execnz .LBB870_82
.LBB870_88:
	s_or_b64 exec, exec, s[62:63]
	v_add_u32_e32 v2, v40, v58
	v_or_b32_e32 v2, 0x80000000, v2
	global_store_dword v[4:5], v2, off
	v_lshlrev_b32_e32 v2, 2, v18
	global_load_dword v3, v2, s[52:53]
	v_sub_u32_e32 v4, v40, v55
	s_waitcnt vmcnt(0)
	v_add_u32_e32 v3, v4, v3
	ds_write_b32 v2, v3
.LBB870_89:
	s_or_b64 exec, exec, s[60:61]
	v_lshlrev_b32_e32 v35, 2, v18
	v_add_u32_e32 v61, v78, v8
	s_movk_i32 s62, 0x400
	v_add_u32_e32 v40, 0x400, v35
	v_add3_u32 v65, v32, v65, v15
	v_add3_u32 v67, v72, v67, v21
	v_add3_u32 v68, v70, v71, v68
	v_add3_u32 v64, v69, v81, v64
	v_add3_u32 v60, v63, v80, v60
	v_add3_u32 v57, v59, v79, v57
	v_add3_u32 v54, v56, v77, v54
	v_add3_u32 v56, v53, v76, v51
	v_add3_u32 v59, v50, v52, v47
	v_add3_u32 v63, v46, v49, v42
	v_add3_u32 v69, v41, v45, v37
	v_add3_u32 v70, v36, v75, v31
	v_add3_u32 v71, v20, v17, v16
	v_add3_u32 v72, v14, v13, v11
	v_add3_u32 v73, v10, v12, v9
	s_mov_b32 s63, 0
	v_mov_b32_e32 v21, 0
	s_movk_i32 s64, 0x200
	s_movk_i32 s65, 0x600
	v_mov_b32_e32 v31, v18
	s_mov_b32 s66, 0
                                        ; implicit-def: $vgpr2_vgpr3_vgpr4_vgpr5_vgpr6_vgpr7_vgpr8_vgpr9_vgpr10_vgpr11_vgpr12_vgpr13_vgpr14_vgpr15_vgpr16_vgpr17
	s_branch .LBB870_91
.LBB870_90:                             ;   in Loop: Header=BB870_91 Depth=1
	s_or_b64 exec, exec, s[60:61]
	s_addk_i32 s66, 0xf800
	s_add_i32 s63, s63, 4
	s_cmpk_eq_i32 s66, 0xe000
	v_add_u32_e32 v31, 0x800, v31
	s_barrier
	s_cbranch_scc1 .LBB870_100
.LBB870_91:                             ; =>This Inner Loop Header: Depth=1
	v_add_u32_e32 v20, s66, v61
	v_min_u32_e32 v20, 0x800, v20
	v_lshlrev_b32_e32 v20, 2, v20
	ds_write_b32 v20, v24 offset:1024
	v_add_u32_e32 v20, s66, v73
	v_min_u32_e32 v20, 0x800, v20
	v_lshlrev_b32_e32 v20, 2, v20
	ds_write_b32 v20, v25 offset:1024
	;; [unrolled: 4-line block ×15, first 2 shown]
	v_add_u32_e32 v20, s66, v65
	v_min_u32_e32 v20, 0x800, v20
	v_lshlrev_b32_e32 v20, 2, v20
	v_cmp_gt_u32_e64 s[40:41], s7, v31
	ds_write_b32 v20, v66 offset:1024
	s_waitcnt lgkmcnt(0)
	s_barrier
	s_and_saveexec_b64 s[60:61], s[40:41]
	s_cbranch_execz .LBB870_93
; %bb.92:                               ;   in Loop: Header=BB870_91 Depth=1
	ds_read_b32 v20, v35 offset:1024
	v_mov_b32_e32 v41, s47
	s_waitcnt lgkmcnt(0)
	v_lshrrev_b32_e32 v32, s56, v20
	v_and_b32_e32 v32, s69, v32
	v_lshlrev_b32_e32 v36, 2, v32
	ds_read_b32 v36, v36
	v_xor_b32_e32 v42, 0x80000000, v20
	s_waitcnt lgkmcnt(0)
	v_add_u32_e32 v20, v31, v36
	v_lshlrev_b64 v[36:37], 2, v[20:21]
	v_add_co_u32_e64 v36, s[40:41], s46, v36
	v_addc_co_u32_e64 v37, s[40:41], v41, v37, s[40:41]
	global_store_dword v[36:37], v42, off
	s_set_gpr_idx_on s63, gpr_idx(DST)
	v_mov_b32_e32 v2, v32
	s_set_gpr_idx_off
.LBB870_93:                             ;   in Loop: Header=BB870_91 Depth=1
	s_or_b64 exec, exec, s[60:61]
	v_add_u32_e32 v20, 0x200, v31
	v_cmp_gt_u32_e64 s[40:41], s7, v20
	s_and_saveexec_b64 s[60:61], s[40:41]
	s_cbranch_execz .LBB870_95
; %bb.94:                               ;   in Loop: Header=BB870_91 Depth=1
	ds_read_b32 v20, v40 offset:2048
	v_mov_b32_e32 v41, s47
	s_add_i32 s67, s63, 1
	s_waitcnt lgkmcnt(0)
	v_lshrrev_b32_e32 v32, s56, v20
	v_and_b32_e32 v32, s69, v32
	v_lshlrev_b32_e32 v36, 2, v32
	ds_read_b32 v36, v36
	v_xor_b32_e32 v42, 0x80000000, v20
	s_waitcnt lgkmcnt(0)
	v_add3_u32 v20, v31, v36, s64
	v_lshlrev_b64 v[36:37], 2, v[20:21]
	v_add_co_u32_e64 v36, s[40:41], s46, v36
	v_addc_co_u32_e64 v37, s[40:41], v41, v37, s[40:41]
	global_store_dword v[36:37], v42, off
	s_set_gpr_idx_on s67, gpr_idx(DST)
	v_mov_b32_e32 v2, v32
	s_set_gpr_idx_off
.LBB870_95:                             ;   in Loop: Header=BB870_91 Depth=1
	s_or_b64 exec, exec, s[60:61]
	v_add_u32_e32 v20, 0x400, v31
	v_cmp_gt_u32_e64 s[40:41], s7, v20
	s_and_saveexec_b64 s[60:61], s[40:41]
	s_cbranch_execz .LBB870_97
; %bb.96:                               ;   in Loop: Header=BB870_91 Depth=1
	ds_read_b32 v20, v40 offset:4096
	v_mov_b32_e32 v41, s47
	s_add_i32 s67, s63, 2
	s_waitcnt lgkmcnt(0)
	v_lshrrev_b32_e32 v32, s56, v20
	v_and_b32_e32 v32, s69, v32
	v_lshlrev_b32_e32 v36, 2, v32
	ds_read_b32 v36, v36
	v_xor_b32_e32 v42, 0x80000000, v20
	s_waitcnt lgkmcnt(0)
	v_add3_u32 v20, v31, v36, s62
	v_lshlrev_b64 v[36:37], 2, v[20:21]
	v_add_co_u32_e64 v36, s[40:41], s46, v36
	v_addc_co_u32_e64 v37, s[40:41], v41, v37, s[40:41]
	global_store_dword v[36:37], v42, off
	s_set_gpr_idx_on s67, gpr_idx(DST)
	v_mov_b32_e32 v2, v32
	s_set_gpr_idx_off
.LBB870_97:                             ;   in Loop: Header=BB870_91 Depth=1
	s_or_b64 exec, exec, s[60:61]
	v_add_u32_e32 v20, 0x600, v31
	v_cmp_gt_u32_e64 s[40:41], s7, v20
	s_and_saveexec_b64 s[60:61], s[40:41]
	s_cbranch_execz .LBB870_90
; %bb.98:                               ;   in Loop: Header=BB870_91 Depth=1
	ds_read_b32 v20, v40 offset:6144
	v_mov_b32_e32 v41, s47
	s_add_i32 s67, s63, 3
	s_waitcnt lgkmcnt(0)
	v_lshrrev_b32_e32 v32, s56, v20
	v_and_b32_e32 v32, s69, v32
	v_lshlrev_b32_e32 v36, 2, v32
	ds_read_b32 v36, v36
	v_xor_b32_e32 v42, 0x80000000, v20
	s_waitcnt lgkmcnt(0)
	v_add3_u32 v20, v31, v36, s65
	v_lshlrev_b64 v[36:37], 2, v[20:21]
	v_add_co_u32_e64 v36, s[40:41], s46, v36
	v_addc_co_u32_e64 v37, s[40:41], v41, v37, s[40:41]
	global_store_dword v[36:37], v42, off
	s_set_gpr_idx_on s67, gpr_idx(DST)
	v_mov_b32_e32 v2, v32
	s_set_gpr_idx_off
	s_branch .LBB870_90
.LBB870_99:
	s_mov_b64 s[8:9], 0
                                        ; implicit-def: $vgpr2
	s_cbranch_execnz .LBB870_126
	s_branch .LBB870_185
.LBB870_100:
	s_lshl_b64 s[40:41], s[58:59], 3
	s_add_u32 s40, s48, s40
	s_addc_u32 s41, s49, s41
	v_lshlrev_b32_e32 v20, 3, v23
	v_mov_b32_e32 v21, s41
	v_add_co_u32_e64 v20, s[40:41], s40, v20
	v_addc_co_u32_e64 v21, s[40:41], 0, v21, s[40:41]
	v_lshlrev_b32_e32 v22, 3, v22
	v_add_co_u32_e64 v42, s[40:41], v20, v22
	v_addc_co_u32_e64 v43, s[40:41], 0, v21, s[40:41]
                                        ; implicit-def: $vgpr20_vgpr21
	s_and_saveexec_b64 s[40:41], vcc
	s_cbranch_execnz .LBB870_188
; %bb.101:
	s_or_b64 exec, exec, s[40:41]
                                        ; implicit-def: $vgpr22_vgpr23
	s_and_saveexec_b64 s[40:41], s[8:9]
	s_cbranch_execnz .LBB870_189
.LBB870_102:
	s_or_b64 exec, exec, s[40:41]
                                        ; implicit-def: $vgpr24_vgpr25
	s_and_saveexec_b64 s[8:9], s[12:13]
	s_cbranch_execnz .LBB870_190
.LBB870_103:
	s_or_b64 exec, exec, s[8:9]
                                        ; implicit-def: $vgpr26_vgpr27
	s_and_saveexec_b64 s[8:9], s[16:17]
	s_cbranch_execnz .LBB870_191
.LBB870_104:
	s_or_b64 exec, exec, s[8:9]
                                        ; implicit-def: $vgpr28_vgpr29
	s_and_saveexec_b64 s[8:9], s[18:19]
	s_cbranch_execnz .LBB870_192
.LBB870_105:
	s_or_b64 exec, exec, s[8:9]
                                        ; implicit-def: $vgpr30_vgpr31
	s_and_saveexec_b64 s[8:9], s[22:23]
	s_cbranch_execnz .LBB870_193
.LBB870_106:
	s_or_b64 exec, exec, s[8:9]
                                        ; implicit-def: $vgpr32_vgpr33
	s_and_saveexec_b64 s[8:9], s[26:27]
	s_cbranch_execnz .LBB870_194
.LBB870_107:
	s_or_b64 exec, exec, s[8:9]
                                        ; implicit-def: $vgpr34_vgpr35
	s_and_saveexec_b64 s[8:9], s[30:31]
	s_cbranch_execnz .LBB870_195
.LBB870_108:
	s_or_b64 exec, exec, s[8:9]
                                        ; implicit-def: $vgpr36_vgpr37
	s_and_saveexec_b64 s[8:9], s[34:35]
	s_cbranch_execnz .LBB870_196
.LBB870_109:
	s_or_b64 exec, exec, s[8:9]
                                        ; implicit-def: $vgpr38_vgpr39
	s_and_saveexec_b64 s[8:9], s[28:29]
	s_cbranch_execnz .LBB870_197
.LBB870_110:
	s_or_b64 exec, exec, s[8:9]
                                        ; implicit-def: $vgpr40_vgpr41
	s_and_saveexec_b64 s[8:9], s[24:25]
	s_cbranch_execnz .LBB870_198
.LBB870_111:
	s_or_b64 exec, exec, s[8:9]
                                        ; implicit-def: $vgpr44_vgpr45
	s_and_saveexec_b64 s[8:9], s[20:21]
	s_cbranch_execnz .LBB870_199
.LBB870_112:
	s_or_b64 exec, exec, s[8:9]
                                        ; implicit-def: $vgpr46_vgpr47
	s_and_saveexec_b64 s[8:9], s[14:15]
	s_cbranch_execnz .LBB870_200
.LBB870_113:
	s_or_b64 exec, exec, s[8:9]
                                        ; implicit-def: $vgpr48_vgpr49
	s_and_saveexec_b64 s[8:9], s[10:11]
	s_cbranch_execnz .LBB870_201
.LBB870_114:
	s_or_b64 exec, exec, s[8:9]
                                        ; implicit-def: $vgpr50_vgpr51
	s_and_saveexec_b64 s[8:9], s[38:39]
	s_cbranch_execnz .LBB870_202
.LBB870_115:
	s_or_b64 exec, exec, s[8:9]
                                        ; implicit-def: $vgpr52_vgpr53
	s_and_saveexec_b64 s[8:9], s[2:3]
	s_cbranch_execz .LBB870_117
.LBB870_116:
	v_add_co_u32_e32 v42, vcc, 0x1000, v42
	v_addc_co_u32_e32 v43, vcc, 0, v43, vcc
	global_load_dwordx2 v[52:53], v[42:43], off offset:3584
.LBB870_117:
	s_or_b64 exec, exec, s[8:9]
	v_lshlrev_b32_e32 v62, 3, v18
	v_add_u32_e32 v66, 0x400, v62
	s_mov_b32 s8, 0
	v_mov_b32_e32 v43, 0
	s_movk_i32 s9, 0x200
	s_mov_b32 s10, 0
	v_mov_b32_e32 v74, v18
	s_waitcnt vmcnt(0)
	s_branch .LBB870_119
.LBB870_118:                            ;   in Loop: Header=BB870_119 Depth=1
	s_or_b64 exec, exec, s[2:3]
	s_addk_i32 s10, 0xfc00
	s_add_i32 s8, s8, 2
	s_cmpk_eq_i32 s10, 0xe000
	v_add_u32_e32 v74, 0x400, v74
	s_barrier
	s_cbranch_scc1 .LBB870_123
.LBB870_119:                            ; =>This Inner Loop Header: Depth=1
	v_add_u32_e32 v42, s10, v61
	v_min_u32_e32 v42, 0x400, v42
	v_lshlrev_b32_e32 v42, 3, v42
	ds_write_b64 v42, v[20:21] offset:1024
	v_add_u32_e32 v42, s10, v73
	v_min_u32_e32 v42, 0x400, v42
	v_lshlrev_b32_e32 v42, 3, v42
	ds_write_b64 v42, v[22:23] offset:1024
	;; [unrolled: 4-line block ×15, first 2 shown]
	v_add_u32_e32 v42, s10, v65
	v_min_u32_e32 v42, 0x400, v42
	v_lshlrev_b32_e32 v42, 3, v42
	v_cmp_gt_u32_e32 vcc, s7, v74
	ds_write_b64 v42, v[52:53] offset:1024
	s_waitcnt lgkmcnt(0)
	s_barrier
	s_and_saveexec_b64 s[2:3], vcc
	s_cbranch_execz .LBB870_121
; %bb.120:                              ;   in Loop: Header=BB870_119 Depth=1
	ds_read_b64 v[76:77], v62 offset:1024
	s_set_gpr_idx_on s8, gpr_idx(SRC0)
	v_mov_b32_e32 v42, v2
	s_set_gpr_idx_off
	v_lshlrev_b32_e32 v42, 2, v42
	ds_read_b32 v42, v42
	v_mov_b32_e32 v75, s51
	s_waitcnt lgkmcnt(0)
	v_add_u32_e32 v42, v74, v42
	v_lshlrev_b64 v[78:79], 3, v[42:43]
	v_add_co_u32_e32 v78, vcc, s50, v78
	v_addc_co_u32_e32 v79, vcc, v75, v79, vcc
	global_store_dwordx2 v[78:79], v[76:77], off
.LBB870_121:                            ;   in Loop: Header=BB870_119 Depth=1
	s_or_b64 exec, exec, s[2:3]
	v_add_u32_e32 v42, 0x200, v74
	v_cmp_gt_u32_e32 vcc, s7, v42
	s_and_saveexec_b64 s[2:3], vcc
	s_cbranch_execz .LBB870_118
; %bb.122:                              ;   in Loop: Header=BB870_119 Depth=1
	s_add_i32 s11, s8, 1
	ds_read_b64 v[76:77], v66 offset:4096
	s_set_gpr_idx_on s11, gpr_idx(SRC0)
	v_mov_b32_e32 v42, v2
	s_set_gpr_idx_off
	v_lshlrev_b32_e32 v42, 2, v42
	ds_read_b32 v42, v42
	v_mov_b32_e32 v75, s51
	s_waitcnt lgkmcnt(0)
	v_add3_u32 v42, v74, v42, s9
	v_lshlrev_b64 v[78:79], 3, v[42:43]
	v_add_co_u32_e32 v78, vcc, s50, v78
	v_addc_co_u32_e32 v79, vcc, v75, v79, vcc
	global_store_dwordx2 v[78:79], v[76:77], off
	s_branch .LBB870_118
.LBB870_123:
	s_add_i32 s68, s68, -1
	s_cmp_eq_u32 s68, s33
	s_cselect_b64 s[2:3], -1, 0
	s_and_b64 s[10:11], s[36:37], s[2:3]
	s_mov_b64 s[2:3], 0
	s_mov_b64 s[8:9], 0
                                        ; implicit-def: $vgpr2
	s_and_saveexec_b64 s[12:13], s[10:11]
	s_xor_b64 s[10:11], exec, s[12:13]
; %bb.124:
	s_mov_b64 s[8:9], exec
	v_add_u32_e32 v2, v55, v58
; %bb.125:
	s_or_b64 exec, exec, s[10:11]
	s_and_b64 vcc, exec, s[2:3]
	s_cbranch_vccz .LBB870_185
.LBB870_126:
	s_lshl_b32 s10, s33, 13
	s_mov_b32 s11, 0
	v_mbcnt_hi_u32_b32 v4, -1, v19
	s_lshl_b64 s[2:3], s[10:11], 2
	v_and_b32_e32 v20, 63, v4
	s_add_u32 s2, s44, s2
	v_and_b32_e32 v19, 0x3c00, v1
	v_lshlrev_b32_e32 v1, 2, v20
	v_add_co_u32_e32 v1, vcc, s2, v1
	s_load_dword s14, s[4:5], 0x58
	s_load_dword s2, s[4:5], 0x64
	s_addc_u32 s3, s45, s3
	v_mov_b32_e32 v3, s3
	v_addc_co_u32_e32 v3, vcc, 0, v3, vcc
	v_lshlrev_b32_e32 v5, 2, v19
	s_add_u32 s3, s4, 0x58
	v_add_co_u32_e32 v8, vcc, v1, v5
	s_addc_u32 s4, s5, 0
	s_waitcnt lgkmcnt(0)
	s_lshr_b32 s5, s2, 16
	v_addc_co_u32_e32 v9, vcc, 0, v3, vcc
	s_cmp_lt_u32 s6, s14
	global_load_dword v1, v[8:9], off
	s_cselect_b32 s2, 12, 18
	s_add_u32 s2, s3, s2
	v_mov_b32_e32 v2, 0
	s_addc_u32 s3, s4, 0
	global_load_ushort v3, v2, s[2:3]
	v_mul_u32_u24_e32 v5, 5, v18
	v_lshlrev_b32_e32 v5, 2, v5
	ds_write2_b32 v5, v2, v2 offset0:8 offset1:9
	ds_write2_b32 v5, v2, v2 offset0:10 offset1:11
	ds_write_b32 v5, v2 offset:48
	global_load_dword v7, v[8:9], off offset:256
	global_load_dword v10, v[8:9], off offset:512
	;; [unrolled: 1-line block ×15, first 2 shown]
	s_lshl_b32 s2, -1, s57
	v_bfe_u32 v6, v0, 10, 10
	v_bfe_u32 v0, v0, 20, 10
	s_not_b32 s15, s2
	v_mad_u32_u24 v0, v0, s5, v6
	s_waitcnt lgkmcnt(0)
	s_barrier
	s_waitcnt lgkmcnt(0)
	; wave barrier
	s_waitcnt vmcnt(16)
	v_xor_b32_e32 v21, 0x80000000, v1
	v_lshrrev_b32_e32 v1, s56, v21
	v_and_b32_e32 v6, s15, v1
	v_and_b32_e32 v8, 1, v6
	s_waitcnt vmcnt(15)
	v_mad_u64_u32 v[0:1], s[2:3], v0, v3, v[18:19]
	v_lshrrev_b32_e32 v15, 6, v0
	v_add_co_u32_e32 v0, vcc, -1, v8
	v_lshlrev_b32_e32 v3, 30, v6
	v_addc_co_u32_e64 v11, s[2:3], 0, -1, vcc
	v_lshl_add_u32 v1, v6, 3, v6
	v_cmp_ne_u32_e32 vcc, 0, v8
	v_cmp_gt_i64_e64 s[2:3], 0, v[2:3]
	v_not_b32_e32 v8, v3
	v_lshlrev_b32_e32 v3, 29, v6
	v_add_lshl_u32 v9, v15, v1, 2
	v_xor_b32_e32 v1, vcc_hi, v11
	v_xor_b32_e32 v0, vcc_lo, v0
	v_ashrrev_i32_e32 v8, 31, v8
	v_cmp_gt_i64_e32 vcc, 0, v[2:3]
	v_not_b32_e32 v11, v3
	v_lshlrev_b32_e32 v3, 28, v6
	v_and_b32_e32 v1, exec_hi, v1
	v_and_b32_e32 v0, exec_lo, v0
	v_xor_b32_e32 v12, s3, v8
	v_xor_b32_e32 v8, s2, v8
	v_ashrrev_i32_e32 v11, 31, v11
	v_cmp_gt_i64_e64 s[2:3], 0, v[2:3]
	v_not_b32_e32 v3, v3
	v_and_b32_e32 v1, v1, v12
	v_and_b32_e32 v0, v0, v8
	v_xor_b32_e32 v8, vcc_hi, v11
	v_xor_b32_e32 v11, vcc_lo, v11
	v_ashrrev_i32_e32 v3, 31, v3
	v_and_b32_e32 v1, v1, v8
	v_and_b32_e32 v0, v0, v11
	v_xor_b32_e32 v8, s3, v3
	v_xor_b32_e32 v3, s2, v3
	v_and_b32_e32 v0, v0, v3
	v_lshlrev_b32_e32 v3, 27, v6
	v_cmp_gt_i64_e32 vcc, 0, v[2:3]
	v_not_b32_e32 v3, v3
	v_ashrrev_i32_e32 v3, 31, v3
	v_and_b32_e32 v1, v1, v8
	v_xor_b32_e32 v8, vcc_hi, v3
	v_xor_b32_e32 v3, vcc_lo, v3
	v_and_b32_e32 v0, v0, v3
	v_lshlrev_b32_e32 v3, 26, v6
	v_cmp_gt_i64_e32 vcc, 0, v[2:3]
	v_not_b32_e32 v3, v3
	v_ashrrev_i32_e32 v3, 31, v3
	v_and_b32_e32 v1, v1, v8
	v_xor_b32_e32 v8, vcc_hi, v3
	v_xor_b32_e32 v3, vcc_lo, v3
	;; [unrolled: 8-line block ×3, first 2 shown]
	v_and_b32_e32 v0, v0, v3
	v_lshlrev_b32_e32 v3, 24, v6
	v_cmp_gt_i64_e32 vcc, 0, v[2:3]
	v_not_b32_e32 v3, v3
	v_ashrrev_i32_e32 v3, 31, v3
	v_xor_b32_e32 v6, vcc_hi, v3
	v_xor_b32_e32 v3, vcc_lo, v3
	v_and_b32_e32 v1, v1, v8
	v_and_b32_e32 v0, v0, v3
	;; [unrolled: 1-line block ×3, first 2 shown]
	v_mbcnt_lo_u32_b32 v3, v0, 0
	v_mbcnt_hi_u32_b32 v6, v1, v3
	v_cmp_eq_u32_e32 vcc, 0, v6
	v_cmp_ne_u64_e64 s[2:3], 0, v[0:1]
	s_and_b64 s[4:5], s[2:3], vcc
	s_and_saveexec_b64 s[2:3], s[4:5]
	s_cbranch_execz .LBB870_128
; %bb.127:
	v_bcnt_u32_b32 v0, v0, 0
	v_bcnt_u32_b32 v0, v1, v0
	ds_write_b32 v9, v0 offset:32
.LBB870_128:
	s_or_b64 exec, exec, s[2:3]
	s_waitcnt vmcnt(14)
	v_xor_b32_e32 v22, 0x80000000, v7
	v_lshrrev_b32_e32 v0, s56, v22
	v_and_b32_e32 v0, s15, v0
	v_lshl_add_u32 v1, v0, 3, v0
	v_add_lshl_u32 v11, v15, v1, 2
	v_and_b32_e32 v1, 1, v0
	v_add_co_u32_e32 v3, vcc, -1, v1
	v_addc_co_u32_e64 v8, s[2:3], 0, -1, vcc
	v_cmp_ne_u32_e32 vcc, 0, v1
	v_xor_b32_e32 v3, vcc_lo, v3
	v_xor_b32_e32 v1, vcc_hi, v8
	v_and_b32_e32 v8, exec_lo, v3
	v_lshlrev_b32_e32 v3, 30, v0
	v_cmp_gt_i64_e32 vcc, 0, v[2:3]
	v_not_b32_e32 v3, v3
	v_ashrrev_i32_e32 v3, 31, v3
	v_xor_b32_e32 v12, vcc_hi, v3
	v_xor_b32_e32 v3, vcc_lo, v3
	v_and_b32_e32 v8, v8, v3
	v_lshlrev_b32_e32 v3, 29, v0
	v_cmp_gt_i64_e32 vcc, 0, v[2:3]
	v_not_b32_e32 v3, v3
	v_and_b32_e32 v1, exec_hi, v1
	v_ashrrev_i32_e32 v3, 31, v3
	v_and_b32_e32 v1, v1, v12
	v_xor_b32_e32 v12, vcc_hi, v3
	v_xor_b32_e32 v3, vcc_lo, v3
	v_and_b32_e32 v8, v8, v3
	v_lshlrev_b32_e32 v3, 28, v0
	v_cmp_gt_i64_e32 vcc, 0, v[2:3]
	v_not_b32_e32 v3, v3
	v_ashrrev_i32_e32 v3, 31, v3
	v_and_b32_e32 v1, v1, v12
	v_xor_b32_e32 v12, vcc_hi, v3
	v_xor_b32_e32 v3, vcc_lo, v3
	v_and_b32_e32 v8, v8, v3
	v_lshlrev_b32_e32 v3, 27, v0
	v_cmp_gt_i64_e32 vcc, 0, v[2:3]
	v_not_b32_e32 v3, v3
	;; [unrolled: 8-line block ×4, first 2 shown]
	v_ashrrev_i32_e32 v3, 31, v3
	v_and_b32_e32 v1, v1, v12
	v_xor_b32_e32 v12, vcc_hi, v3
	v_xor_b32_e32 v3, vcc_lo, v3
	v_and_b32_e32 v8, v8, v3
	v_lshlrev_b32_e32 v3, 24, v0
	v_not_b32_e32 v0, v3
	v_cmp_gt_i64_e32 vcc, 0, v[2:3]
	v_ashrrev_i32_e32 v0, 31, v0
	v_xor_b32_e32 v2, vcc_hi, v0
	v_xor_b32_e32 v0, vcc_lo, v0
	; wave barrier
	ds_read_b32 v7, v11 offset:32
	v_and_b32_e32 v1, v1, v12
	v_and_b32_e32 v0, v8, v0
	;; [unrolled: 1-line block ×3, first 2 shown]
	v_mbcnt_lo_u32_b32 v2, v0, 0
	v_mbcnt_hi_u32_b32 v8, v1, v2
	v_cmp_eq_u32_e32 vcc, 0, v8
	v_cmp_ne_u64_e64 s[2:3], 0, v[0:1]
	s_and_b64 s[4:5], s[2:3], vcc
	; wave barrier
	s_and_saveexec_b64 s[2:3], s[4:5]
	s_cbranch_execz .LBB870_130
; %bb.129:
	v_bcnt_u32_b32 v0, v0, 0
	v_bcnt_u32_b32 v0, v1, v0
	s_waitcnt lgkmcnt(0)
	v_add_u32_e32 v0, v7, v0
	ds_write_b32 v11, v0 offset:32
.LBB870_130:
	s_or_b64 exec, exec, s[2:3]
	s_waitcnt vmcnt(13)
	v_xor_b32_e32 v23, 0x80000000, v10
	v_lshrrev_b32_e32 v0, s56, v23
	v_and_b32_e32 v2, s15, v0
	v_and_b32_e32 v1, 1, v2
	v_add_co_u32_e32 v3, vcc, -1, v1
	v_addc_co_u32_e64 v12, s[2:3], 0, -1, vcc
	v_cmp_ne_u32_e32 vcc, 0, v1
	v_lshl_add_u32 v0, v2, 3, v2
	v_xor_b32_e32 v1, vcc_hi, v12
	v_add_lshl_u32 v16, v15, v0, 2
	v_mov_b32_e32 v0, 0
	v_and_b32_e32 v12, exec_hi, v1
	v_lshlrev_b32_e32 v1, 30, v2
	v_xor_b32_e32 v3, vcc_lo, v3
	v_cmp_gt_i64_e32 vcc, 0, v[0:1]
	v_not_b32_e32 v1, v1
	v_ashrrev_i32_e32 v1, 31, v1
	v_and_b32_e32 v3, exec_lo, v3
	v_xor_b32_e32 v17, vcc_hi, v1
	v_xor_b32_e32 v1, vcc_lo, v1
	v_and_b32_e32 v3, v3, v1
	v_lshlrev_b32_e32 v1, 29, v2
	v_cmp_gt_i64_e32 vcc, 0, v[0:1]
	v_not_b32_e32 v1, v1
	v_ashrrev_i32_e32 v1, 31, v1
	v_and_b32_e32 v12, v12, v17
	v_xor_b32_e32 v17, vcc_hi, v1
	v_xor_b32_e32 v1, vcc_lo, v1
	v_and_b32_e32 v3, v3, v1
	v_lshlrev_b32_e32 v1, 28, v2
	v_cmp_gt_i64_e32 vcc, 0, v[0:1]
	v_not_b32_e32 v1, v1
	v_ashrrev_i32_e32 v1, 31, v1
	v_and_b32_e32 v12, v12, v17
	;; [unrolled: 8-line block ×5, first 2 shown]
	v_xor_b32_e32 v17, vcc_hi, v1
	v_xor_b32_e32 v1, vcc_lo, v1
	v_and_b32_e32 v12, v12, v17
	v_and_b32_e32 v17, v3, v1
	v_lshlrev_b32_e32 v1, 24, v2
	v_cmp_gt_i64_e32 vcc, 0, v[0:1]
	v_not_b32_e32 v1, v1
	v_ashrrev_i32_e32 v1, 31, v1
	v_xor_b32_e32 v2, vcc_hi, v1
	v_xor_b32_e32 v1, vcc_lo, v1
	; wave barrier
	ds_read_b32 v10, v16 offset:32
	v_and_b32_e32 v3, v12, v2
	v_and_b32_e32 v2, v17, v1
	v_mbcnt_lo_u32_b32 v1, v2, 0
	v_mbcnt_hi_u32_b32 v12, v3, v1
	v_cmp_eq_u32_e32 vcc, 0, v12
	v_cmp_ne_u64_e64 s[2:3], 0, v[2:3]
	s_and_b64 s[4:5], s[2:3], vcc
	; wave barrier
	s_and_saveexec_b64 s[2:3], s[4:5]
	s_cbranch_execz .LBB870_132
; %bb.131:
	v_bcnt_u32_b32 v1, v2, 0
	v_bcnt_u32_b32 v1, v3, v1
	s_waitcnt lgkmcnt(0)
	v_add_u32_e32 v1, v10, v1
	ds_write_b32 v16, v1 offset:32
.LBB870_132:
	s_or_b64 exec, exec, s[2:3]
	s_waitcnt vmcnt(12)
	v_xor_b32_e32 v24, 0x80000000, v13
	v_lshrrev_b32_e32 v1, s56, v24
	v_and_b32_e32 v2, s15, v1
	v_lshl_add_u32 v1, v2, 3, v2
	v_add_lshl_u32 v31, v15, v1, 2
	v_and_b32_e32 v1, 1, v2
	v_add_co_u32_e32 v3, vcc, -1, v1
	v_addc_co_u32_e64 v17, s[2:3], 0, -1, vcc
	v_cmp_ne_u32_e32 vcc, 0, v1
	v_xor_b32_e32 v1, vcc_hi, v17
	v_and_b32_e32 v17, exec_hi, v1
	v_lshlrev_b32_e32 v1, 30, v2
	v_xor_b32_e32 v3, vcc_lo, v3
	v_cmp_gt_i64_e32 vcc, 0, v[0:1]
	v_not_b32_e32 v1, v1
	v_ashrrev_i32_e32 v1, 31, v1
	v_and_b32_e32 v3, exec_lo, v3
	v_xor_b32_e32 v29, vcc_hi, v1
	v_xor_b32_e32 v1, vcc_lo, v1
	v_and_b32_e32 v3, v3, v1
	v_lshlrev_b32_e32 v1, 29, v2
	v_cmp_gt_i64_e32 vcc, 0, v[0:1]
	v_not_b32_e32 v1, v1
	v_ashrrev_i32_e32 v1, 31, v1
	v_and_b32_e32 v17, v17, v29
	v_xor_b32_e32 v29, vcc_hi, v1
	v_xor_b32_e32 v1, vcc_lo, v1
	v_and_b32_e32 v3, v3, v1
	v_lshlrev_b32_e32 v1, 28, v2
	v_cmp_gt_i64_e32 vcc, 0, v[0:1]
	v_not_b32_e32 v1, v1
	v_ashrrev_i32_e32 v1, 31, v1
	v_and_b32_e32 v17, v17, v29
	;; [unrolled: 8-line block ×5, first 2 shown]
	v_xor_b32_e32 v29, vcc_hi, v1
	v_xor_b32_e32 v1, vcc_lo, v1
	v_and_b32_e32 v3, v3, v1
	v_lshlrev_b32_e32 v1, 24, v2
	v_cmp_gt_i64_e32 vcc, 0, v[0:1]
	v_not_b32_e32 v0, v1
	v_ashrrev_i32_e32 v0, 31, v0
	v_xor_b32_e32 v1, vcc_hi, v0
	v_xor_b32_e32 v0, vcc_lo, v0
	; wave barrier
	ds_read_b32 v13, v31 offset:32
	v_and_b32_e32 v17, v17, v29
	v_and_b32_e32 v0, v3, v0
	;; [unrolled: 1-line block ×3, first 2 shown]
	v_mbcnt_lo_u32_b32 v2, v0, 0
	v_mbcnt_hi_u32_b32 v17, v1, v2
	v_cmp_eq_u32_e32 vcc, 0, v17
	v_cmp_ne_u64_e64 s[2:3], 0, v[0:1]
	s_and_b64 s[4:5], s[2:3], vcc
	; wave barrier
	s_and_saveexec_b64 s[2:3], s[4:5]
	s_cbranch_execz .LBB870_134
; %bb.133:
	v_bcnt_u32_b32 v0, v0, 0
	v_bcnt_u32_b32 v0, v1, v0
	s_waitcnt lgkmcnt(0)
	v_add_u32_e32 v0, v13, v0
	ds_write_b32 v31, v0 offset:32
.LBB870_134:
	s_or_b64 exec, exec, s[2:3]
	s_waitcnt vmcnt(11)
	v_xor_b32_e32 v25, 0x80000000, v25
	v_lshrrev_b32_e32 v0, s56, v25
	v_and_b32_e32 v2, s15, v0
	v_and_b32_e32 v1, 1, v2
	v_add_co_u32_e32 v3, vcc, -1, v1
	v_addc_co_u32_e64 v33, s[2:3], 0, -1, vcc
	v_cmp_ne_u32_e32 vcc, 0, v1
	v_lshl_add_u32 v0, v2, 3, v2
	v_xor_b32_e32 v1, vcc_hi, v33
	v_add_lshl_u32 v36, v15, v0, 2
	v_mov_b32_e32 v0, 0
	v_and_b32_e32 v33, exec_hi, v1
	v_lshlrev_b32_e32 v1, 30, v2
	v_xor_b32_e32 v3, vcc_lo, v3
	v_cmp_gt_i64_e32 vcc, 0, v[0:1]
	v_not_b32_e32 v1, v1
	v_ashrrev_i32_e32 v1, 31, v1
	v_and_b32_e32 v3, exec_lo, v3
	v_xor_b32_e32 v34, vcc_hi, v1
	v_xor_b32_e32 v1, vcc_lo, v1
	v_and_b32_e32 v3, v3, v1
	v_lshlrev_b32_e32 v1, 29, v2
	v_cmp_gt_i64_e32 vcc, 0, v[0:1]
	v_not_b32_e32 v1, v1
	v_ashrrev_i32_e32 v1, 31, v1
	v_and_b32_e32 v33, v33, v34
	v_xor_b32_e32 v34, vcc_hi, v1
	v_xor_b32_e32 v1, vcc_lo, v1
	v_and_b32_e32 v3, v3, v1
	v_lshlrev_b32_e32 v1, 28, v2
	v_cmp_gt_i64_e32 vcc, 0, v[0:1]
	v_not_b32_e32 v1, v1
	v_ashrrev_i32_e32 v1, 31, v1
	v_and_b32_e32 v33, v33, v34
	;; [unrolled: 8-line block ×5, first 2 shown]
	v_xor_b32_e32 v34, vcc_hi, v1
	v_xor_b32_e32 v1, vcc_lo, v1
	v_and_b32_e32 v33, v33, v34
	v_and_b32_e32 v34, v3, v1
	v_lshlrev_b32_e32 v1, 24, v2
	v_cmp_gt_i64_e32 vcc, 0, v[0:1]
	v_not_b32_e32 v1, v1
	v_ashrrev_i32_e32 v1, 31, v1
	v_xor_b32_e32 v2, vcc_hi, v1
	v_xor_b32_e32 v1, vcc_lo, v1
	; wave barrier
	ds_read_b32 v29, v36 offset:32
	v_and_b32_e32 v3, v33, v2
	v_and_b32_e32 v2, v34, v1
	v_mbcnt_lo_u32_b32 v1, v2, 0
	v_mbcnt_hi_u32_b32 v33, v3, v1
	v_cmp_eq_u32_e32 vcc, 0, v33
	v_cmp_ne_u64_e64 s[2:3], 0, v[2:3]
	s_and_b64 s[4:5], s[2:3], vcc
	; wave barrier
	s_and_saveexec_b64 s[2:3], s[4:5]
	s_cbranch_execz .LBB870_136
; %bb.135:
	v_bcnt_u32_b32 v1, v2, 0
	v_bcnt_u32_b32 v1, v3, v1
	s_waitcnt lgkmcnt(0)
	v_add_u32_e32 v1, v29, v1
	ds_write_b32 v36, v1 offset:32
.LBB870_136:
	s_or_b64 exec, exec, s[2:3]
	s_waitcnt vmcnt(10)
	v_xor_b32_e32 v26, 0x80000000, v26
	v_lshrrev_b32_e32 v1, s56, v26
	v_and_b32_e32 v2, s15, v1
	v_lshl_add_u32 v1, v2, 3, v2
	v_add_lshl_u32 v41, v15, v1, 2
	v_and_b32_e32 v1, 1, v2
	v_add_co_u32_e32 v3, vcc, -1, v1
	v_addc_co_u32_e64 v38, s[2:3], 0, -1, vcc
	v_cmp_ne_u32_e32 vcc, 0, v1
	v_xor_b32_e32 v1, vcc_hi, v38
	v_and_b32_e32 v38, exec_hi, v1
	v_lshlrev_b32_e32 v1, 30, v2
	v_xor_b32_e32 v3, vcc_lo, v3
	v_cmp_gt_i64_e32 vcc, 0, v[0:1]
	v_not_b32_e32 v1, v1
	v_ashrrev_i32_e32 v1, 31, v1
	v_and_b32_e32 v3, exec_lo, v3
	v_xor_b32_e32 v39, vcc_hi, v1
	v_xor_b32_e32 v1, vcc_lo, v1
	v_and_b32_e32 v3, v3, v1
	v_lshlrev_b32_e32 v1, 29, v2
	v_cmp_gt_i64_e32 vcc, 0, v[0:1]
	v_not_b32_e32 v1, v1
	v_ashrrev_i32_e32 v1, 31, v1
	v_and_b32_e32 v38, v38, v39
	v_xor_b32_e32 v39, vcc_hi, v1
	v_xor_b32_e32 v1, vcc_lo, v1
	v_and_b32_e32 v3, v3, v1
	v_lshlrev_b32_e32 v1, 28, v2
	v_cmp_gt_i64_e32 vcc, 0, v[0:1]
	v_not_b32_e32 v1, v1
	v_ashrrev_i32_e32 v1, 31, v1
	v_and_b32_e32 v38, v38, v39
	;; [unrolled: 8-line block ×5, first 2 shown]
	v_xor_b32_e32 v39, vcc_hi, v1
	v_xor_b32_e32 v1, vcc_lo, v1
	v_and_b32_e32 v3, v3, v1
	v_lshlrev_b32_e32 v1, 24, v2
	v_cmp_gt_i64_e32 vcc, 0, v[0:1]
	v_not_b32_e32 v0, v1
	v_ashrrev_i32_e32 v0, 31, v0
	v_xor_b32_e32 v1, vcc_hi, v0
	v_xor_b32_e32 v0, vcc_lo, v0
	; wave barrier
	ds_read_b32 v34, v41 offset:32
	v_and_b32_e32 v38, v38, v39
	v_and_b32_e32 v0, v3, v0
	;; [unrolled: 1-line block ×3, first 2 shown]
	v_mbcnt_lo_u32_b32 v2, v0, 0
	v_mbcnt_hi_u32_b32 v38, v1, v2
	v_cmp_eq_u32_e32 vcc, 0, v38
	v_cmp_ne_u64_e64 s[2:3], 0, v[0:1]
	s_and_b64 s[4:5], s[2:3], vcc
	; wave barrier
	s_and_saveexec_b64 s[2:3], s[4:5]
	s_cbranch_execz .LBB870_138
; %bb.137:
	v_bcnt_u32_b32 v0, v0, 0
	v_bcnt_u32_b32 v0, v1, v0
	s_waitcnt lgkmcnt(0)
	v_add_u32_e32 v0, v34, v0
	ds_write_b32 v41, v0 offset:32
.LBB870_138:
	s_or_b64 exec, exec, s[2:3]
	s_waitcnt vmcnt(9)
	v_xor_b32_e32 v27, 0x80000000, v27
	v_lshrrev_b32_e32 v0, s56, v27
	v_and_b32_e32 v2, s15, v0
	v_and_b32_e32 v1, 1, v2
	v_add_co_u32_e32 v3, vcc, -1, v1
	v_addc_co_u32_e64 v43, s[2:3], 0, -1, vcc
	v_cmp_ne_u32_e32 vcc, 0, v1
	v_lshl_add_u32 v0, v2, 3, v2
	v_xor_b32_e32 v1, vcc_hi, v43
	v_add_lshl_u32 v46, v15, v0, 2
	v_mov_b32_e32 v0, 0
	v_and_b32_e32 v43, exec_hi, v1
	v_lshlrev_b32_e32 v1, 30, v2
	v_xor_b32_e32 v3, vcc_lo, v3
	v_cmp_gt_i64_e32 vcc, 0, v[0:1]
	v_not_b32_e32 v1, v1
	v_ashrrev_i32_e32 v1, 31, v1
	v_and_b32_e32 v3, exec_lo, v3
	v_xor_b32_e32 v44, vcc_hi, v1
	v_xor_b32_e32 v1, vcc_lo, v1
	v_and_b32_e32 v3, v3, v1
	v_lshlrev_b32_e32 v1, 29, v2
	v_cmp_gt_i64_e32 vcc, 0, v[0:1]
	v_not_b32_e32 v1, v1
	v_ashrrev_i32_e32 v1, 31, v1
	v_and_b32_e32 v43, v43, v44
	v_xor_b32_e32 v44, vcc_hi, v1
	v_xor_b32_e32 v1, vcc_lo, v1
	v_and_b32_e32 v3, v3, v1
	v_lshlrev_b32_e32 v1, 28, v2
	v_cmp_gt_i64_e32 vcc, 0, v[0:1]
	v_not_b32_e32 v1, v1
	v_ashrrev_i32_e32 v1, 31, v1
	v_and_b32_e32 v43, v43, v44
	;; [unrolled: 8-line block ×5, first 2 shown]
	v_xor_b32_e32 v44, vcc_hi, v1
	v_xor_b32_e32 v1, vcc_lo, v1
	v_and_b32_e32 v43, v43, v44
	v_and_b32_e32 v44, v3, v1
	v_lshlrev_b32_e32 v1, 24, v2
	v_cmp_gt_i64_e32 vcc, 0, v[0:1]
	v_not_b32_e32 v1, v1
	v_ashrrev_i32_e32 v1, 31, v1
	v_xor_b32_e32 v2, vcc_hi, v1
	v_xor_b32_e32 v1, vcc_lo, v1
	; wave barrier
	ds_read_b32 v39, v46 offset:32
	v_and_b32_e32 v3, v43, v2
	v_and_b32_e32 v2, v44, v1
	v_mbcnt_lo_u32_b32 v1, v2, 0
	v_mbcnt_hi_u32_b32 v43, v3, v1
	v_cmp_eq_u32_e32 vcc, 0, v43
	v_cmp_ne_u64_e64 s[2:3], 0, v[2:3]
	s_and_b64 s[4:5], s[2:3], vcc
	; wave barrier
	s_and_saveexec_b64 s[2:3], s[4:5]
	s_cbranch_execz .LBB870_140
; %bb.139:
	v_bcnt_u32_b32 v1, v2, 0
	v_bcnt_u32_b32 v1, v3, v1
	s_waitcnt lgkmcnt(0)
	v_add_u32_e32 v1, v39, v1
	ds_write_b32 v46, v1 offset:32
.LBB870_140:
	s_or_b64 exec, exec, s[2:3]
	s_waitcnt vmcnt(8)
	v_xor_b32_e32 v28, 0x80000000, v28
	v_lshrrev_b32_e32 v1, s56, v28
	v_and_b32_e32 v2, s15, v1
	v_lshl_add_u32 v1, v2, 3, v2
	v_add_lshl_u32 v49, v15, v1, 2
	v_and_b32_e32 v1, 1, v2
	v_add_co_u32_e32 v3, vcc, -1, v1
	v_addc_co_u32_e64 v47, s[2:3], 0, -1, vcc
	v_cmp_ne_u32_e32 vcc, 0, v1
	v_xor_b32_e32 v1, vcc_hi, v47
	v_and_b32_e32 v47, exec_hi, v1
	v_lshlrev_b32_e32 v1, 30, v2
	v_xor_b32_e32 v3, vcc_lo, v3
	v_cmp_gt_i64_e32 vcc, 0, v[0:1]
	v_not_b32_e32 v1, v1
	v_ashrrev_i32_e32 v1, 31, v1
	v_and_b32_e32 v3, exec_lo, v3
	v_xor_b32_e32 v48, vcc_hi, v1
	v_xor_b32_e32 v1, vcc_lo, v1
	v_and_b32_e32 v3, v3, v1
	v_lshlrev_b32_e32 v1, 29, v2
	v_cmp_gt_i64_e32 vcc, 0, v[0:1]
	v_not_b32_e32 v1, v1
	v_ashrrev_i32_e32 v1, 31, v1
	v_and_b32_e32 v47, v47, v48
	v_xor_b32_e32 v48, vcc_hi, v1
	v_xor_b32_e32 v1, vcc_lo, v1
	v_and_b32_e32 v3, v3, v1
	v_lshlrev_b32_e32 v1, 28, v2
	v_cmp_gt_i64_e32 vcc, 0, v[0:1]
	v_not_b32_e32 v1, v1
	v_ashrrev_i32_e32 v1, 31, v1
	v_and_b32_e32 v47, v47, v48
	v_xor_b32_e32 v48, vcc_hi, v1
	v_xor_b32_e32 v1, vcc_lo, v1
	v_and_b32_e32 v3, v3, v1
	v_lshlrev_b32_e32 v1, 27, v2
	v_cmp_gt_i64_e32 vcc, 0, v[0:1]
	v_not_b32_e32 v1, v1
	v_ashrrev_i32_e32 v1, 31, v1
	v_and_b32_e32 v47, v47, v48
	v_xor_b32_e32 v48, vcc_hi, v1
	v_xor_b32_e32 v1, vcc_lo, v1
	v_and_b32_e32 v3, v3, v1
	v_lshlrev_b32_e32 v1, 26, v2
	v_cmp_gt_i64_e32 vcc, 0, v[0:1]
	v_not_b32_e32 v1, v1
	v_ashrrev_i32_e32 v1, 31, v1
	v_and_b32_e32 v47, v47, v48
	v_xor_b32_e32 v48, vcc_hi, v1
	v_xor_b32_e32 v1, vcc_lo, v1
	v_and_b32_e32 v3, v3, v1
	v_lshlrev_b32_e32 v1, 25, v2
	v_cmp_gt_i64_e32 vcc, 0, v[0:1]
	v_not_b32_e32 v1, v1
	v_ashrrev_i32_e32 v1, 31, v1
	v_and_b32_e32 v47, v47, v48
	v_xor_b32_e32 v48, vcc_hi, v1
	v_xor_b32_e32 v1, vcc_lo, v1
	v_and_b32_e32 v3, v3, v1
	v_lshlrev_b32_e32 v1, 24, v2
	v_cmp_gt_i64_e32 vcc, 0, v[0:1]
	v_not_b32_e32 v0, v1
	v_ashrrev_i32_e32 v0, 31, v0
	v_xor_b32_e32 v1, vcc_hi, v0
	v_xor_b32_e32 v0, vcc_lo, v0
	; wave barrier
	ds_read_b32 v44, v49 offset:32
	v_and_b32_e32 v47, v47, v48
	v_and_b32_e32 v0, v3, v0
	;; [unrolled: 1-line block ×3, first 2 shown]
	v_mbcnt_lo_u32_b32 v2, v0, 0
	v_mbcnt_hi_u32_b32 v47, v1, v2
	v_cmp_eq_u32_e32 vcc, 0, v47
	v_cmp_ne_u64_e64 s[2:3], 0, v[0:1]
	s_and_b64 s[4:5], s[2:3], vcc
	; wave barrier
	s_and_saveexec_b64 s[2:3], s[4:5]
	s_cbranch_execz .LBB870_142
; %bb.141:
	v_bcnt_u32_b32 v0, v0, 0
	v_bcnt_u32_b32 v0, v1, v0
	s_waitcnt lgkmcnt(0)
	v_add_u32_e32 v0, v44, v0
	ds_write_b32 v49, v0 offset:32
.LBB870_142:
	s_or_b64 exec, exec, s[2:3]
	s_waitcnt vmcnt(7)
	v_xor_b32_e32 v32, 0x80000000, v32
	v_lshrrev_b32_e32 v0, s56, v32
	v_and_b32_e32 v2, s15, v0
	v_and_b32_e32 v1, 1, v2
	v_add_co_u32_e32 v3, vcc, -1, v1
	v_addc_co_u32_e64 v50, s[2:3], 0, -1, vcc
	v_cmp_ne_u32_e32 vcc, 0, v1
	v_lshl_add_u32 v0, v2, 3, v2
	v_xor_b32_e32 v1, vcc_hi, v50
	v_add_lshl_u32 v52, v15, v0, 2
	v_mov_b32_e32 v0, 0
	v_and_b32_e32 v50, exec_hi, v1
	v_lshlrev_b32_e32 v1, 30, v2
	v_xor_b32_e32 v3, vcc_lo, v3
	v_cmp_gt_i64_e32 vcc, 0, v[0:1]
	v_not_b32_e32 v1, v1
	v_ashrrev_i32_e32 v1, 31, v1
	v_and_b32_e32 v3, exec_lo, v3
	v_xor_b32_e32 v51, vcc_hi, v1
	v_xor_b32_e32 v1, vcc_lo, v1
	v_and_b32_e32 v3, v3, v1
	v_lshlrev_b32_e32 v1, 29, v2
	v_cmp_gt_i64_e32 vcc, 0, v[0:1]
	v_not_b32_e32 v1, v1
	v_ashrrev_i32_e32 v1, 31, v1
	v_and_b32_e32 v50, v50, v51
	v_xor_b32_e32 v51, vcc_hi, v1
	v_xor_b32_e32 v1, vcc_lo, v1
	v_and_b32_e32 v3, v3, v1
	v_lshlrev_b32_e32 v1, 28, v2
	v_cmp_gt_i64_e32 vcc, 0, v[0:1]
	v_not_b32_e32 v1, v1
	v_ashrrev_i32_e32 v1, 31, v1
	v_and_b32_e32 v50, v50, v51
	;; [unrolled: 8-line block ×5, first 2 shown]
	v_xor_b32_e32 v51, vcc_hi, v1
	v_xor_b32_e32 v1, vcc_lo, v1
	v_and_b32_e32 v50, v50, v51
	v_and_b32_e32 v51, v3, v1
	v_lshlrev_b32_e32 v1, 24, v2
	v_cmp_gt_i64_e32 vcc, 0, v[0:1]
	v_not_b32_e32 v1, v1
	v_ashrrev_i32_e32 v1, 31, v1
	v_xor_b32_e32 v2, vcc_hi, v1
	v_xor_b32_e32 v1, vcc_lo, v1
	; wave barrier
	ds_read_b32 v48, v52 offset:32
	v_and_b32_e32 v3, v50, v2
	v_and_b32_e32 v2, v51, v1
	v_mbcnt_lo_u32_b32 v1, v2, 0
	v_mbcnt_hi_u32_b32 v50, v3, v1
	v_cmp_eq_u32_e32 vcc, 0, v50
	v_cmp_ne_u64_e64 s[2:3], 0, v[2:3]
	s_and_b64 s[4:5], s[2:3], vcc
	; wave barrier
	s_and_saveexec_b64 s[2:3], s[4:5]
	s_cbranch_execz .LBB870_144
; %bb.143:
	v_bcnt_u32_b32 v1, v2, 0
	v_bcnt_u32_b32 v1, v3, v1
	s_waitcnt lgkmcnt(0)
	v_add_u32_e32 v1, v48, v1
	ds_write_b32 v52, v1 offset:32
.LBB870_144:
	s_or_b64 exec, exec, s[2:3]
	s_waitcnt vmcnt(6)
	v_xor_b32_e32 v37, 0x80000000, v37
	v_lshrrev_b32_e32 v1, s56, v37
	v_and_b32_e32 v2, s15, v1
	v_lshl_add_u32 v1, v2, 3, v2
	v_add_lshl_u32 v55, v15, v1, 2
	v_and_b32_e32 v1, 1, v2
	v_add_co_u32_e32 v3, vcc, -1, v1
	v_addc_co_u32_e64 v53, s[2:3], 0, -1, vcc
	v_cmp_ne_u32_e32 vcc, 0, v1
	v_xor_b32_e32 v1, vcc_hi, v53
	v_and_b32_e32 v53, exec_hi, v1
	v_lshlrev_b32_e32 v1, 30, v2
	v_xor_b32_e32 v3, vcc_lo, v3
	v_cmp_gt_i64_e32 vcc, 0, v[0:1]
	v_not_b32_e32 v1, v1
	v_ashrrev_i32_e32 v1, 31, v1
	v_and_b32_e32 v3, exec_lo, v3
	v_xor_b32_e32 v54, vcc_hi, v1
	v_xor_b32_e32 v1, vcc_lo, v1
	v_and_b32_e32 v3, v3, v1
	v_lshlrev_b32_e32 v1, 29, v2
	v_cmp_gt_i64_e32 vcc, 0, v[0:1]
	v_not_b32_e32 v1, v1
	v_ashrrev_i32_e32 v1, 31, v1
	v_and_b32_e32 v53, v53, v54
	v_xor_b32_e32 v54, vcc_hi, v1
	v_xor_b32_e32 v1, vcc_lo, v1
	v_and_b32_e32 v3, v3, v1
	v_lshlrev_b32_e32 v1, 28, v2
	v_cmp_gt_i64_e32 vcc, 0, v[0:1]
	v_not_b32_e32 v1, v1
	v_ashrrev_i32_e32 v1, 31, v1
	v_and_b32_e32 v53, v53, v54
	;; [unrolled: 8-line block ×5, first 2 shown]
	v_xor_b32_e32 v54, vcc_hi, v1
	v_xor_b32_e32 v1, vcc_lo, v1
	v_and_b32_e32 v3, v3, v1
	v_lshlrev_b32_e32 v1, 24, v2
	v_cmp_gt_i64_e32 vcc, 0, v[0:1]
	v_not_b32_e32 v0, v1
	v_ashrrev_i32_e32 v0, 31, v0
	v_xor_b32_e32 v1, vcc_hi, v0
	v_xor_b32_e32 v0, vcc_lo, v0
	; wave barrier
	ds_read_b32 v51, v55 offset:32
	v_and_b32_e32 v53, v53, v54
	v_and_b32_e32 v0, v3, v0
	;; [unrolled: 1-line block ×3, first 2 shown]
	v_mbcnt_lo_u32_b32 v2, v0, 0
	v_mbcnt_hi_u32_b32 v53, v1, v2
	v_cmp_eq_u32_e32 vcc, 0, v53
	v_cmp_ne_u64_e64 s[2:3], 0, v[0:1]
	s_and_b64 s[4:5], s[2:3], vcc
	; wave barrier
	s_and_saveexec_b64 s[2:3], s[4:5]
	s_cbranch_execz .LBB870_146
; %bb.145:
	v_bcnt_u32_b32 v0, v0, 0
	v_bcnt_u32_b32 v0, v1, v0
	s_waitcnt lgkmcnt(0)
	v_add_u32_e32 v0, v51, v0
	ds_write_b32 v55, v0 offset:32
.LBB870_146:
	s_or_b64 exec, exec, s[2:3]
	s_waitcnt vmcnt(5)
	v_xor_b32_e32 v42, 0x80000000, v42
	v_lshrrev_b32_e32 v0, s56, v42
	v_and_b32_e32 v2, s15, v0
	v_and_b32_e32 v1, 1, v2
	v_add_co_u32_e32 v3, vcc, -1, v1
	v_addc_co_u32_e64 v56, s[2:3], 0, -1, vcc
	v_cmp_ne_u32_e32 vcc, 0, v1
	v_lshl_add_u32 v0, v2, 3, v2
	v_xor_b32_e32 v1, vcc_hi, v56
	v_add_lshl_u32 v58, v15, v0, 2
	v_mov_b32_e32 v0, 0
	v_and_b32_e32 v56, exec_hi, v1
	v_lshlrev_b32_e32 v1, 30, v2
	v_xor_b32_e32 v3, vcc_lo, v3
	v_cmp_gt_i64_e32 vcc, 0, v[0:1]
	v_not_b32_e32 v1, v1
	v_ashrrev_i32_e32 v1, 31, v1
	v_and_b32_e32 v3, exec_lo, v3
	v_xor_b32_e32 v57, vcc_hi, v1
	v_xor_b32_e32 v1, vcc_lo, v1
	v_and_b32_e32 v3, v3, v1
	v_lshlrev_b32_e32 v1, 29, v2
	v_cmp_gt_i64_e32 vcc, 0, v[0:1]
	v_not_b32_e32 v1, v1
	v_ashrrev_i32_e32 v1, 31, v1
	v_and_b32_e32 v56, v56, v57
	v_xor_b32_e32 v57, vcc_hi, v1
	v_xor_b32_e32 v1, vcc_lo, v1
	v_and_b32_e32 v3, v3, v1
	v_lshlrev_b32_e32 v1, 28, v2
	v_cmp_gt_i64_e32 vcc, 0, v[0:1]
	v_not_b32_e32 v1, v1
	v_ashrrev_i32_e32 v1, 31, v1
	v_and_b32_e32 v56, v56, v57
	;; [unrolled: 8-line block ×5, first 2 shown]
	v_xor_b32_e32 v57, vcc_hi, v1
	v_xor_b32_e32 v1, vcc_lo, v1
	v_and_b32_e32 v56, v56, v57
	v_and_b32_e32 v57, v3, v1
	v_lshlrev_b32_e32 v1, 24, v2
	v_cmp_gt_i64_e32 vcc, 0, v[0:1]
	v_not_b32_e32 v1, v1
	v_ashrrev_i32_e32 v1, 31, v1
	v_xor_b32_e32 v2, vcc_hi, v1
	v_xor_b32_e32 v1, vcc_lo, v1
	; wave barrier
	ds_read_b32 v54, v58 offset:32
	v_and_b32_e32 v3, v56, v2
	v_and_b32_e32 v2, v57, v1
	v_mbcnt_lo_u32_b32 v1, v2, 0
	v_mbcnt_hi_u32_b32 v56, v3, v1
	v_cmp_eq_u32_e32 vcc, 0, v56
	v_cmp_ne_u64_e64 s[2:3], 0, v[2:3]
	s_and_b64 s[4:5], s[2:3], vcc
	; wave barrier
	s_and_saveexec_b64 s[2:3], s[4:5]
	s_cbranch_execz .LBB870_148
; %bb.147:
	v_bcnt_u32_b32 v1, v2, 0
	v_bcnt_u32_b32 v1, v3, v1
	s_waitcnt lgkmcnt(0)
	v_add_u32_e32 v1, v54, v1
	ds_write_b32 v58, v1 offset:32
.LBB870_148:
	s_or_b64 exec, exec, s[2:3]
	s_waitcnt vmcnt(4)
	v_xor_b32_e32 v45, 0x80000000, v45
	v_lshrrev_b32_e32 v1, s56, v45
	v_and_b32_e32 v2, s15, v1
	v_lshl_add_u32 v1, v2, 3, v2
	v_add_lshl_u32 v62, v15, v1, 2
	v_and_b32_e32 v1, 1, v2
	v_add_co_u32_e32 v3, vcc, -1, v1
	v_addc_co_u32_e64 v59, s[2:3], 0, -1, vcc
	v_cmp_ne_u32_e32 vcc, 0, v1
	v_xor_b32_e32 v1, vcc_hi, v59
	v_and_b32_e32 v59, exec_hi, v1
	v_lshlrev_b32_e32 v1, 30, v2
	v_xor_b32_e32 v3, vcc_lo, v3
	v_cmp_gt_i64_e32 vcc, 0, v[0:1]
	v_not_b32_e32 v1, v1
	v_ashrrev_i32_e32 v1, 31, v1
	v_and_b32_e32 v3, exec_lo, v3
	v_xor_b32_e32 v60, vcc_hi, v1
	v_xor_b32_e32 v1, vcc_lo, v1
	v_and_b32_e32 v3, v3, v1
	v_lshlrev_b32_e32 v1, 29, v2
	v_cmp_gt_i64_e32 vcc, 0, v[0:1]
	v_not_b32_e32 v1, v1
	v_ashrrev_i32_e32 v1, 31, v1
	v_and_b32_e32 v59, v59, v60
	v_xor_b32_e32 v60, vcc_hi, v1
	v_xor_b32_e32 v1, vcc_lo, v1
	v_and_b32_e32 v3, v3, v1
	v_lshlrev_b32_e32 v1, 28, v2
	v_cmp_gt_i64_e32 vcc, 0, v[0:1]
	v_not_b32_e32 v1, v1
	v_ashrrev_i32_e32 v1, 31, v1
	v_and_b32_e32 v59, v59, v60
	;; [unrolled: 8-line block ×5, first 2 shown]
	v_xor_b32_e32 v60, vcc_hi, v1
	v_xor_b32_e32 v1, vcc_lo, v1
	v_and_b32_e32 v3, v3, v1
	v_lshlrev_b32_e32 v1, 24, v2
	v_cmp_gt_i64_e32 vcc, 0, v[0:1]
	v_not_b32_e32 v0, v1
	v_ashrrev_i32_e32 v0, 31, v0
	v_xor_b32_e32 v1, vcc_hi, v0
	v_xor_b32_e32 v0, vcc_lo, v0
	; wave barrier
	ds_read_b32 v57, v62 offset:32
	v_and_b32_e32 v59, v59, v60
	v_and_b32_e32 v0, v3, v0
	;; [unrolled: 1-line block ×3, first 2 shown]
	v_mbcnt_lo_u32_b32 v2, v0, 0
	v_mbcnt_hi_u32_b32 v60, v1, v2
	v_cmp_eq_u32_e32 vcc, 0, v60
	v_cmp_ne_u64_e64 s[2:3], 0, v[0:1]
	s_and_b64 s[4:5], s[2:3], vcc
	; wave barrier
	s_and_saveexec_b64 s[2:3], s[4:5]
	s_cbranch_execz .LBB870_150
; %bb.149:
	v_bcnt_u32_b32 v0, v0, 0
	v_bcnt_u32_b32 v0, v1, v0
	s_waitcnt lgkmcnt(0)
	v_add_u32_e32 v0, v57, v0
	ds_write_b32 v62, v0 offset:32
.LBB870_150:
	s_or_b64 exec, exec, s[2:3]
	s_waitcnt vmcnt(3)
	v_xor_b32_e32 v40, 0x80000000, v40
	v_lshrrev_b32_e32 v0, s56, v40
	v_and_b32_e32 v2, s15, v0
	v_and_b32_e32 v1, 1, v2
	v_add_co_u32_e32 v3, vcc, -1, v1
	v_addc_co_u32_e64 v59, s[2:3], 0, -1, vcc
	v_cmp_ne_u32_e32 vcc, 0, v1
	v_lshl_add_u32 v0, v2, 3, v2
	v_xor_b32_e32 v1, vcc_hi, v59
	v_add_lshl_u32 v64, v15, v0, 2
	v_mov_b32_e32 v0, 0
	v_and_b32_e32 v59, exec_hi, v1
	v_lshlrev_b32_e32 v1, 30, v2
	v_xor_b32_e32 v3, vcc_lo, v3
	v_cmp_gt_i64_e32 vcc, 0, v[0:1]
	v_not_b32_e32 v1, v1
	v_ashrrev_i32_e32 v1, 31, v1
	v_and_b32_e32 v3, exec_lo, v3
	v_xor_b32_e32 v63, vcc_hi, v1
	v_xor_b32_e32 v1, vcc_lo, v1
	v_and_b32_e32 v3, v3, v1
	v_lshlrev_b32_e32 v1, 29, v2
	v_cmp_gt_i64_e32 vcc, 0, v[0:1]
	v_not_b32_e32 v1, v1
	v_ashrrev_i32_e32 v1, 31, v1
	v_and_b32_e32 v59, v59, v63
	v_xor_b32_e32 v63, vcc_hi, v1
	v_xor_b32_e32 v1, vcc_lo, v1
	v_and_b32_e32 v3, v3, v1
	v_lshlrev_b32_e32 v1, 28, v2
	v_cmp_gt_i64_e32 vcc, 0, v[0:1]
	v_not_b32_e32 v1, v1
	v_ashrrev_i32_e32 v1, 31, v1
	v_and_b32_e32 v59, v59, v63
	;; [unrolled: 8-line block ×5, first 2 shown]
	v_xor_b32_e32 v63, vcc_hi, v1
	v_xor_b32_e32 v1, vcc_lo, v1
	v_and_b32_e32 v59, v59, v63
	v_and_b32_e32 v63, v3, v1
	v_lshlrev_b32_e32 v1, 24, v2
	v_cmp_gt_i64_e32 vcc, 0, v[0:1]
	v_not_b32_e32 v1, v1
	v_ashrrev_i32_e32 v1, 31, v1
	v_xor_b32_e32 v2, vcc_hi, v1
	v_xor_b32_e32 v1, vcc_lo, v1
	; wave barrier
	ds_read_b32 v61, v64 offset:32
	v_and_b32_e32 v3, v59, v2
	v_and_b32_e32 v2, v63, v1
	v_mbcnt_lo_u32_b32 v1, v2, 0
	v_mbcnt_hi_u32_b32 v63, v3, v1
	v_cmp_eq_u32_e32 vcc, 0, v63
	v_cmp_ne_u64_e64 s[2:3], 0, v[2:3]
	s_and_b64 s[4:5], s[2:3], vcc
	; wave barrier
	s_and_saveexec_b64 s[2:3], s[4:5]
	s_cbranch_execz .LBB870_152
; %bb.151:
	v_bcnt_u32_b32 v1, v2, 0
	v_bcnt_u32_b32 v1, v3, v1
	s_waitcnt lgkmcnt(0)
	v_add_u32_e32 v1, v61, v1
	ds_write_b32 v64, v1 offset:32
.LBB870_152:
	s_or_b64 exec, exec, s[2:3]
	s_waitcnt vmcnt(2)
	v_xor_b32_e32 v35, 0x80000000, v35
	v_lshrrev_b32_e32 v1, s56, v35
	v_and_b32_e32 v2, s15, v1
	v_lshl_add_u32 v1, v2, 3, v2
	v_add_lshl_u32 v68, v15, v1, 2
	v_and_b32_e32 v1, 1, v2
	v_add_co_u32_e32 v3, vcc, -1, v1
	v_addc_co_u32_e64 v59, s[2:3], 0, -1, vcc
	v_cmp_ne_u32_e32 vcc, 0, v1
	v_xor_b32_e32 v1, vcc_hi, v59
	v_and_b32_e32 v59, exec_hi, v1
	v_lshlrev_b32_e32 v1, 30, v2
	v_xor_b32_e32 v3, vcc_lo, v3
	v_cmp_gt_i64_e32 vcc, 0, v[0:1]
	v_not_b32_e32 v1, v1
	v_ashrrev_i32_e32 v1, 31, v1
	v_and_b32_e32 v3, exec_lo, v3
	v_xor_b32_e32 v66, vcc_hi, v1
	v_xor_b32_e32 v1, vcc_lo, v1
	v_and_b32_e32 v3, v3, v1
	v_lshlrev_b32_e32 v1, 29, v2
	v_cmp_gt_i64_e32 vcc, 0, v[0:1]
	v_not_b32_e32 v1, v1
	v_ashrrev_i32_e32 v1, 31, v1
	v_and_b32_e32 v59, v59, v66
	v_xor_b32_e32 v66, vcc_hi, v1
	v_xor_b32_e32 v1, vcc_lo, v1
	v_and_b32_e32 v3, v3, v1
	v_lshlrev_b32_e32 v1, 28, v2
	v_cmp_gt_i64_e32 vcc, 0, v[0:1]
	v_not_b32_e32 v1, v1
	v_ashrrev_i32_e32 v1, 31, v1
	v_and_b32_e32 v59, v59, v66
	;; [unrolled: 8-line block ×5, first 2 shown]
	v_xor_b32_e32 v66, vcc_hi, v1
	v_xor_b32_e32 v1, vcc_lo, v1
	v_and_b32_e32 v3, v3, v1
	v_lshlrev_b32_e32 v1, 24, v2
	v_cmp_gt_i64_e32 vcc, 0, v[0:1]
	v_not_b32_e32 v0, v1
	v_ashrrev_i32_e32 v0, 31, v0
	v_xor_b32_e32 v1, vcc_hi, v0
	v_xor_b32_e32 v0, vcc_lo, v0
	; wave barrier
	ds_read_b32 v65, v68 offset:32
	v_and_b32_e32 v59, v59, v66
	v_and_b32_e32 v0, v3, v0
	;; [unrolled: 1-line block ×3, first 2 shown]
	v_mbcnt_lo_u32_b32 v2, v0, 0
	v_mbcnt_hi_u32_b32 v66, v1, v2
	v_cmp_eq_u32_e32 vcc, 0, v66
	v_cmp_ne_u64_e64 s[2:3], 0, v[0:1]
	s_and_b64 s[4:5], s[2:3], vcc
	; wave barrier
	s_and_saveexec_b64 s[2:3], s[4:5]
	s_cbranch_execz .LBB870_154
; %bb.153:
	v_bcnt_u32_b32 v0, v0, 0
	v_bcnt_u32_b32 v0, v1, v0
	s_waitcnt lgkmcnt(0)
	v_add_u32_e32 v0, v65, v0
	ds_write_b32 v68, v0 offset:32
.LBB870_154:
	s_or_b64 exec, exec, s[2:3]
	s_waitcnt vmcnt(1)
	v_xor_b32_e32 v30, 0x80000000, v30
	v_lshrrev_b32_e32 v0, s56, v30
	v_and_b32_e32 v2, s15, v0
	v_and_b32_e32 v1, 1, v2
	v_add_co_u32_e32 v3, vcc, -1, v1
	v_addc_co_u32_e64 v59, s[2:3], 0, -1, vcc
	v_cmp_ne_u32_e32 vcc, 0, v1
	v_lshl_add_u32 v0, v2, 3, v2
	v_xor_b32_e32 v1, vcc_hi, v59
	v_add_lshl_u32 v70, v15, v0, 2
	v_mov_b32_e32 v0, 0
	v_and_b32_e32 v59, exec_hi, v1
	v_lshlrev_b32_e32 v1, 30, v2
	v_xor_b32_e32 v3, vcc_lo, v3
	v_cmp_gt_i64_e32 vcc, 0, v[0:1]
	v_not_b32_e32 v1, v1
	v_ashrrev_i32_e32 v1, 31, v1
	v_and_b32_e32 v3, exec_lo, v3
	v_xor_b32_e32 v69, vcc_hi, v1
	v_xor_b32_e32 v1, vcc_lo, v1
	v_and_b32_e32 v3, v3, v1
	v_lshlrev_b32_e32 v1, 29, v2
	v_cmp_gt_i64_e32 vcc, 0, v[0:1]
	v_not_b32_e32 v1, v1
	v_ashrrev_i32_e32 v1, 31, v1
	v_and_b32_e32 v59, v59, v69
	v_xor_b32_e32 v69, vcc_hi, v1
	v_xor_b32_e32 v1, vcc_lo, v1
	v_and_b32_e32 v3, v3, v1
	v_lshlrev_b32_e32 v1, 28, v2
	v_cmp_gt_i64_e32 vcc, 0, v[0:1]
	v_not_b32_e32 v1, v1
	v_ashrrev_i32_e32 v1, 31, v1
	v_and_b32_e32 v59, v59, v69
	;; [unrolled: 8-line block ×5, first 2 shown]
	v_xor_b32_e32 v69, vcc_hi, v1
	v_xor_b32_e32 v1, vcc_lo, v1
	v_and_b32_e32 v59, v59, v69
	v_and_b32_e32 v69, v3, v1
	v_lshlrev_b32_e32 v1, 24, v2
	v_cmp_gt_i64_e32 vcc, 0, v[0:1]
	v_not_b32_e32 v1, v1
	v_ashrrev_i32_e32 v1, 31, v1
	v_xor_b32_e32 v2, vcc_hi, v1
	v_xor_b32_e32 v1, vcc_lo, v1
	; wave barrier
	ds_read_b32 v67, v70 offset:32
	v_and_b32_e32 v3, v59, v2
	v_and_b32_e32 v2, v69, v1
	v_mbcnt_lo_u32_b32 v1, v2, 0
	v_mbcnt_hi_u32_b32 v69, v3, v1
	v_cmp_eq_u32_e32 vcc, 0, v69
	v_cmp_ne_u64_e64 s[2:3], 0, v[2:3]
	s_and_b64 s[4:5], s[2:3], vcc
	; wave barrier
	s_and_saveexec_b64 s[2:3], s[4:5]
	s_cbranch_execz .LBB870_156
; %bb.155:
	v_bcnt_u32_b32 v1, v2, 0
	v_bcnt_u32_b32 v1, v3, v1
	s_waitcnt lgkmcnt(0)
	v_add_u32_e32 v1, v67, v1
	ds_write_b32 v70, v1 offset:32
.LBB870_156:
	s_or_b64 exec, exec, s[2:3]
	s_waitcnt vmcnt(0)
	v_xor_b32_e32 v59, 0x80000000, v14
	v_lshrrev_b32_e32 v1, s56, v59
	v_and_b32_e32 v2, s15, v1
	v_lshl_add_u32 v1, v2, 3, v2
	v_add_lshl_u32 v71, v15, v1, 2
	v_and_b32_e32 v1, 1, v2
	v_add_co_u32_e32 v3, vcc, -1, v1
	v_addc_co_u32_e64 v15, s[2:3], 0, -1, vcc
	v_cmp_ne_u32_e32 vcc, 0, v1
	v_xor_b32_e32 v1, vcc_hi, v15
	v_and_b32_e32 v15, exec_hi, v1
	v_lshlrev_b32_e32 v1, 30, v2
	v_xor_b32_e32 v3, vcc_lo, v3
	v_cmp_gt_i64_e32 vcc, 0, v[0:1]
	v_not_b32_e32 v1, v1
	v_ashrrev_i32_e32 v1, 31, v1
	v_and_b32_e32 v3, exec_lo, v3
	v_xor_b32_e32 v73, vcc_hi, v1
	v_xor_b32_e32 v1, vcc_lo, v1
	v_and_b32_e32 v3, v3, v1
	v_lshlrev_b32_e32 v1, 29, v2
	v_cmp_gt_i64_e32 vcc, 0, v[0:1]
	v_not_b32_e32 v1, v1
	v_ashrrev_i32_e32 v1, 31, v1
	v_and_b32_e32 v15, v15, v73
	v_xor_b32_e32 v73, vcc_hi, v1
	v_xor_b32_e32 v1, vcc_lo, v1
	v_and_b32_e32 v3, v3, v1
	v_lshlrev_b32_e32 v1, 28, v2
	v_cmp_gt_i64_e32 vcc, 0, v[0:1]
	v_not_b32_e32 v1, v1
	v_ashrrev_i32_e32 v1, 31, v1
	v_and_b32_e32 v15, v15, v73
	v_xor_b32_e32 v73, vcc_hi, v1
	v_xor_b32_e32 v1, vcc_lo, v1
	v_and_b32_e32 v3, v3, v1
	v_lshlrev_b32_e32 v1, 27, v2
	v_cmp_gt_i64_e32 vcc, 0, v[0:1]
	v_not_b32_e32 v1, v1
	v_ashrrev_i32_e32 v1, 31, v1
	v_and_b32_e32 v15, v15, v73
	v_xor_b32_e32 v73, vcc_hi, v1
	v_xor_b32_e32 v1, vcc_lo, v1
	v_and_b32_e32 v3, v3, v1
	v_lshlrev_b32_e32 v1, 26, v2
	v_cmp_gt_i64_e32 vcc, 0, v[0:1]
	v_not_b32_e32 v1, v1
	v_ashrrev_i32_e32 v1, 31, v1
	v_and_b32_e32 v15, v15, v73
	v_xor_b32_e32 v73, vcc_hi, v1
	v_xor_b32_e32 v1, vcc_lo, v1
	v_and_b32_e32 v3, v3, v1
	v_lshlrev_b32_e32 v1, 25, v2
	v_cmp_gt_i64_e32 vcc, 0, v[0:1]
	v_not_b32_e32 v1, v1
	v_ashrrev_i32_e32 v1, 31, v1
	v_and_b32_e32 v15, v15, v73
	v_xor_b32_e32 v73, vcc_hi, v1
	v_xor_b32_e32 v1, vcc_lo, v1
	v_and_b32_e32 v3, v3, v1
	v_lshlrev_b32_e32 v1, 24, v2
	v_cmp_gt_i64_e32 vcc, 0, v[0:1]
	v_not_b32_e32 v0, v1
	v_ashrrev_i32_e32 v0, 31, v0
	v_xor_b32_e32 v1, vcc_hi, v0
	v_xor_b32_e32 v0, vcc_lo, v0
	; wave barrier
	ds_read_b32 v14, v71 offset:32
	v_and_b32_e32 v15, v15, v73
	v_and_b32_e32 v0, v3, v0
	;; [unrolled: 1-line block ×3, first 2 shown]
	v_mbcnt_lo_u32_b32 v2, v0, 0
	v_mbcnt_hi_u32_b32 v15, v1, v2
	v_cmp_eq_u32_e32 vcc, 0, v15
	v_cmp_ne_u64_e64 s[2:3], 0, v[0:1]
	v_add_u32_e32 v72, 32, v5
	s_and_b64 s[4:5], s[2:3], vcc
	; wave barrier
	s_and_saveexec_b64 s[2:3], s[4:5]
	s_cbranch_execz .LBB870_158
; %bb.157:
	v_bcnt_u32_b32 v0, v0, 0
	v_bcnt_u32_b32 v0, v1, v0
	s_waitcnt lgkmcnt(0)
	v_add_u32_e32 v0, v14, v0
	ds_write_b32 v71, v0 offset:32
.LBB870_158:
	s_or_b64 exec, exec, s[2:3]
	; wave barrier
	s_waitcnt lgkmcnt(0)
	s_barrier
	ds_read2_b32 v[2:3], v5 offset0:8 offset1:9
	ds_read2_b32 v[0:1], v72 offset0:2 offset1:3
	ds_read_b32 v73, v72 offset:16
	s_waitcnt lgkmcnt(1)
	v_add3_u32 v74, v3, v2, v0
	s_waitcnt lgkmcnt(0)
	v_add3_u32 v73, v74, v1, v73
	v_and_b32_e32 v74, 15, v4
	v_cmp_ne_u32_e32 vcc, 0, v74
	v_mov_b32_dpp v75, v73 row_shr:1 row_mask:0xf bank_mask:0xf
	v_cndmask_b32_e32 v75, 0, v75, vcc
	v_add_u32_e32 v73, v75, v73
	v_cmp_lt_u32_e32 vcc, 1, v74
	s_nop 0
	v_mov_b32_dpp v75, v73 row_shr:2 row_mask:0xf bank_mask:0xf
	v_cndmask_b32_e32 v75, 0, v75, vcc
	v_add_u32_e32 v73, v73, v75
	v_cmp_lt_u32_e32 vcc, 3, v74
	s_nop 0
	;; [unrolled: 5-line block ×3, first 2 shown]
	v_mov_b32_dpp v75, v73 row_shr:8 row_mask:0xf bank_mask:0xf
	v_cndmask_b32_e32 v74, 0, v75, vcc
	v_add_u32_e32 v73, v73, v74
	v_bfe_i32 v75, v4, 4, 1
	v_cmp_lt_u32_e32 vcc, 31, v4
	v_mov_b32_dpp v74, v73 row_bcast:15 row_mask:0xf bank_mask:0xf
	v_and_b32_e32 v74, v75, v74
	v_add_u32_e32 v73, v73, v74
	v_and_b32_e32 v75, 0x3c0, v18
	v_min_u32_e32 v75, 0x1c0, v75
	v_mov_b32_dpp v74, v73 row_bcast:31 row_mask:0xf bank_mask:0xf
	v_cndmask_b32_e32 v74, 0, v74, vcc
	v_or_b32_e32 v75, 63, v75
	v_add_u32_e32 v73, v73, v74
	v_lshrrev_b32_e32 v74, 6, v18
	v_cmp_eq_u32_e32 vcc, v75, v18
	s_and_saveexec_b64 s[2:3], vcc
	s_cbranch_execz .LBB870_160
; %bb.159:
	v_lshlrev_b32_e32 v75, 2, v74
	ds_write_b32 v75, v73
.LBB870_160:
	s_or_b64 exec, exec, s[2:3]
	v_cmp_gt_u32_e32 vcc, 8, v18
	s_waitcnt lgkmcnt(0)
	s_barrier
	s_and_saveexec_b64 s[2:3], vcc
	s_cbranch_execz .LBB870_162
; %bb.161:
	v_lshlrev_b32_e32 v75, 2, v18
	ds_read_b32 v76, v75
	v_and_b32_e32 v77, 7, v4
	v_cmp_ne_u32_e32 vcc, 0, v77
	s_waitcnt lgkmcnt(0)
	v_mov_b32_dpp v78, v76 row_shr:1 row_mask:0xf bank_mask:0xf
	v_cndmask_b32_e32 v78, 0, v78, vcc
	v_add_u32_e32 v76, v78, v76
	v_cmp_lt_u32_e32 vcc, 1, v77
	s_nop 0
	v_mov_b32_dpp v78, v76 row_shr:2 row_mask:0xf bank_mask:0xf
	v_cndmask_b32_e32 v78, 0, v78, vcc
	v_add_u32_e32 v76, v76, v78
	v_cmp_lt_u32_e32 vcc, 3, v77
	s_nop 0
	v_mov_b32_dpp v78, v76 row_shr:4 row_mask:0xf bank_mask:0xf
	v_cndmask_b32_e32 v77, 0, v78, vcc
	v_add_u32_e32 v76, v76, v77
	ds_write_b32 v75, v76
.LBB870_162:
	s_or_b64 exec, exec, s[2:3]
	v_cmp_lt_u32_e32 vcc, 63, v18
	v_mov_b32_e32 v75, 0
	s_waitcnt lgkmcnt(0)
	s_barrier
	s_and_saveexec_b64 s[2:3], vcc
	s_cbranch_execz .LBB870_164
; %bb.163:
	v_lshl_add_u32 v74, v74, 2, -4
	ds_read_b32 v75, v74
.LBB870_164:
	s_or_b64 exec, exec, s[2:3]
	v_add_u32_e32 v74, -1, v4
	v_and_b32_e32 v76, 64, v4
	v_cmp_lt_i32_e32 vcc, v74, v76
	v_cndmask_b32_e32 v74, v74, v4, vcc
	s_waitcnt lgkmcnt(0)
	v_add_u32_e32 v73, v75, v73
	v_lshlrev_b32_e32 v74, 2, v74
	ds_bpermute_b32 v73, v74, v73
	v_cmp_eq_u32_e32 vcc, 0, v4
	s_waitcnt lgkmcnt(0)
	v_cndmask_b32_e32 v4, v73, v75, vcc
	v_cndmask_b32_e64 v4, v4, 0, s[0:1]
	v_add_u32_e32 v2, v4, v2
	v_add_u32_e32 v3, v2, v3
	;; [unrolled: 1-line block ×4, first 2 shown]
	ds_write2_b32 v5, v4, v2 offset0:8 offset1:9
	ds_write2_b32 v72, v3, v0 offset0:2 offset1:3
	ds_write_b32 v72, v1 offset:16
	s_waitcnt lgkmcnt(0)
	s_barrier
	ds_read_b32 v75, v9 offset:32
	ds_read_b32 v9, v11 offset:32
	;; [unrolled: 1-line block ×16, first 2 shown]
	s_movk_i32 s0, 0x100
	v_cmp_gt_u32_e32 vcc, s0, v18
                                        ; implicit-def: $vgpr52
                                        ; implicit-def: $vgpr55
	s_and_saveexec_b64 s[2:3], vcc
	s_cbranch_execz .LBB870_168
; %bb.165:
	v_mul_u32_u24_e32 v0, 9, v18
	v_lshlrev_b32_e32 v1, 2, v0
	ds_read_b32 v52, v1 offset:32
	s_movk_i32 s0, 0xff
	v_cmp_ne_u32_e64 s[0:1], s0, v18
	v_mov_b32_e32 v0, 0x2000
	s_and_saveexec_b64 s[4:5], s[0:1]
	s_cbranch_execz .LBB870_167
; %bb.166:
	ds_read_b32 v0, v1 offset:68
.LBB870_167:
	s_or_b64 exec, exec, s[4:5]
	s_waitcnt lgkmcnt(0)
	v_sub_u32_e32 v55, v0, v52
.LBB870_168:
	s_or_b64 exec, exec, s[2:3]
	s_waitcnt lgkmcnt(0)
	s_barrier
	s_and_saveexec_b64 s[2:3], vcc
	s_cbranch_execz .LBB870_178
; %bb.169:
	v_lshl_or_b32 v0, s33, 8, v18
	v_mov_b32_e32 v1, 0
	v_lshlrev_b64 v[2:3], 2, v[0:1]
	v_mov_b32_e32 v31, s43
	v_add_co_u32_e64 v2, s[0:1], s42, v2
	v_addc_co_u32_e64 v3, s[0:1], v31, v3, s[0:1]
	v_or_b32_e32 v0, 2.0, v55
	s_mov_b64 s[4:5], 0
	s_brev_b32 s16, 1
	s_mov_b32 s17, s33
	v_mov_b32_e32 v36, 0
	global_store_dword v[2:3], v0, off
                                        ; implicit-def: $sgpr0_sgpr1
	s_branch .LBB870_172
.LBB870_170:                            ;   in Loop: Header=BB870_172 Depth=1
	s_or_b64 exec, exec, s[12:13]
.LBB870_171:                            ;   in Loop: Header=BB870_172 Depth=1
	s_or_b64 exec, exec, s[6:7]
	v_and_b32_e32 v4, 0x3fffffff, v58
	v_add_u32_e32 v36, v4, v36
	v_cmp_eq_u32_e64 s[0:1], s16, v0
	s_and_b64 s[6:7], exec, s[0:1]
	s_or_b64 s[4:5], s[6:7], s[4:5]
	s_andn2_b64 exec, exec, s[4:5]
	s_cbranch_execz .LBB870_177
.LBB870_172:                            ; =>This Loop Header: Depth=1
                                        ;     Child Loop BB870_175 Depth 2
	s_or_b64 s[0:1], s[0:1], exec
	s_cmp_eq_u32 s17, 0
	s_cbranch_scc1 .LBB870_176
; %bb.173:                              ;   in Loop: Header=BB870_172 Depth=1
	s_add_i32 s17, s17, -1
	v_lshl_or_b32 v0, s17, 8, v18
	v_lshlrev_b64 v[4:5], 2, v[0:1]
	v_add_co_u32_e64 v4, s[0:1], s42, v4
	v_addc_co_u32_e64 v5, s[0:1], v31, v5, s[0:1]
	global_load_dword v58, v[4:5], off glc
	s_waitcnt vmcnt(0)
	v_and_b32_e32 v0, -2.0, v58
	v_cmp_eq_u32_e64 s[0:1], 0, v0
	s_and_saveexec_b64 s[6:7], s[0:1]
	s_cbranch_execz .LBB870_171
; %bb.174:                              ;   in Loop: Header=BB870_172 Depth=1
	s_mov_b64 s[12:13], 0
.LBB870_175:                            ;   Parent Loop BB870_172 Depth=1
                                        ; =>  This Inner Loop Header: Depth=2
	global_load_dword v58, v[4:5], off glc
	s_waitcnt vmcnt(0)
	v_and_b32_e32 v0, -2.0, v58
	v_cmp_ne_u32_e64 s[0:1], 0, v0
	s_or_b64 s[12:13], s[0:1], s[12:13]
	s_andn2_b64 exec, exec, s[12:13]
	s_cbranch_execnz .LBB870_175
	s_branch .LBB870_170
.LBB870_176:                            ;   in Loop: Header=BB870_172 Depth=1
                                        ; implicit-def: $sgpr17
	s_and_b64 s[6:7], exec, s[0:1]
	s_or_b64 s[4:5], s[6:7], s[4:5]
	s_andn2_b64 exec, exec, s[4:5]
	s_cbranch_execnz .LBB870_172
.LBB870_177:
	s_or_b64 exec, exec, s[4:5]
	v_add_u32_e32 v0, v36, v55
	v_or_b32_e32 v0, 0x80000000, v0
	global_store_dword v[2:3], v0, off
	v_lshlrev_b32_e32 v0, 2, v18
	global_load_dword v1, v0, s[52:53]
	v_sub_u32_e32 v2, v36, v52
	s_waitcnt vmcnt(0)
	v_add_u32_e32 v1, v2, v1
	ds_write_b32 v0, v1
.LBB870_178:
	s_or_b64 exec, exec, s[2:3]
	v_lshlrev_b32_e32 v31, 2, v18
	v_add_u32_e32 v58, v75, v6
	s_movk_i32 s2, 0x400
	v_add_u32_e32 v36, 0x400, v31
	v_add3_u32 v62, v15, v62, v14
	v_add3_u32 v64, v69, v64, v67
	;; [unrolled: 1-line block ×15, first 2 shown]
	s_mov_b32 s3, 0
	s_mov_b32 s4, 3
	s_movk_i32 s5, 0x200
	s_movk_i32 s6, 0x600
	v_mov_b32_e32 v17, 0
	v_mov_b32_e32 v29, s47
	;; [unrolled: 1-line block ×3, first 2 shown]
                                        ; implicit-def: $vgpr0
.LBB870_179:                            ; =>This Inner Loop Header: Depth=1
	v_add_u32_e32 v16, s3, v58
	v_add_u32_e32 v34, s3, v70
	;; [unrolled: 1-line block ×16, first 2 shown]
	v_min_u32_e32 v16, 0x800, v16
	v_min_u32_e32 v34, 0x800, v34
	;; [unrolled: 1-line block ×16, first 2 shown]
	v_lshlrev_b32_e32 v16, 2, v16
	v_lshlrev_b32_e32 v34, 2, v34
	;; [unrolled: 1-line block ×16, first 2 shown]
	ds_write_b32 v16, v21 offset:1024
	ds_write_b32 v34, v22 offset:1024
	;; [unrolled: 1-line block ×16, first 2 shown]
	s_waitcnt lgkmcnt(0)
	s_barrier
	ds_read_b32 v16, v31 offset:1024
	s_add_i32 s7, s4, -3
	s_add_i32 s12, s4, -2
	;; [unrolled: 1-line block ×3, first 2 shown]
	s_addk_i32 s3, 0xf800
	s_waitcnt lgkmcnt(0)
	v_lshrrev_b32_e32 v34, s56, v16
	v_and_b32_e32 v34, s15, v34
	v_xor_b32_e32 v41, 0x80000000, v16
	v_lshlrev_b32_e32 v16, 2, v34
	ds_read_b32 v16, v16
	s_waitcnt lgkmcnt(0)
	v_add_u32_e32 v16, v33, v16
	v_lshlrev_b64 v[38:39], 2, v[16:17]
	v_add_co_u32_e64 v38, s[0:1], s46, v38
	v_addc_co_u32_e64 v39, s[0:1], v29, v39, s[0:1]
	global_store_dword v[38:39], v41, off
	s_set_gpr_idx_on s7, gpr_idx(DST)
	v_mov_b32_e32 v0, v34
	s_set_gpr_idx_off
	ds_read_b32 v16, v36 offset:2048
	s_waitcnt lgkmcnt(0)
	v_lshrrev_b32_e32 v34, s56, v16
	v_and_b32_e32 v34, s15, v34
	v_xor_b32_e32 v41, 0x80000000, v16
	v_lshlrev_b32_e32 v16, 2, v34
	ds_read_b32 v16, v16
	s_waitcnt lgkmcnt(0)
	v_add3_u32 v16, v33, v16, s5
	v_lshlrev_b64 v[38:39], 2, v[16:17]
	v_add_co_u32_e64 v38, s[0:1], s46, v38
	v_addc_co_u32_e64 v39, s[0:1], v29, v39, s[0:1]
	global_store_dword v[38:39], v41, off
	s_set_gpr_idx_on s12, gpr_idx(DST)
	v_mov_b32_e32 v0, v34
	s_set_gpr_idx_off
	ds_read_b32 v16, v36 offset:4096
	s_waitcnt lgkmcnt(0)
	v_lshrrev_b32_e32 v34, s56, v16
	v_and_b32_e32 v34, s15, v34
	v_xor_b32_e32 v41, 0x80000000, v16
	v_lshlrev_b32_e32 v16, 2, v34
	ds_read_b32 v16, v16
	s_waitcnt lgkmcnt(0)
	v_add3_u32 v16, v33, v16, s2
	;; [unrolled: 16-line block ×3, first 2 shown]
	v_lshlrev_b64 v[38:39], 2, v[16:17]
	v_add_co_u32_e64 v38, s[0:1], s46, v38
	v_addc_co_u32_e64 v39, s[0:1], v29, v39, s[0:1]
	global_store_dword v[38:39], v41, off
	s_set_gpr_idx_on s4, gpr_idx(DST)
	v_mov_b32_e32 v0, v34
	s_set_gpr_idx_off
	s_add_i32 s4, s4, 4
	v_add_u32_e32 v33, 0x800, v33
	s_cmpk_lg_i32 s3, 0xe000
	s_barrier
	s_cbranch_scc1 .LBB870_179
; %bb.180:
	s_lshl_b64 s[0:1], s[10:11], 3
	s_add_u32 s0, s48, s0
	s_addc_u32 s1, s49, s1
	v_lshlrev_b32_e32 v16, 3, v20
	v_mov_b32_e32 v17, s1
	v_add_co_u32_e64 v16, s[0:1], s0, v16
	v_addc_co_u32_e64 v17, s[0:1], 0, v17, s[0:1]
	v_lshlrev_b32_e32 v19, 3, v19
	v_add_co_u32_e64 v34, s[0:1], v16, v19
	v_addc_co_u32_e64 v35, s[0:1], 0, v17, s[0:1]
	s_movk_i32 s0, 0x1000
	v_add_co_u32_e64 v50, s[0:1], s0, v34
	v_addc_co_u32_e64 v51, s[0:1], 0, v35, s[0:1]
	global_load_dwordx2 v[16:17], v[34:35], off
	global_load_dwordx2 v[20:21], v[34:35], off offset:512
	global_load_dwordx2 v[22:23], v[34:35], off offset:1024
	;; [unrolled: 1-line block ×7, first 2 shown]
	s_nop 0
	global_load_dwordx2 v[34:35], v[50:51], off
	global_load_dwordx2 v[36:37], v[50:51], off offset:512
	global_load_dwordx2 v[38:39], v[50:51], off offset:1024
	;; [unrolled: 1-line block ×7, first 2 shown]
	v_lshlrev_b32_e32 v19, 3, v18
	s_mov_b32 s2, 0
	v_add_u32_e32 v59, 0x400, v19
	s_mov_b32 s3, 1
	s_movk_i32 s4, 0x200
	v_mov_b32_e32 v51, 0
	v_mov_b32_e32 v71, v18
	s_waitcnt vmcnt(0)
.LBB870_181:                            ; =>This Inner Loop Header: Depth=1
	v_add_u32_e32 v50, s2, v58
	v_add_u32_e32 v72, s2, v70
	v_add_u32_e32 v73, s2, v69
	v_add_u32_e32 v74, s2, v68
	v_add_u32_e32 v75, s2, v67
	v_add_u32_e32 v76, s2, v66
	v_add_u32_e32 v77, s2, v63
	v_add_u32_e32 v78, s2, v60
	v_add_u32_e32 v79, s2, v56
	v_add_u32_e32 v80, s2, v53
	v_add_u32_e32 v81, s2, v54
	v_add_u32_e32 v82, s2, v57
	v_add_u32_e32 v83, s2, v61
	v_add_u32_e32 v84, s2, v65
	v_add_u32_e32 v85, s2, v64
	v_add_u32_e32 v86, s2, v62
	v_min_u32_e32 v50, 0x400, v50
	v_min_u32_e32 v72, 0x400, v72
	;; [unrolled: 1-line block ×3, first 2 shown]
	s_add_i32 s0, s3, -1
	v_min_u32_e32 v74, 0x400, v74
	v_min_u32_e32 v75, 0x400, v75
	;; [unrolled: 1-line block ×13, first 2 shown]
	v_lshlrev_b32_e32 v50, 3, v50
	v_lshlrev_b32_e32 v72, 3, v72
	;; [unrolled: 1-line block ×16, first 2 shown]
	ds_write_b64 v50, v[16:17] offset:1024
	ds_write_b64 v72, v[20:21] offset:1024
	;; [unrolled: 1-line block ×16, first 2 shown]
	s_waitcnt lgkmcnt(0)
	s_barrier
	ds_read_b64 v[72:73], v19 offset:1024
	s_set_gpr_idx_on s0, gpr_idx(SRC0)
	v_mov_b32_e32 v50, v0
	s_set_gpr_idx_off
	v_lshlrev_b32_e32 v50, 2, v50
	ds_read_b32 v50, v50
	ds_read_b64 v[74:75], v59 offset:4096
	v_mov_b32_e32 v87, s51
	s_addk_i32 s2, 0xfc00
	s_waitcnt lgkmcnt(1)
	v_add_u32_e32 v50, v71, v50
	v_lshlrev_b64 v[76:77], 3, v[50:51]
	v_add_co_u32_e64 v76, s[0:1], s50, v76
	v_addc_co_u32_e64 v77, s[0:1], v87, v77, s[0:1]
	global_store_dwordx2 v[76:77], v[72:73], off
	s_set_gpr_idx_on s3, gpr_idx(SRC0)
	v_mov_b32_e32 v50, v0
	s_set_gpr_idx_off
	v_lshlrev_b32_e32 v50, 2, v50
	ds_read_b32 v50, v50
	s_add_i32 s3, s3, 2
	s_cmpk_lg_i32 s2, 0xe000
	s_waitcnt lgkmcnt(0)
	v_add3_u32 v50, v71, v50, s4
	v_lshlrev_b64 v[72:73], 3, v[50:51]
	v_add_co_u32_e64 v72, s[0:1], s50, v72
	v_add_u32_e32 v71, 0x400, v71
	v_addc_co_u32_e64 v73, s[0:1], v87, v73, s[0:1]
	global_store_dwordx2 v[72:73], v[74:75], off
	s_barrier
	s_cbranch_scc1 .LBB870_181
; %bb.182:
	s_add_i32 s14, s14, -1
	s_cmp_eq_u32 s14, s33
	s_cselect_b64 s[0:1], -1, 0
	s_and_b64 s[2:3], vcc, s[0:1]
                                        ; implicit-def: $vgpr2
	s_and_saveexec_b64 s[0:1], s[2:3]
; %bb.183:
	v_add_u32_e32 v2, v52, v55
	s_or_b64 s[8:9], s[8:9], exec
; %bb.184:
	s_or_b64 exec, exec, s[0:1]
.LBB870_185:
	s_and_saveexec_b64 s[0:1], s[8:9]
	s_cbranch_execnz .LBB870_187
; %bb.186:
	s_endpgm
.LBB870_187:
	v_lshlrev_b32_e32 v0, 2, v18
	ds_read_b32 v1, v0
	s_waitcnt lgkmcnt(0)
	v_add_u32_e32 v1, v1, v2
	global_store_dword v0, v1, s[54:55]
	s_endpgm
.LBB870_188:
	global_load_dwordx2 v[20:21], v[42:43], off
	s_or_b64 exec, exec, s[40:41]
                                        ; implicit-def: $vgpr22_vgpr23
	s_and_saveexec_b64 s[40:41], s[8:9]
	s_cbranch_execz .LBB870_102
.LBB870_189:
	global_load_dwordx2 v[22:23], v[42:43], off offset:512
	s_or_b64 exec, exec, s[40:41]
                                        ; implicit-def: $vgpr24_vgpr25
	s_and_saveexec_b64 s[8:9], s[12:13]
	s_cbranch_execz .LBB870_103
.LBB870_190:
	global_load_dwordx2 v[24:25], v[42:43], off offset:1024
	s_or_b64 exec, exec, s[8:9]
                                        ; implicit-def: $vgpr26_vgpr27
	s_and_saveexec_b64 s[8:9], s[16:17]
	s_cbranch_execz .LBB870_104
.LBB870_191:
	global_load_dwordx2 v[26:27], v[42:43], off offset:1536
	s_or_b64 exec, exec, s[8:9]
                                        ; implicit-def: $vgpr28_vgpr29
	s_and_saveexec_b64 s[8:9], s[18:19]
	s_cbranch_execz .LBB870_105
.LBB870_192:
	global_load_dwordx2 v[28:29], v[42:43], off offset:2048
	s_or_b64 exec, exec, s[8:9]
                                        ; implicit-def: $vgpr30_vgpr31
	s_and_saveexec_b64 s[8:9], s[22:23]
	s_cbranch_execz .LBB870_106
.LBB870_193:
	global_load_dwordx2 v[30:31], v[42:43], off offset:2560
	s_or_b64 exec, exec, s[8:9]
                                        ; implicit-def: $vgpr32_vgpr33
	s_and_saveexec_b64 s[8:9], s[26:27]
	s_cbranch_execz .LBB870_107
.LBB870_194:
	global_load_dwordx2 v[32:33], v[42:43], off offset:3072
	s_or_b64 exec, exec, s[8:9]
                                        ; implicit-def: $vgpr34_vgpr35
	s_and_saveexec_b64 s[8:9], s[30:31]
	s_cbranch_execz .LBB870_108
.LBB870_195:
	global_load_dwordx2 v[34:35], v[42:43], off offset:3584
	s_or_b64 exec, exec, s[8:9]
                                        ; implicit-def: $vgpr36_vgpr37
	s_and_saveexec_b64 s[8:9], s[34:35]
	s_cbranch_execz .LBB870_109
.LBB870_196:
	v_add_co_u32_e32 v36, vcc, 0x1000, v42
	v_addc_co_u32_e32 v37, vcc, 0, v43, vcc
	global_load_dwordx2 v[36:37], v[36:37], off
	s_or_b64 exec, exec, s[8:9]
                                        ; implicit-def: $vgpr38_vgpr39
	s_and_saveexec_b64 s[8:9], s[28:29]
	s_cbranch_execz .LBB870_110
.LBB870_197:
	v_add_co_u32_e32 v38, vcc, 0x1000, v42
	v_addc_co_u32_e32 v39, vcc, 0, v43, vcc
	global_load_dwordx2 v[38:39], v[38:39], off offset:512
	s_or_b64 exec, exec, s[8:9]
                                        ; implicit-def: $vgpr40_vgpr41
	s_and_saveexec_b64 s[8:9], s[24:25]
	s_cbranch_execz .LBB870_111
.LBB870_198:
	v_add_co_u32_e32 v40, vcc, 0x1000, v42
	v_addc_co_u32_e32 v41, vcc, 0, v43, vcc
	global_load_dwordx2 v[40:41], v[40:41], off offset:1024
	s_or_b64 exec, exec, s[8:9]
                                        ; implicit-def: $vgpr44_vgpr45
	s_and_saveexec_b64 s[8:9], s[20:21]
	s_cbranch_execz .LBB870_112
.LBB870_199:
	v_add_co_u32_e32 v44, vcc, 0x1000, v42
	v_addc_co_u32_e32 v45, vcc, 0, v43, vcc
	global_load_dwordx2 v[44:45], v[44:45], off offset:1536
	s_or_b64 exec, exec, s[8:9]
                                        ; implicit-def: $vgpr46_vgpr47
	s_and_saveexec_b64 s[8:9], s[14:15]
	s_cbranch_execz .LBB870_113
.LBB870_200:
	v_add_co_u32_e32 v46, vcc, 0x1000, v42
	v_addc_co_u32_e32 v47, vcc, 0, v43, vcc
	global_load_dwordx2 v[46:47], v[46:47], off offset:2048
	s_or_b64 exec, exec, s[8:9]
                                        ; implicit-def: $vgpr48_vgpr49
	s_and_saveexec_b64 s[8:9], s[10:11]
	s_cbranch_execz .LBB870_114
.LBB870_201:
	v_add_co_u32_e32 v48, vcc, 0x1000, v42
	v_addc_co_u32_e32 v49, vcc, 0, v43, vcc
	global_load_dwordx2 v[48:49], v[48:49], off offset:2560
	s_or_b64 exec, exec, s[8:9]
                                        ; implicit-def: $vgpr50_vgpr51
	s_and_saveexec_b64 s[8:9], s[38:39]
	s_cbranch_execz .LBB870_115
.LBB870_202:
	v_add_co_u32_e32 v50, vcc, 0x1000, v42
	v_addc_co_u32_e32 v51, vcc, 0, v43, vcc
	global_load_dwordx2 v[50:51], v[50:51], off offset:3072
	s_or_b64 exec, exec, s[8:9]
                                        ; implicit-def: $vgpr52_vgpr53
	s_and_saveexec_b64 s[8:9], s[2:3]
	s_cbranch_execnz .LBB870_116
	s_branch .LBB870_117
	.section	.rodata,"a",@progbits
	.p2align	6, 0x0
	.amdhsa_kernel _ZN7rocprim17ROCPRIM_400000_NS6detail17trampoline_kernelINS0_14default_configENS1_35radix_sort_onesweep_config_selectorIilEEZZNS1_29radix_sort_onesweep_iterationIS3_Lb0EPiS7_N6thrust23THRUST_200600_302600_NS10device_ptrIlEESB_jNS0_19identity_decomposerENS1_16block_id_wrapperIjLb1EEEEE10hipError_tT1_PNSt15iterator_traitsISG_E10value_typeET2_T3_PNSH_ISM_E10value_typeET4_T5_PSR_SS_PNS1_23onesweep_lookback_stateEbbT6_jjT7_P12ihipStream_tbENKUlT_T0_SG_SL_E_clIS7_S7_SB_SB_EEDaSZ_S10_SG_SL_EUlSZ_E_NS1_11comp_targetILNS1_3genE4ELNS1_11target_archE910ELNS1_3gpuE8ELNS1_3repE0EEENS1_47radix_sort_onesweep_sort_config_static_selectorELNS0_4arch9wavefront6targetE1EEEvSG_
		.amdhsa_group_segment_fixed_size 10280
		.amdhsa_private_segment_fixed_size 0
		.amdhsa_kernarg_size 344
		.amdhsa_user_sgpr_count 6
		.amdhsa_user_sgpr_private_segment_buffer 1
		.amdhsa_user_sgpr_dispatch_ptr 0
		.amdhsa_user_sgpr_queue_ptr 0
		.amdhsa_user_sgpr_kernarg_segment_ptr 1
		.amdhsa_user_sgpr_dispatch_id 0
		.amdhsa_user_sgpr_flat_scratch_init 0
		.amdhsa_user_sgpr_kernarg_preload_length 0
		.amdhsa_user_sgpr_kernarg_preload_offset 0
		.amdhsa_user_sgpr_private_segment_size 0
		.amdhsa_uses_dynamic_stack 0
		.amdhsa_system_sgpr_private_segment_wavefront_offset 0
		.amdhsa_system_sgpr_workgroup_id_x 1
		.amdhsa_system_sgpr_workgroup_id_y 0
		.amdhsa_system_sgpr_workgroup_id_z 0
		.amdhsa_system_sgpr_workgroup_info 0
		.amdhsa_system_vgpr_workitem_id 2
		.amdhsa_next_free_vgpr 88
		.amdhsa_next_free_sgpr 72
		.amdhsa_accum_offset 88
		.amdhsa_reserve_vcc 1
		.amdhsa_reserve_flat_scratch 0
		.amdhsa_float_round_mode_32 0
		.amdhsa_float_round_mode_16_64 0
		.amdhsa_float_denorm_mode_32 3
		.amdhsa_float_denorm_mode_16_64 3
		.amdhsa_dx10_clamp 1
		.amdhsa_ieee_mode 1
		.amdhsa_fp16_overflow 0
		.amdhsa_tg_split 0
		.amdhsa_exception_fp_ieee_invalid_op 0
		.amdhsa_exception_fp_denorm_src 0
		.amdhsa_exception_fp_ieee_div_zero 0
		.amdhsa_exception_fp_ieee_overflow 0
		.amdhsa_exception_fp_ieee_underflow 0
		.amdhsa_exception_fp_ieee_inexact 0
		.amdhsa_exception_int_div_zero 0
	.end_amdhsa_kernel
	.section	.text._ZN7rocprim17ROCPRIM_400000_NS6detail17trampoline_kernelINS0_14default_configENS1_35radix_sort_onesweep_config_selectorIilEEZZNS1_29radix_sort_onesweep_iterationIS3_Lb0EPiS7_N6thrust23THRUST_200600_302600_NS10device_ptrIlEESB_jNS0_19identity_decomposerENS1_16block_id_wrapperIjLb1EEEEE10hipError_tT1_PNSt15iterator_traitsISG_E10value_typeET2_T3_PNSH_ISM_E10value_typeET4_T5_PSR_SS_PNS1_23onesweep_lookback_stateEbbT6_jjT7_P12ihipStream_tbENKUlT_T0_SG_SL_E_clIS7_S7_SB_SB_EEDaSZ_S10_SG_SL_EUlSZ_E_NS1_11comp_targetILNS1_3genE4ELNS1_11target_archE910ELNS1_3gpuE8ELNS1_3repE0EEENS1_47radix_sort_onesweep_sort_config_static_selectorELNS0_4arch9wavefront6targetE1EEEvSG_,"axG",@progbits,_ZN7rocprim17ROCPRIM_400000_NS6detail17trampoline_kernelINS0_14default_configENS1_35radix_sort_onesweep_config_selectorIilEEZZNS1_29radix_sort_onesweep_iterationIS3_Lb0EPiS7_N6thrust23THRUST_200600_302600_NS10device_ptrIlEESB_jNS0_19identity_decomposerENS1_16block_id_wrapperIjLb1EEEEE10hipError_tT1_PNSt15iterator_traitsISG_E10value_typeET2_T3_PNSH_ISM_E10value_typeET4_T5_PSR_SS_PNS1_23onesweep_lookback_stateEbbT6_jjT7_P12ihipStream_tbENKUlT_T0_SG_SL_E_clIS7_S7_SB_SB_EEDaSZ_S10_SG_SL_EUlSZ_E_NS1_11comp_targetILNS1_3genE4ELNS1_11target_archE910ELNS1_3gpuE8ELNS1_3repE0EEENS1_47radix_sort_onesweep_sort_config_static_selectorELNS0_4arch9wavefront6targetE1EEEvSG_,comdat
.Lfunc_end870:
	.size	_ZN7rocprim17ROCPRIM_400000_NS6detail17trampoline_kernelINS0_14default_configENS1_35radix_sort_onesweep_config_selectorIilEEZZNS1_29radix_sort_onesweep_iterationIS3_Lb0EPiS7_N6thrust23THRUST_200600_302600_NS10device_ptrIlEESB_jNS0_19identity_decomposerENS1_16block_id_wrapperIjLb1EEEEE10hipError_tT1_PNSt15iterator_traitsISG_E10value_typeET2_T3_PNSH_ISM_E10value_typeET4_T5_PSR_SS_PNS1_23onesweep_lookback_stateEbbT6_jjT7_P12ihipStream_tbENKUlT_T0_SG_SL_E_clIS7_S7_SB_SB_EEDaSZ_S10_SG_SL_EUlSZ_E_NS1_11comp_targetILNS1_3genE4ELNS1_11target_archE910ELNS1_3gpuE8ELNS1_3repE0EEENS1_47radix_sort_onesweep_sort_config_static_selectorELNS0_4arch9wavefront6targetE1EEEvSG_, .Lfunc_end870-_ZN7rocprim17ROCPRIM_400000_NS6detail17trampoline_kernelINS0_14default_configENS1_35radix_sort_onesweep_config_selectorIilEEZZNS1_29radix_sort_onesweep_iterationIS3_Lb0EPiS7_N6thrust23THRUST_200600_302600_NS10device_ptrIlEESB_jNS0_19identity_decomposerENS1_16block_id_wrapperIjLb1EEEEE10hipError_tT1_PNSt15iterator_traitsISG_E10value_typeET2_T3_PNSH_ISM_E10value_typeET4_T5_PSR_SS_PNS1_23onesweep_lookback_stateEbbT6_jjT7_P12ihipStream_tbENKUlT_T0_SG_SL_E_clIS7_S7_SB_SB_EEDaSZ_S10_SG_SL_EUlSZ_E_NS1_11comp_targetILNS1_3genE4ELNS1_11target_archE910ELNS1_3gpuE8ELNS1_3repE0EEENS1_47radix_sort_onesweep_sort_config_static_selectorELNS0_4arch9wavefront6targetE1EEEvSG_
                                        ; -- End function
	.section	.AMDGPU.csdata,"",@progbits
; Kernel info:
; codeLenInByte = 20768
; NumSgprs: 76
; NumVgprs: 88
; NumAgprs: 0
; TotalNumVgprs: 88
; ScratchSize: 0
; MemoryBound: 0
; FloatMode: 240
; IeeeMode: 1
; LDSByteSize: 10280 bytes/workgroup (compile time only)
; SGPRBlocks: 9
; VGPRBlocks: 10
; NumSGPRsForWavesPerEU: 76
; NumVGPRsForWavesPerEU: 88
; AccumOffset: 88
; Occupancy: 5
; WaveLimiterHint : 1
; COMPUTE_PGM_RSRC2:SCRATCH_EN: 0
; COMPUTE_PGM_RSRC2:USER_SGPR: 6
; COMPUTE_PGM_RSRC2:TRAP_HANDLER: 0
; COMPUTE_PGM_RSRC2:TGID_X_EN: 1
; COMPUTE_PGM_RSRC2:TGID_Y_EN: 0
; COMPUTE_PGM_RSRC2:TGID_Z_EN: 0
; COMPUTE_PGM_RSRC2:TIDIG_COMP_CNT: 2
; COMPUTE_PGM_RSRC3_GFX90A:ACCUM_OFFSET: 21
; COMPUTE_PGM_RSRC3_GFX90A:TG_SPLIT: 0
	.section	.text._ZN7rocprim17ROCPRIM_400000_NS6detail17trampoline_kernelINS0_14default_configENS1_35radix_sort_onesweep_config_selectorIilEEZZNS1_29radix_sort_onesweep_iterationIS3_Lb0EPiS7_N6thrust23THRUST_200600_302600_NS10device_ptrIlEESB_jNS0_19identity_decomposerENS1_16block_id_wrapperIjLb1EEEEE10hipError_tT1_PNSt15iterator_traitsISG_E10value_typeET2_T3_PNSH_ISM_E10value_typeET4_T5_PSR_SS_PNS1_23onesweep_lookback_stateEbbT6_jjT7_P12ihipStream_tbENKUlT_T0_SG_SL_E_clIS7_S7_SB_SB_EEDaSZ_S10_SG_SL_EUlSZ_E_NS1_11comp_targetILNS1_3genE3ELNS1_11target_archE908ELNS1_3gpuE7ELNS1_3repE0EEENS1_47radix_sort_onesweep_sort_config_static_selectorELNS0_4arch9wavefront6targetE1EEEvSG_,"axG",@progbits,_ZN7rocprim17ROCPRIM_400000_NS6detail17trampoline_kernelINS0_14default_configENS1_35radix_sort_onesweep_config_selectorIilEEZZNS1_29radix_sort_onesweep_iterationIS3_Lb0EPiS7_N6thrust23THRUST_200600_302600_NS10device_ptrIlEESB_jNS0_19identity_decomposerENS1_16block_id_wrapperIjLb1EEEEE10hipError_tT1_PNSt15iterator_traitsISG_E10value_typeET2_T3_PNSH_ISM_E10value_typeET4_T5_PSR_SS_PNS1_23onesweep_lookback_stateEbbT6_jjT7_P12ihipStream_tbENKUlT_T0_SG_SL_E_clIS7_S7_SB_SB_EEDaSZ_S10_SG_SL_EUlSZ_E_NS1_11comp_targetILNS1_3genE3ELNS1_11target_archE908ELNS1_3gpuE7ELNS1_3repE0EEENS1_47radix_sort_onesweep_sort_config_static_selectorELNS0_4arch9wavefront6targetE1EEEvSG_,comdat
	.protected	_ZN7rocprim17ROCPRIM_400000_NS6detail17trampoline_kernelINS0_14default_configENS1_35radix_sort_onesweep_config_selectorIilEEZZNS1_29radix_sort_onesweep_iterationIS3_Lb0EPiS7_N6thrust23THRUST_200600_302600_NS10device_ptrIlEESB_jNS0_19identity_decomposerENS1_16block_id_wrapperIjLb1EEEEE10hipError_tT1_PNSt15iterator_traitsISG_E10value_typeET2_T3_PNSH_ISM_E10value_typeET4_T5_PSR_SS_PNS1_23onesweep_lookback_stateEbbT6_jjT7_P12ihipStream_tbENKUlT_T0_SG_SL_E_clIS7_S7_SB_SB_EEDaSZ_S10_SG_SL_EUlSZ_E_NS1_11comp_targetILNS1_3genE3ELNS1_11target_archE908ELNS1_3gpuE7ELNS1_3repE0EEENS1_47radix_sort_onesweep_sort_config_static_selectorELNS0_4arch9wavefront6targetE1EEEvSG_ ; -- Begin function _ZN7rocprim17ROCPRIM_400000_NS6detail17trampoline_kernelINS0_14default_configENS1_35radix_sort_onesweep_config_selectorIilEEZZNS1_29radix_sort_onesweep_iterationIS3_Lb0EPiS7_N6thrust23THRUST_200600_302600_NS10device_ptrIlEESB_jNS0_19identity_decomposerENS1_16block_id_wrapperIjLb1EEEEE10hipError_tT1_PNSt15iterator_traitsISG_E10value_typeET2_T3_PNSH_ISM_E10value_typeET4_T5_PSR_SS_PNS1_23onesweep_lookback_stateEbbT6_jjT7_P12ihipStream_tbENKUlT_T0_SG_SL_E_clIS7_S7_SB_SB_EEDaSZ_S10_SG_SL_EUlSZ_E_NS1_11comp_targetILNS1_3genE3ELNS1_11target_archE908ELNS1_3gpuE7ELNS1_3repE0EEENS1_47radix_sort_onesweep_sort_config_static_selectorELNS0_4arch9wavefront6targetE1EEEvSG_
	.globl	_ZN7rocprim17ROCPRIM_400000_NS6detail17trampoline_kernelINS0_14default_configENS1_35radix_sort_onesweep_config_selectorIilEEZZNS1_29radix_sort_onesweep_iterationIS3_Lb0EPiS7_N6thrust23THRUST_200600_302600_NS10device_ptrIlEESB_jNS0_19identity_decomposerENS1_16block_id_wrapperIjLb1EEEEE10hipError_tT1_PNSt15iterator_traitsISG_E10value_typeET2_T3_PNSH_ISM_E10value_typeET4_T5_PSR_SS_PNS1_23onesweep_lookback_stateEbbT6_jjT7_P12ihipStream_tbENKUlT_T0_SG_SL_E_clIS7_S7_SB_SB_EEDaSZ_S10_SG_SL_EUlSZ_E_NS1_11comp_targetILNS1_3genE3ELNS1_11target_archE908ELNS1_3gpuE7ELNS1_3repE0EEENS1_47radix_sort_onesweep_sort_config_static_selectorELNS0_4arch9wavefront6targetE1EEEvSG_
	.p2align	8
	.type	_ZN7rocprim17ROCPRIM_400000_NS6detail17trampoline_kernelINS0_14default_configENS1_35radix_sort_onesweep_config_selectorIilEEZZNS1_29radix_sort_onesweep_iterationIS3_Lb0EPiS7_N6thrust23THRUST_200600_302600_NS10device_ptrIlEESB_jNS0_19identity_decomposerENS1_16block_id_wrapperIjLb1EEEEE10hipError_tT1_PNSt15iterator_traitsISG_E10value_typeET2_T3_PNSH_ISM_E10value_typeET4_T5_PSR_SS_PNS1_23onesweep_lookback_stateEbbT6_jjT7_P12ihipStream_tbENKUlT_T0_SG_SL_E_clIS7_S7_SB_SB_EEDaSZ_S10_SG_SL_EUlSZ_E_NS1_11comp_targetILNS1_3genE3ELNS1_11target_archE908ELNS1_3gpuE7ELNS1_3repE0EEENS1_47radix_sort_onesweep_sort_config_static_selectorELNS0_4arch9wavefront6targetE1EEEvSG_,@function
_ZN7rocprim17ROCPRIM_400000_NS6detail17trampoline_kernelINS0_14default_configENS1_35radix_sort_onesweep_config_selectorIilEEZZNS1_29radix_sort_onesweep_iterationIS3_Lb0EPiS7_N6thrust23THRUST_200600_302600_NS10device_ptrIlEESB_jNS0_19identity_decomposerENS1_16block_id_wrapperIjLb1EEEEE10hipError_tT1_PNSt15iterator_traitsISG_E10value_typeET2_T3_PNSH_ISM_E10value_typeET4_T5_PSR_SS_PNS1_23onesweep_lookback_stateEbbT6_jjT7_P12ihipStream_tbENKUlT_T0_SG_SL_E_clIS7_S7_SB_SB_EEDaSZ_S10_SG_SL_EUlSZ_E_NS1_11comp_targetILNS1_3genE3ELNS1_11target_archE908ELNS1_3gpuE7ELNS1_3repE0EEENS1_47radix_sort_onesweep_sort_config_static_selectorELNS0_4arch9wavefront6targetE1EEEvSG_: ; @_ZN7rocprim17ROCPRIM_400000_NS6detail17trampoline_kernelINS0_14default_configENS1_35radix_sort_onesweep_config_selectorIilEEZZNS1_29radix_sort_onesweep_iterationIS3_Lb0EPiS7_N6thrust23THRUST_200600_302600_NS10device_ptrIlEESB_jNS0_19identity_decomposerENS1_16block_id_wrapperIjLb1EEEEE10hipError_tT1_PNSt15iterator_traitsISG_E10value_typeET2_T3_PNSH_ISM_E10value_typeET4_T5_PSR_SS_PNS1_23onesweep_lookback_stateEbbT6_jjT7_P12ihipStream_tbENKUlT_T0_SG_SL_E_clIS7_S7_SB_SB_EEDaSZ_S10_SG_SL_EUlSZ_E_NS1_11comp_targetILNS1_3genE3ELNS1_11target_archE908ELNS1_3gpuE7ELNS1_3repE0EEENS1_47radix_sort_onesweep_sort_config_static_selectorELNS0_4arch9wavefront6targetE1EEEvSG_
; %bb.0:
	.section	.rodata,"a",@progbits
	.p2align	6, 0x0
	.amdhsa_kernel _ZN7rocprim17ROCPRIM_400000_NS6detail17trampoline_kernelINS0_14default_configENS1_35radix_sort_onesweep_config_selectorIilEEZZNS1_29radix_sort_onesweep_iterationIS3_Lb0EPiS7_N6thrust23THRUST_200600_302600_NS10device_ptrIlEESB_jNS0_19identity_decomposerENS1_16block_id_wrapperIjLb1EEEEE10hipError_tT1_PNSt15iterator_traitsISG_E10value_typeET2_T3_PNSH_ISM_E10value_typeET4_T5_PSR_SS_PNS1_23onesweep_lookback_stateEbbT6_jjT7_P12ihipStream_tbENKUlT_T0_SG_SL_E_clIS7_S7_SB_SB_EEDaSZ_S10_SG_SL_EUlSZ_E_NS1_11comp_targetILNS1_3genE3ELNS1_11target_archE908ELNS1_3gpuE7ELNS1_3repE0EEENS1_47radix_sort_onesweep_sort_config_static_selectorELNS0_4arch9wavefront6targetE1EEEvSG_
		.amdhsa_group_segment_fixed_size 0
		.amdhsa_private_segment_fixed_size 0
		.amdhsa_kernarg_size 88
		.amdhsa_user_sgpr_count 6
		.amdhsa_user_sgpr_private_segment_buffer 1
		.amdhsa_user_sgpr_dispatch_ptr 0
		.amdhsa_user_sgpr_queue_ptr 0
		.amdhsa_user_sgpr_kernarg_segment_ptr 1
		.amdhsa_user_sgpr_dispatch_id 0
		.amdhsa_user_sgpr_flat_scratch_init 0
		.amdhsa_user_sgpr_kernarg_preload_length 0
		.amdhsa_user_sgpr_kernarg_preload_offset 0
		.amdhsa_user_sgpr_private_segment_size 0
		.amdhsa_uses_dynamic_stack 0
		.amdhsa_system_sgpr_private_segment_wavefront_offset 0
		.amdhsa_system_sgpr_workgroup_id_x 1
		.amdhsa_system_sgpr_workgroup_id_y 0
		.amdhsa_system_sgpr_workgroup_id_z 0
		.amdhsa_system_sgpr_workgroup_info 0
		.amdhsa_system_vgpr_workitem_id 0
		.amdhsa_next_free_vgpr 1
		.amdhsa_next_free_sgpr 0
		.amdhsa_accum_offset 4
		.amdhsa_reserve_vcc 0
		.amdhsa_reserve_flat_scratch 0
		.amdhsa_float_round_mode_32 0
		.amdhsa_float_round_mode_16_64 0
		.amdhsa_float_denorm_mode_32 3
		.amdhsa_float_denorm_mode_16_64 3
		.amdhsa_dx10_clamp 1
		.amdhsa_ieee_mode 1
		.amdhsa_fp16_overflow 0
		.amdhsa_tg_split 0
		.amdhsa_exception_fp_ieee_invalid_op 0
		.amdhsa_exception_fp_denorm_src 0
		.amdhsa_exception_fp_ieee_div_zero 0
		.amdhsa_exception_fp_ieee_overflow 0
		.amdhsa_exception_fp_ieee_underflow 0
		.amdhsa_exception_fp_ieee_inexact 0
		.amdhsa_exception_int_div_zero 0
	.end_amdhsa_kernel
	.section	.text._ZN7rocprim17ROCPRIM_400000_NS6detail17trampoline_kernelINS0_14default_configENS1_35radix_sort_onesweep_config_selectorIilEEZZNS1_29radix_sort_onesweep_iterationIS3_Lb0EPiS7_N6thrust23THRUST_200600_302600_NS10device_ptrIlEESB_jNS0_19identity_decomposerENS1_16block_id_wrapperIjLb1EEEEE10hipError_tT1_PNSt15iterator_traitsISG_E10value_typeET2_T3_PNSH_ISM_E10value_typeET4_T5_PSR_SS_PNS1_23onesweep_lookback_stateEbbT6_jjT7_P12ihipStream_tbENKUlT_T0_SG_SL_E_clIS7_S7_SB_SB_EEDaSZ_S10_SG_SL_EUlSZ_E_NS1_11comp_targetILNS1_3genE3ELNS1_11target_archE908ELNS1_3gpuE7ELNS1_3repE0EEENS1_47radix_sort_onesweep_sort_config_static_selectorELNS0_4arch9wavefront6targetE1EEEvSG_,"axG",@progbits,_ZN7rocprim17ROCPRIM_400000_NS6detail17trampoline_kernelINS0_14default_configENS1_35radix_sort_onesweep_config_selectorIilEEZZNS1_29radix_sort_onesweep_iterationIS3_Lb0EPiS7_N6thrust23THRUST_200600_302600_NS10device_ptrIlEESB_jNS0_19identity_decomposerENS1_16block_id_wrapperIjLb1EEEEE10hipError_tT1_PNSt15iterator_traitsISG_E10value_typeET2_T3_PNSH_ISM_E10value_typeET4_T5_PSR_SS_PNS1_23onesweep_lookback_stateEbbT6_jjT7_P12ihipStream_tbENKUlT_T0_SG_SL_E_clIS7_S7_SB_SB_EEDaSZ_S10_SG_SL_EUlSZ_E_NS1_11comp_targetILNS1_3genE3ELNS1_11target_archE908ELNS1_3gpuE7ELNS1_3repE0EEENS1_47radix_sort_onesweep_sort_config_static_selectorELNS0_4arch9wavefront6targetE1EEEvSG_,comdat
.Lfunc_end871:
	.size	_ZN7rocprim17ROCPRIM_400000_NS6detail17trampoline_kernelINS0_14default_configENS1_35radix_sort_onesweep_config_selectorIilEEZZNS1_29radix_sort_onesweep_iterationIS3_Lb0EPiS7_N6thrust23THRUST_200600_302600_NS10device_ptrIlEESB_jNS0_19identity_decomposerENS1_16block_id_wrapperIjLb1EEEEE10hipError_tT1_PNSt15iterator_traitsISG_E10value_typeET2_T3_PNSH_ISM_E10value_typeET4_T5_PSR_SS_PNS1_23onesweep_lookback_stateEbbT6_jjT7_P12ihipStream_tbENKUlT_T0_SG_SL_E_clIS7_S7_SB_SB_EEDaSZ_S10_SG_SL_EUlSZ_E_NS1_11comp_targetILNS1_3genE3ELNS1_11target_archE908ELNS1_3gpuE7ELNS1_3repE0EEENS1_47radix_sort_onesweep_sort_config_static_selectorELNS0_4arch9wavefront6targetE1EEEvSG_, .Lfunc_end871-_ZN7rocprim17ROCPRIM_400000_NS6detail17trampoline_kernelINS0_14default_configENS1_35radix_sort_onesweep_config_selectorIilEEZZNS1_29radix_sort_onesweep_iterationIS3_Lb0EPiS7_N6thrust23THRUST_200600_302600_NS10device_ptrIlEESB_jNS0_19identity_decomposerENS1_16block_id_wrapperIjLb1EEEEE10hipError_tT1_PNSt15iterator_traitsISG_E10value_typeET2_T3_PNSH_ISM_E10value_typeET4_T5_PSR_SS_PNS1_23onesweep_lookback_stateEbbT6_jjT7_P12ihipStream_tbENKUlT_T0_SG_SL_E_clIS7_S7_SB_SB_EEDaSZ_S10_SG_SL_EUlSZ_E_NS1_11comp_targetILNS1_3genE3ELNS1_11target_archE908ELNS1_3gpuE7ELNS1_3repE0EEENS1_47radix_sort_onesweep_sort_config_static_selectorELNS0_4arch9wavefront6targetE1EEEvSG_
                                        ; -- End function
	.section	.AMDGPU.csdata,"",@progbits
; Kernel info:
; codeLenInByte = 0
; NumSgprs: 4
; NumVgprs: 0
; NumAgprs: 0
; TotalNumVgprs: 0
; ScratchSize: 0
; MemoryBound: 0
; FloatMode: 240
; IeeeMode: 1
; LDSByteSize: 0 bytes/workgroup (compile time only)
; SGPRBlocks: 0
; VGPRBlocks: 0
; NumSGPRsForWavesPerEU: 4
; NumVGPRsForWavesPerEU: 1
; AccumOffset: 4
; Occupancy: 8
; WaveLimiterHint : 0
; COMPUTE_PGM_RSRC2:SCRATCH_EN: 0
; COMPUTE_PGM_RSRC2:USER_SGPR: 6
; COMPUTE_PGM_RSRC2:TRAP_HANDLER: 0
; COMPUTE_PGM_RSRC2:TGID_X_EN: 1
; COMPUTE_PGM_RSRC2:TGID_Y_EN: 0
; COMPUTE_PGM_RSRC2:TGID_Z_EN: 0
; COMPUTE_PGM_RSRC2:TIDIG_COMP_CNT: 0
; COMPUTE_PGM_RSRC3_GFX90A:ACCUM_OFFSET: 0
; COMPUTE_PGM_RSRC3_GFX90A:TG_SPLIT: 0
	.section	.text._ZN7rocprim17ROCPRIM_400000_NS6detail17trampoline_kernelINS0_14default_configENS1_35radix_sort_onesweep_config_selectorIilEEZZNS1_29radix_sort_onesweep_iterationIS3_Lb0EPiS7_N6thrust23THRUST_200600_302600_NS10device_ptrIlEESB_jNS0_19identity_decomposerENS1_16block_id_wrapperIjLb1EEEEE10hipError_tT1_PNSt15iterator_traitsISG_E10value_typeET2_T3_PNSH_ISM_E10value_typeET4_T5_PSR_SS_PNS1_23onesweep_lookback_stateEbbT6_jjT7_P12ihipStream_tbENKUlT_T0_SG_SL_E_clIS7_S7_SB_SB_EEDaSZ_S10_SG_SL_EUlSZ_E_NS1_11comp_targetILNS1_3genE10ELNS1_11target_archE1201ELNS1_3gpuE5ELNS1_3repE0EEENS1_47radix_sort_onesweep_sort_config_static_selectorELNS0_4arch9wavefront6targetE1EEEvSG_,"axG",@progbits,_ZN7rocprim17ROCPRIM_400000_NS6detail17trampoline_kernelINS0_14default_configENS1_35radix_sort_onesweep_config_selectorIilEEZZNS1_29radix_sort_onesweep_iterationIS3_Lb0EPiS7_N6thrust23THRUST_200600_302600_NS10device_ptrIlEESB_jNS0_19identity_decomposerENS1_16block_id_wrapperIjLb1EEEEE10hipError_tT1_PNSt15iterator_traitsISG_E10value_typeET2_T3_PNSH_ISM_E10value_typeET4_T5_PSR_SS_PNS1_23onesweep_lookback_stateEbbT6_jjT7_P12ihipStream_tbENKUlT_T0_SG_SL_E_clIS7_S7_SB_SB_EEDaSZ_S10_SG_SL_EUlSZ_E_NS1_11comp_targetILNS1_3genE10ELNS1_11target_archE1201ELNS1_3gpuE5ELNS1_3repE0EEENS1_47radix_sort_onesweep_sort_config_static_selectorELNS0_4arch9wavefront6targetE1EEEvSG_,comdat
	.protected	_ZN7rocprim17ROCPRIM_400000_NS6detail17trampoline_kernelINS0_14default_configENS1_35radix_sort_onesweep_config_selectorIilEEZZNS1_29radix_sort_onesweep_iterationIS3_Lb0EPiS7_N6thrust23THRUST_200600_302600_NS10device_ptrIlEESB_jNS0_19identity_decomposerENS1_16block_id_wrapperIjLb1EEEEE10hipError_tT1_PNSt15iterator_traitsISG_E10value_typeET2_T3_PNSH_ISM_E10value_typeET4_T5_PSR_SS_PNS1_23onesweep_lookback_stateEbbT6_jjT7_P12ihipStream_tbENKUlT_T0_SG_SL_E_clIS7_S7_SB_SB_EEDaSZ_S10_SG_SL_EUlSZ_E_NS1_11comp_targetILNS1_3genE10ELNS1_11target_archE1201ELNS1_3gpuE5ELNS1_3repE0EEENS1_47radix_sort_onesweep_sort_config_static_selectorELNS0_4arch9wavefront6targetE1EEEvSG_ ; -- Begin function _ZN7rocprim17ROCPRIM_400000_NS6detail17trampoline_kernelINS0_14default_configENS1_35radix_sort_onesweep_config_selectorIilEEZZNS1_29radix_sort_onesweep_iterationIS3_Lb0EPiS7_N6thrust23THRUST_200600_302600_NS10device_ptrIlEESB_jNS0_19identity_decomposerENS1_16block_id_wrapperIjLb1EEEEE10hipError_tT1_PNSt15iterator_traitsISG_E10value_typeET2_T3_PNSH_ISM_E10value_typeET4_T5_PSR_SS_PNS1_23onesweep_lookback_stateEbbT6_jjT7_P12ihipStream_tbENKUlT_T0_SG_SL_E_clIS7_S7_SB_SB_EEDaSZ_S10_SG_SL_EUlSZ_E_NS1_11comp_targetILNS1_3genE10ELNS1_11target_archE1201ELNS1_3gpuE5ELNS1_3repE0EEENS1_47radix_sort_onesweep_sort_config_static_selectorELNS0_4arch9wavefront6targetE1EEEvSG_
	.globl	_ZN7rocprim17ROCPRIM_400000_NS6detail17trampoline_kernelINS0_14default_configENS1_35radix_sort_onesweep_config_selectorIilEEZZNS1_29radix_sort_onesweep_iterationIS3_Lb0EPiS7_N6thrust23THRUST_200600_302600_NS10device_ptrIlEESB_jNS0_19identity_decomposerENS1_16block_id_wrapperIjLb1EEEEE10hipError_tT1_PNSt15iterator_traitsISG_E10value_typeET2_T3_PNSH_ISM_E10value_typeET4_T5_PSR_SS_PNS1_23onesweep_lookback_stateEbbT6_jjT7_P12ihipStream_tbENKUlT_T0_SG_SL_E_clIS7_S7_SB_SB_EEDaSZ_S10_SG_SL_EUlSZ_E_NS1_11comp_targetILNS1_3genE10ELNS1_11target_archE1201ELNS1_3gpuE5ELNS1_3repE0EEENS1_47radix_sort_onesweep_sort_config_static_selectorELNS0_4arch9wavefront6targetE1EEEvSG_
	.p2align	8
	.type	_ZN7rocprim17ROCPRIM_400000_NS6detail17trampoline_kernelINS0_14default_configENS1_35radix_sort_onesweep_config_selectorIilEEZZNS1_29radix_sort_onesweep_iterationIS3_Lb0EPiS7_N6thrust23THRUST_200600_302600_NS10device_ptrIlEESB_jNS0_19identity_decomposerENS1_16block_id_wrapperIjLb1EEEEE10hipError_tT1_PNSt15iterator_traitsISG_E10value_typeET2_T3_PNSH_ISM_E10value_typeET4_T5_PSR_SS_PNS1_23onesweep_lookback_stateEbbT6_jjT7_P12ihipStream_tbENKUlT_T0_SG_SL_E_clIS7_S7_SB_SB_EEDaSZ_S10_SG_SL_EUlSZ_E_NS1_11comp_targetILNS1_3genE10ELNS1_11target_archE1201ELNS1_3gpuE5ELNS1_3repE0EEENS1_47radix_sort_onesweep_sort_config_static_selectorELNS0_4arch9wavefront6targetE1EEEvSG_,@function
_ZN7rocprim17ROCPRIM_400000_NS6detail17trampoline_kernelINS0_14default_configENS1_35radix_sort_onesweep_config_selectorIilEEZZNS1_29radix_sort_onesweep_iterationIS3_Lb0EPiS7_N6thrust23THRUST_200600_302600_NS10device_ptrIlEESB_jNS0_19identity_decomposerENS1_16block_id_wrapperIjLb1EEEEE10hipError_tT1_PNSt15iterator_traitsISG_E10value_typeET2_T3_PNSH_ISM_E10value_typeET4_T5_PSR_SS_PNS1_23onesweep_lookback_stateEbbT6_jjT7_P12ihipStream_tbENKUlT_T0_SG_SL_E_clIS7_S7_SB_SB_EEDaSZ_S10_SG_SL_EUlSZ_E_NS1_11comp_targetILNS1_3genE10ELNS1_11target_archE1201ELNS1_3gpuE5ELNS1_3repE0EEENS1_47radix_sort_onesweep_sort_config_static_selectorELNS0_4arch9wavefront6targetE1EEEvSG_: ; @_ZN7rocprim17ROCPRIM_400000_NS6detail17trampoline_kernelINS0_14default_configENS1_35radix_sort_onesweep_config_selectorIilEEZZNS1_29radix_sort_onesweep_iterationIS3_Lb0EPiS7_N6thrust23THRUST_200600_302600_NS10device_ptrIlEESB_jNS0_19identity_decomposerENS1_16block_id_wrapperIjLb1EEEEE10hipError_tT1_PNSt15iterator_traitsISG_E10value_typeET2_T3_PNSH_ISM_E10value_typeET4_T5_PSR_SS_PNS1_23onesweep_lookback_stateEbbT6_jjT7_P12ihipStream_tbENKUlT_T0_SG_SL_E_clIS7_S7_SB_SB_EEDaSZ_S10_SG_SL_EUlSZ_E_NS1_11comp_targetILNS1_3genE10ELNS1_11target_archE1201ELNS1_3gpuE5ELNS1_3repE0EEENS1_47radix_sort_onesweep_sort_config_static_selectorELNS0_4arch9wavefront6targetE1EEEvSG_
; %bb.0:
	.section	.rodata,"a",@progbits
	.p2align	6, 0x0
	.amdhsa_kernel _ZN7rocprim17ROCPRIM_400000_NS6detail17trampoline_kernelINS0_14default_configENS1_35radix_sort_onesweep_config_selectorIilEEZZNS1_29radix_sort_onesweep_iterationIS3_Lb0EPiS7_N6thrust23THRUST_200600_302600_NS10device_ptrIlEESB_jNS0_19identity_decomposerENS1_16block_id_wrapperIjLb1EEEEE10hipError_tT1_PNSt15iterator_traitsISG_E10value_typeET2_T3_PNSH_ISM_E10value_typeET4_T5_PSR_SS_PNS1_23onesweep_lookback_stateEbbT6_jjT7_P12ihipStream_tbENKUlT_T0_SG_SL_E_clIS7_S7_SB_SB_EEDaSZ_S10_SG_SL_EUlSZ_E_NS1_11comp_targetILNS1_3genE10ELNS1_11target_archE1201ELNS1_3gpuE5ELNS1_3repE0EEENS1_47radix_sort_onesweep_sort_config_static_selectorELNS0_4arch9wavefront6targetE1EEEvSG_
		.amdhsa_group_segment_fixed_size 0
		.amdhsa_private_segment_fixed_size 0
		.amdhsa_kernarg_size 88
		.amdhsa_user_sgpr_count 6
		.amdhsa_user_sgpr_private_segment_buffer 1
		.amdhsa_user_sgpr_dispatch_ptr 0
		.amdhsa_user_sgpr_queue_ptr 0
		.amdhsa_user_sgpr_kernarg_segment_ptr 1
		.amdhsa_user_sgpr_dispatch_id 0
		.amdhsa_user_sgpr_flat_scratch_init 0
		.amdhsa_user_sgpr_kernarg_preload_length 0
		.amdhsa_user_sgpr_kernarg_preload_offset 0
		.amdhsa_user_sgpr_private_segment_size 0
		.amdhsa_uses_dynamic_stack 0
		.amdhsa_system_sgpr_private_segment_wavefront_offset 0
		.amdhsa_system_sgpr_workgroup_id_x 1
		.amdhsa_system_sgpr_workgroup_id_y 0
		.amdhsa_system_sgpr_workgroup_id_z 0
		.amdhsa_system_sgpr_workgroup_info 0
		.amdhsa_system_vgpr_workitem_id 0
		.amdhsa_next_free_vgpr 1
		.amdhsa_next_free_sgpr 0
		.amdhsa_accum_offset 4
		.amdhsa_reserve_vcc 0
		.amdhsa_reserve_flat_scratch 0
		.amdhsa_float_round_mode_32 0
		.amdhsa_float_round_mode_16_64 0
		.amdhsa_float_denorm_mode_32 3
		.amdhsa_float_denorm_mode_16_64 3
		.amdhsa_dx10_clamp 1
		.amdhsa_ieee_mode 1
		.amdhsa_fp16_overflow 0
		.amdhsa_tg_split 0
		.amdhsa_exception_fp_ieee_invalid_op 0
		.amdhsa_exception_fp_denorm_src 0
		.amdhsa_exception_fp_ieee_div_zero 0
		.amdhsa_exception_fp_ieee_overflow 0
		.amdhsa_exception_fp_ieee_underflow 0
		.amdhsa_exception_fp_ieee_inexact 0
		.amdhsa_exception_int_div_zero 0
	.end_amdhsa_kernel
	.section	.text._ZN7rocprim17ROCPRIM_400000_NS6detail17trampoline_kernelINS0_14default_configENS1_35radix_sort_onesweep_config_selectorIilEEZZNS1_29radix_sort_onesweep_iterationIS3_Lb0EPiS7_N6thrust23THRUST_200600_302600_NS10device_ptrIlEESB_jNS0_19identity_decomposerENS1_16block_id_wrapperIjLb1EEEEE10hipError_tT1_PNSt15iterator_traitsISG_E10value_typeET2_T3_PNSH_ISM_E10value_typeET4_T5_PSR_SS_PNS1_23onesweep_lookback_stateEbbT6_jjT7_P12ihipStream_tbENKUlT_T0_SG_SL_E_clIS7_S7_SB_SB_EEDaSZ_S10_SG_SL_EUlSZ_E_NS1_11comp_targetILNS1_3genE10ELNS1_11target_archE1201ELNS1_3gpuE5ELNS1_3repE0EEENS1_47radix_sort_onesweep_sort_config_static_selectorELNS0_4arch9wavefront6targetE1EEEvSG_,"axG",@progbits,_ZN7rocprim17ROCPRIM_400000_NS6detail17trampoline_kernelINS0_14default_configENS1_35radix_sort_onesweep_config_selectorIilEEZZNS1_29radix_sort_onesweep_iterationIS3_Lb0EPiS7_N6thrust23THRUST_200600_302600_NS10device_ptrIlEESB_jNS0_19identity_decomposerENS1_16block_id_wrapperIjLb1EEEEE10hipError_tT1_PNSt15iterator_traitsISG_E10value_typeET2_T3_PNSH_ISM_E10value_typeET4_T5_PSR_SS_PNS1_23onesweep_lookback_stateEbbT6_jjT7_P12ihipStream_tbENKUlT_T0_SG_SL_E_clIS7_S7_SB_SB_EEDaSZ_S10_SG_SL_EUlSZ_E_NS1_11comp_targetILNS1_3genE10ELNS1_11target_archE1201ELNS1_3gpuE5ELNS1_3repE0EEENS1_47radix_sort_onesweep_sort_config_static_selectorELNS0_4arch9wavefront6targetE1EEEvSG_,comdat
.Lfunc_end872:
	.size	_ZN7rocprim17ROCPRIM_400000_NS6detail17trampoline_kernelINS0_14default_configENS1_35radix_sort_onesweep_config_selectorIilEEZZNS1_29radix_sort_onesweep_iterationIS3_Lb0EPiS7_N6thrust23THRUST_200600_302600_NS10device_ptrIlEESB_jNS0_19identity_decomposerENS1_16block_id_wrapperIjLb1EEEEE10hipError_tT1_PNSt15iterator_traitsISG_E10value_typeET2_T3_PNSH_ISM_E10value_typeET4_T5_PSR_SS_PNS1_23onesweep_lookback_stateEbbT6_jjT7_P12ihipStream_tbENKUlT_T0_SG_SL_E_clIS7_S7_SB_SB_EEDaSZ_S10_SG_SL_EUlSZ_E_NS1_11comp_targetILNS1_3genE10ELNS1_11target_archE1201ELNS1_3gpuE5ELNS1_3repE0EEENS1_47radix_sort_onesweep_sort_config_static_selectorELNS0_4arch9wavefront6targetE1EEEvSG_, .Lfunc_end872-_ZN7rocprim17ROCPRIM_400000_NS6detail17trampoline_kernelINS0_14default_configENS1_35radix_sort_onesweep_config_selectorIilEEZZNS1_29radix_sort_onesweep_iterationIS3_Lb0EPiS7_N6thrust23THRUST_200600_302600_NS10device_ptrIlEESB_jNS0_19identity_decomposerENS1_16block_id_wrapperIjLb1EEEEE10hipError_tT1_PNSt15iterator_traitsISG_E10value_typeET2_T3_PNSH_ISM_E10value_typeET4_T5_PSR_SS_PNS1_23onesweep_lookback_stateEbbT6_jjT7_P12ihipStream_tbENKUlT_T0_SG_SL_E_clIS7_S7_SB_SB_EEDaSZ_S10_SG_SL_EUlSZ_E_NS1_11comp_targetILNS1_3genE10ELNS1_11target_archE1201ELNS1_3gpuE5ELNS1_3repE0EEENS1_47radix_sort_onesweep_sort_config_static_selectorELNS0_4arch9wavefront6targetE1EEEvSG_
                                        ; -- End function
	.section	.AMDGPU.csdata,"",@progbits
; Kernel info:
; codeLenInByte = 0
; NumSgprs: 4
; NumVgprs: 0
; NumAgprs: 0
; TotalNumVgprs: 0
; ScratchSize: 0
; MemoryBound: 0
; FloatMode: 240
; IeeeMode: 1
; LDSByteSize: 0 bytes/workgroup (compile time only)
; SGPRBlocks: 0
; VGPRBlocks: 0
; NumSGPRsForWavesPerEU: 4
; NumVGPRsForWavesPerEU: 1
; AccumOffset: 4
; Occupancy: 8
; WaveLimiterHint : 0
; COMPUTE_PGM_RSRC2:SCRATCH_EN: 0
; COMPUTE_PGM_RSRC2:USER_SGPR: 6
; COMPUTE_PGM_RSRC2:TRAP_HANDLER: 0
; COMPUTE_PGM_RSRC2:TGID_X_EN: 1
; COMPUTE_PGM_RSRC2:TGID_Y_EN: 0
; COMPUTE_PGM_RSRC2:TGID_Z_EN: 0
; COMPUTE_PGM_RSRC2:TIDIG_COMP_CNT: 0
; COMPUTE_PGM_RSRC3_GFX90A:ACCUM_OFFSET: 0
; COMPUTE_PGM_RSRC3_GFX90A:TG_SPLIT: 0
	.section	.text._ZN7rocprim17ROCPRIM_400000_NS6detail17trampoline_kernelINS0_14default_configENS1_35radix_sort_onesweep_config_selectorIilEEZZNS1_29radix_sort_onesweep_iterationIS3_Lb0EPiS7_N6thrust23THRUST_200600_302600_NS10device_ptrIlEESB_jNS0_19identity_decomposerENS1_16block_id_wrapperIjLb1EEEEE10hipError_tT1_PNSt15iterator_traitsISG_E10value_typeET2_T3_PNSH_ISM_E10value_typeET4_T5_PSR_SS_PNS1_23onesweep_lookback_stateEbbT6_jjT7_P12ihipStream_tbENKUlT_T0_SG_SL_E_clIS7_S7_SB_SB_EEDaSZ_S10_SG_SL_EUlSZ_E_NS1_11comp_targetILNS1_3genE9ELNS1_11target_archE1100ELNS1_3gpuE3ELNS1_3repE0EEENS1_47radix_sort_onesweep_sort_config_static_selectorELNS0_4arch9wavefront6targetE1EEEvSG_,"axG",@progbits,_ZN7rocprim17ROCPRIM_400000_NS6detail17trampoline_kernelINS0_14default_configENS1_35radix_sort_onesweep_config_selectorIilEEZZNS1_29radix_sort_onesweep_iterationIS3_Lb0EPiS7_N6thrust23THRUST_200600_302600_NS10device_ptrIlEESB_jNS0_19identity_decomposerENS1_16block_id_wrapperIjLb1EEEEE10hipError_tT1_PNSt15iterator_traitsISG_E10value_typeET2_T3_PNSH_ISM_E10value_typeET4_T5_PSR_SS_PNS1_23onesweep_lookback_stateEbbT6_jjT7_P12ihipStream_tbENKUlT_T0_SG_SL_E_clIS7_S7_SB_SB_EEDaSZ_S10_SG_SL_EUlSZ_E_NS1_11comp_targetILNS1_3genE9ELNS1_11target_archE1100ELNS1_3gpuE3ELNS1_3repE0EEENS1_47radix_sort_onesweep_sort_config_static_selectorELNS0_4arch9wavefront6targetE1EEEvSG_,comdat
	.protected	_ZN7rocprim17ROCPRIM_400000_NS6detail17trampoline_kernelINS0_14default_configENS1_35radix_sort_onesweep_config_selectorIilEEZZNS1_29radix_sort_onesweep_iterationIS3_Lb0EPiS7_N6thrust23THRUST_200600_302600_NS10device_ptrIlEESB_jNS0_19identity_decomposerENS1_16block_id_wrapperIjLb1EEEEE10hipError_tT1_PNSt15iterator_traitsISG_E10value_typeET2_T3_PNSH_ISM_E10value_typeET4_T5_PSR_SS_PNS1_23onesweep_lookback_stateEbbT6_jjT7_P12ihipStream_tbENKUlT_T0_SG_SL_E_clIS7_S7_SB_SB_EEDaSZ_S10_SG_SL_EUlSZ_E_NS1_11comp_targetILNS1_3genE9ELNS1_11target_archE1100ELNS1_3gpuE3ELNS1_3repE0EEENS1_47radix_sort_onesweep_sort_config_static_selectorELNS0_4arch9wavefront6targetE1EEEvSG_ ; -- Begin function _ZN7rocprim17ROCPRIM_400000_NS6detail17trampoline_kernelINS0_14default_configENS1_35radix_sort_onesweep_config_selectorIilEEZZNS1_29radix_sort_onesweep_iterationIS3_Lb0EPiS7_N6thrust23THRUST_200600_302600_NS10device_ptrIlEESB_jNS0_19identity_decomposerENS1_16block_id_wrapperIjLb1EEEEE10hipError_tT1_PNSt15iterator_traitsISG_E10value_typeET2_T3_PNSH_ISM_E10value_typeET4_T5_PSR_SS_PNS1_23onesweep_lookback_stateEbbT6_jjT7_P12ihipStream_tbENKUlT_T0_SG_SL_E_clIS7_S7_SB_SB_EEDaSZ_S10_SG_SL_EUlSZ_E_NS1_11comp_targetILNS1_3genE9ELNS1_11target_archE1100ELNS1_3gpuE3ELNS1_3repE0EEENS1_47radix_sort_onesweep_sort_config_static_selectorELNS0_4arch9wavefront6targetE1EEEvSG_
	.globl	_ZN7rocprim17ROCPRIM_400000_NS6detail17trampoline_kernelINS0_14default_configENS1_35radix_sort_onesweep_config_selectorIilEEZZNS1_29radix_sort_onesweep_iterationIS3_Lb0EPiS7_N6thrust23THRUST_200600_302600_NS10device_ptrIlEESB_jNS0_19identity_decomposerENS1_16block_id_wrapperIjLb1EEEEE10hipError_tT1_PNSt15iterator_traitsISG_E10value_typeET2_T3_PNSH_ISM_E10value_typeET4_T5_PSR_SS_PNS1_23onesweep_lookback_stateEbbT6_jjT7_P12ihipStream_tbENKUlT_T0_SG_SL_E_clIS7_S7_SB_SB_EEDaSZ_S10_SG_SL_EUlSZ_E_NS1_11comp_targetILNS1_3genE9ELNS1_11target_archE1100ELNS1_3gpuE3ELNS1_3repE0EEENS1_47radix_sort_onesweep_sort_config_static_selectorELNS0_4arch9wavefront6targetE1EEEvSG_
	.p2align	8
	.type	_ZN7rocprim17ROCPRIM_400000_NS6detail17trampoline_kernelINS0_14default_configENS1_35radix_sort_onesweep_config_selectorIilEEZZNS1_29radix_sort_onesweep_iterationIS3_Lb0EPiS7_N6thrust23THRUST_200600_302600_NS10device_ptrIlEESB_jNS0_19identity_decomposerENS1_16block_id_wrapperIjLb1EEEEE10hipError_tT1_PNSt15iterator_traitsISG_E10value_typeET2_T3_PNSH_ISM_E10value_typeET4_T5_PSR_SS_PNS1_23onesweep_lookback_stateEbbT6_jjT7_P12ihipStream_tbENKUlT_T0_SG_SL_E_clIS7_S7_SB_SB_EEDaSZ_S10_SG_SL_EUlSZ_E_NS1_11comp_targetILNS1_3genE9ELNS1_11target_archE1100ELNS1_3gpuE3ELNS1_3repE0EEENS1_47radix_sort_onesweep_sort_config_static_selectorELNS0_4arch9wavefront6targetE1EEEvSG_,@function
_ZN7rocprim17ROCPRIM_400000_NS6detail17trampoline_kernelINS0_14default_configENS1_35radix_sort_onesweep_config_selectorIilEEZZNS1_29radix_sort_onesweep_iterationIS3_Lb0EPiS7_N6thrust23THRUST_200600_302600_NS10device_ptrIlEESB_jNS0_19identity_decomposerENS1_16block_id_wrapperIjLb1EEEEE10hipError_tT1_PNSt15iterator_traitsISG_E10value_typeET2_T3_PNSH_ISM_E10value_typeET4_T5_PSR_SS_PNS1_23onesweep_lookback_stateEbbT6_jjT7_P12ihipStream_tbENKUlT_T0_SG_SL_E_clIS7_S7_SB_SB_EEDaSZ_S10_SG_SL_EUlSZ_E_NS1_11comp_targetILNS1_3genE9ELNS1_11target_archE1100ELNS1_3gpuE3ELNS1_3repE0EEENS1_47radix_sort_onesweep_sort_config_static_selectorELNS0_4arch9wavefront6targetE1EEEvSG_: ; @_ZN7rocprim17ROCPRIM_400000_NS6detail17trampoline_kernelINS0_14default_configENS1_35radix_sort_onesweep_config_selectorIilEEZZNS1_29radix_sort_onesweep_iterationIS3_Lb0EPiS7_N6thrust23THRUST_200600_302600_NS10device_ptrIlEESB_jNS0_19identity_decomposerENS1_16block_id_wrapperIjLb1EEEEE10hipError_tT1_PNSt15iterator_traitsISG_E10value_typeET2_T3_PNSH_ISM_E10value_typeET4_T5_PSR_SS_PNS1_23onesweep_lookback_stateEbbT6_jjT7_P12ihipStream_tbENKUlT_T0_SG_SL_E_clIS7_S7_SB_SB_EEDaSZ_S10_SG_SL_EUlSZ_E_NS1_11comp_targetILNS1_3genE9ELNS1_11target_archE1100ELNS1_3gpuE3ELNS1_3repE0EEENS1_47radix_sort_onesweep_sort_config_static_selectorELNS0_4arch9wavefront6targetE1EEEvSG_
; %bb.0:
	.section	.rodata,"a",@progbits
	.p2align	6, 0x0
	.amdhsa_kernel _ZN7rocprim17ROCPRIM_400000_NS6detail17trampoline_kernelINS0_14default_configENS1_35radix_sort_onesweep_config_selectorIilEEZZNS1_29radix_sort_onesweep_iterationIS3_Lb0EPiS7_N6thrust23THRUST_200600_302600_NS10device_ptrIlEESB_jNS0_19identity_decomposerENS1_16block_id_wrapperIjLb1EEEEE10hipError_tT1_PNSt15iterator_traitsISG_E10value_typeET2_T3_PNSH_ISM_E10value_typeET4_T5_PSR_SS_PNS1_23onesweep_lookback_stateEbbT6_jjT7_P12ihipStream_tbENKUlT_T0_SG_SL_E_clIS7_S7_SB_SB_EEDaSZ_S10_SG_SL_EUlSZ_E_NS1_11comp_targetILNS1_3genE9ELNS1_11target_archE1100ELNS1_3gpuE3ELNS1_3repE0EEENS1_47radix_sort_onesweep_sort_config_static_selectorELNS0_4arch9wavefront6targetE1EEEvSG_
		.amdhsa_group_segment_fixed_size 0
		.amdhsa_private_segment_fixed_size 0
		.amdhsa_kernarg_size 88
		.amdhsa_user_sgpr_count 6
		.amdhsa_user_sgpr_private_segment_buffer 1
		.amdhsa_user_sgpr_dispatch_ptr 0
		.amdhsa_user_sgpr_queue_ptr 0
		.amdhsa_user_sgpr_kernarg_segment_ptr 1
		.amdhsa_user_sgpr_dispatch_id 0
		.amdhsa_user_sgpr_flat_scratch_init 0
		.amdhsa_user_sgpr_kernarg_preload_length 0
		.amdhsa_user_sgpr_kernarg_preload_offset 0
		.amdhsa_user_sgpr_private_segment_size 0
		.amdhsa_uses_dynamic_stack 0
		.amdhsa_system_sgpr_private_segment_wavefront_offset 0
		.amdhsa_system_sgpr_workgroup_id_x 1
		.amdhsa_system_sgpr_workgroup_id_y 0
		.amdhsa_system_sgpr_workgroup_id_z 0
		.amdhsa_system_sgpr_workgroup_info 0
		.amdhsa_system_vgpr_workitem_id 0
		.amdhsa_next_free_vgpr 1
		.amdhsa_next_free_sgpr 0
		.amdhsa_accum_offset 4
		.amdhsa_reserve_vcc 0
		.amdhsa_reserve_flat_scratch 0
		.amdhsa_float_round_mode_32 0
		.amdhsa_float_round_mode_16_64 0
		.amdhsa_float_denorm_mode_32 3
		.amdhsa_float_denorm_mode_16_64 3
		.amdhsa_dx10_clamp 1
		.amdhsa_ieee_mode 1
		.amdhsa_fp16_overflow 0
		.amdhsa_tg_split 0
		.amdhsa_exception_fp_ieee_invalid_op 0
		.amdhsa_exception_fp_denorm_src 0
		.amdhsa_exception_fp_ieee_div_zero 0
		.amdhsa_exception_fp_ieee_overflow 0
		.amdhsa_exception_fp_ieee_underflow 0
		.amdhsa_exception_fp_ieee_inexact 0
		.amdhsa_exception_int_div_zero 0
	.end_amdhsa_kernel
	.section	.text._ZN7rocprim17ROCPRIM_400000_NS6detail17trampoline_kernelINS0_14default_configENS1_35radix_sort_onesweep_config_selectorIilEEZZNS1_29radix_sort_onesweep_iterationIS3_Lb0EPiS7_N6thrust23THRUST_200600_302600_NS10device_ptrIlEESB_jNS0_19identity_decomposerENS1_16block_id_wrapperIjLb1EEEEE10hipError_tT1_PNSt15iterator_traitsISG_E10value_typeET2_T3_PNSH_ISM_E10value_typeET4_T5_PSR_SS_PNS1_23onesweep_lookback_stateEbbT6_jjT7_P12ihipStream_tbENKUlT_T0_SG_SL_E_clIS7_S7_SB_SB_EEDaSZ_S10_SG_SL_EUlSZ_E_NS1_11comp_targetILNS1_3genE9ELNS1_11target_archE1100ELNS1_3gpuE3ELNS1_3repE0EEENS1_47radix_sort_onesweep_sort_config_static_selectorELNS0_4arch9wavefront6targetE1EEEvSG_,"axG",@progbits,_ZN7rocprim17ROCPRIM_400000_NS6detail17trampoline_kernelINS0_14default_configENS1_35radix_sort_onesweep_config_selectorIilEEZZNS1_29radix_sort_onesweep_iterationIS3_Lb0EPiS7_N6thrust23THRUST_200600_302600_NS10device_ptrIlEESB_jNS0_19identity_decomposerENS1_16block_id_wrapperIjLb1EEEEE10hipError_tT1_PNSt15iterator_traitsISG_E10value_typeET2_T3_PNSH_ISM_E10value_typeET4_T5_PSR_SS_PNS1_23onesweep_lookback_stateEbbT6_jjT7_P12ihipStream_tbENKUlT_T0_SG_SL_E_clIS7_S7_SB_SB_EEDaSZ_S10_SG_SL_EUlSZ_E_NS1_11comp_targetILNS1_3genE9ELNS1_11target_archE1100ELNS1_3gpuE3ELNS1_3repE0EEENS1_47radix_sort_onesweep_sort_config_static_selectorELNS0_4arch9wavefront6targetE1EEEvSG_,comdat
.Lfunc_end873:
	.size	_ZN7rocprim17ROCPRIM_400000_NS6detail17trampoline_kernelINS0_14default_configENS1_35radix_sort_onesweep_config_selectorIilEEZZNS1_29radix_sort_onesweep_iterationIS3_Lb0EPiS7_N6thrust23THRUST_200600_302600_NS10device_ptrIlEESB_jNS0_19identity_decomposerENS1_16block_id_wrapperIjLb1EEEEE10hipError_tT1_PNSt15iterator_traitsISG_E10value_typeET2_T3_PNSH_ISM_E10value_typeET4_T5_PSR_SS_PNS1_23onesweep_lookback_stateEbbT6_jjT7_P12ihipStream_tbENKUlT_T0_SG_SL_E_clIS7_S7_SB_SB_EEDaSZ_S10_SG_SL_EUlSZ_E_NS1_11comp_targetILNS1_3genE9ELNS1_11target_archE1100ELNS1_3gpuE3ELNS1_3repE0EEENS1_47radix_sort_onesweep_sort_config_static_selectorELNS0_4arch9wavefront6targetE1EEEvSG_, .Lfunc_end873-_ZN7rocprim17ROCPRIM_400000_NS6detail17trampoline_kernelINS0_14default_configENS1_35radix_sort_onesweep_config_selectorIilEEZZNS1_29radix_sort_onesweep_iterationIS3_Lb0EPiS7_N6thrust23THRUST_200600_302600_NS10device_ptrIlEESB_jNS0_19identity_decomposerENS1_16block_id_wrapperIjLb1EEEEE10hipError_tT1_PNSt15iterator_traitsISG_E10value_typeET2_T3_PNSH_ISM_E10value_typeET4_T5_PSR_SS_PNS1_23onesweep_lookback_stateEbbT6_jjT7_P12ihipStream_tbENKUlT_T0_SG_SL_E_clIS7_S7_SB_SB_EEDaSZ_S10_SG_SL_EUlSZ_E_NS1_11comp_targetILNS1_3genE9ELNS1_11target_archE1100ELNS1_3gpuE3ELNS1_3repE0EEENS1_47radix_sort_onesweep_sort_config_static_selectorELNS0_4arch9wavefront6targetE1EEEvSG_
                                        ; -- End function
	.section	.AMDGPU.csdata,"",@progbits
; Kernel info:
; codeLenInByte = 0
; NumSgprs: 4
; NumVgprs: 0
; NumAgprs: 0
; TotalNumVgprs: 0
; ScratchSize: 0
; MemoryBound: 0
; FloatMode: 240
; IeeeMode: 1
; LDSByteSize: 0 bytes/workgroup (compile time only)
; SGPRBlocks: 0
; VGPRBlocks: 0
; NumSGPRsForWavesPerEU: 4
; NumVGPRsForWavesPerEU: 1
; AccumOffset: 4
; Occupancy: 8
; WaveLimiterHint : 0
; COMPUTE_PGM_RSRC2:SCRATCH_EN: 0
; COMPUTE_PGM_RSRC2:USER_SGPR: 6
; COMPUTE_PGM_RSRC2:TRAP_HANDLER: 0
; COMPUTE_PGM_RSRC2:TGID_X_EN: 1
; COMPUTE_PGM_RSRC2:TGID_Y_EN: 0
; COMPUTE_PGM_RSRC2:TGID_Z_EN: 0
; COMPUTE_PGM_RSRC2:TIDIG_COMP_CNT: 0
; COMPUTE_PGM_RSRC3_GFX90A:ACCUM_OFFSET: 0
; COMPUTE_PGM_RSRC3_GFX90A:TG_SPLIT: 0
	.section	.text._ZN7rocprim17ROCPRIM_400000_NS6detail17trampoline_kernelINS0_14default_configENS1_35radix_sort_onesweep_config_selectorIilEEZZNS1_29radix_sort_onesweep_iterationIS3_Lb0EPiS7_N6thrust23THRUST_200600_302600_NS10device_ptrIlEESB_jNS0_19identity_decomposerENS1_16block_id_wrapperIjLb1EEEEE10hipError_tT1_PNSt15iterator_traitsISG_E10value_typeET2_T3_PNSH_ISM_E10value_typeET4_T5_PSR_SS_PNS1_23onesweep_lookback_stateEbbT6_jjT7_P12ihipStream_tbENKUlT_T0_SG_SL_E_clIS7_S7_SB_SB_EEDaSZ_S10_SG_SL_EUlSZ_E_NS1_11comp_targetILNS1_3genE8ELNS1_11target_archE1030ELNS1_3gpuE2ELNS1_3repE0EEENS1_47radix_sort_onesweep_sort_config_static_selectorELNS0_4arch9wavefront6targetE1EEEvSG_,"axG",@progbits,_ZN7rocprim17ROCPRIM_400000_NS6detail17trampoline_kernelINS0_14default_configENS1_35radix_sort_onesweep_config_selectorIilEEZZNS1_29radix_sort_onesweep_iterationIS3_Lb0EPiS7_N6thrust23THRUST_200600_302600_NS10device_ptrIlEESB_jNS0_19identity_decomposerENS1_16block_id_wrapperIjLb1EEEEE10hipError_tT1_PNSt15iterator_traitsISG_E10value_typeET2_T3_PNSH_ISM_E10value_typeET4_T5_PSR_SS_PNS1_23onesweep_lookback_stateEbbT6_jjT7_P12ihipStream_tbENKUlT_T0_SG_SL_E_clIS7_S7_SB_SB_EEDaSZ_S10_SG_SL_EUlSZ_E_NS1_11comp_targetILNS1_3genE8ELNS1_11target_archE1030ELNS1_3gpuE2ELNS1_3repE0EEENS1_47radix_sort_onesweep_sort_config_static_selectorELNS0_4arch9wavefront6targetE1EEEvSG_,comdat
	.protected	_ZN7rocprim17ROCPRIM_400000_NS6detail17trampoline_kernelINS0_14default_configENS1_35radix_sort_onesweep_config_selectorIilEEZZNS1_29radix_sort_onesweep_iterationIS3_Lb0EPiS7_N6thrust23THRUST_200600_302600_NS10device_ptrIlEESB_jNS0_19identity_decomposerENS1_16block_id_wrapperIjLb1EEEEE10hipError_tT1_PNSt15iterator_traitsISG_E10value_typeET2_T3_PNSH_ISM_E10value_typeET4_T5_PSR_SS_PNS1_23onesweep_lookback_stateEbbT6_jjT7_P12ihipStream_tbENKUlT_T0_SG_SL_E_clIS7_S7_SB_SB_EEDaSZ_S10_SG_SL_EUlSZ_E_NS1_11comp_targetILNS1_3genE8ELNS1_11target_archE1030ELNS1_3gpuE2ELNS1_3repE0EEENS1_47radix_sort_onesweep_sort_config_static_selectorELNS0_4arch9wavefront6targetE1EEEvSG_ ; -- Begin function _ZN7rocprim17ROCPRIM_400000_NS6detail17trampoline_kernelINS0_14default_configENS1_35radix_sort_onesweep_config_selectorIilEEZZNS1_29radix_sort_onesweep_iterationIS3_Lb0EPiS7_N6thrust23THRUST_200600_302600_NS10device_ptrIlEESB_jNS0_19identity_decomposerENS1_16block_id_wrapperIjLb1EEEEE10hipError_tT1_PNSt15iterator_traitsISG_E10value_typeET2_T3_PNSH_ISM_E10value_typeET4_T5_PSR_SS_PNS1_23onesweep_lookback_stateEbbT6_jjT7_P12ihipStream_tbENKUlT_T0_SG_SL_E_clIS7_S7_SB_SB_EEDaSZ_S10_SG_SL_EUlSZ_E_NS1_11comp_targetILNS1_3genE8ELNS1_11target_archE1030ELNS1_3gpuE2ELNS1_3repE0EEENS1_47radix_sort_onesweep_sort_config_static_selectorELNS0_4arch9wavefront6targetE1EEEvSG_
	.globl	_ZN7rocprim17ROCPRIM_400000_NS6detail17trampoline_kernelINS0_14default_configENS1_35radix_sort_onesweep_config_selectorIilEEZZNS1_29radix_sort_onesweep_iterationIS3_Lb0EPiS7_N6thrust23THRUST_200600_302600_NS10device_ptrIlEESB_jNS0_19identity_decomposerENS1_16block_id_wrapperIjLb1EEEEE10hipError_tT1_PNSt15iterator_traitsISG_E10value_typeET2_T3_PNSH_ISM_E10value_typeET4_T5_PSR_SS_PNS1_23onesweep_lookback_stateEbbT6_jjT7_P12ihipStream_tbENKUlT_T0_SG_SL_E_clIS7_S7_SB_SB_EEDaSZ_S10_SG_SL_EUlSZ_E_NS1_11comp_targetILNS1_3genE8ELNS1_11target_archE1030ELNS1_3gpuE2ELNS1_3repE0EEENS1_47radix_sort_onesweep_sort_config_static_selectorELNS0_4arch9wavefront6targetE1EEEvSG_
	.p2align	8
	.type	_ZN7rocprim17ROCPRIM_400000_NS6detail17trampoline_kernelINS0_14default_configENS1_35radix_sort_onesweep_config_selectorIilEEZZNS1_29radix_sort_onesweep_iterationIS3_Lb0EPiS7_N6thrust23THRUST_200600_302600_NS10device_ptrIlEESB_jNS0_19identity_decomposerENS1_16block_id_wrapperIjLb1EEEEE10hipError_tT1_PNSt15iterator_traitsISG_E10value_typeET2_T3_PNSH_ISM_E10value_typeET4_T5_PSR_SS_PNS1_23onesweep_lookback_stateEbbT6_jjT7_P12ihipStream_tbENKUlT_T0_SG_SL_E_clIS7_S7_SB_SB_EEDaSZ_S10_SG_SL_EUlSZ_E_NS1_11comp_targetILNS1_3genE8ELNS1_11target_archE1030ELNS1_3gpuE2ELNS1_3repE0EEENS1_47radix_sort_onesweep_sort_config_static_selectorELNS0_4arch9wavefront6targetE1EEEvSG_,@function
_ZN7rocprim17ROCPRIM_400000_NS6detail17trampoline_kernelINS0_14default_configENS1_35radix_sort_onesweep_config_selectorIilEEZZNS1_29radix_sort_onesweep_iterationIS3_Lb0EPiS7_N6thrust23THRUST_200600_302600_NS10device_ptrIlEESB_jNS0_19identity_decomposerENS1_16block_id_wrapperIjLb1EEEEE10hipError_tT1_PNSt15iterator_traitsISG_E10value_typeET2_T3_PNSH_ISM_E10value_typeET4_T5_PSR_SS_PNS1_23onesweep_lookback_stateEbbT6_jjT7_P12ihipStream_tbENKUlT_T0_SG_SL_E_clIS7_S7_SB_SB_EEDaSZ_S10_SG_SL_EUlSZ_E_NS1_11comp_targetILNS1_3genE8ELNS1_11target_archE1030ELNS1_3gpuE2ELNS1_3repE0EEENS1_47radix_sort_onesweep_sort_config_static_selectorELNS0_4arch9wavefront6targetE1EEEvSG_: ; @_ZN7rocprim17ROCPRIM_400000_NS6detail17trampoline_kernelINS0_14default_configENS1_35radix_sort_onesweep_config_selectorIilEEZZNS1_29radix_sort_onesweep_iterationIS3_Lb0EPiS7_N6thrust23THRUST_200600_302600_NS10device_ptrIlEESB_jNS0_19identity_decomposerENS1_16block_id_wrapperIjLb1EEEEE10hipError_tT1_PNSt15iterator_traitsISG_E10value_typeET2_T3_PNSH_ISM_E10value_typeET4_T5_PSR_SS_PNS1_23onesweep_lookback_stateEbbT6_jjT7_P12ihipStream_tbENKUlT_T0_SG_SL_E_clIS7_S7_SB_SB_EEDaSZ_S10_SG_SL_EUlSZ_E_NS1_11comp_targetILNS1_3genE8ELNS1_11target_archE1030ELNS1_3gpuE2ELNS1_3repE0EEENS1_47radix_sort_onesweep_sort_config_static_selectorELNS0_4arch9wavefront6targetE1EEEvSG_
; %bb.0:
	.section	.rodata,"a",@progbits
	.p2align	6, 0x0
	.amdhsa_kernel _ZN7rocprim17ROCPRIM_400000_NS6detail17trampoline_kernelINS0_14default_configENS1_35radix_sort_onesweep_config_selectorIilEEZZNS1_29radix_sort_onesweep_iterationIS3_Lb0EPiS7_N6thrust23THRUST_200600_302600_NS10device_ptrIlEESB_jNS0_19identity_decomposerENS1_16block_id_wrapperIjLb1EEEEE10hipError_tT1_PNSt15iterator_traitsISG_E10value_typeET2_T3_PNSH_ISM_E10value_typeET4_T5_PSR_SS_PNS1_23onesweep_lookback_stateEbbT6_jjT7_P12ihipStream_tbENKUlT_T0_SG_SL_E_clIS7_S7_SB_SB_EEDaSZ_S10_SG_SL_EUlSZ_E_NS1_11comp_targetILNS1_3genE8ELNS1_11target_archE1030ELNS1_3gpuE2ELNS1_3repE0EEENS1_47radix_sort_onesweep_sort_config_static_selectorELNS0_4arch9wavefront6targetE1EEEvSG_
		.amdhsa_group_segment_fixed_size 0
		.amdhsa_private_segment_fixed_size 0
		.amdhsa_kernarg_size 88
		.amdhsa_user_sgpr_count 6
		.amdhsa_user_sgpr_private_segment_buffer 1
		.amdhsa_user_sgpr_dispatch_ptr 0
		.amdhsa_user_sgpr_queue_ptr 0
		.amdhsa_user_sgpr_kernarg_segment_ptr 1
		.amdhsa_user_sgpr_dispatch_id 0
		.amdhsa_user_sgpr_flat_scratch_init 0
		.amdhsa_user_sgpr_kernarg_preload_length 0
		.amdhsa_user_sgpr_kernarg_preload_offset 0
		.amdhsa_user_sgpr_private_segment_size 0
		.amdhsa_uses_dynamic_stack 0
		.amdhsa_system_sgpr_private_segment_wavefront_offset 0
		.amdhsa_system_sgpr_workgroup_id_x 1
		.amdhsa_system_sgpr_workgroup_id_y 0
		.amdhsa_system_sgpr_workgroup_id_z 0
		.amdhsa_system_sgpr_workgroup_info 0
		.amdhsa_system_vgpr_workitem_id 0
		.amdhsa_next_free_vgpr 1
		.amdhsa_next_free_sgpr 0
		.amdhsa_accum_offset 4
		.amdhsa_reserve_vcc 0
		.amdhsa_reserve_flat_scratch 0
		.amdhsa_float_round_mode_32 0
		.amdhsa_float_round_mode_16_64 0
		.amdhsa_float_denorm_mode_32 3
		.amdhsa_float_denorm_mode_16_64 3
		.amdhsa_dx10_clamp 1
		.amdhsa_ieee_mode 1
		.amdhsa_fp16_overflow 0
		.amdhsa_tg_split 0
		.amdhsa_exception_fp_ieee_invalid_op 0
		.amdhsa_exception_fp_denorm_src 0
		.amdhsa_exception_fp_ieee_div_zero 0
		.amdhsa_exception_fp_ieee_overflow 0
		.amdhsa_exception_fp_ieee_underflow 0
		.amdhsa_exception_fp_ieee_inexact 0
		.amdhsa_exception_int_div_zero 0
	.end_amdhsa_kernel
	.section	.text._ZN7rocprim17ROCPRIM_400000_NS6detail17trampoline_kernelINS0_14default_configENS1_35radix_sort_onesweep_config_selectorIilEEZZNS1_29radix_sort_onesweep_iterationIS3_Lb0EPiS7_N6thrust23THRUST_200600_302600_NS10device_ptrIlEESB_jNS0_19identity_decomposerENS1_16block_id_wrapperIjLb1EEEEE10hipError_tT1_PNSt15iterator_traitsISG_E10value_typeET2_T3_PNSH_ISM_E10value_typeET4_T5_PSR_SS_PNS1_23onesweep_lookback_stateEbbT6_jjT7_P12ihipStream_tbENKUlT_T0_SG_SL_E_clIS7_S7_SB_SB_EEDaSZ_S10_SG_SL_EUlSZ_E_NS1_11comp_targetILNS1_3genE8ELNS1_11target_archE1030ELNS1_3gpuE2ELNS1_3repE0EEENS1_47radix_sort_onesweep_sort_config_static_selectorELNS0_4arch9wavefront6targetE1EEEvSG_,"axG",@progbits,_ZN7rocprim17ROCPRIM_400000_NS6detail17trampoline_kernelINS0_14default_configENS1_35radix_sort_onesweep_config_selectorIilEEZZNS1_29radix_sort_onesweep_iterationIS3_Lb0EPiS7_N6thrust23THRUST_200600_302600_NS10device_ptrIlEESB_jNS0_19identity_decomposerENS1_16block_id_wrapperIjLb1EEEEE10hipError_tT1_PNSt15iterator_traitsISG_E10value_typeET2_T3_PNSH_ISM_E10value_typeET4_T5_PSR_SS_PNS1_23onesweep_lookback_stateEbbT6_jjT7_P12ihipStream_tbENKUlT_T0_SG_SL_E_clIS7_S7_SB_SB_EEDaSZ_S10_SG_SL_EUlSZ_E_NS1_11comp_targetILNS1_3genE8ELNS1_11target_archE1030ELNS1_3gpuE2ELNS1_3repE0EEENS1_47radix_sort_onesweep_sort_config_static_selectorELNS0_4arch9wavefront6targetE1EEEvSG_,comdat
.Lfunc_end874:
	.size	_ZN7rocprim17ROCPRIM_400000_NS6detail17trampoline_kernelINS0_14default_configENS1_35radix_sort_onesweep_config_selectorIilEEZZNS1_29radix_sort_onesweep_iterationIS3_Lb0EPiS7_N6thrust23THRUST_200600_302600_NS10device_ptrIlEESB_jNS0_19identity_decomposerENS1_16block_id_wrapperIjLb1EEEEE10hipError_tT1_PNSt15iterator_traitsISG_E10value_typeET2_T3_PNSH_ISM_E10value_typeET4_T5_PSR_SS_PNS1_23onesweep_lookback_stateEbbT6_jjT7_P12ihipStream_tbENKUlT_T0_SG_SL_E_clIS7_S7_SB_SB_EEDaSZ_S10_SG_SL_EUlSZ_E_NS1_11comp_targetILNS1_3genE8ELNS1_11target_archE1030ELNS1_3gpuE2ELNS1_3repE0EEENS1_47radix_sort_onesweep_sort_config_static_selectorELNS0_4arch9wavefront6targetE1EEEvSG_, .Lfunc_end874-_ZN7rocprim17ROCPRIM_400000_NS6detail17trampoline_kernelINS0_14default_configENS1_35radix_sort_onesweep_config_selectorIilEEZZNS1_29radix_sort_onesweep_iterationIS3_Lb0EPiS7_N6thrust23THRUST_200600_302600_NS10device_ptrIlEESB_jNS0_19identity_decomposerENS1_16block_id_wrapperIjLb1EEEEE10hipError_tT1_PNSt15iterator_traitsISG_E10value_typeET2_T3_PNSH_ISM_E10value_typeET4_T5_PSR_SS_PNS1_23onesweep_lookback_stateEbbT6_jjT7_P12ihipStream_tbENKUlT_T0_SG_SL_E_clIS7_S7_SB_SB_EEDaSZ_S10_SG_SL_EUlSZ_E_NS1_11comp_targetILNS1_3genE8ELNS1_11target_archE1030ELNS1_3gpuE2ELNS1_3repE0EEENS1_47radix_sort_onesweep_sort_config_static_selectorELNS0_4arch9wavefront6targetE1EEEvSG_
                                        ; -- End function
	.section	.AMDGPU.csdata,"",@progbits
; Kernel info:
; codeLenInByte = 0
; NumSgprs: 4
; NumVgprs: 0
; NumAgprs: 0
; TotalNumVgprs: 0
; ScratchSize: 0
; MemoryBound: 0
; FloatMode: 240
; IeeeMode: 1
; LDSByteSize: 0 bytes/workgroup (compile time only)
; SGPRBlocks: 0
; VGPRBlocks: 0
; NumSGPRsForWavesPerEU: 4
; NumVGPRsForWavesPerEU: 1
; AccumOffset: 4
; Occupancy: 8
; WaveLimiterHint : 0
; COMPUTE_PGM_RSRC2:SCRATCH_EN: 0
; COMPUTE_PGM_RSRC2:USER_SGPR: 6
; COMPUTE_PGM_RSRC2:TRAP_HANDLER: 0
; COMPUTE_PGM_RSRC2:TGID_X_EN: 1
; COMPUTE_PGM_RSRC2:TGID_Y_EN: 0
; COMPUTE_PGM_RSRC2:TGID_Z_EN: 0
; COMPUTE_PGM_RSRC2:TIDIG_COMP_CNT: 0
; COMPUTE_PGM_RSRC3_GFX90A:ACCUM_OFFSET: 0
; COMPUTE_PGM_RSRC3_GFX90A:TG_SPLIT: 0
	.section	.text._ZN7rocprim17ROCPRIM_400000_NS6detail17trampoline_kernelINS0_14default_configENS1_35radix_sort_onesweep_config_selectorIilEEZZNS1_29radix_sort_onesweep_iterationIS3_Lb0EPiS7_N6thrust23THRUST_200600_302600_NS10device_ptrIlEESB_jNS0_19identity_decomposerENS1_16block_id_wrapperIjLb1EEEEE10hipError_tT1_PNSt15iterator_traitsISG_E10value_typeET2_T3_PNSH_ISM_E10value_typeET4_T5_PSR_SS_PNS1_23onesweep_lookback_stateEbbT6_jjT7_P12ihipStream_tbENKUlT_T0_SG_SL_E_clIS7_S7_SB_PlEEDaSZ_S10_SG_SL_EUlSZ_E_NS1_11comp_targetILNS1_3genE0ELNS1_11target_archE4294967295ELNS1_3gpuE0ELNS1_3repE0EEENS1_47radix_sort_onesweep_sort_config_static_selectorELNS0_4arch9wavefront6targetE1EEEvSG_,"axG",@progbits,_ZN7rocprim17ROCPRIM_400000_NS6detail17trampoline_kernelINS0_14default_configENS1_35radix_sort_onesweep_config_selectorIilEEZZNS1_29radix_sort_onesweep_iterationIS3_Lb0EPiS7_N6thrust23THRUST_200600_302600_NS10device_ptrIlEESB_jNS0_19identity_decomposerENS1_16block_id_wrapperIjLb1EEEEE10hipError_tT1_PNSt15iterator_traitsISG_E10value_typeET2_T3_PNSH_ISM_E10value_typeET4_T5_PSR_SS_PNS1_23onesweep_lookback_stateEbbT6_jjT7_P12ihipStream_tbENKUlT_T0_SG_SL_E_clIS7_S7_SB_PlEEDaSZ_S10_SG_SL_EUlSZ_E_NS1_11comp_targetILNS1_3genE0ELNS1_11target_archE4294967295ELNS1_3gpuE0ELNS1_3repE0EEENS1_47radix_sort_onesweep_sort_config_static_selectorELNS0_4arch9wavefront6targetE1EEEvSG_,comdat
	.protected	_ZN7rocprim17ROCPRIM_400000_NS6detail17trampoline_kernelINS0_14default_configENS1_35radix_sort_onesweep_config_selectorIilEEZZNS1_29radix_sort_onesweep_iterationIS3_Lb0EPiS7_N6thrust23THRUST_200600_302600_NS10device_ptrIlEESB_jNS0_19identity_decomposerENS1_16block_id_wrapperIjLb1EEEEE10hipError_tT1_PNSt15iterator_traitsISG_E10value_typeET2_T3_PNSH_ISM_E10value_typeET4_T5_PSR_SS_PNS1_23onesweep_lookback_stateEbbT6_jjT7_P12ihipStream_tbENKUlT_T0_SG_SL_E_clIS7_S7_SB_PlEEDaSZ_S10_SG_SL_EUlSZ_E_NS1_11comp_targetILNS1_3genE0ELNS1_11target_archE4294967295ELNS1_3gpuE0ELNS1_3repE0EEENS1_47radix_sort_onesweep_sort_config_static_selectorELNS0_4arch9wavefront6targetE1EEEvSG_ ; -- Begin function _ZN7rocprim17ROCPRIM_400000_NS6detail17trampoline_kernelINS0_14default_configENS1_35radix_sort_onesweep_config_selectorIilEEZZNS1_29radix_sort_onesweep_iterationIS3_Lb0EPiS7_N6thrust23THRUST_200600_302600_NS10device_ptrIlEESB_jNS0_19identity_decomposerENS1_16block_id_wrapperIjLb1EEEEE10hipError_tT1_PNSt15iterator_traitsISG_E10value_typeET2_T3_PNSH_ISM_E10value_typeET4_T5_PSR_SS_PNS1_23onesweep_lookback_stateEbbT6_jjT7_P12ihipStream_tbENKUlT_T0_SG_SL_E_clIS7_S7_SB_PlEEDaSZ_S10_SG_SL_EUlSZ_E_NS1_11comp_targetILNS1_3genE0ELNS1_11target_archE4294967295ELNS1_3gpuE0ELNS1_3repE0EEENS1_47radix_sort_onesweep_sort_config_static_selectorELNS0_4arch9wavefront6targetE1EEEvSG_
	.globl	_ZN7rocprim17ROCPRIM_400000_NS6detail17trampoline_kernelINS0_14default_configENS1_35radix_sort_onesweep_config_selectorIilEEZZNS1_29radix_sort_onesweep_iterationIS3_Lb0EPiS7_N6thrust23THRUST_200600_302600_NS10device_ptrIlEESB_jNS0_19identity_decomposerENS1_16block_id_wrapperIjLb1EEEEE10hipError_tT1_PNSt15iterator_traitsISG_E10value_typeET2_T3_PNSH_ISM_E10value_typeET4_T5_PSR_SS_PNS1_23onesweep_lookback_stateEbbT6_jjT7_P12ihipStream_tbENKUlT_T0_SG_SL_E_clIS7_S7_SB_PlEEDaSZ_S10_SG_SL_EUlSZ_E_NS1_11comp_targetILNS1_3genE0ELNS1_11target_archE4294967295ELNS1_3gpuE0ELNS1_3repE0EEENS1_47radix_sort_onesweep_sort_config_static_selectorELNS0_4arch9wavefront6targetE1EEEvSG_
	.p2align	8
	.type	_ZN7rocprim17ROCPRIM_400000_NS6detail17trampoline_kernelINS0_14default_configENS1_35radix_sort_onesweep_config_selectorIilEEZZNS1_29radix_sort_onesweep_iterationIS3_Lb0EPiS7_N6thrust23THRUST_200600_302600_NS10device_ptrIlEESB_jNS0_19identity_decomposerENS1_16block_id_wrapperIjLb1EEEEE10hipError_tT1_PNSt15iterator_traitsISG_E10value_typeET2_T3_PNSH_ISM_E10value_typeET4_T5_PSR_SS_PNS1_23onesweep_lookback_stateEbbT6_jjT7_P12ihipStream_tbENKUlT_T0_SG_SL_E_clIS7_S7_SB_PlEEDaSZ_S10_SG_SL_EUlSZ_E_NS1_11comp_targetILNS1_3genE0ELNS1_11target_archE4294967295ELNS1_3gpuE0ELNS1_3repE0EEENS1_47radix_sort_onesweep_sort_config_static_selectorELNS0_4arch9wavefront6targetE1EEEvSG_,@function
_ZN7rocprim17ROCPRIM_400000_NS6detail17trampoline_kernelINS0_14default_configENS1_35radix_sort_onesweep_config_selectorIilEEZZNS1_29radix_sort_onesweep_iterationIS3_Lb0EPiS7_N6thrust23THRUST_200600_302600_NS10device_ptrIlEESB_jNS0_19identity_decomposerENS1_16block_id_wrapperIjLb1EEEEE10hipError_tT1_PNSt15iterator_traitsISG_E10value_typeET2_T3_PNSH_ISM_E10value_typeET4_T5_PSR_SS_PNS1_23onesweep_lookback_stateEbbT6_jjT7_P12ihipStream_tbENKUlT_T0_SG_SL_E_clIS7_S7_SB_PlEEDaSZ_S10_SG_SL_EUlSZ_E_NS1_11comp_targetILNS1_3genE0ELNS1_11target_archE4294967295ELNS1_3gpuE0ELNS1_3repE0EEENS1_47radix_sort_onesweep_sort_config_static_selectorELNS0_4arch9wavefront6targetE1EEEvSG_: ; @_ZN7rocprim17ROCPRIM_400000_NS6detail17trampoline_kernelINS0_14default_configENS1_35radix_sort_onesweep_config_selectorIilEEZZNS1_29radix_sort_onesweep_iterationIS3_Lb0EPiS7_N6thrust23THRUST_200600_302600_NS10device_ptrIlEESB_jNS0_19identity_decomposerENS1_16block_id_wrapperIjLb1EEEEE10hipError_tT1_PNSt15iterator_traitsISG_E10value_typeET2_T3_PNSH_ISM_E10value_typeET4_T5_PSR_SS_PNS1_23onesweep_lookback_stateEbbT6_jjT7_P12ihipStream_tbENKUlT_T0_SG_SL_E_clIS7_S7_SB_PlEEDaSZ_S10_SG_SL_EUlSZ_E_NS1_11comp_targetILNS1_3genE0ELNS1_11target_archE4294967295ELNS1_3gpuE0ELNS1_3repE0EEENS1_47radix_sort_onesweep_sort_config_static_selectorELNS0_4arch9wavefront6targetE1EEEvSG_
; %bb.0:
	.section	.rodata,"a",@progbits
	.p2align	6, 0x0
	.amdhsa_kernel _ZN7rocprim17ROCPRIM_400000_NS6detail17trampoline_kernelINS0_14default_configENS1_35radix_sort_onesweep_config_selectorIilEEZZNS1_29radix_sort_onesweep_iterationIS3_Lb0EPiS7_N6thrust23THRUST_200600_302600_NS10device_ptrIlEESB_jNS0_19identity_decomposerENS1_16block_id_wrapperIjLb1EEEEE10hipError_tT1_PNSt15iterator_traitsISG_E10value_typeET2_T3_PNSH_ISM_E10value_typeET4_T5_PSR_SS_PNS1_23onesweep_lookback_stateEbbT6_jjT7_P12ihipStream_tbENKUlT_T0_SG_SL_E_clIS7_S7_SB_PlEEDaSZ_S10_SG_SL_EUlSZ_E_NS1_11comp_targetILNS1_3genE0ELNS1_11target_archE4294967295ELNS1_3gpuE0ELNS1_3repE0EEENS1_47radix_sort_onesweep_sort_config_static_selectorELNS0_4arch9wavefront6targetE1EEEvSG_
		.amdhsa_group_segment_fixed_size 0
		.amdhsa_private_segment_fixed_size 0
		.amdhsa_kernarg_size 88
		.amdhsa_user_sgpr_count 6
		.amdhsa_user_sgpr_private_segment_buffer 1
		.amdhsa_user_sgpr_dispatch_ptr 0
		.amdhsa_user_sgpr_queue_ptr 0
		.amdhsa_user_sgpr_kernarg_segment_ptr 1
		.amdhsa_user_sgpr_dispatch_id 0
		.amdhsa_user_sgpr_flat_scratch_init 0
		.amdhsa_user_sgpr_kernarg_preload_length 0
		.amdhsa_user_sgpr_kernarg_preload_offset 0
		.amdhsa_user_sgpr_private_segment_size 0
		.amdhsa_uses_dynamic_stack 0
		.amdhsa_system_sgpr_private_segment_wavefront_offset 0
		.amdhsa_system_sgpr_workgroup_id_x 1
		.amdhsa_system_sgpr_workgroup_id_y 0
		.amdhsa_system_sgpr_workgroup_id_z 0
		.amdhsa_system_sgpr_workgroup_info 0
		.amdhsa_system_vgpr_workitem_id 0
		.amdhsa_next_free_vgpr 1
		.amdhsa_next_free_sgpr 0
		.amdhsa_accum_offset 4
		.amdhsa_reserve_vcc 0
		.amdhsa_reserve_flat_scratch 0
		.amdhsa_float_round_mode_32 0
		.amdhsa_float_round_mode_16_64 0
		.amdhsa_float_denorm_mode_32 3
		.amdhsa_float_denorm_mode_16_64 3
		.amdhsa_dx10_clamp 1
		.amdhsa_ieee_mode 1
		.amdhsa_fp16_overflow 0
		.amdhsa_tg_split 0
		.amdhsa_exception_fp_ieee_invalid_op 0
		.amdhsa_exception_fp_denorm_src 0
		.amdhsa_exception_fp_ieee_div_zero 0
		.amdhsa_exception_fp_ieee_overflow 0
		.amdhsa_exception_fp_ieee_underflow 0
		.amdhsa_exception_fp_ieee_inexact 0
		.amdhsa_exception_int_div_zero 0
	.end_amdhsa_kernel
	.section	.text._ZN7rocprim17ROCPRIM_400000_NS6detail17trampoline_kernelINS0_14default_configENS1_35radix_sort_onesweep_config_selectorIilEEZZNS1_29radix_sort_onesweep_iterationIS3_Lb0EPiS7_N6thrust23THRUST_200600_302600_NS10device_ptrIlEESB_jNS0_19identity_decomposerENS1_16block_id_wrapperIjLb1EEEEE10hipError_tT1_PNSt15iterator_traitsISG_E10value_typeET2_T3_PNSH_ISM_E10value_typeET4_T5_PSR_SS_PNS1_23onesweep_lookback_stateEbbT6_jjT7_P12ihipStream_tbENKUlT_T0_SG_SL_E_clIS7_S7_SB_PlEEDaSZ_S10_SG_SL_EUlSZ_E_NS1_11comp_targetILNS1_3genE0ELNS1_11target_archE4294967295ELNS1_3gpuE0ELNS1_3repE0EEENS1_47radix_sort_onesweep_sort_config_static_selectorELNS0_4arch9wavefront6targetE1EEEvSG_,"axG",@progbits,_ZN7rocprim17ROCPRIM_400000_NS6detail17trampoline_kernelINS0_14default_configENS1_35radix_sort_onesweep_config_selectorIilEEZZNS1_29radix_sort_onesweep_iterationIS3_Lb0EPiS7_N6thrust23THRUST_200600_302600_NS10device_ptrIlEESB_jNS0_19identity_decomposerENS1_16block_id_wrapperIjLb1EEEEE10hipError_tT1_PNSt15iterator_traitsISG_E10value_typeET2_T3_PNSH_ISM_E10value_typeET4_T5_PSR_SS_PNS1_23onesweep_lookback_stateEbbT6_jjT7_P12ihipStream_tbENKUlT_T0_SG_SL_E_clIS7_S7_SB_PlEEDaSZ_S10_SG_SL_EUlSZ_E_NS1_11comp_targetILNS1_3genE0ELNS1_11target_archE4294967295ELNS1_3gpuE0ELNS1_3repE0EEENS1_47radix_sort_onesweep_sort_config_static_selectorELNS0_4arch9wavefront6targetE1EEEvSG_,comdat
.Lfunc_end875:
	.size	_ZN7rocprim17ROCPRIM_400000_NS6detail17trampoline_kernelINS0_14default_configENS1_35radix_sort_onesweep_config_selectorIilEEZZNS1_29radix_sort_onesweep_iterationIS3_Lb0EPiS7_N6thrust23THRUST_200600_302600_NS10device_ptrIlEESB_jNS0_19identity_decomposerENS1_16block_id_wrapperIjLb1EEEEE10hipError_tT1_PNSt15iterator_traitsISG_E10value_typeET2_T3_PNSH_ISM_E10value_typeET4_T5_PSR_SS_PNS1_23onesweep_lookback_stateEbbT6_jjT7_P12ihipStream_tbENKUlT_T0_SG_SL_E_clIS7_S7_SB_PlEEDaSZ_S10_SG_SL_EUlSZ_E_NS1_11comp_targetILNS1_3genE0ELNS1_11target_archE4294967295ELNS1_3gpuE0ELNS1_3repE0EEENS1_47radix_sort_onesweep_sort_config_static_selectorELNS0_4arch9wavefront6targetE1EEEvSG_, .Lfunc_end875-_ZN7rocprim17ROCPRIM_400000_NS6detail17trampoline_kernelINS0_14default_configENS1_35radix_sort_onesweep_config_selectorIilEEZZNS1_29radix_sort_onesweep_iterationIS3_Lb0EPiS7_N6thrust23THRUST_200600_302600_NS10device_ptrIlEESB_jNS0_19identity_decomposerENS1_16block_id_wrapperIjLb1EEEEE10hipError_tT1_PNSt15iterator_traitsISG_E10value_typeET2_T3_PNSH_ISM_E10value_typeET4_T5_PSR_SS_PNS1_23onesweep_lookback_stateEbbT6_jjT7_P12ihipStream_tbENKUlT_T0_SG_SL_E_clIS7_S7_SB_PlEEDaSZ_S10_SG_SL_EUlSZ_E_NS1_11comp_targetILNS1_3genE0ELNS1_11target_archE4294967295ELNS1_3gpuE0ELNS1_3repE0EEENS1_47radix_sort_onesweep_sort_config_static_selectorELNS0_4arch9wavefront6targetE1EEEvSG_
                                        ; -- End function
	.section	.AMDGPU.csdata,"",@progbits
; Kernel info:
; codeLenInByte = 0
; NumSgprs: 4
; NumVgprs: 0
; NumAgprs: 0
; TotalNumVgprs: 0
; ScratchSize: 0
; MemoryBound: 0
; FloatMode: 240
; IeeeMode: 1
; LDSByteSize: 0 bytes/workgroup (compile time only)
; SGPRBlocks: 0
; VGPRBlocks: 0
; NumSGPRsForWavesPerEU: 4
; NumVGPRsForWavesPerEU: 1
; AccumOffset: 4
; Occupancy: 8
; WaveLimiterHint : 0
; COMPUTE_PGM_RSRC2:SCRATCH_EN: 0
; COMPUTE_PGM_RSRC2:USER_SGPR: 6
; COMPUTE_PGM_RSRC2:TRAP_HANDLER: 0
; COMPUTE_PGM_RSRC2:TGID_X_EN: 1
; COMPUTE_PGM_RSRC2:TGID_Y_EN: 0
; COMPUTE_PGM_RSRC2:TGID_Z_EN: 0
; COMPUTE_PGM_RSRC2:TIDIG_COMP_CNT: 0
; COMPUTE_PGM_RSRC3_GFX90A:ACCUM_OFFSET: 0
; COMPUTE_PGM_RSRC3_GFX90A:TG_SPLIT: 0
	.section	.text._ZN7rocprim17ROCPRIM_400000_NS6detail17trampoline_kernelINS0_14default_configENS1_35radix_sort_onesweep_config_selectorIilEEZZNS1_29radix_sort_onesweep_iterationIS3_Lb0EPiS7_N6thrust23THRUST_200600_302600_NS10device_ptrIlEESB_jNS0_19identity_decomposerENS1_16block_id_wrapperIjLb1EEEEE10hipError_tT1_PNSt15iterator_traitsISG_E10value_typeET2_T3_PNSH_ISM_E10value_typeET4_T5_PSR_SS_PNS1_23onesweep_lookback_stateEbbT6_jjT7_P12ihipStream_tbENKUlT_T0_SG_SL_E_clIS7_S7_SB_PlEEDaSZ_S10_SG_SL_EUlSZ_E_NS1_11comp_targetILNS1_3genE6ELNS1_11target_archE950ELNS1_3gpuE13ELNS1_3repE0EEENS1_47radix_sort_onesweep_sort_config_static_selectorELNS0_4arch9wavefront6targetE1EEEvSG_,"axG",@progbits,_ZN7rocprim17ROCPRIM_400000_NS6detail17trampoline_kernelINS0_14default_configENS1_35radix_sort_onesweep_config_selectorIilEEZZNS1_29radix_sort_onesweep_iterationIS3_Lb0EPiS7_N6thrust23THRUST_200600_302600_NS10device_ptrIlEESB_jNS0_19identity_decomposerENS1_16block_id_wrapperIjLb1EEEEE10hipError_tT1_PNSt15iterator_traitsISG_E10value_typeET2_T3_PNSH_ISM_E10value_typeET4_T5_PSR_SS_PNS1_23onesweep_lookback_stateEbbT6_jjT7_P12ihipStream_tbENKUlT_T0_SG_SL_E_clIS7_S7_SB_PlEEDaSZ_S10_SG_SL_EUlSZ_E_NS1_11comp_targetILNS1_3genE6ELNS1_11target_archE950ELNS1_3gpuE13ELNS1_3repE0EEENS1_47radix_sort_onesweep_sort_config_static_selectorELNS0_4arch9wavefront6targetE1EEEvSG_,comdat
	.protected	_ZN7rocprim17ROCPRIM_400000_NS6detail17trampoline_kernelINS0_14default_configENS1_35radix_sort_onesweep_config_selectorIilEEZZNS1_29radix_sort_onesweep_iterationIS3_Lb0EPiS7_N6thrust23THRUST_200600_302600_NS10device_ptrIlEESB_jNS0_19identity_decomposerENS1_16block_id_wrapperIjLb1EEEEE10hipError_tT1_PNSt15iterator_traitsISG_E10value_typeET2_T3_PNSH_ISM_E10value_typeET4_T5_PSR_SS_PNS1_23onesweep_lookback_stateEbbT6_jjT7_P12ihipStream_tbENKUlT_T0_SG_SL_E_clIS7_S7_SB_PlEEDaSZ_S10_SG_SL_EUlSZ_E_NS1_11comp_targetILNS1_3genE6ELNS1_11target_archE950ELNS1_3gpuE13ELNS1_3repE0EEENS1_47radix_sort_onesweep_sort_config_static_selectorELNS0_4arch9wavefront6targetE1EEEvSG_ ; -- Begin function _ZN7rocprim17ROCPRIM_400000_NS6detail17trampoline_kernelINS0_14default_configENS1_35radix_sort_onesweep_config_selectorIilEEZZNS1_29radix_sort_onesweep_iterationIS3_Lb0EPiS7_N6thrust23THRUST_200600_302600_NS10device_ptrIlEESB_jNS0_19identity_decomposerENS1_16block_id_wrapperIjLb1EEEEE10hipError_tT1_PNSt15iterator_traitsISG_E10value_typeET2_T3_PNSH_ISM_E10value_typeET4_T5_PSR_SS_PNS1_23onesweep_lookback_stateEbbT6_jjT7_P12ihipStream_tbENKUlT_T0_SG_SL_E_clIS7_S7_SB_PlEEDaSZ_S10_SG_SL_EUlSZ_E_NS1_11comp_targetILNS1_3genE6ELNS1_11target_archE950ELNS1_3gpuE13ELNS1_3repE0EEENS1_47radix_sort_onesweep_sort_config_static_selectorELNS0_4arch9wavefront6targetE1EEEvSG_
	.globl	_ZN7rocprim17ROCPRIM_400000_NS6detail17trampoline_kernelINS0_14default_configENS1_35radix_sort_onesweep_config_selectorIilEEZZNS1_29radix_sort_onesweep_iterationIS3_Lb0EPiS7_N6thrust23THRUST_200600_302600_NS10device_ptrIlEESB_jNS0_19identity_decomposerENS1_16block_id_wrapperIjLb1EEEEE10hipError_tT1_PNSt15iterator_traitsISG_E10value_typeET2_T3_PNSH_ISM_E10value_typeET4_T5_PSR_SS_PNS1_23onesweep_lookback_stateEbbT6_jjT7_P12ihipStream_tbENKUlT_T0_SG_SL_E_clIS7_S7_SB_PlEEDaSZ_S10_SG_SL_EUlSZ_E_NS1_11comp_targetILNS1_3genE6ELNS1_11target_archE950ELNS1_3gpuE13ELNS1_3repE0EEENS1_47radix_sort_onesweep_sort_config_static_selectorELNS0_4arch9wavefront6targetE1EEEvSG_
	.p2align	8
	.type	_ZN7rocprim17ROCPRIM_400000_NS6detail17trampoline_kernelINS0_14default_configENS1_35radix_sort_onesweep_config_selectorIilEEZZNS1_29radix_sort_onesweep_iterationIS3_Lb0EPiS7_N6thrust23THRUST_200600_302600_NS10device_ptrIlEESB_jNS0_19identity_decomposerENS1_16block_id_wrapperIjLb1EEEEE10hipError_tT1_PNSt15iterator_traitsISG_E10value_typeET2_T3_PNSH_ISM_E10value_typeET4_T5_PSR_SS_PNS1_23onesweep_lookback_stateEbbT6_jjT7_P12ihipStream_tbENKUlT_T0_SG_SL_E_clIS7_S7_SB_PlEEDaSZ_S10_SG_SL_EUlSZ_E_NS1_11comp_targetILNS1_3genE6ELNS1_11target_archE950ELNS1_3gpuE13ELNS1_3repE0EEENS1_47radix_sort_onesweep_sort_config_static_selectorELNS0_4arch9wavefront6targetE1EEEvSG_,@function
_ZN7rocprim17ROCPRIM_400000_NS6detail17trampoline_kernelINS0_14default_configENS1_35radix_sort_onesweep_config_selectorIilEEZZNS1_29radix_sort_onesweep_iterationIS3_Lb0EPiS7_N6thrust23THRUST_200600_302600_NS10device_ptrIlEESB_jNS0_19identity_decomposerENS1_16block_id_wrapperIjLb1EEEEE10hipError_tT1_PNSt15iterator_traitsISG_E10value_typeET2_T3_PNSH_ISM_E10value_typeET4_T5_PSR_SS_PNS1_23onesweep_lookback_stateEbbT6_jjT7_P12ihipStream_tbENKUlT_T0_SG_SL_E_clIS7_S7_SB_PlEEDaSZ_S10_SG_SL_EUlSZ_E_NS1_11comp_targetILNS1_3genE6ELNS1_11target_archE950ELNS1_3gpuE13ELNS1_3repE0EEENS1_47radix_sort_onesweep_sort_config_static_selectorELNS0_4arch9wavefront6targetE1EEEvSG_: ; @_ZN7rocprim17ROCPRIM_400000_NS6detail17trampoline_kernelINS0_14default_configENS1_35radix_sort_onesweep_config_selectorIilEEZZNS1_29radix_sort_onesweep_iterationIS3_Lb0EPiS7_N6thrust23THRUST_200600_302600_NS10device_ptrIlEESB_jNS0_19identity_decomposerENS1_16block_id_wrapperIjLb1EEEEE10hipError_tT1_PNSt15iterator_traitsISG_E10value_typeET2_T3_PNSH_ISM_E10value_typeET4_T5_PSR_SS_PNS1_23onesweep_lookback_stateEbbT6_jjT7_P12ihipStream_tbENKUlT_T0_SG_SL_E_clIS7_S7_SB_PlEEDaSZ_S10_SG_SL_EUlSZ_E_NS1_11comp_targetILNS1_3genE6ELNS1_11target_archE950ELNS1_3gpuE13ELNS1_3repE0EEENS1_47radix_sort_onesweep_sort_config_static_selectorELNS0_4arch9wavefront6targetE1EEEvSG_
; %bb.0:
	.section	.rodata,"a",@progbits
	.p2align	6, 0x0
	.amdhsa_kernel _ZN7rocprim17ROCPRIM_400000_NS6detail17trampoline_kernelINS0_14default_configENS1_35radix_sort_onesweep_config_selectorIilEEZZNS1_29radix_sort_onesweep_iterationIS3_Lb0EPiS7_N6thrust23THRUST_200600_302600_NS10device_ptrIlEESB_jNS0_19identity_decomposerENS1_16block_id_wrapperIjLb1EEEEE10hipError_tT1_PNSt15iterator_traitsISG_E10value_typeET2_T3_PNSH_ISM_E10value_typeET4_T5_PSR_SS_PNS1_23onesweep_lookback_stateEbbT6_jjT7_P12ihipStream_tbENKUlT_T0_SG_SL_E_clIS7_S7_SB_PlEEDaSZ_S10_SG_SL_EUlSZ_E_NS1_11comp_targetILNS1_3genE6ELNS1_11target_archE950ELNS1_3gpuE13ELNS1_3repE0EEENS1_47radix_sort_onesweep_sort_config_static_selectorELNS0_4arch9wavefront6targetE1EEEvSG_
		.amdhsa_group_segment_fixed_size 0
		.amdhsa_private_segment_fixed_size 0
		.amdhsa_kernarg_size 88
		.amdhsa_user_sgpr_count 6
		.amdhsa_user_sgpr_private_segment_buffer 1
		.amdhsa_user_sgpr_dispatch_ptr 0
		.amdhsa_user_sgpr_queue_ptr 0
		.amdhsa_user_sgpr_kernarg_segment_ptr 1
		.amdhsa_user_sgpr_dispatch_id 0
		.amdhsa_user_sgpr_flat_scratch_init 0
		.amdhsa_user_sgpr_kernarg_preload_length 0
		.amdhsa_user_sgpr_kernarg_preload_offset 0
		.amdhsa_user_sgpr_private_segment_size 0
		.amdhsa_uses_dynamic_stack 0
		.amdhsa_system_sgpr_private_segment_wavefront_offset 0
		.amdhsa_system_sgpr_workgroup_id_x 1
		.amdhsa_system_sgpr_workgroup_id_y 0
		.amdhsa_system_sgpr_workgroup_id_z 0
		.amdhsa_system_sgpr_workgroup_info 0
		.amdhsa_system_vgpr_workitem_id 0
		.amdhsa_next_free_vgpr 1
		.amdhsa_next_free_sgpr 0
		.amdhsa_accum_offset 4
		.amdhsa_reserve_vcc 0
		.amdhsa_reserve_flat_scratch 0
		.amdhsa_float_round_mode_32 0
		.amdhsa_float_round_mode_16_64 0
		.amdhsa_float_denorm_mode_32 3
		.amdhsa_float_denorm_mode_16_64 3
		.amdhsa_dx10_clamp 1
		.amdhsa_ieee_mode 1
		.amdhsa_fp16_overflow 0
		.amdhsa_tg_split 0
		.amdhsa_exception_fp_ieee_invalid_op 0
		.amdhsa_exception_fp_denorm_src 0
		.amdhsa_exception_fp_ieee_div_zero 0
		.amdhsa_exception_fp_ieee_overflow 0
		.amdhsa_exception_fp_ieee_underflow 0
		.amdhsa_exception_fp_ieee_inexact 0
		.amdhsa_exception_int_div_zero 0
	.end_amdhsa_kernel
	.section	.text._ZN7rocprim17ROCPRIM_400000_NS6detail17trampoline_kernelINS0_14default_configENS1_35radix_sort_onesweep_config_selectorIilEEZZNS1_29radix_sort_onesweep_iterationIS3_Lb0EPiS7_N6thrust23THRUST_200600_302600_NS10device_ptrIlEESB_jNS0_19identity_decomposerENS1_16block_id_wrapperIjLb1EEEEE10hipError_tT1_PNSt15iterator_traitsISG_E10value_typeET2_T3_PNSH_ISM_E10value_typeET4_T5_PSR_SS_PNS1_23onesweep_lookback_stateEbbT6_jjT7_P12ihipStream_tbENKUlT_T0_SG_SL_E_clIS7_S7_SB_PlEEDaSZ_S10_SG_SL_EUlSZ_E_NS1_11comp_targetILNS1_3genE6ELNS1_11target_archE950ELNS1_3gpuE13ELNS1_3repE0EEENS1_47radix_sort_onesweep_sort_config_static_selectorELNS0_4arch9wavefront6targetE1EEEvSG_,"axG",@progbits,_ZN7rocprim17ROCPRIM_400000_NS6detail17trampoline_kernelINS0_14default_configENS1_35radix_sort_onesweep_config_selectorIilEEZZNS1_29radix_sort_onesweep_iterationIS3_Lb0EPiS7_N6thrust23THRUST_200600_302600_NS10device_ptrIlEESB_jNS0_19identity_decomposerENS1_16block_id_wrapperIjLb1EEEEE10hipError_tT1_PNSt15iterator_traitsISG_E10value_typeET2_T3_PNSH_ISM_E10value_typeET4_T5_PSR_SS_PNS1_23onesweep_lookback_stateEbbT6_jjT7_P12ihipStream_tbENKUlT_T0_SG_SL_E_clIS7_S7_SB_PlEEDaSZ_S10_SG_SL_EUlSZ_E_NS1_11comp_targetILNS1_3genE6ELNS1_11target_archE950ELNS1_3gpuE13ELNS1_3repE0EEENS1_47radix_sort_onesweep_sort_config_static_selectorELNS0_4arch9wavefront6targetE1EEEvSG_,comdat
.Lfunc_end876:
	.size	_ZN7rocprim17ROCPRIM_400000_NS6detail17trampoline_kernelINS0_14default_configENS1_35radix_sort_onesweep_config_selectorIilEEZZNS1_29radix_sort_onesweep_iterationIS3_Lb0EPiS7_N6thrust23THRUST_200600_302600_NS10device_ptrIlEESB_jNS0_19identity_decomposerENS1_16block_id_wrapperIjLb1EEEEE10hipError_tT1_PNSt15iterator_traitsISG_E10value_typeET2_T3_PNSH_ISM_E10value_typeET4_T5_PSR_SS_PNS1_23onesweep_lookback_stateEbbT6_jjT7_P12ihipStream_tbENKUlT_T0_SG_SL_E_clIS7_S7_SB_PlEEDaSZ_S10_SG_SL_EUlSZ_E_NS1_11comp_targetILNS1_3genE6ELNS1_11target_archE950ELNS1_3gpuE13ELNS1_3repE0EEENS1_47radix_sort_onesweep_sort_config_static_selectorELNS0_4arch9wavefront6targetE1EEEvSG_, .Lfunc_end876-_ZN7rocprim17ROCPRIM_400000_NS6detail17trampoline_kernelINS0_14default_configENS1_35radix_sort_onesweep_config_selectorIilEEZZNS1_29radix_sort_onesweep_iterationIS3_Lb0EPiS7_N6thrust23THRUST_200600_302600_NS10device_ptrIlEESB_jNS0_19identity_decomposerENS1_16block_id_wrapperIjLb1EEEEE10hipError_tT1_PNSt15iterator_traitsISG_E10value_typeET2_T3_PNSH_ISM_E10value_typeET4_T5_PSR_SS_PNS1_23onesweep_lookback_stateEbbT6_jjT7_P12ihipStream_tbENKUlT_T0_SG_SL_E_clIS7_S7_SB_PlEEDaSZ_S10_SG_SL_EUlSZ_E_NS1_11comp_targetILNS1_3genE6ELNS1_11target_archE950ELNS1_3gpuE13ELNS1_3repE0EEENS1_47radix_sort_onesweep_sort_config_static_selectorELNS0_4arch9wavefront6targetE1EEEvSG_
                                        ; -- End function
	.section	.AMDGPU.csdata,"",@progbits
; Kernel info:
; codeLenInByte = 0
; NumSgprs: 4
; NumVgprs: 0
; NumAgprs: 0
; TotalNumVgprs: 0
; ScratchSize: 0
; MemoryBound: 0
; FloatMode: 240
; IeeeMode: 1
; LDSByteSize: 0 bytes/workgroup (compile time only)
; SGPRBlocks: 0
; VGPRBlocks: 0
; NumSGPRsForWavesPerEU: 4
; NumVGPRsForWavesPerEU: 1
; AccumOffset: 4
; Occupancy: 8
; WaveLimiterHint : 0
; COMPUTE_PGM_RSRC2:SCRATCH_EN: 0
; COMPUTE_PGM_RSRC2:USER_SGPR: 6
; COMPUTE_PGM_RSRC2:TRAP_HANDLER: 0
; COMPUTE_PGM_RSRC2:TGID_X_EN: 1
; COMPUTE_PGM_RSRC2:TGID_Y_EN: 0
; COMPUTE_PGM_RSRC2:TGID_Z_EN: 0
; COMPUTE_PGM_RSRC2:TIDIG_COMP_CNT: 0
; COMPUTE_PGM_RSRC3_GFX90A:ACCUM_OFFSET: 0
; COMPUTE_PGM_RSRC3_GFX90A:TG_SPLIT: 0
	.section	.text._ZN7rocprim17ROCPRIM_400000_NS6detail17trampoline_kernelINS0_14default_configENS1_35radix_sort_onesweep_config_selectorIilEEZZNS1_29radix_sort_onesweep_iterationIS3_Lb0EPiS7_N6thrust23THRUST_200600_302600_NS10device_ptrIlEESB_jNS0_19identity_decomposerENS1_16block_id_wrapperIjLb1EEEEE10hipError_tT1_PNSt15iterator_traitsISG_E10value_typeET2_T3_PNSH_ISM_E10value_typeET4_T5_PSR_SS_PNS1_23onesweep_lookback_stateEbbT6_jjT7_P12ihipStream_tbENKUlT_T0_SG_SL_E_clIS7_S7_SB_PlEEDaSZ_S10_SG_SL_EUlSZ_E_NS1_11comp_targetILNS1_3genE5ELNS1_11target_archE942ELNS1_3gpuE9ELNS1_3repE0EEENS1_47radix_sort_onesweep_sort_config_static_selectorELNS0_4arch9wavefront6targetE1EEEvSG_,"axG",@progbits,_ZN7rocprim17ROCPRIM_400000_NS6detail17trampoline_kernelINS0_14default_configENS1_35radix_sort_onesweep_config_selectorIilEEZZNS1_29radix_sort_onesweep_iterationIS3_Lb0EPiS7_N6thrust23THRUST_200600_302600_NS10device_ptrIlEESB_jNS0_19identity_decomposerENS1_16block_id_wrapperIjLb1EEEEE10hipError_tT1_PNSt15iterator_traitsISG_E10value_typeET2_T3_PNSH_ISM_E10value_typeET4_T5_PSR_SS_PNS1_23onesweep_lookback_stateEbbT6_jjT7_P12ihipStream_tbENKUlT_T0_SG_SL_E_clIS7_S7_SB_PlEEDaSZ_S10_SG_SL_EUlSZ_E_NS1_11comp_targetILNS1_3genE5ELNS1_11target_archE942ELNS1_3gpuE9ELNS1_3repE0EEENS1_47radix_sort_onesweep_sort_config_static_selectorELNS0_4arch9wavefront6targetE1EEEvSG_,comdat
	.protected	_ZN7rocprim17ROCPRIM_400000_NS6detail17trampoline_kernelINS0_14default_configENS1_35radix_sort_onesweep_config_selectorIilEEZZNS1_29radix_sort_onesweep_iterationIS3_Lb0EPiS7_N6thrust23THRUST_200600_302600_NS10device_ptrIlEESB_jNS0_19identity_decomposerENS1_16block_id_wrapperIjLb1EEEEE10hipError_tT1_PNSt15iterator_traitsISG_E10value_typeET2_T3_PNSH_ISM_E10value_typeET4_T5_PSR_SS_PNS1_23onesweep_lookback_stateEbbT6_jjT7_P12ihipStream_tbENKUlT_T0_SG_SL_E_clIS7_S7_SB_PlEEDaSZ_S10_SG_SL_EUlSZ_E_NS1_11comp_targetILNS1_3genE5ELNS1_11target_archE942ELNS1_3gpuE9ELNS1_3repE0EEENS1_47radix_sort_onesweep_sort_config_static_selectorELNS0_4arch9wavefront6targetE1EEEvSG_ ; -- Begin function _ZN7rocprim17ROCPRIM_400000_NS6detail17trampoline_kernelINS0_14default_configENS1_35radix_sort_onesweep_config_selectorIilEEZZNS1_29radix_sort_onesweep_iterationIS3_Lb0EPiS7_N6thrust23THRUST_200600_302600_NS10device_ptrIlEESB_jNS0_19identity_decomposerENS1_16block_id_wrapperIjLb1EEEEE10hipError_tT1_PNSt15iterator_traitsISG_E10value_typeET2_T3_PNSH_ISM_E10value_typeET4_T5_PSR_SS_PNS1_23onesweep_lookback_stateEbbT6_jjT7_P12ihipStream_tbENKUlT_T0_SG_SL_E_clIS7_S7_SB_PlEEDaSZ_S10_SG_SL_EUlSZ_E_NS1_11comp_targetILNS1_3genE5ELNS1_11target_archE942ELNS1_3gpuE9ELNS1_3repE0EEENS1_47radix_sort_onesweep_sort_config_static_selectorELNS0_4arch9wavefront6targetE1EEEvSG_
	.globl	_ZN7rocprim17ROCPRIM_400000_NS6detail17trampoline_kernelINS0_14default_configENS1_35radix_sort_onesweep_config_selectorIilEEZZNS1_29radix_sort_onesweep_iterationIS3_Lb0EPiS7_N6thrust23THRUST_200600_302600_NS10device_ptrIlEESB_jNS0_19identity_decomposerENS1_16block_id_wrapperIjLb1EEEEE10hipError_tT1_PNSt15iterator_traitsISG_E10value_typeET2_T3_PNSH_ISM_E10value_typeET4_T5_PSR_SS_PNS1_23onesweep_lookback_stateEbbT6_jjT7_P12ihipStream_tbENKUlT_T0_SG_SL_E_clIS7_S7_SB_PlEEDaSZ_S10_SG_SL_EUlSZ_E_NS1_11comp_targetILNS1_3genE5ELNS1_11target_archE942ELNS1_3gpuE9ELNS1_3repE0EEENS1_47radix_sort_onesweep_sort_config_static_selectorELNS0_4arch9wavefront6targetE1EEEvSG_
	.p2align	8
	.type	_ZN7rocprim17ROCPRIM_400000_NS6detail17trampoline_kernelINS0_14default_configENS1_35radix_sort_onesweep_config_selectorIilEEZZNS1_29radix_sort_onesweep_iterationIS3_Lb0EPiS7_N6thrust23THRUST_200600_302600_NS10device_ptrIlEESB_jNS0_19identity_decomposerENS1_16block_id_wrapperIjLb1EEEEE10hipError_tT1_PNSt15iterator_traitsISG_E10value_typeET2_T3_PNSH_ISM_E10value_typeET4_T5_PSR_SS_PNS1_23onesweep_lookback_stateEbbT6_jjT7_P12ihipStream_tbENKUlT_T0_SG_SL_E_clIS7_S7_SB_PlEEDaSZ_S10_SG_SL_EUlSZ_E_NS1_11comp_targetILNS1_3genE5ELNS1_11target_archE942ELNS1_3gpuE9ELNS1_3repE0EEENS1_47radix_sort_onesweep_sort_config_static_selectorELNS0_4arch9wavefront6targetE1EEEvSG_,@function
_ZN7rocprim17ROCPRIM_400000_NS6detail17trampoline_kernelINS0_14default_configENS1_35radix_sort_onesweep_config_selectorIilEEZZNS1_29radix_sort_onesweep_iterationIS3_Lb0EPiS7_N6thrust23THRUST_200600_302600_NS10device_ptrIlEESB_jNS0_19identity_decomposerENS1_16block_id_wrapperIjLb1EEEEE10hipError_tT1_PNSt15iterator_traitsISG_E10value_typeET2_T3_PNSH_ISM_E10value_typeET4_T5_PSR_SS_PNS1_23onesweep_lookback_stateEbbT6_jjT7_P12ihipStream_tbENKUlT_T0_SG_SL_E_clIS7_S7_SB_PlEEDaSZ_S10_SG_SL_EUlSZ_E_NS1_11comp_targetILNS1_3genE5ELNS1_11target_archE942ELNS1_3gpuE9ELNS1_3repE0EEENS1_47radix_sort_onesweep_sort_config_static_selectorELNS0_4arch9wavefront6targetE1EEEvSG_: ; @_ZN7rocprim17ROCPRIM_400000_NS6detail17trampoline_kernelINS0_14default_configENS1_35radix_sort_onesweep_config_selectorIilEEZZNS1_29radix_sort_onesweep_iterationIS3_Lb0EPiS7_N6thrust23THRUST_200600_302600_NS10device_ptrIlEESB_jNS0_19identity_decomposerENS1_16block_id_wrapperIjLb1EEEEE10hipError_tT1_PNSt15iterator_traitsISG_E10value_typeET2_T3_PNSH_ISM_E10value_typeET4_T5_PSR_SS_PNS1_23onesweep_lookback_stateEbbT6_jjT7_P12ihipStream_tbENKUlT_T0_SG_SL_E_clIS7_S7_SB_PlEEDaSZ_S10_SG_SL_EUlSZ_E_NS1_11comp_targetILNS1_3genE5ELNS1_11target_archE942ELNS1_3gpuE9ELNS1_3repE0EEENS1_47radix_sort_onesweep_sort_config_static_selectorELNS0_4arch9wavefront6targetE1EEEvSG_
; %bb.0:
	.section	.rodata,"a",@progbits
	.p2align	6, 0x0
	.amdhsa_kernel _ZN7rocprim17ROCPRIM_400000_NS6detail17trampoline_kernelINS0_14default_configENS1_35radix_sort_onesweep_config_selectorIilEEZZNS1_29radix_sort_onesweep_iterationIS3_Lb0EPiS7_N6thrust23THRUST_200600_302600_NS10device_ptrIlEESB_jNS0_19identity_decomposerENS1_16block_id_wrapperIjLb1EEEEE10hipError_tT1_PNSt15iterator_traitsISG_E10value_typeET2_T3_PNSH_ISM_E10value_typeET4_T5_PSR_SS_PNS1_23onesweep_lookback_stateEbbT6_jjT7_P12ihipStream_tbENKUlT_T0_SG_SL_E_clIS7_S7_SB_PlEEDaSZ_S10_SG_SL_EUlSZ_E_NS1_11comp_targetILNS1_3genE5ELNS1_11target_archE942ELNS1_3gpuE9ELNS1_3repE0EEENS1_47radix_sort_onesweep_sort_config_static_selectorELNS0_4arch9wavefront6targetE1EEEvSG_
		.amdhsa_group_segment_fixed_size 0
		.amdhsa_private_segment_fixed_size 0
		.amdhsa_kernarg_size 88
		.amdhsa_user_sgpr_count 6
		.amdhsa_user_sgpr_private_segment_buffer 1
		.amdhsa_user_sgpr_dispatch_ptr 0
		.amdhsa_user_sgpr_queue_ptr 0
		.amdhsa_user_sgpr_kernarg_segment_ptr 1
		.amdhsa_user_sgpr_dispatch_id 0
		.amdhsa_user_sgpr_flat_scratch_init 0
		.amdhsa_user_sgpr_kernarg_preload_length 0
		.amdhsa_user_sgpr_kernarg_preload_offset 0
		.amdhsa_user_sgpr_private_segment_size 0
		.amdhsa_uses_dynamic_stack 0
		.amdhsa_system_sgpr_private_segment_wavefront_offset 0
		.amdhsa_system_sgpr_workgroup_id_x 1
		.amdhsa_system_sgpr_workgroup_id_y 0
		.amdhsa_system_sgpr_workgroup_id_z 0
		.amdhsa_system_sgpr_workgroup_info 0
		.amdhsa_system_vgpr_workitem_id 0
		.amdhsa_next_free_vgpr 1
		.amdhsa_next_free_sgpr 0
		.amdhsa_accum_offset 4
		.amdhsa_reserve_vcc 0
		.amdhsa_reserve_flat_scratch 0
		.amdhsa_float_round_mode_32 0
		.amdhsa_float_round_mode_16_64 0
		.amdhsa_float_denorm_mode_32 3
		.amdhsa_float_denorm_mode_16_64 3
		.amdhsa_dx10_clamp 1
		.amdhsa_ieee_mode 1
		.amdhsa_fp16_overflow 0
		.amdhsa_tg_split 0
		.amdhsa_exception_fp_ieee_invalid_op 0
		.amdhsa_exception_fp_denorm_src 0
		.amdhsa_exception_fp_ieee_div_zero 0
		.amdhsa_exception_fp_ieee_overflow 0
		.amdhsa_exception_fp_ieee_underflow 0
		.amdhsa_exception_fp_ieee_inexact 0
		.amdhsa_exception_int_div_zero 0
	.end_amdhsa_kernel
	.section	.text._ZN7rocprim17ROCPRIM_400000_NS6detail17trampoline_kernelINS0_14default_configENS1_35radix_sort_onesweep_config_selectorIilEEZZNS1_29radix_sort_onesweep_iterationIS3_Lb0EPiS7_N6thrust23THRUST_200600_302600_NS10device_ptrIlEESB_jNS0_19identity_decomposerENS1_16block_id_wrapperIjLb1EEEEE10hipError_tT1_PNSt15iterator_traitsISG_E10value_typeET2_T3_PNSH_ISM_E10value_typeET4_T5_PSR_SS_PNS1_23onesweep_lookback_stateEbbT6_jjT7_P12ihipStream_tbENKUlT_T0_SG_SL_E_clIS7_S7_SB_PlEEDaSZ_S10_SG_SL_EUlSZ_E_NS1_11comp_targetILNS1_3genE5ELNS1_11target_archE942ELNS1_3gpuE9ELNS1_3repE0EEENS1_47radix_sort_onesweep_sort_config_static_selectorELNS0_4arch9wavefront6targetE1EEEvSG_,"axG",@progbits,_ZN7rocprim17ROCPRIM_400000_NS6detail17trampoline_kernelINS0_14default_configENS1_35radix_sort_onesweep_config_selectorIilEEZZNS1_29radix_sort_onesweep_iterationIS3_Lb0EPiS7_N6thrust23THRUST_200600_302600_NS10device_ptrIlEESB_jNS0_19identity_decomposerENS1_16block_id_wrapperIjLb1EEEEE10hipError_tT1_PNSt15iterator_traitsISG_E10value_typeET2_T3_PNSH_ISM_E10value_typeET4_T5_PSR_SS_PNS1_23onesweep_lookback_stateEbbT6_jjT7_P12ihipStream_tbENKUlT_T0_SG_SL_E_clIS7_S7_SB_PlEEDaSZ_S10_SG_SL_EUlSZ_E_NS1_11comp_targetILNS1_3genE5ELNS1_11target_archE942ELNS1_3gpuE9ELNS1_3repE0EEENS1_47radix_sort_onesweep_sort_config_static_selectorELNS0_4arch9wavefront6targetE1EEEvSG_,comdat
.Lfunc_end877:
	.size	_ZN7rocprim17ROCPRIM_400000_NS6detail17trampoline_kernelINS0_14default_configENS1_35radix_sort_onesweep_config_selectorIilEEZZNS1_29radix_sort_onesweep_iterationIS3_Lb0EPiS7_N6thrust23THRUST_200600_302600_NS10device_ptrIlEESB_jNS0_19identity_decomposerENS1_16block_id_wrapperIjLb1EEEEE10hipError_tT1_PNSt15iterator_traitsISG_E10value_typeET2_T3_PNSH_ISM_E10value_typeET4_T5_PSR_SS_PNS1_23onesweep_lookback_stateEbbT6_jjT7_P12ihipStream_tbENKUlT_T0_SG_SL_E_clIS7_S7_SB_PlEEDaSZ_S10_SG_SL_EUlSZ_E_NS1_11comp_targetILNS1_3genE5ELNS1_11target_archE942ELNS1_3gpuE9ELNS1_3repE0EEENS1_47radix_sort_onesweep_sort_config_static_selectorELNS0_4arch9wavefront6targetE1EEEvSG_, .Lfunc_end877-_ZN7rocprim17ROCPRIM_400000_NS6detail17trampoline_kernelINS0_14default_configENS1_35radix_sort_onesweep_config_selectorIilEEZZNS1_29radix_sort_onesweep_iterationIS3_Lb0EPiS7_N6thrust23THRUST_200600_302600_NS10device_ptrIlEESB_jNS0_19identity_decomposerENS1_16block_id_wrapperIjLb1EEEEE10hipError_tT1_PNSt15iterator_traitsISG_E10value_typeET2_T3_PNSH_ISM_E10value_typeET4_T5_PSR_SS_PNS1_23onesweep_lookback_stateEbbT6_jjT7_P12ihipStream_tbENKUlT_T0_SG_SL_E_clIS7_S7_SB_PlEEDaSZ_S10_SG_SL_EUlSZ_E_NS1_11comp_targetILNS1_3genE5ELNS1_11target_archE942ELNS1_3gpuE9ELNS1_3repE0EEENS1_47radix_sort_onesweep_sort_config_static_selectorELNS0_4arch9wavefront6targetE1EEEvSG_
                                        ; -- End function
	.section	.AMDGPU.csdata,"",@progbits
; Kernel info:
; codeLenInByte = 0
; NumSgprs: 4
; NumVgprs: 0
; NumAgprs: 0
; TotalNumVgprs: 0
; ScratchSize: 0
; MemoryBound: 0
; FloatMode: 240
; IeeeMode: 1
; LDSByteSize: 0 bytes/workgroup (compile time only)
; SGPRBlocks: 0
; VGPRBlocks: 0
; NumSGPRsForWavesPerEU: 4
; NumVGPRsForWavesPerEU: 1
; AccumOffset: 4
; Occupancy: 8
; WaveLimiterHint : 0
; COMPUTE_PGM_RSRC2:SCRATCH_EN: 0
; COMPUTE_PGM_RSRC2:USER_SGPR: 6
; COMPUTE_PGM_RSRC2:TRAP_HANDLER: 0
; COMPUTE_PGM_RSRC2:TGID_X_EN: 1
; COMPUTE_PGM_RSRC2:TGID_Y_EN: 0
; COMPUTE_PGM_RSRC2:TGID_Z_EN: 0
; COMPUTE_PGM_RSRC2:TIDIG_COMP_CNT: 0
; COMPUTE_PGM_RSRC3_GFX90A:ACCUM_OFFSET: 0
; COMPUTE_PGM_RSRC3_GFX90A:TG_SPLIT: 0
	.section	.text._ZN7rocprim17ROCPRIM_400000_NS6detail17trampoline_kernelINS0_14default_configENS1_35radix_sort_onesweep_config_selectorIilEEZZNS1_29radix_sort_onesweep_iterationIS3_Lb0EPiS7_N6thrust23THRUST_200600_302600_NS10device_ptrIlEESB_jNS0_19identity_decomposerENS1_16block_id_wrapperIjLb1EEEEE10hipError_tT1_PNSt15iterator_traitsISG_E10value_typeET2_T3_PNSH_ISM_E10value_typeET4_T5_PSR_SS_PNS1_23onesweep_lookback_stateEbbT6_jjT7_P12ihipStream_tbENKUlT_T0_SG_SL_E_clIS7_S7_SB_PlEEDaSZ_S10_SG_SL_EUlSZ_E_NS1_11comp_targetILNS1_3genE2ELNS1_11target_archE906ELNS1_3gpuE6ELNS1_3repE0EEENS1_47radix_sort_onesweep_sort_config_static_selectorELNS0_4arch9wavefront6targetE1EEEvSG_,"axG",@progbits,_ZN7rocprim17ROCPRIM_400000_NS6detail17trampoline_kernelINS0_14default_configENS1_35radix_sort_onesweep_config_selectorIilEEZZNS1_29radix_sort_onesweep_iterationIS3_Lb0EPiS7_N6thrust23THRUST_200600_302600_NS10device_ptrIlEESB_jNS0_19identity_decomposerENS1_16block_id_wrapperIjLb1EEEEE10hipError_tT1_PNSt15iterator_traitsISG_E10value_typeET2_T3_PNSH_ISM_E10value_typeET4_T5_PSR_SS_PNS1_23onesweep_lookback_stateEbbT6_jjT7_P12ihipStream_tbENKUlT_T0_SG_SL_E_clIS7_S7_SB_PlEEDaSZ_S10_SG_SL_EUlSZ_E_NS1_11comp_targetILNS1_3genE2ELNS1_11target_archE906ELNS1_3gpuE6ELNS1_3repE0EEENS1_47radix_sort_onesweep_sort_config_static_selectorELNS0_4arch9wavefront6targetE1EEEvSG_,comdat
	.protected	_ZN7rocprim17ROCPRIM_400000_NS6detail17trampoline_kernelINS0_14default_configENS1_35radix_sort_onesweep_config_selectorIilEEZZNS1_29radix_sort_onesweep_iterationIS3_Lb0EPiS7_N6thrust23THRUST_200600_302600_NS10device_ptrIlEESB_jNS0_19identity_decomposerENS1_16block_id_wrapperIjLb1EEEEE10hipError_tT1_PNSt15iterator_traitsISG_E10value_typeET2_T3_PNSH_ISM_E10value_typeET4_T5_PSR_SS_PNS1_23onesweep_lookback_stateEbbT6_jjT7_P12ihipStream_tbENKUlT_T0_SG_SL_E_clIS7_S7_SB_PlEEDaSZ_S10_SG_SL_EUlSZ_E_NS1_11comp_targetILNS1_3genE2ELNS1_11target_archE906ELNS1_3gpuE6ELNS1_3repE0EEENS1_47radix_sort_onesweep_sort_config_static_selectorELNS0_4arch9wavefront6targetE1EEEvSG_ ; -- Begin function _ZN7rocprim17ROCPRIM_400000_NS6detail17trampoline_kernelINS0_14default_configENS1_35radix_sort_onesweep_config_selectorIilEEZZNS1_29radix_sort_onesweep_iterationIS3_Lb0EPiS7_N6thrust23THRUST_200600_302600_NS10device_ptrIlEESB_jNS0_19identity_decomposerENS1_16block_id_wrapperIjLb1EEEEE10hipError_tT1_PNSt15iterator_traitsISG_E10value_typeET2_T3_PNSH_ISM_E10value_typeET4_T5_PSR_SS_PNS1_23onesweep_lookback_stateEbbT6_jjT7_P12ihipStream_tbENKUlT_T0_SG_SL_E_clIS7_S7_SB_PlEEDaSZ_S10_SG_SL_EUlSZ_E_NS1_11comp_targetILNS1_3genE2ELNS1_11target_archE906ELNS1_3gpuE6ELNS1_3repE0EEENS1_47radix_sort_onesweep_sort_config_static_selectorELNS0_4arch9wavefront6targetE1EEEvSG_
	.globl	_ZN7rocprim17ROCPRIM_400000_NS6detail17trampoline_kernelINS0_14default_configENS1_35radix_sort_onesweep_config_selectorIilEEZZNS1_29radix_sort_onesweep_iterationIS3_Lb0EPiS7_N6thrust23THRUST_200600_302600_NS10device_ptrIlEESB_jNS0_19identity_decomposerENS1_16block_id_wrapperIjLb1EEEEE10hipError_tT1_PNSt15iterator_traitsISG_E10value_typeET2_T3_PNSH_ISM_E10value_typeET4_T5_PSR_SS_PNS1_23onesweep_lookback_stateEbbT6_jjT7_P12ihipStream_tbENKUlT_T0_SG_SL_E_clIS7_S7_SB_PlEEDaSZ_S10_SG_SL_EUlSZ_E_NS1_11comp_targetILNS1_3genE2ELNS1_11target_archE906ELNS1_3gpuE6ELNS1_3repE0EEENS1_47radix_sort_onesweep_sort_config_static_selectorELNS0_4arch9wavefront6targetE1EEEvSG_
	.p2align	8
	.type	_ZN7rocprim17ROCPRIM_400000_NS6detail17trampoline_kernelINS0_14default_configENS1_35radix_sort_onesweep_config_selectorIilEEZZNS1_29radix_sort_onesweep_iterationIS3_Lb0EPiS7_N6thrust23THRUST_200600_302600_NS10device_ptrIlEESB_jNS0_19identity_decomposerENS1_16block_id_wrapperIjLb1EEEEE10hipError_tT1_PNSt15iterator_traitsISG_E10value_typeET2_T3_PNSH_ISM_E10value_typeET4_T5_PSR_SS_PNS1_23onesweep_lookback_stateEbbT6_jjT7_P12ihipStream_tbENKUlT_T0_SG_SL_E_clIS7_S7_SB_PlEEDaSZ_S10_SG_SL_EUlSZ_E_NS1_11comp_targetILNS1_3genE2ELNS1_11target_archE906ELNS1_3gpuE6ELNS1_3repE0EEENS1_47radix_sort_onesweep_sort_config_static_selectorELNS0_4arch9wavefront6targetE1EEEvSG_,@function
_ZN7rocprim17ROCPRIM_400000_NS6detail17trampoline_kernelINS0_14default_configENS1_35radix_sort_onesweep_config_selectorIilEEZZNS1_29radix_sort_onesweep_iterationIS3_Lb0EPiS7_N6thrust23THRUST_200600_302600_NS10device_ptrIlEESB_jNS0_19identity_decomposerENS1_16block_id_wrapperIjLb1EEEEE10hipError_tT1_PNSt15iterator_traitsISG_E10value_typeET2_T3_PNSH_ISM_E10value_typeET4_T5_PSR_SS_PNS1_23onesweep_lookback_stateEbbT6_jjT7_P12ihipStream_tbENKUlT_T0_SG_SL_E_clIS7_S7_SB_PlEEDaSZ_S10_SG_SL_EUlSZ_E_NS1_11comp_targetILNS1_3genE2ELNS1_11target_archE906ELNS1_3gpuE6ELNS1_3repE0EEENS1_47radix_sort_onesweep_sort_config_static_selectorELNS0_4arch9wavefront6targetE1EEEvSG_: ; @_ZN7rocprim17ROCPRIM_400000_NS6detail17trampoline_kernelINS0_14default_configENS1_35radix_sort_onesweep_config_selectorIilEEZZNS1_29radix_sort_onesweep_iterationIS3_Lb0EPiS7_N6thrust23THRUST_200600_302600_NS10device_ptrIlEESB_jNS0_19identity_decomposerENS1_16block_id_wrapperIjLb1EEEEE10hipError_tT1_PNSt15iterator_traitsISG_E10value_typeET2_T3_PNSH_ISM_E10value_typeET4_T5_PSR_SS_PNS1_23onesweep_lookback_stateEbbT6_jjT7_P12ihipStream_tbENKUlT_T0_SG_SL_E_clIS7_S7_SB_PlEEDaSZ_S10_SG_SL_EUlSZ_E_NS1_11comp_targetILNS1_3genE2ELNS1_11target_archE906ELNS1_3gpuE6ELNS1_3repE0EEENS1_47radix_sort_onesweep_sort_config_static_selectorELNS0_4arch9wavefront6targetE1EEEvSG_
; %bb.0:
	.section	.rodata,"a",@progbits
	.p2align	6, 0x0
	.amdhsa_kernel _ZN7rocprim17ROCPRIM_400000_NS6detail17trampoline_kernelINS0_14default_configENS1_35radix_sort_onesweep_config_selectorIilEEZZNS1_29radix_sort_onesweep_iterationIS3_Lb0EPiS7_N6thrust23THRUST_200600_302600_NS10device_ptrIlEESB_jNS0_19identity_decomposerENS1_16block_id_wrapperIjLb1EEEEE10hipError_tT1_PNSt15iterator_traitsISG_E10value_typeET2_T3_PNSH_ISM_E10value_typeET4_T5_PSR_SS_PNS1_23onesweep_lookback_stateEbbT6_jjT7_P12ihipStream_tbENKUlT_T0_SG_SL_E_clIS7_S7_SB_PlEEDaSZ_S10_SG_SL_EUlSZ_E_NS1_11comp_targetILNS1_3genE2ELNS1_11target_archE906ELNS1_3gpuE6ELNS1_3repE0EEENS1_47radix_sort_onesweep_sort_config_static_selectorELNS0_4arch9wavefront6targetE1EEEvSG_
		.amdhsa_group_segment_fixed_size 0
		.amdhsa_private_segment_fixed_size 0
		.amdhsa_kernarg_size 88
		.amdhsa_user_sgpr_count 6
		.amdhsa_user_sgpr_private_segment_buffer 1
		.amdhsa_user_sgpr_dispatch_ptr 0
		.amdhsa_user_sgpr_queue_ptr 0
		.amdhsa_user_sgpr_kernarg_segment_ptr 1
		.amdhsa_user_sgpr_dispatch_id 0
		.amdhsa_user_sgpr_flat_scratch_init 0
		.amdhsa_user_sgpr_kernarg_preload_length 0
		.amdhsa_user_sgpr_kernarg_preload_offset 0
		.amdhsa_user_sgpr_private_segment_size 0
		.amdhsa_uses_dynamic_stack 0
		.amdhsa_system_sgpr_private_segment_wavefront_offset 0
		.amdhsa_system_sgpr_workgroup_id_x 1
		.amdhsa_system_sgpr_workgroup_id_y 0
		.amdhsa_system_sgpr_workgroup_id_z 0
		.amdhsa_system_sgpr_workgroup_info 0
		.amdhsa_system_vgpr_workitem_id 0
		.amdhsa_next_free_vgpr 1
		.amdhsa_next_free_sgpr 0
		.amdhsa_accum_offset 4
		.amdhsa_reserve_vcc 0
		.amdhsa_reserve_flat_scratch 0
		.amdhsa_float_round_mode_32 0
		.amdhsa_float_round_mode_16_64 0
		.amdhsa_float_denorm_mode_32 3
		.amdhsa_float_denorm_mode_16_64 3
		.amdhsa_dx10_clamp 1
		.amdhsa_ieee_mode 1
		.amdhsa_fp16_overflow 0
		.amdhsa_tg_split 0
		.amdhsa_exception_fp_ieee_invalid_op 0
		.amdhsa_exception_fp_denorm_src 0
		.amdhsa_exception_fp_ieee_div_zero 0
		.amdhsa_exception_fp_ieee_overflow 0
		.amdhsa_exception_fp_ieee_underflow 0
		.amdhsa_exception_fp_ieee_inexact 0
		.amdhsa_exception_int_div_zero 0
	.end_amdhsa_kernel
	.section	.text._ZN7rocprim17ROCPRIM_400000_NS6detail17trampoline_kernelINS0_14default_configENS1_35radix_sort_onesweep_config_selectorIilEEZZNS1_29radix_sort_onesweep_iterationIS3_Lb0EPiS7_N6thrust23THRUST_200600_302600_NS10device_ptrIlEESB_jNS0_19identity_decomposerENS1_16block_id_wrapperIjLb1EEEEE10hipError_tT1_PNSt15iterator_traitsISG_E10value_typeET2_T3_PNSH_ISM_E10value_typeET4_T5_PSR_SS_PNS1_23onesweep_lookback_stateEbbT6_jjT7_P12ihipStream_tbENKUlT_T0_SG_SL_E_clIS7_S7_SB_PlEEDaSZ_S10_SG_SL_EUlSZ_E_NS1_11comp_targetILNS1_3genE2ELNS1_11target_archE906ELNS1_3gpuE6ELNS1_3repE0EEENS1_47radix_sort_onesweep_sort_config_static_selectorELNS0_4arch9wavefront6targetE1EEEvSG_,"axG",@progbits,_ZN7rocprim17ROCPRIM_400000_NS6detail17trampoline_kernelINS0_14default_configENS1_35radix_sort_onesweep_config_selectorIilEEZZNS1_29radix_sort_onesweep_iterationIS3_Lb0EPiS7_N6thrust23THRUST_200600_302600_NS10device_ptrIlEESB_jNS0_19identity_decomposerENS1_16block_id_wrapperIjLb1EEEEE10hipError_tT1_PNSt15iterator_traitsISG_E10value_typeET2_T3_PNSH_ISM_E10value_typeET4_T5_PSR_SS_PNS1_23onesweep_lookback_stateEbbT6_jjT7_P12ihipStream_tbENKUlT_T0_SG_SL_E_clIS7_S7_SB_PlEEDaSZ_S10_SG_SL_EUlSZ_E_NS1_11comp_targetILNS1_3genE2ELNS1_11target_archE906ELNS1_3gpuE6ELNS1_3repE0EEENS1_47radix_sort_onesweep_sort_config_static_selectorELNS0_4arch9wavefront6targetE1EEEvSG_,comdat
.Lfunc_end878:
	.size	_ZN7rocprim17ROCPRIM_400000_NS6detail17trampoline_kernelINS0_14default_configENS1_35radix_sort_onesweep_config_selectorIilEEZZNS1_29radix_sort_onesweep_iterationIS3_Lb0EPiS7_N6thrust23THRUST_200600_302600_NS10device_ptrIlEESB_jNS0_19identity_decomposerENS1_16block_id_wrapperIjLb1EEEEE10hipError_tT1_PNSt15iterator_traitsISG_E10value_typeET2_T3_PNSH_ISM_E10value_typeET4_T5_PSR_SS_PNS1_23onesweep_lookback_stateEbbT6_jjT7_P12ihipStream_tbENKUlT_T0_SG_SL_E_clIS7_S7_SB_PlEEDaSZ_S10_SG_SL_EUlSZ_E_NS1_11comp_targetILNS1_3genE2ELNS1_11target_archE906ELNS1_3gpuE6ELNS1_3repE0EEENS1_47radix_sort_onesweep_sort_config_static_selectorELNS0_4arch9wavefront6targetE1EEEvSG_, .Lfunc_end878-_ZN7rocprim17ROCPRIM_400000_NS6detail17trampoline_kernelINS0_14default_configENS1_35radix_sort_onesweep_config_selectorIilEEZZNS1_29radix_sort_onesweep_iterationIS3_Lb0EPiS7_N6thrust23THRUST_200600_302600_NS10device_ptrIlEESB_jNS0_19identity_decomposerENS1_16block_id_wrapperIjLb1EEEEE10hipError_tT1_PNSt15iterator_traitsISG_E10value_typeET2_T3_PNSH_ISM_E10value_typeET4_T5_PSR_SS_PNS1_23onesweep_lookback_stateEbbT6_jjT7_P12ihipStream_tbENKUlT_T0_SG_SL_E_clIS7_S7_SB_PlEEDaSZ_S10_SG_SL_EUlSZ_E_NS1_11comp_targetILNS1_3genE2ELNS1_11target_archE906ELNS1_3gpuE6ELNS1_3repE0EEENS1_47radix_sort_onesweep_sort_config_static_selectorELNS0_4arch9wavefront6targetE1EEEvSG_
                                        ; -- End function
	.section	.AMDGPU.csdata,"",@progbits
; Kernel info:
; codeLenInByte = 0
; NumSgprs: 4
; NumVgprs: 0
; NumAgprs: 0
; TotalNumVgprs: 0
; ScratchSize: 0
; MemoryBound: 0
; FloatMode: 240
; IeeeMode: 1
; LDSByteSize: 0 bytes/workgroup (compile time only)
; SGPRBlocks: 0
; VGPRBlocks: 0
; NumSGPRsForWavesPerEU: 4
; NumVGPRsForWavesPerEU: 1
; AccumOffset: 4
; Occupancy: 8
; WaveLimiterHint : 0
; COMPUTE_PGM_RSRC2:SCRATCH_EN: 0
; COMPUTE_PGM_RSRC2:USER_SGPR: 6
; COMPUTE_PGM_RSRC2:TRAP_HANDLER: 0
; COMPUTE_PGM_RSRC2:TGID_X_EN: 1
; COMPUTE_PGM_RSRC2:TGID_Y_EN: 0
; COMPUTE_PGM_RSRC2:TGID_Z_EN: 0
; COMPUTE_PGM_RSRC2:TIDIG_COMP_CNT: 0
; COMPUTE_PGM_RSRC3_GFX90A:ACCUM_OFFSET: 0
; COMPUTE_PGM_RSRC3_GFX90A:TG_SPLIT: 0
	.section	.text._ZN7rocprim17ROCPRIM_400000_NS6detail17trampoline_kernelINS0_14default_configENS1_35radix_sort_onesweep_config_selectorIilEEZZNS1_29radix_sort_onesweep_iterationIS3_Lb0EPiS7_N6thrust23THRUST_200600_302600_NS10device_ptrIlEESB_jNS0_19identity_decomposerENS1_16block_id_wrapperIjLb1EEEEE10hipError_tT1_PNSt15iterator_traitsISG_E10value_typeET2_T3_PNSH_ISM_E10value_typeET4_T5_PSR_SS_PNS1_23onesweep_lookback_stateEbbT6_jjT7_P12ihipStream_tbENKUlT_T0_SG_SL_E_clIS7_S7_SB_PlEEDaSZ_S10_SG_SL_EUlSZ_E_NS1_11comp_targetILNS1_3genE4ELNS1_11target_archE910ELNS1_3gpuE8ELNS1_3repE0EEENS1_47radix_sort_onesweep_sort_config_static_selectorELNS0_4arch9wavefront6targetE1EEEvSG_,"axG",@progbits,_ZN7rocprim17ROCPRIM_400000_NS6detail17trampoline_kernelINS0_14default_configENS1_35radix_sort_onesweep_config_selectorIilEEZZNS1_29radix_sort_onesweep_iterationIS3_Lb0EPiS7_N6thrust23THRUST_200600_302600_NS10device_ptrIlEESB_jNS0_19identity_decomposerENS1_16block_id_wrapperIjLb1EEEEE10hipError_tT1_PNSt15iterator_traitsISG_E10value_typeET2_T3_PNSH_ISM_E10value_typeET4_T5_PSR_SS_PNS1_23onesweep_lookback_stateEbbT6_jjT7_P12ihipStream_tbENKUlT_T0_SG_SL_E_clIS7_S7_SB_PlEEDaSZ_S10_SG_SL_EUlSZ_E_NS1_11comp_targetILNS1_3genE4ELNS1_11target_archE910ELNS1_3gpuE8ELNS1_3repE0EEENS1_47radix_sort_onesweep_sort_config_static_selectorELNS0_4arch9wavefront6targetE1EEEvSG_,comdat
	.protected	_ZN7rocprim17ROCPRIM_400000_NS6detail17trampoline_kernelINS0_14default_configENS1_35radix_sort_onesweep_config_selectorIilEEZZNS1_29radix_sort_onesweep_iterationIS3_Lb0EPiS7_N6thrust23THRUST_200600_302600_NS10device_ptrIlEESB_jNS0_19identity_decomposerENS1_16block_id_wrapperIjLb1EEEEE10hipError_tT1_PNSt15iterator_traitsISG_E10value_typeET2_T3_PNSH_ISM_E10value_typeET4_T5_PSR_SS_PNS1_23onesweep_lookback_stateEbbT6_jjT7_P12ihipStream_tbENKUlT_T0_SG_SL_E_clIS7_S7_SB_PlEEDaSZ_S10_SG_SL_EUlSZ_E_NS1_11comp_targetILNS1_3genE4ELNS1_11target_archE910ELNS1_3gpuE8ELNS1_3repE0EEENS1_47radix_sort_onesweep_sort_config_static_selectorELNS0_4arch9wavefront6targetE1EEEvSG_ ; -- Begin function _ZN7rocprim17ROCPRIM_400000_NS6detail17trampoline_kernelINS0_14default_configENS1_35radix_sort_onesweep_config_selectorIilEEZZNS1_29radix_sort_onesweep_iterationIS3_Lb0EPiS7_N6thrust23THRUST_200600_302600_NS10device_ptrIlEESB_jNS0_19identity_decomposerENS1_16block_id_wrapperIjLb1EEEEE10hipError_tT1_PNSt15iterator_traitsISG_E10value_typeET2_T3_PNSH_ISM_E10value_typeET4_T5_PSR_SS_PNS1_23onesweep_lookback_stateEbbT6_jjT7_P12ihipStream_tbENKUlT_T0_SG_SL_E_clIS7_S7_SB_PlEEDaSZ_S10_SG_SL_EUlSZ_E_NS1_11comp_targetILNS1_3genE4ELNS1_11target_archE910ELNS1_3gpuE8ELNS1_3repE0EEENS1_47radix_sort_onesweep_sort_config_static_selectorELNS0_4arch9wavefront6targetE1EEEvSG_
	.globl	_ZN7rocprim17ROCPRIM_400000_NS6detail17trampoline_kernelINS0_14default_configENS1_35radix_sort_onesweep_config_selectorIilEEZZNS1_29radix_sort_onesweep_iterationIS3_Lb0EPiS7_N6thrust23THRUST_200600_302600_NS10device_ptrIlEESB_jNS0_19identity_decomposerENS1_16block_id_wrapperIjLb1EEEEE10hipError_tT1_PNSt15iterator_traitsISG_E10value_typeET2_T3_PNSH_ISM_E10value_typeET4_T5_PSR_SS_PNS1_23onesweep_lookback_stateEbbT6_jjT7_P12ihipStream_tbENKUlT_T0_SG_SL_E_clIS7_S7_SB_PlEEDaSZ_S10_SG_SL_EUlSZ_E_NS1_11comp_targetILNS1_3genE4ELNS1_11target_archE910ELNS1_3gpuE8ELNS1_3repE0EEENS1_47radix_sort_onesweep_sort_config_static_selectorELNS0_4arch9wavefront6targetE1EEEvSG_
	.p2align	8
	.type	_ZN7rocprim17ROCPRIM_400000_NS6detail17trampoline_kernelINS0_14default_configENS1_35radix_sort_onesweep_config_selectorIilEEZZNS1_29radix_sort_onesweep_iterationIS3_Lb0EPiS7_N6thrust23THRUST_200600_302600_NS10device_ptrIlEESB_jNS0_19identity_decomposerENS1_16block_id_wrapperIjLb1EEEEE10hipError_tT1_PNSt15iterator_traitsISG_E10value_typeET2_T3_PNSH_ISM_E10value_typeET4_T5_PSR_SS_PNS1_23onesweep_lookback_stateEbbT6_jjT7_P12ihipStream_tbENKUlT_T0_SG_SL_E_clIS7_S7_SB_PlEEDaSZ_S10_SG_SL_EUlSZ_E_NS1_11comp_targetILNS1_3genE4ELNS1_11target_archE910ELNS1_3gpuE8ELNS1_3repE0EEENS1_47radix_sort_onesweep_sort_config_static_selectorELNS0_4arch9wavefront6targetE1EEEvSG_,@function
_ZN7rocprim17ROCPRIM_400000_NS6detail17trampoline_kernelINS0_14default_configENS1_35radix_sort_onesweep_config_selectorIilEEZZNS1_29radix_sort_onesweep_iterationIS3_Lb0EPiS7_N6thrust23THRUST_200600_302600_NS10device_ptrIlEESB_jNS0_19identity_decomposerENS1_16block_id_wrapperIjLb1EEEEE10hipError_tT1_PNSt15iterator_traitsISG_E10value_typeET2_T3_PNSH_ISM_E10value_typeET4_T5_PSR_SS_PNS1_23onesweep_lookback_stateEbbT6_jjT7_P12ihipStream_tbENKUlT_T0_SG_SL_E_clIS7_S7_SB_PlEEDaSZ_S10_SG_SL_EUlSZ_E_NS1_11comp_targetILNS1_3genE4ELNS1_11target_archE910ELNS1_3gpuE8ELNS1_3repE0EEENS1_47radix_sort_onesweep_sort_config_static_selectorELNS0_4arch9wavefront6targetE1EEEvSG_: ; @_ZN7rocprim17ROCPRIM_400000_NS6detail17trampoline_kernelINS0_14default_configENS1_35radix_sort_onesweep_config_selectorIilEEZZNS1_29radix_sort_onesweep_iterationIS3_Lb0EPiS7_N6thrust23THRUST_200600_302600_NS10device_ptrIlEESB_jNS0_19identity_decomposerENS1_16block_id_wrapperIjLb1EEEEE10hipError_tT1_PNSt15iterator_traitsISG_E10value_typeET2_T3_PNSH_ISM_E10value_typeET4_T5_PSR_SS_PNS1_23onesweep_lookback_stateEbbT6_jjT7_P12ihipStream_tbENKUlT_T0_SG_SL_E_clIS7_S7_SB_PlEEDaSZ_S10_SG_SL_EUlSZ_E_NS1_11comp_targetILNS1_3genE4ELNS1_11target_archE910ELNS1_3gpuE8ELNS1_3repE0EEENS1_47radix_sort_onesweep_sort_config_static_selectorELNS0_4arch9wavefront6targetE1EEEvSG_
; %bb.0:
	s_load_dwordx4 s[52:55], s[4:5], 0x28
	s_load_dwordx2 s[42:43], s[4:5], 0x38
	s_load_dwordx4 s[56:59], s[4:5], 0x44
	v_and_b32_e32 v18, 0x3ff, v0
	v_cmp_eq_u32_e64 s[0:1], 0, v18
	s_and_saveexec_b64 s[2:3], s[0:1]
	s_cbranch_execz .LBB879_4
; %bb.1:
	s_mov_b64 s[10:11], exec
	v_mbcnt_lo_u32_b32 v1, s10, 0
	v_mbcnt_hi_u32_b32 v1, s11, v1
	v_cmp_eq_u32_e32 vcc, 0, v1
                                        ; implicit-def: $vgpr2
	s_and_saveexec_b64 s[8:9], vcc
	s_cbranch_execz .LBB879_3
; %bb.2:
	s_load_dwordx2 s[12:13], s[4:5], 0x50
	s_bcnt1_i32_b64 s7, s[10:11]
	v_mov_b32_e32 v2, 0
	v_mov_b32_e32 v3, s7
	s_waitcnt lgkmcnt(0)
	global_atomic_add v2, v2, v3, s[12:13] glc
.LBB879_3:
	s_or_b64 exec, exec, s[8:9]
	s_waitcnt vmcnt(0)
	v_readfirstlane_b32 s7, v2
	v_add_u32_e32 v1, s7, v1
	v_mov_b32_e32 v2, 0
	ds_write_b32 v2, v1 offset:10272
.LBB879_4:
	s_or_b64 exec, exec, s[2:3]
	v_mov_b32_e32 v1, 0
	s_load_dwordx8 s[44:51], s[4:5], 0x0
	s_load_dword s2, s[4:5], 0x20
	s_waitcnt lgkmcnt(0)
	s_barrier
	ds_read_b32 v1, v1 offset:10272
	v_mbcnt_lo_u32_b32 v19, -1, 0
	s_waitcnt lgkmcnt(0)
	s_barrier
	v_cmp_le_u32_e32 vcc, s58, v1
	v_readfirstlane_b32 s33, v1
	v_lshlrev_b32_e32 v1, 4, v18
	s_cbranch_vccz .LBB879_99
; %bb.5:
	s_lshl_b32 s3, s58, 13
	s_lshl_b32 s58, s33, 13
	s_mov_b32 s59, 0
	s_sub_i32 s7, s2, s3
	s_lshl_b64 s[2:3], s[58:59], 2
	v_mbcnt_hi_u32_b32 v6, -1, v19
	s_add_u32 s2, s44, s2
	v_and_b32_e32 v23, 63, v6
	s_addc_u32 s3, s45, s3
	v_lshlrev_b32_e32 v2, 2, v23
	v_and_b32_e32 v22, 0x3c00, v1
	v_mov_b32_e32 v3, s3
	v_add_co_u32_e32 v2, vcc, s2, v2
	v_addc_co_u32_e32 v3, vcc, 0, v3, vcc
	v_lshlrev_b32_e32 v4, 2, v22
	v_add_co_u32_e32 v2, vcc, v2, v4
	v_addc_co_u32_e32 v3, vcc, 0, v3, vcc
	v_or_b32_e32 v5, v23, v22
	v_cmp_gt_u32_e32 vcc, s7, v5
	v_bfrev_b32_e32 v9, -2
	v_bfrev_b32_e32 v4, -2
	s_and_saveexec_b64 s[2:3], vcc
	s_cbranch_execz .LBB879_7
; %bb.6:
	global_load_dword v4, v[2:3], off
.LBB879_7:
	s_or_b64 exec, exec, s[2:3]
	v_or_b32_e32 v7, 64, v5
	v_cmp_gt_u32_e64 s[8:9], s7, v7
	s_and_saveexec_b64 s[2:3], s[8:9]
	s_cbranch_execz .LBB879_9
; %bb.8:
	global_load_dword v9, v[2:3], off offset:256
.LBB879_9:
	s_or_b64 exec, exec, s[2:3]
	v_or_b32_e32 v7, 0x80, v5
	v_cmp_gt_u32_e64 s[12:13], s7, v7
	v_bfrev_b32_e32 v16, -2
	v_bfrev_b32_e32 v11, -2
	s_and_saveexec_b64 s[2:3], s[12:13]
	s_cbranch_execz .LBB879_11
; %bb.10:
	global_load_dword v11, v[2:3], off offset:512
.LBB879_11:
	s_or_b64 exec, exec, s[2:3]
	v_or_b32_e32 v7, 0xc0, v5
	v_cmp_gt_u32_e64 s[16:17], s7, v7
	s_and_saveexec_b64 s[2:3], s[16:17]
	s_cbranch_execz .LBB879_13
; %bb.12:
	global_load_dword v16, v[2:3], off offset:768
.LBB879_13:
	s_or_b64 exec, exec, s[2:3]
	v_or_b32_e32 v7, 0x100, v5
	v_cmp_gt_u32_e64 s[18:19], s7, v7
	v_bfrev_b32_e32 v29, -2
	v_bfrev_b32_e32 v28, -2
	s_and_saveexec_b64 s[2:3], s[18:19]
	s_cbranch_execz .LBB879_15
; %bb.14:
	global_load_dword v28, v[2:3], off offset:1024
.LBB879_15:
	;; [unrolled: 18-line block ×7, first 2 shown]
	s_or_b64 exec, exec, s[2:3]
	v_or_b32_e32 v5, 0x3c0, v5
	v_cmp_gt_u32_e64 s[2:3], s7, v5
	s_and_saveexec_b64 s[36:37], s[2:3]
	s_cbranch_execz .LBB879_37
; %bb.36:
	global_load_dword v15, v[2:3], off offset:3840
.LBB879_37:
	s_or_b64 exec, exec, s[36:37]
	s_load_dword s36, s[4:5], 0x64
	s_load_dword s68, s[4:5], 0x58
	s_add_u32 s37, s4, 0x58
	s_addc_u32 s40, s5, 0
	v_mov_b32_e32 v2, 0
	s_waitcnt lgkmcnt(0)
	s_lshr_b32 s41, s36, 16
	s_cmp_lt_u32 s6, s68
	s_cselect_b32 s36, 12, 18
	s_add_u32 s36, s37, s36
	s_addc_u32 s37, s40, 0
	global_load_ushort v5, v2, s[36:37]
	s_waitcnt vmcnt(1)
	v_xor_b32_e32 v24, 0x80000000, v4
	s_lshl_b32 s36, -1, s57
	v_lshrrev_b32_e32 v8, s56, v24
	s_not_b32 s69, s36
	v_and_b32_e32 v8, s69, v8
	v_and_b32_e32 v12, 1, v8
	v_bfe_u32 v3, v0, 10, 10
	v_bfe_u32 v4, v0, 20, 10
	v_add_co_u32_e64 v13, s[36:37], -1, v12
	v_mad_u32_u24 v4, v4, s41, v3
	v_lshlrev_b32_e32 v3, 30, v8
	v_addc_co_u32_e64 v14, s[36:37], 0, -1, s[36:37]
	v_cmp_ne_u32_e64 s[36:37], 0, v12
	v_cmp_gt_i64_e64 s[40:41], 0, v[2:3]
	v_not_b32_e32 v12, v3
	v_lshlrev_b32_e32 v3, 29, v8
	v_xor_b32_e32 v14, s37, v14
	v_xor_b32_e32 v13, s36, v13
	v_ashrrev_i32_e32 v12, 31, v12
	v_cmp_gt_i64_e64 s[36:37], 0, v[2:3]
	v_not_b32_e32 v17, v3
	v_lshlrev_b32_e32 v3, 28, v8
	v_and_b32_e32 v14, exec_hi, v14
	v_and_b32_e32 v13, exec_lo, v13
	v_xor_b32_e32 v20, s41, v12
	v_xor_b32_e32 v12, s40, v12
	v_ashrrev_i32_e32 v17, 31, v17
	v_cmp_gt_i64_e64 s[40:41], 0, v[2:3]
	v_not_b32_e32 v25, v3
	v_lshlrev_b32_e32 v3, 27, v8
	v_and_b32_e32 v14, v14, v20
	v_and_b32_e32 v12, v13, v12
	v_xor_b32_e32 v13, s37, v17
	v_xor_b32_e32 v17, s36, v17
	v_ashrrev_i32_e32 v20, 31, v25
	v_cmp_gt_i64_e64 s[36:37], 0, v[2:3]
	v_not_b32_e32 v25, v3
	v_lshlrev_b32_e32 v3, 26, v8
	v_and_b32_e32 v13, v14, v13
	v_and_b32_e32 v12, v12, v17
	;; [unrolled: 8-line block ×3, first 2 shown]
	v_xor_b32_e32 v14, s37, v20
	v_xor_b32_e32 v17, s36, v20
	v_ashrrev_i32_e32 v20, 31, v25
	v_cmp_gt_i64_e64 s[36:37], 0, v[2:3]
	v_not_b32_e32 v25, v3
	v_lshlrev_b32_e32 v3, 24, v8
	v_lshl_add_u32 v10, v8, 3, v8
	v_and_b32_e32 v8, v13, v14
	v_and_b32_e32 v12, v12, v17
	v_xor_b32_e32 v13, s41, v20
	v_xor_b32_e32 v14, s40, v20
	v_ashrrev_i32_e32 v17, 31, v25
	v_cmp_gt_i64_e64 s[40:41], 0, v[2:3]
	v_not_b32_e32 v3, v3
	v_and_b32_e32 v8, v8, v13
	v_and_b32_e32 v12, v12, v14
	v_xor_b32_e32 v13, s37, v17
	v_xor_b32_e32 v14, s36, v17
	v_ashrrev_i32_e32 v3, 31, v3
	v_and_b32_e32 v8, v8, v13
	v_and_b32_e32 v13, v12, v14
	v_mul_u32_u24_e32 v7, 5, v18
	v_lshlrev_b32_e32 v7, 2, v7
	ds_write2_b32 v7, v2, v2 offset0:8 offset1:9
	ds_write2_b32 v7, v2, v2 offset0:10 offset1:11
	ds_write_b32 v7, v2 offset:48
	s_waitcnt lgkmcnt(0)
	s_barrier
	s_waitcnt lgkmcnt(0)
	; wave barrier
	s_waitcnt vmcnt(0)
	v_mad_u64_u32 v[4:5], s[36:37], v4, v5, v[18:19]
	v_lshrrev_b32_e32 v32, 6, v4
	v_xor_b32_e32 v4, s41, v3
	v_xor_b32_e32 v3, s40, v3
	v_and_b32_e32 v5, v8, v4
	v_and_b32_e32 v4, v13, v3
	v_mbcnt_lo_u32_b32 v3, v4, 0
	v_mbcnt_hi_u32_b32 v8, v5, v3
	v_cmp_eq_u32_e64 s[36:37], 0, v8
	v_cmp_ne_u64_e64 s[40:41], 0, v[4:5]
	v_add_lshl_u32 v12, v32, v10, 2
	s_and_b64 s[40:41], s[40:41], s[36:37]
	s_and_saveexec_b64 s[36:37], s[40:41]
	s_cbranch_execz .LBB879_39
; %bb.38:
	v_bcnt_u32_b32 v3, v4, 0
	v_bcnt_u32_b32 v3, v5, v3
	ds_write_b32 v12, v3 offset:32
.LBB879_39:
	s_or_b64 exec, exec, s[36:37]
	v_xor_b32_e32 v25, 0x80000000, v9
	v_lshrrev_b32_e32 v3, s56, v25
	v_and_b32_e32 v4, s69, v3
	v_lshl_add_u32 v3, v4, 3, v4
	v_add_lshl_u32 v13, v32, v3, 2
	v_and_b32_e32 v3, 1, v4
	v_add_co_u32_e64 v5, s[36:37], -1, v3
	v_addc_co_u32_e64 v10, s[36:37], 0, -1, s[36:37]
	v_cmp_ne_u32_e64 s[36:37], 0, v3
	v_xor_b32_e32 v3, s37, v10
	v_and_b32_e32 v10, exec_hi, v3
	v_lshlrev_b32_e32 v3, 30, v4
	v_xor_b32_e32 v5, s36, v5
	v_cmp_gt_i64_e64 s[36:37], 0, v[2:3]
	v_not_b32_e32 v3, v3
	v_ashrrev_i32_e32 v3, 31, v3
	v_and_b32_e32 v5, exec_lo, v5
	v_xor_b32_e32 v14, s37, v3
	v_xor_b32_e32 v3, s36, v3
	v_and_b32_e32 v5, v5, v3
	v_lshlrev_b32_e32 v3, 29, v4
	v_cmp_gt_i64_e64 s[36:37], 0, v[2:3]
	v_not_b32_e32 v3, v3
	v_ashrrev_i32_e32 v3, 31, v3
	v_and_b32_e32 v10, v10, v14
	v_xor_b32_e32 v14, s37, v3
	v_xor_b32_e32 v3, s36, v3
	v_and_b32_e32 v5, v5, v3
	v_lshlrev_b32_e32 v3, 28, v4
	v_cmp_gt_i64_e64 s[36:37], 0, v[2:3]
	v_not_b32_e32 v3, v3
	v_ashrrev_i32_e32 v3, 31, v3
	v_and_b32_e32 v10, v10, v14
	;; [unrolled: 8-line block ×5, first 2 shown]
	v_xor_b32_e32 v14, s37, v3
	v_xor_b32_e32 v3, s36, v3
	v_and_b32_e32 v5, v5, v3
	v_lshlrev_b32_e32 v3, 24, v4
	v_cmp_gt_i64_e64 s[36:37], 0, v[2:3]
	v_not_b32_e32 v2, v3
	v_ashrrev_i32_e32 v2, 31, v2
	v_xor_b32_e32 v3, s37, v2
	v_xor_b32_e32 v2, s36, v2
	; wave barrier
	ds_read_b32 v9, v13 offset:32
	v_and_b32_e32 v10, v10, v14
	v_and_b32_e32 v2, v5, v2
	;; [unrolled: 1-line block ×3, first 2 shown]
	v_mbcnt_lo_u32_b32 v4, v2, 0
	v_mbcnt_hi_u32_b32 v10, v3, v4
	v_cmp_eq_u32_e64 s[36:37], 0, v10
	v_cmp_ne_u64_e64 s[40:41], 0, v[2:3]
	s_and_b64 s[40:41], s[40:41], s[36:37]
	; wave barrier
	s_and_saveexec_b64 s[36:37], s[40:41]
	s_cbranch_execz .LBB879_41
; %bb.40:
	v_bcnt_u32_b32 v2, v2, 0
	v_bcnt_u32_b32 v2, v3, v2
	s_waitcnt lgkmcnt(0)
	v_add_u32_e32 v2, v9, v2
	ds_write_b32 v13, v2 offset:32
.LBB879_41:
	s_or_b64 exec, exec, s[36:37]
	v_xor_b32_e32 v26, 0x80000000, v11
	v_lshrrev_b32_e32 v2, s56, v26
	v_and_b32_e32 v4, s69, v2
	v_and_b32_e32 v3, 1, v4
	v_add_co_u32_e64 v5, s[36:37], -1, v3
	v_addc_co_u32_e64 v14, s[36:37], 0, -1, s[36:37]
	v_cmp_ne_u32_e64 s[36:37], 0, v3
	v_lshl_add_u32 v2, v4, 3, v4
	v_xor_b32_e32 v3, s37, v14
	v_add_lshl_u32 v17, v32, v2, 2
	v_mov_b32_e32 v2, 0
	v_and_b32_e32 v14, exec_hi, v3
	v_lshlrev_b32_e32 v3, 30, v4
	v_xor_b32_e32 v5, s36, v5
	v_cmp_gt_i64_e64 s[36:37], 0, v[2:3]
	v_not_b32_e32 v3, v3
	v_ashrrev_i32_e32 v3, 31, v3
	v_and_b32_e32 v5, exec_lo, v5
	v_xor_b32_e32 v20, s37, v3
	v_xor_b32_e32 v3, s36, v3
	v_and_b32_e32 v5, v5, v3
	v_lshlrev_b32_e32 v3, 29, v4
	v_cmp_gt_i64_e64 s[36:37], 0, v[2:3]
	v_not_b32_e32 v3, v3
	v_ashrrev_i32_e32 v3, 31, v3
	v_and_b32_e32 v14, v14, v20
	v_xor_b32_e32 v20, s37, v3
	v_xor_b32_e32 v3, s36, v3
	v_and_b32_e32 v5, v5, v3
	v_lshlrev_b32_e32 v3, 28, v4
	v_cmp_gt_i64_e64 s[36:37], 0, v[2:3]
	v_not_b32_e32 v3, v3
	v_ashrrev_i32_e32 v3, 31, v3
	v_and_b32_e32 v14, v14, v20
	;; [unrolled: 8-line block ×5, first 2 shown]
	v_xor_b32_e32 v20, s37, v3
	v_xor_b32_e32 v3, s36, v3
	v_and_b32_e32 v14, v14, v20
	v_and_b32_e32 v20, v5, v3
	v_lshlrev_b32_e32 v3, 24, v4
	v_cmp_gt_i64_e64 s[36:37], 0, v[2:3]
	v_not_b32_e32 v3, v3
	v_ashrrev_i32_e32 v3, 31, v3
	v_xor_b32_e32 v4, s37, v3
	v_xor_b32_e32 v3, s36, v3
	; wave barrier
	ds_read_b32 v11, v17 offset:32
	v_and_b32_e32 v5, v14, v4
	v_and_b32_e32 v4, v20, v3
	v_mbcnt_lo_u32_b32 v3, v4, 0
	v_mbcnt_hi_u32_b32 v14, v5, v3
	v_cmp_eq_u32_e64 s[36:37], 0, v14
	v_cmp_ne_u64_e64 s[40:41], 0, v[4:5]
	s_and_b64 s[40:41], s[40:41], s[36:37]
	; wave barrier
	s_and_saveexec_b64 s[36:37], s[40:41]
	s_cbranch_execz .LBB879_43
; %bb.42:
	v_bcnt_u32_b32 v3, v4, 0
	v_bcnt_u32_b32 v3, v5, v3
	s_waitcnt lgkmcnt(0)
	v_add_u32_e32 v3, v11, v3
	ds_write_b32 v17, v3 offset:32
.LBB879_43:
	s_or_b64 exec, exec, s[36:37]
	v_xor_b32_e32 v27, 0x80000000, v16
	v_lshrrev_b32_e32 v3, s56, v27
	v_and_b32_e32 v4, s69, v3
	v_lshl_add_u32 v3, v4, 3, v4
	v_add_lshl_u32 v35, v32, v3, 2
	v_and_b32_e32 v3, 1, v4
	v_add_co_u32_e64 v5, s[36:37], -1, v3
	v_addc_co_u32_e64 v20, s[36:37], 0, -1, s[36:37]
	v_cmp_ne_u32_e64 s[36:37], 0, v3
	v_xor_b32_e32 v3, s37, v20
	v_and_b32_e32 v20, exec_hi, v3
	v_lshlrev_b32_e32 v3, 30, v4
	v_xor_b32_e32 v5, s36, v5
	v_cmp_gt_i64_e64 s[36:37], 0, v[2:3]
	v_not_b32_e32 v3, v3
	v_ashrrev_i32_e32 v3, 31, v3
	v_and_b32_e32 v5, exec_lo, v5
	v_xor_b32_e32 v31, s37, v3
	v_xor_b32_e32 v3, s36, v3
	v_and_b32_e32 v5, v5, v3
	v_lshlrev_b32_e32 v3, 29, v4
	v_cmp_gt_i64_e64 s[36:37], 0, v[2:3]
	v_not_b32_e32 v3, v3
	v_ashrrev_i32_e32 v3, 31, v3
	v_and_b32_e32 v20, v20, v31
	v_xor_b32_e32 v31, s37, v3
	v_xor_b32_e32 v3, s36, v3
	v_and_b32_e32 v5, v5, v3
	v_lshlrev_b32_e32 v3, 28, v4
	v_cmp_gt_i64_e64 s[36:37], 0, v[2:3]
	v_not_b32_e32 v3, v3
	v_ashrrev_i32_e32 v3, 31, v3
	v_and_b32_e32 v20, v20, v31
	v_xor_b32_e32 v31, s37, v3
	v_xor_b32_e32 v3, s36, v3
	v_and_b32_e32 v5, v5, v3
	v_lshlrev_b32_e32 v3, 27, v4
	v_cmp_gt_i64_e64 s[36:37], 0, v[2:3]
	v_not_b32_e32 v3, v3
	v_ashrrev_i32_e32 v3, 31, v3
	v_and_b32_e32 v20, v20, v31
	v_xor_b32_e32 v31, s37, v3
	v_xor_b32_e32 v3, s36, v3
	v_and_b32_e32 v5, v5, v3
	v_lshlrev_b32_e32 v3, 26, v4
	v_cmp_gt_i64_e64 s[36:37], 0, v[2:3]
	v_not_b32_e32 v3, v3
	v_ashrrev_i32_e32 v3, 31, v3
	v_and_b32_e32 v20, v20, v31
	v_xor_b32_e32 v31, s37, v3
	v_xor_b32_e32 v3, s36, v3
	v_and_b32_e32 v5, v5, v3
	v_lshlrev_b32_e32 v3, 25, v4
	v_cmp_gt_i64_e64 s[36:37], 0, v[2:3]
	v_not_b32_e32 v3, v3
	v_ashrrev_i32_e32 v3, 31, v3
	v_and_b32_e32 v20, v20, v31
	v_xor_b32_e32 v31, s37, v3
	v_xor_b32_e32 v3, s36, v3
	v_and_b32_e32 v5, v5, v3
	v_lshlrev_b32_e32 v3, 24, v4
	v_cmp_gt_i64_e64 s[36:37], 0, v[2:3]
	v_not_b32_e32 v2, v3
	v_ashrrev_i32_e32 v2, 31, v2
	v_xor_b32_e32 v3, s37, v2
	v_xor_b32_e32 v2, s36, v2
	; wave barrier
	ds_read_b32 v16, v35 offset:32
	v_and_b32_e32 v20, v20, v31
	v_and_b32_e32 v2, v5, v2
	;; [unrolled: 1-line block ×3, first 2 shown]
	v_mbcnt_lo_u32_b32 v4, v2, 0
	v_mbcnt_hi_u32_b32 v20, v3, v4
	v_cmp_eq_u32_e64 s[36:37], 0, v20
	v_cmp_ne_u64_e64 s[40:41], 0, v[2:3]
	s_and_b64 s[40:41], s[40:41], s[36:37]
	; wave barrier
	s_and_saveexec_b64 s[36:37], s[40:41]
	s_cbranch_execz .LBB879_45
; %bb.44:
	v_bcnt_u32_b32 v2, v2, 0
	v_bcnt_u32_b32 v2, v3, v2
	s_waitcnt lgkmcnt(0)
	v_add_u32_e32 v2, v16, v2
	ds_write_b32 v35, v2 offset:32
.LBB879_45:
	s_or_b64 exec, exec, s[36:37]
	v_xor_b32_e32 v28, 0x80000000, v28
	v_lshrrev_b32_e32 v2, s56, v28
	v_and_b32_e32 v4, s69, v2
	v_and_b32_e32 v3, 1, v4
	v_add_co_u32_e64 v5, s[36:37], -1, v3
	v_addc_co_u32_e64 v36, s[36:37], 0, -1, s[36:37]
	v_cmp_ne_u32_e64 s[36:37], 0, v3
	v_lshl_add_u32 v2, v4, 3, v4
	v_xor_b32_e32 v3, s37, v36
	v_add_lshl_u32 v40, v32, v2, 2
	v_mov_b32_e32 v2, 0
	v_and_b32_e32 v36, exec_hi, v3
	v_lshlrev_b32_e32 v3, 30, v4
	v_xor_b32_e32 v5, s36, v5
	v_cmp_gt_i64_e64 s[36:37], 0, v[2:3]
	v_not_b32_e32 v3, v3
	v_ashrrev_i32_e32 v3, 31, v3
	v_and_b32_e32 v5, exec_lo, v5
	v_xor_b32_e32 v37, s37, v3
	v_xor_b32_e32 v3, s36, v3
	v_and_b32_e32 v5, v5, v3
	v_lshlrev_b32_e32 v3, 29, v4
	v_cmp_gt_i64_e64 s[36:37], 0, v[2:3]
	v_not_b32_e32 v3, v3
	v_ashrrev_i32_e32 v3, 31, v3
	v_and_b32_e32 v36, v36, v37
	v_xor_b32_e32 v37, s37, v3
	v_xor_b32_e32 v3, s36, v3
	v_and_b32_e32 v5, v5, v3
	v_lshlrev_b32_e32 v3, 28, v4
	v_cmp_gt_i64_e64 s[36:37], 0, v[2:3]
	v_not_b32_e32 v3, v3
	v_ashrrev_i32_e32 v3, 31, v3
	v_and_b32_e32 v36, v36, v37
	;; [unrolled: 8-line block ×5, first 2 shown]
	v_xor_b32_e32 v37, s37, v3
	v_xor_b32_e32 v3, s36, v3
	v_and_b32_e32 v36, v36, v37
	v_and_b32_e32 v37, v5, v3
	v_lshlrev_b32_e32 v3, 24, v4
	v_cmp_gt_i64_e64 s[36:37], 0, v[2:3]
	v_not_b32_e32 v3, v3
	v_ashrrev_i32_e32 v3, 31, v3
	v_xor_b32_e32 v4, s37, v3
	v_xor_b32_e32 v3, s36, v3
	; wave barrier
	ds_read_b32 v31, v40 offset:32
	v_and_b32_e32 v5, v36, v4
	v_and_b32_e32 v4, v37, v3
	v_mbcnt_lo_u32_b32 v3, v4, 0
	v_mbcnt_hi_u32_b32 v36, v5, v3
	v_cmp_eq_u32_e64 s[36:37], 0, v36
	v_cmp_ne_u64_e64 s[40:41], 0, v[4:5]
	s_and_b64 s[40:41], s[40:41], s[36:37]
	; wave barrier
	s_and_saveexec_b64 s[36:37], s[40:41]
	s_cbranch_execz .LBB879_47
; %bb.46:
	v_bcnt_u32_b32 v3, v4, 0
	v_bcnt_u32_b32 v3, v5, v3
	s_waitcnt lgkmcnt(0)
	v_add_u32_e32 v3, v31, v3
	ds_write_b32 v40, v3 offset:32
.LBB879_47:
	s_or_b64 exec, exec, s[36:37]
	v_xor_b32_e32 v29, 0x80000000, v29
	v_lshrrev_b32_e32 v3, s56, v29
	v_and_b32_e32 v4, s69, v3
	v_lshl_add_u32 v3, v4, 3, v4
	v_add_lshl_u32 v45, v32, v3, 2
	v_and_b32_e32 v3, 1, v4
	v_add_co_u32_e64 v5, s[36:37], -1, v3
	v_addc_co_u32_e64 v41, s[36:37], 0, -1, s[36:37]
	v_cmp_ne_u32_e64 s[36:37], 0, v3
	v_xor_b32_e32 v3, s37, v41
	v_and_b32_e32 v41, exec_hi, v3
	v_lshlrev_b32_e32 v3, 30, v4
	v_xor_b32_e32 v5, s36, v5
	v_cmp_gt_i64_e64 s[36:37], 0, v[2:3]
	v_not_b32_e32 v3, v3
	v_ashrrev_i32_e32 v3, 31, v3
	v_and_b32_e32 v5, exec_lo, v5
	v_xor_b32_e32 v42, s37, v3
	v_xor_b32_e32 v3, s36, v3
	v_and_b32_e32 v5, v5, v3
	v_lshlrev_b32_e32 v3, 29, v4
	v_cmp_gt_i64_e64 s[36:37], 0, v[2:3]
	v_not_b32_e32 v3, v3
	v_ashrrev_i32_e32 v3, 31, v3
	v_and_b32_e32 v41, v41, v42
	v_xor_b32_e32 v42, s37, v3
	v_xor_b32_e32 v3, s36, v3
	v_and_b32_e32 v5, v5, v3
	v_lshlrev_b32_e32 v3, 28, v4
	v_cmp_gt_i64_e64 s[36:37], 0, v[2:3]
	v_not_b32_e32 v3, v3
	v_ashrrev_i32_e32 v3, 31, v3
	v_and_b32_e32 v41, v41, v42
	;; [unrolled: 8-line block ×5, first 2 shown]
	v_xor_b32_e32 v42, s37, v3
	v_xor_b32_e32 v3, s36, v3
	v_and_b32_e32 v5, v5, v3
	v_lshlrev_b32_e32 v3, 24, v4
	v_cmp_gt_i64_e64 s[36:37], 0, v[2:3]
	v_not_b32_e32 v2, v3
	v_ashrrev_i32_e32 v2, 31, v2
	v_xor_b32_e32 v3, s37, v2
	v_xor_b32_e32 v2, s36, v2
	; wave barrier
	ds_read_b32 v37, v45 offset:32
	v_and_b32_e32 v41, v41, v42
	v_and_b32_e32 v2, v5, v2
	v_and_b32_e32 v3, v41, v3
	v_mbcnt_lo_u32_b32 v4, v2, 0
	v_mbcnt_hi_u32_b32 v41, v3, v4
	v_cmp_eq_u32_e64 s[36:37], 0, v41
	v_cmp_ne_u64_e64 s[40:41], 0, v[2:3]
	s_and_b64 s[40:41], s[40:41], s[36:37]
	; wave barrier
	s_and_saveexec_b64 s[36:37], s[40:41]
	s_cbranch_execz .LBB879_49
; %bb.48:
	v_bcnt_u32_b32 v2, v2, 0
	v_bcnt_u32_b32 v2, v3, v2
	s_waitcnt lgkmcnt(0)
	v_add_u32_e32 v2, v37, v2
	ds_write_b32 v45, v2 offset:32
.LBB879_49:
	s_or_b64 exec, exec, s[36:37]
	v_xor_b32_e32 v30, 0x80000000, v30
	v_lshrrev_b32_e32 v2, s56, v30
	v_and_b32_e32 v4, s69, v2
	v_and_b32_e32 v3, 1, v4
	v_add_co_u32_e64 v5, s[36:37], -1, v3
	v_addc_co_u32_e64 v46, s[36:37], 0, -1, s[36:37]
	v_cmp_ne_u32_e64 s[36:37], 0, v3
	v_lshl_add_u32 v2, v4, 3, v4
	v_xor_b32_e32 v3, s37, v46
	v_add_lshl_u32 v49, v32, v2, 2
	v_mov_b32_e32 v2, 0
	v_and_b32_e32 v46, exec_hi, v3
	v_lshlrev_b32_e32 v3, 30, v4
	v_xor_b32_e32 v5, s36, v5
	v_cmp_gt_i64_e64 s[36:37], 0, v[2:3]
	v_not_b32_e32 v3, v3
	v_ashrrev_i32_e32 v3, 31, v3
	v_and_b32_e32 v5, exec_lo, v5
	v_xor_b32_e32 v47, s37, v3
	v_xor_b32_e32 v3, s36, v3
	v_and_b32_e32 v5, v5, v3
	v_lshlrev_b32_e32 v3, 29, v4
	v_cmp_gt_i64_e64 s[36:37], 0, v[2:3]
	v_not_b32_e32 v3, v3
	v_ashrrev_i32_e32 v3, 31, v3
	v_and_b32_e32 v46, v46, v47
	v_xor_b32_e32 v47, s37, v3
	v_xor_b32_e32 v3, s36, v3
	v_and_b32_e32 v5, v5, v3
	v_lshlrev_b32_e32 v3, 28, v4
	v_cmp_gt_i64_e64 s[36:37], 0, v[2:3]
	v_not_b32_e32 v3, v3
	v_ashrrev_i32_e32 v3, 31, v3
	v_and_b32_e32 v46, v46, v47
	;; [unrolled: 8-line block ×5, first 2 shown]
	v_xor_b32_e32 v47, s37, v3
	v_xor_b32_e32 v3, s36, v3
	v_and_b32_e32 v46, v46, v47
	v_and_b32_e32 v47, v5, v3
	v_lshlrev_b32_e32 v3, 24, v4
	v_cmp_gt_i64_e64 s[36:37], 0, v[2:3]
	v_not_b32_e32 v3, v3
	v_ashrrev_i32_e32 v3, 31, v3
	v_xor_b32_e32 v4, s37, v3
	v_xor_b32_e32 v3, s36, v3
	; wave barrier
	ds_read_b32 v42, v49 offset:32
	v_and_b32_e32 v5, v46, v4
	v_and_b32_e32 v4, v47, v3
	v_mbcnt_lo_u32_b32 v3, v4, 0
	v_mbcnt_hi_u32_b32 v46, v5, v3
	v_cmp_eq_u32_e64 s[36:37], 0, v46
	v_cmp_ne_u64_e64 s[40:41], 0, v[4:5]
	s_and_b64 s[40:41], s[40:41], s[36:37]
	; wave barrier
	s_and_saveexec_b64 s[36:37], s[40:41]
	s_cbranch_execz .LBB879_51
; %bb.50:
	v_bcnt_u32_b32 v3, v4, 0
	v_bcnt_u32_b32 v3, v5, v3
	s_waitcnt lgkmcnt(0)
	v_add_u32_e32 v3, v42, v3
	ds_write_b32 v49, v3 offset:32
.LBB879_51:
	s_or_b64 exec, exec, s[36:37]
	v_xor_b32_e32 v34, 0x80000000, v34
	v_lshrrev_b32_e32 v3, s56, v34
	v_and_b32_e32 v4, s69, v3
	v_lshl_add_u32 v3, v4, 3, v4
	v_add_lshl_u32 v52, v32, v3, 2
	v_and_b32_e32 v3, 1, v4
	v_add_co_u32_e64 v5, s[36:37], -1, v3
	v_addc_co_u32_e64 v50, s[36:37], 0, -1, s[36:37]
	v_cmp_ne_u32_e64 s[36:37], 0, v3
	v_xor_b32_e32 v3, s37, v50
	v_and_b32_e32 v50, exec_hi, v3
	v_lshlrev_b32_e32 v3, 30, v4
	v_xor_b32_e32 v5, s36, v5
	v_cmp_gt_i64_e64 s[36:37], 0, v[2:3]
	v_not_b32_e32 v3, v3
	v_ashrrev_i32_e32 v3, 31, v3
	v_and_b32_e32 v5, exec_lo, v5
	v_xor_b32_e32 v51, s37, v3
	v_xor_b32_e32 v3, s36, v3
	v_and_b32_e32 v5, v5, v3
	v_lshlrev_b32_e32 v3, 29, v4
	v_cmp_gt_i64_e64 s[36:37], 0, v[2:3]
	v_not_b32_e32 v3, v3
	v_ashrrev_i32_e32 v3, 31, v3
	v_and_b32_e32 v50, v50, v51
	v_xor_b32_e32 v51, s37, v3
	v_xor_b32_e32 v3, s36, v3
	v_and_b32_e32 v5, v5, v3
	v_lshlrev_b32_e32 v3, 28, v4
	v_cmp_gt_i64_e64 s[36:37], 0, v[2:3]
	v_not_b32_e32 v3, v3
	v_ashrrev_i32_e32 v3, 31, v3
	v_and_b32_e32 v50, v50, v51
	;; [unrolled: 8-line block ×5, first 2 shown]
	v_xor_b32_e32 v51, s37, v3
	v_xor_b32_e32 v3, s36, v3
	v_and_b32_e32 v5, v5, v3
	v_lshlrev_b32_e32 v3, 24, v4
	v_cmp_gt_i64_e64 s[36:37], 0, v[2:3]
	v_not_b32_e32 v2, v3
	v_ashrrev_i32_e32 v2, 31, v2
	v_xor_b32_e32 v3, s37, v2
	v_xor_b32_e32 v2, s36, v2
	; wave barrier
	ds_read_b32 v47, v52 offset:32
	v_and_b32_e32 v50, v50, v51
	v_and_b32_e32 v2, v5, v2
	;; [unrolled: 1-line block ×3, first 2 shown]
	v_mbcnt_lo_u32_b32 v4, v2, 0
	v_mbcnt_hi_u32_b32 v50, v3, v4
	v_cmp_eq_u32_e64 s[36:37], 0, v50
	v_cmp_ne_u64_e64 s[40:41], 0, v[2:3]
	s_and_b64 s[40:41], s[40:41], s[36:37]
	; wave barrier
	s_and_saveexec_b64 s[36:37], s[40:41]
	s_cbranch_execz .LBB879_53
; %bb.52:
	v_bcnt_u32_b32 v2, v2, 0
	v_bcnt_u32_b32 v2, v3, v2
	s_waitcnt lgkmcnt(0)
	v_add_u32_e32 v2, v47, v2
	ds_write_b32 v52, v2 offset:32
.LBB879_53:
	s_or_b64 exec, exec, s[36:37]
	v_xor_b32_e32 v39, 0x80000000, v39
	v_lshrrev_b32_e32 v2, s56, v39
	v_and_b32_e32 v4, s69, v2
	v_and_b32_e32 v3, 1, v4
	v_add_co_u32_e64 v5, s[36:37], -1, v3
	v_addc_co_u32_e64 v53, s[36:37], 0, -1, s[36:37]
	v_cmp_ne_u32_e64 s[36:37], 0, v3
	v_lshl_add_u32 v2, v4, 3, v4
	v_xor_b32_e32 v3, s37, v53
	v_add_lshl_u32 v55, v32, v2, 2
	v_mov_b32_e32 v2, 0
	v_and_b32_e32 v53, exec_hi, v3
	v_lshlrev_b32_e32 v3, 30, v4
	v_xor_b32_e32 v5, s36, v5
	v_cmp_gt_i64_e64 s[36:37], 0, v[2:3]
	v_not_b32_e32 v3, v3
	v_ashrrev_i32_e32 v3, 31, v3
	v_and_b32_e32 v5, exec_lo, v5
	v_xor_b32_e32 v54, s37, v3
	v_xor_b32_e32 v3, s36, v3
	v_and_b32_e32 v5, v5, v3
	v_lshlrev_b32_e32 v3, 29, v4
	v_cmp_gt_i64_e64 s[36:37], 0, v[2:3]
	v_not_b32_e32 v3, v3
	v_ashrrev_i32_e32 v3, 31, v3
	v_and_b32_e32 v53, v53, v54
	v_xor_b32_e32 v54, s37, v3
	v_xor_b32_e32 v3, s36, v3
	v_and_b32_e32 v5, v5, v3
	v_lshlrev_b32_e32 v3, 28, v4
	v_cmp_gt_i64_e64 s[36:37], 0, v[2:3]
	v_not_b32_e32 v3, v3
	v_ashrrev_i32_e32 v3, 31, v3
	v_and_b32_e32 v53, v53, v54
	;; [unrolled: 8-line block ×5, first 2 shown]
	v_xor_b32_e32 v54, s37, v3
	v_xor_b32_e32 v3, s36, v3
	v_and_b32_e32 v53, v53, v54
	v_and_b32_e32 v54, v5, v3
	v_lshlrev_b32_e32 v3, 24, v4
	v_cmp_gt_i64_e64 s[36:37], 0, v[2:3]
	v_not_b32_e32 v3, v3
	v_ashrrev_i32_e32 v3, 31, v3
	v_xor_b32_e32 v4, s37, v3
	v_xor_b32_e32 v3, s36, v3
	; wave barrier
	ds_read_b32 v51, v55 offset:32
	v_and_b32_e32 v5, v53, v4
	v_and_b32_e32 v4, v54, v3
	v_mbcnt_lo_u32_b32 v3, v4, 0
	v_mbcnt_hi_u32_b32 v53, v5, v3
	v_cmp_eq_u32_e64 s[36:37], 0, v53
	v_cmp_ne_u64_e64 s[40:41], 0, v[4:5]
	s_and_b64 s[40:41], s[40:41], s[36:37]
	; wave barrier
	s_and_saveexec_b64 s[36:37], s[40:41]
	s_cbranch_execz .LBB879_55
; %bb.54:
	v_bcnt_u32_b32 v3, v4, 0
	v_bcnt_u32_b32 v3, v5, v3
	s_waitcnt lgkmcnt(0)
	v_add_u32_e32 v3, v51, v3
	ds_write_b32 v55, v3 offset:32
.LBB879_55:
	s_or_b64 exec, exec, s[36:37]
	v_xor_b32_e32 v44, 0x80000000, v44
	v_lshrrev_b32_e32 v3, s56, v44
	v_and_b32_e32 v4, s69, v3
	v_lshl_add_u32 v3, v4, 3, v4
	v_add_lshl_u32 v58, v32, v3, 2
	v_and_b32_e32 v3, 1, v4
	v_add_co_u32_e64 v5, s[36:37], -1, v3
	v_addc_co_u32_e64 v56, s[36:37], 0, -1, s[36:37]
	v_cmp_ne_u32_e64 s[36:37], 0, v3
	v_xor_b32_e32 v3, s37, v56
	v_and_b32_e32 v56, exec_hi, v3
	v_lshlrev_b32_e32 v3, 30, v4
	v_xor_b32_e32 v5, s36, v5
	v_cmp_gt_i64_e64 s[36:37], 0, v[2:3]
	v_not_b32_e32 v3, v3
	v_ashrrev_i32_e32 v3, 31, v3
	v_and_b32_e32 v5, exec_lo, v5
	v_xor_b32_e32 v57, s37, v3
	v_xor_b32_e32 v3, s36, v3
	v_and_b32_e32 v5, v5, v3
	v_lshlrev_b32_e32 v3, 29, v4
	v_cmp_gt_i64_e64 s[36:37], 0, v[2:3]
	v_not_b32_e32 v3, v3
	v_ashrrev_i32_e32 v3, 31, v3
	v_and_b32_e32 v56, v56, v57
	v_xor_b32_e32 v57, s37, v3
	v_xor_b32_e32 v3, s36, v3
	v_and_b32_e32 v5, v5, v3
	v_lshlrev_b32_e32 v3, 28, v4
	v_cmp_gt_i64_e64 s[36:37], 0, v[2:3]
	v_not_b32_e32 v3, v3
	v_ashrrev_i32_e32 v3, 31, v3
	v_and_b32_e32 v56, v56, v57
	;; [unrolled: 8-line block ×5, first 2 shown]
	v_xor_b32_e32 v57, s37, v3
	v_xor_b32_e32 v3, s36, v3
	v_and_b32_e32 v5, v5, v3
	v_lshlrev_b32_e32 v3, 24, v4
	v_cmp_gt_i64_e64 s[36:37], 0, v[2:3]
	v_not_b32_e32 v2, v3
	v_ashrrev_i32_e32 v2, 31, v2
	v_xor_b32_e32 v3, s37, v2
	v_xor_b32_e32 v2, s36, v2
	; wave barrier
	ds_read_b32 v54, v58 offset:32
	v_and_b32_e32 v56, v56, v57
	v_and_b32_e32 v2, v5, v2
	;; [unrolled: 1-line block ×3, first 2 shown]
	v_mbcnt_lo_u32_b32 v4, v2, 0
	v_mbcnt_hi_u32_b32 v56, v3, v4
	v_cmp_eq_u32_e64 s[36:37], 0, v56
	v_cmp_ne_u64_e64 s[40:41], 0, v[2:3]
	s_and_b64 s[40:41], s[40:41], s[36:37]
	; wave barrier
	s_and_saveexec_b64 s[36:37], s[40:41]
	s_cbranch_execz .LBB879_57
; %bb.56:
	v_bcnt_u32_b32 v2, v2, 0
	v_bcnt_u32_b32 v2, v3, v2
	s_waitcnt lgkmcnt(0)
	v_add_u32_e32 v2, v54, v2
	ds_write_b32 v58, v2 offset:32
.LBB879_57:
	s_or_b64 exec, exec, s[36:37]
	v_xor_b32_e32 v48, 0x80000000, v48
	v_lshrrev_b32_e32 v2, s56, v48
	v_and_b32_e32 v4, s69, v2
	v_and_b32_e32 v3, 1, v4
	v_add_co_u32_e64 v5, s[36:37], -1, v3
	v_addc_co_u32_e64 v59, s[36:37], 0, -1, s[36:37]
	v_cmp_ne_u32_e64 s[36:37], 0, v3
	v_lshl_add_u32 v2, v4, 3, v4
	v_xor_b32_e32 v3, s37, v59
	v_add_lshl_u32 v61, v32, v2, 2
	v_mov_b32_e32 v2, 0
	v_and_b32_e32 v59, exec_hi, v3
	v_lshlrev_b32_e32 v3, 30, v4
	v_xor_b32_e32 v5, s36, v5
	v_cmp_gt_i64_e64 s[36:37], 0, v[2:3]
	v_not_b32_e32 v3, v3
	v_ashrrev_i32_e32 v3, 31, v3
	v_and_b32_e32 v5, exec_lo, v5
	v_xor_b32_e32 v60, s37, v3
	v_xor_b32_e32 v3, s36, v3
	v_and_b32_e32 v5, v5, v3
	v_lshlrev_b32_e32 v3, 29, v4
	v_cmp_gt_i64_e64 s[36:37], 0, v[2:3]
	v_not_b32_e32 v3, v3
	v_ashrrev_i32_e32 v3, 31, v3
	v_and_b32_e32 v59, v59, v60
	v_xor_b32_e32 v60, s37, v3
	v_xor_b32_e32 v3, s36, v3
	v_and_b32_e32 v5, v5, v3
	v_lshlrev_b32_e32 v3, 28, v4
	v_cmp_gt_i64_e64 s[36:37], 0, v[2:3]
	v_not_b32_e32 v3, v3
	v_ashrrev_i32_e32 v3, 31, v3
	v_and_b32_e32 v59, v59, v60
	;; [unrolled: 8-line block ×5, first 2 shown]
	v_xor_b32_e32 v60, s37, v3
	v_xor_b32_e32 v3, s36, v3
	v_and_b32_e32 v59, v59, v60
	v_and_b32_e32 v60, v5, v3
	v_lshlrev_b32_e32 v3, 24, v4
	v_cmp_gt_i64_e64 s[36:37], 0, v[2:3]
	v_not_b32_e32 v3, v3
	v_ashrrev_i32_e32 v3, 31, v3
	v_xor_b32_e32 v4, s37, v3
	v_xor_b32_e32 v3, s36, v3
	; wave barrier
	ds_read_b32 v57, v61 offset:32
	v_and_b32_e32 v5, v59, v4
	v_and_b32_e32 v4, v60, v3
	v_mbcnt_lo_u32_b32 v3, v4, 0
	v_mbcnt_hi_u32_b32 v59, v5, v3
	v_cmp_eq_u32_e64 s[36:37], 0, v59
	v_cmp_ne_u64_e64 s[40:41], 0, v[4:5]
	s_and_b64 s[40:41], s[40:41], s[36:37]
	; wave barrier
	s_and_saveexec_b64 s[36:37], s[40:41]
	s_cbranch_execz .LBB879_59
; %bb.58:
	v_bcnt_u32_b32 v3, v4, 0
	v_bcnt_u32_b32 v3, v5, v3
	s_waitcnt lgkmcnt(0)
	v_add_u32_e32 v3, v57, v3
	ds_write_b32 v61, v3 offset:32
.LBB879_59:
	s_or_b64 exec, exec, s[36:37]
	v_xor_b32_e32 v43, 0x80000000, v43
	v_lshrrev_b32_e32 v3, s56, v43
	v_and_b32_e32 v4, s69, v3
	v_lshl_add_u32 v3, v4, 3, v4
	v_add_lshl_u32 v65, v32, v3, 2
	v_and_b32_e32 v3, 1, v4
	v_add_co_u32_e64 v5, s[36:37], -1, v3
	v_addc_co_u32_e64 v62, s[36:37], 0, -1, s[36:37]
	v_cmp_ne_u32_e64 s[36:37], 0, v3
	v_xor_b32_e32 v3, s37, v62
	v_and_b32_e32 v62, exec_hi, v3
	v_lshlrev_b32_e32 v3, 30, v4
	v_xor_b32_e32 v5, s36, v5
	v_cmp_gt_i64_e64 s[36:37], 0, v[2:3]
	v_not_b32_e32 v3, v3
	v_ashrrev_i32_e32 v3, 31, v3
	v_and_b32_e32 v5, exec_lo, v5
	v_xor_b32_e32 v63, s37, v3
	v_xor_b32_e32 v3, s36, v3
	v_and_b32_e32 v5, v5, v3
	v_lshlrev_b32_e32 v3, 29, v4
	v_cmp_gt_i64_e64 s[36:37], 0, v[2:3]
	v_not_b32_e32 v3, v3
	v_ashrrev_i32_e32 v3, 31, v3
	v_and_b32_e32 v62, v62, v63
	v_xor_b32_e32 v63, s37, v3
	v_xor_b32_e32 v3, s36, v3
	v_and_b32_e32 v5, v5, v3
	v_lshlrev_b32_e32 v3, 28, v4
	v_cmp_gt_i64_e64 s[36:37], 0, v[2:3]
	v_not_b32_e32 v3, v3
	v_ashrrev_i32_e32 v3, 31, v3
	v_and_b32_e32 v62, v62, v63
	v_xor_b32_e32 v63, s37, v3
	v_xor_b32_e32 v3, s36, v3
	v_and_b32_e32 v5, v5, v3
	v_lshlrev_b32_e32 v3, 27, v4
	v_cmp_gt_i64_e64 s[36:37], 0, v[2:3]
	v_not_b32_e32 v3, v3
	v_ashrrev_i32_e32 v3, 31, v3
	v_and_b32_e32 v62, v62, v63
	v_xor_b32_e32 v63, s37, v3
	v_xor_b32_e32 v3, s36, v3
	v_and_b32_e32 v5, v5, v3
	v_lshlrev_b32_e32 v3, 26, v4
	v_cmp_gt_i64_e64 s[36:37], 0, v[2:3]
	v_not_b32_e32 v3, v3
	v_ashrrev_i32_e32 v3, 31, v3
	v_and_b32_e32 v62, v62, v63
	v_xor_b32_e32 v63, s37, v3
	v_xor_b32_e32 v3, s36, v3
	v_and_b32_e32 v5, v5, v3
	v_lshlrev_b32_e32 v3, 25, v4
	v_cmp_gt_i64_e64 s[36:37], 0, v[2:3]
	v_not_b32_e32 v3, v3
	v_ashrrev_i32_e32 v3, 31, v3
	v_and_b32_e32 v62, v62, v63
	v_xor_b32_e32 v63, s37, v3
	v_xor_b32_e32 v3, s36, v3
	v_and_b32_e32 v5, v5, v3
	v_lshlrev_b32_e32 v3, 24, v4
	v_cmp_gt_i64_e64 s[36:37], 0, v[2:3]
	v_not_b32_e32 v2, v3
	v_ashrrev_i32_e32 v2, 31, v2
	v_xor_b32_e32 v3, s37, v2
	v_xor_b32_e32 v2, s36, v2
	; wave barrier
	ds_read_b32 v60, v65 offset:32
	v_and_b32_e32 v62, v62, v63
	v_and_b32_e32 v2, v5, v2
	;; [unrolled: 1-line block ×3, first 2 shown]
	v_mbcnt_lo_u32_b32 v4, v2, 0
	v_mbcnt_hi_u32_b32 v63, v3, v4
	v_cmp_eq_u32_e64 s[36:37], 0, v63
	v_cmp_ne_u64_e64 s[40:41], 0, v[2:3]
	s_and_b64 s[40:41], s[40:41], s[36:37]
	; wave barrier
	s_and_saveexec_b64 s[36:37], s[40:41]
	s_cbranch_execz .LBB879_61
; %bb.60:
	v_bcnt_u32_b32 v2, v2, 0
	v_bcnt_u32_b32 v2, v3, v2
	s_waitcnt lgkmcnt(0)
	v_add_u32_e32 v2, v60, v2
	ds_write_b32 v65, v2 offset:32
.LBB879_61:
	s_or_b64 exec, exec, s[36:37]
	v_xor_b32_e32 v38, 0x80000000, v38
	v_lshrrev_b32_e32 v2, s56, v38
	v_and_b32_e32 v4, s69, v2
	v_and_b32_e32 v3, 1, v4
	v_add_co_u32_e64 v5, s[36:37], -1, v3
	v_addc_co_u32_e64 v62, s[36:37], 0, -1, s[36:37]
	v_cmp_ne_u32_e64 s[36:37], 0, v3
	v_lshl_add_u32 v2, v4, 3, v4
	v_xor_b32_e32 v3, s37, v62
	v_add_lshl_u32 v67, v32, v2, 2
	v_mov_b32_e32 v2, 0
	v_and_b32_e32 v62, exec_hi, v3
	v_lshlrev_b32_e32 v3, 30, v4
	v_xor_b32_e32 v5, s36, v5
	v_cmp_gt_i64_e64 s[36:37], 0, v[2:3]
	v_not_b32_e32 v3, v3
	v_ashrrev_i32_e32 v3, 31, v3
	v_and_b32_e32 v5, exec_lo, v5
	v_xor_b32_e32 v66, s37, v3
	v_xor_b32_e32 v3, s36, v3
	v_and_b32_e32 v5, v5, v3
	v_lshlrev_b32_e32 v3, 29, v4
	v_cmp_gt_i64_e64 s[36:37], 0, v[2:3]
	v_not_b32_e32 v3, v3
	v_ashrrev_i32_e32 v3, 31, v3
	v_and_b32_e32 v62, v62, v66
	v_xor_b32_e32 v66, s37, v3
	v_xor_b32_e32 v3, s36, v3
	v_and_b32_e32 v5, v5, v3
	v_lshlrev_b32_e32 v3, 28, v4
	v_cmp_gt_i64_e64 s[36:37], 0, v[2:3]
	v_not_b32_e32 v3, v3
	v_ashrrev_i32_e32 v3, 31, v3
	v_and_b32_e32 v62, v62, v66
	;; [unrolled: 8-line block ×5, first 2 shown]
	v_xor_b32_e32 v66, s37, v3
	v_xor_b32_e32 v3, s36, v3
	v_and_b32_e32 v62, v62, v66
	v_and_b32_e32 v66, v5, v3
	v_lshlrev_b32_e32 v3, 24, v4
	v_cmp_gt_i64_e64 s[36:37], 0, v[2:3]
	v_not_b32_e32 v3, v3
	v_ashrrev_i32_e32 v3, 31, v3
	v_xor_b32_e32 v4, s37, v3
	v_xor_b32_e32 v3, s36, v3
	; wave barrier
	ds_read_b32 v64, v67 offset:32
	v_and_b32_e32 v5, v62, v4
	v_and_b32_e32 v4, v66, v3
	v_mbcnt_lo_u32_b32 v3, v4, 0
	v_mbcnt_hi_u32_b32 v69, v5, v3
	v_cmp_eq_u32_e64 s[36:37], 0, v69
	v_cmp_ne_u64_e64 s[40:41], 0, v[4:5]
	s_and_b64 s[40:41], s[40:41], s[36:37]
	; wave barrier
	s_and_saveexec_b64 s[36:37], s[40:41]
	s_cbranch_execz .LBB879_63
; %bb.62:
	v_bcnt_u32_b32 v3, v4, 0
	v_bcnt_u32_b32 v3, v5, v3
	s_waitcnt lgkmcnt(0)
	v_add_u32_e32 v3, v64, v3
	ds_write_b32 v67, v3 offset:32
.LBB879_63:
	s_or_b64 exec, exec, s[36:37]
	v_xor_b32_e32 v33, 0x80000000, v33
	v_lshrrev_b32_e32 v3, s56, v33
	v_and_b32_e32 v4, s69, v3
	v_lshl_add_u32 v3, v4, 3, v4
	v_add_lshl_u32 v71, v32, v3, 2
	v_and_b32_e32 v3, 1, v4
	v_add_co_u32_e64 v5, s[36:37], -1, v3
	v_addc_co_u32_e64 v62, s[36:37], 0, -1, s[36:37]
	v_cmp_ne_u32_e64 s[36:37], 0, v3
	v_xor_b32_e32 v3, s37, v62
	v_and_b32_e32 v62, exec_hi, v3
	v_lshlrev_b32_e32 v3, 30, v4
	v_xor_b32_e32 v5, s36, v5
	v_cmp_gt_i64_e64 s[36:37], 0, v[2:3]
	v_not_b32_e32 v3, v3
	v_ashrrev_i32_e32 v3, 31, v3
	v_and_b32_e32 v5, exec_lo, v5
	v_xor_b32_e32 v66, s37, v3
	v_xor_b32_e32 v3, s36, v3
	v_and_b32_e32 v5, v5, v3
	v_lshlrev_b32_e32 v3, 29, v4
	v_cmp_gt_i64_e64 s[36:37], 0, v[2:3]
	v_not_b32_e32 v3, v3
	v_ashrrev_i32_e32 v3, 31, v3
	v_and_b32_e32 v62, v62, v66
	v_xor_b32_e32 v66, s37, v3
	v_xor_b32_e32 v3, s36, v3
	v_and_b32_e32 v5, v5, v3
	v_lshlrev_b32_e32 v3, 28, v4
	v_cmp_gt_i64_e64 s[36:37], 0, v[2:3]
	v_not_b32_e32 v3, v3
	v_ashrrev_i32_e32 v3, 31, v3
	v_and_b32_e32 v62, v62, v66
	v_xor_b32_e32 v66, s37, v3
	v_xor_b32_e32 v3, s36, v3
	v_and_b32_e32 v5, v5, v3
	v_lshlrev_b32_e32 v3, 27, v4
	v_cmp_gt_i64_e64 s[36:37], 0, v[2:3]
	v_not_b32_e32 v3, v3
	v_ashrrev_i32_e32 v3, 31, v3
	v_and_b32_e32 v62, v62, v66
	v_xor_b32_e32 v66, s37, v3
	v_xor_b32_e32 v3, s36, v3
	v_and_b32_e32 v5, v5, v3
	v_lshlrev_b32_e32 v3, 26, v4
	v_cmp_gt_i64_e64 s[36:37], 0, v[2:3]
	v_not_b32_e32 v3, v3
	v_ashrrev_i32_e32 v3, 31, v3
	v_and_b32_e32 v62, v62, v66
	v_xor_b32_e32 v66, s37, v3
	v_xor_b32_e32 v3, s36, v3
	v_and_b32_e32 v5, v5, v3
	v_lshlrev_b32_e32 v3, 25, v4
	v_cmp_gt_i64_e64 s[36:37], 0, v[2:3]
	v_not_b32_e32 v3, v3
	v_ashrrev_i32_e32 v3, 31, v3
	v_and_b32_e32 v62, v62, v66
	v_xor_b32_e32 v66, s37, v3
	v_xor_b32_e32 v3, s36, v3
	v_and_b32_e32 v5, v5, v3
	v_lshlrev_b32_e32 v3, 24, v4
	v_cmp_gt_i64_e64 s[36:37], 0, v[2:3]
	v_not_b32_e32 v2, v3
	v_ashrrev_i32_e32 v2, 31, v2
	v_xor_b32_e32 v3, s37, v2
	v_xor_b32_e32 v2, s36, v2
	; wave barrier
	ds_read_b32 v68, v71 offset:32
	v_and_b32_e32 v62, v62, v66
	v_and_b32_e32 v2, v5, v2
	;; [unrolled: 1-line block ×3, first 2 shown]
	v_mbcnt_lo_u32_b32 v4, v2, 0
	v_mbcnt_hi_u32_b32 v70, v3, v4
	v_cmp_eq_u32_e64 s[36:37], 0, v70
	v_cmp_ne_u64_e64 s[40:41], 0, v[2:3]
	s_and_b64 s[40:41], s[40:41], s[36:37]
	; wave barrier
	s_and_saveexec_b64 s[36:37], s[40:41]
	s_cbranch_execz .LBB879_65
; %bb.64:
	v_bcnt_u32_b32 v2, v2, 0
	v_bcnt_u32_b32 v2, v3, v2
	s_waitcnt lgkmcnt(0)
	v_add_u32_e32 v2, v68, v2
	ds_write_b32 v71, v2 offset:32
.LBB879_65:
	s_or_b64 exec, exec, s[36:37]
	v_xor_b32_e32 v62, 0x80000000, v21
	v_lshrrev_b32_e32 v2, s56, v62
	v_and_b32_e32 v4, s69, v2
	v_and_b32_e32 v3, 1, v4
	v_add_co_u32_e64 v5, s[36:37], -1, v3
	v_addc_co_u32_e64 v66, s[36:37], 0, -1, s[36:37]
	v_cmp_ne_u32_e64 s[36:37], 0, v3
	v_lshl_add_u32 v2, v4, 3, v4
	v_xor_b32_e32 v3, s37, v66
	v_add_lshl_u32 v73, v32, v2, 2
	v_mov_b32_e32 v2, 0
	v_and_b32_e32 v66, exec_hi, v3
	v_lshlrev_b32_e32 v3, 30, v4
	v_xor_b32_e32 v5, s36, v5
	v_cmp_gt_i64_e64 s[36:37], 0, v[2:3]
	v_not_b32_e32 v3, v3
	v_ashrrev_i32_e32 v3, 31, v3
	v_and_b32_e32 v5, exec_lo, v5
	v_xor_b32_e32 v72, s37, v3
	v_xor_b32_e32 v3, s36, v3
	v_and_b32_e32 v5, v5, v3
	v_lshlrev_b32_e32 v3, 29, v4
	v_cmp_gt_i64_e64 s[36:37], 0, v[2:3]
	v_not_b32_e32 v3, v3
	v_ashrrev_i32_e32 v3, 31, v3
	v_and_b32_e32 v66, v66, v72
	v_xor_b32_e32 v72, s37, v3
	v_xor_b32_e32 v3, s36, v3
	v_and_b32_e32 v5, v5, v3
	v_lshlrev_b32_e32 v3, 28, v4
	v_cmp_gt_i64_e64 s[36:37], 0, v[2:3]
	v_not_b32_e32 v3, v3
	v_ashrrev_i32_e32 v3, 31, v3
	v_and_b32_e32 v66, v66, v72
	;; [unrolled: 8-line block ×5, first 2 shown]
	v_xor_b32_e32 v72, s37, v3
	v_xor_b32_e32 v3, s36, v3
	v_and_b32_e32 v66, v66, v72
	v_and_b32_e32 v72, v5, v3
	v_lshlrev_b32_e32 v3, 24, v4
	v_cmp_gt_i64_e64 s[36:37], 0, v[2:3]
	v_not_b32_e32 v3, v3
	v_ashrrev_i32_e32 v3, 31, v3
	v_xor_b32_e32 v4, s37, v3
	v_xor_b32_e32 v3, s36, v3
	; wave barrier
	ds_read_b32 v21, v73 offset:32
	v_and_b32_e32 v5, v66, v4
	v_and_b32_e32 v4, v72, v3
	v_mbcnt_lo_u32_b32 v3, v4, 0
	v_mbcnt_hi_u32_b32 v72, v5, v3
	v_cmp_eq_u32_e64 s[36:37], 0, v72
	v_cmp_ne_u64_e64 s[40:41], 0, v[4:5]
	s_and_b64 s[40:41], s[40:41], s[36:37]
	; wave barrier
	s_and_saveexec_b64 s[36:37], s[40:41]
	s_cbranch_execz .LBB879_67
; %bb.66:
	v_bcnt_u32_b32 v3, v4, 0
	v_bcnt_u32_b32 v3, v5, v3
	s_waitcnt lgkmcnt(0)
	v_add_u32_e32 v3, v21, v3
	ds_write_b32 v73, v3 offset:32
.LBB879_67:
	s_or_b64 exec, exec, s[36:37]
	v_xor_b32_e32 v66, 0x80000000, v15
	v_lshrrev_b32_e32 v3, s56, v66
	v_and_b32_e32 v4, s69, v3
	v_lshl_add_u32 v3, v4, 3, v4
	v_add_lshl_u32 v74, v32, v3, 2
	v_and_b32_e32 v3, 1, v4
	v_add_co_u32_e64 v5, s[36:37], -1, v3
	v_addc_co_u32_e64 v32, s[36:37], 0, -1, s[36:37]
	v_cmp_ne_u32_e64 s[36:37], 0, v3
	v_xor_b32_e32 v3, s37, v32
	v_and_b32_e32 v32, exec_hi, v3
	v_lshlrev_b32_e32 v3, 30, v4
	v_xor_b32_e32 v5, s36, v5
	v_cmp_gt_i64_e64 s[36:37], 0, v[2:3]
	v_not_b32_e32 v3, v3
	v_ashrrev_i32_e32 v3, 31, v3
	v_and_b32_e32 v5, exec_lo, v5
	v_xor_b32_e32 v76, s37, v3
	v_xor_b32_e32 v3, s36, v3
	v_and_b32_e32 v5, v5, v3
	v_lshlrev_b32_e32 v3, 29, v4
	v_cmp_gt_i64_e64 s[36:37], 0, v[2:3]
	v_not_b32_e32 v3, v3
	v_ashrrev_i32_e32 v3, 31, v3
	v_and_b32_e32 v32, v32, v76
	v_xor_b32_e32 v76, s37, v3
	v_xor_b32_e32 v3, s36, v3
	v_and_b32_e32 v5, v5, v3
	v_lshlrev_b32_e32 v3, 28, v4
	v_cmp_gt_i64_e64 s[36:37], 0, v[2:3]
	v_not_b32_e32 v3, v3
	v_ashrrev_i32_e32 v3, 31, v3
	v_and_b32_e32 v32, v32, v76
	;; [unrolled: 8-line block ×5, first 2 shown]
	v_xor_b32_e32 v76, s37, v3
	v_xor_b32_e32 v3, s36, v3
	v_and_b32_e32 v5, v5, v3
	v_lshlrev_b32_e32 v3, 24, v4
	v_cmp_gt_i64_e64 s[36:37], 0, v[2:3]
	v_not_b32_e32 v2, v3
	v_ashrrev_i32_e32 v2, 31, v2
	v_xor_b32_e32 v3, s37, v2
	v_xor_b32_e32 v2, s36, v2
	; wave barrier
	ds_read_b32 v15, v74 offset:32
	v_and_b32_e32 v32, v32, v76
	v_and_b32_e32 v2, v5, v2
	v_and_b32_e32 v3, v32, v3
	v_mbcnt_lo_u32_b32 v4, v2, 0
	v_mbcnt_hi_u32_b32 v32, v3, v4
	v_cmp_eq_u32_e64 s[36:37], 0, v32
	v_cmp_ne_u64_e64 s[40:41], 0, v[2:3]
	v_add_u32_e32 v75, 32, v7
	s_and_b64 s[40:41], s[40:41], s[36:37]
	; wave barrier
	s_and_saveexec_b64 s[36:37], s[40:41]
	s_cbranch_execz .LBB879_69
; %bb.68:
	v_bcnt_u32_b32 v2, v2, 0
	v_bcnt_u32_b32 v2, v3, v2
	s_waitcnt lgkmcnt(0)
	v_add_u32_e32 v2, v15, v2
	ds_write_b32 v74, v2 offset:32
.LBB879_69:
	s_or_b64 exec, exec, s[36:37]
	; wave barrier
	s_waitcnt lgkmcnt(0)
	s_barrier
	ds_read2_b32 v[4:5], v7 offset0:8 offset1:9
	ds_read2_b32 v[2:3], v75 offset0:2 offset1:3
	ds_read_b32 v76, v75 offset:16
	s_waitcnt lgkmcnt(1)
	v_add3_u32 v77, v5, v4, v2
	s_waitcnt lgkmcnt(0)
	v_add3_u32 v76, v77, v3, v76
	v_and_b32_e32 v77, 15, v6
	v_cmp_ne_u32_e64 s[36:37], 0, v77
	v_mov_b32_dpp v78, v76 row_shr:1 row_mask:0xf bank_mask:0xf
	v_cndmask_b32_e64 v78, 0, v78, s[36:37]
	v_add_u32_e32 v76, v78, v76
	v_cmp_lt_u32_e64 s[36:37], 1, v77
	s_nop 0
	v_mov_b32_dpp v78, v76 row_shr:2 row_mask:0xf bank_mask:0xf
	v_cndmask_b32_e64 v78, 0, v78, s[36:37]
	v_add_u32_e32 v76, v76, v78
	v_cmp_lt_u32_e64 s[36:37], 3, v77
	s_nop 0
	;; [unrolled: 5-line block ×3, first 2 shown]
	v_mov_b32_dpp v78, v76 row_shr:8 row_mask:0xf bank_mask:0xf
	v_cndmask_b32_e64 v77, 0, v78, s[36:37]
	v_add_u32_e32 v76, v76, v77
	v_bfe_i32 v78, v6, 4, 1
	v_cmp_lt_u32_e64 s[36:37], 31, v6
	v_mov_b32_dpp v77, v76 row_bcast:15 row_mask:0xf bank_mask:0xf
	v_and_b32_e32 v77, v78, v77
	v_add_u32_e32 v76, v76, v77
	v_and_b32_e32 v78, 0x3c0, v18
	v_min_u32_e32 v78, 0x1c0, v78
	v_mov_b32_dpp v77, v76 row_bcast:31 row_mask:0xf bank_mask:0xf
	v_cndmask_b32_e64 v77, 0, v77, s[36:37]
	v_or_b32_e32 v78, 63, v78
	v_add_u32_e32 v76, v76, v77
	v_lshrrev_b32_e32 v77, 6, v18
	v_cmp_eq_u32_e64 s[36:37], v78, v18
	s_and_saveexec_b64 s[40:41], s[36:37]
	s_cbranch_execz .LBB879_71
; %bb.70:
	v_lshlrev_b32_e32 v78, 2, v77
	ds_write_b32 v78, v76
.LBB879_71:
	s_or_b64 exec, exec, s[40:41]
	v_cmp_gt_u32_e64 s[36:37], 8, v18
	s_waitcnt lgkmcnt(0)
	s_barrier
	s_and_saveexec_b64 s[60:61], s[36:37]
	s_cbranch_execz .LBB879_73
; %bb.72:
	v_lshlrev_b32_e32 v78, 2, v18
	ds_read_b32 v79, v78
	v_and_b32_e32 v80, 7, v6
	v_cmp_ne_u32_e64 s[36:37], 0, v80
	v_cmp_lt_u32_e64 s[40:41], 1, v80
	s_waitcnt lgkmcnt(0)
	v_mov_b32_dpp v81, v79 row_shr:1 row_mask:0xf bank_mask:0xf
	v_cndmask_b32_e64 v81, 0, v81, s[36:37]
	v_add_u32_e32 v79, v81, v79
	v_cmp_lt_u32_e64 s[36:37], 3, v80
	s_nop 0
	v_mov_b32_dpp v81, v79 row_shr:2 row_mask:0xf bank_mask:0xf
	v_cndmask_b32_e64 v81, 0, v81, s[40:41]
	v_add_u32_e32 v79, v79, v81
	s_nop 1
	v_mov_b32_dpp v81, v79 row_shr:4 row_mask:0xf bank_mask:0xf
	v_cndmask_b32_e64 v80, 0, v81, s[36:37]
	v_add_u32_e32 v79, v79, v80
	ds_write_b32 v78, v79
.LBB879_73:
	s_or_b64 exec, exec, s[60:61]
	v_cmp_lt_u32_e64 s[36:37], 63, v18
	v_mov_b32_e32 v78, 0
	s_waitcnt lgkmcnt(0)
	s_barrier
	s_and_saveexec_b64 s[40:41], s[36:37]
	s_cbranch_execz .LBB879_75
; %bb.74:
	v_lshl_add_u32 v77, v77, 2, -4
	ds_read_b32 v78, v77
.LBB879_75:
	s_or_b64 exec, exec, s[40:41]
	v_add_u32_e32 v77, -1, v6
	v_and_b32_e32 v79, 64, v6
	v_cmp_lt_i32_e64 s[36:37], v77, v79
	v_cndmask_b32_e64 v77, v77, v6, s[36:37]
	s_waitcnt lgkmcnt(0)
	v_add_u32_e32 v76, v78, v76
	v_lshlrev_b32_e32 v77, 2, v77
	ds_bpermute_b32 v76, v77, v76
	v_cmp_eq_u32_e64 s[36:37], 0, v6
	s_waitcnt lgkmcnt(0)
	v_cndmask_b32_e64 v6, v76, v78, s[36:37]
	v_cndmask_b32_e64 v6, v6, 0, s[0:1]
	v_add_u32_e32 v4, v6, v4
	v_add_u32_e32 v5, v4, v5
	;; [unrolled: 1-line block ×4, first 2 shown]
	ds_write2_b32 v7, v6, v4 offset0:8 offset1:9
	ds_write2_b32 v75, v5, v2 offset0:2 offset1:3
	ds_write_b32 v75, v3 offset:16
	s_waitcnt lgkmcnt(0)
	s_barrier
	ds_read_b32 v78, v12 offset:32
	ds_read_b32 v12, v13 offset:32
	;; [unrolled: 1-line block ×16, first 2 shown]
	s_movk_i32 s36, 0x100
	v_cmp_gt_u32_e64 s[36:37], s36, v18
                                        ; implicit-def: $vgpr55
                                        ; implicit-def: $vgpr58
	s_and_saveexec_b64 s[60:61], s[36:37]
	s_cbranch_execz .LBB879_79
; %bb.76:
	v_mul_u32_u24_e32 v2, 9, v18
	v_lshlrev_b32_e32 v3, 2, v2
	ds_read_b32 v55, v3 offset:32
	s_movk_i32 s40, 0xff
	v_cmp_ne_u32_e64 s[40:41], s40, v18
	v_mov_b32_e32 v2, 0x2000
	s_and_saveexec_b64 s[62:63], s[40:41]
	s_cbranch_execz .LBB879_78
; %bb.77:
	ds_read_b32 v2, v3 offset:68
.LBB879_78:
	s_or_b64 exec, exec, s[62:63]
	s_waitcnt lgkmcnt(0)
	v_sub_u32_e32 v58, v2, v55
.LBB879_79:
	s_or_b64 exec, exec, s[60:61]
	s_waitcnt lgkmcnt(0)
	s_barrier
	s_and_saveexec_b64 s[60:61], s[36:37]
	s_cbranch_execz .LBB879_89
; %bb.80:
	v_lshl_or_b32 v2, s33, 8, v18
	v_mov_b32_e32 v3, 0
	v_lshlrev_b64 v[4:5], 2, v[2:3]
	v_mov_b32_e32 v35, s43
	v_add_co_u32_e64 v4, s[40:41], s42, v4
	v_addc_co_u32_e64 v5, s[40:41], v35, v5, s[40:41]
	v_or_b32_e32 v2, 2.0, v58
	s_mov_b64 s[62:63], 0
	s_brev_b32 s70, 1
	s_mov_b32 s71, s33
	v_mov_b32_e32 v40, 0
	global_store_dword v[4:5], v2, off
                                        ; implicit-def: $sgpr40_sgpr41
	s_branch .LBB879_82
.LBB879_81:                             ;   in Loop: Header=BB879_82 Depth=1
	s_or_b64 exec, exec, s[64:65]
	v_and_b32_e32 v6, 0x3fffffff, v61
	v_add_u32_e32 v40, v6, v40
	v_cmp_eq_u32_e64 s[40:41], s70, v2
	s_and_b64 s[64:65], exec, s[40:41]
	s_or_b64 s[62:63], s[64:65], s[62:63]
	s_andn2_b64 exec, exec, s[62:63]
	s_cbranch_execz .LBB879_88
.LBB879_82:                             ; =>This Loop Header: Depth=1
                                        ;     Child Loop BB879_85 Depth 2
	s_or_b64 s[40:41], s[40:41], exec
	s_cmp_eq_u32 s71, 0
	s_cbranch_scc1 .LBB879_87
; %bb.83:                               ;   in Loop: Header=BB879_82 Depth=1
	s_add_i32 s71, s71, -1
	v_lshl_or_b32 v2, s71, 8, v18
	v_lshlrev_b64 v[6:7], 2, v[2:3]
	v_add_co_u32_e64 v6, s[40:41], s42, v6
	v_addc_co_u32_e64 v7, s[40:41], v35, v7, s[40:41]
	global_load_dword v61, v[6:7], off glc
	s_waitcnt vmcnt(0)
	v_and_b32_e32 v2, -2.0, v61
	v_cmp_eq_u32_e64 s[40:41], 0, v2
	s_and_saveexec_b64 s[64:65], s[40:41]
	s_cbranch_execz .LBB879_81
; %bb.84:                               ;   in Loop: Header=BB879_82 Depth=1
	s_mov_b64 s[66:67], 0
.LBB879_85:                             ;   Parent Loop BB879_82 Depth=1
                                        ; =>  This Inner Loop Header: Depth=2
	global_load_dword v61, v[6:7], off glc
	s_waitcnt vmcnt(0)
	v_and_b32_e32 v2, -2.0, v61
	v_cmp_ne_u32_e64 s[40:41], 0, v2
	s_or_b64 s[66:67], s[40:41], s[66:67]
	s_andn2_b64 exec, exec, s[66:67]
	s_cbranch_execnz .LBB879_85
; %bb.86:                               ;   in Loop: Header=BB879_82 Depth=1
	s_or_b64 exec, exec, s[66:67]
	s_branch .LBB879_81
.LBB879_87:                             ;   in Loop: Header=BB879_82 Depth=1
                                        ; implicit-def: $sgpr71
	s_and_b64 s[64:65], exec, s[40:41]
	s_or_b64 s[62:63], s[64:65], s[62:63]
	s_andn2_b64 exec, exec, s[62:63]
	s_cbranch_execnz .LBB879_82
.LBB879_88:
	s_or_b64 exec, exec, s[62:63]
	v_add_u32_e32 v2, v40, v58
	v_or_b32_e32 v2, 0x80000000, v2
	global_store_dword v[4:5], v2, off
	v_lshlrev_b32_e32 v2, 2, v18
	global_load_dword v3, v2, s[52:53]
	v_sub_u32_e32 v4, v40, v55
	s_waitcnt vmcnt(0)
	v_add_u32_e32 v3, v4, v3
	ds_write_b32 v2, v3
.LBB879_89:
	s_or_b64 exec, exec, s[60:61]
	v_lshlrev_b32_e32 v35, 2, v18
	v_add_u32_e32 v61, v78, v8
	s_movk_i32 s62, 0x400
	v_add_u32_e32 v40, 0x400, v35
	v_add3_u32 v65, v32, v65, v15
	v_add3_u32 v67, v72, v67, v21
	;; [unrolled: 1-line block ×15, first 2 shown]
	s_mov_b32 s63, 0
	v_mov_b32_e32 v21, 0
	s_movk_i32 s64, 0x200
	s_movk_i32 s65, 0x600
	v_mov_b32_e32 v31, v18
	s_mov_b32 s66, 0
                                        ; implicit-def: $vgpr2_vgpr3_vgpr4_vgpr5_vgpr6_vgpr7_vgpr8_vgpr9_vgpr10_vgpr11_vgpr12_vgpr13_vgpr14_vgpr15_vgpr16_vgpr17
	s_branch .LBB879_91
.LBB879_90:                             ;   in Loop: Header=BB879_91 Depth=1
	s_or_b64 exec, exec, s[60:61]
	s_addk_i32 s66, 0xf800
	s_add_i32 s63, s63, 4
	s_cmpk_eq_i32 s66, 0xe000
	v_add_u32_e32 v31, 0x800, v31
	s_barrier
	s_cbranch_scc1 .LBB879_100
.LBB879_91:                             ; =>This Inner Loop Header: Depth=1
	v_add_u32_e32 v20, s66, v61
	v_min_u32_e32 v20, 0x800, v20
	v_lshlrev_b32_e32 v20, 2, v20
	ds_write_b32 v20, v24 offset:1024
	v_add_u32_e32 v20, s66, v73
	v_min_u32_e32 v20, 0x800, v20
	v_lshlrev_b32_e32 v20, 2, v20
	ds_write_b32 v20, v25 offset:1024
	;; [unrolled: 4-line block ×15, first 2 shown]
	v_add_u32_e32 v20, s66, v65
	v_min_u32_e32 v20, 0x800, v20
	v_lshlrev_b32_e32 v20, 2, v20
	v_cmp_gt_u32_e64 s[40:41], s7, v31
	ds_write_b32 v20, v66 offset:1024
	s_waitcnt lgkmcnt(0)
	s_barrier
	s_and_saveexec_b64 s[60:61], s[40:41]
	s_cbranch_execz .LBB879_93
; %bb.92:                               ;   in Loop: Header=BB879_91 Depth=1
	ds_read_b32 v20, v35 offset:1024
	v_mov_b32_e32 v41, s47
	s_waitcnt lgkmcnt(0)
	v_lshrrev_b32_e32 v32, s56, v20
	v_and_b32_e32 v32, s69, v32
	v_lshlrev_b32_e32 v36, 2, v32
	ds_read_b32 v36, v36
	v_xor_b32_e32 v42, 0x80000000, v20
	s_waitcnt lgkmcnt(0)
	v_add_u32_e32 v20, v31, v36
	v_lshlrev_b64 v[36:37], 2, v[20:21]
	v_add_co_u32_e64 v36, s[40:41], s46, v36
	v_addc_co_u32_e64 v37, s[40:41], v41, v37, s[40:41]
	global_store_dword v[36:37], v42, off
	s_set_gpr_idx_on s63, gpr_idx(DST)
	v_mov_b32_e32 v2, v32
	s_set_gpr_idx_off
.LBB879_93:                             ;   in Loop: Header=BB879_91 Depth=1
	s_or_b64 exec, exec, s[60:61]
	v_add_u32_e32 v20, 0x200, v31
	v_cmp_gt_u32_e64 s[40:41], s7, v20
	s_and_saveexec_b64 s[60:61], s[40:41]
	s_cbranch_execz .LBB879_95
; %bb.94:                               ;   in Loop: Header=BB879_91 Depth=1
	ds_read_b32 v20, v40 offset:2048
	v_mov_b32_e32 v41, s47
	s_add_i32 s67, s63, 1
	s_waitcnt lgkmcnt(0)
	v_lshrrev_b32_e32 v32, s56, v20
	v_and_b32_e32 v32, s69, v32
	v_lshlrev_b32_e32 v36, 2, v32
	ds_read_b32 v36, v36
	v_xor_b32_e32 v42, 0x80000000, v20
	s_waitcnt lgkmcnt(0)
	v_add3_u32 v20, v31, v36, s64
	v_lshlrev_b64 v[36:37], 2, v[20:21]
	v_add_co_u32_e64 v36, s[40:41], s46, v36
	v_addc_co_u32_e64 v37, s[40:41], v41, v37, s[40:41]
	global_store_dword v[36:37], v42, off
	s_set_gpr_idx_on s67, gpr_idx(DST)
	v_mov_b32_e32 v2, v32
	s_set_gpr_idx_off
.LBB879_95:                             ;   in Loop: Header=BB879_91 Depth=1
	s_or_b64 exec, exec, s[60:61]
	v_add_u32_e32 v20, 0x400, v31
	v_cmp_gt_u32_e64 s[40:41], s7, v20
	s_and_saveexec_b64 s[60:61], s[40:41]
	s_cbranch_execz .LBB879_97
; %bb.96:                               ;   in Loop: Header=BB879_91 Depth=1
	ds_read_b32 v20, v40 offset:4096
	v_mov_b32_e32 v41, s47
	s_add_i32 s67, s63, 2
	s_waitcnt lgkmcnt(0)
	v_lshrrev_b32_e32 v32, s56, v20
	v_and_b32_e32 v32, s69, v32
	v_lshlrev_b32_e32 v36, 2, v32
	ds_read_b32 v36, v36
	v_xor_b32_e32 v42, 0x80000000, v20
	s_waitcnt lgkmcnt(0)
	v_add3_u32 v20, v31, v36, s62
	v_lshlrev_b64 v[36:37], 2, v[20:21]
	v_add_co_u32_e64 v36, s[40:41], s46, v36
	v_addc_co_u32_e64 v37, s[40:41], v41, v37, s[40:41]
	global_store_dword v[36:37], v42, off
	s_set_gpr_idx_on s67, gpr_idx(DST)
	v_mov_b32_e32 v2, v32
	s_set_gpr_idx_off
.LBB879_97:                             ;   in Loop: Header=BB879_91 Depth=1
	s_or_b64 exec, exec, s[60:61]
	v_add_u32_e32 v20, 0x600, v31
	v_cmp_gt_u32_e64 s[40:41], s7, v20
	s_and_saveexec_b64 s[60:61], s[40:41]
	s_cbranch_execz .LBB879_90
; %bb.98:                               ;   in Loop: Header=BB879_91 Depth=1
	ds_read_b32 v20, v40 offset:6144
	v_mov_b32_e32 v41, s47
	s_add_i32 s67, s63, 3
	s_waitcnt lgkmcnt(0)
	v_lshrrev_b32_e32 v32, s56, v20
	v_and_b32_e32 v32, s69, v32
	v_lshlrev_b32_e32 v36, 2, v32
	ds_read_b32 v36, v36
	v_xor_b32_e32 v42, 0x80000000, v20
	s_waitcnt lgkmcnt(0)
	v_add3_u32 v20, v31, v36, s65
	v_lshlrev_b64 v[36:37], 2, v[20:21]
	v_add_co_u32_e64 v36, s[40:41], s46, v36
	v_addc_co_u32_e64 v37, s[40:41], v41, v37, s[40:41]
	global_store_dword v[36:37], v42, off
	s_set_gpr_idx_on s67, gpr_idx(DST)
	v_mov_b32_e32 v2, v32
	s_set_gpr_idx_off
	s_branch .LBB879_90
.LBB879_99:
	s_mov_b64 s[8:9], 0
                                        ; implicit-def: $vgpr2
	s_cbranch_execnz .LBB879_126
	s_branch .LBB879_185
.LBB879_100:
	s_lshl_b64 s[40:41], s[58:59], 3
	s_add_u32 s40, s48, s40
	s_addc_u32 s41, s49, s41
	v_lshlrev_b32_e32 v20, 3, v23
	v_mov_b32_e32 v21, s41
	v_add_co_u32_e64 v20, s[40:41], s40, v20
	v_addc_co_u32_e64 v21, s[40:41], 0, v21, s[40:41]
	v_lshlrev_b32_e32 v22, 3, v22
	v_add_co_u32_e64 v42, s[40:41], v20, v22
	v_addc_co_u32_e64 v43, s[40:41], 0, v21, s[40:41]
                                        ; implicit-def: $vgpr20_vgpr21
	s_and_saveexec_b64 s[40:41], vcc
	s_cbranch_execnz .LBB879_188
; %bb.101:
	s_or_b64 exec, exec, s[40:41]
                                        ; implicit-def: $vgpr22_vgpr23
	s_and_saveexec_b64 s[40:41], s[8:9]
	s_cbranch_execnz .LBB879_189
.LBB879_102:
	s_or_b64 exec, exec, s[40:41]
                                        ; implicit-def: $vgpr24_vgpr25
	s_and_saveexec_b64 s[8:9], s[12:13]
	s_cbranch_execnz .LBB879_190
.LBB879_103:
	s_or_b64 exec, exec, s[8:9]
                                        ; implicit-def: $vgpr26_vgpr27
	s_and_saveexec_b64 s[8:9], s[16:17]
	s_cbranch_execnz .LBB879_191
.LBB879_104:
	s_or_b64 exec, exec, s[8:9]
                                        ; implicit-def: $vgpr28_vgpr29
	s_and_saveexec_b64 s[8:9], s[18:19]
	s_cbranch_execnz .LBB879_192
.LBB879_105:
	s_or_b64 exec, exec, s[8:9]
                                        ; implicit-def: $vgpr30_vgpr31
	s_and_saveexec_b64 s[8:9], s[22:23]
	s_cbranch_execnz .LBB879_193
.LBB879_106:
	s_or_b64 exec, exec, s[8:9]
                                        ; implicit-def: $vgpr32_vgpr33
	s_and_saveexec_b64 s[8:9], s[26:27]
	s_cbranch_execnz .LBB879_194
.LBB879_107:
	s_or_b64 exec, exec, s[8:9]
                                        ; implicit-def: $vgpr34_vgpr35
	s_and_saveexec_b64 s[8:9], s[30:31]
	s_cbranch_execnz .LBB879_195
.LBB879_108:
	s_or_b64 exec, exec, s[8:9]
                                        ; implicit-def: $vgpr36_vgpr37
	s_and_saveexec_b64 s[8:9], s[34:35]
	s_cbranch_execnz .LBB879_196
.LBB879_109:
	s_or_b64 exec, exec, s[8:9]
                                        ; implicit-def: $vgpr38_vgpr39
	s_and_saveexec_b64 s[8:9], s[28:29]
	s_cbranch_execnz .LBB879_197
.LBB879_110:
	s_or_b64 exec, exec, s[8:9]
                                        ; implicit-def: $vgpr40_vgpr41
	s_and_saveexec_b64 s[8:9], s[24:25]
	s_cbranch_execnz .LBB879_198
.LBB879_111:
	s_or_b64 exec, exec, s[8:9]
                                        ; implicit-def: $vgpr44_vgpr45
	s_and_saveexec_b64 s[8:9], s[20:21]
	s_cbranch_execnz .LBB879_199
.LBB879_112:
	s_or_b64 exec, exec, s[8:9]
                                        ; implicit-def: $vgpr46_vgpr47
	s_and_saveexec_b64 s[8:9], s[14:15]
	s_cbranch_execnz .LBB879_200
.LBB879_113:
	s_or_b64 exec, exec, s[8:9]
                                        ; implicit-def: $vgpr48_vgpr49
	s_and_saveexec_b64 s[8:9], s[10:11]
	s_cbranch_execnz .LBB879_201
.LBB879_114:
	s_or_b64 exec, exec, s[8:9]
                                        ; implicit-def: $vgpr50_vgpr51
	s_and_saveexec_b64 s[8:9], s[38:39]
	s_cbranch_execnz .LBB879_202
.LBB879_115:
	s_or_b64 exec, exec, s[8:9]
                                        ; implicit-def: $vgpr52_vgpr53
	s_and_saveexec_b64 s[8:9], s[2:3]
	s_cbranch_execz .LBB879_117
.LBB879_116:
	v_add_co_u32_e32 v42, vcc, 0x1000, v42
	v_addc_co_u32_e32 v43, vcc, 0, v43, vcc
	global_load_dwordx2 v[52:53], v[42:43], off offset:3584
.LBB879_117:
	s_or_b64 exec, exec, s[8:9]
	v_lshlrev_b32_e32 v62, 3, v18
	v_add_u32_e32 v66, 0x400, v62
	s_mov_b32 s8, 0
	v_mov_b32_e32 v43, 0
	s_movk_i32 s9, 0x200
	s_mov_b32 s10, 0
	v_mov_b32_e32 v74, v18
	s_waitcnt vmcnt(0)
	s_branch .LBB879_119
.LBB879_118:                            ;   in Loop: Header=BB879_119 Depth=1
	s_or_b64 exec, exec, s[2:3]
	s_addk_i32 s10, 0xfc00
	s_add_i32 s8, s8, 2
	s_cmpk_eq_i32 s10, 0xe000
	v_add_u32_e32 v74, 0x400, v74
	s_barrier
	s_cbranch_scc1 .LBB879_123
.LBB879_119:                            ; =>This Inner Loop Header: Depth=1
	v_add_u32_e32 v42, s10, v61
	v_min_u32_e32 v42, 0x400, v42
	v_lshlrev_b32_e32 v42, 3, v42
	ds_write_b64 v42, v[20:21] offset:1024
	v_add_u32_e32 v42, s10, v73
	v_min_u32_e32 v42, 0x400, v42
	v_lshlrev_b32_e32 v42, 3, v42
	ds_write_b64 v42, v[22:23] offset:1024
	;; [unrolled: 4-line block ×15, first 2 shown]
	v_add_u32_e32 v42, s10, v65
	v_min_u32_e32 v42, 0x400, v42
	v_lshlrev_b32_e32 v42, 3, v42
	v_cmp_gt_u32_e32 vcc, s7, v74
	ds_write_b64 v42, v[52:53] offset:1024
	s_waitcnt lgkmcnt(0)
	s_barrier
	s_and_saveexec_b64 s[2:3], vcc
	s_cbranch_execz .LBB879_121
; %bb.120:                              ;   in Loop: Header=BB879_119 Depth=1
	ds_read_b64 v[76:77], v62 offset:1024
	s_set_gpr_idx_on s8, gpr_idx(SRC0)
	v_mov_b32_e32 v42, v2
	s_set_gpr_idx_off
	v_lshlrev_b32_e32 v42, 2, v42
	ds_read_b32 v42, v42
	v_mov_b32_e32 v75, s51
	s_waitcnt lgkmcnt(0)
	v_add_u32_e32 v42, v74, v42
	v_lshlrev_b64 v[78:79], 3, v[42:43]
	v_add_co_u32_e32 v78, vcc, s50, v78
	v_addc_co_u32_e32 v79, vcc, v75, v79, vcc
	global_store_dwordx2 v[78:79], v[76:77], off
.LBB879_121:                            ;   in Loop: Header=BB879_119 Depth=1
	s_or_b64 exec, exec, s[2:3]
	v_add_u32_e32 v42, 0x200, v74
	v_cmp_gt_u32_e32 vcc, s7, v42
	s_and_saveexec_b64 s[2:3], vcc
	s_cbranch_execz .LBB879_118
; %bb.122:                              ;   in Loop: Header=BB879_119 Depth=1
	s_add_i32 s11, s8, 1
	ds_read_b64 v[76:77], v66 offset:4096
	s_set_gpr_idx_on s11, gpr_idx(SRC0)
	v_mov_b32_e32 v42, v2
	s_set_gpr_idx_off
	v_lshlrev_b32_e32 v42, 2, v42
	ds_read_b32 v42, v42
	v_mov_b32_e32 v75, s51
	s_waitcnt lgkmcnt(0)
	v_add3_u32 v42, v74, v42, s9
	v_lshlrev_b64 v[78:79], 3, v[42:43]
	v_add_co_u32_e32 v78, vcc, s50, v78
	v_addc_co_u32_e32 v79, vcc, v75, v79, vcc
	global_store_dwordx2 v[78:79], v[76:77], off
	s_branch .LBB879_118
.LBB879_123:
	s_add_i32 s68, s68, -1
	s_cmp_eq_u32 s68, s33
	s_cselect_b64 s[2:3], -1, 0
	s_and_b64 s[10:11], s[36:37], s[2:3]
	s_mov_b64 s[2:3], 0
	s_mov_b64 s[8:9], 0
                                        ; implicit-def: $vgpr2
	s_and_saveexec_b64 s[12:13], s[10:11]
	s_xor_b64 s[10:11], exec, s[12:13]
; %bb.124:
	s_mov_b64 s[8:9], exec
	v_add_u32_e32 v2, v55, v58
; %bb.125:
	s_or_b64 exec, exec, s[10:11]
	s_and_b64 vcc, exec, s[2:3]
	s_cbranch_vccz .LBB879_185
.LBB879_126:
	s_lshl_b32 s10, s33, 13
	s_mov_b32 s11, 0
	v_mbcnt_hi_u32_b32 v4, -1, v19
	s_lshl_b64 s[2:3], s[10:11], 2
	v_and_b32_e32 v20, 63, v4
	s_add_u32 s2, s44, s2
	v_and_b32_e32 v19, 0x3c00, v1
	v_lshlrev_b32_e32 v1, 2, v20
	v_add_co_u32_e32 v1, vcc, s2, v1
	s_load_dword s14, s[4:5], 0x58
	s_load_dword s2, s[4:5], 0x64
	s_addc_u32 s3, s45, s3
	v_mov_b32_e32 v3, s3
	v_addc_co_u32_e32 v3, vcc, 0, v3, vcc
	v_lshlrev_b32_e32 v5, 2, v19
	s_add_u32 s3, s4, 0x58
	v_add_co_u32_e32 v8, vcc, v1, v5
	s_addc_u32 s4, s5, 0
	s_waitcnt lgkmcnt(0)
	s_lshr_b32 s5, s2, 16
	v_addc_co_u32_e32 v9, vcc, 0, v3, vcc
	s_cmp_lt_u32 s6, s14
	global_load_dword v1, v[8:9], off
	s_cselect_b32 s2, 12, 18
	s_add_u32 s2, s3, s2
	v_mov_b32_e32 v2, 0
	s_addc_u32 s3, s4, 0
	global_load_ushort v3, v2, s[2:3]
	v_mul_u32_u24_e32 v5, 5, v18
	v_lshlrev_b32_e32 v5, 2, v5
	ds_write2_b32 v5, v2, v2 offset0:8 offset1:9
	ds_write2_b32 v5, v2, v2 offset0:10 offset1:11
	ds_write_b32 v5, v2 offset:48
	global_load_dword v7, v[8:9], off offset:256
	global_load_dword v10, v[8:9], off offset:512
	global_load_dword v13, v[8:9], off offset:768
	global_load_dword v25, v[8:9], off offset:1024
	global_load_dword v26, v[8:9], off offset:1280
	global_load_dword v27, v[8:9], off offset:1536
	global_load_dword v28, v[8:9], off offset:1792
	global_load_dword v32, v[8:9], off offset:2048
	global_load_dword v37, v[8:9], off offset:2304
	global_load_dword v42, v[8:9], off offset:2560
	global_load_dword v45, v[8:9], off offset:2816
	global_load_dword v40, v[8:9], off offset:3072
	global_load_dword v35, v[8:9], off offset:3328
	global_load_dword v30, v[8:9], off offset:3584
	global_load_dword v14, v[8:9], off offset:3840
	s_lshl_b32 s2, -1, s57
	v_bfe_u32 v6, v0, 10, 10
	v_bfe_u32 v0, v0, 20, 10
	s_not_b32 s15, s2
	v_mad_u32_u24 v0, v0, s5, v6
	s_waitcnt lgkmcnt(0)
	s_barrier
	s_waitcnt lgkmcnt(0)
	; wave barrier
	s_waitcnt vmcnt(16)
	v_xor_b32_e32 v21, 0x80000000, v1
	v_lshrrev_b32_e32 v1, s56, v21
	v_and_b32_e32 v6, s15, v1
	v_and_b32_e32 v8, 1, v6
	s_waitcnt vmcnt(15)
	v_mad_u64_u32 v[0:1], s[2:3], v0, v3, v[18:19]
	v_lshrrev_b32_e32 v15, 6, v0
	v_add_co_u32_e32 v0, vcc, -1, v8
	v_lshlrev_b32_e32 v3, 30, v6
	v_addc_co_u32_e64 v11, s[2:3], 0, -1, vcc
	v_lshl_add_u32 v1, v6, 3, v6
	v_cmp_ne_u32_e32 vcc, 0, v8
	v_cmp_gt_i64_e64 s[2:3], 0, v[2:3]
	v_not_b32_e32 v8, v3
	v_lshlrev_b32_e32 v3, 29, v6
	v_add_lshl_u32 v9, v15, v1, 2
	v_xor_b32_e32 v1, vcc_hi, v11
	v_xor_b32_e32 v0, vcc_lo, v0
	v_ashrrev_i32_e32 v8, 31, v8
	v_cmp_gt_i64_e32 vcc, 0, v[2:3]
	v_not_b32_e32 v11, v3
	v_lshlrev_b32_e32 v3, 28, v6
	v_and_b32_e32 v1, exec_hi, v1
	v_and_b32_e32 v0, exec_lo, v0
	v_xor_b32_e32 v12, s3, v8
	v_xor_b32_e32 v8, s2, v8
	v_ashrrev_i32_e32 v11, 31, v11
	v_cmp_gt_i64_e64 s[2:3], 0, v[2:3]
	v_not_b32_e32 v3, v3
	v_and_b32_e32 v1, v1, v12
	v_and_b32_e32 v0, v0, v8
	v_xor_b32_e32 v8, vcc_hi, v11
	v_xor_b32_e32 v11, vcc_lo, v11
	v_ashrrev_i32_e32 v3, 31, v3
	v_and_b32_e32 v1, v1, v8
	v_and_b32_e32 v0, v0, v11
	v_xor_b32_e32 v8, s3, v3
	v_xor_b32_e32 v3, s2, v3
	v_and_b32_e32 v0, v0, v3
	v_lshlrev_b32_e32 v3, 27, v6
	v_cmp_gt_i64_e32 vcc, 0, v[2:3]
	v_not_b32_e32 v3, v3
	v_ashrrev_i32_e32 v3, 31, v3
	v_and_b32_e32 v1, v1, v8
	v_xor_b32_e32 v8, vcc_hi, v3
	v_xor_b32_e32 v3, vcc_lo, v3
	v_and_b32_e32 v0, v0, v3
	v_lshlrev_b32_e32 v3, 26, v6
	v_cmp_gt_i64_e32 vcc, 0, v[2:3]
	v_not_b32_e32 v3, v3
	v_ashrrev_i32_e32 v3, 31, v3
	v_and_b32_e32 v1, v1, v8
	v_xor_b32_e32 v8, vcc_hi, v3
	v_xor_b32_e32 v3, vcc_lo, v3
	v_and_b32_e32 v0, v0, v3
	v_lshlrev_b32_e32 v3, 25, v6
	v_cmp_gt_i64_e32 vcc, 0, v[2:3]
	v_not_b32_e32 v3, v3
	v_ashrrev_i32_e32 v3, 31, v3
	v_and_b32_e32 v1, v1, v8
	v_xor_b32_e32 v8, vcc_hi, v3
	v_xor_b32_e32 v3, vcc_lo, v3
	v_and_b32_e32 v0, v0, v3
	v_lshlrev_b32_e32 v3, 24, v6
	v_cmp_gt_i64_e32 vcc, 0, v[2:3]
	v_not_b32_e32 v3, v3
	v_ashrrev_i32_e32 v3, 31, v3
	v_xor_b32_e32 v6, vcc_hi, v3
	v_xor_b32_e32 v3, vcc_lo, v3
	v_and_b32_e32 v1, v1, v8
	v_and_b32_e32 v0, v0, v3
	;; [unrolled: 1-line block ×3, first 2 shown]
	v_mbcnt_lo_u32_b32 v3, v0, 0
	v_mbcnt_hi_u32_b32 v6, v1, v3
	v_cmp_eq_u32_e32 vcc, 0, v6
	v_cmp_ne_u64_e64 s[2:3], 0, v[0:1]
	s_and_b64 s[4:5], s[2:3], vcc
	s_and_saveexec_b64 s[2:3], s[4:5]
	s_cbranch_execz .LBB879_128
; %bb.127:
	v_bcnt_u32_b32 v0, v0, 0
	v_bcnt_u32_b32 v0, v1, v0
	ds_write_b32 v9, v0 offset:32
.LBB879_128:
	s_or_b64 exec, exec, s[2:3]
	s_waitcnt vmcnt(14)
	v_xor_b32_e32 v22, 0x80000000, v7
	v_lshrrev_b32_e32 v0, s56, v22
	v_and_b32_e32 v0, s15, v0
	v_lshl_add_u32 v1, v0, 3, v0
	v_add_lshl_u32 v11, v15, v1, 2
	v_and_b32_e32 v1, 1, v0
	v_add_co_u32_e32 v3, vcc, -1, v1
	v_addc_co_u32_e64 v8, s[2:3], 0, -1, vcc
	v_cmp_ne_u32_e32 vcc, 0, v1
	v_xor_b32_e32 v3, vcc_lo, v3
	v_xor_b32_e32 v1, vcc_hi, v8
	v_and_b32_e32 v8, exec_lo, v3
	v_lshlrev_b32_e32 v3, 30, v0
	v_cmp_gt_i64_e32 vcc, 0, v[2:3]
	v_not_b32_e32 v3, v3
	v_ashrrev_i32_e32 v3, 31, v3
	v_xor_b32_e32 v12, vcc_hi, v3
	v_xor_b32_e32 v3, vcc_lo, v3
	v_and_b32_e32 v8, v8, v3
	v_lshlrev_b32_e32 v3, 29, v0
	v_cmp_gt_i64_e32 vcc, 0, v[2:3]
	v_not_b32_e32 v3, v3
	v_and_b32_e32 v1, exec_hi, v1
	v_ashrrev_i32_e32 v3, 31, v3
	v_and_b32_e32 v1, v1, v12
	v_xor_b32_e32 v12, vcc_hi, v3
	v_xor_b32_e32 v3, vcc_lo, v3
	v_and_b32_e32 v8, v8, v3
	v_lshlrev_b32_e32 v3, 28, v0
	v_cmp_gt_i64_e32 vcc, 0, v[2:3]
	v_not_b32_e32 v3, v3
	v_ashrrev_i32_e32 v3, 31, v3
	v_and_b32_e32 v1, v1, v12
	v_xor_b32_e32 v12, vcc_hi, v3
	v_xor_b32_e32 v3, vcc_lo, v3
	v_and_b32_e32 v8, v8, v3
	v_lshlrev_b32_e32 v3, 27, v0
	v_cmp_gt_i64_e32 vcc, 0, v[2:3]
	v_not_b32_e32 v3, v3
	;; [unrolled: 8-line block ×4, first 2 shown]
	v_ashrrev_i32_e32 v3, 31, v3
	v_and_b32_e32 v1, v1, v12
	v_xor_b32_e32 v12, vcc_hi, v3
	v_xor_b32_e32 v3, vcc_lo, v3
	v_and_b32_e32 v8, v8, v3
	v_lshlrev_b32_e32 v3, 24, v0
	v_not_b32_e32 v0, v3
	v_cmp_gt_i64_e32 vcc, 0, v[2:3]
	v_ashrrev_i32_e32 v0, 31, v0
	v_xor_b32_e32 v2, vcc_hi, v0
	v_xor_b32_e32 v0, vcc_lo, v0
	; wave barrier
	ds_read_b32 v7, v11 offset:32
	v_and_b32_e32 v1, v1, v12
	v_and_b32_e32 v0, v8, v0
	;; [unrolled: 1-line block ×3, first 2 shown]
	v_mbcnt_lo_u32_b32 v2, v0, 0
	v_mbcnt_hi_u32_b32 v8, v1, v2
	v_cmp_eq_u32_e32 vcc, 0, v8
	v_cmp_ne_u64_e64 s[2:3], 0, v[0:1]
	s_and_b64 s[4:5], s[2:3], vcc
	; wave barrier
	s_and_saveexec_b64 s[2:3], s[4:5]
	s_cbranch_execz .LBB879_130
; %bb.129:
	v_bcnt_u32_b32 v0, v0, 0
	v_bcnt_u32_b32 v0, v1, v0
	s_waitcnt lgkmcnt(0)
	v_add_u32_e32 v0, v7, v0
	ds_write_b32 v11, v0 offset:32
.LBB879_130:
	s_or_b64 exec, exec, s[2:3]
	s_waitcnt vmcnt(13)
	v_xor_b32_e32 v23, 0x80000000, v10
	v_lshrrev_b32_e32 v0, s56, v23
	v_and_b32_e32 v2, s15, v0
	v_and_b32_e32 v1, 1, v2
	v_add_co_u32_e32 v3, vcc, -1, v1
	v_addc_co_u32_e64 v12, s[2:3], 0, -1, vcc
	v_cmp_ne_u32_e32 vcc, 0, v1
	v_lshl_add_u32 v0, v2, 3, v2
	v_xor_b32_e32 v1, vcc_hi, v12
	v_add_lshl_u32 v16, v15, v0, 2
	v_mov_b32_e32 v0, 0
	v_and_b32_e32 v12, exec_hi, v1
	v_lshlrev_b32_e32 v1, 30, v2
	v_xor_b32_e32 v3, vcc_lo, v3
	v_cmp_gt_i64_e32 vcc, 0, v[0:1]
	v_not_b32_e32 v1, v1
	v_ashrrev_i32_e32 v1, 31, v1
	v_and_b32_e32 v3, exec_lo, v3
	v_xor_b32_e32 v17, vcc_hi, v1
	v_xor_b32_e32 v1, vcc_lo, v1
	v_and_b32_e32 v3, v3, v1
	v_lshlrev_b32_e32 v1, 29, v2
	v_cmp_gt_i64_e32 vcc, 0, v[0:1]
	v_not_b32_e32 v1, v1
	v_ashrrev_i32_e32 v1, 31, v1
	v_and_b32_e32 v12, v12, v17
	v_xor_b32_e32 v17, vcc_hi, v1
	v_xor_b32_e32 v1, vcc_lo, v1
	v_and_b32_e32 v3, v3, v1
	v_lshlrev_b32_e32 v1, 28, v2
	v_cmp_gt_i64_e32 vcc, 0, v[0:1]
	v_not_b32_e32 v1, v1
	v_ashrrev_i32_e32 v1, 31, v1
	v_and_b32_e32 v12, v12, v17
	;; [unrolled: 8-line block ×5, first 2 shown]
	v_xor_b32_e32 v17, vcc_hi, v1
	v_xor_b32_e32 v1, vcc_lo, v1
	v_and_b32_e32 v12, v12, v17
	v_and_b32_e32 v17, v3, v1
	v_lshlrev_b32_e32 v1, 24, v2
	v_cmp_gt_i64_e32 vcc, 0, v[0:1]
	v_not_b32_e32 v1, v1
	v_ashrrev_i32_e32 v1, 31, v1
	v_xor_b32_e32 v2, vcc_hi, v1
	v_xor_b32_e32 v1, vcc_lo, v1
	; wave barrier
	ds_read_b32 v10, v16 offset:32
	v_and_b32_e32 v3, v12, v2
	v_and_b32_e32 v2, v17, v1
	v_mbcnt_lo_u32_b32 v1, v2, 0
	v_mbcnt_hi_u32_b32 v12, v3, v1
	v_cmp_eq_u32_e32 vcc, 0, v12
	v_cmp_ne_u64_e64 s[2:3], 0, v[2:3]
	s_and_b64 s[4:5], s[2:3], vcc
	; wave barrier
	s_and_saveexec_b64 s[2:3], s[4:5]
	s_cbranch_execz .LBB879_132
; %bb.131:
	v_bcnt_u32_b32 v1, v2, 0
	v_bcnt_u32_b32 v1, v3, v1
	s_waitcnt lgkmcnt(0)
	v_add_u32_e32 v1, v10, v1
	ds_write_b32 v16, v1 offset:32
.LBB879_132:
	s_or_b64 exec, exec, s[2:3]
	s_waitcnt vmcnt(12)
	v_xor_b32_e32 v24, 0x80000000, v13
	v_lshrrev_b32_e32 v1, s56, v24
	v_and_b32_e32 v2, s15, v1
	v_lshl_add_u32 v1, v2, 3, v2
	v_add_lshl_u32 v31, v15, v1, 2
	v_and_b32_e32 v1, 1, v2
	v_add_co_u32_e32 v3, vcc, -1, v1
	v_addc_co_u32_e64 v17, s[2:3], 0, -1, vcc
	v_cmp_ne_u32_e32 vcc, 0, v1
	v_xor_b32_e32 v1, vcc_hi, v17
	v_and_b32_e32 v17, exec_hi, v1
	v_lshlrev_b32_e32 v1, 30, v2
	v_xor_b32_e32 v3, vcc_lo, v3
	v_cmp_gt_i64_e32 vcc, 0, v[0:1]
	v_not_b32_e32 v1, v1
	v_ashrrev_i32_e32 v1, 31, v1
	v_and_b32_e32 v3, exec_lo, v3
	v_xor_b32_e32 v29, vcc_hi, v1
	v_xor_b32_e32 v1, vcc_lo, v1
	v_and_b32_e32 v3, v3, v1
	v_lshlrev_b32_e32 v1, 29, v2
	v_cmp_gt_i64_e32 vcc, 0, v[0:1]
	v_not_b32_e32 v1, v1
	v_ashrrev_i32_e32 v1, 31, v1
	v_and_b32_e32 v17, v17, v29
	v_xor_b32_e32 v29, vcc_hi, v1
	v_xor_b32_e32 v1, vcc_lo, v1
	v_and_b32_e32 v3, v3, v1
	v_lshlrev_b32_e32 v1, 28, v2
	v_cmp_gt_i64_e32 vcc, 0, v[0:1]
	v_not_b32_e32 v1, v1
	v_ashrrev_i32_e32 v1, 31, v1
	v_and_b32_e32 v17, v17, v29
	;; [unrolled: 8-line block ×5, first 2 shown]
	v_xor_b32_e32 v29, vcc_hi, v1
	v_xor_b32_e32 v1, vcc_lo, v1
	v_and_b32_e32 v3, v3, v1
	v_lshlrev_b32_e32 v1, 24, v2
	v_cmp_gt_i64_e32 vcc, 0, v[0:1]
	v_not_b32_e32 v0, v1
	v_ashrrev_i32_e32 v0, 31, v0
	v_xor_b32_e32 v1, vcc_hi, v0
	v_xor_b32_e32 v0, vcc_lo, v0
	; wave barrier
	ds_read_b32 v13, v31 offset:32
	v_and_b32_e32 v17, v17, v29
	v_and_b32_e32 v0, v3, v0
	;; [unrolled: 1-line block ×3, first 2 shown]
	v_mbcnt_lo_u32_b32 v2, v0, 0
	v_mbcnt_hi_u32_b32 v17, v1, v2
	v_cmp_eq_u32_e32 vcc, 0, v17
	v_cmp_ne_u64_e64 s[2:3], 0, v[0:1]
	s_and_b64 s[4:5], s[2:3], vcc
	; wave barrier
	s_and_saveexec_b64 s[2:3], s[4:5]
	s_cbranch_execz .LBB879_134
; %bb.133:
	v_bcnt_u32_b32 v0, v0, 0
	v_bcnt_u32_b32 v0, v1, v0
	s_waitcnt lgkmcnt(0)
	v_add_u32_e32 v0, v13, v0
	ds_write_b32 v31, v0 offset:32
.LBB879_134:
	s_or_b64 exec, exec, s[2:3]
	s_waitcnt vmcnt(11)
	v_xor_b32_e32 v25, 0x80000000, v25
	v_lshrrev_b32_e32 v0, s56, v25
	v_and_b32_e32 v2, s15, v0
	v_and_b32_e32 v1, 1, v2
	v_add_co_u32_e32 v3, vcc, -1, v1
	v_addc_co_u32_e64 v33, s[2:3], 0, -1, vcc
	v_cmp_ne_u32_e32 vcc, 0, v1
	v_lshl_add_u32 v0, v2, 3, v2
	v_xor_b32_e32 v1, vcc_hi, v33
	v_add_lshl_u32 v36, v15, v0, 2
	v_mov_b32_e32 v0, 0
	v_and_b32_e32 v33, exec_hi, v1
	v_lshlrev_b32_e32 v1, 30, v2
	v_xor_b32_e32 v3, vcc_lo, v3
	v_cmp_gt_i64_e32 vcc, 0, v[0:1]
	v_not_b32_e32 v1, v1
	v_ashrrev_i32_e32 v1, 31, v1
	v_and_b32_e32 v3, exec_lo, v3
	v_xor_b32_e32 v34, vcc_hi, v1
	v_xor_b32_e32 v1, vcc_lo, v1
	v_and_b32_e32 v3, v3, v1
	v_lshlrev_b32_e32 v1, 29, v2
	v_cmp_gt_i64_e32 vcc, 0, v[0:1]
	v_not_b32_e32 v1, v1
	v_ashrrev_i32_e32 v1, 31, v1
	v_and_b32_e32 v33, v33, v34
	v_xor_b32_e32 v34, vcc_hi, v1
	v_xor_b32_e32 v1, vcc_lo, v1
	v_and_b32_e32 v3, v3, v1
	v_lshlrev_b32_e32 v1, 28, v2
	v_cmp_gt_i64_e32 vcc, 0, v[0:1]
	v_not_b32_e32 v1, v1
	v_ashrrev_i32_e32 v1, 31, v1
	v_and_b32_e32 v33, v33, v34
	;; [unrolled: 8-line block ×5, first 2 shown]
	v_xor_b32_e32 v34, vcc_hi, v1
	v_xor_b32_e32 v1, vcc_lo, v1
	v_and_b32_e32 v33, v33, v34
	v_and_b32_e32 v34, v3, v1
	v_lshlrev_b32_e32 v1, 24, v2
	v_cmp_gt_i64_e32 vcc, 0, v[0:1]
	v_not_b32_e32 v1, v1
	v_ashrrev_i32_e32 v1, 31, v1
	v_xor_b32_e32 v2, vcc_hi, v1
	v_xor_b32_e32 v1, vcc_lo, v1
	; wave barrier
	ds_read_b32 v29, v36 offset:32
	v_and_b32_e32 v3, v33, v2
	v_and_b32_e32 v2, v34, v1
	v_mbcnt_lo_u32_b32 v1, v2, 0
	v_mbcnt_hi_u32_b32 v33, v3, v1
	v_cmp_eq_u32_e32 vcc, 0, v33
	v_cmp_ne_u64_e64 s[2:3], 0, v[2:3]
	s_and_b64 s[4:5], s[2:3], vcc
	; wave barrier
	s_and_saveexec_b64 s[2:3], s[4:5]
	s_cbranch_execz .LBB879_136
; %bb.135:
	v_bcnt_u32_b32 v1, v2, 0
	v_bcnt_u32_b32 v1, v3, v1
	s_waitcnt lgkmcnt(0)
	v_add_u32_e32 v1, v29, v1
	ds_write_b32 v36, v1 offset:32
.LBB879_136:
	s_or_b64 exec, exec, s[2:3]
	s_waitcnt vmcnt(10)
	v_xor_b32_e32 v26, 0x80000000, v26
	v_lshrrev_b32_e32 v1, s56, v26
	v_and_b32_e32 v2, s15, v1
	v_lshl_add_u32 v1, v2, 3, v2
	v_add_lshl_u32 v41, v15, v1, 2
	v_and_b32_e32 v1, 1, v2
	v_add_co_u32_e32 v3, vcc, -1, v1
	v_addc_co_u32_e64 v38, s[2:3], 0, -1, vcc
	v_cmp_ne_u32_e32 vcc, 0, v1
	v_xor_b32_e32 v1, vcc_hi, v38
	v_and_b32_e32 v38, exec_hi, v1
	v_lshlrev_b32_e32 v1, 30, v2
	v_xor_b32_e32 v3, vcc_lo, v3
	v_cmp_gt_i64_e32 vcc, 0, v[0:1]
	v_not_b32_e32 v1, v1
	v_ashrrev_i32_e32 v1, 31, v1
	v_and_b32_e32 v3, exec_lo, v3
	v_xor_b32_e32 v39, vcc_hi, v1
	v_xor_b32_e32 v1, vcc_lo, v1
	v_and_b32_e32 v3, v3, v1
	v_lshlrev_b32_e32 v1, 29, v2
	v_cmp_gt_i64_e32 vcc, 0, v[0:1]
	v_not_b32_e32 v1, v1
	v_ashrrev_i32_e32 v1, 31, v1
	v_and_b32_e32 v38, v38, v39
	v_xor_b32_e32 v39, vcc_hi, v1
	v_xor_b32_e32 v1, vcc_lo, v1
	v_and_b32_e32 v3, v3, v1
	v_lshlrev_b32_e32 v1, 28, v2
	v_cmp_gt_i64_e32 vcc, 0, v[0:1]
	v_not_b32_e32 v1, v1
	v_ashrrev_i32_e32 v1, 31, v1
	v_and_b32_e32 v38, v38, v39
	;; [unrolled: 8-line block ×5, first 2 shown]
	v_xor_b32_e32 v39, vcc_hi, v1
	v_xor_b32_e32 v1, vcc_lo, v1
	v_and_b32_e32 v3, v3, v1
	v_lshlrev_b32_e32 v1, 24, v2
	v_cmp_gt_i64_e32 vcc, 0, v[0:1]
	v_not_b32_e32 v0, v1
	v_ashrrev_i32_e32 v0, 31, v0
	v_xor_b32_e32 v1, vcc_hi, v0
	v_xor_b32_e32 v0, vcc_lo, v0
	; wave barrier
	ds_read_b32 v34, v41 offset:32
	v_and_b32_e32 v38, v38, v39
	v_and_b32_e32 v0, v3, v0
	;; [unrolled: 1-line block ×3, first 2 shown]
	v_mbcnt_lo_u32_b32 v2, v0, 0
	v_mbcnt_hi_u32_b32 v38, v1, v2
	v_cmp_eq_u32_e32 vcc, 0, v38
	v_cmp_ne_u64_e64 s[2:3], 0, v[0:1]
	s_and_b64 s[4:5], s[2:3], vcc
	; wave barrier
	s_and_saveexec_b64 s[2:3], s[4:5]
	s_cbranch_execz .LBB879_138
; %bb.137:
	v_bcnt_u32_b32 v0, v0, 0
	v_bcnt_u32_b32 v0, v1, v0
	s_waitcnt lgkmcnt(0)
	v_add_u32_e32 v0, v34, v0
	ds_write_b32 v41, v0 offset:32
.LBB879_138:
	s_or_b64 exec, exec, s[2:3]
	s_waitcnt vmcnt(9)
	v_xor_b32_e32 v27, 0x80000000, v27
	v_lshrrev_b32_e32 v0, s56, v27
	v_and_b32_e32 v2, s15, v0
	v_and_b32_e32 v1, 1, v2
	v_add_co_u32_e32 v3, vcc, -1, v1
	v_addc_co_u32_e64 v43, s[2:3], 0, -1, vcc
	v_cmp_ne_u32_e32 vcc, 0, v1
	v_lshl_add_u32 v0, v2, 3, v2
	v_xor_b32_e32 v1, vcc_hi, v43
	v_add_lshl_u32 v46, v15, v0, 2
	v_mov_b32_e32 v0, 0
	v_and_b32_e32 v43, exec_hi, v1
	v_lshlrev_b32_e32 v1, 30, v2
	v_xor_b32_e32 v3, vcc_lo, v3
	v_cmp_gt_i64_e32 vcc, 0, v[0:1]
	v_not_b32_e32 v1, v1
	v_ashrrev_i32_e32 v1, 31, v1
	v_and_b32_e32 v3, exec_lo, v3
	v_xor_b32_e32 v44, vcc_hi, v1
	v_xor_b32_e32 v1, vcc_lo, v1
	v_and_b32_e32 v3, v3, v1
	v_lshlrev_b32_e32 v1, 29, v2
	v_cmp_gt_i64_e32 vcc, 0, v[0:1]
	v_not_b32_e32 v1, v1
	v_ashrrev_i32_e32 v1, 31, v1
	v_and_b32_e32 v43, v43, v44
	v_xor_b32_e32 v44, vcc_hi, v1
	v_xor_b32_e32 v1, vcc_lo, v1
	v_and_b32_e32 v3, v3, v1
	v_lshlrev_b32_e32 v1, 28, v2
	v_cmp_gt_i64_e32 vcc, 0, v[0:1]
	v_not_b32_e32 v1, v1
	v_ashrrev_i32_e32 v1, 31, v1
	v_and_b32_e32 v43, v43, v44
	;; [unrolled: 8-line block ×5, first 2 shown]
	v_xor_b32_e32 v44, vcc_hi, v1
	v_xor_b32_e32 v1, vcc_lo, v1
	v_and_b32_e32 v43, v43, v44
	v_and_b32_e32 v44, v3, v1
	v_lshlrev_b32_e32 v1, 24, v2
	v_cmp_gt_i64_e32 vcc, 0, v[0:1]
	v_not_b32_e32 v1, v1
	v_ashrrev_i32_e32 v1, 31, v1
	v_xor_b32_e32 v2, vcc_hi, v1
	v_xor_b32_e32 v1, vcc_lo, v1
	; wave barrier
	ds_read_b32 v39, v46 offset:32
	v_and_b32_e32 v3, v43, v2
	v_and_b32_e32 v2, v44, v1
	v_mbcnt_lo_u32_b32 v1, v2, 0
	v_mbcnt_hi_u32_b32 v43, v3, v1
	v_cmp_eq_u32_e32 vcc, 0, v43
	v_cmp_ne_u64_e64 s[2:3], 0, v[2:3]
	s_and_b64 s[4:5], s[2:3], vcc
	; wave barrier
	s_and_saveexec_b64 s[2:3], s[4:5]
	s_cbranch_execz .LBB879_140
; %bb.139:
	v_bcnt_u32_b32 v1, v2, 0
	v_bcnt_u32_b32 v1, v3, v1
	s_waitcnt lgkmcnt(0)
	v_add_u32_e32 v1, v39, v1
	ds_write_b32 v46, v1 offset:32
.LBB879_140:
	s_or_b64 exec, exec, s[2:3]
	s_waitcnt vmcnt(8)
	v_xor_b32_e32 v28, 0x80000000, v28
	v_lshrrev_b32_e32 v1, s56, v28
	v_and_b32_e32 v2, s15, v1
	v_lshl_add_u32 v1, v2, 3, v2
	v_add_lshl_u32 v49, v15, v1, 2
	v_and_b32_e32 v1, 1, v2
	v_add_co_u32_e32 v3, vcc, -1, v1
	v_addc_co_u32_e64 v47, s[2:3], 0, -1, vcc
	v_cmp_ne_u32_e32 vcc, 0, v1
	v_xor_b32_e32 v1, vcc_hi, v47
	v_and_b32_e32 v47, exec_hi, v1
	v_lshlrev_b32_e32 v1, 30, v2
	v_xor_b32_e32 v3, vcc_lo, v3
	v_cmp_gt_i64_e32 vcc, 0, v[0:1]
	v_not_b32_e32 v1, v1
	v_ashrrev_i32_e32 v1, 31, v1
	v_and_b32_e32 v3, exec_lo, v3
	v_xor_b32_e32 v48, vcc_hi, v1
	v_xor_b32_e32 v1, vcc_lo, v1
	v_and_b32_e32 v3, v3, v1
	v_lshlrev_b32_e32 v1, 29, v2
	v_cmp_gt_i64_e32 vcc, 0, v[0:1]
	v_not_b32_e32 v1, v1
	v_ashrrev_i32_e32 v1, 31, v1
	v_and_b32_e32 v47, v47, v48
	v_xor_b32_e32 v48, vcc_hi, v1
	v_xor_b32_e32 v1, vcc_lo, v1
	v_and_b32_e32 v3, v3, v1
	v_lshlrev_b32_e32 v1, 28, v2
	v_cmp_gt_i64_e32 vcc, 0, v[0:1]
	v_not_b32_e32 v1, v1
	v_ashrrev_i32_e32 v1, 31, v1
	v_and_b32_e32 v47, v47, v48
	;; [unrolled: 8-line block ×5, first 2 shown]
	v_xor_b32_e32 v48, vcc_hi, v1
	v_xor_b32_e32 v1, vcc_lo, v1
	v_and_b32_e32 v3, v3, v1
	v_lshlrev_b32_e32 v1, 24, v2
	v_cmp_gt_i64_e32 vcc, 0, v[0:1]
	v_not_b32_e32 v0, v1
	v_ashrrev_i32_e32 v0, 31, v0
	v_xor_b32_e32 v1, vcc_hi, v0
	v_xor_b32_e32 v0, vcc_lo, v0
	; wave barrier
	ds_read_b32 v44, v49 offset:32
	v_and_b32_e32 v47, v47, v48
	v_and_b32_e32 v0, v3, v0
	;; [unrolled: 1-line block ×3, first 2 shown]
	v_mbcnt_lo_u32_b32 v2, v0, 0
	v_mbcnt_hi_u32_b32 v47, v1, v2
	v_cmp_eq_u32_e32 vcc, 0, v47
	v_cmp_ne_u64_e64 s[2:3], 0, v[0:1]
	s_and_b64 s[4:5], s[2:3], vcc
	; wave barrier
	s_and_saveexec_b64 s[2:3], s[4:5]
	s_cbranch_execz .LBB879_142
; %bb.141:
	v_bcnt_u32_b32 v0, v0, 0
	v_bcnt_u32_b32 v0, v1, v0
	s_waitcnt lgkmcnt(0)
	v_add_u32_e32 v0, v44, v0
	ds_write_b32 v49, v0 offset:32
.LBB879_142:
	s_or_b64 exec, exec, s[2:3]
	s_waitcnt vmcnt(7)
	v_xor_b32_e32 v32, 0x80000000, v32
	v_lshrrev_b32_e32 v0, s56, v32
	v_and_b32_e32 v2, s15, v0
	v_and_b32_e32 v1, 1, v2
	v_add_co_u32_e32 v3, vcc, -1, v1
	v_addc_co_u32_e64 v50, s[2:3], 0, -1, vcc
	v_cmp_ne_u32_e32 vcc, 0, v1
	v_lshl_add_u32 v0, v2, 3, v2
	v_xor_b32_e32 v1, vcc_hi, v50
	v_add_lshl_u32 v52, v15, v0, 2
	v_mov_b32_e32 v0, 0
	v_and_b32_e32 v50, exec_hi, v1
	v_lshlrev_b32_e32 v1, 30, v2
	v_xor_b32_e32 v3, vcc_lo, v3
	v_cmp_gt_i64_e32 vcc, 0, v[0:1]
	v_not_b32_e32 v1, v1
	v_ashrrev_i32_e32 v1, 31, v1
	v_and_b32_e32 v3, exec_lo, v3
	v_xor_b32_e32 v51, vcc_hi, v1
	v_xor_b32_e32 v1, vcc_lo, v1
	v_and_b32_e32 v3, v3, v1
	v_lshlrev_b32_e32 v1, 29, v2
	v_cmp_gt_i64_e32 vcc, 0, v[0:1]
	v_not_b32_e32 v1, v1
	v_ashrrev_i32_e32 v1, 31, v1
	v_and_b32_e32 v50, v50, v51
	v_xor_b32_e32 v51, vcc_hi, v1
	v_xor_b32_e32 v1, vcc_lo, v1
	v_and_b32_e32 v3, v3, v1
	v_lshlrev_b32_e32 v1, 28, v2
	v_cmp_gt_i64_e32 vcc, 0, v[0:1]
	v_not_b32_e32 v1, v1
	v_ashrrev_i32_e32 v1, 31, v1
	v_and_b32_e32 v50, v50, v51
	;; [unrolled: 8-line block ×5, first 2 shown]
	v_xor_b32_e32 v51, vcc_hi, v1
	v_xor_b32_e32 v1, vcc_lo, v1
	v_and_b32_e32 v50, v50, v51
	v_and_b32_e32 v51, v3, v1
	v_lshlrev_b32_e32 v1, 24, v2
	v_cmp_gt_i64_e32 vcc, 0, v[0:1]
	v_not_b32_e32 v1, v1
	v_ashrrev_i32_e32 v1, 31, v1
	v_xor_b32_e32 v2, vcc_hi, v1
	v_xor_b32_e32 v1, vcc_lo, v1
	; wave barrier
	ds_read_b32 v48, v52 offset:32
	v_and_b32_e32 v3, v50, v2
	v_and_b32_e32 v2, v51, v1
	v_mbcnt_lo_u32_b32 v1, v2, 0
	v_mbcnt_hi_u32_b32 v50, v3, v1
	v_cmp_eq_u32_e32 vcc, 0, v50
	v_cmp_ne_u64_e64 s[2:3], 0, v[2:3]
	s_and_b64 s[4:5], s[2:3], vcc
	; wave barrier
	s_and_saveexec_b64 s[2:3], s[4:5]
	s_cbranch_execz .LBB879_144
; %bb.143:
	v_bcnt_u32_b32 v1, v2, 0
	v_bcnt_u32_b32 v1, v3, v1
	s_waitcnt lgkmcnt(0)
	v_add_u32_e32 v1, v48, v1
	ds_write_b32 v52, v1 offset:32
.LBB879_144:
	s_or_b64 exec, exec, s[2:3]
	s_waitcnt vmcnt(6)
	v_xor_b32_e32 v37, 0x80000000, v37
	v_lshrrev_b32_e32 v1, s56, v37
	v_and_b32_e32 v2, s15, v1
	v_lshl_add_u32 v1, v2, 3, v2
	v_add_lshl_u32 v55, v15, v1, 2
	v_and_b32_e32 v1, 1, v2
	v_add_co_u32_e32 v3, vcc, -1, v1
	v_addc_co_u32_e64 v53, s[2:3], 0, -1, vcc
	v_cmp_ne_u32_e32 vcc, 0, v1
	v_xor_b32_e32 v1, vcc_hi, v53
	v_and_b32_e32 v53, exec_hi, v1
	v_lshlrev_b32_e32 v1, 30, v2
	v_xor_b32_e32 v3, vcc_lo, v3
	v_cmp_gt_i64_e32 vcc, 0, v[0:1]
	v_not_b32_e32 v1, v1
	v_ashrrev_i32_e32 v1, 31, v1
	v_and_b32_e32 v3, exec_lo, v3
	v_xor_b32_e32 v54, vcc_hi, v1
	v_xor_b32_e32 v1, vcc_lo, v1
	v_and_b32_e32 v3, v3, v1
	v_lshlrev_b32_e32 v1, 29, v2
	v_cmp_gt_i64_e32 vcc, 0, v[0:1]
	v_not_b32_e32 v1, v1
	v_ashrrev_i32_e32 v1, 31, v1
	v_and_b32_e32 v53, v53, v54
	v_xor_b32_e32 v54, vcc_hi, v1
	v_xor_b32_e32 v1, vcc_lo, v1
	v_and_b32_e32 v3, v3, v1
	v_lshlrev_b32_e32 v1, 28, v2
	v_cmp_gt_i64_e32 vcc, 0, v[0:1]
	v_not_b32_e32 v1, v1
	v_ashrrev_i32_e32 v1, 31, v1
	v_and_b32_e32 v53, v53, v54
	;; [unrolled: 8-line block ×5, first 2 shown]
	v_xor_b32_e32 v54, vcc_hi, v1
	v_xor_b32_e32 v1, vcc_lo, v1
	v_and_b32_e32 v3, v3, v1
	v_lshlrev_b32_e32 v1, 24, v2
	v_cmp_gt_i64_e32 vcc, 0, v[0:1]
	v_not_b32_e32 v0, v1
	v_ashrrev_i32_e32 v0, 31, v0
	v_xor_b32_e32 v1, vcc_hi, v0
	v_xor_b32_e32 v0, vcc_lo, v0
	; wave barrier
	ds_read_b32 v51, v55 offset:32
	v_and_b32_e32 v53, v53, v54
	v_and_b32_e32 v0, v3, v0
	;; [unrolled: 1-line block ×3, first 2 shown]
	v_mbcnt_lo_u32_b32 v2, v0, 0
	v_mbcnt_hi_u32_b32 v53, v1, v2
	v_cmp_eq_u32_e32 vcc, 0, v53
	v_cmp_ne_u64_e64 s[2:3], 0, v[0:1]
	s_and_b64 s[4:5], s[2:3], vcc
	; wave barrier
	s_and_saveexec_b64 s[2:3], s[4:5]
	s_cbranch_execz .LBB879_146
; %bb.145:
	v_bcnt_u32_b32 v0, v0, 0
	v_bcnt_u32_b32 v0, v1, v0
	s_waitcnt lgkmcnt(0)
	v_add_u32_e32 v0, v51, v0
	ds_write_b32 v55, v0 offset:32
.LBB879_146:
	s_or_b64 exec, exec, s[2:3]
	s_waitcnt vmcnt(5)
	v_xor_b32_e32 v42, 0x80000000, v42
	v_lshrrev_b32_e32 v0, s56, v42
	v_and_b32_e32 v2, s15, v0
	v_and_b32_e32 v1, 1, v2
	v_add_co_u32_e32 v3, vcc, -1, v1
	v_addc_co_u32_e64 v56, s[2:3], 0, -1, vcc
	v_cmp_ne_u32_e32 vcc, 0, v1
	v_lshl_add_u32 v0, v2, 3, v2
	v_xor_b32_e32 v1, vcc_hi, v56
	v_add_lshl_u32 v58, v15, v0, 2
	v_mov_b32_e32 v0, 0
	v_and_b32_e32 v56, exec_hi, v1
	v_lshlrev_b32_e32 v1, 30, v2
	v_xor_b32_e32 v3, vcc_lo, v3
	v_cmp_gt_i64_e32 vcc, 0, v[0:1]
	v_not_b32_e32 v1, v1
	v_ashrrev_i32_e32 v1, 31, v1
	v_and_b32_e32 v3, exec_lo, v3
	v_xor_b32_e32 v57, vcc_hi, v1
	v_xor_b32_e32 v1, vcc_lo, v1
	v_and_b32_e32 v3, v3, v1
	v_lshlrev_b32_e32 v1, 29, v2
	v_cmp_gt_i64_e32 vcc, 0, v[0:1]
	v_not_b32_e32 v1, v1
	v_ashrrev_i32_e32 v1, 31, v1
	v_and_b32_e32 v56, v56, v57
	v_xor_b32_e32 v57, vcc_hi, v1
	v_xor_b32_e32 v1, vcc_lo, v1
	v_and_b32_e32 v3, v3, v1
	v_lshlrev_b32_e32 v1, 28, v2
	v_cmp_gt_i64_e32 vcc, 0, v[0:1]
	v_not_b32_e32 v1, v1
	v_ashrrev_i32_e32 v1, 31, v1
	v_and_b32_e32 v56, v56, v57
	;; [unrolled: 8-line block ×5, first 2 shown]
	v_xor_b32_e32 v57, vcc_hi, v1
	v_xor_b32_e32 v1, vcc_lo, v1
	v_and_b32_e32 v56, v56, v57
	v_and_b32_e32 v57, v3, v1
	v_lshlrev_b32_e32 v1, 24, v2
	v_cmp_gt_i64_e32 vcc, 0, v[0:1]
	v_not_b32_e32 v1, v1
	v_ashrrev_i32_e32 v1, 31, v1
	v_xor_b32_e32 v2, vcc_hi, v1
	v_xor_b32_e32 v1, vcc_lo, v1
	; wave barrier
	ds_read_b32 v54, v58 offset:32
	v_and_b32_e32 v3, v56, v2
	v_and_b32_e32 v2, v57, v1
	v_mbcnt_lo_u32_b32 v1, v2, 0
	v_mbcnt_hi_u32_b32 v56, v3, v1
	v_cmp_eq_u32_e32 vcc, 0, v56
	v_cmp_ne_u64_e64 s[2:3], 0, v[2:3]
	s_and_b64 s[4:5], s[2:3], vcc
	; wave barrier
	s_and_saveexec_b64 s[2:3], s[4:5]
	s_cbranch_execz .LBB879_148
; %bb.147:
	v_bcnt_u32_b32 v1, v2, 0
	v_bcnt_u32_b32 v1, v3, v1
	s_waitcnt lgkmcnt(0)
	v_add_u32_e32 v1, v54, v1
	ds_write_b32 v58, v1 offset:32
.LBB879_148:
	s_or_b64 exec, exec, s[2:3]
	s_waitcnt vmcnt(4)
	v_xor_b32_e32 v45, 0x80000000, v45
	v_lshrrev_b32_e32 v1, s56, v45
	v_and_b32_e32 v2, s15, v1
	v_lshl_add_u32 v1, v2, 3, v2
	v_add_lshl_u32 v62, v15, v1, 2
	v_and_b32_e32 v1, 1, v2
	v_add_co_u32_e32 v3, vcc, -1, v1
	v_addc_co_u32_e64 v59, s[2:3], 0, -1, vcc
	v_cmp_ne_u32_e32 vcc, 0, v1
	v_xor_b32_e32 v1, vcc_hi, v59
	v_and_b32_e32 v59, exec_hi, v1
	v_lshlrev_b32_e32 v1, 30, v2
	v_xor_b32_e32 v3, vcc_lo, v3
	v_cmp_gt_i64_e32 vcc, 0, v[0:1]
	v_not_b32_e32 v1, v1
	v_ashrrev_i32_e32 v1, 31, v1
	v_and_b32_e32 v3, exec_lo, v3
	v_xor_b32_e32 v60, vcc_hi, v1
	v_xor_b32_e32 v1, vcc_lo, v1
	v_and_b32_e32 v3, v3, v1
	v_lshlrev_b32_e32 v1, 29, v2
	v_cmp_gt_i64_e32 vcc, 0, v[0:1]
	v_not_b32_e32 v1, v1
	v_ashrrev_i32_e32 v1, 31, v1
	v_and_b32_e32 v59, v59, v60
	v_xor_b32_e32 v60, vcc_hi, v1
	v_xor_b32_e32 v1, vcc_lo, v1
	v_and_b32_e32 v3, v3, v1
	v_lshlrev_b32_e32 v1, 28, v2
	v_cmp_gt_i64_e32 vcc, 0, v[0:1]
	v_not_b32_e32 v1, v1
	v_ashrrev_i32_e32 v1, 31, v1
	v_and_b32_e32 v59, v59, v60
	;; [unrolled: 8-line block ×5, first 2 shown]
	v_xor_b32_e32 v60, vcc_hi, v1
	v_xor_b32_e32 v1, vcc_lo, v1
	v_and_b32_e32 v3, v3, v1
	v_lshlrev_b32_e32 v1, 24, v2
	v_cmp_gt_i64_e32 vcc, 0, v[0:1]
	v_not_b32_e32 v0, v1
	v_ashrrev_i32_e32 v0, 31, v0
	v_xor_b32_e32 v1, vcc_hi, v0
	v_xor_b32_e32 v0, vcc_lo, v0
	; wave barrier
	ds_read_b32 v57, v62 offset:32
	v_and_b32_e32 v59, v59, v60
	v_and_b32_e32 v0, v3, v0
	;; [unrolled: 1-line block ×3, first 2 shown]
	v_mbcnt_lo_u32_b32 v2, v0, 0
	v_mbcnt_hi_u32_b32 v60, v1, v2
	v_cmp_eq_u32_e32 vcc, 0, v60
	v_cmp_ne_u64_e64 s[2:3], 0, v[0:1]
	s_and_b64 s[4:5], s[2:3], vcc
	; wave barrier
	s_and_saveexec_b64 s[2:3], s[4:5]
	s_cbranch_execz .LBB879_150
; %bb.149:
	v_bcnt_u32_b32 v0, v0, 0
	v_bcnt_u32_b32 v0, v1, v0
	s_waitcnt lgkmcnt(0)
	v_add_u32_e32 v0, v57, v0
	ds_write_b32 v62, v0 offset:32
.LBB879_150:
	s_or_b64 exec, exec, s[2:3]
	s_waitcnt vmcnt(3)
	v_xor_b32_e32 v40, 0x80000000, v40
	v_lshrrev_b32_e32 v0, s56, v40
	v_and_b32_e32 v2, s15, v0
	v_and_b32_e32 v1, 1, v2
	v_add_co_u32_e32 v3, vcc, -1, v1
	v_addc_co_u32_e64 v59, s[2:3], 0, -1, vcc
	v_cmp_ne_u32_e32 vcc, 0, v1
	v_lshl_add_u32 v0, v2, 3, v2
	v_xor_b32_e32 v1, vcc_hi, v59
	v_add_lshl_u32 v64, v15, v0, 2
	v_mov_b32_e32 v0, 0
	v_and_b32_e32 v59, exec_hi, v1
	v_lshlrev_b32_e32 v1, 30, v2
	v_xor_b32_e32 v3, vcc_lo, v3
	v_cmp_gt_i64_e32 vcc, 0, v[0:1]
	v_not_b32_e32 v1, v1
	v_ashrrev_i32_e32 v1, 31, v1
	v_and_b32_e32 v3, exec_lo, v3
	v_xor_b32_e32 v63, vcc_hi, v1
	v_xor_b32_e32 v1, vcc_lo, v1
	v_and_b32_e32 v3, v3, v1
	v_lshlrev_b32_e32 v1, 29, v2
	v_cmp_gt_i64_e32 vcc, 0, v[0:1]
	v_not_b32_e32 v1, v1
	v_ashrrev_i32_e32 v1, 31, v1
	v_and_b32_e32 v59, v59, v63
	v_xor_b32_e32 v63, vcc_hi, v1
	v_xor_b32_e32 v1, vcc_lo, v1
	v_and_b32_e32 v3, v3, v1
	v_lshlrev_b32_e32 v1, 28, v2
	v_cmp_gt_i64_e32 vcc, 0, v[0:1]
	v_not_b32_e32 v1, v1
	v_ashrrev_i32_e32 v1, 31, v1
	v_and_b32_e32 v59, v59, v63
	;; [unrolled: 8-line block ×5, first 2 shown]
	v_xor_b32_e32 v63, vcc_hi, v1
	v_xor_b32_e32 v1, vcc_lo, v1
	v_and_b32_e32 v59, v59, v63
	v_and_b32_e32 v63, v3, v1
	v_lshlrev_b32_e32 v1, 24, v2
	v_cmp_gt_i64_e32 vcc, 0, v[0:1]
	v_not_b32_e32 v1, v1
	v_ashrrev_i32_e32 v1, 31, v1
	v_xor_b32_e32 v2, vcc_hi, v1
	v_xor_b32_e32 v1, vcc_lo, v1
	; wave barrier
	ds_read_b32 v61, v64 offset:32
	v_and_b32_e32 v3, v59, v2
	v_and_b32_e32 v2, v63, v1
	v_mbcnt_lo_u32_b32 v1, v2, 0
	v_mbcnt_hi_u32_b32 v63, v3, v1
	v_cmp_eq_u32_e32 vcc, 0, v63
	v_cmp_ne_u64_e64 s[2:3], 0, v[2:3]
	s_and_b64 s[4:5], s[2:3], vcc
	; wave barrier
	s_and_saveexec_b64 s[2:3], s[4:5]
	s_cbranch_execz .LBB879_152
; %bb.151:
	v_bcnt_u32_b32 v1, v2, 0
	v_bcnt_u32_b32 v1, v3, v1
	s_waitcnt lgkmcnt(0)
	v_add_u32_e32 v1, v61, v1
	ds_write_b32 v64, v1 offset:32
.LBB879_152:
	s_or_b64 exec, exec, s[2:3]
	s_waitcnt vmcnt(2)
	v_xor_b32_e32 v35, 0x80000000, v35
	v_lshrrev_b32_e32 v1, s56, v35
	v_and_b32_e32 v2, s15, v1
	v_lshl_add_u32 v1, v2, 3, v2
	v_add_lshl_u32 v68, v15, v1, 2
	v_and_b32_e32 v1, 1, v2
	v_add_co_u32_e32 v3, vcc, -1, v1
	v_addc_co_u32_e64 v59, s[2:3], 0, -1, vcc
	v_cmp_ne_u32_e32 vcc, 0, v1
	v_xor_b32_e32 v1, vcc_hi, v59
	v_and_b32_e32 v59, exec_hi, v1
	v_lshlrev_b32_e32 v1, 30, v2
	v_xor_b32_e32 v3, vcc_lo, v3
	v_cmp_gt_i64_e32 vcc, 0, v[0:1]
	v_not_b32_e32 v1, v1
	v_ashrrev_i32_e32 v1, 31, v1
	v_and_b32_e32 v3, exec_lo, v3
	v_xor_b32_e32 v66, vcc_hi, v1
	v_xor_b32_e32 v1, vcc_lo, v1
	v_and_b32_e32 v3, v3, v1
	v_lshlrev_b32_e32 v1, 29, v2
	v_cmp_gt_i64_e32 vcc, 0, v[0:1]
	v_not_b32_e32 v1, v1
	v_ashrrev_i32_e32 v1, 31, v1
	v_and_b32_e32 v59, v59, v66
	v_xor_b32_e32 v66, vcc_hi, v1
	v_xor_b32_e32 v1, vcc_lo, v1
	v_and_b32_e32 v3, v3, v1
	v_lshlrev_b32_e32 v1, 28, v2
	v_cmp_gt_i64_e32 vcc, 0, v[0:1]
	v_not_b32_e32 v1, v1
	v_ashrrev_i32_e32 v1, 31, v1
	v_and_b32_e32 v59, v59, v66
	;; [unrolled: 8-line block ×5, first 2 shown]
	v_xor_b32_e32 v66, vcc_hi, v1
	v_xor_b32_e32 v1, vcc_lo, v1
	v_and_b32_e32 v3, v3, v1
	v_lshlrev_b32_e32 v1, 24, v2
	v_cmp_gt_i64_e32 vcc, 0, v[0:1]
	v_not_b32_e32 v0, v1
	v_ashrrev_i32_e32 v0, 31, v0
	v_xor_b32_e32 v1, vcc_hi, v0
	v_xor_b32_e32 v0, vcc_lo, v0
	; wave barrier
	ds_read_b32 v65, v68 offset:32
	v_and_b32_e32 v59, v59, v66
	v_and_b32_e32 v0, v3, v0
	;; [unrolled: 1-line block ×3, first 2 shown]
	v_mbcnt_lo_u32_b32 v2, v0, 0
	v_mbcnt_hi_u32_b32 v66, v1, v2
	v_cmp_eq_u32_e32 vcc, 0, v66
	v_cmp_ne_u64_e64 s[2:3], 0, v[0:1]
	s_and_b64 s[4:5], s[2:3], vcc
	; wave barrier
	s_and_saveexec_b64 s[2:3], s[4:5]
	s_cbranch_execz .LBB879_154
; %bb.153:
	v_bcnt_u32_b32 v0, v0, 0
	v_bcnt_u32_b32 v0, v1, v0
	s_waitcnt lgkmcnt(0)
	v_add_u32_e32 v0, v65, v0
	ds_write_b32 v68, v0 offset:32
.LBB879_154:
	s_or_b64 exec, exec, s[2:3]
	s_waitcnt vmcnt(1)
	v_xor_b32_e32 v30, 0x80000000, v30
	v_lshrrev_b32_e32 v0, s56, v30
	v_and_b32_e32 v2, s15, v0
	v_and_b32_e32 v1, 1, v2
	v_add_co_u32_e32 v3, vcc, -1, v1
	v_addc_co_u32_e64 v59, s[2:3], 0, -1, vcc
	v_cmp_ne_u32_e32 vcc, 0, v1
	v_lshl_add_u32 v0, v2, 3, v2
	v_xor_b32_e32 v1, vcc_hi, v59
	v_add_lshl_u32 v70, v15, v0, 2
	v_mov_b32_e32 v0, 0
	v_and_b32_e32 v59, exec_hi, v1
	v_lshlrev_b32_e32 v1, 30, v2
	v_xor_b32_e32 v3, vcc_lo, v3
	v_cmp_gt_i64_e32 vcc, 0, v[0:1]
	v_not_b32_e32 v1, v1
	v_ashrrev_i32_e32 v1, 31, v1
	v_and_b32_e32 v3, exec_lo, v3
	v_xor_b32_e32 v69, vcc_hi, v1
	v_xor_b32_e32 v1, vcc_lo, v1
	v_and_b32_e32 v3, v3, v1
	v_lshlrev_b32_e32 v1, 29, v2
	v_cmp_gt_i64_e32 vcc, 0, v[0:1]
	v_not_b32_e32 v1, v1
	v_ashrrev_i32_e32 v1, 31, v1
	v_and_b32_e32 v59, v59, v69
	v_xor_b32_e32 v69, vcc_hi, v1
	v_xor_b32_e32 v1, vcc_lo, v1
	v_and_b32_e32 v3, v3, v1
	v_lshlrev_b32_e32 v1, 28, v2
	v_cmp_gt_i64_e32 vcc, 0, v[0:1]
	v_not_b32_e32 v1, v1
	v_ashrrev_i32_e32 v1, 31, v1
	v_and_b32_e32 v59, v59, v69
	;; [unrolled: 8-line block ×5, first 2 shown]
	v_xor_b32_e32 v69, vcc_hi, v1
	v_xor_b32_e32 v1, vcc_lo, v1
	v_and_b32_e32 v59, v59, v69
	v_and_b32_e32 v69, v3, v1
	v_lshlrev_b32_e32 v1, 24, v2
	v_cmp_gt_i64_e32 vcc, 0, v[0:1]
	v_not_b32_e32 v1, v1
	v_ashrrev_i32_e32 v1, 31, v1
	v_xor_b32_e32 v2, vcc_hi, v1
	v_xor_b32_e32 v1, vcc_lo, v1
	; wave barrier
	ds_read_b32 v67, v70 offset:32
	v_and_b32_e32 v3, v59, v2
	v_and_b32_e32 v2, v69, v1
	v_mbcnt_lo_u32_b32 v1, v2, 0
	v_mbcnt_hi_u32_b32 v69, v3, v1
	v_cmp_eq_u32_e32 vcc, 0, v69
	v_cmp_ne_u64_e64 s[2:3], 0, v[2:3]
	s_and_b64 s[4:5], s[2:3], vcc
	; wave barrier
	s_and_saveexec_b64 s[2:3], s[4:5]
	s_cbranch_execz .LBB879_156
; %bb.155:
	v_bcnt_u32_b32 v1, v2, 0
	v_bcnt_u32_b32 v1, v3, v1
	s_waitcnt lgkmcnt(0)
	v_add_u32_e32 v1, v67, v1
	ds_write_b32 v70, v1 offset:32
.LBB879_156:
	s_or_b64 exec, exec, s[2:3]
	s_waitcnt vmcnt(0)
	v_xor_b32_e32 v59, 0x80000000, v14
	v_lshrrev_b32_e32 v1, s56, v59
	v_and_b32_e32 v2, s15, v1
	v_lshl_add_u32 v1, v2, 3, v2
	v_add_lshl_u32 v71, v15, v1, 2
	v_and_b32_e32 v1, 1, v2
	v_add_co_u32_e32 v3, vcc, -1, v1
	v_addc_co_u32_e64 v15, s[2:3], 0, -1, vcc
	v_cmp_ne_u32_e32 vcc, 0, v1
	v_xor_b32_e32 v1, vcc_hi, v15
	v_and_b32_e32 v15, exec_hi, v1
	v_lshlrev_b32_e32 v1, 30, v2
	v_xor_b32_e32 v3, vcc_lo, v3
	v_cmp_gt_i64_e32 vcc, 0, v[0:1]
	v_not_b32_e32 v1, v1
	v_ashrrev_i32_e32 v1, 31, v1
	v_and_b32_e32 v3, exec_lo, v3
	v_xor_b32_e32 v73, vcc_hi, v1
	v_xor_b32_e32 v1, vcc_lo, v1
	v_and_b32_e32 v3, v3, v1
	v_lshlrev_b32_e32 v1, 29, v2
	v_cmp_gt_i64_e32 vcc, 0, v[0:1]
	v_not_b32_e32 v1, v1
	v_ashrrev_i32_e32 v1, 31, v1
	v_and_b32_e32 v15, v15, v73
	v_xor_b32_e32 v73, vcc_hi, v1
	v_xor_b32_e32 v1, vcc_lo, v1
	v_and_b32_e32 v3, v3, v1
	v_lshlrev_b32_e32 v1, 28, v2
	v_cmp_gt_i64_e32 vcc, 0, v[0:1]
	v_not_b32_e32 v1, v1
	v_ashrrev_i32_e32 v1, 31, v1
	v_and_b32_e32 v15, v15, v73
	;; [unrolled: 8-line block ×5, first 2 shown]
	v_xor_b32_e32 v73, vcc_hi, v1
	v_xor_b32_e32 v1, vcc_lo, v1
	v_and_b32_e32 v3, v3, v1
	v_lshlrev_b32_e32 v1, 24, v2
	v_cmp_gt_i64_e32 vcc, 0, v[0:1]
	v_not_b32_e32 v0, v1
	v_ashrrev_i32_e32 v0, 31, v0
	v_xor_b32_e32 v1, vcc_hi, v0
	v_xor_b32_e32 v0, vcc_lo, v0
	; wave barrier
	ds_read_b32 v14, v71 offset:32
	v_and_b32_e32 v15, v15, v73
	v_and_b32_e32 v0, v3, v0
	;; [unrolled: 1-line block ×3, first 2 shown]
	v_mbcnt_lo_u32_b32 v2, v0, 0
	v_mbcnt_hi_u32_b32 v15, v1, v2
	v_cmp_eq_u32_e32 vcc, 0, v15
	v_cmp_ne_u64_e64 s[2:3], 0, v[0:1]
	v_add_u32_e32 v72, 32, v5
	s_and_b64 s[4:5], s[2:3], vcc
	; wave barrier
	s_and_saveexec_b64 s[2:3], s[4:5]
	s_cbranch_execz .LBB879_158
; %bb.157:
	v_bcnt_u32_b32 v0, v0, 0
	v_bcnt_u32_b32 v0, v1, v0
	s_waitcnt lgkmcnt(0)
	v_add_u32_e32 v0, v14, v0
	ds_write_b32 v71, v0 offset:32
.LBB879_158:
	s_or_b64 exec, exec, s[2:3]
	; wave barrier
	s_waitcnt lgkmcnt(0)
	s_barrier
	ds_read2_b32 v[2:3], v5 offset0:8 offset1:9
	ds_read2_b32 v[0:1], v72 offset0:2 offset1:3
	ds_read_b32 v73, v72 offset:16
	s_waitcnt lgkmcnt(1)
	v_add3_u32 v74, v3, v2, v0
	s_waitcnt lgkmcnt(0)
	v_add3_u32 v73, v74, v1, v73
	v_and_b32_e32 v74, 15, v4
	v_cmp_ne_u32_e32 vcc, 0, v74
	v_mov_b32_dpp v75, v73 row_shr:1 row_mask:0xf bank_mask:0xf
	v_cndmask_b32_e32 v75, 0, v75, vcc
	v_add_u32_e32 v73, v75, v73
	v_cmp_lt_u32_e32 vcc, 1, v74
	s_nop 0
	v_mov_b32_dpp v75, v73 row_shr:2 row_mask:0xf bank_mask:0xf
	v_cndmask_b32_e32 v75, 0, v75, vcc
	v_add_u32_e32 v73, v73, v75
	v_cmp_lt_u32_e32 vcc, 3, v74
	s_nop 0
	;; [unrolled: 5-line block ×3, first 2 shown]
	v_mov_b32_dpp v75, v73 row_shr:8 row_mask:0xf bank_mask:0xf
	v_cndmask_b32_e32 v74, 0, v75, vcc
	v_add_u32_e32 v73, v73, v74
	v_bfe_i32 v75, v4, 4, 1
	v_cmp_lt_u32_e32 vcc, 31, v4
	v_mov_b32_dpp v74, v73 row_bcast:15 row_mask:0xf bank_mask:0xf
	v_and_b32_e32 v74, v75, v74
	v_add_u32_e32 v73, v73, v74
	v_and_b32_e32 v75, 0x3c0, v18
	v_min_u32_e32 v75, 0x1c0, v75
	v_mov_b32_dpp v74, v73 row_bcast:31 row_mask:0xf bank_mask:0xf
	v_cndmask_b32_e32 v74, 0, v74, vcc
	v_or_b32_e32 v75, 63, v75
	v_add_u32_e32 v73, v73, v74
	v_lshrrev_b32_e32 v74, 6, v18
	v_cmp_eq_u32_e32 vcc, v75, v18
	s_and_saveexec_b64 s[2:3], vcc
	s_cbranch_execz .LBB879_160
; %bb.159:
	v_lshlrev_b32_e32 v75, 2, v74
	ds_write_b32 v75, v73
.LBB879_160:
	s_or_b64 exec, exec, s[2:3]
	v_cmp_gt_u32_e32 vcc, 8, v18
	s_waitcnt lgkmcnt(0)
	s_barrier
	s_and_saveexec_b64 s[2:3], vcc
	s_cbranch_execz .LBB879_162
; %bb.161:
	v_lshlrev_b32_e32 v75, 2, v18
	ds_read_b32 v76, v75
	v_and_b32_e32 v77, 7, v4
	v_cmp_ne_u32_e32 vcc, 0, v77
	s_waitcnt lgkmcnt(0)
	v_mov_b32_dpp v78, v76 row_shr:1 row_mask:0xf bank_mask:0xf
	v_cndmask_b32_e32 v78, 0, v78, vcc
	v_add_u32_e32 v76, v78, v76
	v_cmp_lt_u32_e32 vcc, 1, v77
	s_nop 0
	v_mov_b32_dpp v78, v76 row_shr:2 row_mask:0xf bank_mask:0xf
	v_cndmask_b32_e32 v78, 0, v78, vcc
	v_add_u32_e32 v76, v76, v78
	v_cmp_lt_u32_e32 vcc, 3, v77
	s_nop 0
	v_mov_b32_dpp v78, v76 row_shr:4 row_mask:0xf bank_mask:0xf
	v_cndmask_b32_e32 v77, 0, v78, vcc
	v_add_u32_e32 v76, v76, v77
	ds_write_b32 v75, v76
.LBB879_162:
	s_or_b64 exec, exec, s[2:3]
	v_cmp_lt_u32_e32 vcc, 63, v18
	v_mov_b32_e32 v75, 0
	s_waitcnt lgkmcnt(0)
	s_barrier
	s_and_saveexec_b64 s[2:3], vcc
	s_cbranch_execz .LBB879_164
; %bb.163:
	v_lshl_add_u32 v74, v74, 2, -4
	ds_read_b32 v75, v74
.LBB879_164:
	s_or_b64 exec, exec, s[2:3]
	v_add_u32_e32 v74, -1, v4
	v_and_b32_e32 v76, 64, v4
	v_cmp_lt_i32_e32 vcc, v74, v76
	v_cndmask_b32_e32 v74, v74, v4, vcc
	s_waitcnt lgkmcnt(0)
	v_add_u32_e32 v73, v75, v73
	v_lshlrev_b32_e32 v74, 2, v74
	ds_bpermute_b32 v73, v74, v73
	v_cmp_eq_u32_e32 vcc, 0, v4
	s_waitcnt lgkmcnt(0)
	v_cndmask_b32_e32 v4, v73, v75, vcc
	v_cndmask_b32_e64 v4, v4, 0, s[0:1]
	v_add_u32_e32 v2, v4, v2
	v_add_u32_e32 v3, v2, v3
	;; [unrolled: 1-line block ×4, first 2 shown]
	ds_write2_b32 v5, v4, v2 offset0:8 offset1:9
	ds_write2_b32 v72, v3, v0 offset0:2 offset1:3
	ds_write_b32 v72, v1 offset:16
	s_waitcnt lgkmcnt(0)
	s_barrier
	ds_read_b32 v75, v9 offset:32
	ds_read_b32 v9, v11 offset:32
	;; [unrolled: 1-line block ×16, first 2 shown]
	s_movk_i32 s0, 0x100
	v_cmp_gt_u32_e32 vcc, s0, v18
                                        ; implicit-def: $vgpr52
                                        ; implicit-def: $vgpr55
	s_and_saveexec_b64 s[2:3], vcc
	s_cbranch_execz .LBB879_168
; %bb.165:
	v_mul_u32_u24_e32 v0, 9, v18
	v_lshlrev_b32_e32 v1, 2, v0
	ds_read_b32 v52, v1 offset:32
	s_movk_i32 s0, 0xff
	v_cmp_ne_u32_e64 s[0:1], s0, v18
	v_mov_b32_e32 v0, 0x2000
	s_and_saveexec_b64 s[4:5], s[0:1]
	s_cbranch_execz .LBB879_167
; %bb.166:
	ds_read_b32 v0, v1 offset:68
.LBB879_167:
	s_or_b64 exec, exec, s[4:5]
	s_waitcnt lgkmcnt(0)
	v_sub_u32_e32 v55, v0, v52
.LBB879_168:
	s_or_b64 exec, exec, s[2:3]
	s_waitcnt lgkmcnt(0)
	s_barrier
	s_and_saveexec_b64 s[2:3], vcc
	s_cbranch_execz .LBB879_178
; %bb.169:
	v_lshl_or_b32 v0, s33, 8, v18
	v_mov_b32_e32 v1, 0
	v_lshlrev_b64 v[2:3], 2, v[0:1]
	v_mov_b32_e32 v31, s43
	v_add_co_u32_e64 v2, s[0:1], s42, v2
	v_addc_co_u32_e64 v3, s[0:1], v31, v3, s[0:1]
	v_or_b32_e32 v0, 2.0, v55
	s_mov_b64 s[4:5], 0
	s_brev_b32 s16, 1
	s_mov_b32 s17, s33
	v_mov_b32_e32 v36, 0
	global_store_dword v[2:3], v0, off
                                        ; implicit-def: $sgpr0_sgpr1
	s_branch .LBB879_172
.LBB879_170:                            ;   in Loop: Header=BB879_172 Depth=1
	s_or_b64 exec, exec, s[12:13]
.LBB879_171:                            ;   in Loop: Header=BB879_172 Depth=1
	s_or_b64 exec, exec, s[6:7]
	v_and_b32_e32 v4, 0x3fffffff, v58
	v_add_u32_e32 v36, v4, v36
	v_cmp_eq_u32_e64 s[0:1], s16, v0
	s_and_b64 s[6:7], exec, s[0:1]
	s_or_b64 s[4:5], s[6:7], s[4:5]
	s_andn2_b64 exec, exec, s[4:5]
	s_cbranch_execz .LBB879_177
.LBB879_172:                            ; =>This Loop Header: Depth=1
                                        ;     Child Loop BB879_175 Depth 2
	s_or_b64 s[0:1], s[0:1], exec
	s_cmp_eq_u32 s17, 0
	s_cbranch_scc1 .LBB879_176
; %bb.173:                              ;   in Loop: Header=BB879_172 Depth=1
	s_add_i32 s17, s17, -1
	v_lshl_or_b32 v0, s17, 8, v18
	v_lshlrev_b64 v[4:5], 2, v[0:1]
	v_add_co_u32_e64 v4, s[0:1], s42, v4
	v_addc_co_u32_e64 v5, s[0:1], v31, v5, s[0:1]
	global_load_dword v58, v[4:5], off glc
	s_waitcnt vmcnt(0)
	v_and_b32_e32 v0, -2.0, v58
	v_cmp_eq_u32_e64 s[0:1], 0, v0
	s_and_saveexec_b64 s[6:7], s[0:1]
	s_cbranch_execz .LBB879_171
; %bb.174:                              ;   in Loop: Header=BB879_172 Depth=1
	s_mov_b64 s[12:13], 0
.LBB879_175:                            ;   Parent Loop BB879_172 Depth=1
                                        ; =>  This Inner Loop Header: Depth=2
	global_load_dword v58, v[4:5], off glc
	s_waitcnt vmcnt(0)
	v_and_b32_e32 v0, -2.0, v58
	v_cmp_ne_u32_e64 s[0:1], 0, v0
	s_or_b64 s[12:13], s[0:1], s[12:13]
	s_andn2_b64 exec, exec, s[12:13]
	s_cbranch_execnz .LBB879_175
	s_branch .LBB879_170
.LBB879_176:                            ;   in Loop: Header=BB879_172 Depth=1
                                        ; implicit-def: $sgpr17
	s_and_b64 s[6:7], exec, s[0:1]
	s_or_b64 s[4:5], s[6:7], s[4:5]
	s_andn2_b64 exec, exec, s[4:5]
	s_cbranch_execnz .LBB879_172
.LBB879_177:
	s_or_b64 exec, exec, s[4:5]
	v_add_u32_e32 v0, v36, v55
	v_or_b32_e32 v0, 0x80000000, v0
	global_store_dword v[2:3], v0, off
	v_lshlrev_b32_e32 v0, 2, v18
	global_load_dword v1, v0, s[52:53]
	v_sub_u32_e32 v2, v36, v52
	s_waitcnt vmcnt(0)
	v_add_u32_e32 v1, v2, v1
	ds_write_b32 v0, v1
.LBB879_178:
	s_or_b64 exec, exec, s[2:3]
	v_lshlrev_b32_e32 v31, 2, v18
	v_add_u32_e32 v58, v75, v6
	s_movk_i32 s2, 0x400
	v_add_u32_e32 v36, 0x400, v31
	v_add3_u32 v62, v15, v62, v14
	v_add3_u32 v64, v69, v64, v67
	;; [unrolled: 1-line block ×15, first 2 shown]
	s_mov_b32 s3, 0
	s_mov_b32 s4, 3
	s_movk_i32 s5, 0x200
	s_movk_i32 s6, 0x600
	v_mov_b32_e32 v17, 0
	v_mov_b32_e32 v29, s47
	;; [unrolled: 1-line block ×3, first 2 shown]
                                        ; implicit-def: $vgpr0
.LBB879_179:                            ; =>This Inner Loop Header: Depth=1
	v_add_u32_e32 v16, s3, v58
	v_add_u32_e32 v34, s3, v70
	;; [unrolled: 1-line block ×16, first 2 shown]
	v_min_u32_e32 v16, 0x800, v16
	v_min_u32_e32 v34, 0x800, v34
	;; [unrolled: 1-line block ×16, first 2 shown]
	v_lshlrev_b32_e32 v16, 2, v16
	v_lshlrev_b32_e32 v34, 2, v34
	;; [unrolled: 1-line block ×16, first 2 shown]
	ds_write_b32 v16, v21 offset:1024
	ds_write_b32 v34, v22 offset:1024
	ds_write_b32 v38, v23 offset:1024
	ds_write_b32 v39, v24 offset:1024
	ds_write_b32 v41, v25 offset:1024
	ds_write_b32 v43, v26 offset:1024
	ds_write_b32 v44, v27 offset:1024
	ds_write_b32 v46, v28 offset:1024
	ds_write_b32 v47, v32 offset:1024
	ds_write_b32 v48, v37 offset:1024
	ds_write_b32 v49, v42 offset:1024
	ds_write_b32 v50, v45 offset:1024
	ds_write_b32 v51, v40 offset:1024
	ds_write_b32 v71, v35 offset:1024
	ds_write_b32 v72, v30 offset:1024
	ds_write_b32 v73, v59 offset:1024
	s_waitcnt lgkmcnt(0)
	s_barrier
	ds_read_b32 v16, v31 offset:1024
	s_add_i32 s7, s4, -3
	s_add_i32 s12, s4, -2
	;; [unrolled: 1-line block ×3, first 2 shown]
	s_addk_i32 s3, 0xf800
	s_waitcnt lgkmcnt(0)
	v_lshrrev_b32_e32 v34, s56, v16
	v_and_b32_e32 v34, s15, v34
	v_xor_b32_e32 v41, 0x80000000, v16
	v_lshlrev_b32_e32 v16, 2, v34
	ds_read_b32 v16, v16
	s_waitcnt lgkmcnt(0)
	v_add_u32_e32 v16, v33, v16
	v_lshlrev_b64 v[38:39], 2, v[16:17]
	v_add_co_u32_e64 v38, s[0:1], s46, v38
	v_addc_co_u32_e64 v39, s[0:1], v29, v39, s[0:1]
	global_store_dword v[38:39], v41, off
	s_set_gpr_idx_on s7, gpr_idx(DST)
	v_mov_b32_e32 v0, v34
	s_set_gpr_idx_off
	ds_read_b32 v16, v36 offset:2048
	s_waitcnt lgkmcnt(0)
	v_lshrrev_b32_e32 v34, s56, v16
	v_and_b32_e32 v34, s15, v34
	v_xor_b32_e32 v41, 0x80000000, v16
	v_lshlrev_b32_e32 v16, 2, v34
	ds_read_b32 v16, v16
	s_waitcnt lgkmcnt(0)
	v_add3_u32 v16, v33, v16, s5
	v_lshlrev_b64 v[38:39], 2, v[16:17]
	v_add_co_u32_e64 v38, s[0:1], s46, v38
	v_addc_co_u32_e64 v39, s[0:1], v29, v39, s[0:1]
	global_store_dword v[38:39], v41, off
	s_set_gpr_idx_on s12, gpr_idx(DST)
	v_mov_b32_e32 v0, v34
	s_set_gpr_idx_off
	ds_read_b32 v16, v36 offset:4096
	s_waitcnt lgkmcnt(0)
	v_lshrrev_b32_e32 v34, s56, v16
	v_and_b32_e32 v34, s15, v34
	v_xor_b32_e32 v41, 0x80000000, v16
	v_lshlrev_b32_e32 v16, 2, v34
	ds_read_b32 v16, v16
	s_waitcnt lgkmcnt(0)
	v_add3_u32 v16, v33, v16, s2
	;; [unrolled: 16-line block ×3, first 2 shown]
	v_lshlrev_b64 v[38:39], 2, v[16:17]
	v_add_co_u32_e64 v38, s[0:1], s46, v38
	v_addc_co_u32_e64 v39, s[0:1], v29, v39, s[0:1]
	global_store_dword v[38:39], v41, off
	s_set_gpr_idx_on s4, gpr_idx(DST)
	v_mov_b32_e32 v0, v34
	s_set_gpr_idx_off
	s_add_i32 s4, s4, 4
	v_add_u32_e32 v33, 0x800, v33
	s_cmpk_lg_i32 s3, 0xe000
	s_barrier
	s_cbranch_scc1 .LBB879_179
; %bb.180:
	s_lshl_b64 s[0:1], s[10:11], 3
	s_add_u32 s0, s48, s0
	s_addc_u32 s1, s49, s1
	v_lshlrev_b32_e32 v16, 3, v20
	v_mov_b32_e32 v17, s1
	v_add_co_u32_e64 v16, s[0:1], s0, v16
	v_addc_co_u32_e64 v17, s[0:1], 0, v17, s[0:1]
	v_lshlrev_b32_e32 v19, 3, v19
	v_add_co_u32_e64 v34, s[0:1], v16, v19
	v_addc_co_u32_e64 v35, s[0:1], 0, v17, s[0:1]
	s_movk_i32 s0, 0x1000
	v_add_co_u32_e64 v50, s[0:1], s0, v34
	v_addc_co_u32_e64 v51, s[0:1], 0, v35, s[0:1]
	global_load_dwordx2 v[16:17], v[34:35], off
	global_load_dwordx2 v[20:21], v[34:35], off offset:512
	global_load_dwordx2 v[22:23], v[34:35], off offset:1024
	;; [unrolled: 1-line block ×7, first 2 shown]
	s_nop 0
	global_load_dwordx2 v[34:35], v[50:51], off
	global_load_dwordx2 v[36:37], v[50:51], off offset:512
	global_load_dwordx2 v[38:39], v[50:51], off offset:1024
	;; [unrolled: 1-line block ×7, first 2 shown]
	v_lshlrev_b32_e32 v19, 3, v18
	s_mov_b32 s2, 0
	v_add_u32_e32 v59, 0x400, v19
	s_mov_b32 s3, 1
	s_movk_i32 s4, 0x200
	v_mov_b32_e32 v51, 0
	v_mov_b32_e32 v71, v18
	s_waitcnt vmcnt(0)
.LBB879_181:                            ; =>This Inner Loop Header: Depth=1
	v_add_u32_e32 v50, s2, v58
	v_add_u32_e32 v72, s2, v70
	;; [unrolled: 1-line block ×16, first 2 shown]
	v_min_u32_e32 v50, 0x400, v50
	v_min_u32_e32 v72, 0x400, v72
	;; [unrolled: 1-line block ×3, first 2 shown]
	s_add_i32 s0, s3, -1
	v_min_u32_e32 v74, 0x400, v74
	v_min_u32_e32 v75, 0x400, v75
	;; [unrolled: 1-line block ×13, first 2 shown]
	v_lshlrev_b32_e32 v50, 3, v50
	v_lshlrev_b32_e32 v72, 3, v72
	;; [unrolled: 1-line block ×16, first 2 shown]
	ds_write_b64 v50, v[16:17] offset:1024
	ds_write_b64 v72, v[20:21] offset:1024
	;; [unrolled: 1-line block ×16, first 2 shown]
	s_waitcnt lgkmcnt(0)
	s_barrier
	ds_read_b64 v[72:73], v19 offset:1024
	s_set_gpr_idx_on s0, gpr_idx(SRC0)
	v_mov_b32_e32 v50, v0
	s_set_gpr_idx_off
	v_lshlrev_b32_e32 v50, 2, v50
	ds_read_b32 v50, v50
	ds_read_b64 v[74:75], v59 offset:4096
	v_mov_b32_e32 v87, s51
	s_addk_i32 s2, 0xfc00
	s_waitcnt lgkmcnt(1)
	v_add_u32_e32 v50, v71, v50
	v_lshlrev_b64 v[76:77], 3, v[50:51]
	v_add_co_u32_e64 v76, s[0:1], s50, v76
	v_addc_co_u32_e64 v77, s[0:1], v87, v77, s[0:1]
	global_store_dwordx2 v[76:77], v[72:73], off
	s_set_gpr_idx_on s3, gpr_idx(SRC0)
	v_mov_b32_e32 v50, v0
	s_set_gpr_idx_off
	v_lshlrev_b32_e32 v50, 2, v50
	ds_read_b32 v50, v50
	s_add_i32 s3, s3, 2
	s_cmpk_lg_i32 s2, 0xe000
	s_waitcnt lgkmcnt(0)
	v_add3_u32 v50, v71, v50, s4
	v_lshlrev_b64 v[72:73], 3, v[50:51]
	v_add_co_u32_e64 v72, s[0:1], s50, v72
	v_add_u32_e32 v71, 0x400, v71
	v_addc_co_u32_e64 v73, s[0:1], v87, v73, s[0:1]
	global_store_dwordx2 v[72:73], v[74:75], off
	s_barrier
	s_cbranch_scc1 .LBB879_181
; %bb.182:
	s_add_i32 s14, s14, -1
	s_cmp_eq_u32 s14, s33
	s_cselect_b64 s[0:1], -1, 0
	s_and_b64 s[2:3], vcc, s[0:1]
                                        ; implicit-def: $vgpr2
	s_and_saveexec_b64 s[0:1], s[2:3]
; %bb.183:
	v_add_u32_e32 v2, v52, v55
	s_or_b64 s[8:9], s[8:9], exec
; %bb.184:
	s_or_b64 exec, exec, s[0:1]
.LBB879_185:
	s_and_saveexec_b64 s[0:1], s[8:9]
	s_cbranch_execnz .LBB879_187
; %bb.186:
	s_endpgm
.LBB879_187:
	v_lshlrev_b32_e32 v0, 2, v18
	ds_read_b32 v1, v0
	s_waitcnt lgkmcnt(0)
	v_add_u32_e32 v1, v1, v2
	global_store_dword v0, v1, s[54:55]
	s_endpgm
.LBB879_188:
	global_load_dwordx2 v[20:21], v[42:43], off
	s_or_b64 exec, exec, s[40:41]
                                        ; implicit-def: $vgpr22_vgpr23
	s_and_saveexec_b64 s[40:41], s[8:9]
	s_cbranch_execz .LBB879_102
.LBB879_189:
	global_load_dwordx2 v[22:23], v[42:43], off offset:512
	s_or_b64 exec, exec, s[40:41]
                                        ; implicit-def: $vgpr24_vgpr25
	s_and_saveexec_b64 s[8:9], s[12:13]
	s_cbranch_execz .LBB879_103
.LBB879_190:
	global_load_dwordx2 v[24:25], v[42:43], off offset:1024
	s_or_b64 exec, exec, s[8:9]
                                        ; implicit-def: $vgpr26_vgpr27
	s_and_saveexec_b64 s[8:9], s[16:17]
	s_cbranch_execz .LBB879_104
.LBB879_191:
	global_load_dwordx2 v[26:27], v[42:43], off offset:1536
	s_or_b64 exec, exec, s[8:9]
                                        ; implicit-def: $vgpr28_vgpr29
	s_and_saveexec_b64 s[8:9], s[18:19]
	s_cbranch_execz .LBB879_105
.LBB879_192:
	global_load_dwordx2 v[28:29], v[42:43], off offset:2048
	s_or_b64 exec, exec, s[8:9]
                                        ; implicit-def: $vgpr30_vgpr31
	s_and_saveexec_b64 s[8:9], s[22:23]
	s_cbranch_execz .LBB879_106
.LBB879_193:
	global_load_dwordx2 v[30:31], v[42:43], off offset:2560
	s_or_b64 exec, exec, s[8:9]
                                        ; implicit-def: $vgpr32_vgpr33
	s_and_saveexec_b64 s[8:9], s[26:27]
	s_cbranch_execz .LBB879_107
.LBB879_194:
	global_load_dwordx2 v[32:33], v[42:43], off offset:3072
	s_or_b64 exec, exec, s[8:9]
                                        ; implicit-def: $vgpr34_vgpr35
	s_and_saveexec_b64 s[8:9], s[30:31]
	s_cbranch_execz .LBB879_108
.LBB879_195:
	global_load_dwordx2 v[34:35], v[42:43], off offset:3584
	s_or_b64 exec, exec, s[8:9]
                                        ; implicit-def: $vgpr36_vgpr37
	s_and_saveexec_b64 s[8:9], s[34:35]
	s_cbranch_execz .LBB879_109
.LBB879_196:
	v_add_co_u32_e32 v36, vcc, 0x1000, v42
	v_addc_co_u32_e32 v37, vcc, 0, v43, vcc
	global_load_dwordx2 v[36:37], v[36:37], off
	s_or_b64 exec, exec, s[8:9]
                                        ; implicit-def: $vgpr38_vgpr39
	s_and_saveexec_b64 s[8:9], s[28:29]
	s_cbranch_execz .LBB879_110
.LBB879_197:
	v_add_co_u32_e32 v38, vcc, 0x1000, v42
	v_addc_co_u32_e32 v39, vcc, 0, v43, vcc
	global_load_dwordx2 v[38:39], v[38:39], off offset:512
	s_or_b64 exec, exec, s[8:9]
                                        ; implicit-def: $vgpr40_vgpr41
	s_and_saveexec_b64 s[8:9], s[24:25]
	s_cbranch_execz .LBB879_111
.LBB879_198:
	v_add_co_u32_e32 v40, vcc, 0x1000, v42
	v_addc_co_u32_e32 v41, vcc, 0, v43, vcc
	global_load_dwordx2 v[40:41], v[40:41], off offset:1024
	s_or_b64 exec, exec, s[8:9]
                                        ; implicit-def: $vgpr44_vgpr45
	s_and_saveexec_b64 s[8:9], s[20:21]
	s_cbranch_execz .LBB879_112
.LBB879_199:
	v_add_co_u32_e32 v44, vcc, 0x1000, v42
	v_addc_co_u32_e32 v45, vcc, 0, v43, vcc
	global_load_dwordx2 v[44:45], v[44:45], off offset:1536
	s_or_b64 exec, exec, s[8:9]
                                        ; implicit-def: $vgpr46_vgpr47
	s_and_saveexec_b64 s[8:9], s[14:15]
	s_cbranch_execz .LBB879_113
.LBB879_200:
	v_add_co_u32_e32 v46, vcc, 0x1000, v42
	v_addc_co_u32_e32 v47, vcc, 0, v43, vcc
	global_load_dwordx2 v[46:47], v[46:47], off offset:2048
	s_or_b64 exec, exec, s[8:9]
                                        ; implicit-def: $vgpr48_vgpr49
	s_and_saveexec_b64 s[8:9], s[10:11]
	s_cbranch_execz .LBB879_114
.LBB879_201:
	v_add_co_u32_e32 v48, vcc, 0x1000, v42
	v_addc_co_u32_e32 v49, vcc, 0, v43, vcc
	global_load_dwordx2 v[48:49], v[48:49], off offset:2560
	s_or_b64 exec, exec, s[8:9]
                                        ; implicit-def: $vgpr50_vgpr51
	s_and_saveexec_b64 s[8:9], s[38:39]
	s_cbranch_execz .LBB879_115
.LBB879_202:
	v_add_co_u32_e32 v50, vcc, 0x1000, v42
	v_addc_co_u32_e32 v51, vcc, 0, v43, vcc
	global_load_dwordx2 v[50:51], v[50:51], off offset:3072
	s_or_b64 exec, exec, s[8:9]
                                        ; implicit-def: $vgpr52_vgpr53
	s_and_saveexec_b64 s[8:9], s[2:3]
	s_cbranch_execnz .LBB879_116
	s_branch .LBB879_117
	.section	.rodata,"a",@progbits
	.p2align	6, 0x0
	.amdhsa_kernel _ZN7rocprim17ROCPRIM_400000_NS6detail17trampoline_kernelINS0_14default_configENS1_35radix_sort_onesweep_config_selectorIilEEZZNS1_29radix_sort_onesweep_iterationIS3_Lb0EPiS7_N6thrust23THRUST_200600_302600_NS10device_ptrIlEESB_jNS0_19identity_decomposerENS1_16block_id_wrapperIjLb1EEEEE10hipError_tT1_PNSt15iterator_traitsISG_E10value_typeET2_T3_PNSH_ISM_E10value_typeET4_T5_PSR_SS_PNS1_23onesweep_lookback_stateEbbT6_jjT7_P12ihipStream_tbENKUlT_T0_SG_SL_E_clIS7_S7_SB_PlEEDaSZ_S10_SG_SL_EUlSZ_E_NS1_11comp_targetILNS1_3genE4ELNS1_11target_archE910ELNS1_3gpuE8ELNS1_3repE0EEENS1_47radix_sort_onesweep_sort_config_static_selectorELNS0_4arch9wavefront6targetE1EEEvSG_
		.amdhsa_group_segment_fixed_size 10280
		.amdhsa_private_segment_fixed_size 0
		.amdhsa_kernarg_size 344
		.amdhsa_user_sgpr_count 6
		.amdhsa_user_sgpr_private_segment_buffer 1
		.amdhsa_user_sgpr_dispatch_ptr 0
		.amdhsa_user_sgpr_queue_ptr 0
		.amdhsa_user_sgpr_kernarg_segment_ptr 1
		.amdhsa_user_sgpr_dispatch_id 0
		.amdhsa_user_sgpr_flat_scratch_init 0
		.amdhsa_user_sgpr_kernarg_preload_length 0
		.amdhsa_user_sgpr_kernarg_preload_offset 0
		.amdhsa_user_sgpr_private_segment_size 0
		.amdhsa_uses_dynamic_stack 0
		.amdhsa_system_sgpr_private_segment_wavefront_offset 0
		.amdhsa_system_sgpr_workgroup_id_x 1
		.amdhsa_system_sgpr_workgroup_id_y 0
		.amdhsa_system_sgpr_workgroup_id_z 0
		.amdhsa_system_sgpr_workgroup_info 0
		.amdhsa_system_vgpr_workitem_id 2
		.amdhsa_next_free_vgpr 88
		.amdhsa_next_free_sgpr 72
		.amdhsa_accum_offset 88
		.amdhsa_reserve_vcc 1
		.amdhsa_reserve_flat_scratch 0
		.amdhsa_float_round_mode_32 0
		.amdhsa_float_round_mode_16_64 0
		.amdhsa_float_denorm_mode_32 3
		.amdhsa_float_denorm_mode_16_64 3
		.amdhsa_dx10_clamp 1
		.amdhsa_ieee_mode 1
		.amdhsa_fp16_overflow 0
		.amdhsa_tg_split 0
		.amdhsa_exception_fp_ieee_invalid_op 0
		.amdhsa_exception_fp_denorm_src 0
		.amdhsa_exception_fp_ieee_div_zero 0
		.amdhsa_exception_fp_ieee_overflow 0
		.amdhsa_exception_fp_ieee_underflow 0
		.amdhsa_exception_fp_ieee_inexact 0
		.amdhsa_exception_int_div_zero 0
	.end_amdhsa_kernel
	.section	.text._ZN7rocprim17ROCPRIM_400000_NS6detail17trampoline_kernelINS0_14default_configENS1_35radix_sort_onesweep_config_selectorIilEEZZNS1_29radix_sort_onesweep_iterationIS3_Lb0EPiS7_N6thrust23THRUST_200600_302600_NS10device_ptrIlEESB_jNS0_19identity_decomposerENS1_16block_id_wrapperIjLb1EEEEE10hipError_tT1_PNSt15iterator_traitsISG_E10value_typeET2_T3_PNSH_ISM_E10value_typeET4_T5_PSR_SS_PNS1_23onesweep_lookback_stateEbbT6_jjT7_P12ihipStream_tbENKUlT_T0_SG_SL_E_clIS7_S7_SB_PlEEDaSZ_S10_SG_SL_EUlSZ_E_NS1_11comp_targetILNS1_3genE4ELNS1_11target_archE910ELNS1_3gpuE8ELNS1_3repE0EEENS1_47radix_sort_onesweep_sort_config_static_selectorELNS0_4arch9wavefront6targetE1EEEvSG_,"axG",@progbits,_ZN7rocprim17ROCPRIM_400000_NS6detail17trampoline_kernelINS0_14default_configENS1_35radix_sort_onesweep_config_selectorIilEEZZNS1_29radix_sort_onesweep_iterationIS3_Lb0EPiS7_N6thrust23THRUST_200600_302600_NS10device_ptrIlEESB_jNS0_19identity_decomposerENS1_16block_id_wrapperIjLb1EEEEE10hipError_tT1_PNSt15iterator_traitsISG_E10value_typeET2_T3_PNSH_ISM_E10value_typeET4_T5_PSR_SS_PNS1_23onesweep_lookback_stateEbbT6_jjT7_P12ihipStream_tbENKUlT_T0_SG_SL_E_clIS7_S7_SB_PlEEDaSZ_S10_SG_SL_EUlSZ_E_NS1_11comp_targetILNS1_3genE4ELNS1_11target_archE910ELNS1_3gpuE8ELNS1_3repE0EEENS1_47radix_sort_onesweep_sort_config_static_selectorELNS0_4arch9wavefront6targetE1EEEvSG_,comdat
.Lfunc_end879:
	.size	_ZN7rocprim17ROCPRIM_400000_NS6detail17trampoline_kernelINS0_14default_configENS1_35radix_sort_onesweep_config_selectorIilEEZZNS1_29radix_sort_onesweep_iterationIS3_Lb0EPiS7_N6thrust23THRUST_200600_302600_NS10device_ptrIlEESB_jNS0_19identity_decomposerENS1_16block_id_wrapperIjLb1EEEEE10hipError_tT1_PNSt15iterator_traitsISG_E10value_typeET2_T3_PNSH_ISM_E10value_typeET4_T5_PSR_SS_PNS1_23onesweep_lookback_stateEbbT6_jjT7_P12ihipStream_tbENKUlT_T0_SG_SL_E_clIS7_S7_SB_PlEEDaSZ_S10_SG_SL_EUlSZ_E_NS1_11comp_targetILNS1_3genE4ELNS1_11target_archE910ELNS1_3gpuE8ELNS1_3repE0EEENS1_47radix_sort_onesweep_sort_config_static_selectorELNS0_4arch9wavefront6targetE1EEEvSG_, .Lfunc_end879-_ZN7rocprim17ROCPRIM_400000_NS6detail17trampoline_kernelINS0_14default_configENS1_35radix_sort_onesweep_config_selectorIilEEZZNS1_29radix_sort_onesweep_iterationIS3_Lb0EPiS7_N6thrust23THRUST_200600_302600_NS10device_ptrIlEESB_jNS0_19identity_decomposerENS1_16block_id_wrapperIjLb1EEEEE10hipError_tT1_PNSt15iterator_traitsISG_E10value_typeET2_T3_PNSH_ISM_E10value_typeET4_T5_PSR_SS_PNS1_23onesweep_lookback_stateEbbT6_jjT7_P12ihipStream_tbENKUlT_T0_SG_SL_E_clIS7_S7_SB_PlEEDaSZ_S10_SG_SL_EUlSZ_E_NS1_11comp_targetILNS1_3genE4ELNS1_11target_archE910ELNS1_3gpuE8ELNS1_3repE0EEENS1_47radix_sort_onesweep_sort_config_static_selectorELNS0_4arch9wavefront6targetE1EEEvSG_
                                        ; -- End function
	.section	.AMDGPU.csdata,"",@progbits
; Kernel info:
; codeLenInByte = 20768
; NumSgprs: 76
; NumVgprs: 88
; NumAgprs: 0
; TotalNumVgprs: 88
; ScratchSize: 0
; MemoryBound: 0
; FloatMode: 240
; IeeeMode: 1
; LDSByteSize: 10280 bytes/workgroup (compile time only)
; SGPRBlocks: 9
; VGPRBlocks: 10
; NumSGPRsForWavesPerEU: 76
; NumVGPRsForWavesPerEU: 88
; AccumOffset: 88
; Occupancy: 5
; WaveLimiterHint : 1
; COMPUTE_PGM_RSRC2:SCRATCH_EN: 0
; COMPUTE_PGM_RSRC2:USER_SGPR: 6
; COMPUTE_PGM_RSRC2:TRAP_HANDLER: 0
; COMPUTE_PGM_RSRC2:TGID_X_EN: 1
; COMPUTE_PGM_RSRC2:TGID_Y_EN: 0
; COMPUTE_PGM_RSRC2:TGID_Z_EN: 0
; COMPUTE_PGM_RSRC2:TIDIG_COMP_CNT: 2
; COMPUTE_PGM_RSRC3_GFX90A:ACCUM_OFFSET: 21
; COMPUTE_PGM_RSRC3_GFX90A:TG_SPLIT: 0
	.section	.text._ZN7rocprim17ROCPRIM_400000_NS6detail17trampoline_kernelINS0_14default_configENS1_35radix_sort_onesweep_config_selectorIilEEZZNS1_29radix_sort_onesweep_iterationIS3_Lb0EPiS7_N6thrust23THRUST_200600_302600_NS10device_ptrIlEESB_jNS0_19identity_decomposerENS1_16block_id_wrapperIjLb1EEEEE10hipError_tT1_PNSt15iterator_traitsISG_E10value_typeET2_T3_PNSH_ISM_E10value_typeET4_T5_PSR_SS_PNS1_23onesweep_lookback_stateEbbT6_jjT7_P12ihipStream_tbENKUlT_T0_SG_SL_E_clIS7_S7_SB_PlEEDaSZ_S10_SG_SL_EUlSZ_E_NS1_11comp_targetILNS1_3genE3ELNS1_11target_archE908ELNS1_3gpuE7ELNS1_3repE0EEENS1_47radix_sort_onesweep_sort_config_static_selectorELNS0_4arch9wavefront6targetE1EEEvSG_,"axG",@progbits,_ZN7rocprim17ROCPRIM_400000_NS6detail17trampoline_kernelINS0_14default_configENS1_35radix_sort_onesweep_config_selectorIilEEZZNS1_29radix_sort_onesweep_iterationIS3_Lb0EPiS7_N6thrust23THRUST_200600_302600_NS10device_ptrIlEESB_jNS0_19identity_decomposerENS1_16block_id_wrapperIjLb1EEEEE10hipError_tT1_PNSt15iterator_traitsISG_E10value_typeET2_T3_PNSH_ISM_E10value_typeET4_T5_PSR_SS_PNS1_23onesweep_lookback_stateEbbT6_jjT7_P12ihipStream_tbENKUlT_T0_SG_SL_E_clIS7_S7_SB_PlEEDaSZ_S10_SG_SL_EUlSZ_E_NS1_11comp_targetILNS1_3genE3ELNS1_11target_archE908ELNS1_3gpuE7ELNS1_3repE0EEENS1_47radix_sort_onesweep_sort_config_static_selectorELNS0_4arch9wavefront6targetE1EEEvSG_,comdat
	.protected	_ZN7rocprim17ROCPRIM_400000_NS6detail17trampoline_kernelINS0_14default_configENS1_35radix_sort_onesweep_config_selectorIilEEZZNS1_29radix_sort_onesweep_iterationIS3_Lb0EPiS7_N6thrust23THRUST_200600_302600_NS10device_ptrIlEESB_jNS0_19identity_decomposerENS1_16block_id_wrapperIjLb1EEEEE10hipError_tT1_PNSt15iterator_traitsISG_E10value_typeET2_T3_PNSH_ISM_E10value_typeET4_T5_PSR_SS_PNS1_23onesweep_lookback_stateEbbT6_jjT7_P12ihipStream_tbENKUlT_T0_SG_SL_E_clIS7_S7_SB_PlEEDaSZ_S10_SG_SL_EUlSZ_E_NS1_11comp_targetILNS1_3genE3ELNS1_11target_archE908ELNS1_3gpuE7ELNS1_3repE0EEENS1_47radix_sort_onesweep_sort_config_static_selectorELNS0_4arch9wavefront6targetE1EEEvSG_ ; -- Begin function _ZN7rocprim17ROCPRIM_400000_NS6detail17trampoline_kernelINS0_14default_configENS1_35radix_sort_onesweep_config_selectorIilEEZZNS1_29radix_sort_onesweep_iterationIS3_Lb0EPiS7_N6thrust23THRUST_200600_302600_NS10device_ptrIlEESB_jNS0_19identity_decomposerENS1_16block_id_wrapperIjLb1EEEEE10hipError_tT1_PNSt15iterator_traitsISG_E10value_typeET2_T3_PNSH_ISM_E10value_typeET4_T5_PSR_SS_PNS1_23onesweep_lookback_stateEbbT6_jjT7_P12ihipStream_tbENKUlT_T0_SG_SL_E_clIS7_S7_SB_PlEEDaSZ_S10_SG_SL_EUlSZ_E_NS1_11comp_targetILNS1_3genE3ELNS1_11target_archE908ELNS1_3gpuE7ELNS1_3repE0EEENS1_47radix_sort_onesweep_sort_config_static_selectorELNS0_4arch9wavefront6targetE1EEEvSG_
	.globl	_ZN7rocprim17ROCPRIM_400000_NS6detail17trampoline_kernelINS0_14default_configENS1_35radix_sort_onesweep_config_selectorIilEEZZNS1_29radix_sort_onesweep_iterationIS3_Lb0EPiS7_N6thrust23THRUST_200600_302600_NS10device_ptrIlEESB_jNS0_19identity_decomposerENS1_16block_id_wrapperIjLb1EEEEE10hipError_tT1_PNSt15iterator_traitsISG_E10value_typeET2_T3_PNSH_ISM_E10value_typeET4_T5_PSR_SS_PNS1_23onesweep_lookback_stateEbbT6_jjT7_P12ihipStream_tbENKUlT_T0_SG_SL_E_clIS7_S7_SB_PlEEDaSZ_S10_SG_SL_EUlSZ_E_NS1_11comp_targetILNS1_3genE3ELNS1_11target_archE908ELNS1_3gpuE7ELNS1_3repE0EEENS1_47radix_sort_onesweep_sort_config_static_selectorELNS0_4arch9wavefront6targetE1EEEvSG_
	.p2align	8
	.type	_ZN7rocprim17ROCPRIM_400000_NS6detail17trampoline_kernelINS0_14default_configENS1_35radix_sort_onesweep_config_selectorIilEEZZNS1_29radix_sort_onesweep_iterationIS3_Lb0EPiS7_N6thrust23THRUST_200600_302600_NS10device_ptrIlEESB_jNS0_19identity_decomposerENS1_16block_id_wrapperIjLb1EEEEE10hipError_tT1_PNSt15iterator_traitsISG_E10value_typeET2_T3_PNSH_ISM_E10value_typeET4_T5_PSR_SS_PNS1_23onesweep_lookback_stateEbbT6_jjT7_P12ihipStream_tbENKUlT_T0_SG_SL_E_clIS7_S7_SB_PlEEDaSZ_S10_SG_SL_EUlSZ_E_NS1_11comp_targetILNS1_3genE3ELNS1_11target_archE908ELNS1_3gpuE7ELNS1_3repE0EEENS1_47radix_sort_onesweep_sort_config_static_selectorELNS0_4arch9wavefront6targetE1EEEvSG_,@function
_ZN7rocprim17ROCPRIM_400000_NS6detail17trampoline_kernelINS0_14default_configENS1_35radix_sort_onesweep_config_selectorIilEEZZNS1_29radix_sort_onesweep_iterationIS3_Lb0EPiS7_N6thrust23THRUST_200600_302600_NS10device_ptrIlEESB_jNS0_19identity_decomposerENS1_16block_id_wrapperIjLb1EEEEE10hipError_tT1_PNSt15iterator_traitsISG_E10value_typeET2_T3_PNSH_ISM_E10value_typeET4_T5_PSR_SS_PNS1_23onesweep_lookback_stateEbbT6_jjT7_P12ihipStream_tbENKUlT_T0_SG_SL_E_clIS7_S7_SB_PlEEDaSZ_S10_SG_SL_EUlSZ_E_NS1_11comp_targetILNS1_3genE3ELNS1_11target_archE908ELNS1_3gpuE7ELNS1_3repE0EEENS1_47radix_sort_onesweep_sort_config_static_selectorELNS0_4arch9wavefront6targetE1EEEvSG_: ; @_ZN7rocprim17ROCPRIM_400000_NS6detail17trampoline_kernelINS0_14default_configENS1_35radix_sort_onesweep_config_selectorIilEEZZNS1_29radix_sort_onesweep_iterationIS3_Lb0EPiS7_N6thrust23THRUST_200600_302600_NS10device_ptrIlEESB_jNS0_19identity_decomposerENS1_16block_id_wrapperIjLb1EEEEE10hipError_tT1_PNSt15iterator_traitsISG_E10value_typeET2_T3_PNSH_ISM_E10value_typeET4_T5_PSR_SS_PNS1_23onesweep_lookback_stateEbbT6_jjT7_P12ihipStream_tbENKUlT_T0_SG_SL_E_clIS7_S7_SB_PlEEDaSZ_S10_SG_SL_EUlSZ_E_NS1_11comp_targetILNS1_3genE3ELNS1_11target_archE908ELNS1_3gpuE7ELNS1_3repE0EEENS1_47radix_sort_onesweep_sort_config_static_selectorELNS0_4arch9wavefront6targetE1EEEvSG_
; %bb.0:
	.section	.rodata,"a",@progbits
	.p2align	6, 0x0
	.amdhsa_kernel _ZN7rocprim17ROCPRIM_400000_NS6detail17trampoline_kernelINS0_14default_configENS1_35radix_sort_onesweep_config_selectorIilEEZZNS1_29radix_sort_onesweep_iterationIS3_Lb0EPiS7_N6thrust23THRUST_200600_302600_NS10device_ptrIlEESB_jNS0_19identity_decomposerENS1_16block_id_wrapperIjLb1EEEEE10hipError_tT1_PNSt15iterator_traitsISG_E10value_typeET2_T3_PNSH_ISM_E10value_typeET4_T5_PSR_SS_PNS1_23onesweep_lookback_stateEbbT6_jjT7_P12ihipStream_tbENKUlT_T0_SG_SL_E_clIS7_S7_SB_PlEEDaSZ_S10_SG_SL_EUlSZ_E_NS1_11comp_targetILNS1_3genE3ELNS1_11target_archE908ELNS1_3gpuE7ELNS1_3repE0EEENS1_47radix_sort_onesweep_sort_config_static_selectorELNS0_4arch9wavefront6targetE1EEEvSG_
		.amdhsa_group_segment_fixed_size 0
		.amdhsa_private_segment_fixed_size 0
		.amdhsa_kernarg_size 88
		.amdhsa_user_sgpr_count 6
		.amdhsa_user_sgpr_private_segment_buffer 1
		.amdhsa_user_sgpr_dispatch_ptr 0
		.amdhsa_user_sgpr_queue_ptr 0
		.amdhsa_user_sgpr_kernarg_segment_ptr 1
		.amdhsa_user_sgpr_dispatch_id 0
		.amdhsa_user_sgpr_flat_scratch_init 0
		.amdhsa_user_sgpr_kernarg_preload_length 0
		.amdhsa_user_sgpr_kernarg_preload_offset 0
		.amdhsa_user_sgpr_private_segment_size 0
		.amdhsa_uses_dynamic_stack 0
		.amdhsa_system_sgpr_private_segment_wavefront_offset 0
		.amdhsa_system_sgpr_workgroup_id_x 1
		.amdhsa_system_sgpr_workgroup_id_y 0
		.amdhsa_system_sgpr_workgroup_id_z 0
		.amdhsa_system_sgpr_workgroup_info 0
		.amdhsa_system_vgpr_workitem_id 0
		.amdhsa_next_free_vgpr 1
		.amdhsa_next_free_sgpr 0
		.amdhsa_accum_offset 4
		.amdhsa_reserve_vcc 0
		.amdhsa_reserve_flat_scratch 0
		.amdhsa_float_round_mode_32 0
		.amdhsa_float_round_mode_16_64 0
		.amdhsa_float_denorm_mode_32 3
		.amdhsa_float_denorm_mode_16_64 3
		.amdhsa_dx10_clamp 1
		.amdhsa_ieee_mode 1
		.amdhsa_fp16_overflow 0
		.amdhsa_tg_split 0
		.amdhsa_exception_fp_ieee_invalid_op 0
		.amdhsa_exception_fp_denorm_src 0
		.amdhsa_exception_fp_ieee_div_zero 0
		.amdhsa_exception_fp_ieee_overflow 0
		.amdhsa_exception_fp_ieee_underflow 0
		.amdhsa_exception_fp_ieee_inexact 0
		.amdhsa_exception_int_div_zero 0
	.end_amdhsa_kernel
	.section	.text._ZN7rocprim17ROCPRIM_400000_NS6detail17trampoline_kernelINS0_14default_configENS1_35radix_sort_onesweep_config_selectorIilEEZZNS1_29radix_sort_onesweep_iterationIS3_Lb0EPiS7_N6thrust23THRUST_200600_302600_NS10device_ptrIlEESB_jNS0_19identity_decomposerENS1_16block_id_wrapperIjLb1EEEEE10hipError_tT1_PNSt15iterator_traitsISG_E10value_typeET2_T3_PNSH_ISM_E10value_typeET4_T5_PSR_SS_PNS1_23onesweep_lookback_stateEbbT6_jjT7_P12ihipStream_tbENKUlT_T0_SG_SL_E_clIS7_S7_SB_PlEEDaSZ_S10_SG_SL_EUlSZ_E_NS1_11comp_targetILNS1_3genE3ELNS1_11target_archE908ELNS1_3gpuE7ELNS1_3repE0EEENS1_47radix_sort_onesweep_sort_config_static_selectorELNS0_4arch9wavefront6targetE1EEEvSG_,"axG",@progbits,_ZN7rocprim17ROCPRIM_400000_NS6detail17trampoline_kernelINS0_14default_configENS1_35radix_sort_onesweep_config_selectorIilEEZZNS1_29radix_sort_onesweep_iterationIS3_Lb0EPiS7_N6thrust23THRUST_200600_302600_NS10device_ptrIlEESB_jNS0_19identity_decomposerENS1_16block_id_wrapperIjLb1EEEEE10hipError_tT1_PNSt15iterator_traitsISG_E10value_typeET2_T3_PNSH_ISM_E10value_typeET4_T5_PSR_SS_PNS1_23onesweep_lookback_stateEbbT6_jjT7_P12ihipStream_tbENKUlT_T0_SG_SL_E_clIS7_S7_SB_PlEEDaSZ_S10_SG_SL_EUlSZ_E_NS1_11comp_targetILNS1_3genE3ELNS1_11target_archE908ELNS1_3gpuE7ELNS1_3repE0EEENS1_47radix_sort_onesweep_sort_config_static_selectorELNS0_4arch9wavefront6targetE1EEEvSG_,comdat
.Lfunc_end880:
	.size	_ZN7rocprim17ROCPRIM_400000_NS6detail17trampoline_kernelINS0_14default_configENS1_35radix_sort_onesweep_config_selectorIilEEZZNS1_29radix_sort_onesweep_iterationIS3_Lb0EPiS7_N6thrust23THRUST_200600_302600_NS10device_ptrIlEESB_jNS0_19identity_decomposerENS1_16block_id_wrapperIjLb1EEEEE10hipError_tT1_PNSt15iterator_traitsISG_E10value_typeET2_T3_PNSH_ISM_E10value_typeET4_T5_PSR_SS_PNS1_23onesweep_lookback_stateEbbT6_jjT7_P12ihipStream_tbENKUlT_T0_SG_SL_E_clIS7_S7_SB_PlEEDaSZ_S10_SG_SL_EUlSZ_E_NS1_11comp_targetILNS1_3genE3ELNS1_11target_archE908ELNS1_3gpuE7ELNS1_3repE0EEENS1_47radix_sort_onesweep_sort_config_static_selectorELNS0_4arch9wavefront6targetE1EEEvSG_, .Lfunc_end880-_ZN7rocprim17ROCPRIM_400000_NS6detail17trampoline_kernelINS0_14default_configENS1_35radix_sort_onesweep_config_selectorIilEEZZNS1_29radix_sort_onesweep_iterationIS3_Lb0EPiS7_N6thrust23THRUST_200600_302600_NS10device_ptrIlEESB_jNS0_19identity_decomposerENS1_16block_id_wrapperIjLb1EEEEE10hipError_tT1_PNSt15iterator_traitsISG_E10value_typeET2_T3_PNSH_ISM_E10value_typeET4_T5_PSR_SS_PNS1_23onesweep_lookback_stateEbbT6_jjT7_P12ihipStream_tbENKUlT_T0_SG_SL_E_clIS7_S7_SB_PlEEDaSZ_S10_SG_SL_EUlSZ_E_NS1_11comp_targetILNS1_3genE3ELNS1_11target_archE908ELNS1_3gpuE7ELNS1_3repE0EEENS1_47radix_sort_onesweep_sort_config_static_selectorELNS0_4arch9wavefront6targetE1EEEvSG_
                                        ; -- End function
	.section	.AMDGPU.csdata,"",@progbits
; Kernel info:
; codeLenInByte = 0
; NumSgprs: 4
; NumVgprs: 0
; NumAgprs: 0
; TotalNumVgprs: 0
; ScratchSize: 0
; MemoryBound: 0
; FloatMode: 240
; IeeeMode: 1
; LDSByteSize: 0 bytes/workgroup (compile time only)
; SGPRBlocks: 0
; VGPRBlocks: 0
; NumSGPRsForWavesPerEU: 4
; NumVGPRsForWavesPerEU: 1
; AccumOffset: 4
; Occupancy: 8
; WaveLimiterHint : 0
; COMPUTE_PGM_RSRC2:SCRATCH_EN: 0
; COMPUTE_PGM_RSRC2:USER_SGPR: 6
; COMPUTE_PGM_RSRC2:TRAP_HANDLER: 0
; COMPUTE_PGM_RSRC2:TGID_X_EN: 1
; COMPUTE_PGM_RSRC2:TGID_Y_EN: 0
; COMPUTE_PGM_RSRC2:TGID_Z_EN: 0
; COMPUTE_PGM_RSRC2:TIDIG_COMP_CNT: 0
; COMPUTE_PGM_RSRC3_GFX90A:ACCUM_OFFSET: 0
; COMPUTE_PGM_RSRC3_GFX90A:TG_SPLIT: 0
	.section	.text._ZN7rocprim17ROCPRIM_400000_NS6detail17trampoline_kernelINS0_14default_configENS1_35radix_sort_onesweep_config_selectorIilEEZZNS1_29radix_sort_onesweep_iterationIS3_Lb0EPiS7_N6thrust23THRUST_200600_302600_NS10device_ptrIlEESB_jNS0_19identity_decomposerENS1_16block_id_wrapperIjLb1EEEEE10hipError_tT1_PNSt15iterator_traitsISG_E10value_typeET2_T3_PNSH_ISM_E10value_typeET4_T5_PSR_SS_PNS1_23onesweep_lookback_stateEbbT6_jjT7_P12ihipStream_tbENKUlT_T0_SG_SL_E_clIS7_S7_SB_PlEEDaSZ_S10_SG_SL_EUlSZ_E_NS1_11comp_targetILNS1_3genE10ELNS1_11target_archE1201ELNS1_3gpuE5ELNS1_3repE0EEENS1_47radix_sort_onesweep_sort_config_static_selectorELNS0_4arch9wavefront6targetE1EEEvSG_,"axG",@progbits,_ZN7rocprim17ROCPRIM_400000_NS6detail17trampoline_kernelINS0_14default_configENS1_35radix_sort_onesweep_config_selectorIilEEZZNS1_29radix_sort_onesweep_iterationIS3_Lb0EPiS7_N6thrust23THRUST_200600_302600_NS10device_ptrIlEESB_jNS0_19identity_decomposerENS1_16block_id_wrapperIjLb1EEEEE10hipError_tT1_PNSt15iterator_traitsISG_E10value_typeET2_T3_PNSH_ISM_E10value_typeET4_T5_PSR_SS_PNS1_23onesweep_lookback_stateEbbT6_jjT7_P12ihipStream_tbENKUlT_T0_SG_SL_E_clIS7_S7_SB_PlEEDaSZ_S10_SG_SL_EUlSZ_E_NS1_11comp_targetILNS1_3genE10ELNS1_11target_archE1201ELNS1_3gpuE5ELNS1_3repE0EEENS1_47radix_sort_onesweep_sort_config_static_selectorELNS0_4arch9wavefront6targetE1EEEvSG_,comdat
	.protected	_ZN7rocprim17ROCPRIM_400000_NS6detail17trampoline_kernelINS0_14default_configENS1_35radix_sort_onesweep_config_selectorIilEEZZNS1_29radix_sort_onesweep_iterationIS3_Lb0EPiS7_N6thrust23THRUST_200600_302600_NS10device_ptrIlEESB_jNS0_19identity_decomposerENS1_16block_id_wrapperIjLb1EEEEE10hipError_tT1_PNSt15iterator_traitsISG_E10value_typeET2_T3_PNSH_ISM_E10value_typeET4_T5_PSR_SS_PNS1_23onesweep_lookback_stateEbbT6_jjT7_P12ihipStream_tbENKUlT_T0_SG_SL_E_clIS7_S7_SB_PlEEDaSZ_S10_SG_SL_EUlSZ_E_NS1_11comp_targetILNS1_3genE10ELNS1_11target_archE1201ELNS1_3gpuE5ELNS1_3repE0EEENS1_47radix_sort_onesweep_sort_config_static_selectorELNS0_4arch9wavefront6targetE1EEEvSG_ ; -- Begin function _ZN7rocprim17ROCPRIM_400000_NS6detail17trampoline_kernelINS0_14default_configENS1_35radix_sort_onesweep_config_selectorIilEEZZNS1_29radix_sort_onesweep_iterationIS3_Lb0EPiS7_N6thrust23THRUST_200600_302600_NS10device_ptrIlEESB_jNS0_19identity_decomposerENS1_16block_id_wrapperIjLb1EEEEE10hipError_tT1_PNSt15iterator_traitsISG_E10value_typeET2_T3_PNSH_ISM_E10value_typeET4_T5_PSR_SS_PNS1_23onesweep_lookback_stateEbbT6_jjT7_P12ihipStream_tbENKUlT_T0_SG_SL_E_clIS7_S7_SB_PlEEDaSZ_S10_SG_SL_EUlSZ_E_NS1_11comp_targetILNS1_3genE10ELNS1_11target_archE1201ELNS1_3gpuE5ELNS1_3repE0EEENS1_47radix_sort_onesweep_sort_config_static_selectorELNS0_4arch9wavefront6targetE1EEEvSG_
	.globl	_ZN7rocprim17ROCPRIM_400000_NS6detail17trampoline_kernelINS0_14default_configENS1_35radix_sort_onesweep_config_selectorIilEEZZNS1_29radix_sort_onesweep_iterationIS3_Lb0EPiS7_N6thrust23THRUST_200600_302600_NS10device_ptrIlEESB_jNS0_19identity_decomposerENS1_16block_id_wrapperIjLb1EEEEE10hipError_tT1_PNSt15iterator_traitsISG_E10value_typeET2_T3_PNSH_ISM_E10value_typeET4_T5_PSR_SS_PNS1_23onesweep_lookback_stateEbbT6_jjT7_P12ihipStream_tbENKUlT_T0_SG_SL_E_clIS7_S7_SB_PlEEDaSZ_S10_SG_SL_EUlSZ_E_NS1_11comp_targetILNS1_3genE10ELNS1_11target_archE1201ELNS1_3gpuE5ELNS1_3repE0EEENS1_47radix_sort_onesweep_sort_config_static_selectorELNS0_4arch9wavefront6targetE1EEEvSG_
	.p2align	8
	.type	_ZN7rocprim17ROCPRIM_400000_NS6detail17trampoline_kernelINS0_14default_configENS1_35radix_sort_onesweep_config_selectorIilEEZZNS1_29radix_sort_onesweep_iterationIS3_Lb0EPiS7_N6thrust23THRUST_200600_302600_NS10device_ptrIlEESB_jNS0_19identity_decomposerENS1_16block_id_wrapperIjLb1EEEEE10hipError_tT1_PNSt15iterator_traitsISG_E10value_typeET2_T3_PNSH_ISM_E10value_typeET4_T5_PSR_SS_PNS1_23onesweep_lookback_stateEbbT6_jjT7_P12ihipStream_tbENKUlT_T0_SG_SL_E_clIS7_S7_SB_PlEEDaSZ_S10_SG_SL_EUlSZ_E_NS1_11comp_targetILNS1_3genE10ELNS1_11target_archE1201ELNS1_3gpuE5ELNS1_3repE0EEENS1_47radix_sort_onesweep_sort_config_static_selectorELNS0_4arch9wavefront6targetE1EEEvSG_,@function
_ZN7rocprim17ROCPRIM_400000_NS6detail17trampoline_kernelINS0_14default_configENS1_35radix_sort_onesweep_config_selectorIilEEZZNS1_29radix_sort_onesweep_iterationIS3_Lb0EPiS7_N6thrust23THRUST_200600_302600_NS10device_ptrIlEESB_jNS0_19identity_decomposerENS1_16block_id_wrapperIjLb1EEEEE10hipError_tT1_PNSt15iterator_traitsISG_E10value_typeET2_T3_PNSH_ISM_E10value_typeET4_T5_PSR_SS_PNS1_23onesweep_lookback_stateEbbT6_jjT7_P12ihipStream_tbENKUlT_T0_SG_SL_E_clIS7_S7_SB_PlEEDaSZ_S10_SG_SL_EUlSZ_E_NS1_11comp_targetILNS1_3genE10ELNS1_11target_archE1201ELNS1_3gpuE5ELNS1_3repE0EEENS1_47radix_sort_onesweep_sort_config_static_selectorELNS0_4arch9wavefront6targetE1EEEvSG_: ; @_ZN7rocprim17ROCPRIM_400000_NS6detail17trampoline_kernelINS0_14default_configENS1_35radix_sort_onesweep_config_selectorIilEEZZNS1_29radix_sort_onesweep_iterationIS3_Lb0EPiS7_N6thrust23THRUST_200600_302600_NS10device_ptrIlEESB_jNS0_19identity_decomposerENS1_16block_id_wrapperIjLb1EEEEE10hipError_tT1_PNSt15iterator_traitsISG_E10value_typeET2_T3_PNSH_ISM_E10value_typeET4_T5_PSR_SS_PNS1_23onesweep_lookback_stateEbbT6_jjT7_P12ihipStream_tbENKUlT_T0_SG_SL_E_clIS7_S7_SB_PlEEDaSZ_S10_SG_SL_EUlSZ_E_NS1_11comp_targetILNS1_3genE10ELNS1_11target_archE1201ELNS1_3gpuE5ELNS1_3repE0EEENS1_47radix_sort_onesweep_sort_config_static_selectorELNS0_4arch9wavefront6targetE1EEEvSG_
; %bb.0:
	.section	.rodata,"a",@progbits
	.p2align	6, 0x0
	.amdhsa_kernel _ZN7rocprim17ROCPRIM_400000_NS6detail17trampoline_kernelINS0_14default_configENS1_35radix_sort_onesweep_config_selectorIilEEZZNS1_29radix_sort_onesweep_iterationIS3_Lb0EPiS7_N6thrust23THRUST_200600_302600_NS10device_ptrIlEESB_jNS0_19identity_decomposerENS1_16block_id_wrapperIjLb1EEEEE10hipError_tT1_PNSt15iterator_traitsISG_E10value_typeET2_T3_PNSH_ISM_E10value_typeET4_T5_PSR_SS_PNS1_23onesweep_lookback_stateEbbT6_jjT7_P12ihipStream_tbENKUlT_T0_SG_SL_E_clIS7_S7_SB_PlEEDaSZ_S10_SG_SL_EUlSZ_E_NS1_11comp_targetILNS1_3genE10ELNS1_11target_archE1201ELNS1_3gpuE5ELNS1_3repE0EEENS1_47radix_sort_onesweep_sort_config_static_selectorELNS0_4arch9wavefront6targetE1EEEvSG_
		.amdhsa_group_segment_fixed_size 0
		.amdhsa_private_segment_fixed_size 0
		.amdhsa_kernarg_size 88
		.amdhsa_user_sgpr_count 6
		.amdhsa_user_sgpr_private_segment_buffer 1
		.amdhsa_user_sgpr_dispatch_ptr 0
		.amdhsa_user_sgpr_queue_ptr 0
		.amdhsa_user_sgpr_kernarg_segment_ptr 1
		.amdhsa_user_sgpr_dispatch_id 0
		.amdhsa_user_sgpr_flat_scratch_init 0
		.amdhsa_user_sgpr_kernarg_preload_length 0
		.amdhsa_user_sgpr_kernarg_preload_offset 0
		.amdhsa_user_sgpr_private_segment_size 0
		.amdhsa_uses_dynamic_stack 0
		.amdhsa_system_sgpr_private_segment_wavefront_offset 0
		.amdhsa_system_sgpr_workgroup_id_x 1
		.amdhsa_system_sgpr_workgroup_id_y 0
		.amdhsa_system_sgpr_workgroup_id_z 0
		.amdhsa_system_sgpr_workgroup_info 0
		.amdhsa_system_vgpr_workitem_id 0
		.amdhsa_next_free_vgpr 1
		.amdhsa_next_free_sgpr 0
		.amdhsa_accum_offset 4
		.amdhsa_reserve_vcc 0
		.amdhsa_reserve_flat_scratch 0
		.amdhsa_float_round_mode_32 0
		.amdhsa_float_round_mode_16_64 0
		.amdhsa_float_denorm_mode_32 3
		.amdhsa_float_denorm_mode_16_64 3
		.amdhsa_dx10_clamp 1
		.amdhsa_ieee_mode 1
		.amdhsa_fp16_overflow 0
		.amdhsa_tg_split 0
		.amdhsa_exception_fp_ieee_invalid_op 0
		.amdhsa_exception_fp_denorm_src 0
		.amdhsa_exception_fp_ieee_div_zero 0
		.amdhsa_exception_fp_ieee_overflow 0
		.amdhsa_exception_fp_ieee_underflow 0
		.amdhsa_exception_fp_ieee_inexact 0
		.amdhsa_exception_int_div_zero 0
	.end_amdhsa_kernel
	.section	.text._ZN7rocprim17ROCPRIM_400000_NS6detail17trampoline_kernelINS0_14default_configENS1_35radix_sort_onesweep_config_selectorIilEEZZNS1_29radix_sort_onesweep_iterationIS3_Lb0EPiS7_N6thrust23THRUST_200600_302600_NS10device_ptrIlEESB_jNS0_19identity_decomposerENS1_16block_id_wrapperIjLb1EEEEE10hipError_tT1_PNSt15iterator_traitsISG_E10value_typeET2_T3_PNSH_ISM_E10value_typeET4_T5_PSR_SS_PNS1_23onesweep_lookback_stateEbbT6_jjT7_P12ihipStream_tbENKUlT_T0_SG_SL_E_clIS7_S7_SB_PlEEDaSZ_S10_SG_SL_EUlSZ_E_NS1_11comp_targetILNS1_3genE10ELNS1_11target_archE1201ELNS1_3gpuE5ELNS1_3repE0EEENS1_47radix_sort_onesweep_sort_config_static_selectorELNS0_4arch9wavefront6targetE1EEEvSG_,"axG",@progbits,_ZN7rocprim17ROCPRIM_400000_NS6detail17trampoline_kernelINS0_14default_configENS1_35radix_sort_onesweep_config_selectorIilEEZZNS1_29radix_sort_onesweep_iterationIS3_Lb0EPiS7_N6thrust23THRUST_200600_302600_NS10device_ptrIlEESB_jNS0_19identity_decomposerENS1_16block_id_wrapperIjLb1EEEEE10hipError_tT1_PNSt15iterator_traitsISG_E10value_typeET2_T3_PNSH_ISM_E10value_typeET4_T5_PSR_SS_PNS1_23onesweep_lookback_stateEbbT6_jjT7_P12ihipStream_tbENKUlT_T0_SG_SL_E_clIS7_S7_SB_PlEEDaSZ_S10_SG_SL_EUlSZ_E_NS1_11comp_targetILNS1_3genE10ELNS1_11target_archE1201ELNS1_3gpuE5ELNS1_3repE0EEENS1_47radix_sort_onesweep_sort_config_static_selectorELNS0_4arch9wavefront6targetE1EEEvSG_,comdat
.Lfunc_end881:
	.size	_ZN7rocprim17ROCPRIM_400000_NS6detail17trampoline_kernelINS0_14default_configENS1_35radix_sort_onesweep_config_selectorIilEEZZNS1_29radix_sort_onesweep_iterationIS3_Lb0EPiS7_N6thrust23THRUST_200600_302600_NS10device_ptrIlEESB_jNS0_19identity_decomposerENS1_16block_id_wrapperIjLb1EEEEE10hipError_tT1_PNSt15iterator_traitsISG_E10value_typeET2_T3_PNSH_ISM_E10value_typeET4_T5_PSR_SS_PNS1_23onesweep_lookback_stateEbbT6_jjT7_P12ihipStream_tbENKUlT_T0_SG_SL_E_clIS7_S7_SB_PlEEDaSZ_S10_SG_SL_EUlSZ_E_NS1_11comp_targetILNS1_3genE10ELNS1_11target_archE1201ELNS1_3gpuE5ELNS1_3repE0EEENS1_47radix_sort_onesweep_sort_config_static_selectorELNS0_4arch9wavefront6targetE1EEEvSG_, .Lfunc_end881-_ZN7rocprim17ROCPRIM_400000_NS6detail17trampoline_kernelINS0_14default_configENS1_35radix_sort_onesweep_config_selectorIilEEZZNS1_29radix_sort_onesweep_iterationIS3_Lb0EPiS7_N6thrust23THRUST_200600_302600_NS10device_ptrIlEESB_jNS0_19identity_decomposerENS1_16block_id_wrapperIjLb1EEEEE10hipError_tT1_PNSt15iterator_traitsISG_E10value_typeET2_T3_PNSH_ISM_E10value_typeET4_T5_PSR_SS_PNS1_23onesweep_lookback_stateEbbT6_jjT7_P12ihipStream_tbENKUlT_T0_SG_SL_E_clIS7_S7_SB_PlEEDaSZ_S10_SG_SL_EUlSZ_E_NS1_11comp_targetILNS1_3genE10ELNS1_11target_archE1201ELNS1_3gpuE5ELNS1_3repE0EEENS1_47radix_sort_onesweep_sort_config_static_selectorELNS0_4arch9wavefront6targetE1EEEvSG_
                                        ; -- End function
	.section	.AMDGPU.csdata,"",@progbits
; Kernel info:
; codeLenInByte = 0
; NumSgprs: 4
; NumVgprs: 0
; NumAgprs: 0
; TotalNumVgprs: 0
; ScratchSize: 0
; MemoryBound: 0
; FloatMode: 240
; IeeeMode: 1
; LDSByteSize: 0 bytes/workgroup (compile time only)
; SGPRBlocks: 0
; VGPRBlocks: 0
; NumSGPRsForWavesPerEU: 4
; NumVGPRsForWavesPerEU: 1
; AccumOffset: 4
; Occupancy: 8
; WaveLimiterHint : 0
; COMPUTE_PGM_RSRC2:SCRATCH_EN: 0
; COMPUTE_PGM_RSRC2:USER_SGPR: 6
; COMPUTE_PGM_RSRC2:TRAP_HANDLER: 0
; COMPUTE_PGM_RSRC2:TGID_X_EN: 1
; COMPUTE_PGM_RSRC2:TGID_Y_EN: 0
; COMPUTE_PGM_RSRC2:TGID_Z_EN: 0
; COMPUTE_PGM_RSRC2:TIDIG_COMP_CNT: 0
; COMPUTE_PGM_RSRC3_GFX90A:ACCUM_OFFSET: 0
; COMPUTE_PGM_RSRC3_GFX90A:TG_SPLIT: 0
	.section	.text._ZN7rocprim17ROCPRIM_400000_NS6detail17trampoline_kernelINS0_14default_configENS1_35radix_sort_onesweep_config_selectorIilEEZZNS1_29radix_sort_onesweep_iterationIS3_Lb0EPiS7_N6thrust23THRUST_200600_302600_NS10device_ptrIlEESB_jNS0_19identity_decomposerENS1_16block_id_wrapperIjLb1EEEEE10hipError_tT1_PNSt15iterator_traitsISG_E10value_typeET2_T3_PNSH_ISM_E10value_typeET4_T5_PSR_SS_PNS1_23onesweep_lookback_stateEbbT6_jjT7_P12ihipStream_tbENKUlT_T0_SG_SL_E_clIS7_S7_SB_PlEEDaSZ_S10_SG_SL_EUlSZ_E_NS1_11comp_targetILNS1_3genE9ELNS1_11target_archE1100ELNS1_3gpuE3ELNS1_3repE0EEENS1_47radix_sort_onesweep_sort_config_static_selectorELNS0_4arch9wavefront6targetE1EEEvSG_,"axG",@progbits,_ZN7rocprim17ROCPRIM_400000_NS6detail17trampoline_kernelINS0_14default_configENS1_35radix_sort_onesweep_config_selectorIilEEZZNS1_29radix_sort_onesweep_iterationIS3_Lb0EPiS7_N6thrust23THRUST_200600_302600_NS10device_ptrIlEESB_jNS0_19identity_decomposerENS1_16block_id_wrapperIjLb1EEEEE10hipError_tT1_PNSt15iterator_traitsISG_E10value_typeET2_T3_PNSH_ISM_E10value_typeET4_T5_PSR_SS_PNS1_23onesweep_lookback_stateEbbT6_jjT7_P12ihipStream_tbENKUlT_T0_SG_SL_E_clIS7_S7_SB_PlEEDaSZ_S10_SG_SL_EUlSZ_E_NS1_11comp_targetILNS1_3genE9ELNS1_11target_archE1100ELNS1_3gpuE3ELNS1_3repE0EEENS1_47radix_sort_onesweep_sort_config_static_selectorELNS0_4arch9wavefront6targetE1EEEvSG_,comdat
	.protected	_ZN7rocprim17ROCPRIM_400000_NS6detail17trampoline_kernelINS0_14default_configENS1_35radix_sort_onesweep_config_selectorIilEEZZNS1_29radix_sort_onesweep_iterationIS3_Lb0EPiS7_N6thrust23THRUST_200600_302600_NS10device_ptrIlEESB_jNS0_19identity_decomposerENS1_16block_id_wrapperIjLb1EEEEE10hipError_tT1_PNSt15iterator_traitsISG_E10value_typeET2_T3_PNSH_ISM_E10value_typeET4_T5_PSR_SS_PNS1_23onesweep_lookback_stateEbbT6_jjT7_P12ihipStream_tbENKUlT_T0_SG_SL_E_clIS7_S7_SB_PlEEDaSZ_S10_SG_SL_EUlSZ_E_NS1_11comp_targetILNS1_3genE9ELNS1_11target_archE1100ELNS1_3gpuE3ELNS1_3repE0EEENS1_47radix_sort_onesweep_sort_config_static_selectorELNS0_4arch9wavefront6targetE1EEEvSG_ ; -- Begin function _ZN7rocprim17ROCPRIM_400000_NS6detail17trampoline_kernelINS0_14default_configENS1_35radix_sort_onesweep_config_selectorIilEEZZNS1_29radix_sort_onesweep_iterationIS3_Lb0EPiS7_N6thrust23THRUST_200600_302600_NS10device_ptrIlEESB_jNS0_19identity_decomposerENS1_16block_id_wrapperIjLb1EEEEE10hipError_tT1_PNSt15iterator_traitsISG_E10value_typeET2_T3_PNSH_ISM_E10value_typeET4_T5_PSR_SS_PNS1_23onesweep_lookback_stateEbbT6_jjT7_P12ihipStream_tbENKUlT_T0_SG_SL_E_clIS7_S7_SB_PlEEDaSZ_S10_SG_SL_EUlSZ_E_NS1_11comp_targetILNS1_3genE9ELNS1_11target_archE1100ELNS1_3gpuE3ELNS1_3repE0EEENS1_47radix_sort_onesweep_sort_config_static_selectorELNS0_4arch9wavefront6targetE1EEEvSG_
	.globl	_ZN7rocprim17ROCPRIM_400000_NS6detail17trampoline_kernelINS0_14default_configENS1_35radix_sort_onesweep_config_selectorIilEEZZNS1_29radix_sort_onesweep_iterationIS3_Lb0EPiS7_N6thrust23THRUST_200600_302600_NS10device_ptrIlEESB_jNS0_19identity_decomposerENS1_16block_id_wrapperIjLb1EEEEE10hipError_tT1_PNSt15iterator_traitsISG_E10value_typeET2_T3_PNSH_ISM_E10value_typeET4_T5_PSR_SS_PNS1_23onesweep_lookback_stateEbbT6_jjT7_P12ihipStream_tbENKUlT_T0_SG_SL_E_clIS7_S7_SB_PlEEDaSZ_S10_SG_SL_EUlSZ_E_NS1_11comp_targetILNS1_3genE9ELNS1_11target_archE1100ELNS1_3gpuE3ELNS1_3repE0EEENS1_47radix_sort_onesweep_sort_config_static_selectorELNS0_4arch9wavefront6targetE1EEEvSG_
	.p2align	8
	.type	_ZN7rocprim17ROCPRIM_400000_NS6detail17trampoline_kernelINS0_14default_configENS1_35radix_sort_onesweep_config_selectorIilEEZZNS1_29radix_sort_onesweep_iterationIS3_Lb0EPiS7_N6thrust23THRUST_200600_302600_NS10device_ptrIlEESB_jNS0_19identity_decomposerENS1_16block_id_wrapperIjLb1EEEEE10hipError_tT1_PNSt15iterator_traitsISG_E10value_typeET2_T3_PNSH_ISM_E10value_typeET4_T5_PSR_SS_PNS1_23onesweep_lookback_stateEbbT6_jjT7_P12ihipStream_tbENKUlT_T0_SG_SL_E_clIS7_S7_SB_PlEEDaSZ_S10_SG_SL_EUlSZ_E_NS1_11comp_targetILNS1_3genE9ELNS1_11target_archE1100ELNS1_3gpuE3ELNS1_3repE0EEENS1_47radix_sort_onesweep_sort_config_static_selectorELNS0_4arch9wavefront6targetE1EEEvSG_,@function
_ZN7rocprim17ROCPRIM_400000_NS6detail17trampoline_kernelINS0_14default_configENS1_35radix_sort_onesweep_config_selectorIilEEZZNS1_29radix_sort_onesweep_iterationIS3_Lb0EPiS7_N6thrust23THRUST_200600_302600_NS10device_ptrIlEESB_jNS0_19identity_decomposerENS1_16block_id_wrapperIjLb1EEEEE10hipError_tT1_PNSt15iterator_traitsISG_E10value_typeET2_T3_PNSH_ISM_E10value_typeET4_T5_PSR_SS_PNS1_23onesweep_lookback_stateEbbT6_jjT7_P12ihipStream_tbENKUlT_T0_SG_SL_E_clIS7_S7_SB_PlEEDaSZ_S10_SG_SL_EUlSZ_E_NS1_11comp_targetILNS1_3genE9ELNS1_11target_archE1100ELNS1_3gpuE3ELNS1_3repE0EEENS1_47radix_sort_onesweep_sort_config_static_selectorELNS0_4arch9wavefront6targetE1EEEvSG_: ; @_ZN7rocprim17ROCPRIM_400000_NS6detail17trampoline_kernelINS0_14default_configENS1_35radix_sort_onesweep_config_selectorIilEEZZNS1_29radix_sort_onesweep_iterationIS3_Lb0EPiS7_N6thrust23THRUST_200600_302600_NS10device_ptrIlEESB_jNS0_19identity_decomposerENS1_16block_id_wrapperIjLb1EEEEE10hipError_tT1_PNSt15iterator_traitsISG_E10value_typeET2_T3_PNSH_ISM_E10value_typeET4_T5_PSR_SS_PNS1_23onesweep_lookback_stateEbbT6_jjT7_P12ihipStream_tbENKUlT_T0_SG_SL_E_clIS7_S7_SB_PlEEDaSZ_S10_SG_SL_EUlSZ_E_NS1_11comp_targetILNS1_3genE9ELNS1_11target_archE1100ELNS1_3gpuE3ELNS1_3repE0EEENS1_47radix_sort_onesweep_sort_config_static_selectorELNS0_4arch9wavefront6targetE1EEEvSG_
; %bb.0:
	.section	.rodata,"a",@progbits
	.p2align	6, 0x0
	.amdhsa_kernel _ZN7rocprim17ROCPRIM_400000_NS6detail17trampoline_kernelINS0_14default_configENS1_35radix_sort_onesweep_config_selectorIilEEZZNS1_29radix_sort_onesweep_iterationIS3_Lb0EPiS7_N6thrust23THRUST_200600_302600_NS10device_ptrIlEESB_jNS0_19identity_decomposerENS1_16block_id_wrapperIjLb1EEEEE10hipError_tT1_PNSt15iterator_traitsISG_E10value_typeET2_T3_PNSH_ISM_E10value_typeET4_T5_PSR_SS_PNS1_23onesweep_lookback_stateEbbT6_jjT7_P12ihipStream_tbENKUlT_T0_SG_SL_E_clIS7_S7_SB_PlEEDaSZ_S10_SG_SL_EUlSZ_E_NS1_11comp_targetILNS1_3genE9ELNS1_11target_archE1100ELNS1_3gpuE3ELNS1_3repE0EEENS1_47radix_sort_onesweep_sort_config_static_selectorELNS0_4arch9wavefront6targetE1EEEvSG_
		.amdhsa_group_segment_fixed_size 0
		.amdhsa_private_segment_fixed_size 0
		.amdhsa_kernarg_size 88
		.amdhsa_user_sgpr_count 6
		.amdhsa_user_sgpr_private_segment_buffer 1
		.amdhsa_user_sgpr_dispatch_ptr 0
		.amdhsa_user_sgpr_queue_ptr 0
		.amdhsa_user_sgpr_kernarg_segment_ptr 1
		.amdhsa_user_sgpr_dispatch_id 0
		.amdhsa_user_sgpr_flat_scratch_init 0
		.amdhsa_user_sgpr_kernarg_preload_length 0
		.amdhsa_user_sgpr_kernarg_preload_offset 0
		.amdhsa_user_sgpr_private_segment_size 0
		.amdhsa_uses_dynamic_stack 0
		.amdhsa_system_sgpr_private_segment_wavefront_offset 0
		.amdhsa_system_sgpr_workgroup_id_x 1
		.amdhsa_system_sgpr_workgroup_id_y 0
		.amdhsa_system_sgpr_workgroup_id_z 0
		.amdhsa_system_sgpr_workgroup_info 0
		.amdhsa_system_vgpr_workitem_id 0
		.amdhsa_next_free_vgpr 1
		.amdhsa_next_free_sgpr 0
		.amdhsa_accum_offset 4
		.amdhsa_reserve_vcc 0
		.amdhsa_reserve_flat_scratch 0
		.amdhsa_float_round_mode_32 0
		.amdhsa_float_round_mode_16_64 0
		.amdhsa_float_denorm_mode_32 3
		.amdhsa_float_denorm_mode_16_64 3
		.amdhsa_dx10_clamp 1
		.amdhsa_ieee_mode 1
		.amdhsa_fp16_overflow 0
		.amdhsa_tg_split 0
		.amdhsa_exception_fp_ieee_invalid_op 0
		.amdhsa_exception_fp_denorm_src 0
		.amdhsa_exception_fp_ieee_div_zero 0
		.amdhsa_exception_fp_ieee_overflow 0
		.amdhsa_exception_fp_ieee_underflow 0
		.amdhsa_exception_fp_ieee_inexact 0
		.amdhsa_exception_int_div_zero 0
	.end_amdhsa_kernel
	.section	.text._ZN7rocprim17ROCPRIM_400000_NS6detail17trampoline_kernelINS0_14default_configENS1_35radix_sort_onesweep_config_selectorIilEEZZNS1_29radix_sort_onesweep_iterationIS3_Lb0EPiS7_N6thrust23THRUST_200600_302600_NS10device_ptrIlEESB_jNS0_19identity_decomposerENS1_16block_id_wrapperIjLb1EEEEE10hipError_tT1_PNSt15iterator_traitsISG_E10value_typeET2_T3_PNSH_ISM_E10value_typeET4_T5_PSR_SS_PNS1_23onesweep_lookback_stateEbbT6_jjT7_P12ihipStream_tbENKUlT_T0_SG_SL_E_clIS7_S7_SB_PlEEDaSZ_S10_SG_SL_EUlSZ_E_NS1_11comp_targetILNS1_3genE9ELNS1_11target_archE1100ELNS1_3gpuE3ELNS1_3repE0EEENS1_47radix_sort_onesweep_sort_config_static_selectorELNS0_4arch9wavefront6targetE1EEEvSG_,"axG",@progbits,_ZN7rocprim17ROCPRIM_400000_NS6detail17trampoline_kernelINS0_14default_configENS1_35radix_sort_onesweep_config_selectorIilEEZZNS1_29radix_sort_onesweep_iterationIS3_Lb0EPiS7_N6thrust23THRUST_200600_302600_NS10device_ptrIlEESB_jNS0_19identity_decomposerENS1_16block_id_wrapperIjLb1EEEEE10hipError_tT1_PNSt15iterator_traitsISG_E10value_typeET2_T3_PNSH_ISM_E10value_typeET4_T5_PSR_SS_PNS1_23onesweep_lookback_stateEbbT6_jjT7_P12ihipStream_tbENKUlT_T0_SG_SL_E_clIS7_S7_SB_PlEEDaSZ_S10_SG_SL_EUlSZ_E_NS1_11comp_targetILNS1_3genE9ELNS1_11target_archE1100ELNS1_3gpuE3ELNS1_3repE0EEENS1_47radix_sort_onesweep_sort_config_static_selectorELNS0_4arch9wavefront6targetE1EEEvSG_,comdat
.Lfunc_end882:
	.size	_ZN7rocprim17ROCPRIM_400000_NS6detail17trampoline_kernelINS0_14default_configENS1_35radix_sort_onesweep_config_selectorIilEEZZNS1_29radix_sort_onesweep_iterationIS3_Lb0EPiS7_N6thrust23THRUST_200600_302600_NS10device_ptrIlEESB_jNS0_19identity_decomposerENS1_16block_id_wrapperIjLb1EEEEE10hipError_tT1_PNSt15iterator_traitsISG_E10value_typeET2_T3_PNSH_ISM_E10value_typeET4_T5_PSR_SS_PNS1_23onesweep_lookback_stateEbbT6_jjT7_P12ihipStream_tbENKUlT_T0_SG_SL_E_clIS7_S7_SB_PlEEDaSZ_S10_SG_SL_EUlSZ_E_NS1_11comp_targetILNS1_3genE9ELNS1_11target_archE1100ELNS1_3gpuE3ELNS1_3repE0EEENS1_47radix_sort_onesweep_sort_config_static_selectorELNS0_4arch9wavefront6targetE1EEEvSG_, .Lfunc_end882-_ZN7rocprim17ROCPRIM_400000_NS6detail17trampoline_kernelINS0_14default_configENS1_35radix_sort_onesweep_config_selectorIilEEZZNS1_29radix_sort_onesweep_iterationIS3_Lb0EPiS7_N6thrust23THRUST_200600_302600_NS10device_ptrIlEESB_jNS0_19identity_decomposerENS1_16block_id_wrapperIjLb1EEEEE10hipError_tT1_PNSt15iterator_traitsISG_E10value_typeET2_T3_PNSH_ISM_E10value_typeET4_T5_PSR_SS_PNS1_23onesweep_lookback_stateEbbT6_jjT7_P12ihipStream_tbENKUlT_T0_SG_SL_E_clIS7_S7_SB_PlEEDaSZ_S10_SG_SL_EUlSZ_E_NS1_11comp_targetILNS1_3genE9ELNS1_11target_archE1100ELNS1_3gpuE3ELNS1_3repE0EEENS1_47radix_sort_onesweep_sort_config_static_selectorELNS0_4arch9wavefront6targetE1EEEvSG_
                                        ; -- End function
	.section	.AMDGPU.csdata,"",@progbits
; Kernel info:
; codeLenInByte = 0
; NumSgprs: 4
; NumVgprs: 0
; NumAgprs: 0
; TotalNumVgprs: 0
; ScratchSize: 0
; MemoryBound: 0
; FloatMode: 240
; IeeeMode: 1
; LDSByteSize: 0 bytes/workgroup (compile time only)
; SGPRBlocks: 0
; VGPRBlocks: 0
; NumSGPRsForWavesPerEU: 4
; NumVGPRsForWavesPerEU: 1
; AccumOffset: 4
; Occupancy: 8
; WaveLimiterHint : 0
; COMPUTE_PGM_RSRC2:SCRATCH_EN: 0
; COMPUTE_PGM_RSRC2:USER_SGPR: 6
; COMPUTE_PGM_RSRC2:TRAP_HANDLER: 0
; COMPUTE_PGM_RSRC2:TGID_X_EN: 1
; COMPUTE_PGM_RSRC2:TGID_Y_EN: 0
; COMPUTE_PGM_RSRC2:TGID_Z_EN: 0
; COMPUTE_PGM_RSRC2:TIDIG_COMP_CNT: 0
; COMPUTE_PGM_RSRC3_GFX90A:ACCUM_OFFSET: 0
; COMPUTE_PGM_RSRC3_GFX90A:TG_SPLIT: 0
	.section	.text._ZN7rocprim17ROCPRIM_400000_NS6detail17trampoline_kernelINS0_14default_configENS1_35radix_sort_onesweep_config_selectorIilEEZZNS1_29radix_sort_onesweep_iterationIS3_Lb0EPiS7_N6thrust23THRUST_200600_302600_NS10device_ptrIlEESB_jNS0_19identity_decomposerENS1_16block_id_wrapperIjLb1EEEEE10hipError_tT1_PNSt15iterator_traitsISG_E10value_typeET2_T3_PNSH_ISM_E10value_typeET4_T5_PSR_SS_PNS1_23onesweep_lookback_stateEbbT6_jjT7_P12ihipStream_tbENKUlT_T0_SG_SL_E_clIS7_S7_SB_PlEEDaSZ_S10_SG_SL_EUlSZ_E_NS1_11comp_targetILNS1_3genE8ELNS1_11target_archE1030ELNS1_3gpuE2ELNS1_3repE0EEENS1_47radix_sort_onesweep_sort_config_static_selectorELNS0_4arch9wavefront6targetE1EEEvSG_,"axG",@progbits,_ZN7rocprim17ROCPRIM_400000_NS6detail17trampoline_kernelINS0_14default_configENS1_35radix_sort_onesweep_config_selectorIilEEZZNS1_29radix_sort_onesweep_iterationIS3_Lb0EPiS7_N6thrust23THRUST_200600_302600_NS10device_ptrIlEESB_jNS0_19identity_decomposerENS1_16block_id_wrapperIjLb1EEEEE10hipError_tT1_PNSt15iterator_traitsISG_E10value_typeET2_T3_PNSH_ISM_E10value_typeET4_T5_PSR_SS_PNS1_23onesweep_lookback_stateEbbT6_jjT7_P12ihipStream_tbENKUlT_T0_SG_SL_E_clIS7_S7_SB_PlEEDaSZ_S10_SG_SL_EUlSZ_E_NS1_11comp_targetILNS1_3genE8ELNS1_11target_archE1030ELNS1_3gpuE2ELNS1_3repE0EEENS1_47radix_sort_onesweep_sort_config_static_selectorELNS0_4arch9wavefront6targetE1EEEvSG_,comdat
	.protected	_ZN7rocprim17ROCPRIM_400000_NS6detail17trampoline_kernelINS0_14default_configENS1_35radix_sort_onesweep_config_selectorIilEEZZNS1_29radix_sort_onesweep_iterationIS3_Lb0EPiS7_N6thrust23THRUST_200600_302600_NS10device_ptrIlEESB_jNS0_19identity_decomposerENS1_16block_id_wrapperIjLb1EEEEE10hipError_tT1_PNSt15iterator_traitsISG_E10value_typeET2_T3_PNSH_ISM_E10value_typeET4_T5_PSR_SS_PNS1_23onesweep_lookback_stateEbbT6_jjT7_P12ihipStream_tbENKUlT_T0_SG_SL_E_clIS7_S7_SB_PlEEDaSZ_S10_SG_SL_EUlSZ_E_NS1_11comp_targetILNS1_3genE8ELNS1_11target_archE1030ELNS1_3gpuE2ELNS1_3repE0EEENS1_47radix_sort_onesweep_sort_config_static_selectorELNS0_4arch9wavefront6targetE1EEEvSG_ ; -- Begin function _ZN7rocprim17ROCPRIM_400000_NS6detail17trampoline_kernelINS0_14default_configENS1_35radix_sort_onesweep_config_selectorIilEEZZNS1_29radix_sort_onesweep_iterationIS3_Lb0EPiS7_N6thrust23THRUST_200600_302600_NS10device_ptrIlEESB_jNS0_19identity_decomposerENS1_16block_id_wrapperIjLb1EEEEE10hipError_tT1_PNSt15iterator_traitsISG_E10value_typeET2_T3_PNSH_ISM_E10value_typeET4_T5_PSR_SS_PNS1_23onesweep_lookback_stateEbbT6_jjT7_P12ihipStream_tbENKUlT_T0_SG_SL_E_clIS7_S7_SB_PlEEDaSZ_S10_SG_SL_EUlSZ_E_NS1_11comp_targetILNS1_3genE8ELNS1_11target_archE1030ELNS1_3gpuE2ELNS1_3repE0EEENS1_47radix_sort_onesweep_sort_config_static_selectorELNS0_4arch9wavefront6targetE1EEEvSG_
	.globl	_ZN7rocprim17ROCPRIM_400000_NS6detail17trampoline_kernelINS0_14default_configENS1_35radix_sort_onesweep_config_selectorIilEEZZNS1_29radix_sort_onesweep_iterationIS3_Lb0EPiS7_N6thrust23THRUST_200600_302600_NS10device_ptrIlEESB_jNS0_19identity_decomposerENS1_16block_id_wrapperIjLb1EEEEE10hipError_tT1_PNSt15iterator_traitsISG_E10value_typeET2_T3_PNSH_ISM_E10value_typeET4_T5_PSR_SS_PNS1_23onesweep_lookback_stateEbbT6_jjT7_P12ihipStream_tbENKUlT_T0_SG_SL_E_clIS7_S7_SB_PlEEDaSZ_S10_SG_SL_EUlSZ_E_NS1_11comp_targetILNS1_3genE8ELNS1_11target_archE1030ELNS1_3gpuE2ELNS1_3repE0EEENS1_47radix_sort_onesweep_sort_config_static_selectorELNS0_4arch9wavefront6targetE1EEEvSG_
	.p2align	8
	.type	_ZN7rocprim17ROCPRIM_400000_NS6detail17trampoline_kernelINS0_14default_configENS1_35radix_sort_onesweep_config_selectorIilEEZZNS1_29radix_sort_onesweep_iterationIS3_Lb0EPiS7_N6thrust23THRUST_200600_302600_NS10device_ptrIlEESB_jNS0_19identity_decomposerENS1_16block_id_wrapperIjLb1EEEEE10hipError_tT1_PNSt15iterator_traitsISG_E10value_typeET2_T3_PNSH_ISM_E10value_typeET4_T5_PSR_SS_PNS1_23onesweep_lookback_stateEbbT6_jjT7_P12ihipStream_tbENKUlT_T0_SG_SL_E_clIS7_S7_SB_PlEEDaSZ_S10_SG_SL_EUlSZ_E_NS1_11comp_targetILNS1_3genE8ELNS1_11target_archE1030ELNS1_3gpuE2ELNS1_3repE0EEENS1_47radix_sort_onesweep_sort_config_static_selectorELNS0_4arch9wavefront6targetE1EEEvSG_,@function
_ZN7rocprim17ROCPRIM_400000_NS6detail17trampoline_kernelINS0_14default_configENS1_35radix_sort_onesweep_config_selectorIilEEZZNS1_29radix_sort_onesweep_iterationIS3_Lb0EPiS7_N6thrust23THRUST_200600_302600_NS10device_ptrIlEESB_jNS0_19identity_decomposerENS1_16block_id_wrapperIjLb1EEEEE10hipError_tT1_PNSt15iterator_traitsISG_E10value_typeET2_T3_PNSH_ISM_E10value_typeET4_T5_PSR_SS_PNS1_23onesweep_lookback_stateEbbT6_jjT7_P12ihipStream_tbENKUlT_T0_SG_SL_E_clIS7_S7_SB_PlEEDaSZ_S10_SG_SL_EUlSZ_E_NS1_11comp_targetILNS1_3genE8ELNS1_11target_archE1030ELNS1_3gpuE2ELNS1_3repE0EEENS1_47radix_sort_onesweep_sort_config_static_selectorELNS0_4arch9wavefront6targetE1EEEvSG_: ; @_ZN7rocprim17ROCPRIM_400000_NS6detail17trampoline_kernelINS0_14default_configENS1_35radix_sort_onesweep_config_selectorIilEEZZNS1_29radix_sort_onesweep_iterationIS3_Lb0EPiS7_N6thrust23THRUST_200600_302600_NS10device_ptrIlEESB_jNS0_19identity_decomposerENS1_16block_id_wrapperIjLb1EEEEE10hipError_tT1_PNSt15iterator_traitsISG_E10value_typeET2_T3_PNSH_ISM_E10value_typeET4_T5_PSR_SS_PNS1_23onesweep_lookback_stateEbbT6_jjT7_P12ihipStream_tbENKUlT_T0_SG_SL_E_clIS7_S7_SB_PlEEDaSZ_S10_SG_SL_EUlSZ_E_NS1_11comp_targetILNS1_3genE8ELNS1_11target_archE1030ELNS1_3gpuE2ELNS1_3repE0EEENS1_47radix_sort_onesweep_sort_config_static_selectorELNS0_4arch9wavefront6targetE1EEEvSG_
; %bb.0:
	.section	.rodata,"a",@progbits
	.p2align	6, 0x0
	.amdhsa_kernel _ZN7rocprim17ROCPRIM_400000_NS6detail17trampoline_kernelINS0_14default_configENS1_35radix_sort_onesweep_config_selectorIilEEZZNS1_29radix_sort_onesweep_iterationIS3_Lb0EPiS7_N6thrust23THRUST_200600_302600_NS10device_ptrIlEESB_jNS0_19identity_decomposerENS1_16block_id_wrapperIjLb1EEEEE10hipError_tT1_PNSt15iterator_traitsISG_E10value_typeET2_T3_PNSH_ISM_E10value_typeET4_T5_PSR_SS_PNS1_23onesweep_lookback_stateEbbT6_jjT7_P12ihipStream_tbENKUlT_T0_SG_SL_E_clIS7_S7_SB_PlEEDaSZ_S10_SG_SL_EUlSZ_E_NS1_11comp_targetILNS1_3genE8ELNS1_11target_archE1030ELNS1_3gpuE2ELNS1_3repE0EEENS1_47radix_sort_onesweep_sort_config_static_selectorELNS0_4arch9wavefront6targetE1EEEvSG_
		.amdhsa_group_segment_fixed_size 0
		.amdhsa_private_segment_fixed_size 0
		.amdhsa_kernarg_size 88
		.amdhsa_user_sgpr_count 6
		.amdhsa_user_sgpr_private_segment_buffer 1
		.amdhsa_user_sgpr_dispatch_ptr 0
		.amdhsa_user_sgpr_queue_ptr 0
		.amdhsa_user_sgpr_kernarg_segment_ptr 1
		.amdhsa_user_sgpr_dispatch_id 0
		.amdhsa_user_sgpr_flat_scratch_init 0
		.amdhsa_user_sgpr_kernarg_preload_length 0
		.amdhsa_user_sgpr_kernarg_preload_offset 0
		.amdhsa_user_sgpr_private_segment_size 0
		.amdhsa_uses_dynamic_stack 0
		.amdhsa_system_sgpr_private_segment_wavefront_offset 0
		.amdhsa_system_sgpr_workgroup_id_x 1
		.amdhsa_system_sgpr_workgroup_id_y 0
		.amdhsa_system_sgpr_workgroup_id_z 0
		.amdhsa_system_sgpr_workgroup_info 0
		.amdhsa_system_vgpr_workitem_id 0
		.amdhsa_next_free_vgpr 1
		.amdhsa_next_free_sgpr 0
		.amdhsa_accum_offset 4
		.amdhsa_reserve_vcc 0
		.amdhsa_reserve_flat_scratch 0
		.amdhsa_float_round_mode_32 0
		.amdhsa_float_round_mode_16_64 0
		.amdhsa_float_denorm_mode_32 3
		.amdhsa_float_denorm_mode_16_64 3
		.amdhsa_dx10_clamp 1
		.amdhsa_ieee_mode 1
		.amdhsa_fp16_overflow 0
		.amdhsa_tg_split 0
		.amdhsa_exception_fp_ieee_invalid_op 0
		.amdhsa_exception_fp_denorm_src 0
		.amdhsa_exception_fp_ieee_div_zero 0
		.amdhsa_exception_fp_ieee_overflow 0
		.amdhsa_exception_fp_ieee_underflow 0
		.amdhsa_exception_fp_ieee_inexact 0
		.amdhsa_exception_int_div_zero 0
	.end_amdhsa_kernel
	.section	.text._ZN7rocprim17ROCPRIM_400000_NS6detail17trampoline_kernelINS0_14default_configENS1_35radix_sort_onesweep_config_selectorIilEEZZNS1_29radix_sort_onesweep_iterationIS3_Lb0EPiS7_N6thrust23THRUST_200600_302600_NS10device_ptrIlEESB_jNS0_19identity_decomposerENS1_16block_id_wrapperIjLb1EEEEE10hipError_tT1_PNSt15iterator_traitsISG_E10value_typeET2_T3_PNSH_ISM_E10value_typeET4_T5_PSR_SS_PNS1_23onesweep_lookback_stateEbbT6_jjT7_P12ihipStream_tbENKUlT_T0_SG_SL_E_clIS7_S7_SB_PlEEDaSZ_S10_SG_SL_EUlSZ_E_NS1_11comp_targetILNS1_3genE8ELNS1_11target_archE1030ELNS1_3gpuE2ELNS1_3repE0EEENS1_47radix_sort_onesweep_sort_config_static_selectorELNS0_4arch9wavefront6targetE1EEEvSG_,"axG",@progbits,_ZN7rocprim17ROCPRIM_400000_NS6detail17trampoline_kernelINS0_14default_configENS1_35radix_sort_onesweep_config_selectorIilEEZZNS1_29radix_sort_onesweep_iterationIS3_Lb0EPiS7_N6thrust23THRUST_200600_302600_NS10device_ptrIlEESB_jNS0_19identity_decomposerENS1_16block_id_wrapperIjLb1EEEEE10hipError_tT1_PNSt15iterator_traitsISG_E10value_typeET2_T3_PNSH_ISM_E10value_typeET4_T5_PSR_SS_PNS1_23onesweep_lookback_stateEbbT6_jjT7_P12ihipStream_tbENKUlT_T0_SG_SL_E_clIS7_S7_SB_PlEEDaSZ_S10_SG_SL_EUlSZ_E_NS1_11comp_targetILNS1_3genE8ELNS1_11target_archE1030ELNS1_3gpuE2ELNS1_3repE0EEENS1_47radix_sort_onesweep_sort_config_static_selectorELNS0_4arch9wavefront6targetE1EEEvSG_,comdat
.Lfunc_end883:
	.size	_ZN7rocprim17ROCPRIM_400000_NS6detail17trampoline_kernelINS0_14default_configENS1_35radix_sort_onesweep_config_selectorIilEEZZNS1_29radix_sort_onesweep_iterationIS3_Lb0EPiS7_N6thrust23THRUST_200600_302600_NS10device_ptrIlEESB_jNS0_19identity_decomposerENS1_16block_id_wrapperIjLb1EEEEE10hipError_tT1_PNSt15iterator_traitsISG_E10value_typeET2_T3_PNSH_ISM_E10value_typeET4_T5_PSR_SS_PNS1_23onesweep_lookback_stateEbbT6_jjT7_P12ihipStream_tbENKUlT_T0_SG_SL_E_clIS7_S7_SB_PlEEDaSZ_S10_SG_SL_EUlSZ_E_NS1_11comp_targetILNS1_3genE8ELNS1_11target_archE1030ELNS1_3gpuE2ELNS1_3repE0EEENS1_47radix_sort_onesweep_sort_config_static_selectorELNS0_4arch9wavefront6targetE1EEEvSG_, .Lfunc_end883-_ZN7rocprim17ROCPRIM_400000_NS6detail17trampoline_kernelINS0_14default_configENS1_35radix_sort_onesweep_config_selectorIilEEZZNS1_29radix_sort_onesweep_iterationIS3_Lb0EPiS7_N6thrust23THRUST_200600_302600_NS10device_ptrIlEESB_jNS0_19identity_decomposerENS1_16block_id_wrapperIjLb1EEEEE10hipError_tT1_PNSt15iterator_traitsISG_E10value_typeET2_T3_PNSH_ISM_E10value_typeET4_T5_PSR_SS_PNS1_23onesweep_lookback_stateEbbT6_jjT7_P12ihipStream_tbENKUlT_T0_SG_SL_E_clIS7_S7_SB_PlEEDaSZ_S10_SG_SL_EUlSZ_E_NS1_11comp_targetILNS1_3genE8ELNS1_11target_archE1030ELNS1_3gpuE2ELNS1_3repE0EEENS1_47radix_sort_onesweep_sort_config_static_selectorELNS0_4arch9wavefront6targetE1EEEvSG_
                                        ; -- End function
	.section	.AMDGPU.csdata,"",@progbits
; Kernel info:
; codeLenInByte = 0
; NumSgprs: 4
; NumVgprs: 0
; NumAgprs: 0
; TotalNumVgprs: 0
; ScratchSize: 0
; MemoryBound: 0
; FloatMode: 240
; IeeeMode: 1
; LDSByteSize: 0 bytes/workgroup (compile time only)
; SGPRBlocks: 0
; VGPRBlocks: 0
; NumSGPRsForWavesPerEU: 4
; NumVGPRsForWavesPerEU: 1
; AccumOffset: 4
; Occupancy: 8
; WaveLimiterHint : 0
; COMPUTE_PGM_RSRC2:SCRATCH_EN: 0
; COMPUTE_PGM_RSRC2:USER_SGPR: 6
; COMPUTE_PGM_RSRC2:TRAP_HANDLER: 0
; COMPUTE_PGM_RSRC2:TGID_X_EN: 1
; COMPUTE_PGM_RSRC2:TGID_Y_EN: 0
; COMPUTE_PGM_RSRC2:TGID_Z_EN: 0
; COMPUTE_PGM_RSRC2:TIDIG_COMP_CNT: 0
; COMPUTE_PGM_RSRC3_GFX90A:ACCUM_OFFSET: 0
; COMPUTE_PGM_RSRC3_GFX90A:TG_SPLIT: 0
	.section	.text._ZN7rocprim17ROCPRIM_400000_NS6detail17trampoline_kernelINS0_14default_configENS1_35radix_sort_onesweep_config_selectorIilEEZZNS1_29radix_sort_onesweep_iterationIS3_Lb0EPiS7_N6thrust23THRUST_200600_302600_NS10device_ptrIlEESB_jNS0_19identity_decomposerENS1_16block_id_wrapperIjLb1EEEEE10hipError_tT1_PNSt15iterator_traitsISG_E10value_typeET2_T3_PNSH_ISM_E10value_typeET4_T5_PSR_SS_PNS1_23onesweep_lookback_stateEbbT6_jjT7_P12ihipStream_tbENKUlT_T0_SG_SL_E_clIS7_S7_PlSB_EEDaSZ_S10_SG_SL_EUlSZ_E_NS1_11comp_targetILNS1_3genE0ELNS1_11target_archE4294967295ELNS1_3gpuE0ELNS1_3repE0EEENS1_47radix_sort_onesweep_sort_config_static_selectorELNS0_4arch9wavefront6targetE1EEEvSG_,"axG",@progbits,_ZN7rocprim17ROCPRIM_400000_NS6detail17trampoline_kernelINS0_14default_configENS1_35radix_sort_onesweep_config_selectorIilEEZZNS1_29radix_sort_onesweep_iterationIS3_Lb0EPiS7_N6thrust23THRUST_200600_302600_NS10device_ptrIlEESB_jNS0_19identity_decomposerENS1_16block_id_wrapperIjLb1EEEEE10hipError_tT1_PNSt15iterator_traitsISG_E10value_typeET2_T3_PNSH_ISM_E10value_typeET4_T5_PSR_SS_PNS1_23onesweep_lookback_stateEbbT6_jjT7_P12ihipStream_tbENKUlT_T0_SG_SL_E_clIS7_S7_PlSB_EEDaSZ_S10_SG_SL_EUlSZ_E_NS1_11comp_targetILNS1_3genE0ELNS1_11target_archE4294967295ELNS1_3gpuE0ELNS1_3repE0EEENS1_47radix_sort_onesweep_sort_config_static_selectorELNS0_4arch9wavefront6targetE1EEEvSG_,comdat
	.protected	_ZN7rocprim17ROCPRIM_400000_NS6detail17trampoline_kernelINS0_14default_configENS1_35radix_sort_onesweep_config_selectorIilEEZZNS1_29radix_sort_onesweep_iterationIS3_Lb0EPiS7_N6thrust23THRUST_200600_302600_NS10device_ptrIlEESB_jNS0_19identity_decomposerENS1_16block_id_wrapperIjLb1EEEEE10hipError_tT1_PNSt15iterator_traitsISG_E10value_typeET2_T3_PNSH_ISM_E10value_typeET4_T5_PSR_SS_PNS1_23onesweep_lookback_stateEbbT6_jjT7_P12ihipStream_tbENKUlT_T0_SG_SL_E_clIS7_S7_PlSB_EEDaSZ_S10_SG_SL_EUlSZ_E_NS1_11comp_targetILNS1_3genE0ELNS1_11target_archE4294967295ELNS1_3gpuE0ELNS1_3repE0EEENS1_47radix_sort_onesweep_sort_config_static_selectorELNS0_4arch9wavefront6targetE1EEEvSG_ ; -- Begin function _ZN7rocprim17ROCPRIM_400000_NS6detail17trampoline_kernelINS0_14default_configENS1_35radix_sort_onesweep_config_selectorIilEEZZNS1_29radix_sort_onesweep_iterationIS3_Lb0EPiS7_N6thrust23THRUST_200600_302600_NS10device_ptrIlEESB_jNS0_19identity_decomposerENS1_16block_id_wrapperIjLb1EEEEE10hipError_tT1_PNSt15iterator_traitsISG_E10value_typeET2_T3_PNSH_ISM_E10value_typeET4_T5_PSR_SS_PNS1_23onesweep_lookback_stateEbbT6_jjT7_P12ihipStream_tbENKUlT_T0_SG_SL_E_clIS7_S7_PlSB_EEDaSZ_S10_SG_SL_EUlSZ_E_NS1_11comp_targetILNS1_3genE0ELNS1_11target_archE4294967295ELNS1_3gpuE0ELNS1_3repE0EEENS1_47radix_sort_onesweep_sort_config_static_selectorELNS0_4arch9wavefront6targetE1EEEvSG_
	.globl	_ZN7rocprim17ROCPRIM_400000_NS6detail17trampoline_kernelINS0_14default_configENS1_35radix_sort_onesweep_config_selectorIilEEZZNS1_29radix_sort_onesweep_iterationIS3_Lb0EPiS7_N6thrust23THRUST_200600_302600_NS10device_ptrIlEESB_jNS0_19identity_decomposerENS1_16block_id_wrapperIjLb1EEEEE10hipError_tT1_PNSt15iterator_traitsISG_E10value_typeET2_T3_PNSH_ISM_E10value_typeET4_T5_PSR_SS_PNS1_23onesweep_lookback_stateEbbT6_jjT7_P12ihipStream_tbENKUlT_T0_SG_SL_E_clIS7_S7_PlSB_EEDaSZ_S10_SG_SL_EUlSZ_E_NS1_11comp_targetILNS1_3genE0ELNS1_11target_archE4294967295ELNS1_3gpuE0ELNS1_3repE0EEENS1_47radix_sort_onesweep_sort_config_static_selectorELNS0_4arch9wavefront6targetE1EEEvSG_
	.p2align	8
	.type	_ZN7rocprim17ROCPRIM_400000_NS6detail17trampoline_kernelINS0_14default_configENS1_35radix_sort_onesweep_config_selectorIilEEZZNS1_29radix_sort_onesweep_iterationIS3_Lb0EPiS7_N6thrust23THRUST_200600_302600_NS10device_ptrIlEESB_jNS0_19identity_decomposerENS1_16block_id_wrapperIjLb1EEEEE10hipError_tT1_PNSt15iterator_traitsISG_E10value_typeET2_T3_PNSH_ISM_E10value_typeET4_T5_PSR_SS_PNS1_23onesweep_lookback_stateEbbT6_jjT7_P12ihipStream_tbENKUlT_T0_SG_SL_E_clIS7_S7_PlSB_EEDaSZ_S10_SG_SL_EUlSZ_E_NS1_11comp_targetILNS1_3genE0ELNS1_11target_archE4294967295ELNS1_3gpuE0ELNS1_3repE0EEENS1_47radix_sort_onesweep_sort_config_static_selectorELNS0_4arch9wavefront6targetE1EEEvSG_,@function
_ZN7rocprim17ROCPRIM_400000_NS6detail17trampoline_kernelINS0_14default_configENS1_35radix_sort_onesweep_config_selectorIilEEZZNS1_29radix_sort_onesweep_iterationIS3_Lb0EPiS7_N6thrust23THRUST_200600_302600_NS10device_ptrIlEESB_jNS0_19identity_decomposerENS1_16block_id_wrapperIjLb1EEEEE10hipError_tT1_PNSt15iterator_traitsISG_E10value_typeET2_T3_PNSH_ISM_E10value_typeET4_T5_PSR_SS_PNS1_23onesweep_lookback_stateEbbT6_jjT7_P12ihipStream_tbENKUlT_T0_SG_SL_E_clIS7_S7_PlSB_EEDaSZ_S10_SG_SL_EUlSZ_E_NS1_11comp_targetILNS1_3genE0ELNS1_11target_archE4294967295ELNS1_3gpuE0ELNS1_3repE0EEENS1_47radix_sort_onesweep_sort_config_static_selectorELNS0_4arch9wavefront6targetE1EEEvSG_: ; @_ZN7rocprim17ROCPRIM_400000_NS6detail17trampoline_kernelINS0_14default_configENS1_35radix_sort_onesweep_config_selectorIilEEZZNS1_29radix_sort_onesweep_iterationIS3_Lb0EPiS7_N6thrust23THRUST_200600_302600_NS10device_ptrIlEESB_jNS0_19identity_decomposerENS1_16block_id_wrapperIjLb1EEEEE10hipError_tT1_PNSt15iterator_traitsISG_E10value_typeET2_T3_PNSH_ISM_E10value_typeET4_T5_PSR_SS_PNS1_23onesweep_lookback_stateEbbT6_jjT7_P12ihipStream_tbENKUlT_T0_SG_SL_E_clIS7_S7_PlSB_EEDaSZ_S10_SG_SL_EUlSZ_E_NS1_11comp_targetILNS1_3genE0ELNS1_11target_archE4294967295ELNS1_3gpuE0ELNS1_3repE0EEENS1_47radix_sort_onesweep_sort_config_static_selectorELNS0_4arch9wavefront6targetE1EEEvSG_
; %bb.0:
	.section	.rodata,"a",@progbits
	.p2align	6, 0x0
	.amdhsa_kernel _ZN7rocprim17ROCPRIM_400000_NS6detail17trampoline_kernelINS0_14default_configENS1_35radix_sort_onesweep_config_selectorIilEEZZNS1_29radix_sort_onesweep_iterationIS3_Lb0EPiS7_N6thrust23THRUST_200600_302600_NS10device_ptrIlEESB_jNS0_19identity_decomposerENS1_16block_id_wrapperIjLb1EEEEE10hipError_tT1_PNSt15iterator_traitsISG_E10value_typeET2_T3_PNSH_ISM_E10value_typeET4_T5_PSR_SS_PNS1_23onesweep_lookback_stateEbbT6_jjT7_P12ihipStream_tbENKUlT_T0_SG_SL_E_clIS7_S7_PlSB_EEDaSZ_S10_SG_SL_EUlSZ_E_NS1_11comp_targetILNS1_3genE0ELNS1_11target_archE4294967295ELNS1_3gpuE0ELNS1_3repE0EEENS1_47radix_sort_onesweep_sort_config_static_selectorELNS0_4arch9wavefront6targetE1EEEvSG_
		.amdhsa_group_segment_fixed_size 0
		.amdhsa_private_segment_fixed_size 0
		.amdhsa_kernarg_size 88
		.amdhsa_user_sgpr_count 6
		.amdhsa_user_sgpr_private_segment_buffer 1
		.amdhsa_user_sgpr_dispatch_ptr 0
		.amdhsa_user_sgpr_queue_ptr 0
		.amdhsa_user_sgpr_kernarg_segment_ptr 1
		.amdhsa_user_sgpr_dispatch_id 0
		.amdhsa_user_sgpr_flat_scratch_init 0
		.amdhsa_user_sgpr_kernarg_preload_length 0
		.amdhsa_user_sgpr_kernarg_preload_offset 0
		.amdhsa_user_sgpr_private_segment_size 0
		.amdhsa_uses_dynamic_stack 0
		.amdhsa_system_sgpr_private_segment_wavefront_offset 0
		.amdhsa_system_sgpr_workgroup_id_x 1
		.amdhsa_system_sgpr_workgroup_id_y 0
		.amdhsa_system_sgpr_workgroup_id_z 0
		.amdhsa_system_sgpr_workgroup_info 0
		.amdhsa_system_vgpr_workitem_id 0
		.amdhsa_next_free_vgpr 1
		.amdhsa_next_free_sgpr 0
		.amdhsa_accum_offset 4
		.amdhsa_reserve_vcc 0
		.amdhsa_reserve_flat_scratch 0
		.amdhsa_float_round_mode_32 0
		.amdhsa_float_round_mode_16_64 0
		.amdhsa_float_denorm_mode_32 3
		.amdhsa_float_denorm_mode_16_64 3
		.amdhsa_dx10_clamp 1
		.amdhsa_ieee_mode 1
		.amdhsa_fp16_overflow 0
		.amdhsa_tg_split 0
		.amdhsa_exception_fp_ieee_invalid_op 0
		.amdhsa_exception_fp_denorm_src 0
		.amdhsa_exception_fp_ieee_div_zero 0
		.amdhsa_exception_fp_ieee_overflow 0
		.amdhsa_exception_fp_ieee_underflow 0
		.amdhsa_exception_fp_ieee_inexact 0
		.amdhsa_exception_int_div_zero 0
	.end_amdhsa_kernel
	.section	.text._ZN7rocprim17ROCPRIM_400000_NS6detail17trampoline_kernelINS0_14default_configENS1_35radix_sort_onesweep_config_selectorIilEEZZNS1_29radix_sort_onesweep_iterationIS3_Lb0EPiS7_N6thrust23THRUST_200600_302600_NS10device_ptrIlEESB_jNS0_19identity_decomposerENS1_16block_id_wrapperIjLb1EEEEE10hipError_tT1_PNSt15iterator_traitsISG_E10value_typeET2_T3_PNSH_ISM_E10value_typeET4_T5_PSR_SS_PNS1_23onesweep_lookback_stateEbbT6_jjT7_P12ihipStream_tbENKUlT_T0_SG_SL_E_clIS7_S7_PlSB_EEDaSZ_S10_SG_SL_EUlSZ_E_NS1_11comp_targetILNS1_3genE0ELNS1_11target_archE4294967295ELNS1_3gpuE0ELNS1_3repE0EEENS1_47radix_sort_onesweep_sort_config_static_selectorELNS0_4arch9wavefront6targetE1EEEvSG_,"axG",@progbits,_ZN7rocprim17ROCPRIM_400000_NS6detail17trampoline_kernelINS0_14default_configENS1_35radix_sort_onesweep_config_selectorIilEEZZNS1_29radix_sort_onesweep_iterationIS3_Lb0EPiS7_N6thrust23THRUST_200600_302600_NS10device_ptrIlEESB_jNS0_19identity_decomposerENS1_16block_id_wrapperIjLb1EEEEE10hipError_tT1_PNSt15iterator_traitsISG_E10value_typeET2_T3_PNSH_ISM_E10value_typeET4_T5_PSR_SS_PNS1_23onesweep_lookback_stateEbbT6_jjT7_P12ihipStream_tbENKUlT_T0_SG_SL_E_clIS7_S7_PlSB_EEDaSZ_S10_SG_SL_EUlSZ_E_NS1_11comp_targetILNS1_3genE0ELNS1_11target_archE4294967295ELNS1_3gpuE0ELNS1_3repE0EEENS1_47radix_sort_onesweep_sort_config_static_selectorELNS0_4arch9wavefront6targetE1EEEvSG_,comdat
.Lfunc_end884:
	.size	_ZN7rocprim17ROCPRIM_400000_NS6detail17trampoline_kernelINS0_14default_configENS1_35radix_sort_onesweep_config_selectorIilEEZZNS1_29radix_sort_onesweep_iterationIS3_Lb0EPiS7_N6thrust23THRUST_200600_302600_NS10device_ptrIlEESB_jNS0_19identity_decomposerENS1_16block_id_wrapperIjLb1EEEEE10hipError_tT1_PNSt15iterator_traitsISG_E10value_typeET2_T3_PNSH_ISM_E10value_typeET4_T5_PSR_SS_PNS1_23onesweep_lookback_stateEbbT6_jjT7_P12ihipStream_tbENKUlT_T0_SG_SL_E_clIS7_S7_PlSB_EEDaSZ_S10_SG_SL_EUlSZ_E_NS1_11comp_targetILNS1_3genE0ELNS1_11target_archE4294967295ELNS1_3gpuE0ELNS1_3repE0EEENS1_47radix_sort_onesweep_sort_config_static_selectorELNS0_4arch9wavefront6targetE1EEEvSG_, .Lfunc_end884-_ZN7rocprim17ROCPRIM_400000_NS6detail17trampoline_kernelINS0_14default_configENS1_35radix_sort_onesweep_config_selectorIilEEZZNS1_29radix_sort_onesweep_iterationIS3_Lb0EPiS7_N6thrust23THRUST_200600_302600_NS10device_ptrIlEESB_jNS0_19identity_decomposerENS1_16block_id_wrapperIjLb1EEEEE10hipError_tT1_PNSt15iterator_traitsISG_E10value_typeET2_T3_PNSH_ISM_E10value_typeET4_T5_PSR_SS_PNS1_23onesweep_lookback_stateEbbT6_jjT7_P12ihipStream_tbENKUlT_T0_SG_SL_E_clIS7_S7_PlSB_EEDaSZ_S10_SG_SL_EUlSZ_E_NS1_11comp_targetILNS1_3genE0ELNS1_11target_archE4294967295ELNS1_3gpuE0ELNS1_3repE0EEENS1_47radix_sort_onesweep_sort_config_static_selectorELNS0_4arch9wavefront6targetE1EEEvSG_
                                        ; -- End function
	.section	.AMDGPU.csdata,"",@progbits
; Kernel info:
; codeLenInByte = 0
; NumSgprs: 4
; NumVgprs: 0
; NumAgprs: 0
; TotalNumVgprs: 0
; ScratchSize: 0
; MemoryBound: 0
; FloatMode: 240
; IeeeMode: 1
; LDSByteSize: 0 bytes/workgroup (compile time only)
; SGPRBlocks: 0
; VGPRBlocks: 0
; NumSGPRsForWavesPerEU: 4
; NumVGPRsForWavesPerEU: 1
; AccumOffset: 4
; Occupancy: 8
; WaveLimiterHint : 0
; COMPUTE_PGM_RSRC2:SCRATCH_EN: 0
; COMPUTE_PGM_RSRC2:USER_SGPR: 6
; COMPUTE_PGM_RSRC2:TRAP_HANDLER: 0
; COMPUTE_PGM_RSRC2:TGID_X_EN: 1
; COMPUTE_PGM_RSRC2:TGID_Y_EN: 0
; COMPUTE_PGM_RSRC2:TGID_Z_EN: 0
; COMPUTE_PGM_RSRC2:TIDIG_COMP_CNT: 0
; COMPUTE_PGM_RSRC3_GFX90A:ACCUM_OFFSET: 0
; COMPUTE_PGM_RSRC3_GFX90A:TG_SPLIT: 0
	.section	.text._ZN7rocprim17ROCPRIM_400000_NS6detail17trampoline_kernelINS0_14default_configENS1_35radix_sort_onesweep_config_selectorIilEEZZNS1_29radix_sort_onesweep_iterationIS3_Lb0EPiS7_N6thrust23THRUST_200600_302600_NS10device_ptrIlEESB_jNS0_19identity_decomposerENS1_16block_id_wrapperIjLb1EEEEE10hipError_tT1_PNSt15iterator_traitsISG_E10value_typeET2_T3_PNSH_ISM_E10value_typeET4_T5_PSR_SS_PNS1_23onesweep_lookback_stateEbbT6_jjT7_P12ihipStream_tbENKUlT_T0_SG_SL_E_clIS7_S7_PlSB_EEDaSZ_S10_SG_SL_EUlSZ_E_NS1_11comp_targetILNS1_3genE6ELNS1_11target_archE950ELNS1_3gpuE13ELNS1_3repE0EEENS1_47radix_sort_onesweep_sort_config_static_selectorELNS0_4arch9wavefront6targetE1EEEvSG_,"axG",@progbits,_ZN7rocprim17ROCPRIM_400000_NS6detail17trampoline_kernelINS0_14default_configENS1_35radix_sort_onesweep_config_selectorIilEEZZNS1_29radix_sort_onesweep_iterationIS3_Lb0EPiS7_N6thrust23THRUST_200600_302600_NS10device_ptrIlEESB_jNS0_19identity_decomposerENS1_16block_id_wrapperIjLb1EEEEE10hipError_tT1_PNSt15iterator_traitsISG_E10value_typeET2_T3_PNSH_ISM_E10value_typeET4_T5_PSR_SS_PNS1_23onesweep_lookback_stateEbbT6_jjT7_P12ihipStream_tbENKUlT_T0_SG_SL_E_clIS7_S7_PlSB_EEDaSZ_S10_SG_SL_EUlSZ_E_NS1_11comp_targetILNS1_3genE6ELNS1_11target_archE950ELNS1_3gpuE13ELNS1_3repE0EEENS1_47radix_sort_onesweep_sort_config_static_selectorELNS0_4arch9wavefront6targetE1EEEvSG_,comdat
	.protected	_ZN7rocprim17ROCPRIM_400000_NS6detail17trampoline_kernelINS0_14default_configENS1_35radix_sort_onesweep_config_selectorIilEEZZNS1_29radix_sort_onesweep_iterationIS3_Lb0EPiS7_N6thrust23THRUST_200600_302600_NS10device_ptrIlEESB_jNS0_19identity_decomposerENS1_16block_id_wrapperIjLb1EEEEE10hipError_tT1_PNSt15iterator_traitsISG_E10value_typeET2_T3_PNSH_ISM_E10value_typeET4_T5_PSR_SS_PNS1_23onesweep_lookback_stateEbbT6_jjT7_P12ihipStream_tbENKUlT_T0_SG_SL_E_clIS7_S7_PlSB_EEDaSZ_S10_SG_SL_EUlSZ_E_NS1_11comp_targetILNS1_3genE6ELNS1_11target_archE950ELNS1_3gpuE13ELNS1_3repE0EEENS1_47radix_sort_onesweep_sort_config_static_selectorELNS0_4arch9wavefront6targetE1EEEvSG_ ; -- Begin function _ZN7rocprim17ROCPRIM_400000_NS6detail17trampoline_kernelINS0_14default_configENS1_35radix_sort_onesweep_config_selectorIilEEZZNS1_29radix_sort_onesweep_iterationIS3_Lb0EPiS7_N6thrust23THRUST_200600_302600_NS10device_ptrIlEESB_jNS0_19identity_decomposerENS1_16block_id_wrapperIjLb1EEEEE10hipError_tT1_PNSt15iterator_traitsISG_E10value_typeET2_T3_PNSH_ISM_E10value_typeET4_T5_PSR_SS_PNS1_23onesweep_lookback_stateEbbT6_jjT7_P12ihipStream_tbENKUlT_T0_SG_SL_E_clIS7_S7_PlSB_EEDaSZ_S10_SG_SL_EUlSZ_E_NS1_11comp_targetILNS1_3genE6ELNS1_11target_archE950ELNS1_3gpuE13ELNS1_3repE0EEENS1_47radix_sort_onesweep_sort_config_static_selectorELNS0_4arch9wavefront6targetE1EEEvSG_
	.globl	_ZN7rocprim17ROCPRIM_400000_NS6detail17trampoline_kernelINS0_14default_configENS1_35radix_sort_onesweep_config_selectorIilEEZZNS1_29radix_sort_onesweep_iterationIS3_Lb0EPiS7_N6thrust23THRUST_200600_302600_NS10device_ptrIlEESB_jNS0_19identity_decomposerENS1_16block_id_wrapperIjLb1EEEEE10hipError_tT1_PNSt15iterator_traitsISG_E10value_typeET2_T3_PNSH_ISM_E10value_typeET4_T5_PSR_SS_PNS1_23onesweep_lookback_stateEbbT6_jjT7_P12ihipStream_tbENKUlT_T0_SG_SL_E_clIS7_S7_PlSB_EEDaSZ_S10_SG_SL_EUlSZ_E_NS1_11comp_targetILNS1_3genE6ELNS1_11target_archE950ELNS1_3gpuE13ELNS1_3repE0EEENS1_47radix_sort_onesweep_sort_config_static_selectorELNS0_4arch9wavefront6targetE1EEEvSG_
	.p2align	8
	.type	_ZN7rocprim17ROCPRIM_400000_NS6detail17trampoline_kernelINS0_14default_configENS1_35radix_sort_onesweep_config_selectorIilEEZZNS1_29radix_sort_onesweep_iterationIS3_Lb0EPiS7_N6thrust23THRUST_200600_302600_NS10device_ptrIlEESB_jNS0_19identity_decomposerENS1_16block_id_wrapperIjLb1EEEEE10hipError_tT1_PNSt15iterator_traitsISG_E10value_typeET2_T3_PNSH_ISM_E10value_typeET4_T5_PSR_SS_PNS1_23onesweep_lookback_stateEbbT6_jjT7_P12ihipStream_tbENKUlT_T0_SG_SL_E_clIS7_S7_PlSB_EEDaSZ_S10_SG_SL_EUlSZ_E_NS1_11comp_targetILNS1_3genE6ELNS1_11target_archE950ELNS1_3gpuE13ELNS1_3repE0EEENS1_47radix_sort_onesweep_sort_config_static_selectorELNS0_4arch9wavefront6targetE1EEEvSG_,@function
_ZN7rocprim17ROCPRIM_400000_NS6detail17trampoline_kernelINS0_14default_configENS1_35radix_sort_onesweep_config_selectorIilEEZZNS1_29radix_sort_onesweep_iterationIS3_Lb0EPiS7_N6thrust23THRUST_200600_302600_NS10device_ptrIlEESB_jNS0_19identity_decomposerENS1_16block_id_wrapperIjLb1EEEEE10hipError_tT1_PNSt15iterator_traitsISG_E10value_typeET2_T3_PNSH_ISM_E10value_typeET4_T5_PSR_SS_PNS1_23onesweep_lookback_stateEbbT6_jjT7_P12ihipStream_tbENKUlT_T0_SG_SL_E_clIS7_S7_PlSB_EEDaSZ_S10_SG_SL_EUlSZ_E_NS1_11comp_targetILNS1_3genE6ELNS1_11target_archE950ELNS1_3gpuE13ELNS1_3repE0EEENS1_47radix_sort_onesweep_sort_config_static_selectorELNS0_4arch9wavefront6targetE1EEEvSG_: ; @_ZN7rocprim17ROCPRIM_400000_NS6detail17trampoline_kernelINS0_14default_configENS1_35radix_sort_onesweep_config_selectorIilEEZZNS1_29radix_sort_onesweep_iterationIS3_Lb0EPiS7_N6thrust23THRUST_200600_302600_NS10device_ptrIlEESB_jNS0_19identity_decomposerENS1_16block_id_wrapperIjLb1EEEEE10hipError_tT1_PNSt15iterator_traitsISG_E10value_typeET2_T3_PNSH_ISM_E10value_typeET4_T5_PSR_SS_PNS1_23onesweep_lookback_stateEbbT6_jjT7_P12ihipStream_tbENKUlT_T0_SG_SL_E_clIS7_S7_PlSB_EEDaSZ_S10_SG_SL_EUlSZ_E_NS1_11comp_targetILNS1_3genE6ELNS1_11target_archE950ELNS1_3gpuE13ELNS1_3repE0EEENS1_47radix_sort_onesweep_sort_config_static_selectorELNS0_4arch9wavefront6targetE1EEEvSG_
; %bb.0:
	.section	.rodata,"a",@progbits
	.p2align	6, 0x0
	.amdhsa_kernel _ZN7rocprim17ROCPRIM_400000_NS6detail17trampoline_kernelINS0_14default_configENS1_35radix_sort_onesweep_config_selectorIilEEZZNS1_29radix_sort_onesweep_iterationIS3_Lb0EPiS7_N6thrust23THRUST_200600_302600_NS10device_ptrIlEESB_jNS0_19identity_decomposerENS1_16block_id_wrapperIjLb1EEEEE10hipError_tT1_PNSt15iterator_traitsISG_E10value_typeET2_T3_PNSH_ISM_E10value_typeET4_T5_PSR_SS_PNS1_23onesweep_lookback_stateEbbT6_jjT7_P12ihipStream_tbENKUlT_T0_SG_SL_E_clIS7_S7_PlSB_EEDaSZ_S10_SG_SL_EUlSZ_E_NS1_11comp_targetILNS1_3genE6ELNS1_11target_archE950ELNS1_3gpuE13ELNS1_3repE0EEENS1_47radix_sort_onesweep_sort_config_static_selectorELNS0_4arch9wavefront6targetE1EEEvSG_
		.amdhsa_group_segment_fixed_size 0
		.amdhsa_private_segment_fixed_size 0
		.amdhsa_kernarg_size 88
		.amdhsa_user_sgpr_count 6
		.amdhsa_user_sgpr_private_segment_buffer 1
		.amdhsa_user_sgpr_dispatch_ptr 0
		.amdhsa_user_sgpr_queue_ptr 0
		.amdhsa_user_sgpr_kernarg_segment_ptr 1
		.amdhsa_user_sgpr_dispatch_id 0
		.amdhsa_user_sgpr_flat_scratch_init 0
		.amdhsa_user_sgpr_kernarg_preload_length 0
		.amdhsa_user_sgpr_kernarg_preload_offset 0
		.amdhsa_user_sgpr_private_segment_size 0
		.amdhsa_uses_dynamic_stack 0
		.amdhsa_system_sgpr_private_segment_wavefront_offset 0
		.amdhsa_system_sgpr_workgroup_id_x 1
		.amdhsa_system_sgpr_workgroup_id_y 0
		.amdhsa_system_sgpr_workgroup_id_z 0
		.amdhsa_system_sgpr_workgroup_info 0
		.amdhsa_system_vgpr_workitem_id 0
		.amdhsa_next_free_vgpr 1
		.amdhsa_next_free_sgpr 0
		.amdhsa_accum_offset 4
		.amdhsa_reserve_vcc 0
		.amdhsa_reserve_flat_scratch 0
		.amdhsa_float_round_mode_32 0
		.amdhsa_float_round_mode_16_64 0
		.amdhsa_float_denorm_mode_32 3
		.amdhsa_float_denorm_mode_16_64 3
		.amdhsa_dx10_clamp 1
		.amdhsa_ieee_mode 1
		.amdhsa_fp16_overflow 0
		.amdhsa_tg_split 0
		.amdhsa_exception_fp_ieee_invalid_op 0
		.amdhsa_exception_fp_denorm_src 0
		.amdhsa_exception_fp_ieee_div_zero 0
		.amdhsa_exception_fp_ieee_overflow 0
		.amdhsa_exception_fp_ieee_underflow 0
		.amdhsa_exception_fp_ieee_inexact 0
		.amdhsa_exception_int_div_zero 0
	.end_amdhsa_kernel
	.section	.text._ZN7rocprim17ROCPRIM_400000_NS6detail17trampoline_kernelINS0_14default_configENS1_35radix_sort_onesweep_config_selectorIilEEZZNS1_29radix_sort_onesweep_iterationIS3_Lb0EPiS7_N6thrust23THRUST_200600_302600_NS10device_ptrIlEESB_jNS0_19identity_decomposerENS1_16block_id_wrapperIjLb1EEEEE10hipError_tT1_PNSt15iterator_traitsISG_E10value_typeET2_T3_PNSH_ISM_E10value_typeET4_T5_PSR_SS_PNS1_23onesweep_lookback_stateEbbT6_jjT7_P12ihipStream_tbENKUlT_T0_SG_SL_E_clIS7_S7_PlSB_EEDaSZ_S10_SG_SL_EUlSZ_E_NS1_11comp_targetILNS1_3genE6ELNS1_11target_archE950ELNS1_3gpuE13ELNS1_3repE0EEENS1_47radix_sort_onesweep_sort_config_static_selectorELNS0_4arch9wavefront6targetE1EEEvSG_,"axG",@progbits,_ZN7rocprim17ROCPRIM_400000_NS6detail17trampoline_kernelINS0_14default_configENS1_35radix_sort_onesweep_config_selectorIilEEZZNS1_29radix_sort_onesweep_iterationIS3_Lb0EPiS7_N6thrust23THRUST_200600_302600_NS10device_ptrIlEESB_jNS0_19identity_decomposerENS1_16block_id_wrapperIjLb1EEEEE10hipError_tT1_PNSt15iterator_traitsISG_E10value_typeET2_T3_PNSH_ISM_E10value_typeET4_T5_PSR_SS_PNS1_23onesweep_lookback_stateEbbT6_jjT7_P12ihipStream_tbENKUlT_T0_SG_SL_E_clIS7_S7_PlSB_EEDaSZ_S10_SG_SL_EUlSZ_E_NS1_11comp_targetILNS1_3genE6ELNS1_11target_archE950ELNS1_3gpuE13ELNS1_3repE0EEENS1_47radix_sort_onesweep_sort_config_static_selectorELNS0_4arch9wavefront6targetE1EEEvSG_,comdat
.Lfunc_end885:
	.size	_ZN7rocprim17ROCPRIM_400000_NS6detail17trampoline_kernelINS0_14default_configENS1_35radix_sort_onesweep_config_selectorIilEEZZNS1_29radix_sort_onesweep_iterationIS3_Lb0EPiS7_N6thrust23THRUST_200600_302600_NS10device_ptrIlEESB_jNS0_19identity_decomposerENS1_16block_id_wrapperIjLb1EEEEE10hipError_tT1_PNSt15iterator_traitsISG_E10value_typeET2_T3_PNSH_ISM_E10value_typeET4_T5_PSR_SS_PNS1_23onesweep_lookback_stateEbbT6_jjT7_P12ihipStream_tbENKUlT_T0_SG_SL_E_clIS7_S7_PlSB_EEDaSZ_S10_SG_SL_EUlSZ_E_NS1_11comp_targetILNS1_3genE6ELNS1_11target_archE950ELNS1_3gpuE13ELNS1_3repE0EEENS1_47radix_sort_onesweep_sort_config_static_selectorELNS0_4arch9wavefront6targetE1EEEvSG_, .Lfunc_end885-_ZN7rocprim17ROCPRIM_400000_NS6detail17trampoline_kernelINS0_14default_configENS1_35radix_sort_onesweep_config_selectorIilEEZZNS1_29radix_sort_onesweep_iterationIS3_Lb0EPiS7_N6thrust23THRUST_200600_302600_NS10device_ptrIlEESB_jNS0_19identity_decomposerENS1_16block_id_wrapperIjLb1EEEEE10hipError_tT1_PNSt15iterator_traitsISG_E10value_typeET2_T3_PNSH_ISM_E10value_typeET4_T5_PSR_SS_PNS1_23onesweep_lookback_stateEbbT6_jjT7_P12ihipStream_tbENKUlT_T0_SG_SL_E_clIS7_S7_PlSB_EEDaSZ_S10_SG_SL_EUlSZ_E_NS1_11comp_targetILNS1_3genE6ELNS1_11target_archE950ELNS1_3gpuE13ELNS1_3repE0EEENS1_47radix_sort_onesweep_sort_config_static_selectorELNS0_4arch9wavefront6targetE1EEEvSG_
                                        ; -- End function
	.section	.AMDGPU.csdata,"",@progbits
; Kernel info:
; codeLenInByte = 0
; NumSgprs: 4
; NumVgprs: 0
; NumAgprs: 0
; TotalNumVgprs: 0
; ScratchSize: 0
; MemoryBound: 0
; FloatMode: 240
; IeeeMode: 1
; LDSByteSize: 0 bytes/workgroup (compile time only)
; SGPRBlocks: 0
; VGPRBlocks: 0
; NumSGPRsForWavesPerEU: 4
; NumVGPRsForWavesPerEU: 1
; AccumOffset: 4
; Occupancy: 8
; WaveLimiterHint : 0
; COMPUTE_PGM_RSRC2:SCRATCH_EN: 0
; COMPUTE_PGM_RSRC2:USER_SGPR: 6
; COMPUTE_PGM_RSRC2:TRAP_HANDLER: 0
; COMPUTE_PGM_RSRC2:TGID_X_EN: 1
; COMPUTE_PGM_RSRC2:TGID_Y_EN: 0
; COMPUTE_PGM_RSRC2:TGID_Z_EN: 0
; COMPUTE_PGM_RSRC2:TIDIG_COMP_CNT: 0
; COMPUTE_PGM_RSRC3_GFX90A:ACCUM_OFFSET: 0
; COMPUTE_PGM_RSRC3_GFX90A:TG_SPLIT: 0
	.section	.text._ZN7rocprim17ROCPRIM_400000_NS6detail17trampoline_kernelINS0_14default_configENS1_35radix_sort_onesweep_config_selectorIilEEZZNS1_29radix_sort_onesweep_iterationIS3_Lb0EPiS7_N6thrust23THRUST_200600_302600_NS10device_ptrIlEESB_jNS0_19identity_decomposerENS1_16block_id_wrapperIjLb1EEEEE10hipError_tT1_PNSt15iterator_traitsISG_E10value_typeET2_T3_PNSH_ISM_E10value_typeET4_T5_PSR_SS_PNS1_23onesweep_lookback_stateEbbT6_jjT7_P12ihipStream_tbENKUlT_T0_SG_SL_E_clIS7_S7_PlSB_EEDaSZ_S10_SG_SL_EUlSZ_E_NS1_11comp_targetILNS1_3genE5ELNS1_11target_archE942ELNS1_3gpuE9ELNS1_3repE0EEENS1_47radix_sort_onesweep_sort_config_static_selectorELNS0_4arch9wavefront6targetE1EEEvSG_,"axG",@progbits,_ZN7rocprim17ROCPRIM_400000_NS6detail17trampoline_kernelINS0_14default_configENS1_35radix_sort_onesweep_config_selectorIilEEZZNS1_29radix_sort_onesweep_iterationIS3_Lb0EPiS7_N6thrust23THRUST_200600_302600_NS10device_ptrIlEESB_jNS0_19identity_decomposerENS1_16block_id_wrapperIjLb1EEEEE10hipError_tT1_PNSt15iterator_traitsISG_E10value_typeET2_T3_PNSH_ISM_E10value_typeET4_T5_PSR_SS_PNS1_23onesweep_lookback_stateEbbT6_jjT7_P12ihipStream_tbENKUlT_T0_SG_SL_E_clIS7_S7_PlSB_EEDaSZ_S10_SG_SL_EUlSZ_E_NS1_11comp_targetILNS1_3genE5ELNS1_11target_archE942ELNS1_3gpuE9ELNS1_3repE0EEENS1_47radix_sort_onesweep_sort_config_static_selectorELNS0_4arch9wavefront6targetE1EEEvSG_,comdat
	.protected	_ZN7rocprim17ROCPRIM_400000_NS6detail17trampoline_kernelINS0_14default_configENS1_35radix_sort_onesweep_config_selectorIilEEZZNS1_29radix_sort_onesweep_iterationIS3_Lb0EPiS7_N6thrust23THRUST_200600_302600_NS10device_ptrIlEESB_jNS0_19identity_decomposerENS1_16block_id_wrapperIjLb1EEEEE10hipError_tT1_PNSt15iterator_traitsISG_E10value_typeET2_T3_PNSH_ISM_E10value_typeET4_T5_PSR_SS_PNS1_23onesweep_lookback_stateEbbT6_jjT7_P12ihipStream_tbENKUlT_T0_SG_SL_E_clIS7_S7_PlSB_EEDaSZ_S10_SG_SL_EUlSZ_E_NS1_11comp_targetILNS1_3genE5ELNS1_11target_archE942ELNS1_3gpuE9ELNS1_3repE0EEENS1_47radix_sort_onesweep_sort_config_static_selectorELNS0_4arch9wavefront6targetE1EEEvSG_ ; -- Begin function _ZN7rocprim17ROCPRIM_400000_NS6detail17trampoline_kernelINS0_14default_configENS1_35radix_sort_onesweep_config_selectorIilEEZZNS1_29radix_sort_onesweep_iterationIS3_Lb0EPiS7_N6thrust23THRUST_200600_302600_NS10device_ptrIlEESB_jNS0_19identity_decomposerENS1_16block_id_wrapperIjLb1EEEEE10hipError_tT1_PNSt15iterator_traitsISG_E10value_typeET2_T3_PNSH_ISM_E10value_typeET4_T5_PSR_SS_PNS1_23onesweep_lookback_stateEbbT6_jjT7_P12ihipStream_tbENKUlT_T0_SG_SL_E_clIS7_S7_PlSB_EEDaSZ_S10_SG_SL_EUlSZ_E_NS1_11comp_targetILNS1_3genE5ELNS1_11target_archE942ELNS1_3gpuE9ELNS1_3repE0EEENS1_47radix_sort_onesweep_sort_config_static_selectorELNS0_4arch9wavefront6targetE1EEEvSG_
	.globl	_ZN7rocprim17ROCPRIM_400000_NS6detail17trampoline_kernelINS0_14default_configENS1_35radix_sort_onesweep_config_selectorIilEEZZNS1_29radix_sort_onesweep_iterationIS3_Lb0EPiS7_N6thrust23THRUST_200600_302600_NS10device_ptrIlEESB_jNS0_19identity_decomposerENS1_16block_id_wrapperIjLb1EEEEE10hipError_tT1_PNSt15iterator_traitsISG_E10value_typeET2_T3_PNSH_ISM_E10value_typeET4_T5_PSR_SS_PNS1_23onesweep_lookback_stateEbbT6_jjT7_P12ihipStream_tbENKUlT_T0_SG_SL_E_clIS7_S7_PlSB_EEDaSZ_S10_SG_SL_EUlSZ_E_NS1_11comp_targetILNS1_3genE5ELNS1_11target_archE942ELNS1_3gpuE9ELNS1_3repE0EEENS1_47radix_sort_onesweep_sort_config_static_selectorELNS0_4arch9wavefront6targetE1EEEvSG_
	.p2align	8
	.type	_ZN7rocprim17ROCPRIM_400000_NS6detail17trampoline_kernelINS0_14default_configENS1_35radix_sort_onesweep_config_selectorIilEEZZNS1_29radix_sort_onesweep_iterationIS3_Lb0EPiS7_N6thrust23THRUST_200600_302600_NS10device_ptrIlEESB_jNS0_19identity_decomposerENS1_16block_id_wrapperIjLb1EEEEE10hipError_tT1_PNSt15iterator_traitsISG_E10value_typeET2_T3_PNSH_ISM_E10value_typeET4_T5_PSR_SS_PNS1_23onesweep_lookback_stateEbbT6_jjT7_P12ihipStream_tbENKUlT_T0_SG_SL_E_clIS7_S7_PlSB_EEDaSZ_S10_SG_SL_EUlSZ_E_NS1_11comp_targetILNS1_3genE5ELNS1_11target_archE942ELNS1_3gpuE9ELNS1_3repE0EEENS1_47radix_sort_onesweep_sort_config_static_selectorELNS0_4arch9wavefront6targetE1EEEvSG_,@function
_ZN7rocprim17ROCPRIM_400000_NS6detail17trampoline_kernelINS0_14default_configENS1_35radix_sort_onesweep_config_selectorIilEEZZNS1_29radix_sort_onesweep_iterationIS3_Lb0EPiS7_N6thrust23THRUST_200600_302600_NS10device_ptrIlEESB_jNS0_19identity_decomposerENS1_16block_id_wrapperIjLb1EEEEE10hipError_tT1_PNSt15iterator_traitsISG_E10value_typeET2_T3_PNSH_ISM_E10value_typeET4_T5_PSR_SS_PNS1_23onesweep_lookback_stateEbbT6_jjT7_P12ihipStream_tbENKUlT_T0_SG_SL_E_clIS7_S7_PlSB_EEDaSZ_S10_SG_SL_EUlSZ_E_NS1_11comp_targetILNS1_3genE5ELNS1_11target_archE942ELNS1_3gpuE9ELNS1_3repE0EEENS1_47radix_sort_onesweep_sort_config_static_selectorELNS0_4arch9wavefront6targetE1EEEvSG_: ; @_ZN7rocprim17ROCPRIM_400000_NS6detail17trampoline_kernelINS0_14default_configENS1_35radix_sort_onesweep_config_selectorIilEEZZNS1_29radix_sort_onesweep_iterationIS3_Lb0EPiS7_N6thrust23THRUST_200600_302600_NS10device_ptrIlEESB_jNS0_19identity_decomposerENS1_16block_id_wrapperIjLb1EEEEE10hipError_tT1_PNSt15iterator_traitsISG_E10value_typeET2_T3_PNSH_ISM_E10value_typeET4_T5_PSR_SS_PNS1_23onesweep_lookback_stateEbbT6_jjT7_P12ihipStream_tbENKUlT_T0_SG_SL_E_clIS7_S7_PlSB_EEDaSZ_S10_SG_SL_EUlSZ_E_NS1_11comp_targetILNS1_3genE5ELNS1_11target_archE942ELNS1_3gpuE9ELNS1_3repE0EEENS1_47radix_sort_onesweep_sort_config_static_selectorELNS0_4arch9wavefront6targetE1EEEvSG_
; %bb.0:
	.section	.rodata,"a",@progbits
	.p2align	6, 0x0
	.amdhsa_kernel _ZN7rocprim17ROCPRIM_400000_NS6detail17trampoline_kernelINS0_14default_configENS1_35radix_sort_onesweep_config_selectorIilEEZZNS1_29radix_sort_onesweep_iterationIS3_Lb0EPiS7_N6thrust23THRUST_200600_302600_NS10device_ptrIlEESB_jNS0_19identity_decomposerENS1_16block_id_wrapperIjLb1EEEEE10hipError_tT1_PNSt15iterator_traitsISG_E10value_typeET2_T3_PNSH_ISM_E10value_typeET4_T5_PSR_SS_PNS1_23onesweep_lookback_stateEbbT6_jjT7_P12ihipStream_tbENKUlT_T0_SG_SL_E_clIS7_S7_PlSB_EEDaSZ_S10_SG_SL_EUlSZ_E_NS1_11comp_targetILNS1_3genE5ELNS1_11target_archE942ELNS1_3gpuE9ELNS1_3repE0EEENS1_47radix_sort_onesweep_sort_config_static_selectorELNS0_4arch9wavefront6targetE1EEEvSG_
		.amdhsa_group_segment_fixed_size 0
		.amdhsa_private_segment_fixed_size 0
		.amdhsa_kernarg_size 88
		.amdhsa_user_sgpr_count 6
		.amdhsa_user_sgpr_private_segment_buffer 1
		.amdhsa_user_sgpr_dispatch_ptr 0
		.amdhsa_user_sgpr_queue_ptr 0
		.amdhsa_user_sgpr_kernarg_segment_ptr 1
		.amdhsa_user_sgpr_dispatch_id 0
		.amdhsa_user_sgpr_flat_scratch_init 0
		.amdhsa_user_sgpr_kernarg_preload_length 0
		.amdhsa_user_sgpr_kernarg_preload_offset 0
		.amdhsa_user_sgpr_private_segment_size 0
		.amdhsa_uses_dynamic_stack 0
		.amdhsa_system_sgpr_private_segment_wavefront_offset 0
		.amdhsa_system_sgpr_workgroup_id_x 1
		.amdhsa_system_sgpr_workgroup_id_y 0
		.amdhsa_system_sgpr_workgroup_id_z 0
		.amdhsa_system_sgpr_workgroup_info 0
		.amdhsa_system_vgpr_workitem_id 0
		.amdhsa_next_free_vgpr 1
		.amdhsa_next_free_sgpr 0
		.amdhsa_accum_offset 4
		.amdhsa_reserve_vcc 0
		.amdhsa_reserve_flat_scratch 0
		.amdhsa_float_round_mode_32 0
		.amdhsa_float_round_mode_16_64 0
		.amdhsa_float_denorm_mode_32 3
		.amdhsa_float_denorm_mode_16_64 3
		.amdhsa_dx10_clamp 1
		.amdhsa_ieee_mode 1
		.amdhsa_fp16_overflow 0
		.amdhsa_tg_split 0
		.amdhsa_exception_fp_ieee_invalid_op 0
		.amdhsa_exception_fp_denorm_src 0
		.amdhsa_exception_fp_ieee_div_zero 0
		.amdhsa_exception_fp_ieee_overflow 0
		.amdhsa_exception_fp_ieee_underflow 0
		.amdhsa_exception_fp_ieee_inexact 0
		.amdhsa_exception_int_div_zero 0
	.end_amdhsa_kernel
	.section	.text._ZN7rocprim17ROCPRIM_400000_NS6detail17trampoline_kernelINS0_14default_configENS1_35radix_sort_onesweep_config_selectorIilEEZZNS1_29radix_sort_onesweep_iterationIS3_Lb0EPiS7_N6thrust23THRUST_200600_302600_NS10device_ptrIlEESB_jNS0_19identity_decomposerENS1_16block_id_wrapperIjLb1EEEEE10hipError_tT1_PNSt15iterator_traitsISG_E10value_typeET2_T3_PNSH_ISM_E10value_typeET4_T5_PSR_SS_PNS1_23onesweep_lookback_stateEbbT6_jjT7_P12ihipStream_tbENKUlT_T0_SG_SL_E_clIS7_S7_PlSB_EEDaSZ_S10_SG_SL_EUlSZ_E_NS1_11comp_targetILNS1_3genE5ELNS1_11target_archE942ELNS1_3gpuE9ELNS1_3repE0EEENS1_47radix_sort_onesweep_sort_config_static_selectorELNS0_4arch9wavefront6targetE1EEEvSG_,"axG",@progbits,_ZN7rocprim17ROCPRIM_400000_NS6detail17trampoline_kernelINS0_14default_configENS1_35radix_sort_onesweep_config_selectorIilEEZZNS1_29radix_sort_onesweep_iterationIS3_Lb0EPiS7_N6thrust23THRUST_200600_302600_NS10device_ptrIlEESB_jNS0_19identity_decomposerENS1_16block_id_wrapperIjLb1EEEEE10hipError_tT1_PNSt15iterator_traitsISG_E10value_typeET2_T3_PNSH_ISM_E10value_typeET4_T5_PSR_SS_PNS1_23onesweep_lookback_stateEbbT6_jjT7_P12ihipStream_tbENKUlT_T0_SG_SL_E_clIS7_S7_PlSB_EEDaSZ_S10_SG_SL_EUlSZ_E_NS1_11comp_targetILNS1_3genE5ELNS1_11target_archE942ELNS1_3gpuE9ELNS1_3repE0EEENS1_47radix_sort_onesweep_sort_config_static_selectorELNS0_4arch9wavefront6targetE1EEEvSG_,comdat
.Lfunc_end886:
	.size	_ZN7rocprim17ROCPRIM_400000_NS6detail17trampoline_kernelINS0_14default_configENS1_35radix_sort_onesweep_config_selectorIilEEZZNS1_29radix_sort_onesweep_iterationIS3_Lb0EPiS7_N6thrust23THRUST_200600_302600_NS10device_ptrIlEESB_jNS0_19identity_decomposerENS1_16block_id_wrapperIjLb1EEEEE10hipError_tT1_PNSt15iterator_traitsISG_E10value_typeET2_T3_PNSH_ISM_E10value_typeET4_T5_PSR_SS_PNS1_23onesweep_lookback_stateEbbT6_jjT7_P12ihipStream_tbENKUlT_T0_SG_SL_E_clIS7_S7_PlSB_EEDaSZ_S10_SG_SL_EUlSZ_E_NS1_11comp_targetILNS1_3genE5ELNS1_11target_archE942ELNS1_3gpuE9ELNS1_3repE0EEENS1_47radix_sort_onesweep_sort_config_static_selectorELNS0_4arch9wavefront6targetE1EEEvSG_, .Lfunc_end886-_ZN7rocprim17ROCPRIM_400000_NS6detail17trampoline_kernelINS0_14default_configENS1_35radix_sort_onesweep_config_selectorIilEEZZNS1_29radix_sort_onesweep_iterationIS3_Lb0EPiS7_N6thrust23THRUST_200600_302600_NS10device_ptrIlEESB_jNS0_19identity_decomposerENS1_16block_id_wrapperIjLb1EEEEE10hipError_tT1_PNSt15iterator_traitsISG_E10value_typeET2_T3_PNSH_ISM_E10value_typeET4_T5_PSR_SS_PNS1_23onesweep_lookback_stateEbbT6_jjT7_P12ihipStream_tbENKUlT_T0_SG_SL_E_clIS7_S7_PlSB_EEDaSZ_S10_SG_SL_EUlSZ_E_NS1_11comp_targetILNS1_3genE5ELNS1_11target_archE942ELNS1_3gpuE9ELNS1_3repE0EEENS1_47radix_sort_onesweep_sort_config_static_selectorELNS0_4arch9wavefront6targetE1EEEvSG_
                                        ; -- End function
	.section	.AMDGPU.csdata,"",@progbits
; Kernel info:
; codeLenInByte = 0
; NumSgprs: 4
; NumVgprs: 0
; NumAgprs: 0
; TotalNumVgprs: 0
; ScratchSize: 0
; MemoryBound: 0
; FloatMode: 240
; IeeeMode: 1
; LDSByteSize: 0 bytes/workgroup (compile time only)
; SGPRBlocks: 0
; VGPRBlocks: 0
; NumSGPRsForWavesPerEU: 4
; NumVGPRsForWavesPerEU: 1
; AccumOffset: 4
; Occupancy: 8
; WaveLimiterHint : 0
; COMPUTE_PGM_RSRC2:SCRATCH_EN: 0
; COMPUTE_PGM_RSRC2:USER_SGPR: 6
; COMPUTE_PGM_RSRC2:TRAP_HANDLER: 0
; COMPUTE_PGM_RSRC2:TGID_X_EN: 1
; COMPUTE_PGM_RSRC2:TGID_Y_EN: 0
; COMPUTE_PGM_RSRC2:TGID_Z_EN: 0
; COMPUTE_PGM_RSRC2:TIDIG_COMP_CNT: 0
; COMPUTE_PGM_RSRC3_GFX90A:ACCUM_OFFSET: 0
; COMPUTE_PGM_RSRC3_GFX90A:TG_SPLIT: 0
	.section	.text._ZN7rocprim17ROCPRIM_400000_NS6detail17trampoline_kernelINS0_14default_configENS1_35radix_sort_onesweep_config_selectorIilEEZZNS1_29radix_sort_onesweep_iterationIS3_Lb0EPiS7_N6thrust23THRUST_200600_302600_NS10device_ptrIlEESB_jNS0_19identity_decomposerENS1_16block_id_wrapperIjLb1EEEEE10hipError_tT1_PNSt15iterator_traitsISG_E10value_typeET2_T3_PNSH_ISM_E10value_typeET4_T5_PSR_SS_PNS1_23onesweep_lookback_stateEbbT6_jjT7_P12ihipStream_tbENKUlT_T0_SG_SL_E_clIS7_S7_PlSB_EEDaSZ_S10_SG_SL_EUlSZ_E_NS1_11comp_targetILNS1_3genE2ELNS1_11target_archE906ELNS1_3gpuE6ELNS1_3repE0EEENS1_47radix_sort_onesweep_sort_config_static_selectorELNS0_4arch9wavefront6targetE1EEEvSG_,"axG",@progbits,_ZN7rocprim17ROCPRIM_400000_NS6detail17trampoline_kernelINS0_14default_configENS1_35radix_sort_onesweep_config_selectorIilEEZZNS1_29radix_sort_onesweep_iterationIS3_Lb0EPiS7_N6thrust23THRUST_200600_302600_NS10device_ptrIlEESB_jNS0_19identity_decomposerENS1_16block_id_wrapperIjLb1EEEEE10hipError_tT1_PNSt15iterator_traitsISG_E10value_typeET2_T3_PNSH_ISM_E10value_typeET4_T5_PSR_SS_PNS1_23onesweep_lookback_stateEbbT6_jjT7_P12ihipStream_tbENKUlT_T0_SG_SL_E_clIS7_S7_PlSB_EEDaSZ_S10_SG_SL_EUlSZ_E_NS1_11comp_targetILNS1_3genE2ELNS1_11target_archE906ELNS1_3gpuE6ELNS1_3repE0EEENS1_47radix_sort_onesweep_sort_config_static_selectorELNS0_4arch9wavefront6targetE1EEEvSG_,comdat
	.protected	_ZN7rocprim17ROCPRIM_400000_NS6detail17trampoline_kernelINS0_14default_configENS1_35radix_sort_onesweep_config_selectorIilEEZZNS1_29radix_sort_onesweep_iterationIS3_Lb0EPiS7_N6thrust23THRUST_200600_302600_NS10device_ptrIlEESB_jNS0_19identity_decomposerENS1_16block_id_wrapperIjLb1EEEEE10hipError_tT1_PNSt15iterator_traitsISG_E10value_typeET2_T3_PNSH_ISM_E10value_typeET4_T5_PSR_SS_PNS1_23onesweep_lookback_stateEbbT6_jjT7_P12ihipStream_tbENKUlT_T0_SG_SL_E_clIS7_S7_PlSB_EEDaSZ_S10_SG_SL_EUlSZ_E_NS1_11comp_targetILNS1_3genE2ELNS1_11target_archE906ELNS1_3gpuE6ELNS1_3repE0EEENS1_47radix_sort_onesweep_sort_config_static_selectorELNS0_4arch9wavefront6targetE1EEEvSG_ ; -- Begin function _ZN7rocprim17ROCPRIM_400000_NS6detail17trampoline_kernelINS0_14default_configENS1_35radix_sort_onesweep_config_selectorIilEEZZNS1_29radix_sort_onesweep_iterationIS3_Lb0EPiS7_N6thrust23THRUST_200600_302600_NS10device_ptrIlEESB_jNS0_19identity_decomposerENS1_16block_id_wrapperIjLb1EEEEE10hipError_tT1_PNSt15iterator_traitsISG_E10value_typeET2_T3_PNSH_ISM_E10value_typeET4_T5_PSR_SS_PNS1_23onesweep_lookback_stateEbbT6_jjT7_P12ihipStream_tbENKUlT_T0_SG_SL_E_clIS7_S7_PlSB_EEDaSZ_S10_SG_SL_EUlSZ_E_NS1_11comp_targetILNS1_3genE2ELNS1_11target_archE906ELNS1_3gpuE6ELNS1_3repE0EEENS1_47radix_sort_onesweep_sort_config_static_selectorELNS0_4arch9wavefront6targetE1EEEvSG_
	.globl	_ZN7rocprim17ROCPRIM_400000_NS6detail17trampoline_kernelINS0_14default_configENS1_35radix_sort_onesweep_config_selectorIilEEZZNS1_29radix_sort_onesweep_iterationIS3_Lb0EPiS7_N6thrust23THRUST_200600_302600_NS10device_ptrIlEESB_jNS0_19identity_decomposerENS1_16block_id_wrapperIjLb1EEEEE10hipError_tT1_PNSt15iterator_traitsISG_E10value_typeET2_T3_PNSH_ISM_E10value_typeET4_T5_PSR_SS_PNS1_23onesweep_lookback_stateEbbT6_jjT7_P12ihipStream_tbENKUlT_T0_SG_SL_E_clIS7_S7_PlSB_EEDaSZ_S10_SG_SL_EUlSZ_E_NS1_11comp_targetILNS1_3genE2ELNS1_11target_archE906ELNS1_3gpuE6ELNS1_3repE0EEENS1_47radix_sort_onesweep_sort_config_static_selectorELNS0_4arch9wavefront6targetE1EEEvSG_
	.p2align	8
	.type	_ZN7rocprim17ROCPRIM_400000_NS6detail17trampoline_kernelINS0_14default_configENS1_35radix_sort_onesweep_config_selectorIilEEZZNS1_29radix_sort_onesweep_iterationIS3_Lb0EPiS7_N6thrust23THRUST_200600_302600_NS10device_ptrIlEESB_jNS0_19identity_decomposerENS1_16block_id_wrapperIjLb1EEEEE10hipError_tT1_PNSt15iterator_traitsISG_E10value_typeET2_T3_PNSH_ISM_E10value_typeET4_T5_PSR_SS_PNS1_23onesweep_lookback_stateEbbT6_jjT7_P12ihipStream_tbENKUlT_T0_SG_SL_E_clIS7_S7_PlSB_EEDaSZ_S10_SG_SL_EUlSZ_E_NS1_11comp_targetILNS1_3genE2ELNS1_11target_archE906ELNS1_3gpuE6ELNS1_3repE0EEENS1_47radix_sort_onesweep_sort_config_static_selectorELNS0_4arch9wavefront6targetE1EEEvSG_,@function
_ZN7rocprim17ROCPRIM_400000_NS6detail17trampoline_kernelINS0_14default_configENS1_35radix_sort_onesweep_config_selectorIilEEZZNS1_29radix_sort_onesweep_iterationIS3_Lb0EPiS7_N6thrust23THRUST_200600_302600_NS10device_ptrIlEESB_jNS0_19identity_decomposerENS1_16block_id_wrapperIjLb1EEEEE10hipError_tT1_PNSt15iterator_traitsISG_E10value_typeET2_T3_PNSH_ISM_E10value_typeET4_T5_PSR_SS_PNS1_23onesweep_lookback_stateEbbT6_jjT7_P12ihipStream_tbENKUlT_T0_SG_SL_E_clIS7_S7_PlSB_EEDaSZ_S10_SG_SL_EUlSZ_E_NS1_11comp_targetILNS1_3genE2ELNS1_11target_archE906ELNS1_3gpuE6ELNS1_3repE0EEENS1_47radix_sort_onesweep_sort_config_static_selectorELNS0_4arch9wavefront6targetE1EEEvSG_: ; @_ZN7rocprim17ROCPRIM_400000_NS6detail17trampoline_kernelINS0_14default_configENS1_35radix_sort_onesweep_config_selectorIilEEZZNS1_29radix_sort_onesweep_iterationIS3_Lb0EPiS7_N6thrust23THRUST_200600_302600_NS10device_ptrIlEESB_jNS0_19identity_decomposerENS1_16block_id_wrapperIjLb1EEEEE10hipError_tT1_PNSt15iterator_traitsISG_E10value_typeET2_T3_PNSH_ISM_E10value_typeET4_T5_PSR_SS_PNS1_23onesweep_lookback_stateEbbT6_jjT7_P12ihipStream_tbENKUlT_T0_SG_SL_E_clIS7_S7_PlSB_EEDaSZ_S10_SG_SL_EUlSZ_E_NS1_11comp_targetILNS1_3genE2ELNS1_11target_archE906ELNS1_3gpuE6ELNS1_3repE0EEENS1_47radix_sort_onesweep_sort_config_static_selectorELNS0_4arch9wavefront6targetE1EEEvSG_
; %bb.0:
	.section	.rodata,"a",@progbits
	.p2align	6, 0x0
	.amdhsa_kernel _ZN7rocprim17ROCPRIM_400000_NS6detail17trampoline_kernelINS0_14default_configENS1_35radix_sort_onesweep_config_selectorIilEEZZNS1_29radix_sort_onesweep_iterationIS3_Lb0EPiS7_N6thrust23THRUST_200600_302600_NS10device_ptrIlEESB_jNS0_19identity_decomposerENS1_16block_id_wrapperIjLb1EEEEE10hipError_tT1_PNSt15iterator_traitsISG_E10value_typeET2_T3_PNSH_ISM_E10value_typeET4_T5_PSR_SS_PNS1_23onesweep_lookback_stateEbbT6_jjT7_P12ihipStream_tbENKUlT_T0_SG_SL_E_clIS7_S7_PlSB_EEDaSZ_S10_SG_SL_EUlSZ_E_NS1_11comp_targetILNS1_3genE2ELNS1_11target_archE906ELNS1_3gpuE6ELNS1_3repE0EEENS1_47radix_sort_onesweep_sort_config_static_selectorELNS0_4arch9wavefront6targetE1EEEvSG_
		.amdhsa_group_segment_fixed_size 0
		.amdhsa_private_segment_fixed_size 0
		.amdhsa_kernarg_size 88
		.amdhsa_user_sgpr_count 6
		.amdhsa_user_sgpr_private_segment_buffer 1
		.amdhsa_user_sgpr_dispatch_ptr 0
		.amdhsa_user_sgpr_queue_ptr 0
		.amdhsa_user_sgpr_kernarg_segment_ptr 1
		.amdhsa_user_sgpr_dispatch_id 0
		.amdhsa_user_sgpr_flat_scratch_init 0
		.amdhsa_user_sgpr_kernarg_preload_length 0
		.amdhsa_user_sgpr_kernarg_preload_offset 0
		.amdhsa_user_sgpr_private_segment_size 0
		.amdhsa_uses_dynamic_stack 0
		.amdhsa_system_sgpr_private_segment_wavefront_offset 0
		.amdhsa_system_sgpr_workgroup_id_x 1
		.amdhsa_system_sgpr_workgroup_id_y 0
		.amdhsa_system_sgpr_workgroup_id_z 0
		.amdhsa_system_sgpr_workgroup_info 0
		.amdhsa_system_vgpr_workitem_id 0
		.amdhsa_next_free_vgpr 1
		.amdhsa_next_free_sgpr 0
		.amdhsa_accum_offset 4
		.amdhsa_reserve_vcc 0
		.amdhsa_reserve_flat_scratch 0
		.amdhsa_float_round_mode_32 0
		.amdhsa_float_round_mode_16_64 0
		.amdhsa_float_denorm_mode_32 3
		.amdhsa_float_denorm_mode_16_64 3
		.amdhsa_dx10_clamp 1
		.amdhsa_ieee_mode 1
		.amdhsa_fp16_overflow 0
		.amdhsa_tg_split 0
		.amdhsa_exception_fp_ieee_invalid_op 0
		.amdhsa_exception_fp_denorm_src 0
		.amdhsa_exception_fp_ieee_div_zero 0
		.amdhsa_exception_fp_ieee_overflow 0
		.amdhsa_exception_fp_ieee_underflow 0
		.amdhsa_exception_fp_ieee_inexact 0
		.amdhsa_exception_int_div_zero 0
	.end_amdhsa_kernel
	.section	.text._ZN7rocprim17ROCPRIM_400000_NS6detail17trampoline_kernelINS0_14default_configENS1_35radix_sort_onesweep_config_selectorIilEEZZNS1_29radix_sort_onesweep_iterationIS3_Lb0EPiS7_N6thrust23THRUST_200600_302600_NS10device_ptrIlEESB_jNS0_19identity_decomposerENS1_16block_id_wrapperIjLb1EEEEE10hipError_tT1_PNSt15iterator_traitsISG_E10value_typeET2_T3_PNSH_ISM_E10value_typeET4_T5_PSR_SS_PNS1_23onesweep_lookback_stateEbbT6_jjT7_P12ihipStream_tbENKUlT_T0_SG_SL_E_clIS7_S7_PlSB_EEDaSZ_S10_SG_SL_EUlSZ_E_NS1_11comp_targetILNS1_3genE2ELNS1_11target_archE906ELNS1_3gpuE6ELNS1_3repE0EEENS1_47radix_sort_onesweep_sort_config_static_selectorELNS0_4arch9wavefront6targetE1EEEvSG_,"axG",@progbits,_ZN7rocprim17ROCPRIM_400000_NS6detail17trampoline_kernelINS0_14default_configENS1_35radix_sort_onesweep_config_selectorIilEEZZNS1_29radix_sort_onesweep_iterationIS3_Lb0EPiS7_N6thrust23THRUST_200600_302600_NS10device_ptrIlEESB_jNS0_19identity_decomposerENS1_16block_id_wrapperIjLb1EEEEE10hipError_tT1_PNSt15iterator_traitsISG_E10value_typeET2_T3_PNSH_ISM_E10value_typeET4_T5_PSR_SS_PNS1_23onesweep_lookback_stateEbbT6_jjT7_P12ihipStream_tbENKUlT_T0_SG_SL_E_clIS7_S7_PlSB_EEDaSZ_S10_SG_SL_EUlSZ_E_NS1_11comp_targetILNS1_3genE2ELNS1_11target_archE906ELNS1_3gpuE6ELNS1_3repE0EEENS1_47radix_sort_onesweep_sort_config_static_selectorELNS0_4arch9wavefront6targetE1EEEvSG_,comdat
.Lfunc_end887:
	.size	_ZN7rocprim17ROCPRIM_400000_NS6detail17trampoline_kernelINS0_14default_configENS1_35radix_sort_onesweep_config_selectorIilEEZZNS1_29radix_sort_onesweep_iterationIS3_Lb0EPiS7_N6thrust23THRUST_200600_302600_NS10device_ptrIlEESB_jNS0_19identity_decomposerENS1_16block_id_wrapperIjLb1EEEEE10hipError_tT1_PNSt15iterator_traitsISG_E10value_typeET2_T3_PNSH_ISM_E10value_typeET4_T5_PSR_SS_PNS1_23onesweep_lookback_stateEbbT6_jjT7_P12ihipStream_tbENKUlT_T0_SG_SL_E_clIS7_S7_PlSB_EEDaSZ_S10_SG_SL_EUlSZ_E_NS1_11comp_targetILNS1_3genE2ELNS1_11target_archE906ELNS1_3gpuE6ELNS1_3repE0EEENS1_47radix_sort_onesweep_sort_config_static_selectorELNS0_4arch9wavefront6targetE1EEEvSG_, .Lfunc_end887-_ZN7rocprim17ROCPRIM_400000_NS6detail17trampoline_kernelINS0_14default_configENS1_35radix_sort_onesweep_config_selectorIilEEZZNS1_29radix_sort_onesweep_iterationIS3_Lb0EPiS7_N6thrust23THRUST_200600_302600_NS10device_ptrIlEESB_jNS0_19identity_decomposerENS1_16block_id_wrapperIjLb1EEEEE10hipError_tT1_PNSt15iterator_traitsISG_E10value_typeET2_T3_PNSH_ISM_E10value_typeET4_T5_PSR_SS_PNS1_23onesweep_lookback_stateEbbT6_jjT7_P12ihipStream_tbENKUlT_T0_SG_SL_E_clIS7_S7_PlSB_EEDaSZ_S10_SG_SL_EUlSZ_E_NS1_11comp_targetILNS1_3genE2ELNS1_11target_archE906ELNS1_3gpuE6ELNS1_3repE0EEENS1_47radix_sort_onesweep_sort_config_static_selectorELNS0_4arch9wavefront6targetE1EEEvSG_
                                        ; -- End function
	.section	.AMDGPU.csdata,"",@progbits
; Kernel info:
; codeLenInByte = 0
; NumSgprs: 4
; NumVgprs: 0
; NumAgprs: 0
; TotalNumVgprs: 0
; ScratchSize: 0
; MemoryBound: 0
; FloatMode: 240
; IeeeMode: 1
; LDSByteSize: 0 bytes/workgroup (compile time only)
; SGPRBlocks: 0
; VGPRBlocks: 0
; NumSGPRsForWavesPerEU: 4
; NumVGPRsForWavesPerEU: 1
; AccumOffset: 4
; Occupancy: 8
; WaveLimiterHint : 0
; COMPUTE_PGM_RSRC2:SCRATCH_EN: 0
; COMPUTE_PGM_RSRC2:USER_SGPR: 6
; COMPUTE_PGM_RSRC2:TRAP_HANDLER: 0
; COMPUTE_PGM_RSRC2:TGID_X_EN: 1
; COMPUTE_PGM_RSRC2:TGID_Y_EN: 0
; COMPUTE_PGM_RSRC2:TGID_Z_EN: 0
; COMPUTE_PGM_RSRC2:TIDIG_COMP_CNT: 0
; COMPUTE_PGM_RSRC3_GFX90A:ACCUM_OFFSET: 0
; COMPUTE_PGM_RSRC3_GFX90A:TG_SPLIT: 0
	.section	.text._ZN7rocprim17ROCPRIM_400000_NS6detail17trampoline_kernelINS0_14default_configENS1_35radix_sort_onesweep_config_selectorIilEEZZNS1_29radix_sort_onesweep_iterationIS3_Lb0EPiS7_N6thrust23THRUST_200600_302600_NS10device_ptrIlEESB_jNS0_19identity_decomposerENS1_16block_id_wrapperIjLb1EEEEE10hipError_tT1_PNSt15iterator_traitsISG_E10value_typeET2_T3_PNSH_ISM_E10value_typeET4_T5_PSR_SS_PNS1_23onesweep_lookback_stateEbbT6_jjT7_P12ihipStream_tbENKUlT_T0_SG_SL_E_clIS7_S7_PlSB_EEDaSZ_S10_SG_SL_EUlSZ_E_NS1_11comp_targetILNS1_3genE4ELNS1_11target_archE910ELNS1_3gpuE8ELNS1_3repE0EEENS1_47radix_sort_onesweep_sort_config_static_selectorELNS0_4arch9wavefront6targetE1EEEvSG_,"axG",@progbits,_ZN7rocprim17ROCPRIM_400000_NS6detail17trampoline_kernelINS0_14default_configENS1_35radix_sort_onesweep_config_selectorIilEEZZNS1_29radix_sort_onesweep_iterationIS3_Lb0EPiS7_N6thrust23THRUST_200600_302600_NS10device_ptrIlEESB_jNS0_19identity_decomposerENS1_16block_id_wrapperIjLb1EEEEE10hipError_tT1_PNSt15iterator_traitsISG_E10value_typeET2_T3_PNSH_ISM_E10value_typeET4_T5_PSR_SS_PNS1_23onesweep_lookback_stateEbbT6_jjT7_P12ihipStream_tbENKUlT_T0_SG_SL_E_clIS7_S7_PlSB_EEDaSZ_S10_SG_SL_EUlSZ_E_NS1_11comp_targetILNS1_3genE4ELNS1_11target_archE910ELNS1_3gpuE8ELNS1_3repE0EEENS1_47radix_sort_onesweep_sort_config_static_selectorELNS0_4arch9wavefront6targetE1EEEvSG_,comdat
	.protected	_ZN7rocprim17ROCPRIM_400000_NS6detail17trampoline_kernelINS0_14default_configENS1_35radix_sort_onesweep_config_selectorIilEEZZNS1_29radix_sort_onesweep_iterationIS3_Lb0EPiS7_N6thrust23THRUST_200600_302600_NS10device_ptrIlEESB_jNS0_19identity_decomposerENS1_16block_id_wrapperIjLb1EEEEE10hipError_tT1_PNSt15iterator_traitsISG_E10value_typeET2_T3_PNSH_ISM_E10value_typeET4_T5_PSR_SS_PNS1_23onesweep_lookback_stateEbbT6_jjT7_P12ihipStream_tbENKUlT_T0_SG_SL_E_clIS7_S7_PlSB_EEDaSZ_S10_SG_SL_EUlSZ_E_NS1_11comp_targetILNS1_3genE4ELNS1_11target_archE910ELNS1_3gpuE8ELNS1_3repE0EEENS1_47radix_sort_onesweep_sort_config_static_selectorELNS0_4arch9wavefront6targetE1EEEvSG_ ; -- Begin function _ZN7rocprim17ROCPRIM_400000_NS6detail17trampoline_kernelINS0_14default_configENS1_35radix_sort_onesweep_config_selectorIilEEZZNS1_29radix_sort_onesweep_iterationIS3_Lb0EPiS7_N6thrust23THRUST_200600_302600_NS10device_ptrIlEESB_jNS0_19identity_decomposerENS1_16block_id_wrapperIjLb1EEEEE10hipError_tT1_PNSt15iterator_traitsISG_E10value_typeET2_T3_PNSH_ISM_E10value_typeET4_T5_PSR_SS_PNS1_23onesweep_lookback_stateEbbT6_jjT7_P12ihipStream_tbENKUlT_T0_SG_SL_E_clIS7_S7_PlSB_EEDaSZ_S10_SG_SL_EUlSZ_E_NS1_11comp_targetILNS1_3genE4ELNS1_11target_archE910ELNS1_3gpuE8ELNS1_3repE0EEENS1_47radix_sort_onesweep_sort_config_static_selectorELNS0_4arch9wavefront6targetE1EEEvSG_
	.globl	_ZN7rocprim17ROCPRIM_400000_NS6detail17trampoline_kernelINS0_14default_configENS1_35radix_sort_onesweep_config_selectorIilEEZZNS1_29radix_sort_onesweep_iterationIS3_Lb0EPiS7_N6thrust23THRUST_200600_302600_NS10device_ptrIlEESB_jNS0_19identity_decomposerENS1_16block_id_wrapperIjLb1EEEEE10hipError_tT1_PNSt15iterator_traitsISG_E10value_typeET2_T3_PNSH_ISM_E10value_typeET4_T5_PSR_SS_PNS1_23onesweep_lookback_stateEbbT6_jjT7_P12ihipStream_tbENKUlT_T0_SG_SL_E_clIS7_S7_PlSB_EEDaSZ_S10_SG_SL_EUlSZ_E_NS1_11comp_targetILNS1_3genE4ELNS1_11target_archE910ELNS1_3gpuE8ELNS1_3repE0EEENS1_47radix_sort_onesweep_sort_config_static_selectorELNS0_4arch9wavefront6targetE1EEEvSG_
	.p2align	8
	.type	_ZN7rocprim17ROCPRIM_400000_NS6detail17trampoline_kernelINS0_14default_configENS1_35radix_sort_onesweep_config_selectorIilEEZZNS1_29radix_sort_onesweep_iterationIS3_Lb0EPiS7_N6thrust23THRUST_200600_302600_NS10device_ptrIlEESB_jNS0_19identity_decomposerENS1_16block_id_wrapperIjLb1EEEEE10hipError_tT1_PNSt15iterator_traitsISG_E10value_typeET2_T3_PNSH_ISM_E10value_typeET4_T5_PSR_SS_PNS1_23onesweep_lookback_stateEbbT6_jjT7_P12ihipStream_tbENKUlT_T0_SG_SL_E_clIS7_S7_PlSB_EEDaSZ_S10_SG_SL_EUlSZ_E_NS1_11comp_targetILNS1_3genE4ELNS1_11target_archE910ELNS1_3gpuE8ELNS1_3repE0EEENS1_47radix_sort_onesweep_sort_config_static_selectorELNS0_4arch9wavefront6targetE1EEEvSG_,@function
_ZN7rocprim17ROCPRIM_400000_NS6detail17trampoline_kernelINS0_14default_configENS1_35radix_sort_onesweep_config_selectorIilEEZZNS1_29radix_sort_onesweep_iterationIS3_Lb0EPiS7_N6thrust23THRUST_200600_302600_NS10device_ptrIlEESB_jNS0_19identity_decomposerENS1_16block_id_wrapperIjLb1EEEEE10hipError_tT1_PNSt15iterator_traitsISG_E10value_typeET2_T3_PNSH_ISM_E10value_typeET4_T5_PSR_SS_PNS1_23onesweep_lookback_stateEbbT6_jjT7_P12ihipStream_tbENKUlT_T0_SG_SL_E_clIS7_S7_PlSB_EEDaSZ_S10_SG_SL_EUlSZ_E_NS1_11comp_targetILNS1_3genE4ELNS1_11target_archE910ELNS1_3gpuE8ELNS1_3repE0EEENS1_47radix_sort_onesweep_sort_config_static_selectorELNS0_4arch9wavefront6targetE1EEEvSG_: ; @_ZN7rocprim17ROCPRIM_400000_NS6detail17trampoline_kernelINS0_14default_configENS1_35radix_sort_onesweep_config_selectorIilEEZZNS1_29radix_sort_onesweep_iterationIS3_Lb0EPiS7_N6thrust23THRUST_200600_302600_NS10device_ptrIlEESB_jNS0_19identity_decomposerENS1_16block_id_wrapperIjLb1EEEEE10hipError_tT1_PNSt15iterator_traitsISG_E10value_typeET2_T3_PNSH_ISM_E10value_typeET4_T5_PSR_SS_PNS1_23onesweep_lookback_stateEbbT6_jjT7_P12ihipStream_tbENKUlT_T0_SG_SL_E_clIS7_S7_PlSB_EEDaSZ_S10_SG_SL_EUlSZ_E_NS1_11comp_targetILNS1_3genE4ELNS1_11target_archE910ELNS1_3gpuE8ELNS1_3repE0EEENS1_47radix_sort_onesweep_sort_config_static_selectorELNS0_4arch9wavefront6targetE1EEEvSG_
; %bb.0:
	s_load_dwordx4 s[52:55], s[4:5], 0x28
	s_load_dwordx2 s[42:43], s[4:5], 0x38
	s_load_dwordx4 s[56:59], s[4:5], 0x44
	v_and_b32_e32 v18, 0x3ff, v0
	v_cmp_eq_u32_e64 s[0:1], 0, v18
	s_and_saveexec_b64 s[2:3], s[0:1]
	s_cbranch_execz .LBB888_4
; %bb.1:
	s_mov_b64 s[10:11], exec
	v_mbcnt_lo_u32_b32 v1, s10, 0
	v_mbcnt_hi_u32_b32 v1, s11, v1
	v_cmp_eq_u32_e32 vcc, 0, v1
                                        ; implicit-def: $vgpr2
	s_and_saveexec_b64 s[8:9], vcc
	s_cbranch_execz .LBB888_3
; %bb.2:
	s_load_dwordx2 s[12:13], s[4:5], 0x50
	s_bcnt1_i32_b64 s7, s[10:11]
	v_mov_b32_e32 v2, 0
	v_mov_b32_e32 v3, s7
	s_waitcnt lgkmcnt(0)
	global_atomic_add v2, v2, v3, s[12:13] glc
.LBB888_3:
	s_or_b64 exec, exec, s[8:9]
	s_waitcnt vmcnt(0)
	v_readfirstlane_b32 s7, v2
	v_add_u32_e32 v1, s7, v1
	v_mov_b32_e32 v2, 0
	ds_write_b32 v2, v1 offset:10272
.LBB888_4:
	s_or_b64 exec, exec, s[2:3]
	v_mov_b32_e32 v1, 0
	s_load_dwordx8 s[44:51], s[4:5], 0x0
	s_load_dword s2, s[4:5], 0x20
	s_waitcnt lgkmcnt(0)
	s_barrier
	ds_read_b32 v1, v1 offset:10272
	v_mbcnt_lo_u32_b32 v19, -1, 0
	s_waitcnt lgkmcnt(0)
	s_barrier
	v_cmp_le_u32_e32 vcc, s58, v1
	v_readfirstlane_b32 s33, v1
	v_lshlrev_b32_e32 v1, 4, v18
	s_cbranch_vccz .LBB888_99
; %bb.5:
	s_lshl_b32 s3, s58, 13
	s_lshl_b32 s58, s33, 13
	s_mov_b32 s59, 0
	s_sub_i32 s7, s2, s3
	s_lshl_b64 s[2:3], s[58:59], 2
	v_mbcnt_hi_u32_b32 v6, -1, v19
	s_add_u32 s2, s44, s2
	v_and_b32_e32 v23, 63, v6
	s_addc_u32 s3, s45, s3
	v_lshlrev_b32_e32 v2, 2, v23
	v_and_b32_e32 v22, 0x3c00, v1
	v_mov_b32_e32 v3, s3
	v_add_co_u32_e32 v2, vcc, s2, v2
	v_addc_co_u32_e32 v3, vcc, 0, v3, vcc
	v_lshlrev_b32_e32 v4, 2, v22
	v_add_co_u32_e32 v2, vcc, v2, v4
	v_addc_co_u32_e32 v3, vcc, 0, v3, vcc
	v_or_b32_e32 v5, v23, v22
	v_cmp_gt_u32_e32 vcc, s7, v5
	v_bfrev_b32_e32 v9, -2
	v_bfrev_b32_e32 v4, -2
	s_and_saveexec_b64 s[2:3], vcc
	s_cbranch_execz .LBB888_7
; %bb.6:
	global_load_dword v4, v[2:3], off
.LBB888_7:
	s_or_b64 exec, exec, s[2:3]
	v_or_b32_e32 v7, 64, v5
	v_cmp_gt_u32_e64 s[8:9], s7, v7
	s_and_saveexec_b64 s[2:3], s[8:9]
	s_cbranch_execz .LBB888_9
; %bb.8:
	global_load_dword v9, v[2:3], off offset:256
.LBB888_9:
	s_or_b64 exec, exec, s[2:3]
	v_or_b32_e32 v7, 0x80, v5
	v_cmp_gt_u32_e64 s[12:13], s7, v7
	v_bfrev_b32_e32 v16, -2
	v_bfrev_b32_e32 v11, -2
	s_and_saveexec_b64 s[2:3], s[12:13]
	s_cbranch_execz .LBB888_11
; %bb.10:
	global_load_dword v11, v[2:3], off offset:512
.LBB888_11:
	s_or_b64 exec, exec, s[2:3]
	v_or_b32_e32 v7, 0xc0, v5
	v_cmp_gt_u32_e64 s[16:17], s7, v7
	s_and_saveexec_b64 s[2:3], s[16:17]
	s_cbranch_execz .LBB888_13
; %bb.12:
	global_load_dword v16, v[2:3], off offset:768
.LBB888_13:
	s_or_b64 exec, exec, s[2:3]
	v_or_b32_e32 v7, 0x100, v5
	v_cmp_gt_u32_e64 s[18:19], s7, v7
	v_bfrev_b32_e32 v29, -2
	v_bfrev_b32_e32 v28, -2
	s_and_saveexec_b64 s[2:3], s[18:19]
	s_cbranch_execz .LBB888_15
; %bb.14:
	global_load_dword v28, v[2:3], off offset:1024
.LBB888_15:
	;; [unrolled: 18-line block ×7, first 2 shown]
	s_or_b64 exec, exec, s[2:3]
	v_or_b32_e32 v5, 0x3c0, v5
	v_cmp_gt_u32_e64 s[2:3], s7, v5
	s_and_saveexec_b64 s[36:37], s[2:3]
	s_cbranch_execz .LBB888_37
; %bb.36:
	global_load_dword v15, v[2:3], off offset:3840
.LBB888_37:
	s_or_b64 exec, exec, s[36:37]
	s_load_dword s36, s[4:5], 0x64
	s_load_dword s68, s[4:5], 0x58
	s_add_u32 s37, s4, 0x58
	s_addc_u32 s40, s5, 0
	v_mov_b32_e32 v2, 0
	s_waitcnt lgkmcnt(0)
	s_lshr_b32 s41, s36, 16
	s_cmp_lt_u32 s6, s68
	s_cselect_b32 s36, 12, 18
	s_add_u32 s36, s37, s36
	s_addc_u32 s37, s40, 0
	global_load_ushort v5, v2, s[36:37]
	s_waitcnt vmcnt(1)
	v_xor_b32_e32 v24, 0x80000000, v4
	s_lshl_b32 s36, -1, s57
	v_lshrrev_b32_e32 v8, s56, v24
	s_not_b32 s69, s36
	v_and_b32_e32 v8, s69, v8
	v_and_b32_e32 v12, 1, v8
	v_bfe_u32 v3, v0, 10, 10
	v_bfe_u32 v4, v0, 20, 10
	v_add_co_u32_e64 v13, s[36:37], -1, v12
	v_mad_u32_u24 v4, v4, s41, v3
	v_lshlrev_b32_e32 v3, 30, v8
	v_addc_co_u32_e64 v14, s[36:37], 0, -1, s[36:37]
	v_cmp_ne_u32_e64 s[36:37], 0, v12
	v_cmp_gt_i64_e64 s[40:41], 0, v[2:3]
	v_not_b32_e32 v12, v3
	v_lshlrev_b32_e32 v3, 29, v8
	v_xor_b32_e32 v14, s37, v14
	v_xor_b32_e32 v13, s36, v13
	v_ashrrev_i32_e32 v12, 31, v12
	v_cmp_gt_i64_e64 s[36:37], 0, v[2:3]
	v_not_b32_e32 v17, v3
	v_lshlrev_b32_e32 v3, 28, v8
	v_and_b32_e32 v14, exec_hi, v14
	v_and_b32_e32 v13, exec_lo, v13
	v_xor_b32_e32 v20, s41, v12
	v_xor_b32_e32 v12, s40, v12
	v_ashrrev_i32_e32 v17, 31, v17
	v_cmp_gt_i64_e64 s[40:41], 0, v[2:3]
	v_not_b32_e32 v25, v3
	v_lshlrev_b32_e32 v3, 27, v8
	v_and_b32_e32 v14, v14, v20
	v_and_b32_e32 v12, v13, v12
	v_xor_b32_e32 v13, s37, v17
	v_xor_b32_e32 v17, s36, v17
	v_ashrrev_i32_e32 v20, 31, v25
	v_cmp_gt_i64_e64 s[36:37], 0, v[2:3]
	v_not_b32_e32 v25, v3
	v_lshlrev_b32_e32 v3, 26, v8
	v_and_b32_e32 v13, v14, v13
	v_and_b32_e32 v12, v12, v17
	;; [unrolled: 8-line block ×3, first 2 shown]
	v_xor_b32_e32 v14, s37, v20
	v_xor_b32_e32 v17, s36, v20
	v_ashrrev_i32_e32 v20, 31, v25
	v_cmp_gt_i64_e64 s[36:37], 0, v[2:3]
	v_not_b32_e32 v25, v3
	v_lshlrev_b32_e32 v3, 24, v8
	v_lshl_add_u32 v10, v8, 3, v8
	v_and_b32_e32 v8, v13, v14
	v_and_b32_e32 v12, v12, v17
	v_xor_b32_e32 v13, s41, v20
	v_xor_b32_e32 v14, s40, v20
	v_ashrrev_i32_e32 v17, 31, v25
	v_cmp_gt_i64_e64 s[40:41], 0, v[2:3]
	v_not_b32_e32 v3, v3
	v_and_b32_e32 v8, v8, v13
	v_and_b32_e32 v12, v12, v14
	v_xor_b32_e32 v13, s37, v17
	v_xor_b32_e32 v14, s36, v17
	v_ashrrev_i32_e32 v3, 31, v3
	v_and_b32_e32 v8, v8, v13
	v_and_b32_e32 v13, v12, v14
	v_mul_u32_u24_e32 v7, 5, v18
	v_lshlrev_b32_e32 v7, 2, v7
	ds_write2_b32 v7, v2, v2 offset0:8 offset1:9
	ds_write2_b32 v7, v2, v2 offset0:10 offset1:11
	ds_write_b32 v7, v2 offset:48
	s_waitcnt lgkmcnt(0)
	s_barrier
	s_waitcnt lgkmcnt(0)
	; wave barrier
	s_waitcnt vmcnt(0)
	v_mad_u64_u32 v[4:5], s[36:37], v4, v5, v[18:19]
	v_lshrrev_b32_e32 v32, 6, v4
	v_xor_b32_e32 v4, s41, v3
	v_xor_b32_e32 v3, s40, v3
	v_and_b32_e32 v5, v8, v4
	v_and_b32_e32 v4, v13, v3
	v_mbcnt_lo_u32_b32 v3, v4, 0
	v_mbcnt_hi_u32_b32 v8, v5, v3
	v_cmp_eq_u32_e64 s[36:37], 0, v8
	v_cmp_ne_u64_e64 s[40:41], 0, v[4:5]
	v_add_lshl_u32 v12, v32, v10, 2
	s_and_b64 s[40:41], s[40:41], s[36:37]
	s_and_saveexec_b64 s[36:37], s[40:41]
	s_cbranch_execz .LBB888_39
; %bb.38:
	v_bcnt_u32_b32 v3, v4, 0
	v_bcnt_u32_b32 v3, v5, v3
	ds_write_b32 v12, v3 offset:32
.LBB888_39:
	s_or_b64 exec, exec, s[36:37]
	v_xor_b32_e32 v25, 0x80000000, v9
	v_lshrrev_b32_e32 v3, s56, v25
	v_and_b32_e32 v4, s69, v3
	v_lshl_add_u32 v3, v4, 3, v4
	v_add_lshl_u32 v13, v32, v3, 2
	v_and_b32_e32 v3, 1, v4
	v_add_co_u32_e64 v5, s[36:37], -1, v3
	v_addc_co_u32_e64 v10, s[36:37], 0, -1, s[36:37]
	v_cmp_ne_u32_e64 s[36:37], 0, v3
	v_xor_b32_e32 v3, s37, v10
	v_and_b32_e32 v10, exec_hi, v3
	v_lshlrev_b32_e32 v3, 30, v4
	v_xor_b32_e32 v5, s36, v5
	v_cmp_gt_i64_e64 s[36:37], 0, v[2:3]
	v_not_b32_e32 v3, v3
	v_ashrrev_i32_e32 v3, 31, v3
	v_and_b32_e32 v5, exec_lo, v5
	v_xor_b32_e32 v14, s37, v3
	v_xor_b32_e32 v3, s36, v3
	v_and_b32_e32 v5, v5, v3
	v_lshlrev_b32_e32 v3, 29, v4
	v_cmp_gt_i64_e64 s[36:37], 0, v[2:3]
	v_not_b32_e32 v3, v3
	v_ashrrev_i32_e32 v3, 31, v3
	v_and_b32_e32 v10, v10, v14
	v_xor_b32_e32 v14, s37, v3
	v_xor_b32_e32 v3, s36, v3
	v_and_b32_e32 v5, v5, v3
	v_lshlrev_b32_e32 v3, 28, v4
	v_cmp_gt_i64_e64 s[36:37], 0, v[2:3]
	v_not_b32_e32 v3, v3
	v_ashrrev_i32_e32 v3, 31, v3
	v_and_b32_e32 v10, v10, v14
	;; [unrolled: 8-line block ×5, first 2 shown]
	v_xor_b32_e32 v14, s37, v3
	v_xor_b32_e32 v3, s36, v3
	v_and_b32_e32 v5, v5, v3
	v_lshlrev_b32_e32 v3, 24, v4
	v_cmp_gt_i64_e64 s[36:37], 0, v[2:3]
	v_not_b32_e32 v2, v3
	v_ashrrev_i32_e32 v2, 31, v2
	v_xor_b32_e32 v3, s37, v2
	v_xor_b32_e32 v2, s36, v2
	; wave barrier
	ds_read_b32 v9, v13 offset:32
	v_and_b32_e32 v10, v10, v14
	v_and_b32_e32 v2, v5, v2
	;; [unrolled: 1-line block ×3, first 2 shown]
	v_mbcnt_lo_u32_b32 v4, v2, 0
	v_mbcnt_hi_u32_b32 v10, v3, v4
	v_cmp_eq_u32_e64 s[36:37], 0, v10
	v_cmp_ne_u64_e64 s[40:41], 0, v[2:3]
	s_and_b64 s[40:41], s[40:41], s[36:37]
	; wave barrier
	s_and_saveexec_b64 s[36:37], s[40:41]
	s_cbranch_execz .LBB888_41
; %bb.40:
	v_bcnt_u32_b32 v2, v2, 0
	v_bcnt_u32_b32 v2, v3, v2
	s_waitcnt lgkmcnt(0)
	v_add_u32_e32 v2, v9, v2
	ds_write_b32 v13, v2 offset:32
.LBB888_41:
	s_or_b64 exec, exec, s[36:37]
	v_xor_b32_e32 v26, 0x80000000, v11
	v_lshrrev_b32_e32 v2, s56, v26
	v_and_b32_e32 v4, s69, v2
	v_and_b32_e32 v3, 1, v4
	v_add_co_u32_e64 v5, s[36:37], -1, v3
	v_addc_co_u32_e64 v14, s[36:37], 0, -1, s[36:37]
	v_cmp_ne_u32_e64 s[36:37], 0, v3
	v_lshl_add_u32 v2, v4, 3, v4
	v_xor_b32_e32 v3, s37, v14
	v_add_lshl_u32 v17, v32, v2, 2
	v_mov_b32_e32 v2, 0
	v_and_b32_e32 v14, exec_hi, v3
	v_lshlrev_b32_e32 v3, 30, v4
	v_xor_b32_e32 v5, s36, v5
	v_cmp_gt_i64_e64 s[36:37], 0, v[2:3]
	v_not_b32_e32 v3, v3
	v_ashrrev_i32_e32 v3, 31, v3
	v_and_b32_e32 v5, exec_lo, v5
	v_xor_b32_e32 v20, s37, v3
	v_xor_b32_e32 v3, s36, v3
	v_and_b32_e32 v5, v5, v3
	v_lshlrev_b32_e32 v3, 29, v4
	v_cmp_gt_i64_e64 s[36:37], 0, v[2:3]
	v_not_b32_e32 v3, v3
	v_ashrrev_i32_e32 v3, 31, v3
	v_and_b32_e32 v14, v14, v20
	v_xor_b32_e32 v20, s37, v3
	v_xor_b32_e32 v3, s36, v3
	v_and_b32_e32 v5, v5, v3
	v_lshlrev_b32_e32 v3, 28, v4
	v_cmp_gt_i64_e64 s[36:37], 0, v[2:3]
	v_not_b32_e32 v3, v3
	v_ashrrev_i32_e32 v3, 31, v3
	v_and_b32_e32 v14, v14, v20
	;; [unrolled: 8-line block ×5, first 2 shown]
	v_xor_b32_e32 v20, s37, v3
	v_xor_b32_e32 v3, s36, v3
	v_and_b32_e32 v14, v14, v20
	v_and_b32_e32 v20, v5, v3
	v_lshlrev_b32_e32 v3, 24, v4
	v_cmp_gt_i64_e64 s[36:37], 0, v[2:3]
	v_not_b32_e32 v3, v3
	v_ashrrev_i32_e32 v3, 31, v3
	v_xor_b32_e32 v4, s37, v3
	v_xor_b32_e32 v3, s36, v3
	; wave barrier
	ds_read_b32 v11, v17 offset:32
	v_and_b32_e32 v5, v14, v4
	v_and_b32_e32 v4, v20, v3
	v_mbcnt_lo_u32_b32 v3, v4, 0
	v_mbcnt_hi_u32_b32 v14, v5, v3
	v_cmp_eq_u32_e64 s[36:37], 0, v14
	v_cmp_ne_u64_e64 s[40:41], 0, v[4:5]
	s_and_b64 s[40:41], s[40:41], s[36:37]
	; wave barrier
	s_and_saveexec_b64 s[36:37], s[40:41]
	s_cbranch_execz .LBB888_43
; %bb.42:
	v_bcnt_u32_b32 v3, v4, 0
	v_bcnt_u32_b32 v3, v5, v3
	s_waitcnt lgkmcnt(0)
	v_add_u32_e32 v3, v11, v3
	ds_write_b32 v17, v3 offset:32
.LBB888_43:
	s_or_b64 exec, exec, s[36:37]
	v_xor_b32_e32 v27, 0x80000000, v16
	v_lshrrev_b32_e32 v3, s56, v27
	v_and_b32_e32 v4, s69, v3
	v_lshl_add_u32 v3, v4, 3, v4
	v_add_lshl_u32 v35, v32, v3, 2
	v_and_b32_e32 v3, 1, v4
	v_add_co_u32_e64 v5, s[36:37], -1, v3
	v_addc_co_u32_e64 v20, s[36:37], 0, -1, s[36:37]
	v_cmp_ne_u32_e64 s[36:37], 0, v3
	v_xor_b32_e32 v3, s37, v20
	v_and_b32_e32 v20, exec_hi, v3
	v_lshlrev_b32_e32 v3, 30, v4
	v_xor_b32_e32 v5, s36, v5
	v_cmp_gt_i64_e64 s[36:37], 0, v[2:3]
	v_not_b32_e32 v3, v3
	v_ashrrev_i32_e32 v3, 31, v3
	v_and_b32_e32 v5, exec_lo, v5
	v_xor_b32_e32 v31, s37, v3
	v_xor_b32_e32 v3, s36, v3
	v_and_b32_e32 v5, v5, v3
	v_lshlrev_b32_e32 v3, 29, v4
	v_cmp_gt_i64_e64 s[36:37], 0, v[2:3]
	v_not_b32_e32 v3, v3
	v_ashrrev_i32_e32 v3, 31, v3
	v_and_b32_e32 v20, v20, v31
	v_xor_b32_e32 v31, s37, v3
	v_xor_b32_e32 v3, s36, v3
	v_and_b32_e32 v5, v5, v3
	v_lshlrev_b32_e32 v3, 28, v4
	v_cmp_gt_i64_e64 s[36:37], 0, v[2:3]
	v_not_b32_e32 v3, v3
	v_ashrrev_i32_e32 v3, 31, v3
	v_and_b32_e32 v20, v20, v31
	;; [unrolled: 8-line block ×5, first 2 shown]
	v_xor_b32_e32 v31, s37, v3
	v_xor_b32_e32 v3, s36, v3
	v_and_b32_e32 v5, v5, v3
	v_lshlrev_b32_e32 v3, 24, v4
	v_cmp_gt_i64_e64 s[36:37], 0, v[2:3]
	v_not_b32_e32 v2, v3
	v_ashrrev_i32_e32 v2, 31, v2
	v_xor_b32_e32 v3, s37, v2
	v_xor_b32_e32 v2, s36, v2
	; wave barrier
	ds_read_b32 v16, v35 offset:32
	v_and_b32_e32 v20, v20, v31
	v_and_b32_e32 v2, v5, v2
	;; [unrolled: 1-line block ×3, first 2 shown]
	v_mbcnt_lo_u32_b32 v4, v2, 0
	v_mbcnt_hi_u32_b32 v20, v3, v4
	v_cmp_eq_u32_e64 s[36:37], 0, v20
	v_cmp_ne_u64_e64 s[40:41], 0, v[2:3]
	s_and_b64 s[40:41], s[40:41], s[36:37]
	; wave barrier
	s_and_saveexec_b64 s[36:37], s[40:41]
	s_cbranch_execz .LBB888_45
; %bb.44:
	v_bcnt_u32_b32 v2, v2, 0
	v_bcnt_u32_b32 v2, v3, v2
	s_waitcnt lgkmcnt(0)
	v_add_u32_e32 v2, v16, v2
	ds_write_b32 v35, v2 offset:32
.LBB888_45:
	s_or_b64 exec, exec, s[36:37]
	v_xor_b32_e32 v28, 0x80000000, v28
	v_lshrrev_b32_e32 v2, s56, v28
	v_and_b32_e32 v4, s69, v2
	v_and_b32_e32 v3, 1, v4
	v_add_co_u32_e64 v5, s[36:37], -1, v3
	v_addc_co_u32_e64 v36, s[36:37], 0, -1, s[36:37]
	v_cmp_ne_u32_e64 s[36:37], 0, v3
	v_lshl_add_u32 v2, v4, 3, v4
	v_xor_b32_e32 v3, s37, v36
	v_add_lshl_u32 v40, v32, v2, 2
	v_mov_b32_e32 v2, 0
	v_and_b32_e32 v36, exec_hi, v3
	v_lshlrev_b32_e32 v3, 30, v4
	v_xor_b32_e32 v5, s36, v5
	v_cmp_gt_i64_e64 s[36:37], 0, v[2:3]
	v_not_b32_e32 v3, v3
	v_ashrrev_i32_e32 v3, 31, v3
	v_and_b32_e32 v5, exec_lo, v5
	v_xor_b32_e32 v37, s37, v3
	v_xor_b32_e32 v3, s36, v3
	v_and_b32_e32 v5, v5, v3
	v_lshlrev_b32_e32 v3, 29, v4
	v_cmp_gt_i64_e64 s[36:37], 0, v[2:3]
	v_not_b32_e32 v3, v3
	v_ashrrev_i32_e32 v3, 31, v3
	v_and_b32_e32 v36, v36, v37
	v_xor_b32_e32 v37, s37, v3
	v_xor_b32_e32 v3, s36, v3
	v_and_b32_e32 v5, v5, v3
	v_lshlrev_b32_e32 v3, 28, v4
	v_cmp_gt_i64_e64 s[36:37], 0, v[2:3]
	v_not_b32_e32 v3, v3
	v_ashrrev_i32_e32 v3, 31, v3
	v_and_b32_e32 v36, v36, v37
	;; [unrolled: 8-line block ×5, first 2 shown]
	v_xor_b32_e32 v37, s37, v3
	v_xor_b32_e32 v3, s36, v3
	v_and_b32_e32 v36, v36, v37
	v_and_b32_e32 v37, v5, v3
	v_lshlrev_b32_e32 v3, 24, v4
	v_cmp_gt_i64_e64 s[36:37], 0, v[2:3]
	v_not_b32_e32 v3, v3
	v_ashrrev_i32_e32 v3, 31, v3
	v_xor_b32_e32 v4, s37, v3
	v_xor_b32_e32 v3, s36, v3
	; wave barrier
	ds_read_b32 v31, v40 offset:32
	v_and_b32_e32 v5, v36, v4
	v_and_b32_e32 v4, v37, v3
	v_mbcnt_lo_u32_b32 v3, v4, 0
	v_mbcnt_hi_u32_b32 v36, v5, v3
	v_cmp_eq_u32_e64 s[36:37], 0, v36
	v_cmp_ne_u64_e64 s[40:41], 0, v[4:5]
	s_and_b64 s[40:41], s[40:41], s[36:37]
	; wave barrier
	s_and_saveexec_b64 s[36:37], s[40:41]
	s_cbranch_execz .LBB888_47
; %bb.46:
	v_bcnt_u32_b32 v3, v4, 0
	v_bcnt_u32_b32 v3, v5, v3
	s_waitcnt lgkmcnt(0)
	v_add_u32_e32 v3, v31, v3
	ds_write_b32 v40, v3 offset:32
.LBB888_47:
	s_or_b64 exec, exec, s[36:37]
	v_xor_b32_e32 v29, 0x80000000, v29
	v_lshrrev_b32_e32 v3, s56, v29
	v_and_b32_e32 v4, s69, v3
	v_lshl_add_u32 v3, v4, 3, v4
	v_add_lshl_u32 v45, v32, v3, 2
	v_and_b32_e32 v3, 1, v4
	v_add_co_u32_e64 v5, s[36:37], -1, v3
	v_addc_co_u32_e64 v41, s[36:37], 0, -1, s[36:37]
	v_cmp_ne_u32_e64 s[36:37], 0, v3
	v_xor_b32_e32 v3, s37, v41
	v_and_b32_e32 v41, exec_hi, v3
	v_lshlrev_b32_e32 v3, 30, v4
	v_xor_b32_e32 v5, s36, v5
	v_cmp_gt_i64_e64 s[36:37], 0, v[2:3]
	v_not_b32_e32 v3, v3
	v_ashrrev_i32_e32 v3, 31, v3
	v_and_b32_e32 v5, exec_lo, v5
	v_xor_b32_e32 v42, s37, v3
	v_xor_b32_e32 v3, s36, v3
	v_and_b32_e32 v5, v5, v3
	v_lshlrev_b32_e32 v3, 29, v4
	v_cmp_gt_i64_e64 s[36:37], 0, v[2:3]
	v_not_b32_e32 v3, v3
	v_ashrrev_i32_e32 v3, 31, v3
	v_and_b32_e32 v41, v41, v42
	v_xor_b32_e32 v42, s37, v3
	v_xor_b32_e32 v3, s36, v3
	v_and_b32_e32 v5, v5, v3
	v_lshlrev_b32_e32 v3, 28, v4
	v_cmp_gt_i64_e64 s[36:37], 0, v[2:3]
	v_not_b32_e32 v3, v3
	v_ashrrev_i32_e32 v3, 31, v3
	v_and_b32_e32 v41, v41, v42
	;; [unrolled: 8-line block ×5, first 2 shown]
	v_xor_b32_e32 v42, s37, v3
	v_xor_b32_e32 v3, s36, v3
	v_and_b32_e32 v5, v5, v3
	v_lshlrev_b32_e32 v3, 24, v4
	v_cmp_gt_i64_e64 s[36:37], 0, v[2:3]
	v_not_b32_e32 v2, v3
	v_ashrrev_i32_e32 v2, 31, v2
	v_xor_b32_e32 v3, s37, v2
	v_xor_b32_e32 v2, s36, v2
	; wave barrier
	ds_read_b32 v37, v45 offset:32
	v_and_b32_e32 v41, v41, v42
	v_and_b32_e32 v2, v5, v2
	;; [unrolled: 1-line block ×3, first 2 shown]
	v_mbcnt_lo_u32_b32 v4, v2, 0
	v_mbcnt_hi_u32_b32 v41, v3, v4
	v_cmp_eq_u32_e64 s[36:37], 0, v41
	v_cmp_ne_u64_e64 s[40:41], 0, v[2:3]
	s_and_b64 s[40:41], s[40:41], s[36:37]
	; wave barrier
	s_and_saveexec_b64 s[36:37], s[40:41]
	s_cbranch_execz .LBB888_49
; %bb.48:
	v_bcnt_u32_b32 v2, v2, 0
	v_bcnt_u32_b32 v2, v3, v2
	s_waitcnt lgkmcnt(0)
	v_add_u32_e32 v2, v37, v2
	ds_write_b32 v45, v2 offset:32
.LBB888_49:
	s_or_b64 exec, exec, s[36:37]
	v_xor_b32_e32 v30, 0x80000000, v30
	v_lshrrev_b32_e32 v2, s56, v30
	v_and_b32_e32 v4, s69, v2
	v_and_b32_e32 v3, 1, v4
	v_add_co_u32_e64 v5, s[36:37], -1, v3
	v_addc_co_u32_e64 v46, s[36:37], 0, -1, s[36:37]
	v_cmp_ne_u32_e64 s[36:37], 0, v3
	v_lshl_add_u32 v2, v4, 3, v4
	v_xor_b32_e32 v3, s37, v46
	v_add_lshl_u32 v49, v32, v2, 2
	v_mov_b32_e32 v2, 0
	v_and_b32_e32 v46, exec_hi, v3
	v_lshlrev_b32_e32 v3, 30, v4
	v_xor_b32_e32 v5, s36, v5
	v_cmp_gt_i64_e64 s[36:37], 0, v[2:3]
	v_not_b32_e32 v3, v3
	v_ashrrev_i32_e32 v3, 31, v3
	v_and_b32_e32 v5, exec_lo, v5
	v_xor_b32_e32 v47, s37, v3
	v_xor_b32_e32 v3, s36, v3
	v_and_b32_e32 v5, v5, v3
	v_lshlrev_b32_e32 v3, 29, v4
	v_cmp_gt_i64_e64 s[36:37], 0, v[2:3]
	v_not_b32_e32 v3, v3
	v_ashrrev_i32_e32 v3, 31, v3
	v_and_b32_e32 v46, v46, v47
	v_xor_b32_e32 v47, s37, v3
	v_xor_b32_e32 v3, s36, v3
	v_and_b32_e32 v5, v5, v3
	v_lshlrev_b32_e32 v3, 28, v4
	v_cmp_gt_i64_e64 s[36:37], 0, v[2:3]
	v_not_b32_e32 v3, v3
	v_ashrrev_i32_e32 v3, 31, v3
	v_and_b32_e32 v46, v46, v47
	;; [unrolled: 8-line block ×5, first 2 shown]
	v_xor_b32_e32 v47, s37, v3
	v_xor_b32_e32 v3, s36, v3
	v_and_b32_e32 v46, v46, v47
	v_and_b32_e32 v47, v5, v3
	v_lshlrev_b32_e32 v3, 24, v4
	v_cmp_gt_i64_e64 s[36:37], 0, v[2:3]
	v_not_b32_e32 v3, v3
	v_ashrrev_i32_e32 v3, 31, v3
	v_xor_b32_e32 v4, s37, v3
	v_xor_b32_e32 v3, s36, v3
	; wave barrier
	ds_read_b32 v42, v49 offset:32
	v_and_b32_e32 v5, v46, v4
	v_and_b32_e32 v4, v47, v3
	v_mbcnt_lo_u32_b32 v3, v4, 0
	v_mbcnt_hi_u32_b32 v46, v5, v3
	v_cmp_eq_u32_e64 s[36:37], 0, v46
	v_cmp_ne_u64_e64 s[40:41], 0, v[4:5]
	s_and_b64 s[40:41], s[40:41], s[36:37]
	; wave barrier
	s_and_saveexec_b64 s[36:37], s[40:41]
	s_cbranch_execz .LBB888_51
; %bb.50:
	v_bcnt_u32_b32 v3, v4, 0
	v_bcnt_u32_b32 v3, v5, v3
	s_waitcnt lgkmcnt(0)
	v_add_u32_e32 v3, v42, v3
	ds_write_b32 v49, v3 offset:32
.LBB888_51:
	s_or_b64 exec, exec, s[36:37]
	v_xor_b32_e32 v34, 0x80000000, v34
	v_lshrrev_b32_e32 v3, s56, v34
	v_and_b32_e32 v4, s69, v3
	v_lshl_add_u32 v3, v4, 3, v4
	v_add_lshl_u32 v52, v32, v3, 2
	v_and_b32_e32 v3, 1, v4
	v_add_co_u32_e64 v5, s[36:37], -1, v3
	v_addc_co_u32_e64 v50, s[36:37], 0, -1, s[36:37]
	v_cmp_ne_u32_e64 s[36:37], 0, v3
	v_xor_b32_e32 v3, s37, v50
	v_and_b32_e32 v50, exec_hi, v3
	v_lshlrev_b32_e32 v3, 30, v4
	v_xor_b32_e32 v5, s36, v5
	v_cmp_gt_i64_e64 s[36:37], 0, v[2:3]
	v_not_b32_e32 v3, v3
	v_ashrrev_i32_e32 v3, 31, v3
	v_and_b32_e32 v5, exec_lo, v5
	v_xor_b32_e32 v51, s37, v3
	v_xor_b32_e32 v3, s36, v3
	v_and_b32_e32 v5, v5, v3
	v_lshlrev_b32_e32 v3, 29, v4
	v_cmp_gt_i64_e64 s[36:37], 0, v[2:3]
	v_not_b32_e32 v3, v3
	v_ashrrev_i32_e32 v3, 31, v3
	v_and_b32_e32 v50, v50, v51
	v_xor_b32_e32 v51, s37, v3
	v_xor_b32_e32 v3, s36, v3
	v_and_b32_e32 v5, v5, v3
	v_lshlrev_b32_e32 v3, 28, v4
	v_cmp_gt_i64_e64 s[36:37], 0, v[2:3]
	v_not_b32_e32 v3, v3
	v_ashrrev_i32_e32 v3, 31, v3
	v_and_b32_e32 v50, v50, v51
	v_xor_b32_e32 v51, s37, v3
	v_xor_b32_e32 v3, s36, v3
	v_and_b32_e32 v5, v5, v3
	v_lshlrev_b32_e32 v3, 27, v4
	v_cmp_gt_i64_e64 s[36:37], 0, v[2:3]
	v_not_b32_e32 v3, v3
	v_ashrrev_i32_e32 v3, 31, v3
	v_and_b32_e32 v50, v50, v51
	v_xor_b32_e32 v51, s37, v3
	v_xor_b32_e32 v3, s36, v3
	v_and_b32_e32 v5, v5, v3
	v_lshlrev_b32_e32 v3, 26, v4
	v_cmp_gt_i64_e64 s[36:37], 0, v[2:3]
	v_not_b32_e32 v3, v3
	v_ashrrev_i32_e32 v3, 31, v3
	v_and_b32_e32 v50, v50, v51
	v_xor_b32_e32 v51, s37, v3
	v_xor_b32_e32 v3, s36, v3
	v_and_b32_e32 v5, v5, v3
	v_lshlrev_b32_e32 v3, 25, v4
	v_cmp_gt_i64_e64 s[36:37], 0, v[2:3]
	v_not_b32_e32 v3, v3
	v_ashrrev_i32_e32 v3, 31, v3
	v_and_b32_e32 v50, v50, v51
	v_xor_b32_e32 v51, s37, v3
	v_xor_b32_e32 v3, s36, v3
	v_and_b32_e32 v5, v5, v3
	v_lshlrev_b32_e32 v3, 24, v4
	v_cmp_gt_i64_e64 s[36:37], 0, v[2:3]
	v_not_b32_e32 v2, v3
	v_ashrrev_i32_e32 v2, 31, v2
	v_xor_b32_e32 v3, s37, v2
	v_xor_b32_e32 v2, s36, v2
	; wave barrier
	ds_read_b32 v47, v52 offset:32
	v_and_b32_e32 v50, v50, v51
	v_and_b32_e32 v2, v5, v2
	;; [unrolled: 1-line block ×3, first 2 shown]
	v_mbcnt_lo_u32_b32 v4, v2, 0
	v_mbcnt_hi_u32_b32 v50, v3, v4
	v_cmp_eq_u32_e64 s[36:37], 0, v50
	v_cmp_ne_u64_e64 s[40:41], 0, v[2:3]
	s_and_b64 s[40:41], s[40:41], s[36:37]
	; wave barrier
	s_and_saveexec_b64 s[36:37], s[40:41]
	s_cbranch_execz .LBB888_53
; %bb.52:
	v_bcnt_u32_b32 v2, v2, 0
	v_bcnt_u32_b32 v2, v3, v2
	s_waitcnt lgkmcnt(0)
	v_add_u32_e32 v2, v47, v2
	ds_write_b32 v52, v2 offset:32
.LBB888_53:
	s_or_b64 exec, exec, s[36:37]
	v_xor_b32_e32 v39, 0x80000000, v39
	v_lshrrev_b32_e32 v2, s56, v39
	v_and_b32_e32 v4, s69, v2
	v_and_b32_e32 v3, 1, v4
	v_add_co_u32_e64 v5, s[36:37], -1, v3
	v_addc_co_u32_e64 v53, s[36:37], 0, -1, s[36:37]
	v_cmp_ne_u32_e64 s[36:37], 0, v3
	v_lshl_add_u32 v2, v4, 3, v4
	v_xor_b32_e32 v3, s37, v53
	v_add_lshl_u32 v55, v32, v2, 2
	v_mov_b32_e32 v2, 0
	v_and_b32_e32 v53, exec_hi, v3
	v_lshlrev_b32_e32 v3, 30, v4
	v_xor_b32_e32 v5, s36, v5
	v_cmp_gt_i64_e64 s[36:37], 0, v[2:3]
	v_not_b32_e32 v3, v3
	v_ashrrev_i32_e32 v3, 31, v3
	v_and_b32_e32 v5, exec_lo, v5
	v_xor_b32_e32 v54, s37, v3
	v_xor_b32_e32 v3, s36, v3
	v_and_b32_e32 v5, v5, v3
	v_lshlrev_b32_e32 v3, 29, v4
	v_cmp_gt_i64_e64 s[36:37], 0, v[2:3]
	v_not_b32_e32 v3, v3
	v_ashrrev_i32_e32 v3, 31, v3
	v_and_b32_e32 v53, v53, v54
	v_xor_b32_e32 v54, s37, v3
	v_xor_b32_e32 v3, s36, v3
	v_and_b32_e32 v5, v5, v3
	v_lshlrev_b32_e32 v3, 28, v4
	v_cmp_gt_i64_e64 s[36:37], 0, v[2:3]
	v_not_b32_e32 v3, v3
	v_ashrrev_i32_e32 v3, 31, v3
	v_and_b32_e32 v53, v53, v54
	;; [unrolled: 8-line block ×5, first 2 shown]
	v_xor_b32_e32 v54, s37, v3
	v_xor_b32_e32 v3, s36, v3
	v_and_b32_e32 v53, v53, v54
	v_and_b32_e32 v54, v5, v3
	v_lshlrev_b32_e32 v3, 24, v4
	v_cmp_gt_i64_e64 s[36:37], 0, v[2:3]
	v_not_b32_e32 v3, v3
	v_ashrrev_i32_e32 v3, 31, v3
	v_xor_b32_e32 v4, s37, v3
	v_xor_b32_e32 v3, s36, v3
	; wave barrier
	ds_read_b32 v51, v55 offset:32
	v_and_b32_e32 v5, v53, v4
	v_and_b32_e32 v4, v54, v3
	v_mbcnt_lo_u32_b32 v3, v4, 0
	v_mbcnt_hi_u32_b32 v53, v5, v3
	v_cmp_eq_u32_e64 s[36:37], 0, v53
	v_cmp_ne_u64_e64 s[40:41], 0, v[4:5]
	s_and_b64 s[40:41], s[40:41], s[36:37]
	; wave barrier
	s_and_saveexec_b64 s[36:37], s[40:41]
	s_cbranch_execz .LBB888_55
; %bb.54:
	v_bcnt_u32_b32 v3, v4, 0
	v_bcnt_u32_b32 v3, v5, v3
	s_waitcnt lgkmcnt(0)
	v_add_u32_e32 v3, v51, v3
	ds_write_b32 v55, v3 offset:32
.LBB888_55:
	s_or_b64 exec, exec, s[36:37]
	v_xor_b32_e32 v44, 0x80000000, v44
	v_lshrrev_b32_e32 v3, s56, v44
	v_and_b32_e32 v4, s69, v3
	v_lshl_add_u32 v3, v4, 3, v4
	v_add_lshl_u32 v58, v32, v3, 2
	v_and_b32_e32 v3, 1, v4
	v_add_co_u32_e64 v5, s[36:37], -1, v3
	v_addc_co_u32_e64 v56, s[36:37], 0, -1, s[36:37]
	v_cmp_ne_u32_e64 s[36:37], 0, v3
	v_xor_b32_e32 v3, s37, v56
	v_and_b32_e32 v56, exec_hi, v3
	v_lshlrev_b32_e32 v3, 30, v4
	v_xor_b32_e32 v5, s36, v5
	v_cmp_gt_i64_e64 s[36:37], 0, v[2:3]
	v_not_b32_e32 v3, v3
	v_ashrrev_i32_e32 v3, 31, v3
	v_and_b32_e32 v5, exec_lo, v5
	v_xor_b32_e32 v57, s37, v3
	v_xor_b32_e32 v3, s36, v3
	v_and_b32_e32 v5, v5, v3
	v_lshlrev_b32_e32 v3, 29, v4
	v_cmp_gt_i64_e64 s[36:37], 0, v[2:3]
	v_not_b32_e32 v3, v3
	v_ashrrev_i32_e32 v3, 31, v3
	v_and_b32_e32 v56, v56, v57
	v_xor_b32_e32 v57, s37, v3
	v_xor_b32_e32 v3, s36, v3
	v_and_b32_e32 v5, v5, v3
	v_lshlrev_b32_e32 v3, 28, v4
	v_cmp_gt_i64_e64 s[36:37], 0, v[2:3]
	v_not_b32_e32 v3, v3
	v_ashrrev_i32_e32 v3, 31, v3
	v_and_b32_e32 v56, v56, v57
	;; [unrolled: 8-line block ×5, first 2 shown]
	v_xor_b32_e32 v57, s37, v3
	v_xor_b32_e32 v3, s36, v3
	v_and_b32_e32 v5, v5, v3
	v_lshlrev_b32_e32 v3, 24, v4
	v_cmp_gt_i64_e64 s[36:37], 0, v[2:3]
	v_not_b32_e32 v2, v3
	v_ashrrev_i32_e32 v2, 31, v2
	v_xor_b32_e32 v3, s37, v2
	v_xor_b32_e32 v2, s36, v2
	; wave barrier
	ds_read_b32 v54, v58 offset:32
	v_and_b32_e32 v56, v56, v57
	v_and_b32_e32 v2, v5, v2
	;; [unrolled: 1-line block ×3, first 2 shown]
	v_mbcnt_lo_u32_b32 v4, v2, 0
	v_mbcnt_hi_u32_b32 v56, v3, v4
	v_cmp_eq_u32_e64 s[36:37], 0, v56
	v_cmp_ne_u64_e64 s[40:41], 0, v[2:3]
	s_and_b64 s[40:41], s[40:41], s[36:37]
	; wave barrier
	s_and_saveexec_b64 s[36:37], s[40:41]
	s_cbranch_execz .LBB888_57
; %bb.56:
	v_bcnt_u32_b32 v2, v2, 0
	v_bcnt_u32_b32 v2, v3, v2
	s_waitcnt lgkmcnt(0)
	v_add_u32_e32 v2, v54, v2
	ds_write_b32 v58, v2 offset:32
.LBB888_57:
	s_or_b64 exec, exec, s[36:37]
	v_xor_b32_e32 v48, 0x80000000, v48
	v_lshrrev_b32_e32 v2, s56, v48
	v_and_b32_e32 v4, s69, v2
	v_and_b32_e32 v3, 1, v4
	v_add_co_u32_e64 v5, s[36:37], -1, v3
	v_addc_co_u32_e64 v59, s[36:37], 0, -1, s[36:37]
	v_cmp_ne_u32_e64 s[36:37], 0, v3
	v_lshl_add_u32 v2, v4, 3, v4
	v_xor_b32_e32 v3, s37, v59
	v_add_lshl_u32 v61, v32, v2, 2
	v_mov_b32_e32 v2, 0
	v_and_b32_e32 v59, exec_hi, v3
	v_lshlrev_b32_e32 v3, 30, v4
	v_xor_b32_e32 v5, s36, v5
	v_cmp_gt_i64_e64 s[36:37], 0, v[2:3]
	v_not_b32_e32 v3, v3
	v_ashrrev_i32_e32 v3, 31, v3
	v_and_b32_e32 v5, exec_lo, v5
	v_xor_b32_e32 v60, s37, v3
	v_xor_b32_e32 v3, s36, v3
	v_and_b32_e32 v5, v5, v3
	v_lshlrev_b32_e32 v3, 29, v4
	v_cmp_gt_i64_e64 s[36:37], 0, v[2:3]
	v_not_b32_e32 v3, v3
	v_ashrrev_i32_e32 v3, 31, v3
	v_and_b32_e32 v59, v59, v60
	v_xor_b32_e32 v60, s37, v3
	v_xor_b32_e32 v3, s36, v3
	v_and_b32_e32 v5, v5, v3
	v_lshlrev_b32_e32 v3, 28, v4
	v_cmp_gt_i64_e64 s[36:37], 0, v[2:3]
	v_not_b32_e32 v3, v3
	v_ashrrev_i32_e32 v3, 31, v3
	v_and_b32_e32 v59, v59, v60
	;; [unrolled: 8-line block ×5, first 2 shown]
	v_xor_b32_e32 v60, s37, v3
	v_xor_b32_e32 v3, s36, v3
	v_and_b32_e32 v59, v59, v60
	v_and_b32_e32 v60, v5, v3
	v_lshlrev_b32_e32 v3, 24, v4
	v_cmp_gt_i64_e64 s[36:37], 0, v[2:3]
	v_not_b32_e32 v3, v3
	v_ashrrev_i32_e32 v3, 31, v3
	v_xor_b32_e32 v4, s37, v3
	v_xor_b32_e32 v3, s36, v3
	; wave barrier
	ds_read_b32 v57, v61 offset:32
	v_and_b32_e32 v5, v59, v4
	v_and_b32_e32 v4, v60, v3
	v_mbcnt_lo_u32_b32 v3, v4, 0
	v_mbcnt_hi_u32_b32 v59, v5, v3
	v_cmp_eq_u32_e64 s[36:37], 0, v59
	v_cmp_ne_u64_e64 s[40:41], 0, v[4:5]
	s_and_b64 s[40:41], s[40:41], s[36:37]
	; wave barrier
	s_and_saveexec_b64 s[36:37], s[40:41]
	s_cbranch_execz .LBB888_59
; %bb.58:
	v_bcnt_u32_b32 v3, v4, 0
	v_bcnt_u32_b32 v3, v5, v3
	s_waitcnt lgkmcnt(0)
	v_add_u32_e32 v3, v57, v3
	ds_write_b32 v61, v3 offset:32
.LBB888_59:
	s_or_b64 exec, exec, s[36:37]
	v_xor_b32_e32 v43, 0x80000000, v43
	v_lshrrev_b32_e32 v3, s56, v43
	v_and_b32_e32 v4, s69, v3
	v_lshl_add_u32 v3, v4, 3, v4
	v_add_lshl_u32 v65, v32, v3, 2
	v_and_b32_e32 v3, 1, v4
	v_add_co_u32_e64 v5, s[36:37], -1, v3
	v_addc_co_u32_e64 v62, s[36:37], 0, -1, s[36:37]
	v_cmp_ne_u32_e64 s[36:37], 0, v3
	v_xor_b32_e32 v3, s37, v62
	v_and_b32_e32 v62, exec_hi, v3
	v_lshlrev_b32_e32 v3, 30, v4
	v_xor_b32_e32 v5, s36, v5
	v_cmp_gt_i64_e64 s[36:37], 0, v[2:3]
	v_not_b32_e32 v3, v3
	v_ashrrev_i32_e32 v3, 31, v3
	v_and_b32_e32 v5, exec_lo, v5
	v_xor_b32_e32 v63, s37, v3
	v_xor_b32_e32 v3, s36, v3
	v_and_b32_e32 v5, v5, v3
	v_lshlrev_b32_e32 v3, 29, v4
	v_cmp_gt_i64_e64 s[36:37], 0, v[2:3]
	v_not_b32_e32 v3, v3
	v_ashrrev_i32_e32 v3, 31, v3
	v_and_b32_e32 v62, v62, v63
	v_xor_b32_e32 v63, s37, v3
	v_xor_b32_e32 v3, s36, v3
	v_and_b32_e32 v5, v5, v3
	v_lshlrev_b32_e32 v3, 28, v4
	v_cmp_gt_i64_e64 s[36:37], 0, v[2:3]
	v_not_b32_e32 v3, v3
	v_ashrrev_i32_e32 v3, 31, v3
	v_and_b32_e32 v62, v62, v63
	;; [unrolled: 8-line block ×5, first 2 shown]
	v_xor_b32_e32 v63, s37, v3
	v_xor_b32_e32 v3, s36, v3
	v_and_b32_e32 v5, v5, v3
	v_lshlrev_b32_e32 v3, 24, v4
	v_cmp_gt_i64_e64 s[36:37], 0, v[2:3]
	v_not_b32_e32 v2, v3
	v_ashrrev_i32_e32 v2, 31, v2
	v_xor_b32_e32 v3, s37, v2
	v_xor_b32_e32 v2, s36, v2
	; wave barrier
	ds_read_b32 v60, v65 offset:32
	v_and_b32_e32 v62, v62, v63
	v_and_b32_e32 v2, v5, v2
	;; [unrolled: 1-line block ×3, first 2 shown]
	v_mbcnt_lo_u32_b32 v4, v2, 0
	v_mbcnt_hi_u32_b32 v63, v3, v4
	v_cmp_eq_u32_e64 s[36:37], 0, v63
	v_cmp_ne_u64_e64 s[40:41], 0, v[2:3]
	s_and_b64 s[40:41], s[40:41], s[36:37]
	; wave barrier
	s_and_saveexec_b64 s[36:37], s[40:41]
	s_cbranch_execz .LBB888_61
; %bb.60:
	v_bcnt_u32_b32 v2, v2, 0
	v_bcnt_u32_b32 v2, v3, v2
	s_waitcnt lgkmcnt(0)
	v_add_u32_e32 v2, v60, v2
	ds_write_b32 v65, v2 offset:32
.LBB888_61:
	s_or_b64 exec, exec, s[36:37]
	v_xor_b32_e32 v38, 0x80000000, v38
	v_lshrrev_b32_e32 v2, s56, v38
	v_and_b32_e32 v4, s69, v2
	v_and_b32_e32 v3, 1, v4
	v_add_co_u32_e64 v5, s[36:37], -1, v3
	v_addc_co_u32_e64 v62, s[36:37], 0, -1, s[36:37]
	v_cmp_ne_u32_e64 s[36:37], 0, v3
	v_lshl_add_u32 v2, v4, 3, v4
	v_xor_b32_e32 v3, s37, v62
	v_add_lshl_u32 v67, v32, v2, 2
	v_mov_b32_e32 v2, 0
	v_and_b32_e32 v62, exec_hi, v3
	v_lshlrev_b32_e32 v3, 30, v4
	v_xor_b32_e32 v5, s36, v5
	v_cmp_gt_i64_e64 s[36:37], 0, v[2:3]
	v_not_b32_e32 v3, v3
	v_ashrrev_i32_e32 v3, 31, v3
	v_and_b32_e32 v5, exec_lo, v5
	v_xor_b32_e32 v66, s37, v3
	v_xor_b32_e32 v3, s36, v3
	v_and_b32_e32 v5, v5, v3
	v_lshlrev_b32_e32 v3, 29, v4
	v_cmp_gt_i64_e64 s[36:37], 0, v[2:3]
	v_not_b32_e32 v3, v3
	v_ashrrev_i32_e32 v3, 31, v3
	v_and_b32_e32 v62, v62, v66
	v_xor_b32_e32 v66, s37, v3
	v_xor_b32_e32 v3, s36, v3
	v_and_b32_e32 v5, v5, v3
	v_lshlrev_b32_e32 v3, 28, v4
	v_cmp_gt_i64_e64 s[36:37], 0, v[2:3]
	v_not_b32_e32 v3, v3
	v_ashrrev_i32_e32 v3, 31, v3
	v_and_b32_e32 v62, v62, v66
	;; [unrolled: 8-line block ×5, first 2 shown]
	v_xor_b32_e32 v66, s37, v3
	v_xor_b32_e32 v3, s36, v3
	v_and_b32_e32 v62, v62, v66
	v_and_b32_e32 v66, v5, v3
	v_lshlrev_b32_e32 v3, 24, v4
	v_cmp_gt_i64_e64 s[36:37], 0, v[2:3]
	v_not_b32_e32 v3, v3
	v_ashrrev_i32_e32 v3, 31, v3
	v_xor_b32_e32 v4, s37, v3
	v_xor_b32_e32 v3, s36, v3
	; wave barrier
	ds_read_b32 v64, v67 offset:32
	v_and_b32_e32 v5, v62, v4
	v_and_b32_e32 v4, v66, v3
	v_mbcnt_lo_u32_b32 v3, v4, 0
	v_mbcnt_hi_u32_b32 v69, v5, v3
	v_cmp_eq_u32_e64 s[36:37], 0, v69
	v_cmp_ne_u64_e64 s[40:41], 0, v[4:5]
	s_and_b64 s[40:41], s[40:41], s[36:37]
	; wave barrier
	s_and_saveexec_b64 s[36:37], s[40:41]
	s_cbranch_execz .LBB888_63
; %bb.62:
	v_bcnt_u32_b32 v3, v4, 0
	v_bcnt_u32_b32 v3, v5, v3
	s_waitcnt lgkmcnt(0)
	v_add_u32_e32 v3, v64, v3
	ds_write_b32 v67, v3 offset:32
.LBB888_63:
	s_or_b64 exec, exec, s[36:37]
	v_xor_b32_e32 v33, 0x80000000, v33
	v_lshrrev_b32_e32 v3, s56, v33
	v_and_b32_e32 v4, s69, v3
	v_lshl_add_u32 v3, v4, 3, v4
	v_add_lshl_u32 v71, v32, v3, 2
	v_and_b32_e32 v3, 1, v4
	v_add_co_u32_e64 v5, s[36:37], -1, v3
	v_addc_co_u32_e64 v62, s[36:37], 0, -1, s[36:37]
	v_cmp_ne_u32_e64 s[36:37], 0, v3
	v_xor_b32_e32 v3, s37, v62
	v_and_b32_e32 v62, exec_hi, v3
	v_lshlrev_b32_e32 v3, 30, v4
	v_xor_b32_e32 v5, s36, v5
	v_cmp_gt_i64_e64 s[36:37], 0, v[2:3]
	v_not_b32_e32 v3, v3
	v_ashrrev_i32_e32 v3, 31, v3
	v_and_b32_e32 v5, exec_lo, v5
	v_xor_b32_e32 v66, s37, v3
	v_xor_b32_e32 v3, s36, v3
	v_and_b32_e32 v5, v5, v3
	v_lshlrev_b32_e32 v3, 29, v4
	v_cmp_gt_i64_e64 s[36:37], 0, v[2:3]
	v_not_b32_e32 v3, v3
	v_ashrrev_i32_e32 v3, 31, v3
	v_and_b32_e32 v62, v62, v66
	v_xor_b32_e32 v66, s37, v3
	v_xor_b32_e32 v3, s36, v3
	v_and_b32_e32 v5, v5, v3
	v_lshlrev_b32_e32 v3, 28, v4
	v_cmp_gt_i64_e64 s[36:37], 0, v[2:3]
	v_not_b32_e32 v3, v3
	v_ashrrev_i32_e32 v3, 31, v3
	v_and_b32_e32 v62, v62, v66
	;; [unrolled: 8-line block ×5, first 2 shown]
	v_xor_b32_e32 v66, s37, v3
	v_xor_b32_e32 v3, s36, v3
	v_and_b32_e32 v5, v5, v3
	v_lshlrev_b32_e32 v3, 24, v4
	v_cmp_gt_i64_e64 s[36:37], 0, v[2:3]
	v_not_b32_e32 v2, v3
	v_ashrrev_i32_e32 v2, 31, v2
	v_xor_b32_e32 v3, s37, v2
	v_xor_b32_e32 v2, s36, v2
	; wave barrier
	ds_read_b32 v68, v71 offset:32
	v_and_b32_e32 v62, v62, v66
	v_and_b32_e32 v2, v5, v2
	;; [unrolled: 1-line block ×3, first 2 shown]
	v_mbcnt_lo_u32_b32 v4, v2, 0
	v_mbcnt_hi_u32_b32 v70, v3, v4
	v_cmp_eq_u32_e64 s[36:37], 0, v70
	v_cmp_ne_u64_e64 s[40:41], 0, v[2:3]
	s_and_b64 s[40:41], s[40:41], s[36:37]
	; wave barrier
	s_and_saveexec_b64 s[36:37], s[40:41]
	s_cbranch_execz .LBB888_65
; %bb.64:
	v_bcnt_u32_b32 v2, v2, 0
	v_bcnt_u32_b32 v2, v3, v2
	s_waitcnt lgkmcnt(0)
	v_add_u32_e32 v2, v68, v2
	ds_write_b32 v71, v2 offset:32
.LBB888_65:
	s_or_b64 exec, exec, s[36:37]
	v_xor_b32_e32 v62, 0x80000000, v21
	v_lshrrev_b32_e32 v2, s56, v62
	v_and_b32_e32 v4, s69, v2
	v_and_b32_e32 v3, 1, v4
	v_add_co_u32_e64 v5, s[36:37], -1, v3
	v_addc_co_u32_e64 v66, s[36:37], 0, -1, s[36:37]
	v_cmp_ne_u32_e64 s[36:37], 0, v3
	v_lshl_add_u32 v2, v4, 3, v4
	v_xor_b32_e32 v3, s37, v66
	v_add_lshl_u32 v73, v32, v2, 2
	v_mov_b32_e32 v2, 0
	v_and_b32_e32 v66, exec_hi, v3
	v_lshlrev_b32_e32 v3, 30, v4
	v_xor_b32_e32 v5, s36, v5
	v_cmp_gt_i64_e64 s[36:37], 0, v[2:3]
	v_not_b32_e32 v3, v3
	v_ashrrev_i32_e32 v3, 31, v3
	v_and_b32_e32 v5, exec_lo, v5
	v_xor_b32_e32 v72, s37, v3
	v_xor_b32_e32 v3, s36, v3
	v_and_b32_e32 v5, v5, v3
	v_lshlrev_b32_e32 v3, 29, v4
	v_cmp_gt_i64_e64 s[36:37], 0, v[2:3]
	v_not_b32_e32 v3, v3
	v_ashrrev_i32_e32 v3, 31, v3
	v_and_b32_e32 v66, v66, v72
	v_xor_b32_e32 v72, s37, v3
	v_xor_b32_e32 v3, s36, v3
	v_and_b32_e32 v5, v5, v3
	v_lshlrev_b32_e32 v3, 28, v4
	v_cmp_gt_i64_e64 s[36:37], 0, v[2:3]
	v_not_b32_e32 v3, v3
	v_ashrrev_i32_e32 v3, 31, v3
	v_and_b32_e32 v66, v66, v72
	v_xor_b32_e32 v72, s37, v3
	v_xor_b32_e32 v3, s36, v3
	v_and_b32_e32 v5, v5, v3
	v_lshlrev_b32_e32 v3, 27, v4
	v_cmp_gt_i64_e64 s[36:37], 0, v[2:3]
	v_not_b32_e32 v3, v3
	v_ashrrev_i32_e32 v3, 31, v3
	v_and_b32_e32 v66, v66, v72
	v_xor_b32_e32 v72, s37, v3
	v_xor_b32_e32 v3, s36, v3
	v_and_b32_e32 v5, v5, v3
	v_lshlrev_b32_e32 v3, 26, v4
	v_cmp_gt_i64_e64 s[36:37], 0, v[2:3]
	v_not_b32_e32 v3, v3
	v_ashrrev_i32_e32 v3, 31, v3
	v_and_b32_e32 v66, v66, v72
	v_xor_b32_e32 v72, s37, v3
	v_xor_b32_e32 v3, s36, v3
	v_and_b32_e32 v5, v5, v3
	v_lshlrev_b32_e32 v3, 25, v4
	v_cmp_gt_i64_e64 s[36:37], 0, v[2:3]
	v_not_b32_e32 v3, v3
	v_ashrrev_i32_e32 v3, 31, v3
	v_and_b32_e32 v66, v66, v72
	v_xor_b32_e32 v72, s37, v3
	v_xor_b32_e32 v3, s36, v3
	v_and_b32_e32 v66, v66, v72
	v_and_b32_e32 v72, v5, v3
	v_lshlrev_b32_e32 v3, 24, v4
	v_cmp_gt_i64_e64 s[36:37], 0, v[2:3]
	v_not_b32_e32 v3, v3
	v_ashrrev_i32_e32 v3, 31, v3
	v_xor_b32_e32 v4, s37, v3
	v_xor_b32_e32 v3, s36, v3
	; wave barrier
	ds_read_b32 v21, v73 offset:32
	v_and_b32_e32 v5, v66, v4
	v_and_b32_e32 v4, v72, v3
	v_mbcnt_lo_u32_b32 v3, v4, 0
	v_mbcnt_hi_u32_b32 v72, v5, v3
	v_cmp_eq_u32_e64 s[36:37], 0, v72
	v_cmp_ne_u64_e64 s[40:41], 0, v[4:5]
	s_and_b64 s[40:41], s[40:41], s[36:37]
	; wave barrier
	s_and_saveexec_b64 s[36:37], s[40:41]
	s_cbranch_execz .LBB888_67
; %bb.66:
	v_bcnt_u32_b32 v3, v4, 0
	v_bcnt_u32_b32 v3, v5, v3
	s_waitcnt lgkmcnt(0)
	v_add_u32_e32 v3, v21, v3
	ds_write_b32 v73, v3 offset:32
.LBB888_67:
	s_or_b64 exec, exec, s[36:37]
	v_xor_b32_e32 v66, 0x80000000, v15
	v_lshrrev_b32_e32 v3, s56, v66
	v_and_b32_e32 v4, s69, v3
	v_lshl_add_u32 v3, v4, 3, v4
	v_add_lshl_u32 v74, v32, v3, 2
	v_and_b32_e32 v3, 1, v4
	v_add_co_u32_e64 v5, s[36:37], -1, v3
	v_addc_co_u32_e64 v32, s[36:37], 0, -1, s[36:37]
	v_cmp_ne_u32_e64 s[36:37], 0, v3
	v_xor_b32_e32 v3, s37, v32
	v_and_b32_e32 v32, exec_hi, v3
	v_lshlrev_b32_e32 v3, 30, v4
	v_xor_b32_e32 v5, s36, v5
	v_cmp_gt_i64_e64 s[36:37], 0, v[2:3]
	v_not_b32_e32 v3, v3
	v_ashrrev_i32_e32 v3, 31, v3
	v_and_b32_e32 v5, exec_lo, v5
	v_xor_b32_e32 v76, s37, v3
	v_xor_b32_e32 v3, s36, v3
	v_and_b32_e32 v5, v5, v3
	v_lshlrev_b32_e32 v3, 29, v4
	v_cmp_gt_i64_e64 s[36:37], 0, v[2:3]
	v_not_b32_e32 v3, v3
	v_ashrrev_i32_e32 v3, 31, v3
	v_and_b32_e32 v32, v32, v76
	v_xor_b32_e32 v76, s37, v3
	v_xor_b32_e32 v3, s36, v3
	v_and_b32_e32 v5, v5, v3
	v_lshlrev_b32_e32 v3, 28, v4
	v_cmp_gt_i64_e64 s[36:37], 0, v[2:3]
	v_not_b32_e32 v3, v3
	v_ashrrev_i32_e32 v3, 31, v3
	v_and_b32_e32 v32, v32, v76
	;; [unrolled: 8-line block ×5, first 2 shown]
	v_xor_b32_e32 v76, s37, v3
	v_xor_b32_e32 v3, s36, v3
	v_and_b32_e32 v5, v5, v3
	v_lshlrev_b32_e32 v3, 24, v4
	v_cmp_gt_i64_e64 s[36:37], 0, v[2:3]
	v_not_b32_e32 v2, v3
	v_ashrrev_i32_e32 v2, 31, v2
	v_xor_b32_e32 v3, s37, v2
	v_xor_b32_e32 v2, s36, v2
	; wave barrier
	ds_read_b32 v15, v74 offset:32
	v_and_b32_e32 v32, v32, v76
	v_and_b32_e32 v2, v5, v2
	;; [unrolled: 1-line block ×3, first 2 shown]
	v_mbcnt_lo_u32_b32 v4, v2, 0
	v_mbcnt_hi_u32_b32 v32, v3, v4
	v_cmp_eq_u32_e64 s[36:37], 0, v32
	v_cmp_ne_u64_e64 s[40:41], 0, v[2:3]
	v_add_u32_e32 v75, 32, v7
	s_and_b64 s[40:41], s[40:41], s[36:37]
	; wave barrier
	s_and_saveexec_b64 s[36:37], s[40:41]
	s_cbranch_execz .LBB888_69
; %bb.68:
	v_bcnt_u32_b32 v2, v2, 0
	v_bcnt_u32_b32 v2, v3, v2
	s_waitcnt lgkmcnt(0)
	v_add_u32_e32 v2, v15, v2
	ds_write_b32 v74, v2 offset:32
.LBB888_69:
	s_or_b64 exec, exec, s[36:37]
	; wave barrier
	s_waitcnt lgkmcnt(0)
	s_barrier
	ds_read2_b32 v[4:5], v7 offset0:8 offset1:9
	ds_read2_b32 v[2:3], v75 offset0:2 offset1:3
	ds_read_b32 v76, v75 offset:16
	s_waitcnt lgkmcnt(1)
	v_add3_u32 v77, v5, v4, v2
	s_waitcnt lgkmcnt(0)
	v_add3_u32 v76, v77, v3, v76
	v_and_b32_e32 v77, 15, v6
	v_cmp_ne_u32_e64 s[36:37], 0, v77
	v_mov_b32_dpp v78, v76 row_shr:1 row_mask:0xf bank_mask:0xf
	v_cndmask_b32_e64 v78, 0, v78, s[36:37]
	v_add_u32_e32 v76, v78, v76
	v_cmp_lt_u32_e64 s[36:37], 1, v77
	s_nop 0
	v_mov_b32_dpp v78, v76 row_shr:2 row_mask:0xf bank_mask:0xf
	v_cndmask_b32_e64 v78, 0, v78, s[36:37]
	v_add_u32_e32 v76, v76, v78
	v_cmp_lt_u32_e64 s[36:37], 3, v77
	s_nop 0
	;; [unrolled: 5-line block ×3, first 2 shown]
	v_mov_b32_dpp v78, v76 row_shr:8 row_mask:0xf bank_mask:0xf
	v_cndmask_b32_e64 v77, 0, v78, s[36:37]
	v_add_u32_e32 v76, v76, v77
	v_bfe_i32 v78, v6, 4, 1
	v_cmp_lt_u32_e64 s[36:37], 31, v6
	v_mov_b32_dpp v77, v76 row_bcast:15 row_mask:0xf bank_mask:0xf
	v_and_b32_e32 v77, v78, v77
	v_add_u32_e32 v76, v76, v77
	v_and_b32_e32 v78, 0x3c0, v18
	v_min_u32_e32 v78, 0x1c0, v78
	v_mov_b32_dpp v77, v76 row_bcast:31 row_mask:0xf bank_mask:0xf
	v_cndmask_b32_e64 v77, 0, v77, s[36:37]
	v_or_b32_e32 v78, 63, v78
	v_add_u32_e32 v76, v76, v77
	v_lshrrev_b32_e32 v77, 6, v18
	v_cmp_eq_u32_e64 s[36:37], v78, v18
	s_and_saveexec_b64 s[40:41], s[36:37]
	s_cbranch_execz .LBB888_71
; %bb.70:
	v_lshlrev_b32_e32 v78, 2, v77
	ds_write_b32 v78, v76
.LBB888_71:
	s_or_b64 exec, exec, s[40:41]
	v_cmp_gt_u32_e64 s[36:37], 8, v18
	s_waitcnt lgkmcnt(0)
	s_barrier
	s_and_saveexec_b64 s[60:61], s[36:37]
	s_cbranch_execz .LBB888_73
; %bb.72:
	v_lshlrev_b32_e32 v78, 2, v18
	ds_read_b32 v79, v78
	v_and_b32_e32 v80, 7, v6
	v_cmp_ne_u32_e64 s[36:37], 0, v80
	v_cmp_lt_u32_e64 s[40:41], 1, v80
	s_waitcnt lgkmcnt(0)
	v_mov_b32_dpp v81, v79 row_shr:1 row_mask:0xf bank_mask:0xf
	v_cndmask_b32_e64 v81, 0, v81, s[36:37]
	v_add_u32_e32 v79, v81, v79
	v_cmp_lt_u32_e64 s[36:37], 3, v80
	s_nop 0
	v_mov_b32_dpp v81, v79 row_shr:2 row_mask:0xf bank_mask:0xf
	v_cndmask_b32_e64 v81, 0, v81, s[40:41]
	v_add_u32_e32 v79, v79, v81
	s_nop 1
	v_mov_b32_dpp v81, v79 row_shr:4 row_mask:0xf bank_mask:0xf
	v_cndmask_b32_e64 v80, 0, v81, s[36:37]
	v_add_u32_e32 v79, v79, v80
	ds_write_b32 v78, v79
.LBB888_73:
	s_or_b64 exec, exec, s[60:61]
	v_cmp_lt_u32_e64 s[36:37], 63, v18
	v_mov_b32_e32 v78, 0
	s_waitcnt lgkmcnt(0)
	s_barrier
	s_and_saveexec_b64 s[40:41], s[36:37]
	s_cbranch_execz .LBB888_75
; %bb.74:
	v_lshl_add_u32 v77, v77, 2, -4
	ds_read_b32 v78, v77
.LBB888_75:
	s_or_b64 exec, exec, s[40:41]
	v_add_u32_e32 v77, -1, v6
	v_and_b32_e32 v79, 64, v6
	v_cmp_lt_i32_e64 s[36:37], v77, v79
	v_cndmask_b32_e64 v77, v77, v6, s[36:37]
	s_waitcnt lgkmcnt(0)
	v_add_u32_e32 v76, v78, v76
	v_lshlrev_b32_e32 v77, 2, v77
	ds_bpermute_b32 v76, v77, v76
	v_cmp_eq_u32_e64 s[36:37], 0, v6
	s_waitcnt lgkmcnt(0)
	v_cndmask_b32_e64 v6, v76, v78, s[36:37]
	v_cndmask_b32_e64 v6, v6, 0, s[0:1]
	v_add_u32_e32 v4, v6, v4
	v_add_u32_e32 v5, v4, v5
	;; [unrolled: 1-line block ×4, first 2 shown]
	ds_write2_b32 v7, v6, v4 offset0:8 offset1:9
	ds_write2_b32 v75, v5, v2 offset0:2 offset1:3
	ds_write_b32 v75, v3 offset:16
	s_waitcnt lgkmcnt(0)
	s_barrier
	ds_read_b32 v78, v12 offset:32
	ds_read_b32 v12, v13 offset:32
	;; [unrolled: 1-line block ×16, first 2 shown]
	s_movk_i32 s36, 0x100
	v_cmp_gt_u32_e64 s[36:37], s36, v18
                                        ; implicit-def: $vgpr55
                                        ; implicit-def: $vgpr58
	s_and_saveexec_b64 s[60:61], s[36:37]
	s_cbranch_execz .LBB888_79
; %bb.76:
	v_mul_u32_u24_e32 v2, 9, v18
	v_lshlrev_b32_e32 v3, 2, v2
	ds_read_b32 v55, v3 offset:32
	s_movk_i32 s40, 0xff
	v_cmp_ne_u32_e64 s[40:41], s40, v18
	v_mov_b32_e32 v2, 0x2000
	s_and_saveexec_b64 s[62:63], s[40:41]
	s_cbranch_execz .LBB888_78
; %bb.77:
	ds_read_b32 v2, v3 offset:68
.LBB888_78:
	s_or_b64 exec, exec, s[62:63]
	s_waitcnt lgkmcnt(0)
	v_sub_u32_e32 v58, v2, v55
.LBB888_79:
	s_or_b64 exec, exec, s[60:61]
	s_waitcnt lgkmcnt(0)
	s_barrier
	s_and_saveexec_b64 s[60:61], s[36:37]
	s_cbranch_execz .LBB888_89
; %bb.80:
	v_lshl_or_b32 v2, s33, 8, v18
	v_mov_b32_e32 v3, 0
	v_lshlrev_b64 v[4:5], 2, v[2:3]
	v_mov_b32_e32 v35, s43
	v_add_co_u32_e64 v4, s[40:41], s42, v4
	v_addc_co_u32_e64 v5, s[40:41], v35, v5, s[40:41]
	v_or_b32_e32 v2, 2.0, v58
	s_mov_b64 s[62:63], 0
	s_brev_b32 s70, 1
	s_mov_b32 s71, s33
	v_mov_b32_e32 v40, 0
	global_store_dword v[4:5], v2, off
                                        ; implicit-def: $sgpr40_sgpr41
	s_branch .LBB888_82
.LBB888_81:                             ;   in Loop: Header=BB888_82 Depth=1
	s_or_b64 exec, exec, s[64:65]
	v_and_b32_e32 v6, 0x3fffffff, v61
	v_add_u32_e32 v40, v6, v40
	v_cmp_eq_u32_e64 s[40:41], s70, v2
	s_and_b64 s[64:65], exec, s[40:41]
	s_or_b64 s[62:63], s[64:65], s[62:63]
	s_andn2_b64 exec, exec, s[62:63]
	s_cbranch_execz .LBB888_88
.LBB888_82:                             ; =>This Loop Header: Depth=1
                                        ;     Child Loop BB888_85 Depth 2
	s_or_b64 s[40:41], s[40:41], exec
	s_cmp_eq_u32 s71, 0
	s_cbranch_scc1 .LBB888_87
; %bb.83:                               ;   in Loop: Header=BB888_82 Depth=1
	s_add_i32 s71, s71, -1
	v_lshl_or_b32 v2, s71, 8, v18
	v_lshlrev_b64 v[6:7], 2, v[2:3]
	v_add_co_u32_e64 v6, s[40:41], s42, v6
	v_addc_co_u32_e64 v7, s[40:41], v35, v7, s[40:41]
	global_load_dword v61, v[6:7], off glc
	s_waitcnt vmcnt(0)
	v_and_b32_e32 v2, -2.0, v61
	v_cmp_eq_u32_e64 s[40:41], 0, v2
	s_and_saveexec_b64 s[64:65], s[40:41]
	s_cbranch_execz .LBB888_81
; %bb.84:                               ;   in Loop: Header=BB888_82 Depth=1
	s_mov_b64 s[66:67], 0
.LBB888_85:                             ;   Parent Loop BB888_82 Depth=1
                                        ; =>  This Inner Loop Header: Depth=2
	global_load_dword v61, v[6:7], off glc
	s_waitcnt vmcnt(0)
	v_and_b32_e32 v2, -2.0, v61
	v_cmp_ne_u32_e64 s[40:41], 0, v2
	s_or_b64 s[66:67], s[40:41], s[66:67]
	s_andn2_b64 exec, exec, s[66:67]
	s_cbranch_execnz .LBB888_85
; %bb.86:                               ;   in Loop: Header=BB888_82 Depth=1
	s_or_b64 exec, exec, s[66:67]
	s_branch .LBB888_81
.LBB888_87:                             ;   in Loop: Header=BB888_82 Depth=1
                                        ; implicit-def: $sgpr71
	s_and_b64 s[64:65], exec, s[40:41]
	s_or_b64 s[62:63], s[64:65], s[62:63]
	s_andn2_b64 exec, exec, s[62:63]
	s_cbranch_execnz .LBB888_82
.LBB888_88:
	s_or_b64 exec, exec, s[62:63]
	v_add_u32_e32 v2, v40, v58
	v_or_b32_e32 v2, 0x80000000, v2
	global_store_dword v[4:5], v2, off
	v_lshlrev_b32_e32 v2, 2, v18
	global_load_dword v3, v2, s[52:53]
	v_sub_u32_e32 v4, v40, v55
	s_waitcnt vmcnt(0)
	v_add_u32_e32 v3, v4, v3
	ds_write_b32 v2, v3
.LBB888_89:
	s_or_b64 exec, exec, s[60:61]
	v_lshlrev_b32_e32 v35, 2, v18
	v_add_u32_e32 v61, v78, v8
	s_movk_i32 s62, 0x400
	v_add_u32_e32 v40, 0x400, v35
	v_add3_u32 v65, v32, v65, v15
	v_add3_u32 v67, v72, v67, v21
	;; [unrolled: 1-line block ×15, first 2 shown]
	s_mov_b32 s63, 0
	v_mov_b32_e32 v21, 0
	s_movk_i32 s64, 0x200
	s_movk_i32 s65, 0x600
	v_mov_b32_e32 v31, v18
	s_mov_b32 s66, 0
                                        ; implicit-def: $vgpr2_vgpr3_vgpr4_vgpr5_vgpr6_vgpr7_vgpr8_vgpr9_vgpr10_vgpr11_vgpr12_vgpr13_vgpr14_vgpr15_vgpr16_vgpr17
	s_branch .LBB888_91
.LBB888_90:                             ;   in Loop: Header=BB888_91 Depth=1
	s_or_b64 exec, exec, s[60:61]
	s_addk_i32 s66, 0xf800
	s_add_i32 s63, s63, 4
	s_cmpk_eq_i32 s66, 0xe000
	v_add_u32_e32 v31, 0x800, v31
	s_barrier
	s_cbranch_scc1 .LBB888_100
.LBB888_91:                             ; =>This Inner Loop Header: Depth=1
	v_add_u32_e32 v20, s66, v61
	v_min_u32_e32 v20, 0x800, v20
	v_lshlrev_b32_e32 v20, 2, v20
	ds_write_b32 v20, v24 offset:1024
	v_add_u32_e32 v20, s66, v73
	v_min_u32_e32 v20, 0x800, v20
	v_lshlrev_b32_e32 v20, 2, v20
	ds_write_b32 v20, v25 offset:1024
	;; [unrolled: 4-line block ×15, first 2 shown]
	v_add_u32_e32 v20, s66, v65
	v_min_u32_e32 v20, 0x800, v20
	v_lshlrev_b32_e32 v20, 2, v20
	v_cmp_gt_u32_e64 s[40:41], s7, v31
	ds_write_b32 v20, v66 offset:1024
	s_waitcnt lgkmcnt(0)
	s_barrier
	s_and_saveexec_b64 s[60:61], s[40:41]
	s_cbranch_execz .LBB888_93
; %bb.92:                               ;   in Loop: Header=BB888_91 Depth=1
	ds_read_b32 v20, v35 offset:1024
	v_mov_b32_e32 v41, s47
	s_waitcnt lgkmcnt(0)
	v_lshrrev_b32_e32 v32, s56, v20
	v_and_b32_e32 v32, s69, v32
	v_lshlrev_b32_e32 v36, 2, v32
	ds_read_b32 v36, v36
	v_xor_b32_e32 v42, 0x80000000, v20
	s_waitcnt lgkmcnt(0)
	v_add_u32_e32 v20, v31, v36
	v_lshlrev_b64 v[36:37], 2, v[20:21]
	v_add_co_u32_e64 v36, s[40:41], s46, v36
	v_addc_co_u32_e64 v37, s[40:41], v41, v37, s[40:41]
	global_store_dword v[36:37], v42, off
	s_set_gpr_idx_on s63, gpr_idx(DST)
	v_mov_b32_e32 v2, v32
	s_set_gpr_idx_off
.LBB888_93:                             ;   in Loop: Header=BB888_91 Depth=1
	s_or_b64 exec, exec, s[60:61]
	v_add_u32_e32 v20, 0x200, v31
	v_cmp_gt_u32_e64 s[40:41], s7, v20
	s_and_saveexec_b64 s[60:61], s[40:41]
	s_cbranch_execz .LBB888_95
; %bb.94:                               ;   in Loop: Header=BB888_91 Depth=1
	ds_read_b32 v20, v40 offset:2048
	v_mov_b32_e32 v41, s47
	s_add_i32 s67, s63, 1
	s_waitcnt lgkmcnt(0)
	v_lshrrev_b32_e32 v32, s56, v20
	v_and_b32_e32 v32, s69, v32
	v_lshlrev_b32_e32 v36, 2, v32
	ds_read_b32 v36, v36
	v_xor_b32_e32 v42, 0x80000000, v20
	s_waitcnt lgkmcnt(0)
	v_add3_u32 v20, v31, v36, s64
	v_lshlrev_b64 v[36:37], 2, v[20:21]
	v_add_co_u32_e64 v36, s[40:41], s46, v36
	v_addc_co_u32_e64 v37, s[40:41], v41, v37, s[40:41]
	global_store_dword v[36:37], v42, off
	s_set_gpr_idx_on s67, gpr_idx(DST)
	v_mov_b32_e32 v2, v32
	s_set_gpr_idx_off
.LBB888_95:                             ;   in Loop: Header=BB888_91 Depth=1
	s_or_b64 exec, exec, s[60:61]
	v_add_u32_e32 v20, 0x400, v31
	v_cmp_gt_u32_e64 s[40:41], s7, v20
	s_and_saveexec_b64 s[60:61], s[40:41]
	s_cbranch_execz .LBB888_97
; %bb.96:                               ;   in Loop: Header=BB888_91 Depth=1
	ds_read_b32 v20, v40 offset:4096
	v_mov_b32_e32 v41, s47
	s_add_i32 s67, s63, 2
	s_waitcnt lgkmcnt(0)
	v_lshrrev_b32_e32 v32, s56, v20
	v_and_b32_e32 v32, s69, v32
	v_lshlrev_b32_e32 v36, 2, v32
	ds_read_b32 v36, v36
	v_xor_b32_e32 v42, 0x80000000, v20
	s_waitcnt lgkmcnt(0)
	v_add3_u32 v20, v31, v36, s62
	v_lshlrev_b64 v[36:37], 2, v[20:21]
	v_add_co_u32_e64 v36, s[40:41], s46, v36
	v_addc_co_u32_e64 v37, s[40:41], v41, v37, s[40:41]
	global_store_dword v[36:37], v42, off
	s_set_gpr_idx_on s67, gpr_idx(DST)
	v_mov_b32_e32 v2, v32
	s_set_gpr_idx_off
.LBB888_97:                             ;   in Loop: Header=BB888_91 Depth=1
	s_or_b64 exec, exec, s[60:61]
	v_add_u32_e32 v20, 0x600, v31
	v_cmp_gt_u32_e64 s[40:41], s7, v20
	s_and_saveexec_b64 s[60:61], s[40:41]
	s_cbranch_execz .LBB888_90
; %bb.98:                               ;   in Loop: Header=BB888_91 Depth=1
	ds_read_b32 v20, v40 offset:6144
	v_mov_b32_e32 v41, s47
	s_add_i32 s67, s63, 3
	s_waitcnt lgkmcnt(0)
	v_lshrrev_b32_e32 v32, s56, v20
	v_and_b32_e32 v32, s69, v32
	v_lshlrev_b32_e32 v36, 2, v32
	ds_read_b32 v36, v36
	v_xor_b32_e32 v42, 0x80000000, v20
	s_waitcnt lgkmcnt(0)
	v_add3_u32 v20, v31, v36, s65
	v_lshlrev_b64 v[36:37], 2, v[20:21]
	v_add_co_u32_e64 v36, s[40:41], s46, v36
	v_addc_co_u32_e64 v37, s[40:41], v41, v37, s[40:41]
	global_store_dword v[36:37], v42, off
	s_set_gpr_idx_on s67, gpr_idx(DST)
	v_mov_b32_e32 v2, v32
	s_set_gpr_idx_off
	s_branch .LBB888_90
.LBB888_99:
	s_mov_b64 s[8:9], 0
                                        ; implicit-def: $vgpr2
	s_cbranch_execnz .LBB888_126
	s_branch .LBB888_185
.LBB888_100:
	s_lshl_b64 s[40:41], s[58:59], 3
	s_add_u32 s40, s48, s40
	s_addc_u32 s41, s49, s41
	v_lshlrev_b32_e32 v20, 3, v23
	v_mov_b32_e32 v21, s41
	v_add_co_u32_e64 v20, s[40:41], s40, v20
	v_addc_co_u32_e64 v21, s[40:41], 0, v21, s[40:41]
	v_lshlrev_b32_e32 v22, 3, v22
	v_add_co_u32_e64 v42, s[40:41], v20, v22
	v_addc_co_u32_e64 v43, s[40:41], 0, v21, s[40:41]
                                        ; implicit-def: $vgpr20_vgpr21
	s_and_saveexec_b64 s[40:41], vcc
	s_cbranch_execnz .LBB888_188
; %bb.101:
	s_or_b64 exec, exec, s[40:41]
                                        ; implicit-def: $vgpr22_vgpr23
	s_and_saveexec_b64 s[40:41], s[8:9]
	s_cbranch_execnz .LBB888_189
.LBB888_102:
	s_or_b64 exec, exec, s[40:41]
                                        ; implicit-def: $vgpr24_vgpr25
	s_and_saveexec_b64 s[8:9], s[12:13]
	s_cbranch_execnz .LBB888_190
.LBB888_103:
	s_or_b64 exec, exec, s[8:9]
                                        ; implicit-def: $vgpr26_vgpr27
	s_and_saveexec_b64 s[8:9], s[16:17]
	s_cbranch_execnz .LBB888_191
.LBB888_104:
	s_or_b64 exec, exec, s[8:9]
                                        ; implicit-def: $vgpr28_vgpr29
	s_and_saveexec_b64 s[8:9], s[18:19]
	s_cbranch_execnz .LBB888_192
.LBB888_105:
	s_or_b64 exec, exec, s[8:9]
                                        ; implicit-def: $vgpr30_vgpr31
	s_and_saveexec_b64 s[8:9], s[22:23]
	s_cbranch_execnz .LBB888_193
.LBB888_106:
	s_or_b64 exec, exec, s[8:9]
                                        ; implicit-def: $vgpr32_vgpr33
	s_and_saveexec_b64 s[8:9], s[26:27]
	s_cbranch_execnz .LBB888_194
.LBB888_107:
	s_or_b64 exec, exec, s[8:9]
                                        ; implicit-def: $vgpr34_vgpr35
	s_and_saveexec_b64 s[8:9], s[30:31]
	s_cbranch_execnz .LBB888_195
.LBB888_108:
	s_or_b64 exec, exec, s[8:9]
                                        ; implicit-def: $vgpr36_vgpr37
	s_and_saveexec_b64 s[8:9], s[34:35]
	s_cbranch_execnz .LBB888_196
.LBB888_109:
	s_or_b64 exec, exec, s[8:9]
                                        ; implicit-def: $vgpr38_vgpr39
	s_and_saveexec_b64 s[8:9], s[28:29]
	s_cbranch_execnz .LBB888_197
.LBB888_110:
	s_or_b64 exec, exec, s[8:9]
                                        ; implicit-def: $vgpr40_vgpr41
	s_and_saveexec_b64 s[8:9], s[24:25]
	s_cbranch_execnz .LBB888_198
.LBB888_111:
	s_or_b64 exec, exec, s[8:9]
                                        ; implicit-def: $vgpr44_vgpr45
	s_and_saveexec_b64 s[8:9], s[20:21]
	s_cbranch_execnz .LBB888_199
.LBB888_112:
	s_or_b64 exec, exec, s[8:9]
                                        ; implicit-def: $vgpr46_vgpr47
	s_and_saveexec_b64 s[8:9], s[14:15]
	s_cbranch_execnz .LBB888_200
.LBB888_113:
	s_or_b64 exec, exec, s[8:9]
                                        ; implicit-def: $vgpr48_vgpr49
	s_and_saveexec_b64 s[8:9], s[10:11]
	s_cbranch_execnz .LBB888_201
.LBB888_114:
	s_or_b64 exec, exec, s[8:9]
                                        ; implicit-def: $vgpr50_vgpr51
	s_and_saveexec_b64 s[8:9], s[38:39]
	s_cbranch_execnz .LBB888_202
.LBB888_115:
	s_or_b64 exec, exec, s[8:9]
                                        ; implicit-def: $vgpr52_vgpr53
	s_and_saveexec_b64 s[8:9], s[2:3]
	s_cbranch_execz .LBB888_117
.LBB888_116:
	v_add_co_u32_e32 v42, vcc, 0x1000, v42
	v_addc_co_u32_e32 v43, vcc, 0, v43, vcc
	global_load_dwordx2 v[52:53], v[42:43], off offset:3584
.LBB888_117:
	s_or_b64 exec, exec, s[8:9]
	v_lshlrev_b32_e32 v62, 3, v18
	v_add_u32_e32 v66, 0x400, v62
	s_mov_b32 s8, 0
	v_mov_b32_e32 v43, 0
	s_movk_i32 s9, 0x200
	s_mov_b32 s10, 0
	v_mov_b32_e32 v74, v18
	s_waitcnt vmcnt(0)
	s_branch .LBB888_119
.LBB888_118:                            ;   in Loop: Header=BB888_119 Depth=1
	s_or_b64 exec, exec, s[2:3]
	s_addk_i32 s10, 0xfc00
	s_add_i32 s8, s8, 2
	s_cmpk_eq_i32 s10, 0xe000
	v_add_u32_e32 v74, 0x400, v74
	s_barrier
	s_cbranch_scc1 .LBB888_123
.LBB888_119:                            ; =>This Inner Loop Header: Depth=1
	v_add_u32_e32 v42, s10, v61
	v_min_u32_e32 v42, 0x400, v42
	v_lshlrev_b32_e32 v42, 3, v42
	ds_write_b64 v42, v[20:21] offset:1024
	v_add_u32_e32 v42, s10, v73
	v_min_u32_e32 v42, 0x400, v42
	v_lshlrev_b32_e32 v42, 3, v42
	ds_write_b64 v42, v[22:23] offset:1024
	;; [unrolled: 4-line block ×15, first 2 shown]
	v_add_u32_e32 v42, s10, v65
	v_min_u32_e32 v42, 0x400, v42
	v_lshlrev_b32_e32 v42, 3, v42
	v_cmp_gt_u32_e32 vcc, s7, v74
	ds_write_b64 v42, v[52:53] offset:1024
	s_waitcnt lgkmcnt(0)
	s_barrier
	s_and_saveexec_b64 s[2:3], vcc
	s_cbranch_execz .LBB888_121
; %bb.120:                              ;   in Loop: Header=BB888_119 Depth=1
	ds_read_b64 v[76:77], v62 offset:1024
	s_set_gpr_idx_on s8, gpr_idx(SRC0)
	v_mov_b32_e32 v42, v2
	s_set_gpr_idx_off
	v_lshlrev_b32_e32 v42, 2, v42
	ds_read_b32 v42, v42
	v_mov_b32_e32 v75, s51
	s_waitcnt lgkmcnt(0)
	v_add_u32_e32 v42, v74, v42
	v_lshlrev_b64 v[78:79], 3, v[42:43]
	v_add_co_u32_e32 v78, vcc, s50, v78
	v_addc_co_u32_e32 v79, vcc, v75, v79, vcc
	global_store_dwordx2 v[78:79], v[76:77], off
.LBB888_121:                            ;   in Loop: Header=BB888_119 Depth=1
	s_or_b64 exec, exec, s[2:3]
	v_add_u32_e32 v42, 0x200, v74
	v_cmp_gt_u32_e32 vcc, s7, v42
	s_and_saveexec_b64 s[2:3], vcc
	s_cbranch_execz .LBB888_118
; %bb.122:                              ;   in Loop: Header=BB888_119 Depth=1
	s_add_i32 s11, s8, 1
	ds_read_b64 v[76:77], v66 offset:4096
	s_set_gpr_idx_on s11, gpr_idx(SRC0)
	v_mov_b32_e32 v42, v2
	s_set_gpr_idx_off
	v_lshlrev_b32_e32 v42, 2, v42
	ds_read_b32 v42, v42
	v_mov_b32_e32 v75, s51
	s_waitcnt lgkmcnt(0)
	v_add3_u32 v42, v74, v42, s9
	v_lshlrev_b64 v[78:79], 3, v[42:43]
	v_add_co_u32_e32 v78, vcc, s50, v78
	v_addc_co_u32_e32 v79, vcc, v75, v79, vcc
	global_store_dwordx2 v[78:79], v[76:77], off
	s_branch .LBB888_118
.LBB888_123:
	s_add_i32 s68, s68, -1
	s_cmp_eq_u32 s68, s33
	s_cselect_b64 s[2:3], -1, 0
	s_and_b64 s[10:11], s[36:37], s[2:3]
	s_mov_b64 s[2:3], 0
	s_mov_b64 s[8:9], 0
                                        ; implicit-def: $vgpr2
	s_and_saveexec_b64 s[12:13], s[10:11]
	s_xor_b64 s[10:11], exec, s[12:13]
; %bb.124:
	s_mov_b64 s[8:9], exec
	v_add_u32_e32 v2, v55, v58
; %bb.125:
	s_or_b64 exec, exec, s[10:11]
	s_and_b64 vcc, exec, s[2:3]
	s_cbranch_vccz .LBB888_185
.LBB888_126:
	s_lshl_b32 s10, s33, 13
	s_mov_b32 s11, 0
	v_mbcnt_hi_u32_b32 v4, -1, v19
	s_lshl_b64 s[2:3], s[10:11], 2
	v_and_b32_e32 v20, 63, v4
	s_add_u32 s2, s44, s2
	v_and_b32_e32 v19, 0x3c00, v1
	v_lshlrev_b32_e32 v1, 2, v20
	v_add_co_u32_e32 v1, vcc, s2, v1
	s_load_dword s14, s[4:5], 0x58
	s_load_dword s2, s[4:5], 0x64
	s_addc_u32 s3, s45, s3
	v_mov_b32_e32 v3, s3
	v_addc_co_u32_e32 v3, vcc, 0, v3, vcc
	v_lshlrev_b32_e32 v5, 2, v19
	s_add_u32 s3, s4, 0x58
	v_add_co_u32_e32 v8, vcc, v1, v5
	s_addc_u32 s4, s5, 0
	s_waitcnt lgkmcnt(0)
	s_lshr_b32 s5, s2, 16
	v_addc_co_u32_e32 v9, vcc, 0, v3, vcc
	s_cmp_lt_u32 s6, s14
	global_load_dword v1, v[8:9], off
	s_cselect_b32 s2, 12, 18
	s_add_u32 s2, s3, s2
	v_mov_b32_e32 v2, 0
	s_addc_u32 s3, s4, 0
	global_load_ushort v3, v2, s[2:3]
	v_mul_u32_u24_e32 v5, 5, v18
	v_lshlrev_b32_e32 v5, 2, v5
	ds_write2_b32 v5, v2, v2 offset0:8 offset1:9
	ds_write2_b32 v5, v2, v2 offset0:10 offset1:11
	ds_write_b32 v5, v2 offset:48
	global_load_dword v7, v[8:9], off offset:256
	global_load_dword v10, v[8:9], off offset:512
	;; [unrolled: 1-line block ×15, first 2 shown]
	s_lshl_b32 s2, -1, s57
	v_bfe_u32 v6, v0, 10, 10
	v_bfe_u32 v0, v0, 20, 10
	s_not_b32 s15, s2
	v_mad_u32_u24 v0, v0, s5, v6
	s_waitcnt lgkmcnt(0)
	s_barrier
	s_waitcnt lgkmcnt(0)
	; wave barrier
	s_waitcnt vmcnt(16)
	v_xor_b32_e32 v21, 0x80000000, v1
	v_lshrrev_b32_e32 v1, s56, v21
	v_and_b32_e32 v6, s15, v1
	v_and_b32_e32 v8, 1, v6
	s_waitcnt vmcnt(15)
	v_mad_u64_u32 v[0:1], s[2:3], v0, v3, v[18:19]
	v_lshrrev_b32_e32 v15, 6, v0
	v_add_co_u32_e32 v0, vcc, -1, v8
	v_lshlrev_b32_e32 v3, 30, v6
	v_addc_co_u32_e64 v11, s[2:3], 0, -1, vcc
	v_lshl_add_u32 v1, v6, 3, v6
	v_cmp_ne_u32_e32 vcc, 0, v8
	v_cmp_gt_i64_e64 s[2:3], 0, v[2:3]
	v_not_b32_e32 v8, v3
	v_lshlrev_b32_e32 v3, 29, v6
	v_add_lshl_u32 v9, v15, v1, 2
	v_xor_b32_e32 v1, vcc_hi, v11
	v_xor_b32_e32 v0, vcc_lo, v0
	v_ashrrev_i32_e32 v8, 31, v8
	v_cmp_gt_i64_e32 vcc, 0, v[2:3]
	v_not_b32_e32 v11, v3
	v_lshlrev_b32_e32 v3, 28, v6
	v_and_b32_e32 v1, exec_hi, v1
	v_and_b32_e32 v0, exec_lo, v0
	v_xor_b32_e32 v12, s3, v8
	v_xor_b32_e32 v8, s2, v8
	v_ashrrev_i32_e32 v11, 31, v11
	v_cmp_gt_i64_e64 s[2:3], 0, v[2:3]
	v_not_b32_e32 v3, v3
	v_and_b32_e32 v1, v1, v12
	v_and_b32_e32 v0, v0, v8
	v_xor_b32_e32 v8, vcc_hi, v11
	v_xor_b32_e32 v11, vcc_lo, v11
	v_ashrrev_i32_e32 v3, 31, v3
	v_and_b32_e32 v1, v1, v8
	v_and_b32_e32 v0, v0, v11
	v_xor_b32_e32 v8, s3, v3
	v_xor_b32_e32 v3, s2, v3
	v_and_b32_e32 v0, v0, v3
	v_lshlrev_b32_e32 v3, 27, v6
	v_cmp_gt_i64_e32 vcc, 0, v[2:3]
	v_not_b32_e32 v3, v3
	v_ashrrev_i32_e32 v3, 31, v3
	v_and_b32_e32 v1, v1, v8
	v_xor_b32_e32 v8, vcc_hi, v3
	v_xor_b32_e32 v3, vcc_lo, v3
	v_and_b32_e32 v0, v0, v3
	v_lshlrev_b32_e32 v3, 26, v6
	v_cmp_gt_i64_e32 vcc, 0, v[2:3]
	v_not_b32_e32 v3, v3
	v_ashrrev_i32_e32 v3, 31, v3
	v_and_b32_e32 v1, v1, v8
	v_xor_b32_e32 v8, vcc_hi, v3
	v_xor_b32_e32 v3, vcc_lo, v3
	;; [unrolled: 8-line block ×3, first 2 shown]
	v_and_b32_e32 v0, v0, v3
	v_lshlrev_b32_e32 v3, 24, v6
	v_cmp_gt_i64_e32 vcc, 0, v[2:3]
	v_not_b32_e32 v3, v3
	v_ashrrev_i32_e32 v3, 31, v3
	v_xor_b32_e32 v6, vcc_hi, v3
	v_xor_b32_e32 v3, vcc_lo, v3
	v_and_b32_e32 v1, v1, v8
	v_and_b32_e32 v0, v0, v3
	v_and_b32_e32 v1, v1, v6
	v_mbcnt_lo_u32_b32 v3, v0, 0
	v_mbcnt_hi_u32_b32 v6, v1, v3
	v_cmp_eq_u32_e32 vcc, 0, v6
	v_cmp_ne_u64_e64 s[2:3], 0, v[0:1]
	s_and_b64 s[4:5], s[2:3], vcc
	s_and_saveexec_b64 s[2:3], s[4:5]
	s_cbranch_execz .LBB888_128
; %bb.127:
	v_bcnt_u32_b32 v0, v0, 0
	v_bcnt_u32_b32 v0, v1, v0
	ds_write_b32 v9, v0 offset:32
.LBB888_128:
	s_or_b64 exec, exec, s[2:3]
	s_waitcnt vmcnt(14)
	v_xor_b32_e32 v22, 0x80000000, v7
	v_lshrrev_b32_e32 v0, s56, v22
	v_and_b32_e32 v0, s15, v0
	v_lshl_add_u32 v1, v0, 3, v0
	v_add_lshl_u32 v11, v15, v1, 2
	v_and_b32_e32 v1, 1, v0
	v_add_co_u32_e32 v3, vcc, -1, v1
	v_addc_co_u32_e64 v8, s[2:3], 0, -1, vcc
	v_cmp_ne_u32_e32 vcc, 0, v1
	v_xor_b32_e32 v3, vcc_lo, v3
	v_xor_b32_e32 v1, vcc_hi, v8
	v_and_b32_e32 v8, exec_lo, v3
	v_lshlrev_b32_e32 v3, 30, v0
	v_cmp_gt_i64_e32 vcc, 0, v[2:3]
	v_not_b32_e32 v3, v3
	v_ashrrev_i32_e32 v3, 31, v3
	v_xor_b32_e32 v12, vcc_hi, v3
	v_xor_b32_e32 v3, vcc_lo, v3
	v_and_b32_e32 v8, v8, v3
	v_lshlrev_b32_e32 v3, 29, v0
	v_cmp_gt_i64_e32 vcc, 0, v[2:3]
	v_not_b32_e32 v3, v3
	v_and_b32_e32 v1, exec_hi, v1
	v_ashrrev_i32_e32 v3, 31, v3
	v_and_b32_e32 v1, v1, v12
	v_xor_b32_e32 v12, vcc_hi, v3
	v_xor_b32_e32 v3, vcc_lo, v3
	v_and_b32_e32 v8, v8, v3
	v_lshlrev_b32_e32 v3, 28, v0
	v_cmp_gt_i64_e32 vcc, 0, v[2:3]
	v_not_b32_e32 v3, v3
	v_ashrrev_i32_e32 v3, 31, v3
	v_and_b32_e32 v1, v1, v12
	v_xor_b32_e32 v12, vcc_hi, v3
	v_xor_b32_e32 v3, vcc_lo, v3
	v_and_b32_e32 v8, v8, v3
	v_lshlrev_b32_e32 v3, 27, v0
	v_cmp_gt_i64_e32 vcc, 0, v[2:3]
	v_not_b32_e32 v3, v3
	;; [unrolled: 8-line block ×4, first 2 shown]
	v_ashrrev_i32_e32 v3, 31, v3
	v_and_b32_e32 v1, v1, v12
	v_xor_b32_e32 v12, vcc_hi, v3
	v_xor_b32_e32 v3, vcc_lo, v3
	v_and_b32_e32 v8, v8, v3
	v_lshlrev_b32_e32 v3, 24, v0
	v_not_b32_e32 v0, v3
	v_cmp_gt_i64_e32 vcc, 0, v[2:3]
	v_ashrrev_i32_e32 v0, 31, v0
	v_xor_b32_e32 v2, vcc_hi, v0
	v_xor_b32_e32 v0, vcc_lo, v0
	; wave barrier
	ds_read_b32 v7, v11 offset:32
	v_and_b32_e32 v1, v1, v12
	v_and_b32_e32 v0, v8, v0
	;; [unrolled: 1-line block ×3, first 2 shown]
	v_mbcnt_lo_u32_b32 v2, v0, 0
	v_mbcnt_hi_u32_b32 v8, v1, v2
	v_cmp_eq_u32_e32 vcc, 0, v8
	v_cmp_ne_u64_e64 s[2:3], 0, v[0:1]
	s_and_b64 s[4:5], s[2:3], vcc
	; wave barrier
	s_and_saveexec_b64 s[2:3], s[4:5]
	s_cbranch_execz .LBB888_130
; %bb.129:
	v_bcnt_u32_b32 v0, v0, 0
	v_bcnt_u32_b32 v0, v1, v0
	s_waitcnt lgkmcnt(0)
	v_add_u32_e32 v0, v7, v0
	ds_write_b32 v11, v0 offset:32
.LBB888_130:
	s_or_b64 exec, exec, s[2:3]
	s_waitcnt vmcnt(13)
	v_xor_b32_e32 v23, 0x80000000, v10
	v_lshrrev_b32_e32 v0, s56, v23
	v_and_b32_e32 v2, s15, v0
	v_and_b32_e32 v1, 1, v2
	v_add_co_u32_e32 v3, vcc, -1, v1
	v_addc_co_u32_e64 v12, s[2:3], 0, -1, vcc
	v_cmp_ne_u32_e32 vcc, 0, v1
	v_lshl_add_u32 v0, v2, 3, v2
	v_xor_b32_e32 v1, vcc_hi, v12
	v_add_lshl_u32 v16, v15, v0, 2
	v_mov_b32_e32 v0, 0
	v_and_b32_e32 v12, exec_hi, v1
	v_lshlrev_b32_e32 v1, 30, v2
	v_xor_b32_e32 v3, vcc_lo, v3
	v_cmp_gt_i64_e32 vcc, 0, v[0:1]
	v_not_b32_e32 v1, v1
	v_ashrrev_i32_e32 v1, 31, v1
	v_and_b32_e32 v3, exec_lo, v3
	v_xor_b32_e32 v17, vcc_hi, v1
	v_xor_b32_e32 v1, vcc_lo, v1
	v_and_b32_e32 v3, v3, v1
	v_lshlrev_b32_e32 v1, 29, v2
	v_cmp_gt_i64_e32 vcc, 0, v[0:1]
	v_not_b32_e32 v1, v1
	v_ashrrev_i32_e32 v1, 31, v1
	v_and_b32_e32 v12, v12, v17
	v_xor_b32_e32 v17, vcc_hi, v1
	v_xor_b32_e32 v1, vcc_lo, v1
	v_and_b32_e32 v3, v3, v1
	v_lshlrev_b32_e32 v1, 28, v2
	v_cmp_gt_i64_e32 vcc, 0, v[0:1]
	v_not_b32_e32 v1, v1
	v_ashrrev_i32_e32 v1, 31, v1
	v_and_b32_e32 v12, v12, v17
	;; [unrolled: 8-line block ×5, first 2 shown]
	v_xor_b32_e32 v17, vcc_hi, v1
	v_xor_b32_e32 v1, vcc_lo, v1
	v_and_b32_e32 v12, v12, v17
	v_and_b32_e32 v17, v3, v1
	v_lshlrev_b32_e32 v1, 24, v2
	v_cmp_gt_i64_e32 vcc, 0, v[0:1]
	v_not_b32_e32 v1, v1
	v_ashrrev_i32_e32 v1, 31, v1
	v_xor_b32_e32 v2, vcc_hi, v1
	v_xor_b32_e32 v1, vcc_lo, v1
	; wave barrier
	ds_read_b32 v10, v16 offset:32
	v_and_b32_e32 v3, v12, v2
	v_and_b32_e32 v2, v17, v1
	v_mbcnt_lo_u32_b32 v1, v2, 0
	v_mbcnt_hi_u32_b32 v12, v3, v1
	v_cmp_eq_u32_e32 vcc, 0, v12
	v_cmp_ne_u64_e64 s[2:3], 0, v[2:3]
	s_and_b64 s[4:5], s[2:3], vcc
	; wave barrier
	s_and_saveexec_b64 s[2:3], s[4:5]
	s_cbranch_execz .LBB888_132
; %bb.131:
	v_bcnt_u32_b32 v1, v2, 0
	v_bcnt_u32_b32 v1, v3, v1
	s_waitcnt lgkmcnt(0)
	v_add_u32_e32 v1, v10, v1
	ds_write_b32 v16, v1 offset:32
.LBB888_132:
	s_or_b64 exec, exec, s[2:3]
	s_waitcnt vmcnt(12)
	v_xor_b32_e32 v24, 0x80000000, v13
	v_lshrrev_b32_e32 v1, s56, v24
	v_and_b32_e32 v2, s15, v1
	v_lshl_add_u32 v1, v2, 3, v2
	v_add_lshl_u32 v31, v15, v1, 2
	v_and_b32_e32 v1, 1, v2
	v_add_co_u32_e32 v3, vcc, -1, v1
	v_addc_co_u32_e64 v17, s[2:3], 0, -1, vcc
	v_cmp_ne_u32_e32 vcc, 0, v1
	v_xor_b32_e32 v1, vcc_hi, v17
	v_and_b32_e32 v17, exec_hi, v1
	v_lshlrev_b32_e32 v1, 30, v2
	v_xor_b32_e32 v3, vcc_lo, v3
	v_cmp_gt_i64_e32 vcc, 0, v[0:1]
	v_not_b32_e32 v1, v1
	v_ashrrev_i32_e32 v1, 31, v1
	v_and_b32_e32 v3, exec_lo, v3
	v_xor_b32_e32 v29, vcc_hi, v1
	v_xor_b32_e32 v1, vcc_lo, v1
	v_and_b32_e32 v3, v3, v1
	v_lshlrev_b32_e32 v1, 29, v2
	v_cmp_gt_i64_e32 vcc, 0, v[0:1]
	v_not_b32_e32 v1, v1
	v_ashrrev_i32_e32 v1, 31, v1
	v_and_b32_e32 v17, v17, v29
	v_xor_b32_e32 v29, vcc_hi, v1
	v_xor_b32_e32 v1, vcc_lo, v1
	v_and_b32_e32 v3, v3, v1
	v_lshlrev_b32_e32 v1, 28, v2
	v_cmp_gt_i64_e32 vcc, 0, v[0:1]
	v_not_b32_e32 v1, v1
	v_ashrrev_i32_e32 v1, 31, v1
	v_and_b32_e32 v17, v17, v29
	v_xor_b32_e32 v29, vcc_hi, v1
	v_xor_b32_e32 v1, vcc_lo, v1
	v_and_b32_e32 v3, v3, v1
	v_lshlrev_b32_e32 v1, 27, v2
	v_cmp_gt_i64_e32 vcc, 0, v[0:1]
	v_not_b32_e32 v1, v1
	v_ashrrev_i32_e32 v1, 31, v1
	v_and_b32_e32 v17, v17, v29
	v_xor_b32_e32 v29, vcc_hi, v1
	v_xor_b32_e32 v1, vcc_lo, v1
	v_and_b32_e32 v3, v3, v1
	v_lshlrev_b32_e32 v1, 26, v2
	v_cmp_gt_i64_e32 vcc, 0, v[0:1]
	v_not_b32_e32 v1, v1
	v_ashrrev_i32_e32 v1, 31, v1
	v_and_b32_e32 v17, v17, v29
	v_xor_b32_e32 v29, vcc_hi, v1
	v_xor_b32_e32 v1, vcc_lo, v1
	v_and_b32_e32 v3, v3, v1
	v_lshlrev_b32_e32 v1, 25, v2
	v_cmp_gt_i64_e32 vcc, 0, v[0:1]
	v_not_b32_e32 v1, v1
	v_ashrrev_i32_e32 v1, 31, v1
	v_and_b32_e32 v17, v17, v29
	v_xor_b32_e32 v29, vcc_hi, v1
	v_xor_b32_e32 v1, vcc_lo, v1
	v_and_b32_e32 v3, v3, v1
	v_lshlrev_b32_e32 v1, 24, v2
	v_cmp_gt_i64_e32 vcc, 0, v[0:1]
	v_not_b32_e32 v0, v1
	v_ashrrev_i32_e32 v0, 31, v0
	v_xor_b32_e32 v1, vcc_hi, v0
	v_xor_b32_e32 v0, vcc_lo, v0
	; wave barrier
	ds_read_b32 v13, v31 offset:32
	v_and_b32_e32 v17, v17, v29
	v_and_b32_e32 v0, v3, v0
	;; [unrolled: 1-line block ×3, first 2 shown]
	v_mbcnt_lo_u32_b32 v2, v0, 0
	v_mbcnt_hi_u32_b32 v17, v1, v2
	v_cmp_eq_u32_e32 vcc, 0, v17
	v_cmp_ne_u64_e64 s[2:3], 0, v[0:1]
	s_and_b64 s[4:5], s[2:3], vcc
	; wave barrier
	s_and_saveexec_b64 s[2:3], s[4:5]
	s_cbranch_execz .LBB888_134
; %bb.133:
	v_bcnt_u32_b32 v0, v0, 0
	v_bcnt_u32_b32 v0, v1, v0
	s_waitcnt lgkmcnt(0)
	v_add_u32_e32 v0, v13, v0
	ds_write_b32 v31, v0 offset:32
.LBB888_134:
	s_or_b64 exec, exec, s[2:3]
	s_waitcnt vmcnt(11)
	v_xor_b32_e32 v25, 0x80000000, v25
	v_lshrrev_b32_e32 v0, s56, v25
	v_and_b32_e32 v2, s15, v0
	v_and_b32_e32 v1, 1, v2
	v_add_co_u32_e32 v3, vcc, -1, v1
	v_addc_co_u32_e64 v33, s[2:3], 0, -1, vcc
	v_cmp_ne_u32_e32 vcc, 0, v1
	v_lshl_add_u32 v0, v2, 3, v2
	v_xor_b32_e32 v1, vcc_hi, v33
	v_add_lshl_u32 v36, v15, v0, 2
	v_mov_b32_e32 v0, 0
	v_and_b32_e32 v33, exec_hi, v1
	v_lshlrev_b32_e32 v1, 30, v2
	v_xor_b32_e32 v3, vcc_lo, v3
	v_cmp_gt_i64_e32 vcc, 0, v[0:1]
	v_not_b32_e32 v1, v1
	v_ashrrev_i32_e32 v1, 31, v1
	v_and_b32_e32 v3, exec_lo, v3
	v_xor_b32_e32 v34, vcc_hi, v1
	v_xor_b32_e32 v1, vcc_lo, v1
	v_and_b32_e32 v3, v3, v1
	v_lshlrev_b32_e32 v1, 29, v2
	v_cmp_gt_i64_e32 vcc, 0, v[0:1]
	v_not_b32_e32 v1, v1
	v_ashrrev_i32_e32 v1, 31, v1
	v_and_b32_e32 v33, v33, v34
	v_xor_b32_e32 v34, vcc_hi, v1
	v_xor_b32_e32 v1, vcc_lo, v1
	v_and_b32_e32 v3, v3, v1
	v_lshlrev_b32_e32 v1, 28, v2
	v_cmp_gt_i64_e32 vcc, 0, v[0:1]
	v_not_b32_e32 v1, v1
	v_ashrrev_i32_e32 v1, 31, v1
	v_and_b32_e32 v33, v33, v34
	;; [unrolled: 8-line block ×5, first 2 shown]
	v_xor_b32_e32 v34, vcc_hi, v1
	v_xor_b32_e32 v1, vcc_lo, v1
	v_and_b32_e32 v33, v33, v34
	v_and_b32_e32 v34, v3, v1
	v_lshlrev_b32_e32 v1, 24, v2
	v_cmp_gt_i64_e32 vcc, 0, v[0:1]
	v_not_b32_e32 v1, v1
	v_ashrrev_i32_e32 v1, 31, v1
	v_xor_b32_e32 v2, vcc_hi, v1
	v_xor_b32_e32 v1, vcc_lo, v1
	; wave barrier
	ds_read_b32 v29, v36 offset:32
	v_and_b32_e32 v3, v33, v2
	v_and_b32_e32 v2, v34, v1
	v_mbcnt_lo_u32_b32 v1, v2, 0
	v_mbcnt_hi_u32_b32 v33, v3, v1
	v_cmp_eq_u32_e32 vcc, 0, v33
	v_cmp_ne_u64_e64 s[2:3], 0, v[2:3]
	s_and_b64 s[4:5], s[2:3], vcc
	; wave barrier
	s_and_saveexec_b64 s[2:3], s[4:5]
	s_cbranch_execz .LBB888_136
; %bb.135:
	v_bcnt_u32_b32 v1, v2, 0
	v_bcnt_u32_b32 v1, v3, v1
	s_waitcnt lgkmcnt(0)
	v_add_u32_e32 v1, v29, v1
	ds_write_b32 v36, v1 offset:32
.LBB888_136:
	s_or_b64 exec, exec, s[2:3]
	s_waitcnt vmcnt(10)
	v_xor_b32_e32 v26, 0x80000000, v26
	v_lshrrev_b32_e32 v1, s56, v26
	v_and_b32_e32 v2, s15, v1
	v_lshl_add_u32 v1, v2, 3, v2
	v_add_lshl_u32 v41, v15, v1, 2
	v_and_b32_e32 v1, 1, v2
	v_add_co_u32_e32 v3, vcc, -1, v1
	v_addc_co_u32_e64 v38, s[2:3], 0, -1, vcc
	v_cmp_ne_u32_e32 vcc, 0, v1
	v_xor_b32_e32 v1, vcc_hi, v38
	v_and_b32_e32 v38, exec_hi, v1
	v_lshlrev_b32_e32 v1, 30, v2
	v_xor_b32_e32 v3, vcc_lo, v3
	v_cmp_gt_i64_e32 vcc, 0, v[0:1]
	v_not_b32_e32 v1, v1
	v_ashrrev_i32_e32 v1, 31, v1
	v_and_b32_e32 v3, exec_lo, v3
	v_xor_b32_e32 v39, vcc_hi, v1
	v_xor_b32_e32 v1, vcc_lo, v1
	v_and_b32_e32 v3, v3, v1
	v_lshlrev_b32_e32 v1, 29, v2
	v_cmp_gt_i64_e32 vcc, 0, v[0:1]
	v_not_b32_e32 v1, v1
	v_ashrrev_i32_e32 v1, 31, v1
	v_and_b32_e32 v38, v38, v39
	v_xor_b32_e32 v39, vcc_hi, v1
	v_xor_b32_e32 v1, vcc_lo, v1
	v_and_b32_e32 v3, v3, v1
	v_lshlrev_b32_e32 v1, 28, v2
	v_cmp_gt_i64_e32 vcc, 0, v[0:1]
	v_not_b32_e32 v1, v1
	v_ashrrev_i32_e32 v1, 31, v1
	v_and_b32_e32 v38, v38, v39
	;; [unrolled: 8-line block ×5, first 2 shown]
	v_xor_b32_e32 v39, vcc_hi, v1
	v_xor_b32_e32 v1, vcc_lo, v1
	v_and_b32_e32 v3, v3, v1
	v_lshlrev_b32_e32 v1, 24, v2
	v_cmp_gt_i64_e32 vcc, 0, v[0:1]
	v_not_b32_e32 v0, v1
	v_ashrrev_i32_e32 v0, 31, v0
	v_xor_b32_e32 v1, vcc_hi, v0
	v_xor_b32_e32 v0, vcc_lo, v0
	; wave barrier
	ds_read_b32 v34, v41 offset:32
	v_and_b32_e32 v38, v38, v39
	v_and_b32_e32 v0, v3, v0
	v_and_b32_e32 v1, v38, v1
	v_mbcnt_lo_u32_b32 v2, v0, 0
	v_mbcnt_hi_u32_b32 v38, v1, v2
	v_cmp_eq_u32_e32 vcc, 0, v38
	v_cmp_ne_u64_e64 s[2:3], 0, v[0:1]
	s_and_b64 s[4:5], s[2:3], vcc
	; wave barrier
	s_and_saveexec_b64 s[2:3], s[4:5]
	s_cbranch_execz .LBB888_138
; %bb.137:
	v_bcnt_u32_b32 v0, v0, 0
	v_bcnt_u32_b32 v0, v1, v0
	s_waitcnt lgkmcnt(0)
	v_add_u32_e32 v0, v34, v0
	ds_write_b32 v41, v0 offset:32
.LBB888_138:
	s_or_b64 exec, exec, s[2:3]
	s_waitcnt vmcnt(9)
	v_xor_b32_e32 v27, 0x80000000, v27
	v_lshrrev_b32_e32 v0, s56, v27
	v_and_b32_e32 v2, s15, v0
	v_and_b32_e32 v1, 1, v2
	v_add_co_u32_e32 v3, vcc, -1, v1
	v_addc_co_u32_e64 v43, s[2:3], 0, -1, vcc
	v_cmp_ne_u32_e32 vcc, 0, v1
	v_lshl_add_u32 v0, v2, 3, v2
	v_xor_b32_e32 v1, vcc_hi, v43
	v_add_lshl_u32 v46, v15, v0, 2
	v_mov_b32_e32 v0, 0
	v_and_b32_e32 v43, exec_hi, v1
	v_lshlrev_b32_e32 v1, 30, v2
	v_xor_b32_e32 v3, vcc_lo, v3
	v_cmp_gt_i64_e32 vcc, 0, v[0:1]
	v_not_b32_e32 v1, v1
	v_ashrrev_i32_e32 v1, 31, v1
	v_and_b32_e32 v3, exec_lo, v3
	v_xor_b32_e32 v44, vcc_hi, v1
	v_xor_b32_e32 v1, vcc_lo, v1
	v_and_b32_e32 v3, v3, v1
	v_lshlrev_b32_e32 v1, 29, v2
	v_cmp_gt_i64_e32 vcc, 0, v[0:1]
	v_not_b32_e32 v1, v1
	v_ashrrev_i32_e32 v1, 31, v1
	v_and_b32_e32 v43, v43, v44
	v_xor_b32_e32 v44, vcc_hi, v1
	v_xor_b32_e32 v1, vcc_lo, v1
	v_and_b32_e32 v3, v3, v1
	v_lshlrev_b32_e32 v1, 28, v2
	v_cmp_gt_i64_e32 vcc, 0, v[0:1]
	v_not_b32_e32 v1, v1
	v_ashrrev_i32_e32 v1, 31, v1
	v_and_b32_e32 v43, v43, v44
	;; [unrolled: 8-line block ×5, first 2 shown]
	v_xor_b32_e32 v44, vcc_hi, v1
	v_xor_b32_e32 v1, vcc_lo, v1
	v_and_b32_e32 v43, v43, v44
	v_and_b32_e32 v44, v3, v1
	v_lshlrev_b32_e32 v1, 24, v2
	v_cmp_gt_i64_e32 vcc, 0, v[0:1]
	v_not_b32_e32 v1, v1
	v_ashrrev_i32_e32 v1, 31, v1
	v_xor_b32_e32 v2, vcc_hi, v1
	v_xor_b32_e32 v1, vcc_lo, v1
	; wave barrier
	ds_read_b32 v39, v46 offset:32
	v_and_b32_e32 v3, v43, v2
	v_and_b32_e32 v2, v44, v1
	v_mbcnt_lo_u32_b32 v1, v2, 0
	v_mbcnt_hi_u32_b32 v43, v3, v1
	v_cmp_eq_u32_e32 vcc, 0, v43
	v_cmp_ne_u64_e64 s[2:3], 0, v[2:3]
	s_and_b64 s[4:5], s[2:3], vcc
	; wave barrier
	s_and_saveexec_b64 s[2:3], s[4:5]
	s_cbranch_execz .LBB888_140
; %bb.139:
	v_bcnt_u32_b32 v1, v2, 0
	v_bcnt_u32_b32 v1, v3, v1
	s_waitcnt lgkmcnt(0)
	v_add_u32_e32 v1, v39, v1
	ds_write_b32 v46, v1 offset:32
.LBB888_140:
	s_or_b64 exec, exec, s[2:3]
	s_waitcnt vmcnt(8)
	v_xor_b32_e32 v28, 0x80000000, v28
	v_lshrrev_b32_e32 v1, s56, v28
	v_and_b32_e32 v2, s15, v1
	v_lshl_add_u32 v1, v2, 3, v2
	v_add_lshl_u32 v49, v15, v1, 2
	v_and_b32_e32 v1, 1, v2
	v_add_co_u32_e32 v3, vcc, -1, v1
	v_addc_co_u32_e64 v47, s[2:3], 0, -1, vcc
	v_cmp_ne_u32_e32 vcc, 0, v1
	v_xor_b32_e32 v1, vcc_hi, v47
	v_and_b32_e32 v47, exec_hi, v1
	v_lshlrev_b32_e32 v1, 30, v2
	v_xor_b32_e32 v3, vcc_lo, v3
	v_cmp_gt_i64_e32 vcc, 0, v[0:1]
	v_not_b32_e32 v1, v1
	v_ashrrev_i32_e32 v1, 31, v1
	v_and_b32_e32 v3, exec_lo, v3
	v_xor_b32_e32 v48, vcc_hi, v1
	v_xor_b32_e32 v1, vcc_lo, v1
	v_and_b32_e32 v3, v3, v1
	v_lshlrev_b32_e32 v1, 29, v2
	v_cmp_gt_i64_e32 vcc, 0, v[0:1]
	v_not_b32_e32 v1, v1
	v_ashrrev_i32_e32 v1, 31, v1
	v_and_b32_e32 v47, v47, v48
	v_xor_b32_e32 v48, vcc_hi, v1
	v_xor_b32_e32 v1, vcc_lo, v1
	v_and_b32_e32 v3, v3, v1
	v_lshlrev_b32_e32 v1, 28, v2
	v_cmp_gt_i64_e32 vcc, 0, v[0:1]
	v_not_b32_e32 v1, v1
	v_ashrrev_i32_e32 v1, 31, v1
	v_and_b32_e32 v47, v47, v48
	;; [unrolled: 8-line block ×5, first 2 shown]
	v_xor_b32_e32 v48, vcc_hi, v1
	v_xor_b32_e32 v1, vcc_lo, v1
	v_and_b32_e32 v3, v3, v1
	v_lshlrev_b32_e32 v1, 24, v2
	v_cmp_gt_i64_e32 vcc, 0, v[0:1]
	v_not_b32_e32 v0, v1
	v_ashrrev_i32_e32 v0, 31, v0
	v_xor_b32_e32 v1, vcc_hi, v0
	v_xor_b32_e32 v0, vcc_lo, v0
	; wave barrier
	ds_read_b32 v44, v49 offset:32
	v_and_b32_e32 v47, v47, v48
	v_and_b32_e32 v0, v3, v0
	;; [unrolled: 1-line block ×3, first 2 shown]
	v_mbcnt_lo_u32_b32 v2, v0, 0
	v_mbcnt_hi_u32_b32 v47, v1, v2
	v_cmp_eq_u32_e32 vcc, 0, v47
	v_cmp_ne_u64_e64 s[2:3], 0, v[0:1]
	s_and_b64 s[4:5], s[2:3], vcc
	; wave barrier
	s_and_saveexec_b64 s[2:3], s[4:5]
	s_cbranch_execz .LBB888_142
; %bb.141:
	v_bcnt_u32_b32 v0, v0, 0
	v_bcnt_u32_b32 v0, v1, v0
	s_waitcnt lgkmcnt(0)
	v_add_u32_e32 v0, v44, v0
	ds_write_b32 v49, v0 offset:32
.LBB888_142:
	s_or_b64 exec, exec, s[2:3]
	s_waitcnt vmcnt(7)
	v_xor_b32_e32 v32, 0x80000000, v32
	v_lshrrev_b32_e32 v0, s56, v32
	v_and_b32_e32 v2, s15, v0
	v_and_b32_e32 v1, 1, v2
	v_add_co_u32_e32 v3, vcc, -1, v1
	v_addc_co_u32_e64 v50, s[2:3], 0, -1, vcc
	v_cmp_ne_u32_e32 vcc, 0, v1
	v_lshl_add_u32 v0, v2, 3, v2
	v_xor_b32_e32 v1, vcc_hi, v50
	v_add_lshl_u32 v52, v15, v0, 2
	v_mov_b32_e32 v0, 0
	v_and_b32_e32 v50, exec_hi, v1
	v_lshlrev_b32_e32 v1, 30, v2
	v_xor_b32_e32 v3, vcc_lo, v3
	v_cmp_gt_i64_e32 vcc, 0, v[0:1]
	v_not_b32_e32 v1, v1
	v_ashrrev_i32_e32 v1, 31, v1
	v_and_b32_e32 v3, exec_lo, v3
	v_xor_b32_e32 v51, vcc_hi, v1
	v_xor_b32_e32 v1, vcc_lo, v1
	v_and_b32_e32 v3, v3, v1
	v_lshlrev_b32_e32 v1, 29, v2
	v_cmp_gt_i64_e32 vcc, 0, v[0:1]
	v_not_b32_e32 v1, v1
	v_ashrrev_i32_e32 v1, 31, v1
	v_and_b32_e32 v50, v50, v51
	v_xor_b32_e32 v51, vcc_hi, v1
	v_xor_b32_e32 v1, vcc_lo, v1
	v_and_b32_e32 v3, v3, v1
	v_lshlrev_b32_e32 v1, 28, v2
	v_cmp_gt_i64_e32 vcc, 0, v[0:1]
	v_not_b32_e32 v1, v1
	v_ashrrev_i32_e32 v1, 31, v1
	v_and_b32_e32 v50, v50, v51
	;; [unrolled: 8-line block ×5, first 2 shown]
	v_xor_b32_e32 v51, vcc_hi, v1
	v_xor_b32_e32 v1, vcc_lo, v1
	v_and_b32_e32 v50, v50, v51
	v_and_b32_e32 v51, v3, v1
	v_lshlrev_b32_e32 v1, 24, v2
	v_cmp_gt_i64_e32 vcc, 0, v[0:1]
	v_not_b32_e32 v1, v1
	v_ashrrev_i32_e32 v1, 31, v1
	v_xor_b32_e32 v2, vcc_hi, v1
	v_xor_b32_e32 v1, vcc_lo, v1
	; wave barrier
	ds_read_b32 v48, v52 offset:32
	v_and_b32_e32 v3, v50, v2
	v_and_b32_e32 v2, v51, v1
	v_mbcnt_lo_u32_b32 v1, v2, 0
	v_mbcnt_hi_u32_b32 v50, v3, v1
	v_cmp_eq_u32_e32 vcc, 0, v50
	v_cmp_ne_u64_e64 s[2:3], 0, v[2:3]
	s_and_b64 s[4:5], s[2:3], vcc
	; wave barrier
	s_and_saveexec_b64 s[2:3], s[4:5]
	s_cbranch_execz .LBB888_144
; %bb.143:
	v_bcnt_u32_b32 v1, v2, 0
	v_bcnt_u32_b32 v1, v3, v1
	s_waitcnt lgkmcnt(0)
	v_add_u32_e32 v1, v48, v1
	ds_write_b32 v52, v1 offset:32
.LBB888_144:
	s_or_b64 exec, exec, s[2:3]
	s_waitcnt vmcnt(6)
	v_xor_b32_e32 v37, 0x80000000, v37
	v_lshrrev_b32_e32 v1, s56, v37
	v_and_b32_e32 v2, s15, v1
	v_lshl_add_u32 v1, v2, 3, v2
	v_add_lshl_u32 v55, v15, v1, 2
	v_and_b32_e32 v1, 1, v2
	v_add_co_u32_e32 v3, vcc, -1, v1
	v_addc_co_u32_e64 v53, s[2:3], 0, -1, vcc
	v_cmp_ne_u32_e32 vcc, 0, v1
	v_xor_b32_e32 v1, vcc_hi, v53
	v_and_b32_e32 v53, exec_hi, v1
	v_lshlrev_b32_e32 v1, 30, v2
	v_xor_b32_e32 v3, vcc_lo, v3
	v_cmp_gt_i64_e32 vcc, 0, v[0:1]
	v_not_b32_e32 v1, v1
	v_ashrrev_i32_e32 v1, 31, v1
	v_and_b32_e32 v3, exec_lo, v3
	v_xor_b32_e32 v54, vcc_hi, v1
	v_xor_b32_e32 v1, vcc_lo, v1
	v_and_b32_e32 v3, v3, v1
	v_lshlrev_b32_e32 v1, 29, v2
	v_cmp_gt_i64_e32 vcc, 0, v[0:1]
	v_not_b32_e32 v1, v1
	v_ashrrev_i32_e32 v1, 31, v1
	v_and_b32_e32 v53, v53, v54
	v_xor_b32_e32 v54, vcc_hi, v1
	v_xor_b32_e32 v1, vcc_lo, v1
	v_and_b32_e32 v3, v3, v1
	v_lshlrev_b32_e32 v1, 28, v2
	v_cmp_gt_i64_e32 vcc, 0, v[0:1]
	v_not_b32_e32 v1, v1
	v_ashrrev_i32_e32 v1, 31, v1
	v_and_b32_e32 v53, v53, v54
	;; [unrolled: 8-line block ×5, first 2 shown]
	v_xor_b32_e32 v54, vcc_hi, v1
	v_xor_b32_e32 v1, vcc_lo, v1
	v_and_b32_e32 v3, v3, v1
	v_lshlrev_b32_e32 v1, 24, v2
	v_cmp_gt_i64_e32 vcc, 0, v[0:1]
	v_not_b32_e32 v0, v1
	v_ashrrev_i32_e32 v0, 31, v0
	v_xor_b32_e32 v1, vcc_hi, v0
	v_xor_b32_e32 v0, vcc_lo, v0
	; wave barrier
	ds_read_b32 v51, v55 offset:32
	v_and_b32_e32 v53, v53, v54
	v_and_b32_e32 v0, v3, v0
	;; [unrolled: 1-line block ×3, first 2 shown]
	v_mbcnt_lo_u32_b32 v2, v0, 0
	v_mbcnt_hi_u32_b32 v53, v1, v2
	v_cmp_eq_u32_e32 vcc, 0, v53
	v_cmp_ne_u64_e64 s[2:3], 0, v[0:1]
	s_and_b64 s[4:5], s[2:3], vcc
	; wave barrier
	s_and_saveexec_b64 s[2:3], s[4:5]
	s_cbranch_execz .LBB888_146
; %bb.145:
	v_bcnt_u32_b32 v0, v0, 0
	v_bcnt_u32_b32 v0, v1, v0
	s_waitcnt lgkmcnt(0)
	v_add_u32_e32 v0, v51, v0
	ds_write_b32 v55, v0 offset:32
.LBB888_146:
	s_or_b64 exec, exec, s[2:3]
	s_waitcnt vmcnt(5)
	v_xor_b32_e32 v42, 0x80000000, v42
	v_lshrrev_b32_e32 v0, s56, v42
	v_and_b32_e32 v2, s15, v0
	v_and_b32_e32 v1, 1, v2
	v_add_co_u32_e32 v3, vcc, -1, v1
	v_addc_co_u32_e64 v56, s[2:3], 0, -1, vcc
	v_cmp_ne_u32_e32 vcc, 0, v1
	v_lshl_add_u32 v0, v2, 3, v2
	v_xor_b32_e32 v1, vcc_hi, v56
	v_add_lshl_u32 v58, v15, v0, 2
	v_mov_b32_e32 v0, 0
	v_and_b32_e32 v56, exec_hi, v1
	v_lshlrev_b32_e32 v1, 30, v2
	v_xor_b32_e32 v3, vcc_lo, v3
	v_cmp_gt_i64_e32 vcc, 0, v[0:1]
	v_not_b32_e32 v1, v1
	v_ashrrev_i32_e32 v1, 31, v1
	v_and_b32_e32 v3, exec_lo, v3
	v_xor_b32_e32 v57, vcc_hi, v1
	v_xor_b32_e32 v1, vcc_lo, v1
	v_and_b32_e32 v3, v3, v1
	v_lshlrev_b32_e32 v1, 29, v2
	v_cmp_gt_i64_e32 vcc, 0, v[0:1]
	v_not_b32_e32 v1, v1
	v_ashrrev_i32_e32 v1, 31, v1
	v_and_b32_e32 v56, v56, v57
	v_xor_b32_e32 v57, vcc_hi, v1
	v_xor_b32_e32 v1, vcc_lo, v1
	v_and_b32_e32 v3, v3, v1
	v_lshlrev_b32_e32 v1, 28, v2
	v_cmp_gt_i64_e32 vcc, 0, v[0:1]
	v_not_b32_e32 v1, v1
	v_ashrrev_i32_e32 v1, 31, v1
	v_and_b32_e32 v56, v56, v57
	;; [unrolled: 8-line block ×5, first 2 shown]
	v_xor_b32_e32 v57, vcc_hi, v1
	v_xor_b32_e32 v1, vcc_lo, v1
	v_and_b32_e32 v56, v56, v57
	v_and_b32_e32 v57, v3, v1
	v_lshlrev_b32_e32 v1, 24, v2
	v_cmp_gt_i64_e32 vcc, 0, v[0:1]
	v_not_b32_e32 v1, v1
	v_ashrrev_i32_e32 v1, 31, v1
	v_xor_b32_e32 v2, vcc_hi, v1
	v_xor_b32_e32 v1, vcc_lo, v1
	; wave barrier
	ds_read_b32 v54, v58 offset:32
	v_and_b32_e32 v3, v56, v2
	v_and_b32_e32 v2, v57, v1
	v_mbcnt_lo_u32_b32 v1, v2, 0
	v_mbcnt_hi_u32_b32 v56, v3, v1
	v_cmp_eq_u32_e32 vcc, 0, v56
	v_cmp_ne_u64_e64 s[2:3], 0, v[2:3]
	s_and_b64 s[4:5], s[2:3], vcc
	; wave barrier
	s_and_saveexec_b64 s[2:3], s[4:5]
	s_cbranch_execz .LBB888_148
; %bb.147:
	v_bcnt_u32_b32 v1, v2, 0
	v_bcnt_u32_b32 v1, v3, v1
	s_waitcnt lgkmcnt(0)
	v_add_u32_e32 v1, v54, v1
	ds_write_b32 v58, v1 offset:32
.LBB888_148:
	s_or_b64 exec, exec, s[2:3]
	s_waitcnt vmcnt(4)
	v_xor_b32_e32 v45, 0x80000000, v45
	v_lshrrev_b32_e32 v1, s56, v45
	v_and_b32_e32 v2, s15, v1
	v_lshl_add_u32 v1, v2, 3, v2
	v_add_lshl_u32 v62, v15, v1, 2
	v_and_b32_e32 v1, 1, v2
	v_add_co_u32_e32 v3, vcc, -1, v1
	v_addc_co_u32_e64 v59, s[2:3], 0, -1, vcc
	v_cmp_ne_u32_e32 vcc, 0, v1
	v_xor_b32_e32 v1, vcc_hi, v59
	v_and_b32_e32 v59, exec_hi, v1
	v_lshlrev_b32_e32 v1, 30, v2
	v_xor_b32_e32 v3, vcc_lo, v3
	v_cmp_gt_i64_e32 vcc, 0, v[0:1]
	v_not_b32_e32 v1, v1
	v_ashrrev_i32_e32 v1, 31, v1
	v_and_b32_e32 v3, exec_lo, v3
	v_xor_b32_e32 v60, vcc_hi, v1
	v_xor_b32_e32 v1, vcc_lo, v1
	v_and_b32_e32 v3, v3, v1
	v_lshlrev_b32_e32 v1, 29, v2
	v_cmp_gt_i64_e32 vcc, 0, v[0:1]
	v_not_b32_e32 v1, v1
	v_ashrrev_i32_e32 v1, 31, v1
	v_and_b32_e32 v59, v59, v60
	v_xor_b32_e32 v60, vcc_hi, v1
	v_xor_b32_e32 v1, vcc_lo, v1
	v_and_b32_e32 v3, v3, v1
	v_lshlrev_b32_e32 v1, 28, v2
	v_cmp_gt_i64_e32 vcc, 0, v[0:1]
	v_not_b32_e32 v1, v1
	v_ashrrev_i32_e32 v1, 31, v1
	v_and_b32_e32 v59, v59, v60
	;; [unrolled: 8-line block ×5, first 2 shown]
	v_xor_b32_e32 v60, vcc_hi, v1
	v_xor_b32_e32 v1, vcc_lo, v1
	v_and_b32_e32 v3, v3, v1
	v_lshlrev_b32_e32 v1, 24, v2
	v_cmp_gt_i64_e32 vcc, 0, v[0:1]
	v_not_b32_e32 v0, v1
	v_ashrrev_i32_e32 v0, 31, v0
	v_xor_b32_e32 v1, vcc_hi, v0
	v_xor_b32_e32 v0, vcc_lo, v0
	; wave barrier
	ds_read_b32 v57, v62 offset:32
	v_and_b32_e32 v59, v59, v60
	v_and_b32_e32 v0, v3, v0
	;; [unrolled: 1-line block ×3, first 2 shown]
	v_mbcnt_lo_u32_b32 v2, v0, 0
	v_mbcnt_hi_u32_b32 v60, v1, v2
	v_cmp_eq_u32_e32 vcc, 0, v60
	v_cmp_ne_u64_e64 s[2:3], 0, v[0:1]
	s_and_b64 s[4:5], s[2:3], vcc
	; wave barrier
	s_and_saveexec_b64 s[2:3], s[4:5]
	s_cbranch_execz .LBB888_150
; %bb.149:
	v_bcnt_u32_b32 v0, v0, 0
	v_bcnt_u32_b32 v0, v1, v0
	s_waitcnt lgkmcnt(0)
	v_add_u32_e32 v0, v57, v0
	ds_write_b32 v62, v0 offset:32
.LBB888_150:
	s_or_b64 exec, exec, s[2:3]
	s_waitcnt vmcnt(3)
	v_xor_b32_e32 v40, 0x80000000, v40
	v_lshrrev_b32_e32 v0, s56, v40
	v_and_b32_e32 v2, s15, v0
	v_and_b32_e32 v1, 1, v2
	v_add_co_u32_e32 v3, vcc, -1, v1
	v_addc_co_u32_e64 v59, s[2:3], 0, -1, vcc
	v_cmp_ne_u32_e32 vcc, 0, v1
	v_lshl_add_u32 v0, v2, 3, v2
	v_xor_b32_e32 v1, vcc_hi, v59
	v_add_lshl_u32 v64, v15, v0, 2
	v_mov_b32_e32 v0, 0
	v_and_b32_e32 v59, exec_hi, v1
	v_lshlrev_b32_e32 v1, 30, v2
	v_xor_b32_e32 v3, vcc_lo, v3
	v_cmp_gt_i64_e32 vcc, 0, v[0:1]
	v_not_b32_e32 v1, v1
	v_ashrrev_i32_e32 v1, 31, v1
	v_and_b32_e32 v3, exec_lo, v3
	v_xor_b32_e32 v63, vcc_hi, v1
	v_xor_b32_e32 v1, vcc_lo, v1
	v_and_b32_e32 v3, v3, v1
	v_lshlrev_b32_e32 v1, 29, v2
	v_cmp_gt_i64_e32 vcc, 0, v[0:1]
	v_not_b32_e32 v1, v1
	v_ashrrev_i32_e32 v1, 31, v1
	v_and_b32_e32 v59, v59, v63
	v_xor_b32_e32 v63, vcc_hi, v1
	v_xor_b32_e32 v1, vcc_lo, v1
	v_and_b32_e32 v3, v3, v1
	v_lshlrev_b32_e32 v1, 28, v2
	v_cmp_gt_i64_e32 vcc, 0, v[0:1]
	v_not_b32_e32 v1, v1
	v_ashrrev_i32_e32 v1, 31, v1
	v_and_b32_e32 v59, v59, v63
	;; [unrolled: 8-line block ×5, first 2 shown]
	v_xor_b32_e32 v63, vcc_hi, v1
	v_xor_b32_e32 v1, vcc_lo, v1
	v_and_b32_e32 v59, v59, v63
	v_and_b32_e32 v63, v3, v1
	v_lshlrev_b32_e32 v1, 24, v2
	v_cmp_gt_i64_e32 vcc, 0, v[0:1]
	v_not_b32_e32 v1, v1
	v_ashrrev_i32_e32 v1, 31, v1
	v_xor_b32_e32 v2, vcc_hi, v1
	v_xor_b32_e32 v1, vcc_lo, v1
	; wave barrier
	ds_read_b32 v61, v64 offset:32
	v_and_b32_e32 v3, v59, v2
	v_and_b32_e32 v2, v63, v1
	v_mbcnt_lo_u32_b32 v1, v2, 0
	v_mbcnt_hi_u32_b32 v63, v3, v1
	v_cmp_eq_u32_e32 vcc, 0, v63
	v_cmp_ne_u64_e64 s[2:3], 0, v[2:3]
	s_and_b64 s[4:5], s[2:3], vcc
	; wave barrier
	s_and_saveexec_b64 s[2:3], s[4:5]
	s_cbranch_execz .LBB888_152
; %bb.151:
	v_bcnt_u32_b32 v1, v2, 0
	v_bcnt_u32_b32 v1, v3, v1
	s_waitcnt lgkmcnt(0)
	v_add_u32_e32 v1, v61, v1
	ds_write_b32 v64, v1 offset:32
.LBB888_152:
	s_or_b64 exec, exec, s[2:3]
	s_waitcnt vmcnt(2)
	v_xor_b32_e32 v35, 0x80000000, v35
	v_lshrrev_b32_e32 v1, s56, v35
	v_and_b32_e32 v2, s15, v1
	v_lshl_add_u32 v1, v2, 3, v2
	v_add_lshl_u32 v68, v15, v1, 2
	v_and_b32_e32 v1, 1, v2
	v_add_co_u32_e32 v3, vcc, -1, v1
	v_addc_co_u32_e64 v59, s[2:3], 0, -1, vcc
	v_cmp_ne_u32_e32 vcc, 0, v1
	v_xor_b32_e32 v1, vcc_hi, v59
	v_and_b32_e32 v59, exec_hi, v1
	v_lshlrev_b32_e32 v1, 30, v2
	v_xor_b32_e32 v3, vcc_lo, v3
	v_cmp_gt_i64_e32 vcc, 0, v[0:1]
	v_not_b32_e32 v1, v1
	v_ashrrev_i32_e32 v1, 31, v1
	v_and_b32_e32 v3, exec_lo, v3
	v_xor_b32_e32 v66, vcc_hi, v1
	v_xor_b32_e32 v1, vcc_lo, v1
	v_and_b32_e32 v3, v3, v1
	v_lshlrev_b32_e32 v1, 29, v2
	v_cmp_gt_i64_e32 vcc, 0, v[0:1]
	v_not_b32_e32 v1, v1
	v_ashrrev_i32_e32 v1, 31, v1
	v_and_b32_e32 v59, v59, v66
	v_xor_b32_e32 v66, vcc_hi, v1
	v_xor_b32_e32 v1, vcc_lo, v1
	v_and_b32_e32 v3, v3, v1
	v_lshlrev_b32_e32 v1, 28, v2
	v_cmp_gt_i64_e32 vcc, 0, v[0:1]
	v_not_b32_e32 v1, v1
	v_ashrrev_i32_e32 v1, 31, v1
	v_and_b32_e32 v59, v59, v66
	;; [unrolled: 8-line block ×5, first 2 shown]
	v_xor_b32_e32 v66, vcc_hi, v1
	v_xor_b32_e32 v1, vcc_lo, v1
	v_and_b32_e32 v3, v3, v1
	v_lshlrev_b32_e32 v1, 24, v2
	v_cmp_gt_i64_e32 vcc, 0, v[0:1]
	v_not_b32_e32 v0, v1
	v_ashrrev_i32_e32 v0, 31, v0
	v_xor_b32_e32 v1, vcc_hi, v0
	v_xor_b32_e32 v0, vcc_lo, v0
	; wave barrier
	ds_read_b32 v65, v68 offset:32
	v_and_b32_e32 v59, v59, v66
	v_and_b32_e32 v0, v3, v0
	;; [unrolled: 1-line block ×3, first 2 shown]
	v_mbcnt_lo_u32_b32 v2, v0, 0
	v_mbcnt_hi_u32_b32 v66, v1, v2
	v_cmp_eq_u32_e32 vcc, 0, v66
	v_cmp_ne_u64_e64 s[2:3], 0, v[0:1]
	s_and_b64 s[4:5], s[2:3], vcc
	; wave barrier
	s_and_saveexec_b64 s[2:3], s[4:5]
	s_cbranch_execz .LBB888_154
; %bb.153:
	v_bcnt_u32_b32 v0, v0, 0
	v_bcnt_u32_b32 v0, v1, v0
	s_waitcnt lgkmcnt(0)
	v_add_u32_e32 v0, v65, v0
	ds_write_b32 v68, v0 offset:32
.LBB888_154:
	s_or_b64 exec, exec, s[2:3]
	s_waitcnt vmcnt(1)
	v_xor_b32_e32 v30, 0x80000000, v30
	v_lshrrev_b32_e32 v0, s56, v30
	v_and_b32_e32 v2, s15, v0
	v_and_b32_e32 v1, 1, v2
	v_add_co_u32_e32 v3, vcc, -1, v1
	v_addc_co_u32_e64 v59, s[2:3], 0, -1, vcc
	v_cmp_ne_u32_e32 vcc, 0, v1
	v_lshl_add_u32 v0, v2, 3, v2
	v_xor_b32_e32 v1, vcc_hi, v59
	v_add_lshl_u32 v70, v15, v0, 2
	v_mov_b32_e32 v0, 0
	v_and_b32_e32 v59, exec_hi, v1
	v_lshlrev_b32_e32 v1, 30, v2
	v_xor_b32_e32 v3, vcc_lo, v3
	v_cmp_gt_i64_e32 vcc, 0, v[0:1]
	v_not_b32_e32 v1, v1
	v_ashrrev_i32_e32 v1, 31, v1
	v_and_b32_e32 v3, exec_lo, v3
	v_xor_b32_e32 v69, vcc_hi, v1
	v_xor_b32_e32 v1, vcc_lo, v1
	v_and_b32_e32 v3, v3, v1
	v_lshlrev_b32_e32 v1, 29, v2
	v_cmp_gt_i64_e32 vcc, 0, v[0:1]
	v_not_b32_e32 v1, v1
	v_ashrrev_i32_e32 v1, 31, v1
	v_and_b32_e32 v59, v59, v69
	v_xor_b32_e32 v69, vcc_hi, v1
	v_xor_b32_e32 v1, vcc_lo, v1
	v_and_b32_e32 v3, v3, v1
	v_lshlrev_b32_e32 v1, 28, v2
	v_cmp_gt_i64_e32 vcc, 0, v[0:1]
	v_not_b32_e32 v1, v1
	v_ashrrev_i32_e32 v1, 31, v1
	v_and_b32_e32 v59, v59, v69
	;; [unrolled: 8-line block ×5, first 2 shown]
	v_xor_b32_e32 v69, vcc_hi, v1
	v_xor_b32_e32 v1, vcc_lo, v1
	v_and_b32_e32 v59, v59, v69
	v_and_b32_e32 v69, v3, v1
	v_lshlrev_b32_e32 v1, 24, v2
	v_cmp_gt_i64_e32 vcc, 0, v[0:1]
	v_not_b32_e32 v1, v1
	v_ashrrev_i32_e32 v1, 31, v1
	v_xor_b32_e32 v2, vcc_hi, v1
	v_xor_b32_e32 v1, vcc_lo, v1
	; wave barrier
	ds_read_b32 v67, v70 offset:32
	v_and_b32_e32 v3, v59, v2
	v_and_b32_e32 v2, v69, v1
	v_mbcnt_lo_u32_b32 v1, v2, 0
	v_mbcnt_hi_u32_b32 v69, v3, v1
	v_cmp_eq_u32_e32 vcc, 0, v69
	v_cmp_ne_u64_e64 s[2:3], 0, v[2:3]
	s_and_b64 s[4:5], s[2:3], vcc
	; wave barrier
	s_and_saveexec_b64 s[2:3], s[4:5]
	s_cbranch_execz .LBB888_156
; %bb.155:
	v_bcnt_u32_b32 v1, v2, 0
	v_bcnt_u32_b32 v1, v3, v1
	s_waitcnt lgkmcnt(0)
	v_add_u32_e32 v1, v67, v1
	ds_write_b32 v70, v1 offset:32
.LBB888_156:
	s_or_b64 exec, exec, s[2:3]
	s_waitcnt vmcnt(0)
	v_xor_b32_e32 v59, 0x80000000, v14
	v_lshrrev_b32_e32 v1, s56, v59
	v_and_b32_e32 v2, s15, v1
	v_lshl_add_u32 v1, v2, 3, v2
	v_add_lshl_u32 v71, v15, v1, 2
	v_and_b32_e32 v1, 1, v2
	v_add_co_u32_e32 v3, vcc, -1, v1
	v_addc_co_u32_e64 v15, s[2:3], 0, -1, vcc
	v_cmp_ne_u32_e32 vcc, 0, v1
	v_xor_b32_e32 v1, vcc_hi, v15
	v_and_b32_e32 v15, exec_hi, v1
	v_lshlrev_b32_e32 v1, 30, v2
	v_xor_b32_e32 v3, vcc_lo, v3
	v_cmp_gt_i64_e32 vcc, 0, v[0:1]
	v_not_b32_e32 v1, v1
	v_ashrrev_i32_e32 v1, 31, v1
	v_and_b32_e32 v3, exec_lo, v3
	v_xor_b32_e32 v73, vcc_hi, v1
	v_xor_b32_e32 v1, vcc_lo, v1
	v_and_b32_e32 v3, v3, v1
	v_lshlrev_b32_e32 v1, 29, v2
	v_cmp_gt_i64_e32 vcc, 0, v[0:1]
	v_not_b32_e32 v1, v1
	v_ashrrev_i32_e32 v1, 31, v1
	v_and_b32_e32 v15, v15, v73
	v_xor_b32_e32 v73, vcc_hi, v1
	v_xor_b32_e32 v1, vcc_lo, v1
	v_and_b32_e32 v3, v3, v1
	v_lshlrev_b32_e32 v1, 28, v2
	v_cmp_gt_i64_e32 vcc, 0, v[0:1]
	v_not_b32_e32 v1, v1
	v_ashrrev_i32_e32 v1, 31, v1
	v_and_b32_e32 v15, v15, v73
	;; [unrolled: 8-line block ×5, first 2 shown]
	v_xor_b32_e32 v73, vcc_hi, v1
	v_xor_b32_e32 v1, vcc_lo, v1
	v_and_b32_e32 v3, v3, v1
	v_lshlrev_b32_e32 v1, 24, v2
	v_cmp_gt_i64_e32 vcc, 0, v[0:1]
	v_not_b32_e32 v0, v1
	v_ashrrev_i32_e32 v0, 31, v0
	v_xor_b32_e32 v1, vcc_hi, v0
	v_xor_b32_e32 v0, vcc_lo, v0
	; wave barrier
	ds_read_b32 v14, v71 offset:32
	v_and_b32_e32 v15, v15, v73
	v_and_b32_e32 v0, v3, v0
	;; [unrolled: 1-line block ×3, first 2 shown]
	v_mbcnt_lo_u32_b32 v2, v0, 0
	v_mbcnt_hi_u32_b32 v15, v1, v2
	v_cmp_eq_u32_e32 vcc, 0, v15
	v_cmp_ne_u64_e64 s[2:3], 0, v[0:1]
	v_add_u32_e32 v72, 32, v5
	s_and_b64 s[4:5], s[2:3], vcc
	; wave barrier
	s_and_saveexec_b64 s[2:3], s[4:5]
	s_cbranch_execz .LBB888_158
; %bb.157:
	v_bcnt_u32_b32 v0, v0, 0
	v_bcnt_u32_b32 v0, v1, v0
	s_waitcnt lgkmcnt(0)
	v_add_u32_e32 v0, v14, v0
	ds_write_b32 v71, v0 offset:32
.LBB888_158:
	s_or_b64 exec, exec, s[2:3]
	; wave barrier
	s_waitcnt lgkmcnt(0)
	s_barrier
	ds_read2_b32 v[2:3], v5 offset0:8 offset1:9
	ds_read2_b32 v[0:1], v72 offset0:2 offset1:3
	ds_read_b32 v73, v72 offset:16
	s_waitcnt lgkmcnt(1)
	v_add3_u32 v74, v3, v2, v0
	s_waitcnt lgkmcnt(0)
	v_add3_u32 v73, v74, v1, v73
	v_and_b32_e32 v74, 15, v4
	v_cmp_ne_u32_e32 vcc, 0, v74
	v_mov_b32_dpp v75, v73 row_shr:1 row_mask:0xf bank_mask:0xf
	v_cndmask_b32_e32 v75, 0, v75, vcc
	v_add_u32_e32 v73, v75, v73
	v_cmp_lt_u32_e32 vcc, 1, v74
	s_nop 0
	v_mov_b32_dpp v75, v73 row_shr:2 row_mask:0xf bank_mask:0xf
	v_cndmask_b32_e32 v75, 0, v75, vcc
	v_add_u32_e32 v73, v73, v75
	v_cmp_lt_u32_e32 vcc, 3, v74
	s_nop 0
	;; [unrolled: 5-line block ×3, first 2 shown]
	v_mov_b32_dpp v75, v73 row_shr:8 row_mask:0xf bank_mask:0xf
	v_cndmask_b32_e32 v74, 0, v75, vcc
	v_add_u32_e32 v73, v73, v74
	v_bfe_i32 v75, v4, 4, 1
	v_cmp_lt_u32_e32 vcc, 31, v4
	v_mov_b32_dpp v74, v73 row_bcast:15 row_mask:0xf bank_mask:0xf
	v_and_b32_e32 v74, v75, v74
	v_add_u32_e32 v73, v73, v74
	v_and_b32_e32 v75, 0x3c0, v18
	v_min_u32_e32 v75, 0x1c0, v75
	v_mov_b32_dpp v74, v73 row_bcast:31 row_mask:0xf bank_mask:0xf
	v_cndmask_b32_e32 v74, 0, v74, vcc
	v_or_b32_e32 v75, 63, v75
	v_add_u32_e32 v73, v73, v74
	v_lshrrev_b32_e32 v74, 6, v18
	v_cmp_eq_u32_e32 vcc, v75, v18
	s_and_saveexec_b64 s[2:3], vcc
	s_cbranch_execz .LBB888_160
; %bb.159:
	v_lshlrev_b32_e32 v75, 2, v74
	ds_write_b32 v75, v73
.LBB888_160:
	s_or_b64 exec, exec, s[2:3]
	v_cmp_gt_u32_e32 vcc, 8, v18
	s_waitcnt lgkmcnt(0)
	s_barrier
	s_and_saveexec_b64 s[2:3], vcc
	s_cbranch_execz .LBB888_162
; %bb.161:
	v_lshlrev_b32_e32 v75, 2, v18
	ds_read_b32 v76, v75
	v_and_b32_e32 v77, 7, v4
	v_cmp_ne_u32_e32 vcc, 0, v77
	s_waitcnt lgkmcnt(0)
	v_mov_b32_dpp v78, v76 row_shr:1 row_mask:0xf bank_mask:0xf
	v_cndmask_b32_e32 v78, 0, v78, vcc
	v_add_u32_e32 v76, v78, v76
	v_cmp_lt_u32_e32 vcc, 1, v77
	s_nop 0
	v_mov_b32_dpp v78, v76 row_shr:2 row_mask:0xf bank_mask:0xf
	v_cndmask_b32_e32 v78, 0, v78, vcc
	v_add_u32_e32 v76, v76, v78
	v_cmp_lt_u32_e32 vcc, 3, v77
	s_nop 0
	v_mov_b32_dpp v78, v76 row_shr:4 row_mask:0xf bank_mask:0xf
	v_cndmask_b32_e32 v77, 0, v78, vcc
	v_add_u32_e32 v76, v76, v77
	ds_write_b32 v75, v76
.LBB888_162:
	s_or_b64 exec, exec, s[2:3]
	v_cmp_lt_u32_e32 vcc, 63, v18
	v_mov_b32_e32 v75, 0
	s_waitcnt lgkmcnt(0)
	s_barrier
	s_and_saveexec_b64 s[2:3], vcc
	s_cbranch_execz .LBB888_164
; %bb.163:
	v_lshl_add_u32 v74, v74, 2, -4
	ds_read_b32 v75, v74
.LBB888_164:
	s_or_b64 exec, exec, s[2:3]
	v_add_u32_e32 v74, -1, v4
	v_and_b32_e32 v76, 64, v4
	v_cmp_lt_i32_e32 vcc, v74, v76
	v_cndmask_b32_e32 v74, v74, v4, vcc
	s_waitcnt lgkmcnt(0)
	v_add_u32_e32 v73, v75, v73
	v_lshlrev_b32_e32 v74, 2, v74
	ds_bpermute_b32 v73, v74, v73
	v_cmp_eq_u32_e32 vcc, 0, v4
	s_waitcnt lgkmcnt(0)
	v_cndmask_b32_e32 v4, v73, v75, vcc
	v_cndmask_b32_e64 v4, v4, 0, s[0:1]
	v_add_u32_e32 v2, v4, v2
	v_add_u32_e32 v3, v2, v3
	;; [unrolled: 1-line block ×4, first 2 shown]
	ds_write2_b32 v5, v4, v2 offset0:8 offset1:9
	ds_write2_b32 v72, v3, v0 offset0:2 offset1:3
	ds_write_b32 v72, v1 offset:16
	s_waitcnt lgkmcnt(0)
	s_barrier
	ds_read_b32 v75, v9 offset:32
	ds_read_b32 v9, v11 offset:32
	;; [unrolled: 1-line block ×16, first 2 shown]
	s_movk_i32 s0, 0x100
	v_cmp_gt_u32_e32 vcc, s0, v18
                                        ; implicit-def: $vgpr52
                                        ; implicit-def: $vgpr55
	s_and_saveexec_b64 s[2:3], vcc
	s_cbranch_execz .LBB888_168
; %bb.165:
	v_mul_u32_u24_e32 v0, 9, v18
	v_lshlrev_b32_e32 v1, 2, v0
	ds_read_b32 v52, v1 offset:32
	s_movk_i32 s0, 0xff
	v_cmp_ne_u32_e64 s[0:1], s0, v18
	v_mov_b32_e32 v0, 0x2000
	s_and_saveexec_b64 s[4:5], s[0:1]
	s_cbranch_execz .LBB888_167
; %bb.166:
	ds_read_b32 v0, v1 offset:68
.LBB888_167:
	s_or_b64 exec, exec, s[4:5]
	s_waitcnt lgkmcnt(0)
	v_sub_u32_e32 v55, v0, v52
.LBB888_168:
	s_or_b64 exec, exec, s[2:3]
	s_waitcnt lgkmcnt(0)
	s_barrier
	s_and_saveexec_b64 s[2:3], vcc
	s_cbranch_execz .LBB888_178
; %bb.169:
	v_lshl_or_b32 v0, s33, 8, v18
	v_mov_b32_e32 v1, 0
	v_lshlrev_b64 v[2:3], 2, v[0:1]
	v_mov_b32_e32 v31, s43
	v_add_co_u32_e64 v2, s[0:1], s42, v2
	v_addc_co_u32_e64 v3, s[0:1], v31, v3, s[0:1]
	v_or_b32_e32 v0, 2.0, v55
	s_mov_b64 s[4:5], 0
	s_brev_b32 s16, 1
	s_mov_b32 s17, s33
	v_mov_b32_e32 v36, 0
	global_store_dword v[2:3], v0, off
                                        ; implicit-def: $sgpr0_sgpr1
	s_branch .LBB888_172
.LBB888_170:                            ;   in Loop: Header=BB888_172 Depth=1
	s_or_b64 exec, exec, s[12:13]
.LBB888_171:                            ;   in Loop: Header=BB888_172 Depth=1
	s_or_b64 exec, exec, s[6:7]
	v_and_b32_e32 v4, 0x3fffffff, v58
	v_add_u32_e32 v36, v4, v36
	v_cmp_eq_u32_e64 s[0:1], s16, v0
	s_and_b64 s[6:7], exec, s[0:1]
	s_or_b64 s[4:5], s[6:7], s[4:5]
	s_andn2_b64 exec, exec, s[4:5]
	s_cbranch_execz .LBB888_177
.LBB888_172:                            ; =>This Loop Header: Depth=1
                                        ;     Child Loop BB888_175 Depth 2
	s_or_b64 s[0:1], s[0:1], exec
	s_cmp_eq_u32 s17, 0
	s_cbranch_scc1 .LBB888_176
; %bb.173:                              ;   in Loop: Header=BB888_172 Depth=1
	s_add_i32 s17, s17, -1
	v_lshl_or_b32 v0, s17, 8, v18
	v_lshlrev_b64 v[4:5], 2, v[0:1]
	v_add_co_u32_e64 v4, s[0:1], s42, v4
	v_addc_co_u32_e64 v5, s[0:1], v31, v5, s[0:1]
	global_load_dword v58, v[4:5], off glc
	s_waitcnt vmcnt(0)
	v_and_b32_e32 v0, -2.0, v58
	v_cmp_eq_u32_e64 s[0:1], 0, v0
	s_and_saveexec_b64 s[6:7], s[0:1]
	s_cbranch_execz .LBB888_171
; %bb.174:                              ;   in Loop: Header=BB888_172 Depth=1
	s_mov_b64 s[12:13], 0
.LBB888_175:                            ;   Parent Loop BB888_172 Depth=1
                                        ; =>  This Inner Loop Header: Depth=2
	global_load_dword v58, v[4:5], off glc
	s_waitcnt vmcnt(0)
	v_and_b32_e32 v0, -2.0, v58
	v_cmp_ne_u32_e64 s[0:1], 0, v0
	s_or_b64 s[12:13], s[0:1], s[12:13]
	s_andn2_b64 exec, exec, s[12:13]
	s_cbranch_execnz .LBB888_175
	s_branch .LBB888_170
.LBB888_176:                            ;   in Loop: Header=BB888_172 Depth=1
                                        ; implicit-def: $sgpr17
	s_and_b64 s[6:7], exec, s[0:1]
	s_or_b64 s[4:5], s[6:7], s[4:5]
	s_andn2_b64 exec, exec, s[4:5]
	s_cbranch_execnz .LBB888_172
.LBB888_177:
	s_or_b64 exec, exec, s[4:5]
	v_add_u32_e32 v0, v36, v55
	v_or_b32_e32 v0, 0x80000000, v0
	global_store_dword v[2:3], v0, off
	v_lshlrev_b32_e32 v0, 2, v18
	global_load_dword v1, v0, s[52:53]
	v_sub_u32_e32 v2, v36, v52
	s_waitcnt vmcnt(0)
	v_add_u32_e32 v1, v2, v1
	ds_write_b32 v0, v1
.LBB888_178:
	s_or_b64 exec, exec, s[2:3]
	v_lshlrev_b32_e32 v31, 2, v18
	v_add_u32_e32 v58, v75, v6
	s_movk_i32 s2, 0x400
	v_add_u32_e32 v36, 0x400, v31
	v_add3_u32 v62, v15, v62, v14
	v_add3_u32 v64, v69, v64, v67
	;; [unrolled: 1-line block ×15, first 2 shown]
	s_mov_b32 s3, 0
	s_mov_b32 s4, 3
	s_movk_i32 s5, 0x200
	s_movk_i32 s6, 0x600
	v_mov_b32_e32 v17, 0
	v_mov_b32_e32 v29, s47
	;; [unrolled: 1-line block ×3, first 2 shown]
                                        ; implicit-def: $vgpr0
.LBB888_179:                            ; =>This Inner Loop Header: Depth=1
	v_add_u32_e32 v16, s3, v58
	v_add_u32_e32 v34, s3, v70
	;; [unrolled: 1-line block ×16, first 2 shown]
	v_min_u32_e32 v16, 0x800, v16
	v_min_u32_e32 v34, 0x800, v34
	;; [unrolled: 1-line block ×16, first 2 shown]
	v_lshlrev_b32_e32 v16, 2, v16
	v_lshlrev_b32_e32 v34, 2, v34
	;; [unrolled: 1-line block ×16, first 2 shown]
	ds_write_b32 v16, v21 offset:1024
	ds_write_b32 v34, v22 offset:1024
	ds_write_b32 v38, v23 offset:1024
	ds_write_b32 v39, v24 offset:1024
	ds_write_b32 v41, v25 offset:1024
	ds_write_b32 v43, v26 offset:1024
	ds_write_b32 v44, v27 offset:1024
	ds_write_b32 v46, v28 offset:1024
	ds_write_b32 v47, v32 offset:1024
	ds_write_b32 v48, v37 offset:1024
	ds_write_b32 v49, v42 offset:1024
	ds_write_b32 v50, v45 offset:1024
	ds_write_b32 v51, v40 offset:1024
	ds_write_b32 v71, v35 offset:1024
	ds_write_b32 v72, v30 offset:1024
	ds_write_b32 v73, v59 offset:1024
	s_waitcnt lgkmcnt(0)
	s_barrier
	ds_read_b32 v16, v31 offset:1024
	s_add_i32 s7, s4, -3
	s_add_i32 s12, s4, -2
	;; [unrolled: 1-line block ×3, first 2 shown]
	s_addk_i32 s3, 0xf800
	s_waitcnt lgkmcnt(0)
	v_lshrrev_b32_e32 v34, s56, v16
	v_and_b32_e32 v34, s15, v34
	v_xor_b32_e32 v41, 0x80000000, v16
	v_lshlrev_b32_e32 v16, 2, v34
	ds_read_b32 v16, v16
	s_waitcnt lgkmcnt(0)
	v_add_u32_e32 v16, v33, v16
	v_lshlrev_b64 v[38:39], 2, v[16:17]
	v_add_co_u32_e64 v38, s[0:1], s46, v38
	v_addc_co_u32_e64 v39, s[0:1], v29, v39, s[0:1]
	global_store_dword v[38:39], v41, off
	s_set_gpr_idx_on s7, gpr_idx(DST)
	v_mov_b32_e32 v0, v34
	s_set_gpr_idx_off
	ds_read_b32 v16, v36 offset:2048
	s_waitcnt lgkmcnt(0)
	v_lshrrev_b32_e32 v34, s56, v16
	v_and_b32_e32 v34, s15, v34
	v_xor_b32_e32 v41, 0x80000000, v16
	v_lshlrev_b32_e32 v16, 2, v34
	ds_read_b32 v16, v16
	s_waitcnt lgkmcnt(0)
	v_add3_u32 v16, v33, v16, s5
	v_lshlrev_b64 v[38:39], 2, v[16:17]
	v_add_co_u32_e64 v38, s[0:1], s46, v38
	v_addc_co_u32_e64 v39, s[0:1], v29, v39, s[0:1]
	global_store_dword v[38:39], v41, off
	s_set_gpr_idx_on s12, gpr_idx(DST)
	v_mov_b32_e32 v0, v34
	s_set_gpr_idx_off
	ds_read_b32 v16, v36 offset:4096
	s_waitcnt lgkmcnt(0)
	v_lshrrev_b32_e32 v34, s56, v16
	v_and_b32_e32 v34, s15, v34
	v_xor_b32_e32 v41, 0x80000000, v16
	v_lshlrev_b32_e32 v16, 2, v34
	ds_read_b32 v16, v16
	s_waitcnt lgkmcnt(0)
	v_add3_u32 v16, v33, v16, s2
	;; [unrolled: 16-line block ×3, first 2 shown]
	v_lshlrev_b64 v[38:39], 2, v[16:17]
	v_add_co_u32_e64 v38, s[0:1], s46, v38
	v_addc_co_u32_e64 v39, s[0:1], v29, v39, s[0:1]
	global_store_dword v[38:39], v41, off
	s_set_gpr_idx_on s4, gpr_idx(DST)
	v_mov_b32_e32 v0, v34
	s_set_gpr_idx_off
	s_add_i32 s4, s4, 4
	v_add_u32_e32 v33, 0x800, v33
	s_cmpk_lg_i32 s3, 0xe000
	s_barrier
	s_cbranch_scc1 .LBB888_179
; %bb.180:
	s_lshl_b64 s[0:1], s[10:11], 3
	s_add_u32 s0, s48, s0
	s_addc_u32 s1, s49, s1
	v_lshlrev_b32_e32 v16, 3, v20
	v_mov_b32_e32 v17, s1
	v_add_co_u32_e64 v16, s[0:1], s0, v16
	v_addc_co_u32_e64 v17, s[0:1], 0, v17, s[0:1]
	v_lshlrev_b32_e32 v19, 3, v19
	v_add_co_u32_e64 v34, s[0:1], v16, v19
	v_addc_co_u32_e64 v35, s[0:1], 0, v17, s[0:1]
	s_movk_i32 s0, 0x1000
	v_add_co_u32_e64 v50, s[0:1], s0, v34
	v_addc_co_u32_e64 v51, s[0:1], 0, v35, s[0:1]
	global_load_dwordx2 v[16:17], v[34:35], off
	global_load_dwordx2 v[20:21], v[34:35], off offset:512
	global_load_dwordx2 v[22:23], v[34:35], off offset:1024
	;; [unrolled: 1-line block ×7, first 2 shown]
	s_nop 0
	global_load_dwordx2 v[34:35], v[50:51], off
	global_load_dwordx2 v[36:37], v[50:51], off offset:512
	global_load_dwordx2 v[38:39], v[50:51], off offset:1024
	;; [unrolled: 1-line block ×7, first 2 shown]
	v_lshlrev_b32_e32 v19, 3, v18
	s_mov_b32 s2, 0
	v_add_u32_e32 v59, 0x400, v19
	s_mov_b32 s3, 1
	s_movk_i32 s4, 0x200
	v_mov_b32_e32 v51, 0
	v_mov_b32_e32 v71, v18
	s_waitcnt vmcnt(0)
.LBB888_181:                            ; =>This Inner Loop Header: Depth=1
	v_add_u32_e32 v50, s2, v58
	v_add_u32_e32 v72, s2, v70
	;; [unrolled: 1-line block ×16, first 2 shown]
	v_min_u32_e32 v50, 0x400, v50
	v_min_u32_e32 v72, 0x400, v72
	;; [unrolled: 1-line block ×3, first 2 shown]
	s_add_i32 s0, s3, -1
	v_min_u32_e32 v74, 0x400, v74
	v_min_u32_e32 v75, 0x400, v75
	;; [unrolled: 1-line block ×13, first 2 shown]
	v_lshlrev_b32_e32 v50, 3, v50
	v_lshlrev_b32_e32 v72, 3, v72
	;; [unrolled: 1-line block ×16, first 2 shown]
	ds_write_b64 v50, v[16:17] offset:1024
	ds_write_b64 v72, v[20:21] offset:1024
	;; [unrolled: 1-line block ×16, first 2 shown]
	s_waitcnt lgkmcnt(0)
	s_barrier
	ds_read_b64 v[72:73], v19 offset:1024
	s_set_gpr_idx_on s0, gpr_idx(SRC0)
	v_mov_b32_e32 v50, v0
	s_set_gpr_idx_off
	v_lshlrev_b32_e32 v50, 2, v50
	ds_read_b32 v50, v50
	ds_read_b64 v[74:75], v59 offset:4096
	v_mov_b32_e32 v87, s51
	s_addk_i32 s2, 0xfc00
	s_waitcnt lgkmcnt(1)
	v_add_u32_e32 v50, v71, v50
	v_lshlrev_b64 v[76:77], 3, v[50:51]
	v_add_co_u32_e64 v76, s[0:1], s50, v76
	v_addc_co_u32_e64 v77, s[0:1], v87, v77, s[0:1]
	global_store_dwordx2 v[76:77], v[72:73], off
	s_set_gpr_idx_on s3, gpr_idx(SRC0)
	v_mov_b32_e32 v50, v0
	s_set_gpr_idx_off
	v_lshlrev_b32_e32 v50, 2, v50
	ds_read_b32 v50, v50
	s_add_i32 s3, s3, 2
	s_cmpk_lg_i32 s2, 0xe000
	s_waitcnt lgkmcnt(0)
	v_add3_u32 v50, v71, v50, s4
	v_lshlrev_b64 v[72:73], 3, v[50:51]
	v_add_co_u32_e64 v72, s[0:1], s50, v72
	v_add_u32_e32 v71, 0x400, v71
	v_addc_co_u32_e64 v73, s[0:1], v87, v73, s[0:1]
	global_store_dwordx2 v[72:73], v[74:75], off
	s_barrier
	s_cbranch_scc1 .LBB888_181
; %bb.182:
	s_add_i32 s14, s14, -1
	s_cmp_eq_u32 s14, s33
	s_cselect_b64 s[0:1], -1, 0
	s_and_b64 s[2:3], vcc, s[0:1]
                                        ; implicit-def: $vgpr2
	s_and_saveexec_b64 s[0:1], s[2:3]
; %bb.183:
	v_add_u32_e32 v2, v52, v55
	s_or_b64 s[8:9], s[8:9], exec
; %bb.184:
	s_or_b64 exec, exec, s[0:1]
.LBB888_185:
	s_and_saveexec_b64 s[0:1], s[8:9]
	s_cbranch_execnz .LBB888_187
; %bb.186:
	s_endpgm
.LBB888_187:
	v_lshlrev_b32_e32 v0, 2, v18
	ds_read_b32 v1, v0
	s_waitcnt lgkmcnt(0)
	v_add_u32_e32 v1, v1, v2
	global_store_dword v0, v1, s[54:55]
	s_endpgm
.LBB888_188:
	global_load_dwordx2 v[20:21], v[42:43], off
	s_or_b64 exec, exec, s[40:41]
                                        ; implicit-def: $vgpr22_vgpr23
	s_and_saveexec_b64 s[40:41], s[8:9]
	s_cbranch_execz .LBB888_102
.LBB888_189:
	global_load_dwordx2 v[22:23], v[42:43], off offset:512
	s_or_b64 exec, exec, s[40:41]
                                        ; implicit-def: $vgpr24_vgpr25
	s_and_saveexec_b64 s[8:9], s[12:13]
	s_cbranch_execz .LBB888_103
.LBB888_190:
	global_load_dwordx2 v[24:25], v[42:43], off offset:1024
	s_or_b64 exec, exec, s[8:9]
                                        ; implicit-def: $vgpr26_vgpr27
	s_and_saveexec_b64 s[8:9], s[16:17]
	s_cbranch_execz .LBB888_104
.LBB888_191:
	global_load_dwordx2 v[26:27], v[42:43], off offset:1536
	s_or_b64 exec, exec, s[8:9]
                                        ; implicit-def: $vgpr28_vgpr29
	s_and_saveexec_b64 s[8:9], s[18:19]
	s_cbranch_execz .LBB888_105
.LBB888_192:
	global_load_dwordx2 v[28:29], v[42:43], off offset:2048
	s_or_b64 exec, exec, s[8:9]
                                        ; implicit-def: $vgpr30_vgpr31
	s_and_saveexec_b64 s[8:9], s[22:23]
	s_cbranch_execz .LBB888_106
.LBB888_193:
	global_load_dwordx2 v[30:31], v[42:43], off offset:2560
	s_or_b64 exec, exec, s[8:9]
                                        ; implicit-def: $vgpr32_vgpr33
	s_and_saveexec_b64 s[8:9], s[26:27]
	s_cbranch_execz .LBB888_107
.LBB888_194:
	global_load_dwordx2 v[32:33], v[42:43], off offset:3072
	s_or_b64 exec, exec, s[8:9]
                                        ; implicit-def: $vgpr34_vgpr35
	s_and_saveexec_b64 s[8:9], s[30:31]
	s_cbranch_execz .LBB888_108
.LBB888_195:
	global_load_dwordx2 v[34:35], v[42:43], off offset:3584
	s_or_b64 exec, exec, s[8:9]
                                        ; implicit-def: $vgpr36_vgpr37
	s_and_saveexec_b64 s[8:9], s[34:35]
	s_cbranch_execz .LBB888_109
.LBB888_196:
	v_add_co_u32_e32 v36, vcc, 0x1000, v42
	v_addc_co_u32_e32 v37, vcc, 0, v43, vcc
	global_load_dwordx2 v[36:37], v[36:37], off
	s_or_b64 exec, exec, s[8:9]
                                        ; implicit-def: $vgpr38_vgpr39
	s_and_saveexec_b64 s[8:9], s[28:29]
	s_cbranch_execz .LBB888_110
.LBB888_197:
	v_add_co_u32_e32 v38, vcc, 0x1000, v42
	v_addc_co_u32_e32 v39, vcc, 0, v43, vcc
	global_load_dwordx2 v[38:39], v[38:39], off offset:512
	s_or_b64 exec, exec, s[8:9]
                                        ; implicit-def: $vgpr40_vgpr41
	s_and_saveexec_b64 s[8:9], s[24:25]
	s_cbranch_execz .LBB888_111
.LBB888_198:
	v_add_co_u32_e32 v40, vcc, 0x1000, v42
	v_addc_co_u32_e32 v41, vcc, 0, v43, vcc
	global_load_dwordx2 v[40:41], v[40:41], off offset:1024
	s_or_b64 exec, exec, s[8:9]
                                        ; implicit-def: $vgpr44_vgpr45
	s_and_saveexec_b64 s[8:9], s[20:21]
	s_cbranch_execz .LBB888_112
.LBB888_199:
	v_add_co_u32_e32 v44, vcc, 0x1000, v42
	v_addc_co_u32_e32 v45, vcc, 0, v43, vcc
	global_load_dwordx2 v[44:45], v[44:45], off offset:1536
	s_or_b64 exec, exec, s[8:9]
                                        ; implicit-def: $vgpr46_vgpr47
	s_and_saveexec_b64 s[8:9], s[14:15]
	s_cbranch_execz .LBB888_113
.LBB888_200:
	v_add_co_u32_e32 v46, vcc, 0x1000, v42
	v_addc_co_u32_e32 v47, vcc, 0, v43, vcc
	global_load_dwordx2 v[46:47], v[46:47], off offset:2048
	s_or_b64 exec, exec, s[8:9]
                                        ; implicit-def: $vgpr48_vgpr49
	s_and_saveexec_b64 s[8:9], s[10:11]
	s_cbranch_execz .LBB888_114
.LBB888_201:
	v_add_co_u32_e32 v48, vcc, 0x1000, v42
	v_addc_co_u32_e32 v49, vcc, 0, v43, vcc
	global_load_dwordx2 v[48:49], v[48:49], off offset:2560
	s_or_b64 exec, exec, s[8:9]
                                        ; implicit-def: $vgpr50_vgpr51
	s_and_saveexec_b64 s[8:9], s[38:39]
	s_cbranch_execz .LBB888_115
.LBB888_202:
	v_add_co_u32_e32 v50, vcc, 0x1000, v42
	v_addc_co_u32_e32 v51, vcc, 0, v43, vcc
	global_load_dwordx2 v[50:51], v[50:51], off offset:3072
	s_or_b64 exec, exec, s[8:9]
                                        ; implicit-def: $vgpr52_vgpr53
	s_and_saveexec_b64 s[8:9], s[2:3]
	s_cbranch_execnz .LBB888_116
	s_branch .LBB888_117
	.section	.rodata,"a",@progbits
	.p2align	6, 0x0
	.amdhsa_kernel _ZN7rocprim17ROCPRIM_400000_NS6detail17trampoline_kernelINS0_14default_configENS1_35radix_sort_onesweep_config_selectorIilEEZZNS1_29radix_sort_onesweep_iterationIS3_Lb0EPiS7_N6thrust23THRUST_200600_302600_NS10device_ptrIlEESB_jNS0_19identity_decomposerENS1_16block_id_wrapperIjLb1EEEEE10hipError_tT1_PNSt15iterator_traitsISG_E10value_typeET2_T3_PNSH_ISM_E10value_typeET4_T5_PSR_SS_PNS1_23onesweep_lookback_stateEbbT6_jjT7_P12ihipStream_tbENKUlT_T0_SG_SL_E_clIS7_S7_PlSB_EEDaSZ_S10_SG_SL_EUlSZ_E_NS1_11comp_targetILNS1_3genE4ELNS1_11target_archE910ELNS1_3gpuE8ELNS1_3repE0EEENS1_47radix_sort_onesweep_sort_config_static_selectorELNS0_4arch9wavefront6targetE1EEEvSG_
		.amdhsa_group_segment_fixed_size 10280
		.amdhsa_private_segment_fixed_size 0
		.amdhsa_kernarg_size 344
		.amdhsa_user_sgpr_count 6
		.amdhsa_user_sgpr_private_segment_buffer 1
		.amdhsa_user_sgpr_dispatch_ptr 0
		.amdhsa_user_sgpr_queue_ptr 0
		.amdhsa_user_sgpr_kernarg_segment_ptr 1
		.amdhsa_user_sgpr_dispatch_id 0
		.amdhsa_user_sgpr_flat_scratch_init 0
		.amdhsa_user_sgpr_kernarg_preload_length 0
		.amdhsa_user_sgpr_kernarg_preload_offset 0
		.amdhsa_user_sgpr_private_segment_size 0
		.amdhsa_uses_dynamic_stack 0
		.amdhsa_system_sgpr_private_segment_wavefront_offset 0
		.amdhsa_system_sgpr_workgroup_id_x 1
		.amdhsa_system_sgpr_workgroup_id_y 0
		.amdhsa_system_sgpr_workgroup_id_z 0
		.amdhsa_system_sgpr_workgroup_info 0
		.amdhsa_system_vgpr_workitem_id 2
		.amdhsa_next_free_vgpr 88
		.amdhsa_next_free_sgpr 72
		.amdhsa_accum_offset 88
		.amdhsa_reserve_vcc 1
		.amdhsa_reserve_flat_scratch 0
		.amdhsa_float_round_mode_32 0
		.amdhsa_float_round_mode_16_64 0
		.amdhsa_float_denorm_mode_32 3
		.amdhsa_float_denorm_mode_16_64 3
		.amdhsa_dx10_clamp 1
		.amdhsa_ieee_mode 1
		.amdhsa_fp16_overflow 0
		.amdhsa_tg_split 0
		.amdhsa_exception_fp_ieee_invalid_op 0
		.amdhsa_exception_fp_denorm_src 0
		.amdhsa_exception_fp_ieee_div_zero 0
		.amdhsa_exception_fp_ieee_overflow 0
		.amdhsa_exception_fp_ieee_underflow 0
		.amdhsa_exception_fp_ieee_inexact 0
		.amdhsa_exception_int_div_zero 0
	.end_amdhsa_kernel
	.section	.text._ZN7rocprim17ROCPRIM_400000_NS6detail17trampoline_kernelINS0_14default_configENS1_35radix_sort_onesweep_config_selectorIilEEZZNS1_29radix_sort_onesweep_iterationIS3_Lb0EPiS7_N6thrust23THRUST_200600_302600_NS10device_ptrIlEESB_jNS0_19identity_decomposerENS1_16block_id_wrapperIjLb1EEEEE10hipError_tT1_PNSt15iterator_traitsISG_E10value_typeET2_T3_PNSH_ISM_E10value_typeET4_T5_PSR_SS_PNS1_23onesweep_lookback_stateEbbT6_jjT7_P12ihipStream_tbENKUlT_T0_SG_SL_E_clIS7_S7_PlSB_EEDaSZ_S10_SG_SL_EUlSZ_E_NS1_11comp_targetILNS1_3genE4ELNS1_11target_archE910ELNS1_3gpuE8ELNS1_3repE0EEENS1_47radix_sort_onesweep_sort_config_static_selectorELNS0_4arch9wavefront6targetE1EEEvSG_,"axG",@progbits,_ZN7rocprim17ROCPRIM_400000_NS6detail17trampoline_kernelINS0_14default_configENS1_35radix_sort_onesweep_config_selectorIilEEZZNS1_29radix_sort_onesweep_iterationIS3_Lb0EPiS7_N6thrust23THRUST_200600_302600_NS10device_ptrIlEESB_jNS0_19identity_decomposerENS1_16block_id_wrapperIjLb1EEEEE10hipError_tT1_PNSt15iterator_traitsISG_E10value_typeET2_T3_PNSH_ISM_E10value_typeET4_T5_PSR_SS_PNS1_23onesweep_lookback_stateEbbT6_jjT7_P12ihipStream_tbENKUlT_T0_SG_SL_E_clIS7_S7_PlSB_EEDaSZ_S10_SG_SL_EUlSZ_E_NS1_11comp_targetILNS1_3genE4ELNS1_11target_archE910ELNS1_3gpuE8ELNS1_3repE0EEENS1_47radix_sort_onesweep_sort_config_static_selectorELNS0_4arch9wavefront6targetE1EEEvSG_,comdat
.Lfunc_end888:
	.size	_ZN7rocprim17ROCPRIM_400000_NS6detail17trampoline_kernelINS0_14default_configENS1_35radix_sort_onesweep_config_selectorIilEEZZNS1_29radix_sort_onesweep_iterationIS3_Lb0EPiS7_N6thrust23THRUST_200600_302600_NS10device_ptrIlEESB_jNS0_19identity_decomposerENS1_16block_id_wrapperIjLb1EEEEE10hipError_tT1_PNSt15iterator_traitsISG_E10value_typeET2_T3_PNSH_ISM_E10value_typeET4_T5_PSR_SS_PNS1_23onesweep_lookback_stateEbbT6_jjT7_P12ihipStream_tbENKUlT_T0_SG_SL_E_clIS7_S7_PlSB_EEDaSZ_S10_SG_SL_EUlSZ_E_NS1_11comp_targetILNS1_3genE4ELNS1_11target_archE910ELNS1_3gpuE8ELNS1_3repE0EEENS1_47radix_sort_onesweep_sort_config_static_selectorELNS0_4arch9wavefront6targetE1EEEvSG_, .Lfunc_end888-_ZN7rocprim17ROCPRIM_400000_NS6detail17trampoline_kernelINS0_14default_configENS1_35radix_sort_onesweep_config_selectorIilEEZZNS1_29radix_sort_onesweep_iterationIS3_Lb0EPiS7_N6thrust23THRUST_200600_302600_NS10device_ptrIlEESB_jNS0_19identity_decomposerENS1_16block_id_wrapperIjLb1EEEEE10hipError_tT1_PNSt15iterator_traitsISG_E10value_typeET2_T3_PNSH_ISM_E10value_typeET4_T5_PSR_SS_PNS1_23onesweep_lookback_stateEbbT6_jjT7_P12ihipStream_tbENKUlT_T0_SG_SL_E_clIS7_S7_PlSB_EEDaSZ_S10_SG_SL_EUlSZ_E_NS1_11comp_targetILNS1_3genE4ELNS1_11target_archE910ELNS1_3gpuE8ELNS1_3repE0EEENS1_47radix_sort_onesweep_sort_config_static_selectorELNS0_4arch9wavefront6targetE1EEEvSG_
                                        ; -- End function
	.section	.AMDGPU.csdata,"",@progbits
; Kernel info:
; codeLenInByte = 20768
; NumSgprs: 76
; NumVgprs: 88
; NumAgprs: 0
; TotalNumVgprs: 88
; ScratchSize: 0
; MemoryBound: 0
; FloatMode: 240
; IeeeMode: 1
; LDSByteSize: 10280 bytes/workgroup (compile time only)
; SGPRBlocks: 9
; VGPRBlocks: 10
; NumSGPRsForWavesPerEU: 76
; NumVGPRsForWavesPerEU: 88
; AccumOffset: 88
; Occupancy: 5
; WaveLimiterHint : 1
; COMPUTE_PGM_RSRC2:SCRATCH_EN: 0
; COMPUTE_PGM_RSRC2:USER_SGPR: 6
; COMPUTE_PGM_RSRC2:TRAP_HANDLER: 0
; COMPUTE_PGM_RSRC2:TGID_X_EN: 1
; COMPUTE_PGM_RSRC2:TGID_Y_EN: 0
; COMPUTE_PGM_RSRC2:TGID_Z_EN: 0
; COMPUTE_PGM_RSRC2:TIDIG_COMP_CNT: 2
; COMPUTE_PGM_RSRC3_GFX90A:ACCUM_OFFSET: 21
; COMPUTE_PGM_RSRC3_GFX90A:TG_SPLIT: 0
	.section	.text._ZN7rocprim17ROCPRIM_400000_NS6detail17trampoline_kernelINS0_14default_configENS1_35radix_sort_onesweep_config_selectorIilEEZZNS1_29radix_sort_onesweep_iterationIS3_Lb0EPiS7_N6thrust23THRUST_200600_302600_NS10device_ptrIlEESB_jNS0_19identity_decomposerENS1_16block_id_wrapperIjLb1EEEEE10hipError_tT1_PNSt15iterator_traitsISG_E10value_typeET2_T3_PNSH_ISM_E10value_typeET4_T5_PSR_SS_PNS1_23onesweep_lookback_stateEbbT6_jjT7_P12ihipStream_tbENKUlT_T0_SG_SL_E_clIS7_S7_PlSB_EEDaSZ_S10_SG_SL_EUlSZ_E_NS1_11comp_targetILNS1_3genE3ELNS1_11target_archE908ELNS1_3gpuE7ELNS1_3repE0EEENS1_47radix_sort_onesweep_sort_config_static_selectorELNS0_4arch9wavefront6targetE1EEEvSG_,"axG",@progbits,_ZN7rocprim17ROCPRIM_400000_NS6detail17trampoline_kernelINS0_14default_configENS1_35radix_sort_onesweep_config_selectorIilEEZZNS1_29radix_sort_onesweep_iterationIS3_Lb0EPiS7_N6thrust23THRUST_200600_302600_NS10device_ptrIlEESB_jNS0_19identity_decomposerENS1_16block_id_wrapperIjLb1EEEEE10hipError_tT1_PNSt15iterator_traitsISG_E10value_typeET2_T3_PNSH_ISM_E10value_typeET4_T5_PSR_SS_PNS1_23onesweep_lookback_stateEbbT6_jjT7_P12ihipStream_tbENKUlT_T0_SG_SL_E_clIS7_S7_PlSB_EEDaSZ_S10_SG_SL_EUlSZ_E_NS1_11comp_targetILNS1_3genE3ELNS1_11target_archE908ELNS1_3gpuE7ELNS1_3repE0EEENS1_47radix_sort_onesweep_sort_config_static_selectorELNS0_4arch9wavefront6targetE1EEEvSG_,comdat
	.protected	_ZN7rocprim17ROCPRIM_400000_NS6detail17trampoline_kernelINS0_14default_configENS1_35radix_sort_onesweep_config_selectorIilEEZZNS1_29radix_sort_onesweep_iterationIS3_Lb0EPiS7_N6thrust23THRUST_200600_302600_NS10device_ptrIlEESB_jNS0_19identity_decomposerENS1_16block_id_wrapperIjLb1EEEEE10hipError_tT1_PNSt15iterator_traitsISG_E10value_typeET2_T3_PNSH_ISM_E10value_typeET4_T5_PSR_SS_PNS1_23onesweep_lookback_stateEbbT6_jjT7_P12ihipStream_tbENKUlT_T0_SG_SL_E_clIS7_S7_PlSB_EEDaSZ_S10_SG_SL_EUlSZ_E_NS1_11comp_targetILNS1_3genE3ELNS1_11target_archE908ELNS1_3gpuE7ELNS1_3repE0EEENS1_47radix_sort_onesweep_sort_config_static_selectorELNS0_4arch9wavefront6targetE1EEEvSG_ ; -- Begin function _ZN7rocprim17ROCPRIM_400000_NS6detail17trampoline_kernelINS0_14default_configENS1_35radix_sort_onesweep_config_selectorIilEEZZNS1_29radix_sort_onesweep_iterationIS3_Lb0EPiS7_N6thrust23THRUST_200600_302600_NS10device_ptrIlEESB_jNS0_19identity_decomposerENS1_16block_id_wrapperIjLb1EEEEE10hipError_tT1_PNSt15iterator_traitsISG_E10value_typeET2_T3_PNSH_ISM_E10value_typeET4_T5_PSR_SS_PNS1_23onesweep_lookback_stateEbbT6_jjT7_P12ihipStream_tbENKUlT_T0_SG_SL_E_clIS7_S7_PlSB_EEDaSZ_S10_SG_SL_EUlSZ_E_NS1_11comp_targetILNS1_3genE3ELNS1_11target_archE908ELNS1_3gpuE7ELNS1_3repE0EEENS1_47radix_sort_onesweep_sort_config_static_selectorELNS0_4arch9wavefront6targetE1EEEvSG_
	.globl	_ZN7rocprim17ROCPRIM_400000_NS6detail17trampoline_kernelINS0_14default_configENS1_35radix_sort_onesweep_config_selectorIilEEZZNS1_29radix_sort_onesweep_iterationIS3_Lb0EPiS7_N6thrust23THRUST_200600_302600_NS10device_ptrIlEESB_jNS0_19identity_decomposerENS1_16block_id_wrapperIjLb1EEEEE10hipError_tT1_PNSt15iterator_traitsISG_E10value_typeET2_T3_PNSH_ISM_E10value_typeET4_T5_PSR_SS_PNS1_23onesweep_lookback_stateEbbT6_jjT7_P12ihipStream_tbENKUlT_T0_SG_SL_E_clIS7_S7_PlSB_EEDaSZ_S10_SG_SL_EUlSZ_E_NS1_11comp_targetILNS1_3genE3ELNS1_11target_archE908ELNS1_3gpuE7ELNS1_3repE0EEENS1_47radix_sort_onesweep_sort_config_static_selectorELNS0_4arch9wavefront6targetE1EEEvSG_
	.p2align	8
	.type	_ZN7rocprim17ROCPRIM_400000_NS6detail17trampoline_kernelINS0_14default_configENS1_35radix_sort_onesweep_config_selectorIilEEZZNS1_29radix_sort_onesweep_iterationIS3_Lb0EPiS7_N6thrust23THRUST_200600_302600_NS10device_ptrIlEESB_jNS0_19identity_decomposerENS1_16block_id_wrapperIjLb1EEEEE10hipError_tT1_PNSt15iterator_traitsISG_E10value_typeET2_T3_PNSH_ISM_E10value_typeET4_T5_PSR_SS_PNS1_23onesweep_lookback_stateEbbT6_jjT7_P12ihipStream_tbENKUlT_T0_SG_SL_E_clIS7_S7_PlSB_EEDaSZ_S10_SG_SL_EUlSZ_E_NS1_11comp_targetILNS1_3genE3ELNS1_11target_archE908ELNS1_3gpuE7ELNS1_3repE0EEENS1_47radix_sort_onesweep_sort_config_static_selectorELNS0_4arch9wavefront6targetE1EEEvSG_,@function
_ZN7rocprim17ROCPRIM_400000_NS6detail17trampoline_kernelINS0_14default_configENS1_35radix_sort_onesweep_config_selectorIilEEZZNS1_29radix_sort_onesweep_iterationIS3_Lb0EPiS7_N6thrust23THRUST_200600_302600_NS10device_ptrIlEESB_jNS0_19identity_decomposerENS1_16block_id_wrapperIjLb1EEEEE10hipError_tT1_PNSt15iterator_traitsISG_E10value_typeET2_T3_PNSH_ISM_E10value_typeET4_T5_PSR_SS_PNS1_23onesweep_lookback_stateEbbT6_jjT7_P12ihipStream_tbENKUlT_T0_SG_SL_E_clIS7_S7_PlSB_EEDaSZ_S10_SG_SL_EUlSZ_E_NS1_11comp_targetILNS1_3genE3ELNS1_11target_archE908ELNS1_3gpuE7ELNS1_3repE0EEENS1_47radix_sort_onesweep_sort_config_static_selectorELNS0_4arch9wavefront6targetE1EEEvSG_: ; @_ZN7rocprim17ROCPRIM_400000_NS6detail17trampoline_kernelINS0_14default_configENS1_35radix_sort_onesweep_config_selectorIilEEZZNS1_29radix_sort_onesweep_iterationIS3_Lb0EPiS7_N6thrust23THRUST_200600_302600_NS10device_ptrIlEESB_jNS0_19identity_decomposerENS1_16block_id_wrapperIjLb1EEEEE10hipError_tT1_PNSt15iterator_traitsISG_E10value_typeET2_T3_PNSH_ISM_E10value_typeET4_T5_PSR_SS_PNS1_23onesweep_lookback_stateEbbT6_jjT7_P12ihipStream_tbENKUlT_T0_SG_SL_E_clIS7_S7_PlSB_EEDaSZ_S10_SG_SL_EUlSZ_E_NS1_11comp_targetILNS1_3genE3ELNS1_11target_archE908ELNS1_3gpuE7ELNS1_3repE0EEENS1_47radix_sort_onesweep_sort_config_static_selectorELNS0_4arch9wavefront6targetE1EEEvSG_
; %bb.0:
	.section	.rodata,"a",@progbits
	.p2align	6, 0x0
	.amdhsa_kernel _ZN7rocprim17ROCPRIM_400000_NS6detail17trampoline_kernelINS0_14default_configENS1_35radix_sort_onesweep_config_selectorIilEEZZNS1_29radix_sort_onesweep_iterationIS3_Lb0EPiS7_N6thrust23THRUST_200600_302600_NS10device_ptrIlEESB_jNS0_19identity_decomposerENS1_16block_id_wrapperIjLb1EEEEE10hipError_tT1_PNSt15iterator_traitsISG_E10value_typeET2_T3_PNSH_ISM_E10value_typeET4_T5_PSR_SS_PNS1_23onesweep_lookback_stateEbbT6_jjT7_P12ihipStream_tbENKUlT_T0_SG_SL_E_clIS7_S7_PlSB_EEDaSZ_S10_SG_SL_EUlSZ_E_NS1_11comp_targetILNS1_3genE3ELNS1_11target_archE908ELNS1_3gpuE7ELNS1_3repE0EEENS1_47radix_sort_onesweep_sort_config_static_selectorELNS0_4arch9wavefront6targetE1EEEvSG_
		.amdhsa_group_segment_fixed_size 0
		.amdhsa_private_segment_fixed_size 0
		.amdhsa_kernarg_size 88
		.amdhsa_user_sgpr_count 6
		.amdhsa_user_sgpr_private_segment_buffer 1
		.amdhsa_user_sgpr_dispatch_ptr 0
		.amdhsa_user_sgpr_queue_ptr 0
		.amdhsa_user_sgpr_kernarg_segment_ptr 1
		.amdhsa_user_sgpr_dispatch_id 0
		.amdhsa_user_sgpr_flat_scratch_init 0
		.amdhsa_user_sgpr_kernarg_preload_length 0
		.amdhsa_user_sgpr_kernarg_preload_offset 0
		.amdhsa_user_sgpr_private_segment_size 0
		.amdhsa_uses_dynamic_stack 0
		.amdhsa_system_sgpr_private_segment_wavefront_offset 0
		.amdhsa_system_sgpr_workgroup_id_x 1
		.amdhsa_system_sgpr_workgroup_id_y 0
		.amdhsa_system_sgpr_workgroup_id_z 0
		.amdhsa_system_sgpr_workgroup_info 0
		.amdhsa_system_vgpr_workitem_id 0
		.amdhsa_next_free_vgpr 1
		.amdhsa_next_free_sgpr 0
		.amdhsa_accum_offset 4
		.amdhsa_reserve_vcc 0
		.amdhsa_reserve_flat_scratch 0
		.amdhsa_float_round_mode_32 0
		.amdhsa_float_round_mode_16_64 0
		.amdhsa_float_denorm_mode_32 3
		.amdhsa_float_denorm_mode_16_64 3
		.amdhsa_dx10_clamp 1
		.amdhsa_ieee_mode 1
		.amdhsa_fp16_overflow 0
		.amdhsa_tg_split 0
		.amdhsa_exception_fp_ieee_invalid_op 0
		.amdhsa_exception_fp_denorm_src 0
		.amdhsa_exception_fp_ieee_div_zero 0
		.amdhsa_exception_fp_ieee_overflow 0
		.amdhsa_exception_fp_ieee_underflow 0
		.amdhsa_exception_fp_ieee_inexact 0
		.amdhsa_exception_int_div_zero 0
	.end_amdhsa_kernel
	.section	.text._ZN7rocprim17ROCPRIM_400000_NS6detail17trampoline_kernelINS0_14default_configENS1_35radix_sort_onesweep_config_selectorIilEEZZNS1_29radix_sort_onesweep_iterationIS3_Lb0EPiS7_N6thrust23THRUST_200600_302600_NS10device_ptrIlEESB_jNS0_19identity_decomposerENS1_16block_id_wrapperIjLb1EEEEE10hipError_tT1_PNSt15iterator_traitsISG_E10value_typeET2_T3_PNSH_ISM_E10value_typeET4_T5_PSR_SS_PNS1_23onesweep_lookback_stateEbbT6_jjT7_P12ihipStream_tbENKUlT_T0_SG_SL_E_clIS7_S7_PlSB_EEDaSZ_S10_SG_SL_EUlSZ_E_NS1_11comp_targetILNS1_3genE3ELNS1_11target_archE908ELNS1_3gpuE7ELNS1_3repE0EEENS1_47radix_sort_onesweep_sort_config_static_selectorELNS0_4arch9wavefront6targetE1EEEvSG_,"axG",@progbits,_ZN7rocprim17ROCPRIM_400000_NS6detail17trampoline_kernelINS0_14default_configENS1_35radix_sort_onesweep_config_selectorIilEEZZNS1_29radix_sort_onesweep_iterationIS3_Lb0EPiS7_N6thrust23THRUST_200600_302600_NS10device_ptrIlEESB_jNS0_19identity_decomposerENS1_16block_id_wrapperIjLb1EEEEE10hipError_tT1_PNSt15iterator_traitsISG_E10value_typeET2_T3_PNSH_ISM_E10value_typeET4_T5_PSR_SS_PNS1_23onesweep_lookback_stateEbbT6_jjT7_P12ihipStream_tbENKUlT_T0_SG_SL_E_clIS7_S7_PlSB_EEDaSZ_S10_SG_SL_EUlSZ_E_NS1_11comp_targetILNS1_3genE3ELNS1_11target_archE908ELNS1_3gpuE7ELNS1_3repE0EEENS1_47radix_sort_onesweep_sort_config_static_selectorELNS0_4arch9wavefront6targetE1EEEvSG_,comdat
.Lfunc_end889:
	.size	_ZN7rocprim17ROCPRIM_400000_NS6detail17trampoline_kernelINS0_14default_configENS1_35radix_sort_onesweep_config_selectorIilEEZZNS1_29radix_sort_onesweep_iterationIS3_Lb0EPiS7_N6thrust23THRUST_200600_302600_NS10device_ptrIlEESB_jNS0_19identity_decomposerENS1_16block_id_wrapperIjLb1EEEEE10hipError_tT1_PNSt15iterator_traitsISG_E10value_typeET2_T3_PNSH_ISM_E10value_typeET4_T5_PSR_SS_PNS1_23onesweep_lookback_stateEbbT6_jjT7_P12ihipStream_tbENKUlT_T0_SG_SL_E_clIS7_S7_PlSB_EEDaSZ_S10_SG_SL_EUlSZ_E_NS1_11comp_targetILNS1_3genE3ELNS1_11target_archE908ELNS1_3gpuE7ELNS1_3repE0EEENS1_47radix_sort_onesweep_sort_config_static_selectorELNS0_4arch9wavefront6targetE1EEEvSG_, .Lfunc_end889-_ZN7rocprim17ROCPRIM_400000_NS6detail17trampoline_kernelINS0_14default_configENS1_35radix_sort_onesweep_config_selectorIilEEZZNS1_29radix_sort_onesweep_iterationIS3_Lb0EPiS7_N6thrust23THRUST_200600_302600_NS10device_ptrIlEESB_jNS0_19identity_decomposerENS1_16block_id_wrapperIjLb1EEEEE10hipError_tT1_PNSt15iterator_traitsISG_E10value_typeET2_T3_PNSH_ISM_E10value_typeET4_T5_PSR_SS_PNS1_23onesweep_lookback_stateEbbT6_jjT7_P12ihipStream_tbENKUlT_T0_SG_SL_E_clIS7_S7_PlSB_EEDaSZ_S10_SG_SL_EUlSZ_E_NS1_11comp_targetILNS1_3genE3ELNS1_11target_archE908ELNS1_3gpuE7ELNS1_3repE0EEENS1_47radix_sort_onesweep_sort_config_static_selectorELNS0_4arch9wavefront6targetE1EEEvSG_
                                        ; -- End function
	.section	.AMDGPU.csdata,"",@progbits
; Kernel info:
; codeLenInByte = 0
; NumSgprs: 4
; NumVgprs: 0
; NumAgprs: 0
; TotalNumVgprs: 0
; ScratchSize: 0
; MemoryBound: 0
; FloatMode: 240
; IeeeMode: 1
; LDSByteSize: 0 bytes/workgroup (compile time only)
; SGPRBlocks: 0
; VGPRBlocks: 0
; NumSGPRsForWavesPerEU: 4
; NumVGPRsForWavesPerEU: 1
; AccumOffset: 4
; Occupancy: 8
; WaveLimiterHint : 0
; COMPUTE_PGM_RSRC2:SCRATCH_EN: 0
; COMPUTE_PGM_RSRC2:USER_SGPR: 6
; COMPUTE_PGM_RSRC2:TRAP_HANDLER: 0
; COMPUTE_PGM_RSRC2:TGID_X_EN: 1
; COMPUTE_PGM_RSRC2:TGID_Y_EN: 0
; COMPUTE_PGM_RSRC2:TGID_Z_EN: 0
; COMPUTE_PGM_RSRC2:TIDIG_COMP_CNT: 0
; COMPUTE_PGM_RSRC3_GFX90A:ACCUM_OFFSET: 0
; COMPUTE_PGM_RSRC3_GFX90A:TG_SPLIT: 0
	.section	.text._ZN7rocprim17ROCPRIM_400000_NS6detail17trampoline_kernelINS0_14default_configENS1_35radix_sort_onesweep_config_selectorIilEEZZNS1_29radix_sort_onesweep_iterationIS3_Lb0EPiS7_N6thrust23THRUST_200600_302600_NS10device_ptrIlEESB_jNS0_19identity_decomposerENS1_16block_id_wrapperIjLb1EEEEE10hipError_tT1_PNSt15iterator_traitsISG_E10value_typeET2_T3_PNSH_ISM_E10value_typeET4_T5_PSR_SS_PNS1_23onesweep_lookback_stateEbbT6_jjT7_P12ihipStream_tbENKUlT_T0_SG_SL_E_clIS7_S7_PlSB_EEDaSZ_S10_SG_SL_EUlSZ_E_NS1_11comp_targetILNS1_3genE10ELNS1_11target_archE1201ELNS1_3gpuE5ELNS1_3repE0EEENS1_47radix_sort_onesweep_sort_config_static_selectorELNS0_4arch9wavefront6targetE1EEEvSG_,"axG",@progbits,_ZN7rocprim17ROCPRIM_400000_NS6detail17trampoline_kernelINS0_14default_configENS1_35radix_sort_onesweep_config_selectorIilEEZZNS1_29radix_sort_onesweep_iterationIS3_Lb0EPiS7_N6thrust23THRUST_200600_302600_NS10device_ptrIlEESB_jNS0_19identity_decomposerENS1_16block_id_wrapperIjLb1EEEEE10hipError_tT1_PNSt15iterator_traitsISG_E10value_typeET2_T3_PNSH_ISM_E10value_typeET4_T5_PSR_SS_PNS1_23onesweep_lookback_stateEbbT6_jjT7_P12ihipStream_tbENKUlT_T0_SG_SL_E_clIS7_S7_PlSB_EEDaSZ_S10_SG_SL_EUlSZ_E_NS1_11comp_targetILNS1_3genE10ELNS1_11target_archE1201ELNS1_3gpuE5ELNS1_3repE0EEENS1_47radix_sort_onesweep_sort_config_static_selectorELNS0_4arch9wavefront6targetE1EEEvSG_,comdat
	.protected	_ZN7rocprim17ROCPRIM_400000_NS6detail17trampoline_kernelINS0_14default_configENS1_35radix_sort_onesweep_config_selectorIilEEZZNS1_29radix_sort_onesweep_iterationIS3_Lb0EPiS7_N6thrust23THRUST_200600_302600_NS10device_ptrIlEESB_jNS0_19identity_decomposerENS1_16block_id_wrapperIjLb1EEEEE10hipError_tT1_PNSt15iterator_traitsISG_E10value_typeET2_T3_PNSH_ISM_E10value_typeET4_T5_PSR_SS_PNS1_23onesweep_lookback_stateEbbT6_jjT7_P12ihipStream_tbENKUlT_T0_SG_SL_E_clIS7_S7_PlSB_EEDaSZ_S10_SG_SL_EUlSZ_E_NS1_11comp_targetILNS1_3genE10ELNS1_11target_archE1201ELNS1_3gpuE5ELNS1_3repE0EEENS1_47radix_sort_onesweep_sort_config_static_selectorELNS0_4arch9wavefront6targetE1EEEvSG_ ; -- Begin function _ZN7rocprim17ROCPRIM_400000_NS6detail17trampoline_kernelINS0_14default_configENS1_35radix_sort_onesweep_config_selectorIilEEZZNS1_29radix_sort_onesweep_iterationIS3_Lb0EPiS7_N6thrust23THRUST_200600_302600_NS10device_ptrIlEESB_jNS0_19identity_decomposerENS1_16block_id_wrapperIjLb1EEEEE10hipError_tT1_PNSt15iterator_traitsISG_E10value_typeET2_T3_PNSH_ISM_E10value_typeET4_T5_PSR_SS_PNS1_23onesweep_lookback_stateEbbT6_jjT7_P12ihipStream_tbENKUlT_T0_SG_SL_E_clIS7_S7_PlSB_EEDaSZ_S10_SG_SL_EUlSZ_E_NS1_11comp_targetILNS1_3genE10ELNS1_11target_archE1201ELNS1_3gpuE5ELNS1_3repE0EEENS1_47radix_sort_onesweep_sort_config_static_selectorELNS0_4arch9wavefront6targetE1EEEvSG_
	.globl	_ZN7rocprim17ROCPRIM_400000_NS6detail17trampoline_kernelINS0_14default_configENS1_35radix_sort_onesweep_config_selectorIilEEZZNS1_29radix_sort_onesweep_iterationIS3_Lb0EPiS7_N6thrust23THRUST_200600_302600_NS10device_ptrIlEESB_jNS0_19identity_decomposerENS1_16block_id_wrapperIjLb1EEEEE10hipError_tT1_PNSt15iterator_traitsISG_E10value_typeET2_T3_PNSH_ISM_E10value_typeET4_T5_PSR_SS_PNS1_23onesweep_lookback_stateEbbT6_jjT7_P12ihipStream_tbENKUlT_T0_SG_SL_E_clIS7_S7_PlSB_EEDaSZ_S10_SG_SL_EUlSZ_E_NS1_11comp_targetILNS1_3genE10ELNS1_11target_archE1201ELNS1_3gpuE5ELNS1_3repE0EEENS1_47radix_sort_onesweep_sort_config_static_selectorELNS0_4arch9wavefront6targetE1EEEvSG_
	.p2align	8
	.type	_ZN7rocprim17ROCPRIM_400000_NS6detail17trampoline_kernelINS0_14default_configENS1_35radix_sort_onesweep_config_selectorIilEEZZNS1_29radix_sort_onesweep_iterationIS3_Lb0EPiS7_N6thrust23THRUST_200600_302600_NS10device_ptrIlEESB_jNS0_19identity_decomposerENS1_16block_id_wrapperIjLb1EEEEE10hipError_tT1_PNSt15iterator_traitsISG_E10value_typeET2_T3_PNSH_ISM_E10value_typeET4_T5_PSR_SS_PNS1_23onesweep_lookback_stateEbbT6_jjT7_P12ihipStream_tbENKUlT_T0_SG_SL_E_clIS7_S7_PlSB_EEDaSZ_S10_SG_SL_EUlSZ_E_NS1_11comp_targetILNS1_3genE10ELNS1_11target_archE1201ELNS1_3gpuE5ELNS1_3repE0EEENS1_47radix_sort_onesweep_sort_config_static_selectorELNS0_4arch9wavefront6targetE1EEEvSG_,@function
_ZN7rocprim17ROCPRIM_400000_NS6detail17trampoline_kernelINS0_14default_configENS1_35radix_sort_onesweep_config_selectorIilEEZZNS1_29radix_sort_onesweep_iterationIS3_Lb0EPiS7_N6thrust23THRUST_200600_302600_NS10device_ptrIlEESB_jNS0_19identity_decomposerENS1_16block_id_wrapperIjLb1EEEEE10hipError_tT1_PNSt15iterator_traitsISG_E10value_typeET2_T3_PNSH_ISM_E10value_typeET4_T5_PSR_SS_PNS1_23onesweep_lookback_stateEbbT6_jjT7_P12ihipStream_tbENKUlT_T0_SG_SL_E_clIS7_S7_PlSB_EEDaSZ_S10_SG_SL_EUlSZ_E_NS1_11comp_targetILNS1_3genE10ELNS1_11target_archE1201ELNS1_3gpuE5ELNS1_3repE0EEENS1_47radix_sort_onesweep_sort_config_static_selectorELNS0_4arch9wavefront6targetE1EEEvSG_: ; @_ZN7rocprim17ROCPRIM_400000_NS6detail17trampoline_kernelINS0_14default_configENS1_35radix_sort_onesweep_config_selectorIilEEZZNS1_29radix_sort_onesweep_iterationIS3_Lb0EPiS7_N6thrust23THRUST_200600_302600_NS10device_ptrIlEESB_jNS0_19identity_decomposerENS1_16block_id_wrapperIjLb1EEEEE10hipError_tT1_PNSt15iterator_traitsISG_E10value_typeET2_T3_PNSH_ISM_E10value_typeET4_T5_PSR_SS_PNS1_23onesweep_lookback_stateEbbT6_jjT7_P12ihipStream_tbENKUlT_T0_SG_SL_E_clIS7_S7_PlSB_EEDaSZ_S10_SG_SL_EUlSZ_E_NS1_11comp_targetILNS1_3genE10ELNS1_11target_archE1201ELNS1_3gpuE5ELNS1_3repE0EEENS1_47radix_sort_onesweep_sort_config_static_selectorELNS0_4arch9wavefront6targetE1EEEvSG_
; %bb.0:
	.section	.rodata,"a",@progbits
	.p2align	6, 0x0
	.amdhsa_kernel _ZN7rocprim17ROCPRIM_400000_NS6detail17trampoline_kernelINS0_14default_configENS1_35radix_sort_onesweep_config_selectorIilEEZZNS1_29radix_sort_onesweep_iterationIS3_Lb0EPiS7_N6thrust23THRUST_200600_302600_NS10device_ptrIlEESB_jNS0_19identity_decomposerENS1_16block_id_wrapperIjLb1EEEEE10hipError_tT1_PNSt15iterator_traitsISG_E10value_typeET2_T3_PNSH_ISM_E10value_typeET4_T5_PSR_SS_PNS1_23onesweep_lookback_stateEbbT6_jjT7_P12ihipStream_tbENKUlT_T0_SG_SL_E_clIS7_S7_PlSB_EEDaSZ_S10_SG_SL_EUlSZ_E_NS1_11comp_targetILNS1_3genE10ELNS1_11target_archE1201ELNS1_3gpuE5ELNS1_3repE0EEENS1_47radix_sort_onesweep_sort_config_static_selectorELNS0_4arch9wavefront6targetE1EEEvSG_
		.amdhsa_group_segment_fixed_size 0
		.amdhsa_private_segment_fixed_size 0
		.amdhsa_kernarg_size 88
		.amdhsa_user_sgpr_count 6
		.amdhsa_user_sgpr_private_segment_buffer 1
		.amdhsa_user_sgpr_dispatch_ptr 0
		.amdhsa_user_sgpr_queue_ptr 0
		.amdhsa_user_sgpr_kernarg_segment_ptr 1
		.amdhsa_user_sgpr_dispatch_id 0
		.amdhsa_user_sgpr_flat_scratch_init 0
		.amdhsa_user_sgpr_kernarg_preload_length 0
		.amdhsa_user_sgpr_kernarg_preload_offset 0
		.amdhsa_user_sgpr_private_segment_size 0
		.amdhsa_uses_dynamic_stack 0
		.amdhsa_system_sgpr_private_segment_wavefront_offset 0
		.amdhsa_system_sgpr_workgroup_id_x 1
		.amdhsa_system_sgpr_workgroup_id_y 0
		.amdhsa_system_sgpr_workgroup_id_z 0
		.amdhsa_system_sgpr_workgroup_info 0
		.amdhsa_system_vgpr_workitem_id 0
		.amdhsa_next_free_vgpr 1
		.amdhsa_next_free_sgpr 0
		.amdhsa_accum_offset 4
		.amdhsa_reserve_vcc 0
		.amdhsa_reserve_flat_scratch 0
		.amdhsa_float_round_mode_32 0
		.amdhsa_float_round_mode_16_64 0
		.amdhsa_float_denorm_mode_32 3
		.amdhsa_float_denorm_mode_16_64 3
		.amdhsa_dx10_clamp 1
		.amdhsa_ieee_mode 1
		.amdhsa_fp16_overflow 0
		.amdhsa_tg_split 0
		.amdhsa_exception_fp_ieee_invalid_op 0
		.amdhsa_exception_fp_denorm_src 0
		.amdhsa_exception_fp_ieee_div_zero 0
		.amdhsa_exception_fp_ieee_overflow 0
		.amdhsa_exception_fp_ieee_underflow 0
		.amdhsa_exception_fp_ieee_inexact 0
		.amdhsa_exception_int_div_zero 0
	.end_amdhsa_kernel
	.section	.text._ZN7rocprim17ROCPRIM_400000_NS6detail17trampoline_kernelINS0_14default_configENS1_35radix_sort_onesweep_config_selectorIilEEZZNS1_29radix_sort_onesweep_iterationIS3_Lb0EPiS7_N6thrust23THRUST_200600_302600_NS10device_ptrIlEESB_jNS0_19identity_decomposerENS1_16block_id_wrapperIjLb1EEEEE10hipError_tT1_PNSt15iterator_traitsISG_E10value_typeET2_T3_PNSH_ISM_E10value_typeET4_T5_PSR_SS_PNS1_23onesweep_lookback_stateEbbT6_jjT7_P12ihipStream_tbENKUlT_T0_SG_SL_E_clIS7_S7_PlSB_EEDaSZ_S10_SG_SL_EUlSZ_E_NS1_11comp_targetILNS1_3genE10ELNS1_11target_archE1201ELNS1_3gpuE5ELNS1_3repE0EEENS1_47radix_sort_onesweep_sort_config_static_selectorELNS0_4arch9wavefront6targetE1EEEvSG_,"axG",@progbits,_ZN7rocprim17ROCPRIM_400000_NS6detail17trampoline_kernelINS0_14default_configENS1_35radix_sort_onesweep_config_selectorIilEEZZNS1_29radix_sort_onesweep_iterationIS3_Lb0EPiS7_N6thrust23THRUST_200600_302600_NS10device_ptrIlEESB_jNS0_19identity_decomposerENS1_16block_id_wrapperIjLb1EEEEE10hipError_tT1_PNSt15iterator_traitsISG_E10value_typeET2_T3_PNSH_ISM_E10value_typeET4_T5_PSR_SS_PNS1_23onesweep_lookback_stateEbbT6_jjT7_P12ihipStream_tbENKUlT_T0_SG_SL_E_clIS7_S7_PlSB_EEDaSZ_S10_SG_SL_EUlSZ_E_NS1_11comp_targetILNS1_3genE10ELNS1_11target_archE1201ELNS1_3gpuE5ELNS1_3repE0EEENS1_47radix_sort_onesweep_sort_config_static_selectorELNS0_4arch9wavefront6targetE1EEEvSG_,comdat
.Lfunc_end890:
	.size	_ZN7rocprim17ROCPRIM_400000_NS6detail17trampoline_kernelINS0_14default_configENS1_35radix_sort_onesweep_config_selectorIilEEZZNS1_29radix_sort_onesweep_iterationIS3_Lb0EPiS7_N6thrust23THRUST_200600_302600_NS10device_ptrIlEESB_jNS0_19identity_decomposerENS1_16block_id_wrapperIjLb1EEEEE10hipError_tT1_PNSt15iterator_traitsISG_E10value_typeET2_T3_PNSH_ISM_E10value_typeET4_T5_PSR_SS_PNS1_23onesweep_lookback_stateEbbT6_jjT7_P12ihipStream_tbENKUlT_T0_SG_SL_E_clIS7_S7_PlSB_EEDaSZ_S10_SG_SL_EUlSZ_E_NS1_11comp_targetILNS1_3genE10ELNS1_11target_archE1201ELNS1_3gpuE5ELNS1_3repE0EEENS1_47radix_sort_onesweep_sort_config_static_selectorELNS0_4arch9wavefront6targetE1EEEvSG_, .Lfunc_end890-_ZN7rocprim17ROCPRIM_400000_NS6detail17trampoline_kernelINS0_14default_configENS1_35radix_sort_onesweep_config_selectorIilEEZZNS1_29radix_sort_onesweep_iterationIS3_Lb0EPiS7_N6thrust23THRUST_200600_302600_NS10device_ptrIlEESB_jNS0_19identity_decomposerENS1_16block_id_wrapperIjLb1EEEEE10hipError_tT1_PNSt15iterator_traitsISG_E10value_typeET2_T3_PNSH_ISM_E10value_typeET4_T5_PSR_SS_PNS1_23onesweep_lookback_stateEbbT6_jjT7_P12ihipStream_tbENKUlT_T0_SG_SL_E_clIS7_S7_PlSB_EEDaSZ_S10_SG_SL_EUlSZ_E_NS1_11comp_targetILNS1_3genE10ELNS1_11target_archE1201ELNS1_3gpuE5ELNS1_3repE0EEENS1_47radix_sort_onesweep_sort_config_static_selectorELNS0_4arch9wavefront6targetE1EEEvSG_
                                        ; -- End function
	.section	.AMDGPU.csdata,"",@progbits
; Kernel info:
; codeLenInByte = 0
; NumSgprs: 4
; NumVgprs: 0
; NumAgprs: 0
; TotalNumVgprs: 0
; ScratchSize: 0
; MemoryBound: 0
; FloatMode: 240
; IeeeMode: 1
; LDSByteSize: 0 bytes/workgroup (compile time only)
; SGPRBlocks: 0
; VGPRBlocks: 0
; NumSGPRsForWavesPerEU: 4
; NumVGPRsForWavesPerEU: 1
; AccumOffset: 4
; Occupancy: 8
; WaveLimiterHint : 0
; COMPUTE_PGM_RSRC2:SCRATCH_EN: 0
; COMPUTE_PGM_RSRC2:USER_SGPR: 6
; COMPUTE_PGM_RSRC2:TRAP_HANDLER: 0
; COMPUTE_PGM_RSRC2:TGID_X_EN: 1
; COMPUTE_PGM_RSRC2:TGID_Y_EN: 0
; COMPUTE_PGM_RSRC2:TGID_Z_EN: 0
; COMPUTE_PGM_RSRC2:TIDIG_COMP_CNT: 0
; COMPUTE_PGM_RSRC3_GFX90A:ACCUM_OFFSET: 0
; COMPUTE_PGM_RSRC3_GFX90A:TG_SPLIT: 0
	.section	.text._ZN7rocprim17ROCPRIM_400000_NS6detail17trampoline_kernelINS0_14default_configENS1_35radix_sort_onesweep_config_selectorIilEEZZNS1_29radix_sort_onesweep_iterationIS3_Lb0EPiS7_N6thrust23THRUST_200600_302600_NS10device_ptrIlEESB_jNS0_19identity_decomposerENS1_16block_id_wrapperIjLb1EEEEE10hipError_tT1_PNSt15iterator_traitsISG_E10value_typeET2_T3_PNSH_ISM_E10value_typeET4_T5_PSR_SS_PNS1_23onesweep_lookback_stateEbbT6_jjT7_P12ihipStream_tbENKUlT_T0_SG_SL_E_clIS7_S7_PlSB_EEDaSZ_S10_SG_SL_EUlSZ_E_NS1_11comp_targetILNS1_3genE9ELNS1_11target_archE1100ELNS1_3gpuE3ELNS1_3repE0EEENS1_47radix_sort_onesweep_sort_config_static_selectorELNS0_4arch9wavefront6targetE1EEEvSG_,"axG",@progbits,_ZN7rocprim17ROCPRIM_400000_NS6detail17trampoline_kernelINS0_14default_configENS1_35radix_sort_onesweep_config_selectorIilEEZZNS1_29radix_sort_onesweep_iterationIS3_Lb0EPiS7_N6thrust23THRUST_200600_302600_NS10device_ptrIlEESB_jNS0_19identity_decomposerENS1_16block_id_wrapperIjLb1EEEEE10hipError_tT1_PNSt15iterator_traitsISG_E10value_typeET2_T3_PNSH_ISM_E10value_typeET4_T5_PSR_SS_PNS1_23onesweep_lookback_stateEbbT6_jjT7_P12ihipStream_tbENKUlT_T0_SG_SL_E_clIS7_S7_PlSB_EEDaSZ_S10_SG_SL_EUlSZ_E_NS1_11comp_targetILNS1_3genE9ELNS1_11target_archE1100ELNS1_3gpuE3ELNS1_3repE0EEENS1_47radix_sort_onesweep_sort_config_static_selectorELNS0_4arch9wavefront6targetE1EEEvSG_,comdat
	.protected	_ZN7rocprim17ROCPRIM_400000_NS6detail17trampoline_kernelINS0_14default_configENS1_35radix_sort_onesweep_config_selectorIilEEZZNS1_29radix_sort_onesweep_iterationIS3_Lb0EPiS7_N6thrust23THRUST_200600_302600_NS10device_ptrIlEESB_jNS0_19identity_decomposerENS1_16block_id_wrapperIjLb1EEEEE10hipError_tT1_PNSt15iterator_traitsISG_E10value_typeET2_T3_PNSH_ISM_E10value_typeET4_T5_PSR_SS_PNS1_23onesweep_lookback_stateEbbT6_jjT7_P12ihipStream_tbENKUlT_T0_SG_SL_E_clIS7_S7_PlSB_EEDaSZ_S10_SG_SL_EUlSZ_E_NS1_11comp_targetILNS1_3genE9ELNS1_11target_archE1100ELNS1_3gpuE3ELNS1_3repE0EEENS1_47radix_sort_onesweep_sort_config_static_selectorELNS0_4arch9wavefront6targetE1EEEvSG_ ; -- Begin function _ZN7rocprim17ROCPRIM_400000_NS6detail17trampoline_kernelINS0_14default_configENS1_35radix_sort_onesweep_config_selectorIilEEZZNS1_29radix_sort_onesweep_iterationIS3_Lb0EPiS7_N6thrust23THRUST_200600_302600_NS10device_ptrIlEESB_jNS0_19identity_decomposerENS1_16block_id_wrapperIjLb1EEEEE10hipError_tT1_PNSt15iterator_traitsISG_E10value_typeET2_T3_PNSH_ISM_E10value_typeET4_T5_PSR_SS_PNS1_23onesweep_lookback_stateEbbT6_jjT7_P12ihipStream_tbENKUlT_T0_SG_SL_E_clIS7_S7_PlSB_EEDaSZ_S10_SG_SL_EUlSZ_E_NS1_11comp_targetILNS1_3genE9ELNS1_11target_archE1100ELNS1_3gpuE3ELNS1_3repE0EEENS1_47radix_sort_onesweep_sort_config_static_selectorELNS0_4arch9wavefront6targetE1EEEvSG_
	.globl	_ZN7rocprim17ROCPRIM_400000_NS6detail17trampoline_kernelINS0_14default_configENS1_35radix_sort_onesweep_config_selectorIilEEZZNS1_29radix_sort_onesweep_iterationIS3_Lb0EPiS7_N6thrust23THRUST_200600_302600_NS10device_ptrIlEESB_jNS0_19identity_decomposerENS1_16block_id_wrapperIjLb1EEEEE10hipError_tT1_PNSt15iterator_traitsISG_E10value_typeET2_T3_PNSH_ISM_E10value_typeET4_T5_PSR_SS_PNS1_23onesweep_lookback_stateEbbT6_jjT7_P12ihipStream_tbENKUlT_T0_SG_SL_E_clIS7_S7_PlSB_EEDaSZ_S10_SG_SL_EUlSZ_E_NS1_11comp_targetILNS1_3genE9ELNS1_11target_archE1100ELNS1_3gpuE3ELNS1_3repE0EEENS1_47radix_sort_onesweep_sort_config_static_selectorELNS0_4arch9wavefront6targetE1EEEvSG_
	.p2align	8
	.type	_ZN7rocprim17ROCPRIM_400000_NS6detail17trampoline_kernelINS0_14default_configENS1_35radix_sort_onesweep_config_selectorIilEEZZNS1_29radix_sort_onesweep_iterationIS3_Lb0EPiS7_N6thrust23THRUST_200600_302600_NS10device_ptrIlEESB_jNS0_19identity_decomposerENS1_16block_id_wrapperIjLb1EEEEE10hipError_tT1_PNSt15iterator_traitsISG_E10value_typeET2_T3_PNSH_ISM_E10value_typeET4_T5_PSR_SS_PNS1_23onesweep_lookback_stateEbbT6_jjT7_P12ihipStream_tbENKUlT_T0_SG_SL_E_clIS7_S7_PlSB_EEDaSZ_S10_SG_SL_EUlSZ_E_NS1_11comp_targetILNS1_3genE9ELNS1_11target_archE1100ELNS1_3gpuE3ELNS1_3repE0EEENS1_47radix_sort_onesweep_sort_config_static_selectorELNS0_4arch9wavefront6targetE1EEEvSG_,@function
_ZN7rocprim17ROCPRIM_400000_NS6detail17trampoline_kernelINS0_14default_configENS1_35radix_sort_onesweep_config_selectorIilEEZZNS1_29radix_sort_onesweep_iterationIS3_Lb0EPiS7_N6thrust23THRUST_200600_302600_NS10device_ptrIlEESB_jNS0_19identity_decomposerENS1_16block_id_wrapperIjLb1EEEEE10hipError_tT1_PNSt15iterator_traitsISG_E10value_typeET2_T3_PNSH_ISM_E10value_typeET4_T5_PSR_SS_PNS1_23onesweep_lookback_stateEbbT6_jjT7_P12ihipStream_tbENKUlT_T0_SG_SL_E_clIS7_S7_PlSB_EEDaSZ_S10_SG_SL_EUlSZ_E_NS1_11comp_targetILNS1_3genE9ELNS1_11target_archE1100ELNS1_3gpuE3ELNS1_3repE0EEENS1_47radix_sort_onesweep_sort_config_static_selectorELNS0_4arch9wavefront6targetE1EEEvSG_: ; @_ZN7rocprim17ROCPRIM_400000_NS6detail17trampoline_kernelINS0_14default_configENS1_35radix_sort_onesweep_config_selectorIilEEZZNS1_29radix_sort_onesweep_iterationIS3_Lb0EPiS7_N6thrust23THRUST_200600_302600_NS10device_ptrIlEESB_jNS0_19identity_decomposerENS1_16block_id_wrapperIjLb1EEEEE10hipError_tT1_PNSt15iterator_traitsISG_E10value_typeET2_T3_PNSH_ISM_E10value_typeET4_T5_PSR_SS_PNS1_23onesweep_lookback_stateEbbT6_jjT7_P12ihipStream_tbENKUlT_T0_SG_SL_E_clIS7_S7_PlSB_EEDaSZ_S10_SG_SL_EUlSZ_E_NS1_11comp_targetILNS1_3genE9ELNS1_11target_archE1100ELNS1_3gpuE3ELNS1_3repE0EEENS1_47radix_sort_onesweep_sort_config_static_selectorELNS0_4arch9wavefront6targetE1EEEvSG_
; %bb.0:
	.section	.rodata,"a",@progbits
	.p2align	6, 0x0
	.amdhsa_kernel _ZN7rocprim17ROCPRIM_400000_NS6detail17trampoline_kernelINS0_14default_configENS1_35radix_sort_onesweep_config_selectorIilEEZZNS1_29radix_sort_onesweep_iterationIS3_Lb0EPiS7_N6thrust23THRUST_200600_302600_NS10device_ptrIlEESB_jNS0_19identity_decomposerENS1_16block_id_wrapperIjLb1EEEEE10hipError_tT1_PNSt15iterator_traitsISG_E10value_typeET2_T3_PNSH_ISM_E10value_typeET4_T5_PSR_SS_PNS1_23onesweep_lookback_stateEbbT6_jjT7_P12ihipStream_tbENKUlT_T0_SG_SL_E_clIS7_S7_PlSB_EEDaSZ_S10_SG_SL_EUlSZ_E_NS1_11comp_targetILNS1_3genE9ELNS1_11target_archE1100ELNS1_3gpuE3ELNS1_3repE0EEENS1_47radix_sort_onesweep_sort_config_static_selectorELNS0_4arch9wavefront6targetE1EEEvSG_
		.amdhsa_group_segment_fixed_size 0
		.amdhsa_private_segment_fixed_size 0
		.amdhsa_kernarg_size 88
		.amdhsa_user_sgpr_count 6
		.amdhsa_user_sgpr_private_segment_buffer 1
		.amdhsa_user_sgpr_dispatch_ptr 0
		.amdhsa_user_sgpr_queue_ptr 0
		.amdhsa_user_sgpr_kernarg_segment_ptr 1
		.amdhsa_user_sgpr_dispatch_id 0
		.amdhsa_user_sgpr_flat_scratch_init 0
		.amdhsa_user_sgpr_kernarg_preload_length 0
		.amdhsa_user_sgpr_kernarg_preload_offset 0
		.amdhsa_user_sgpr_private_segment_size 0
		.amdhsa_uses_dynamic_stack 0
		.amdhsa_system_sgpr_private_segment_wavefront_offset 0
		.amdhsa_system_sgpr_workgroup_id_x 1
		.amdhsa_system_sgpr_workgroup_id_y 0
		.amdhsa_system_sgpr_workgroup_id_z 0
		.amdhsa_system_sgpr_workgroup_info 0
		.amdhsa_system_vgpr_workitem_id 0
		.amdhsa_next_free_vgpr 1
		.amdhsa_next_free_sgpr 0
		.amdhsa_accum_offset 4
		.amdhsa_reserve_vcc 0
		.amdhsa_reserve_flat_scratch 0
		.amdhsa_float_round_mode_32 0
		.amdhsa_float_round_mode_16_64 0
		.amdhsa_float_denorm_mode_32 3
		.amdhsa_float_denorm_mode_16_64 3
		.amdhsa_dx10_clamp 1
		.amdhsa_ieee_mode 1
		.amdhsa_fp16_overflow 0
		.amdhsa_tg_split 0
		.amdhsa_exception_fp_ieee_invalid_op 0
		.amdhsa_exception_fp_denorm_src 0
		.amdhsa_exception_fp_ieee_div_zero 0
		.amdhsa_exception_fp_ieee_overflow 0
		.amdhsa_exception_fp_ieee_underflow 0
		.amdhsa_exception_fp_ieee_inexact 0
		.amdhsa_exception_int_div_zero 0
	.end_amdhsa_kernel
	.section	.text._ZN7rocprim17ROCPRIM_400000_NS6detail17trampoline_kernelINS0_14default_configENS1_35radix_sort_onesweep_config_selectorIilEEZZNS1_29radix_sort_onesweep_iterationIS3_Lb0EPiS7_N6thrust23THRUST_200600_302600_NS10device_ptrIlEESB_jNS0_19identity_decomposerENS1_16block_id_wrapperIjLb1EEEEE10hipError_tT1_PNSt15iterator_traitsISG_E10value_typeET2_T3_PNSH_ISM_E10value_typeET4_T5_PSR_SS_PNS1_23onesweep_lookback_stateEbbT6_jjT7_P12ihipStream_tbENKUlT_T0_SG_SL_E_clIS7_S7_PlSB_EEDaSZ_S10_SG_SL_EUlSZ_E_NS1_11comp_targetILNS1_3genE9ELNS1_11target_archE1100ELNS1_3gpuE3ELNS1_3repE0EEENS1_47radix_sort_onesweep_sort_config_static_selectorELNS0_4arch9wavefront6targetE1EEEvSG_,"axG",@progbits,_ZN7rocprim17ROCPRIM_400000_NS6detail17trampoline_kernelINS0_14default_configENS1_35radix_sort_onesweep_config_selectorIilEEZZNS1_29radix_sort_onesweep_iterationIS3_Lb0EPiS7_N6thrust23THRUST_200600_302600_NS10device_ptrIlEESB_jNS0_19identity_decomposerENS1_16block_id_wrapperIjLb1EEEEE10hipError_tT1_PNSt15iterator_traitsISG_E10value_typeET2_T3_PNSH_ISM_E10value_typeET4_T5_PSR_SS_PNS1_23onesweep_lookback_stateEbbT6_jjT7_P12ihipStream_tbENKUlT_T0_SG_SL_E_clIS7_S7_PlSB_EEDaSZ_S10_SG_SL_EUlSZ_E_NS1_11comp_targetILNS1_3genE9ELNS1_11target_archE1100ELNS1_3gpuE3ELNS1_3repE0EEENS1_47radix_sort_onesweep_sort_config_static_selectorELNS0_4arch9wavefront6targetE1EEEvSG_,comdat
.Lfunc_end891:
	.size	_ZN7rocprim17ROCPRIM_400000_NS6detail17trampoline_kernelINS0_14default_configENS1_35radix_sort_onesweep_config_selectorIilEEZZNS1_29radix_sort_onesweep_iterationIS3_Lb0EPiS7_N6thrust23THRUST_200600_302600_NS10device_ptrIlEESB_jNS0_19identity_decomposerENS1_16block_id_wrapperIjLb1EEEEE10hipError_tT1_PNSt15iterator_traitsISG_E10value_typeET2_T3_PNSH_ISM_E10value_typeET4_T5_PSR_SS_PNS1_23onesweep_lookback_stateEbbT6_jjT7_P12ihipStream_tbENKUlT_T0_SG_SL_E_clIS7_S7_PlSB_EEDaSZ_S10_SG_SL_EUlSZ_E_NS1_11comp_targetILNS1_3genE9ELNS1_11target_archE1100ELNS1_3gpuE3ELNS1_3repE0EEENS1_47radix_sort_onesweep_sort_config_static_selectorELNS0_4arch9wavefront6targetE1EEEvSG_, .Lfunc_end891-_ZN7rocprim17ROCPRIM_400000_NS6detail17trampoline_kernelINS0_14default_configENS1_35radix_sort_onesweep_config_selectorIilEEZZNS1_29radix_sort_onesweep_iterationIS3_Lb0EPiS7_N6thrust23THRUST_200600_302600_NS10device_ptrIlEESB_jNS0_19identity_decomposerENS1_16block_id_wrapperIjLb1EEEEE10hipError_tT1_PNSt15iterator_traitsISG_E10value_typeET2_T3_PNSH_ISM_E10value_typeET4_T5_PSR_SS_PNS1_23onesweep_lookback_stateEbbT6_jjT7_P12ihipStream_tbENKUlT_T0_SG_SL_E_clIS7_S7_PlSB_EEDaSZ_S10_SG_SL_EUlSZ_E_NS1_11comp_targetILNS1_3genE9ELNS1_11target_archE1100ELNS1_3gpuE3ELNS1_3repE0EEENS1_47radix_sort_onesweep_sort_config_static_selectorELNS0_4arch9wavefront6targetE1EEEvSG_
                                        ; -- End function
	.section	.AMDGPU.csdata,"",@progbits
; Kernel info:
; codeLenInByte = 0
; NumSgprs: 4
; NumVgprs: 0
; NumAgprs: 0
; TotalNumVgprs: 0
; ScratchSize: 0
; MemoryBound: 0
; FloatMode: 240
; IeeeMode: 1
; LDSByteSize: 0 bytes/workgroup (compile time only)
; SGPRBlocks: 0
; VGPRBlocks: 0
; NumSGPRsForWavesPerEU: 4
; NumVGPRsForWavesPerEU: 1
; AccumOffset: 4
; Occupancy: 8
; WaveLimiterHint : 0
; COMPUTE_PGM_RSRC2:SCRATCH_EN: 0
; COMPUTE_PGM_RSRC2:USER_SGPR: 6
; COMPUTE_PGM_RSRC2:TRAP_HANDLER: 0
; COMPUTE_PGM_RSRC2:TGID_X_EN: 1
; COMPUTE_PGM_RSRC2:TGID_Y_EN: 0
; COMPUTE_PGM_RSRC2:TGID_Z_EN: 0
; COMPUTE_PGM_RSRC2:TIDIG_COMP_CNT: 0
; COMPUTE_PGM_RSRC3_GFX90A:ACCUM_OFFSET: 0
; COMPUTE_PGM_RSRC3_GFX90A:TG_SPLIT: 0
	.section	.text._ZN7rocprim17ROCPRIM_400000_NS6detail17trampoline_kernelINS0_14default_configENS1_35radix_sort_onesweep_config_selectorIilEEZZNS1_29radix_sort_onesweep_iterationIS3_Lb0EPiS7_N6thrust23THRUST_200600_302600_NS10device_ptrIlEESB_jNS0_19identity_decomposerENS1_16block_id_wrapperIjLb1EEEEE10hipError_tT1_PNSt15iterator_traitsISG_E10value_typeET2_T3_PNSH_ISM_E10value_typeET4_T5_PSR_SS_PNS1_23onesweep_lookback_stateEbbT6_jjT7_P12ihipStream_tbENKUlT_T0_SG_SL_E_clIS7_S7_PlSB_EEDaSZ_S10_SG_SL_EUlSZ_E_NS1_11comp_targetILNS1_3genE8ELNS1_11target_archE1030ELNS1_3gpuE2ELNS1_3repE0EEENS1_47radix_sort_onesweep_sort_config_static_selectorELNS0_4arch9wavefront6targetE1EEEvSG_,"axG",@progbits,_ZN7rocprim17ROCPRIM_400000_NS6detail17trampoline_kernelINS0_14default_configENS1_35radix_sort_onesweep_config_selectorIilEEZZNS1_29radix_sort_onesweep_iterationIS3_Lb0EPiS7_N6thrust23THRUST_200600_302600_NS10device_ptrIlEESB_jNS0_19identity_decomposerENS1_16block_id_wrapperIjLb1EEEEE10hipError_tT1_PNSt15iterator_traitsISG_E10value_typeET2_T3_PNSH_ISM_E10value_typeET4_T5_PSR_SS_PNS1_23onesweep_lookback_stateEbbT6_jjT7_P12ihipStream_tbENKUlT_T0_SG_SL_E_clIS7_S7_PlSB_EEDaSZ_S10_SG_SL_EUlSZ_E_NS1_11comp_targetILNS1_3genE8ELNS1_11target_archE1030ELNS1_3gpuE2ELNS1_3repE0EEENS1_47radix_sort_onesweep_sort_config_static_selectorELNS0_4arch9wavefront6targetE1EEEvSG_,comdat
	.protected	_ZN7rocprim17ROCPRIM_400000_NS6detail17trampoline_kernelINS0_14default_configENS1_35radix_sort_onesweep_config_selectorIilEEZZNS1_29radix_sort_onesweep_iterationIS3_Lb0EPiS7_N6thrust23THRUST_200600_302600_NS10device_ptrIlEESB_jNS0_19identity_decomposerENS1_16block_id_wrapperIjLb1EEEEE10hipError_tT1_PNSt15iterator_traitsISG_E10value_typeET2_T3_PNSH_ISM_E10value_typeET4_T5_PSR_SS_PNS1_23onesweep_lookback_stateEbbT6_jjT7_P12ihipStream_tbENKUlT_T0_SG_SL_E_clIS7_S7_PlSB_EEDaSZ_S10_SG_SL_EUlSZ_E_NS1_11comp_targetILNS1_3genE8ELNS1_11target_archE1030ELNS1_3gpuE2ELNS1_3repE0EEENS1_47radix_sort_onesweep_sort_config_static_selectorELNS0_4arch9wavefront6targetE1EEEvSG_ ; -- Begin function _ZN7rocprim17ROCPRIM_400000_NS6detail17trampoline_kernelINS0_14default_configENS1_35radix_sort_onesweep_config_selectorIilEEZZNS1_29radix_sort_onesweep_iterationIS3_Lb0EPiS7_N6thrust23THRUST_200600_302600_NS10device_ptrIlEESB_jNS0_19identity_decomposerENS1_16block_id_wrapperIjLb1EEEEE10hipError_tT1_PNSt15iterator_traitsISG_E10value_typeET2_T3_PNSH_ISM_E10value_typeET4_T5_PSR_SS_PNS1_23onesweep_lookback_stateEbbT6_jjT7_P12ihipStream_tbENKUlT_T0_SG_SL_E_clIS7_S7_PlSB_EEDaSZ_S10_SG_SL_EUlSZ_E_NS1_11comp_targetILNS1_3genE8ELNS1_11target_archE1030ELNS1_3gpuE2ELNS1_3repE0EEENS1_47radix_sort_onesweep_sort_config_static_selectorELNS0_4arch9wavefront6targetE1EEEvSG_
	.globl	_ZN7rocprim17ROCPRIM_400000_NS6detail17trampoline_kernelINS0_14default_configENS1_35radix_sort_onesweep_config_selectorIilEEZZNS1_29radix_sort_onesweep_iterationIS3_Lb0EPiS7_N6thrust23THRUST_200600_302600_NS10device_ptrIlEESB_jNS0_19identity_decomposerENS1_16block_id_wrapperIjLb1EEEEE10hipError_tT1_PNSt15iterator_traitsISG_E10value_typeET2_T3_PNSH_ISM_E10value_typeET4_T5_PSR_SS_PNS1_23onesweep_lookback_stateEbbT6_jjT7_P12ihipStream_tbENKUlT_T0_SG_SL_E_clIS7_S7_PlSB_EEDaSZ_S10_SG_SL_EUlSZ_E_NS1_11comp_targetILNS1_3genE8ELNS1_11target_archE1030ELNS1_3gpuE2ELNS1_3repE0EEENS1_47radix_sort_onesweep_sort_config_static_selectorELNS0_4arch9wavefront6targetE1EEEvSG_
	.p2align	8
	.type	_ZN7rocprim17ROCPRIM_400000_NS6detail17trampoline_kernelINS0_14default_configENS1_35radix_sort_onesweep_config_selectorIilEEZZNS1_29radix_sort_onesweep_iterationIS3_Lb0EPiS7_N6thrust23THRUST_200600_302600_NS10device_ptrIlEESB_jNS0_19identity_decomposerENS1_16block_id_wrapperIjLb1EEEEE10hipError_tT1_PNSt15iterator_traitsISG_E10value_typeET2_T3_PNSH_ISM_E10value_typeET4_T5_PSR_SS_PNS1_23onesweep_lookback_stateEbbT6_jjT7_P12ihipStream_tbENKUlT_T0_SG_SL_E_clIS7_S7_PlSB_EEDaSZ_S10_SG_SL_EUlSZ_E_NS1_11comp_targetILNS1_3genE8ELNS1_11target_archE1030ELNS1_3gpuE2ELNS1_3repE0EEENS1_47radix_sort_onesweep_sort_config_static_selectorELNS0_4arch9wavefront6targetE1EEEvSG_,@function
_ZN7rocprim17ROCPRIM_400000_NS6detail17trampoline_kernelINS0_14default_configENS1_35radix_sort_onesweep_config_selectorIilEEZZNS1_29radix_sort_onesweep_iterationIS3_Lb0EPiS7_N6thrust23THRUST_200600_302600_NS10device_ptrIlEESB_jNS0_19identity_decomposerENS1_16block_id_wrapperIjLb1EEEEE10hipError_tT1_PNSt15iterator_traitsISG_E10value_typeET2_T3_PNSH_ISM_E10value_typeET4_T5_PSR_SS_PNS1_23onesweep_lookback_stateEbbT6_jjT7_P12ihipStream_tbENKUlT_T0_SG_SL_E_clIS7_S7_PlSB_EEDaSZ_S10_SG_SL_EUlSZ_E_NS1_11comp_targetILNS1_3genE8ELNS1_11target_archE1030ELNS1_3gpuE2ELNS1_3repE0EEENS1_47radix_sort_onesweep_sort_config_static_selectorELNS0_4arch9wavefront6targetE1EEEvSG_: ; @_ZN7rocprim17ROCPRIM_400000_NS6detail17trampoline_kernelINS0_14default_configENS1_35radix_sort_onesweep_config_selectorIilEEZZNS1_29radix_sort_onesweep_iterationIS3_Lb0EPiS7_N6thrust23THRUST_200600_302600_NS10device_ptrIlEESB_jNS0_19identity_decomposerENS1_16block_id_wrapperIjLb1EEEEE10hipError_tT1_PNSt15iterator_traitsISG_E10value_typeET2_T3_PNSH_ISM_E10value_typeET4_T5_PSR_SS_PNS1_23onesweep_lookback_stateEbbT6_jjT7_P12ihipStream_tbENKUlT_T0_SG_SL_E_clIS7_S7_PlSB_EEDaSZ_S10_SG_SL_EUlSZ_E_NS1_11comp_targetILNS1_3genE8ELNS1_11target_archE1030ELNS1_3gpuE2ELNS1_3repE0EEENS1_47radix_sort_onesweep_sort_config_static_selectorELNS0_4arch9wavefront6targetE1EEEvSG_
; %bb.0:
	.section	.rodata,"a",@progbits
	.p2align	6, 0x0
	.amdhsa_kernel _ZN7rocprim17ROCPRIM_400000_NS6detail17trampoline_kernelINS0_14default_configENS1_35radix_sort_onesweep_config_selectorIilEEZZNS1_29radix_sort_onesweep_iterationIS3_Lb0EPiS7_N6thrust23THRUST_200600_302600_NS10device_ptrIlEESB_jNS0_19identity_decomposerENS1_16block_id_wrapperIjLb1EEEEE10hipError_tT1_PNSt15iterator_traitsISG_E10value_typeET2_T3_PNSH_ISM_E10value_typeET4_T5_PSR_SS_PNS1_23onesweep_lookback_stateEbbT6_jjT7_P12ihipStream_tbENKUlT_T0_SG_SL_E_clIS7_S7_PlSB_EEDaSZ_S10_SG_SL_EUlSZ_E_NS1_11comp_targetILNS1_3genE8ELNS1_11target_archE1030ELNS1_3gpuE2ELNS1_3repE0EEENS1_47radix_sort_onesweep_sort_config_static_selectorELNS0_4arch9wavefront6targetE1EEEvSG_
		.amdhsa_group_segment_fixed_size 0
		.amdhsa_private_segment_fixed_size 0
		.amdhsa_kernarg_size 88
		.amdhsa_user_sgpr_count 6
		.amdhsa_user_sgpr_private_segment_buffer 1
		.amdhsa_user_sgpr_dispatch_ptr 0
		.amdhsa_user_sgpr_queue_ptr 0
		.amdhsa_user_sgpr_kernarg_segment_ptr 1
		.amdhsa_user_sgpr_dispatch_id 0
		.amdhsa_user_sgpr_flat_scratch_init 0
		.amdhsa_user_sgpr_kernarg_preload_length 0
		.amdhsa_user_sgpr_kernarg_preload_offset 0
		.amdhsa_user_sgpr_private_segment_size 0
		.amdhsa_uses_dynamic_stack 0
		.amdhsa_system_sgpr_private_segment_wavefront_offset 0
		.amdhsa_system_sgpr_workgroup_id_x 1
		.amdhsa_system_sgpr_workgroup_id_y 0
		.amdhsa_system_sgpr_workgroup_id_z 0
		.amdhsa_system_sgpr_workgroup_info 0
		.amdhsa_system_vgpr_workitem_id 0
		.amdhsa_next_free_vgpr 1
		.amdhsa_next_free_sgpr 0
		.amdhsa_accum_offset 4
		.amdhsa_reserve_vcc 0
		.amdhsa_reserve_flat_scratch 0
		.amdhsa_float_round_mode_32 0
		.amdhsa_float_round_mode_16_64 0
		.amdhsa_float_denorm_mode_32 3
		.amdhsa_float_denorm_mode_16_64 3
		.amdhsa_dx10_clamp 1
		.amdhsa_ieee_mode 1
		.amdhsa_fp16_overflow 0
		.amdhsa_tg_split 0
		.amdhsa_exception_fp_ieee_invalid_op 0
		.amdhsa_exception_fp_denorm_src 0
		.amdhsa_exception_fp_ieee_div_zero 0
		.amdhsa_exception_fp_ieee_overflow 0
		.amdhsa_exception_fp_ieee_underflow 0
		.amdhsa_exception_fp_ieee_inexact 0
		.amdhsa_exception_int_div_zero 0
	.end_amdhsa_kernel
	.section	.text._ZN7rocprim17ROCPRIM_400000_NS6detail17trampoline_kernelINS0_14default_configENS1_35radix_sort_onesweep_config_selectorIilEEZZNS1_29radix_sort_onesweep_iterationIS3_Lb0EPiS7_N6thrust23THRUST_200600_302600_NS10device_ptrIlEESB_jNS0_19identity_decomposerENS1_16block_id_wrapperIjLb1EEEEE10hipError_tT1_PNSt15iterator_traitsISG_E10value_typeET2_T3_PNSH_ISM_E10value_typeET4_T5_PSR_SS_PNS1_23onesweep_lookback_stateEbbT6_jjT7_P12ihipStream_tbENKUlT_T0_SG_SL_E_clIS7_S7_PlSB_EEDaSZ_S10_SG_SL_EUlSZ_E_NS1_11comp_targetILNS1_3genE8ELNS1_11target_archE1030ELNS1_3gpuE2ELNS1_3repE0EEENS1_47radix_sort_onesweep_sort_config_static_selectorELNS0_4arch9wavefront6targetE1EEEvSG_,"axG",@progbits,_ZN7rocprim17ROCPRIM_400000_NS6detail17trampoline_kernelINS0_14default_configENS1_35radix_sort_onesweep_config_selectorIilEEZZNS1_29radix_sort_onesweep_iterationIS3_Lb0EPiS7_N6thrust23THRUST_200600_302600_NS10device_ptrIlEESB_jNS0_19identity_decomposerENS1_16block_id_wrapperIjLb1EEEEE10hipError_tT1_PNSt15iterator_traitsISG_E10value_typeET2_T3_PNSH_ISM_E10value_typeET4_T5_PSR_SS_PNS1_23onesweep_lookback_stateEbbT6_jjT7_P12ihipStream_tbENKUlT_T0_SG_SL_E_clIS7_S7_PlSB_EEDaSZ_S10_SG_SL_EUlSZ_E_NS1_11comp_targetILNS1_3genE8ELNS1_11target_archE1030ELNS1_3gpuE2ELNS1_3repE0EEENS1_47radix_sort_onesweep_sort_config_static_selectorELNS0_4arch9wavefront6targetE1EEEvSG_,comdat
.Lfunc_end892:
	.size	_ZN7rocprim17ROCPRIM_400000_NS6detail17trampoline_kernelINS0_14default_configENS1_35radix_sort_onesweep_config_selectorIilEEZZNS1_29radix_sort_onesweep_iterationIS3_Lb0EPiS7_N6thrust23THRUST_200600_302600_NS10device_ptrIlEESB_jNS0_19identity_decomposerENS1_16block_id_wrapperIjLb1EEEEE10hipError_tT1_PNSt15iterator_traitsISG_E10value_typeET2_T3_PNSH_ISM_E10value_typeET4_T5_PSR_SS_PNS1_23onesweep_lookback_stateEbbT6_jjT7_P12ihipStream_tbENKUlT_T0_SG_SL_E_clIS7_S7_PlSB_EEDaSZ_S10_SG_SL_EUlSZ_E_NS1_11comp_targetILNS1_3genE8ELNS1_11target_archE1030ELNS1_3gpuE2ELNS1_3repE0EEENS1_47radix_sort_onesweep_sort_config_static_selectorELNS0_4arch9wavefront6targetE1EEEvSG_, .Lfunc_end892-_ZN7rocprim17ROCPRIM_400000_NS6detail17trampoline_kernelINS0_14default_configENS1_35radix_sort_onesweep_config_selectorIilEEZZNS1_29radix_sort_onesweep_iterationIS3_Lb0EPiS7_N6thrust23THRUST_200600_302600_NS10device_ptrIlEESB_jNS0_19identity_decomposerENS1_16block_id_wrapperIjLb1EEEEE10hipError_tT1_PNSt15iterator_traitsISG_E10value_typeET2_T3_PNSH_ISM_E10value_typeET4_T5_PSR_SS_PNS1_23onesweep_lookback_stateEbbT6_jjT7_P12ihipStream_tbENKUlT_T0_SG_SL_E_clIS7_S7_PlSB_EEDaSZ_S10_SG_SL_EUlSZ_E_NS1_11comp_targetILNS1_3genE8ELNS1_11target_archE1030ELNS1_3gpuE2ELNS1_3repE0EEENS1_47radix_sort_onesweep_sort_config_static_selectorELNS0_4arch9wavefront6targetE1EEEvSG_
                                        ; -- End function
	.section	.AMDGPU.csdata,"",@progbits
; Kernel info:
; codeLenInByte = 0
; NumSgprs: 4
; NumVgprs: 0
; NumAgprs: 0
; TotalNumVgprs: 0
; ScratchSize: 0
; MemoryBound: 0
; FloatMode: 240
; IeeeMode: 1
; LDSByteSize: 0 bytes/workgroup (compile time only)
; SGPRBlocks: 0
; VGPRBlocks: 0
; NumSGPRsForWavesPerEU: 4
; NumVGPRsForWavesPerEU: 1
; AccumOffset: 4
; Occupancy: 8
; WaveLimiterHint : 0
; COMPUTE_PGM_RSRC2:SCRATCH_EN: 0
; COMPUTE_PGM_RSRC2:USER_SGPR: 6
; COMPUTE_PGM_RSRC2:TRAP_HANDLER: 0
; COMPUTE_PGM_RSRC2:TGID_X_EN: 1
; COMPUTE_PGM_RSRC2:TGID_Y_EN: 0
; COMPUTE_PGM_RSRC2:TGID_Z_EN: 0
; COMPUTE_PGM_RSRC2:TIDIG_COMP_CNT: 0
; COMPUTE_PGM_RSRC3_GFX90A:ACCUM_OFFSET: 0
; COMPUTE_PGM_RSRC3_GFX90A:TG_SPLIT: 0
	.section	.text._ZN7rocprim17ROCPRIM_400000_NS6detail17trampoline_kernelINS0_14default_configENS1_35radix_sort_onesweep_config_selectorIilEEZZNS1_29radix_sort_onesweep_iterationIS3_Lb0EPiS7_N6thrust23THRUST_200600_302600_NS10device_ptrIlEESB_jNS0_19identity_decomposerENS1_16block_id_wrapperIjLb0EEEEE10hipError_tT1_PNSt15iterator_traitsISG_E10value_typeET2_T3_PNSH_ISM_E10value_typeET4_T5_PSR_SS_PNS1_23onesweep_lookback_stateEbbT6_jjT7_P12ihipStream_tbENKUlT_T0_SG_SL_E_clIS7_S7_SB_SB_EEDaSZ_S10_SG_SL_EUlSZ_E_NS1_11comp_targetILNS1_3genE0ELNS1_11target_archE4294967295ELNS1_3gpuE0ELNS1_3repE0EEENS1_47radix_sort_onesweep_sort_config_static_selectorELNS0_4arch9wavefront6targetE1EEEvSG_,"axG",@progbits,_ZN7rocprim17ROCPRIM_400000_NS6detail17trampoline_kernelINS0_14default_configENS1_35radix_sort_onesweep_config_selectorIilEEZZNS1_29radix_sort_onesweep_iterationIS3_Lb0EPiS7_N6thrust23THRUST_200600_302600_NS10device_ptrIlEESB_jNS0_19identity_decomposerENS1_16block_id_wrapperIjLb0EEEEE10hipError_tT1_PNSt15iterator_traitsISG_E10value_typeET2_T3_PNSH_ISM_E10value_typeET4_T5_PSR_SS_PNS1_23onesweep_lookback_stateEbbT6_jjT7_P12ihipStream_tbENKUlT_T0_SG_SL_E_clIS7_S7_SB_SB_EEDaSZ_S10_SG_SL_EUlSZ_E_NS1_11comp_targetILNS1_3genE0ELNS1_11target_archE4294967295ELNS1_3gpuE0ELNS1_3repE0EEENS1_47radix_sort_onesweep_sort_config_static_selectorELNS0_4arch9wavefront6targetE1EEEvSG_,comdat
	.protected	_ZN7rocprim17ROCPRIM_400000_NS6detail17trampoline_kernelINS0_14default_configENS1_35radix_sort_onesweep_config_selectorIilEEZZNS1_29radix_sort_onesweep_iterationIS3_Lb0EPiS7_N6thrust23THRUST_200600_302600_NS10device_ptrIlEESB_jNS0_19identity_decomposerENS1_16block_id_wrapperIjLb0EEEEE10hipError_tT1_PNSt15iterator_traitsISG_E10value_typeET2_T3_PNSH_ISM_E10value_typeET4_T5_PSR_SS_PNS1_23onesweep_lookback_stateEbbT6_jjT7_P12ihipStream_tbENKUlT_T0_SG_SL_E_clIS7_S7_SB_SB_EEDaSZ_S10_SG_SL_EUlSZ_E_NS1_11comp_targetILNS1_3genE0ELNS1_11target_archE4294967295ELNS1_3gpuE0ELNS1_3repE0EEENS1_47radix_sort_onesweep_sort_config_static_selectorELNS0_4arch9wavefront6targetE1EEEvSG_ ; -- Begin function _ZN7rocprim17ROCPRIM_400000_NS6detail17trampoline_kernelINS0_14default_configENS1_35radix_sort_onesweep_config_selectorIilEEZZNS1_29radix_sort_onesweep_iterationIS3_Lb0EPiS7_N6thrust23THRUST_200600_302600_NS10device_ptrIlEESB_jNS0_19identity_decomposerENS1_16block_id_wrapperIjLb0EEEEE10hipError_tT1_PNSt15iterator_traitsISG_E10value_typeET2_T3_PNSH_ISM_E10value_typeET4_T5_PSR_SS_PNS1_23onesweep_lookback_stateEbbT6_jjT7_P12ihipStream_tbENKUlT_T0_SG_SL_E_clIS7_S7_SB_SB_EEDaSZ_S10_SG_SL_EUlSZ_E_NS1_11comp_targetILNS1_3genE0ELNS1_11target_archE4294967295ELNS1_3gpuE0ELNS1_3repE0EEENS1_47radix_sort_onesweep_sort_config_static_selectorELNS0_4arch9wavefront6targetE1EEEvSG_
	.globl	_ZN7rocprim17ROCPRIM_400000_NS6detail17trampoline_kernelINS0_14default_configENS1_35radix_sort_onesweep_config_selectorIilEEZZNS1_29radix_sort_onesweep_iterationIS3_Lb0EPiS7_N6thrust23THRUST_200600_302600_NS10device_ptrIlEESB_jNS0_19identity_decomposerENS1_16block_id_wrapperIjLb0EEEEE10hipError_tT1_PNSt15iterator_traitsISG_E10value_typeET2_T3_PNSH_ISM_E10value_typeET4_T5_PSR_SS_PNS1_23onesweep_lookback_stateEbbT6_jjT7_P12ihipStream_tbENKUlT_T0_SG_SL_E_clIS7_S7_SB_SB_EEDaSZ_S10_SG_SL_EUlSZ_E_NS1_11comp_targetILNS1_3genE0ELNS1_11target_archE4294967295ELNS1_3gpuE0ELNS1_3repE0EEENS1_47radix_sort_onesweep_sort_config_static_selectorELNS0_4arch9wavefront6targetE1EEEvSG_
	.p2align	8
	.type	_ZN7rocprim17ROCPRIM_400000_NS6detail17trampoline_kernelINS0_14default_configENS1_35radix_sort_onesweep_config_selectorIilEEZZNS1_29radix_sort_onesweep_iterationIS3_Lb0EPiS7_N6thrust23THRUST_200600_302600_NS10device_ptrIlEESB_jNS0_19identity_decomposerENS1_16block_id_wrapperIjLb0EEEEE10hipError_tT1_PNSt15iterator_traitsISG_E10value_typeET2_T3_PNSH_ISM_E10value_typeET4_T5_PSR_SS_PNS1_23onesweep_lookback_stateEbbT6_jjT7_P12ihipStream_tbENKUlT_T0_SG_SL_E_clIS7_S7_SB_SB_EEDaSZ_S10_SG_SL_EUlSZ_E_NS1_11comp_targetILNS1_3genE0ELNS1_11target_archE4294967295ELNS1_3gpuE0ELNS1_3repE0EEENS1_47radix_sort_onesweep_sort_config_static_selectorELNS0_4arch9wavefront6targetE1EEEvSG_,@function
_ZN7rocprim17ROCPRIM_400000_NS6detail17trampoline_kernelINS0_14default_configENS1_35radix_sort_onesweep_config_selectorIilEEZZNS1_29radix_sort_onesweep_iterationIS3_Lb0EPiS7_N6thrust23THRUST_200600_302600_NS10device_ptrIlEESB_jNS0_19identity_decomposerENS1_16block_id_wrapperIjLb0EEEEE10hipError_tT1_PNSt15iterator_traitsISG_E10value_typeET2_T3_PNSH_ISM_E10value_typeET4_T5_PSR_SS_PNS1_23onesweep_lookback_stateEbbT6_jjT7_P12ihipStream_tbENKUlT_T0_SG_SL_E_clIS7_S7_SB_SB_EEDaSZ_S10_SG_SL_EUlSZ_E_NS1_11comp_targetILNS1_3genE0ELNS1_11target_archE4294967295ELNS1_3gpuE0ELNS1_3repE0EEENS1_47radix_sort_onesweep_sort_config_static_selectorELNS0_4arch9wavefront6targetE1EEEvSG_: ; @_ZN7rocprim17ROCPRIM_400000_NS6detail17trampoline_kernelINS0_14default_configENS1_35radix_sort_onesweep_config_selectorIilEEZZNS1_29radix_sort_onesweep_iterationIS3_Lb0EPiS7_N6thrust23THRUST_200600_302600_NS10device_ptrIlEESB_jNS0_19identity_decomposerENS1_16block_id_wrapperIjLb0EEEEE10hipError_tT1_PNSt15iterator_traitsISG_E10value_typeET2_T3_PNSH_ISM_E10value_typeET4_T5_PSR_SS_PNS1_23onesweep_lookback_stateEbbT6_jjT7_P12ihipStream_tbENKUlT_T0_SG_SL_E_clIS7_S7_SB_SB_EEDaSZ_S10_SG_SL_EUlSZ_E_NS1_11comp_targetILNS1_3genE0ELNS1_11target_archE4294967295ELNS1_3gpuE0ELNS1_3repE0EEENS1_47radix_sort_onesweep_sort_config_static_selectorELNS0_4arch9wavefront6targetE1EEEvSG_
; %bb.0:
	.section	.rodata,"a",@progbits
	.p2align	6, 0x0
	.amdhsa_kernel _ZN7rocprim17ROCPRIM_400000_NS6detail17trampoline_kernelINS0_14default_configENS1_35radix_sort_onesweep_config_selectorIilEEZZNS1_29radix_sort_onesweep_iterationIS3_Lb0EPiS7_N6thrust23THRUST_200600_302600_NS10device_ptrIlEESB_jNS0_19identity_decomposerENS1_16block_id_wrapperIjLb0EEEEE10hipError_tT1_PNSt15iterator_traitsISG_E10value_typeET2_T3_PNSH_ISM_E10value_typeET4_T5_PSR_SS_PNS1_23onesweep_lookback_stateEbbT6_jjT7_P12ihipStream_tbENKUlT_T0_SG_SL_E_clIS7_S7_SB_SB_EEDaSZ_S10_SG_SL_EUlSZ_E_NS1_11comp_targetILNS1_3genE0ELNS1_11target_archE4294967295ELNS1_3gpuE0ELNS1_3repE0EEENS1_47radix_sort_onesweep_sort_config_static_selectorELNS0_4arch9wavefront6targetE1EEEvSG_
		.amdhsa_group_segment_fixed_size 0
		.amdhsa_private_segment_fixed_size 0
		.amdhsa_kernarg_size 88
		.amdhsa_user_sgpr_count 6
		.amdhsa_user_sgpr_private_segment_buffer 1
		.amdhsa_user_sgpr_dispatch_ptr 0
		.amdhsa_user_sgpr_queue_ptr 0
		.amdhsa_user_sgpr_kernarg_segment_ptr 1
		.amdhsa_user_sgpr_dispatch_id 0
		.amdhsa_user_sgpr_flat_scratch_init 0
		.amdhsa_user_sgpr_kernarg_preload_length 0
		.amdhsa_user_sgpr_kernarg_preload_offset 0
		.amdhsa_user_sgpr_private_segment_size 0
		.amdhsa_uses_dynamic_stack 0
		.amdhsa_system_sgpr_private_segment_wavefront_offset 0
		.amdhsa_system_sgpr_workgroup_id_x 1
		.amdhsa_system_sgpr_workgroup_id_y 0
		.amdhsa_system_sgpr_workgroup_id_z 0
		.amdhsa_system_sgpr_workgroup_info 0
		.amdhsa_system_vgpr_workitem_id 0
		.amdhsa_next_free_vgpr 1
		.amdhsa_next_free_sgpr 0
		.amdhsa_accum_offset 4
		.amdhsa_reserve_vcc 0
		.amdhsa_reserve_flat_scratch 0
		.amdhsa_float_round_mode_32 0
		.amdhsa_float_round_mode_16_64 0
		.amdhsa_float_denorm_mode_32 3
		.amdhsa_float_denorm_mode_16_64 3
		.amdhsa_dx10_clamp 1
		.amdhsa_ieee_mode 1
		.amdhsa_fp16_overflow 0
		.amdhsa_tg_split 0
		.amdhsa_exception_fp_ieee_invalid_op 0
		.amdhsa_exception_fp_denorm_src 0
		.amdhsa_exception_fp_ieee_div_zero 0
		.amdhsa_exception_fp_ieee_overflow 0
		.amdhsa_exception_fp_ieee_underflow 0
		.amdhsa_exception_fp_ieee_inexact 0
		.amdhsa_exception_int_div_zero 0
	.end_amdhsa_kernel
	.section	.text._ZN7rocprim17ROCPRIM_400000_NS6detail17trampoline_kernelINS0_14default_configENS1_35radix_sort_onesweep_config_selectorIilEEZZNS1_29radix_sort_onesweep_iterationIS3_Lb0EPiS7_N6thrust23THRUST_200600_302600_NS10device_ptrIlEESB_jNS0_19identity_decomposerENS1_16block_id_wrapperIjLb0EEEEE10hipError_tT1_PNSt15iterator_traitsISG_E10value_typeET2_T3_PNSH_ISM_E10value_typeET4_T5_PSR_SS_PNS1_23onesweep_lookback_stateEbbT6_jjT7_P12ihipStream_tbENKUlT_T0_SG_SL_E_clIS7_S7_SB_SB_EEDaSZ_S10_SG_SL_EUlSZ_E_NS1_11comp_targetILNS1_3genE0ELNS1_11target_archE4294967295ELNS1_3gpuE0ELNS1_3repE0EEENS1_47radix_sort_onesweep_sort_config_static_selectorELNS0_4arch9wavefront6targetE1EEEvSG_,"axG",@progbits,_ZN7rocprim17ROCPRIM_400000_NS6detail17trampoline_kernelINS0_14default_configENS1_35radix_sort_onesweep_config_selectorIilEEZZNS1_29radix_sort_onesweep_iterationIS3_Lb0EPiS7_N6thrust23THRUST_200600_302600_NS10device_ptrIlEESB_jNS0_19identity_decomposerENS1_16block_id_wrapperIjLb0EEEEE10hipError_tT1_PNSt15iterator_traitsISG_E10value_typeET2_T3_PNSH_ISM_E10value_typeET4_T5_PSR_SS_PNS1_23onesweep_lookback_stateEbbT6_jjT7_P12ihipStream_tbENKUlT_T0_SG_SL_E_clIS7_S7_SB_SB_EEDaSZ_S10_SG_SL_EUlSZ_E_NS1_11comp_targetILNS1_3genE0ELNS1_11target_archE4294967295ELNS1_3gpuE0ELNS1_3repE0EEENS1_47radix_sort_onesweep_sort_config_static_selectorELNS0_4arch9wavefront6targetE1EEEvSG_,comdat
.Lfunc_end893:
	.size	_ZN7rocprim17ROCPRIM_400000_NS6detail17trampoline_kernelINS0_14default_configENS1_35radix_sort_onesweep_config_selectorIilEEZZNS1_29radix_sort_onesweep_iterationIS3_Lb0EPiS7_N6thrust23THRUST_200600_302600_NS10device_ptrIlEESB_jNS0_19identity_decomposerENS1_16block_id_wrapperIjLb0EEEEE10hipError_tT1_PNSt15iterator_traitsISG_E10value_typeET2_T3_PNSH_ISM_E10value_typeET4_T5_PSR_SS_PNS1_23onesweep_lookback_stateEbbT6_jjT7_P12ihipStream_tbENKUlT_T0_SG_SL_E_clIS7_S7_SB_SB_EEDaSZ_S10_SG_SL_EUlSZ_E_NS1_11comp_targetILNS1_3genE0ELNS1_11target_archE4294967295ELNS1_3gpuE0ELNS1_3repE0EEENS1_47radix_sort_onesweep_sort_config_static_selectorELNS0_4arch9wavefront6targetE1EEEvSG_, .Lfunc_end893-_ZN7rocprim17ROCPRIM_400000_NS6detail17trampoline_kernelINS0_14default_configENS1_35radix_sort_onesweep_config_selectorIilEEZZNS1_29radix_sort_onesweep_iterationIS3_Lb0EPiS7_N6thrust23THRUST_200600_302600_NS10device_ptrIlEESB_jNS0_19identity_decomposerENS1_16block_id_wrapperIjLb0EEEEE10hipError_tT1_PNSt15iterator_traitsISG_E10value_typeET2_T3_PNSH_ISM_E10value_typeET4_T5_PSR_SS_PNS1_23onesweep_lookback_stateEbbT6_jjT7_P12ihipStream_tbENKUlT_T0_SG_SL_E_clIS7_S7_SB_SB_EEDaSZ_S10_SG_SL_EUlSZ_E_NS1_11comp_targetILNS1_3genE0ELNS1_11target_archE4294967295ELNS1_3gpuE0ELNS1_3repE0EEENS1_47radix_sort_onesweep_sort_config_static_selectorELNS0_4arch9wavefront6targetE1EEEvSG_
                                        ; -- End function
	.section	.AMDGPU.csdata,"",@progbits
; Kernel info:
; codeLenInByte = 0
; NumSgprs: 4
; NumVgprs: 0
; NumAgprs: 0
; TotalNumVgprs: 0
; ScratchSize: 0
; MemoryBound: 0
; FloatMode: 240
; IeeeMode: 1
; LDSByteSize: 0 bytes/workgroup (compile time only)
; SGPRBlocks: 0
; VGPRBlocks: 0
; NumSGPRsForWavesPerEU: 4
; NumVGPRsForWavesPerEU: 1
; AccumOffset: 4
; Occupancy: 8
; WaveLimiterHint : 0
; COMPUTE_PGM_RSRC2:SCRATCH_EN: 0
; COMPUTE_PGM_RSRC2:USER_SGPR: 6
; COMPUTE_PGM_RSRC2:TRAP_HANDLER: 0
; COMPUTE_PGM_RSRC2:TGID_X_EN: 1
; COMPUTE_PGM_RSRC2:TGID_Y_EN: 0
; COMPUTE_PGM_RSRC2:TGID_Z_EN: 0
; COMPUTE_PGM_RSRC2:TIDIG_COMP_CNT: 0
; COMPUTE_PGM_RSRC3_GFX90A:ACCUM_OFFSET: 0
; COMPUTE_PGM_RSRC3_GFX90A:TG_SPLIT: 0
	.section	.text._ZN7rocprim17ROCPRIM_400000_NS6detail17trampoline_kernelINS0_14default_configENS1_35radix_sort_onesweep_config_selectorIilEEZZNS1_29radix_sort_onesweep_iterationIS3_Lb0EPiS7_N6thrust23THRUST_200600_302600_NS10device_ptrIlEESB_jNS0_19identity_decomposerENS1_16block_id_wrapperIjLb0EEEEE10hipError_tT1_PNSt15iterator_traitsISG_E10value_typeET2_T3_PNSH_ISM_E10value_typeET4_T5_PSR_SS_PNS1_23onesweep_lookback_stateEbbT6_jjT7_P12ihipStream_tbENKUlT_T0_SG_SL_E_clIS7_S7_SB_SB_EEDaSZ_S10_SG_SL_EUlSZ_E_NS1_11comp_targetILNS1_3genE6ELNS1_11target_archE950ELNS1_3gpuE13ELNS1_3repE0EEENS1_47radix_sort_onesweep_sort_config_static_selectorELNS0_4arch9wavefront6targetE1EEEvSG_,"axG",@progbits,_ZN7rocprim17ROCPRIM_400000_NS6detail17trampoline_kernelINS0_14default_configENS1_35radix_sort_onesweep_config_selectorIilEEZZNS1_29radix_sort_onesweep_iterationIS3_Lb0EPiS7_N6thrust23THRUST_200600_302600_NS10device_ptrIlEESB_jNS0_19identity_decomposerENS1_16block_id_wrapperIjLb0EEEEE10hipError_tT1_PNSt15iterator_traitsISG_E10value_typeET2_T3_PNSH_ISM_E10value_typeET4_T5_PSR_SS_PNS1_23onesweep_lookback_stateEbbT6_jjT7_P12ihipStream_tbENKUlT_T0_SG_SL_E_clIS7_S7_SB_SB_EEDaSZ_S10_SG_SL_EUlSZ_E_NS1_11comp_targetILNS1_3genE6ELNS1_11target_archE950ELNS1_3gpuE13ELNS1_3repE0EEENS1_47radix_sort_onesweep_sort_config_static_selectorELNS0_4arch9wavefront6targetE1EEEvSG_,comdat
	.protected	_ZN7rocprim17ROCPRIM_400000_NS6detail17trampoline_kernelINS0_14default_configENS1_35radix_sort_onesweep_config_selectorIilEEZZNS1_29radix_sort_onesweep_iterationIS3_Lb0EPiS7_N6thrust23THRUST_200600_302600_NS10device_ptrIlEESB_jNS0_19identity_decomposerENS1_16block_id_wrapperIjLb0EEEEE10hipError_tT1_PNSt15iterator_traitsISG_E10value_typeET2_T3_PNSH_ISM_E10value_typeET4_T5_PSR_SS_PNS1_23onesweep_lookback_stateEbbT6_jjT7_P12ihipStream_tbENKUlT_T0_SG_SL_E_clIS7_S7_SB_SB_EEDaSZ_S10_SG_SL_EUlSZ_E_NS1_11comp_targetILNS1_3genE6ELNS1_11target_archE950ELNS1_3gpuE13ELNS1_3repE0EEENS1_47radix_sort_onesweep_sort_config_static_selectorELNS0_4arch9wavefront6targetE1EEEvSG_ ; -- Begin function _ZN7rocprim17ROCPRIM_400000_NS6detail17trampoline_kernelINS0_14default_configENS1_35radix_sort_onesweep_config_selectorIilEEZZNS1_29radix_sort_onesweep_iterationIS3_Lb0EPiS7_N6thrust23THRUST_200600_302600_NS10device_ptrIlEESB_jNS0_19identity_decomposerENS1_16block_id_wrapperIjLb0EEEEE10hipError_tT1_PNSt15iterator_traitsISG_E10value_typeET2_T3_PNSH_ISM_E10value_typeET4_T5_PSR_SS_PNS1_23onesweep_lookback_stateEbbT6_jjT7_P12ihipStream_tbENKUlT_T0_SG_SL_E_clIS7_S7_SB_SB_EEDaSZ_S10_SG_SL_EUlSZ_E_NS1_11comp_targetILNS1_3genE6ELNS1_11target_archE950ELNS1_3gpuE13ELNS1_3repE0EEENS1_47radix_sort_onesweep_sort_config_static_selectorELNS0_4arch9wavefront6targetE1EEEvSG_
	.globl	_ZN7rocprim17ROCPRIM_400000_NS6detail17trampoline_kernelINS0_14default_configENS1_35radix_sort_onesweep_config_selectorIilEEZZNS1_29radix_sort_onesweep_iterationIS3_Lb0EPiS7_N6thrust23THRUST_200600_302600_NS10device_ptrIlEESB_jNS0_19identity_decomposerENS1_16block_id_wrapperIjLb0EEEEE10hipError_tT1_PNSt15iterator_traitsISG_E10value_typeET2_T3_PNSH_ISM_E10value_typeET4_T5_PSR_SS_PNS1_23onesweep_lookback_stateEbbT6_jjT7_P12ihipStream_tbENKUlT_T0_SG_SL_E_clIS7_S7_SB_SB_EEDaSZ_S10_SG_SL_EUlSZ_E_NS1_11comp_targetILNS1_3genE6ELNS1_11target_archE950ELNS1_3gpuE13ELNS1_3repE0EEENS1_47radix_sort_onesweep_sort_config_static_selectorELNS0_4arch9wavefront6targetE1EEEvSG_
	.p2align	8
	.type	_ZN7rocprim17ROCPRIM_400000_NS6detail17trampoline_kernelINS0_14default_configENS1_35radix_sort_onesweep_config_selectorIilEEZZNS1_29radix_sort_onesweep_iterationIS3_Lb0EPiS7_N6thrust23THRUST_200600_302600_NS10device_ptrIlEESB_jNS0_19identity_decomposerENS1_16block_id_wrapperIjLb0EEEEE10hipError_tT1_PNSt15iterator_traitsISG_E10value_typeET2_T3_PNSH_ISM_E10value_typeET4_T5_PSR_SS_PNS1_23onesweep_lookback_stateEbbT6_jjT7_P12ihipStream_tbENKUlT_T0_SG_SL_E_clIS7_S7_SB_SB_EEDaSZ_S10_SG_SL_EUlSZ_E_NS1_11comp_targetILNS1_3genE6ELNS1_11target_archE950ELNS1_3gpuE13ELNS1_3repE0EEENS1_47radix_sort_onesweep_sort_config_static_selectorELNS0_4arch9wavefront6targetE1EEEvSG_,@function
_ZN7rocprim17ROCPRIM_400000_NS6detail17trampoline_kernelINS0_14default_configENS1_35radix_sort_onesweep_config_selectorIilEEZZNS1_29radix_sort_onesweep_iterationIS3_Lb0EPiS7_N6thrust23THRUST_200600_302600_NS10device_ptrIlEESB_jNS0_19identity_decomposerENS1_16block_id_wrapperIjLb0EEEEE10hipError_tT1_PNSt15iterator_traitsISG_E10value_typeET2_T3_PNSH_ISM_E10value_typeET4_T5_PSR_SS_PNS1_23onesweep_lookback_stateEbbT6_jjT7_P12ihipStream_tbENKUlT_T0_SG_SL_E_clIS7_S7_SB_SB_EEDaSZ_S10_SG_SL_EUlSZ_E_NS1_11comp_targetILNS1_3genE6ELNS1_11target_archE950ELNS1_3gpuE13ELNS1_3repE0EEENS1_47radix_sort_onesweep_sort_config_static_selectorELNS0_4arch9wavefront6targetE1EEEvSG_: ; @_ZN7rocprim17ROCPRIM_400000_NS6detail17trampoline_kernelINS0_14default_configENS1_35radix_sort_onesweep_config_selectorIilEEZZNS1_29radix_sort_onesweep_iterationIS3_Lb0EPiS7_N6thrust23THRUST_200600_302600_NS10device_ptrIlEESB_jNS0_19identity_decomposerENS1_16block_id_wrapperIjLb0EEEEE10hipError_tT1_PNSt15iterator_traitsISG_E10value_typeET2_T3_PNSH_ISM_E10value_typeET4_T5_PSR_SS_PNS1_23onesweep_lookback_stateEbbT6_jjT7_P12ihipStream_tbENKUlT_T0_SG_SL_E_clIS7_S7_SB_SB_EEDaSZ_S10_SG_SL_EUlSZ_E_NS1_11comp_targetILNS1_3genE6ELNS1_11target_archE950ELNS1_3gpuE13ELNS1_3repE0EEENS1_47radix_sort_onesweep_sort_config_static_selectorELNS0_4arch9wavefront6targetE1EEEvSG_
; %bb.0:
	.section	.rodata,"a",@progbits
	.p2align	6, 0x0
	.amdhsa_kernel _ZN7rocprim17ROCPRIM_400000_NS6detail17trampoline_kernelINS0_14default_configENS1_35radix_sort_onesweep_config_selectorIilEEZZNS1_29radix_sort_onesweep_iterationIS3_Lb0EPiS7_N6thrust23THRUST_200600_302600_NS10device_ptrIlEESB_jNS0_19identity_decomposerENS1_16block_id_wrapperIjLb0EEEEE10hipError_tT1_PNSt15iterator_traitsISG_E10value_typeET2_T3_PNSH_ISM_E10value_typeET4_T5_PSR_SS_PNS1_23onesweep_lookback_stateEbbT6_jjT7_P12ihipStream_tbENKUlT_T0_SG_SL_E_clIS7_S7_SB_SB_EEDaSZ_S10_SG_SL_EUlSZ_E_NS1_11comp_targetILNS1_3genE6ELNS1_11target_archE950ELNS1_3gpuE13ELNS1_3repE0EEENS1_47radix_sort_onesweep_sort_config_static_selectorELNS0_4arch9wavefront6targetE1EEEvSG_
		.amdhsa_group_segment_fixed_size 0
		.amdhsa_private_segment_fixed_size 0
		.amdhsa_kernarg_size 88
		.amdhsa_user_sgpr_count 6
		.amdhsa_user_sgpr_private_segment_buffer 1
		.amdhsa_user_sgpr_dispatch_ptr 0
		.amdhsa_user_sgpr_queue_ptr 0
		.amdhsa_user_sgpr_kernarg_segment_ptr 1
		.amdhsa_user_sgpr_dispatch_id 0
		.amdhsa_user_sgpr_flat_scratch_init 0
		.amdhsa_user_sgpr_kernarg_preload_length 0
		.amdhsa_user_sgpr_kernarg_preload_offset 0
		.amdhsa_user_sgpr_private_segment_size 0
		.amdhsa_uses_dynamic_stack 0
		.amdhsa_system_sgpr_private_segment_wavefront_offset 0
		.amdhsa_system_sgpr_workgroup_id_x 1
		.amdhsa_system_sgpr_workgroup_id_y 0
		.amdhsa_system_sgpr_workgroup_id_z 0
		.amdhsa_system_sgpr_workgroup_info 0
		.amdhsa_system_vgpr_workitem_id 0
		.amdhsa_next_free_vgpr 1
		.amdhsa_next_free_sgpr 0
		.amdhsa_accum_offset 4
		.amdhsa_reserve_vcc 0
		.amdhsa_reserve_flat_scratch 0
		.amdhsa_float_round_mode_32 0
		.amdhsa_float_round_mode_16_64 0
		.amdhsa_float_denorm_mode_32 3
		.amdhsa_float_denorm_mode_16_64 3
		.amdhsa_dx10_clamp 1
		.amdhsa_ieee_mode 1
		.amdhsa_fp16_overflow 0
		.amdhsa_tg_split 0
		.amdhsa_exception_fp_ieee_invalid_op 0
		.amdhsa_exception_fp_denorm_src 0
		.amdhsa_exception_fp_ieee_div_zero 0
		.amdhsa_exception_fp_ieee_overflow 0
		.amdhsa_exception_fp_ieee_underflow 0
		.amdhsa_exception_fp_ieee_inexact 0
		.amdhsa_exception_int_div_zero 0
	.end_amdhsa_kernel
	.section	.text._ZN7rocprim17ROCPRIM_400000_NS6detail17trampoline_kernelINS0_14default_configENS1_35radix_sort_onesweep_config_selectorIilEEZZNS1_29radix_sort_onesweep_iterationIS3_Lb0EPiS7_N6thrust23THRUST_200600_302600_NS10device_ptrIlEESB_jNS0_19identity_decomposerENS1_16block_id_wrapperIjLb0EEEEE10hipError_tT1_PNSt15iterator_traitsISG_E10value_typeET2_T3_PNSH_ISM_E10value_typeET4_T5_PSR_SS_PNS1_23onesweep_lookback_stateEbbT6_jjT7_P12ihipStream_tbENKUlT_T0_SG_SL_E_clIS7_S7_SB_SB_EEDaSZ_S10_SG_SL_EUlSZ_E_NS1_11comp_targetILNS1_3genE6ELNS1_11target_archE950ELNS1_3gpuE13ELNS1_3repE0EEENS1_47radix_sort_onesweep_sort_config_static_selectorELNS0_4arch9wavefront6targetE1EEEvSG_,"axG",@progbits,_ZN7rocprim17ROCPRIM_400000_NS6detail17trampoline_kernelINS0_14default_configENS1_35radix_sort_onesweep_config_selectorIilEEZZNS1_29radix_sort_onesweep_iterationIS3_Lb0EPiS7_N6thrust23THRUST_200600_302600_NS10device_ptrIlEESB_jNS0_19identity_decomposerENS1_16block_id_wrapperIjLb0EEEEE10hipError_tT1_PNSt15iterator_traitsISG_E10value_typeET2_T3_PNSH_ISM_E10value_typeET4_T5_PSR_SS_PNS1_23onesweep_lookback_stateEbbT6_jjT7_P12ihipStream_tbENKUlT_T0_SG_SL_E_clIS7_S7_SB_SB_EEDaSZ_S10_SG_SL_EUlSZ_E_NS1_11comp_targetILNS1_3genE6ELNS1_11target_archE950ELNS1_3gpuE13ELNS1_3repE0EEENS1_47radix_sort_onesweep_sort_config_static_selectorELNS0_4arch9wavefront6targetE1EEEvSG_,comdat
.Lfunc_end894:
	.size	_ZN7rocprim17ROCPRIM_400000_NS6detail17trampoline_kernelINS0_14default_configENS1_35radix_sort_onesweep_config_selectorIilEEZZNS1_29radix_sort_onesweep_iterationIS3_Lb0EPiS7_N6thrust23THRUST_200600_302600_NS10device_ptrIlEESB_jNS0_19identity_decomposerENS1_16block_id_wrapperIjLb0EEEEE10hipError_tT1_PNSt15iterator_traitsISG_E10value_typeET2_T3_PNSH_ISM_E10value_typeET4_T5_PSR_SS_PNS1_23onesweep_lookback_stateEbbT6_jjT7_P12ihipStream_tbENKUlT_T0_SG_SL_E_clIS7_S7_SB_SB_EEDaSZ_S10_SG_SL_EUlSZ_E_NS1_11comp_targetILNS1_3genE6ELNS1_11target_archE950ELNS1_3gpuE13ELNS1_3repE0EEENS1_47radix_sort_onesweep_sort_config_static_selectorELNS0_4arch9wavefront6targetE1EEEvSG_, .Lfunc_end894-_ZN7rocprim17ROCPRIM_400000_NS6detail17trampoline_kernelINS0_14default_configENS1_35radix_sort_onesweep_config_selectorIilEEZZNS1_29radix_sort_onesweep_iterationIS3_Lb0EPiS7_N6thrust23THRUST_200600_302600_NS10device_ptrIlEESB_jNS0_19identity_decomposerENS1_16block_id_wrapperIjLb0EEEEE10hipError_tT1_PNSt15iterator_traitsISG_E10value_typeET2_T3_PNSH_ISM_E10value_typeET4_T5_PSR_SS_PNS1_23onesweep_lookback_stateEbbT6_jjT7_P12ihipStream_tbENKUlT_T0_SG_SL_E_clIS7_S7_SB_SB_EEDaSZ_S10_SG_SL_EUlSZ_E_NS1_11comp_targetILNS1_3genE6ELNS1_11target_archE950ELNS1_3gpuE13ELNS1_3repE0EEENS1_47radix_sort_onesweep_sort_config_static_selectorELNS0_4arch9wavefront6targetE1EEEvSG_
                                        ; -- End function
	.section	.AMDGPU.csdata,"",@progbits
; Kernel info:
; codeLenInByte = 0
; NumSgprs: 4
; NumVgprs: 0
; NumAgprs: 0
; TotalNumVgprs: 0
; ScratchSize: 0
; MemoryBound: 0
; FloatMode: 240
; IeeeMode: 1
; LDSByteSize: 0 bytes/workgroup (compile time only)
; SGPRBlocks: 0
; VGPRBlocks: 0
; NumSGPRsForWavesPerEU: 4
; NumVGPRsForWavesPerEU: 1
; AccumOffset: 4
; Occupancy: 8
; WaveLimiterHint : 0
; COMPUTE_PGM_RSRC2:SCRATCH_EN: 0
; COMPUTE_PGM_RSRC2:USER_SGPR: 6
; COMPUTE_PGM_RSRC2:TRAP_HANDLER: 0
; COMPUTE_PGM_RSRC2:TGID_X_EN: 1
; COMPUTE_PGM_RSRC2:TGID_Y_EN: 0
; COMPUTE_PGM_RSRC2:TGID_Z_EN: 0
; COMPUTE_PGM_RSRC2:TIDIG_COMP_CNT: 0
; COMPUTE_PGM_RSRC3_GFX90A:ACCUM_OFFSET: 0
; COMPUTE_PGM_RSRC3_GFX90A:TG_SPLIT: 0
	.section	.text._ZN7rocprim17ROCPRIM_400000_NS6detail17trampoline_kernelINS0_14default_configENS1_35radix_sort_onesweep_config_selectorIilEEZZNS1_29radix_sort_onesweep_iterationIS3_Lb0EPiS7_N6thrust23THRUST_200600_302600_NS10device_ptrIlEESB_jNS0_19identity_decomposerENS1_16block_id_wrapperIjLb0EEEEE10hipError_tT1_PNSt15iterator_traitsISG_E10value_typeET2_T3_PNSH_ISM_E10value_typeET4_T5_PSR_SS_PNS1_23onesweep_lookback_stateEbbT6_jjT7_P12ihipStream_tbENKUlT_T0_SG_SL_E_clIS7_S7_SB_SB_EEDaSZ_S10_SG_SL_EUlSZ_E_NS1_11comp_targetILNS1_3genE5ELNS1_11target_archE942ELNS1_3gpuE9ELNS1_3repE0EEENS1_47radix_sort_onesweep_sort_config_static_selectorELNS0_4arch9wavefront6targetE1EEEvSG_,"axG",@progbits,_ZN7rocprim17ROCPRIM_400000_NS6detail17trampoline_kernelINS0_14default_configENS1_35radix_sort_onesweep_config_selectorIilEEZZNS1_29radix_sort_onesweep_iterationIS3_Lb0EPiS7_N6thrust23THRUST_200600_302600_NS10device_ptrIlEESB_jNS0_19identity_decomposerENS1_16block_id_wrapperIjLb0EEEEE10hipError_tT1_PNSt15iterator_traitsISG_E10value_typeET2_T3_PNSH_ISM_E10value_typeET4_T5_PSR_SS_PNS1_23onesweep_lookback_stateEbbT6_jjT7_P12ihipStream_tbENKUlT_T0_SG_SL_E_clIS7_S7_SB_SB_EEDaSZ_S10_SG_SL_EUlSZ_E_NS1_11comp_targetILNS1_3genE5ELNS1_11target_archE942ELNS1_3gpuE9ELNS1_3repE0EEENS1_47radix_sort_onesweep_sort_config_static_selectorELNS0_4arch9wavefront6targetE1EEEvSG_,comdat
	.protected	_ZN7rocprim17ROCPRIM_400000_NS6detail17trampoline_kernelINS0_14default_configENS1_35radix_sort_onesweep_config_selectorIilEEZZNS1_29radix_sort_onesweep_iterationIS3_Lb0EPiS7_N6thrust23THRUST_200600_302600_NS10device_ptrIlEESB_jNS0_19identity_decomposerENS1_16block_id_wrapperIjLb0EEEEE10hipError_tT1_PNSt15iterator_traitsISG_E10value_typeET2_T3_PNSH_ISM_E10value_typeET4_T5_PSR_SS_PNS1_23onesweep_lookback_stateEbbT6_jjT7_P12ihipStream_tbENKUlT_T0_SG_SL_E_clIS7_S7_SB_SB_EEDaSZ_S10_SG_SL_EUlSZ_E_NS1_11comp_targetILNS1_3genE5ELNS1_11target_archE942ELNS1_3gpuE9ELNS1_3repE0EEENS1_47radix_sort_onesweep_sort_config_static_selectorELNS0_4arch9wavefront6targetE1EEEvSG_ ; -- Begin function _ZN7rocprim17ROCPRIM_400000_NS6detail17trampoline_kernelINS0_14default_configENS1_35radix_sort_onesweep_config_selectorIilEEZZNS1_29radix_sort_onesweep_iterationIS3_Lb0EPiS7_N6thrust23THRUST_200600_302600_NS10device_ptrIlEESB_jNS0_19identity_decomposerENS1_16block_id_wrapperIjLb0EEEEE10hipError_tT1_PNSt15iterator_traitsISG_E10value_typeET2_T3_PNSH_ISM_E10value_typeET4_T5_PSR_SS_PNS1_23onesweep_lookback_stateEbbT6_jjT7_P12ihipStream_tbENKUlT_T0_SG_SL_E_clIS7_S7_SB_SB_EEDaSZ_S10_SG_SL_EUlSZ_E_NS1_11comp_targetILNS1_3genE5ELNS1_11target_archE942ELNS1_3gpuE9ELNS1_3repE0EEENS1_47radix_sort_onesweep_sort_config_static_selectorELNS0_4arch9wavefront6targetE1EEEvSG_
	.globl	_ZN7rocprim17ROCPRIM_400000_NS6detail17trampoline_kernelINS0_14default_configENS1_35radix_sort_onesweep_config_selectorIilEEZZNS1_29radix_sort_onesweep_iterationIS3_Lb0EPiS7_N6thrust23THRUST_200600_302600_NS10device_ptrIlEESB_jNS0_19identity_decomposerENS1_16block_id_wrapperIjLb0EEEEE10hipError_tT1_PNSt15iterator_traitsISG_E10value_typeET2_T3_PNSH_ISM_E10value_typeET4_T5_PSR_SS_PNS1_23onesweep_lookback_stateEbbT6_jjT7_P12ihipStream_tbENKUlT_T0_SG_SL_E_clIS7_S7_SB_SB_EEDaSZ_S10_SG_SL_EUlSZ_E_NS1_11comp_targetILNS1_3genE5ELNS1_11target_archE942ELNS1_3gpuE9ELNS1_3repE0EEENS1_47radix_sort_onesweep_sort_config_static_selectorELNS0_4arch9wavefront6targetE1EEEvSG_
	.p2align	8
	.type	_ZN7rocprim17ROCPRIM_400000_NS6detail17trampoline_kernelINS0_14default_configENS1_35radix_sort_onesweep_config_selectorIilEEZZNS1_29radix_sort_onesweep_iterationIS3_Lb0EPiS7_N6thrust23THRUST_200600_302600_NS10device_ptrIlEESB_jNS0_19identity_decomposerENS1_16block_id_wrapperIjLb0EEEEE10hipError_tT1_PNSt15iterator_traitsISG_E10value_typeET2_T3_PNSH_ISM_E10value_typeET4_T5_PSR_SS_PNS1_23onesweep_lookback_stateEbbT6_jjT7_P12ihipStream_tbENKUlT_T0_SG_SL_E_clIS7_S7_SB_SB_EEDaSZ_S10_SG_SL_EUlSZ_E_NS1_11comp_targetILNS1_3genE5ELNS1_11target_archE942ELNS1_3gpuE9ELNS1_3repE0EEENS1_47radix_sort_onesweep_sort_config_static_selectorELNS0_4arch9wavefront6targetE1EEEvSG_,@function
_ZN7rocprim17ROCPRIM_400000_NS6detail17trampoline_kernelINS0_14default_configENS1_35radix_sort_onesweep_config_selectorIilEEZZNS1_29radix_sort_onesweep_iterationIS3_Lb0EPiS7_N6thrust23THRUST_200600_302600_NS10device_ptrIlEESB_jNS0_19identity_decomposerENS1_16block_id_wrapperIjLb0EEEEE10hipError_tT1_PNSt15iterator_traitsISG_E10value_typeET2_T3_PNSH_ISM_E10value_typeET4_T5_PSR_SS_PNS1_23onesweep_lookback_stateEbbT6_jjT7_P12ihipStream_tbENKUlT_T0_SG_SL_E_clIS7_S7_SB_SB_EEDaSZ_S10_SG_SL_EUlSZ_E_NS1_11comp_targetILNS1_3genE5ELNS1_11target_archE942ELNS1_3gpuE9ELNS1_3repE0EEENS1_47radix_sort_onesweep_sort_config_static_selectorELNS0_4arch9wavefront6targetE1EEEvSG_: ; @_ZN7rocprim17ROCPRIM_400000_NS6detail17trampoline_kernelINS0_14default_configENS1_35radix_sort_onesweep_config_selectorIilEEZZNS1_29radix_sort_onesweep_iterationIS3_Lb0EPiS7_N6thrust23THRUST_200600_302600_NS10device_ptrIlEESB_jNS0_19identity_decomposerENS1_16block_id_wrapperIjLb0EEEEE10hipError_tT1_PNSt15iterator_traitsISG_E10value_typeET2_T3_PNSH_ISM_E10value_typeET4_T5_PSR_SS_PNS1_23onesweep_lookback_stateEbbT6_jjT7_P12ihipStream_tbENKUlT_T0_SG_SL_E_clIS7_S7_SB_SB_EEDaSZ_S10_SG_SL_EUlSZ_E_NS1_11comp_targetILNS1_3genE5ELNS1_11target_archE942ELNS1_3gpuE9ELNS1_3repE0EEENS1_47radix_sort_onesweep_sort_config_static_selectorELNS0_4arch9wavefront6targetE1EEEvSG_
; %bb.0:
	.section	.rodata,"a",@progbits
	.p2align	6, 0x0
	.amdhsa_kernel _ZN7rocprim17ROCPRIM_400000_NS6detail17trampoline_kernelINS0_14default_configENS1_35radix_sort_onesweep_config_selectorIilEEZZNS1_29radix_sort_onesweep_iterationIS3_Lb0EPiS7_N6thrust23THRUST_200600_302600_NS10device_ptrIlEESB_jNS0_19identity_decomposerENS1_16block_id_wrapperIjLb0EEEEE10hipError_tT1_PNSt15iterator_traitsISG_E10value_typeET2_T3_PNSH_ISM_E10value_typeET4_T5_PSR_SS_PNS1_23onesweep_lookback_stateEbbT6_jjT7_P12ihipStream_tbENKUlT_T0_SG_SL_E_clIS7_S7_SB_SB_EEDaSZ_S10_SG_SL_EUlSZ_E_NS1_11comp_targetILNS1_3genE5ELNS1_11target_archE942ELNS1_3gpuE9ELNS1_3repE0EEENS1_47radix_sort_onesweep_sort_config_static_selectorELNS0_4arch9wavefront6targetE1EEEvSG_
		.amdhsa_group_segment_fixed_size 0
		.amdhsa_private_segment_fixed_size 0
		.amdhsa_kernarg_size 88
		.amdhsa_user_sgpr_count 6
		.amdhsa_user_sgpr_private_segment_buffer 1
		.amdhsa_user_sgpr_dispatch_ptr 0
		.amdhsa_user_sgpr_queue_ptr 0
		.amdhsa_user_sgpr_kernarg_segment_ptr 1
		.amdhsa_user_sgpr_dispatch_id 0
		.amdhsa_user_sgpr_flat_scratch_init 0
		.amdhsa_user_sgpr_kernarg_preload_length 0
		.amdhsa_user_sgpr_kernarg_preload_offset 0
		.amdhsa_user_sgpr_private_segment_size 0
		.amdhsa_uses_dynamic_stack 0
		.amdhsa_system_sgpr_private_segment_wavefront_offset 0
		.amdhsa_system_sgpr_workgroup_id_x 1
		.amdhsa_system_sgpr_workgroup_id_y 0
		.amdhsa_system_sgpr_workgroup_id_z 0
		.amdhsa_system_sgpr_workgroup_info 0
		.amdhsa_system_vgpr_workitem_id 0
		.amdhsa_next_free_vgpr 1
		.amdhsa_next_free_sgpr 0
		.amdhsa_accum_offset 4
		.amdhsa_reserve_vcc 0
		.amdhsa_reserve_flat_scratch 0
		.amdhsa_float_round_mode_32 0
		.amdhsa_float_round_mode_16_64 0
		.amdhsa_float_denorm_mode_32 3
		.amdhsa_float_denorm_mode_16_64 3
		.amdhsa_dx10_clamp 1
		.amdhsa_ieee_mode 1
		.amdhsa_fp16_overflow 0
		.amdhsa_tg_split 0
		.amdhsa_exception_fp_ieee_invalid_op 0
		.amdhsa_exception_fp_denorm_src 0
		.amdhsa_exception_fp_ieee_div_zero 0
		.amdhsa_exception_fp_ieee_overflow 0
		.amdhsa_exception_fp_ieee_underflow 0
		.amdhsa_exception_fp_ieee_inexact 0
		.amdhsa_exception_int_div_zero 0
	.end_amdhsa_kernel
	.section	.text._ZN7rocprim17ROCPRIM_400000_NS6detail17trampoline_kernelINS0_14default_configENS1_35radix_sort_onesweep_config_selectorIilEEZZNS1_29radix_sort_onesweep_iterationIS3_Lb0EPiS7_N6thrust23THRUST_200600_302600_NS10device_ptrIlEESB_jNS0_19identity_decomposerENS1_16block_id_wrapperIjLb0EEEEE10hipError_tT1_PNSt15iterator_traitsISG_E10value_typeET2_T3_PNSH_ISM_E10value_typeET4_T5_PSR_SS_PNS1_23onesweep_lookback_stateEbbT6_jjT7_P12ihipStream_tbENKUlT_T0_SG_SL_E_clIS7_S7_SB_SB_EEDaSZ_S10_SG_SL_EUlSZ_E_NS1_11comp_targetILNS1_3genE5ELNS1_11target_archE942ELNS1_3gpuE9ELNS1_3repE0EEENS1_47radix_sort_onesweep_sort_config_static_selectorELNS0_4arch9wavefront6targetE1EEEvSG_,"axG",@progbits,_ZN7rocprim17ROCPRIM_400000_NS6detail17trampoline_kernelINS0_14default_configENS1_35radix_sort_onesweep_config_selectorIilEEZZNS1_29radix_sort_onesweep_iterationIS3_Lb0EPiS7_N6thrust23THRUST_200600_302600_NS10device_ptrIlEESB_jNS0_19identity_decomposerENS1_16block_id_wrapperIjLb0EEEEE10hipError_tT1_PNSt15iterator_traitsISG_E10value_typeET2_T3_PNSH_ISM_E10value_typeET4_T5_PSR_SS_PNS1_23onesweep_lookback_stateEbbT6_jjT7_P12ihipStream_tbENKUlT_T0_SG_SL_E_clIS7_S7_SB_SB_EEDaSZ_S10_SG_SL_EUlSZ_E_NS1_11comp_targetILNS1_3genE5ELNS1_11target_archE942ELNS1_3gpuE9ELNS1_3repE0EEENS1_47radix_sort_onesweep_sort_config_static_selectorELNS0_4arch9wavefront6targetE1EEEvSG_,comdat
.Lfunc_end895:
	.size	_ZN7rocprim17ROCPRIM_400000_NS6detail17trampoline_kernelINS0_14default_configENS1_35radix_sort_onesweep_config_selectorIilEEZZNS1_29radix_sort_onesweep_iterationIS3_Lb0EPiS7_N6thrust23THRUST_200600_302600_NS10device_ptrIlEESB_jNS0_19identity_decomposerENS1_16block_id_wrapperIjLb0EEEEE10hipError_tT1_PNSt15iterator_traitsISG_E10value_typeET2_T3_PNSH_ISM_E10value_typeET4_T5_PSR_SS_PNS1_23onesweep_lookback_stateEbbT6_jjT7_P12ihipStream_tbENKUlT_T0_SG_SL_E_clIS7_S7_SB_SB_EEDaSZ_S10_SG_SL_EUlSZ_E_NS1_11comp_targetILNS1_3genE5ELNS1_11target_archE942ELNS1_3gpuE9ELNS1_3repE0EEENS1_47radix_sort_onesweep_sort_config_static_selectorELNS0_4arch9wavefront6targetE1EEEvSG_, .Lfunc_end895-_ZN7rocprim17ROCPRIM_400000_NS6detail17trampoline_kernelINS0_14default_configENS1_35radix_sort_onesweep_config_selectorIilEEZZNS1_29radix_sort_onesweep_iterationIS3_Lb0EPiS7_N6thrust23THRUST_200600_302600_NS10device_ptrIlEESB_jNS0_19identity_decomposerENS1_16block_id_wrapperIjLb0EEEEE10hipError_tT1_PNSt15iterator_traitsISG_E10value_typeET2_T3_PNSH_ISM_E10value_typeET4_T5_PSR_SS_PNS1_23onesweep_lookback_stateEbbT6_jjT7_P12ihipStream_tbENKUlT_T0_SG_SL_E_clIS7_S7_SB_SB_EEDaSZ_S10_SG_SL_EUlSZ_E_NS1_11comp_targetILNS1_3genE5ELNS1_11target_archE942ELNS1_3gpuE9ELNS1_3repE0EEENS1_47radix_sort_onesweep_sort_config_static_selectorELNS0_4arch9wavefront6targetE1EEEvSG_
                                        ; -- End function
	.section	.AMDGPU.csdata,"",@progbits
; Kernel info:
; codeLenInByte = 0
; NumSgprs: 4
; NumVgprs: 0
; NumAgprs: 0
; TotalNumVgprs: 0
; ScratchSize: 0
; MemoryBound: 0
; FloatMode: 240
; IeeeMode: 1
; LDSByteSize: 0 bytes/workgroup (compile time only)
; SGPRBlocks: 0
; VGPRBlocks: 0
; NumSGPRsForWavesPerEU: 4
; NumVGPRsForWavesPerEU: 1
; AccumOffset: 4
; Occupancy: 8
; WaveLimiterHint : 0
; COMPUTE_PGM_RSRC2:SCRATCH_EN: 0
; COMPUTE_PGM_RSRC2:USER_SGPR: 6
; COMPUTE_PGM_RSRC2:TRAP_HANDLER: 0
; COMPUTE_PGM_RSRC2:TGID_X_EN: 1
; COMPUTE_PGM_RSRC2:TGID_Y_EN: 0
; COMPUTE_PGM_RSRC2:TGID_Z_EN: 0
; COMPUTE_PGM_RSRC2:TIDIG_COMP_CNT: 0
; COMPUTE_PGM_RSRC3_GFX90A:ACCUM_OFFSET: 0
; COMPUTE_PGM_RSRC3_GFX90A:TG_SPLIT: 0
	.section	.text._ZN7rocprim17ROCPRIM_400000_NS6detail17trampoline_kernelINS0_14default_configENS1_35radix_sort_onesweep_config_selectorIilEEZZNS1_29radix_sort_onesweep_iterationIS3_Lb0EPiS7_N6thrust23THRUST_200600_302600_NS10device_ptrIlEESB_jNS0_19identity_decomposerENS1_16block_id_wrapperIjLb0EEEEE10hipError_tT1_PNSt15iterator_traitsISG_E10value_typeET2_T3_PNSH_ISM_E10value_typeET4_T5_PSR_SS_PNS1_23onesweep_lookback_stateEbbT6_jjT7_P12ihipStream_tbENKUlT_T0_SG_SL_E_clIS7_S7_SB_SB_EEDaSZ_S10_SG_SL_EUlSZ_E_NS1_11comp_targetILNS1_3genE2ELNS1_11target_archE906ELNS1_3gpuE6ELNS1_3repE0EEENS1_47radix_sort_onesweep_sort_config_static_selectorELNS0_4arch9wavefront6targetE1EEEvSG_,"axG",@progbits,_ZN7rocprim17ROCPRIM_400000_NS6detail17trampoline_kernelINS0_14default_configENS1_35radix_sort_onesweep_config_selectorIilEEZZNS1_29radix_sort_onesweep_iterationIS3_Lb0EPiS7_N6thrust23THRUST_200600_302600_NS10device_ptrIlEESB_jNS0_19identity_decomposerENS1_16block_id_wrapperIjLb0EEEEE10hipError_tT1_PNSt15iterator_traitsISG_E10value_typeET2_T3_PNSH_ISM_E10value_typeET4_T5_PSR_SS_PNS1_23onesweep_lookback_stateEbbT6_jjT7_P12ihipStream_tbENKUlT_T0_SG_SL_E_clIS7_S7_SB_SB_EEDaSZ_S10_SG_SL_EUlSZ_E_NS1_11comp_targetILNS1_3genE2ELNS1_11target_archE906ELNS1_3gpuE6ELNS1_3repE0EEENS1_47radix_sort_onesweep_sort_config_static_selectorELNS0_4arch9wavefront6targetE1EEEvSG_,comdat
	.protected	_ZN7rocprim17ROCPRIM_400000_NS6detail17trampoline_kernelINS0_14default_configENS1_35radix_sort_onesweep_config_selectorIilEEZZNS1_29radix_sort_onesweep_iterationIS3_Lb0EPiS7_N6thrust23THRUST_200600_302600_NS10device_ptrIlEESB_jNS0_19identity_decomposerENS1_16block_id_wrapperIjLb0EEEEE10hipError_tT1_PNSt15iterator_traitsISG_E10value_typeET2_T3_PNSH_ISM_E10value_typeET4_T5_PSR_SS_PNS1_23onesweep_lookback_stateEbbT6_jjT7_P12ihipStream_tbENKUlT_T0_SG_SL_E_clIS7_S7_SB_SB_EEDaSZ_S10_SG_SL_EUlSZ_E_NS1_11comp_targetILNS1_3genE2ELNS1_11target_archE906ELNS1_3gpuE6ELNS1_3repE0EEENS1_47radix_sort_onesweep_sort_config_static_selectorELNS0_4arch9wavefront6targetE1EEEvSG_ ; -- Begin function _ZN7rocprim17ROCPRIM_400000_NS6detail17trampoline_kernelINS0_14default_configENS1_35radix_sort_onesweep_config_selectorIilEEZZNS1_29radix_sort_onesweep_iterationIS3_Lb0EPiS7_N6thrust23THRUST_200600_302600_NS10device_ptrIlEESB_jNS0_19identity_decomposerENS1_16block_id_wrapperIjLb0EEEEE10hipError_tT1_PNSt15iterator_traitsISG_E10value_typeET2_T3_PNSH_ISM_E10value_typeET4_T5_PSR_SS_PNS1_23onesweep_lookback_stateEbbT6_jjT7_P12ihipStream_tbENKUlT_T0_SG_SL_E_clIS7_S7_SB_SB_EEDaSZ_S10_SG_SL_EUlSZ_E_NS1_11comp_targetILNS1_3genE2ELNS1_11target_archE906ELNS1_3gpuE6ELNS1_3repE0EEENS1_47radix_sort_onesweep_sort_config_static_selectorELNS0_4arch9wavefront6targetE1EEEvSG_
	.globl	_ZN7rocprim17ROCPRIM_400000_NS6detail17trampoline_kernelINS0_14default_configENS1_35radix_sort_onesweep_config_selectorIilEEZZNS1_29radix_sort_onesweep_iterationIS3_Lb0EPiS7_N6thrust23THRUST_200600_302600_NS10device_ptrIlEESB_jNS0_19identity_decomposerENS1_16block_id_wrapperIjLb0EEEEE10hipError_tT1_PNSt15iterator_traitsISG_E10value_typeET2_T3_PNSH_ISM_E10value_typeET4_T5_PSR_SS_PNS1_23onesweep_lookback_stateEbbT6_jjT7_P12ihipStream_tbENKUlT_T0_SG_SL_E_clIS7_S7_SB_SB_EEDaSZ_S10_SG_SL_EUlSZ_E_NS1_11comp_targetILNS1_3genE2ELNS1_11target_archE906ELNS1_3gpuE6ELNS1_3repE0EEENS1_47radix_sort_onesweep_sort_config_static_selectorELNS0_4arch9wavefront6targetE1EEEvSG_
	.p2align	8
	.type	_ZN7rocprim17ROCPRIM_400000_NS6detail17trampoline_kernelINS0_14default_configENS1_35radix_sort_onesweep_config_selectorIilEEZZNS1_29radix_sort_onesweep_iterationIS3_Lb0EPiS7_N6thrust23THRUST_200600_302600_NS10device_ptrIlEESB_jNS0_19identity_decomposerENS1_16block_id_wrapperIjLb0EEEEE10hipError_tT1_PNSt15iterator_traitsISG_E10value_typeET2_T3_PNSH_ISM_E10value_typeET4_T5_PSR_SS_PNS1_23onesweep_lookback_stateEbbT6_jjT7_P12ihipStream_tbENKUlT_T0_SG_SL_E_clIS7_S7_SB_SB_EEDaSZ_S10_SG_SL_EUlSZ_E_NS1_11comp_targetILNS1_3genE2ELNS1_11target_archE906ELNS1_3gpuE6ELNS1_3repE0EEENS1_47radix_sort_onesweep_sort_config_static_selectorELNS0_4arch9wavefront6targetE1EEEvSG_,@function
_ZN7rocprim17ROCPRIM_400000_NS6detail17trampoline_kernelINS0_14default_configENS1_35radix_sort_onesweep_config_selectorIilEEZZNS1_29radix_sort_onesweep_iterationIS3_Lb0EPiS7_N6thrust23THRUST_200600_302600_NS10device_ptrIlEESB_jNS0_19identity_decomposerENS1_16block_id_wrapperIjLb0EEEEE10hipError_tT1_PNSt15iterator_traitsISG_E10value_typeET2_T3_PNSH_ISM_E10value_typeET4_T5_PSR_SS_PNS1_23onesweep_lookback_stateEbbT6_jjT7_P12ihipStream_tbENKUlT_T0_SG_SL_E_clIS7_S7_SB_SB_EEDaSZ_S10_SG_SL_EUlSZ_E_NS1_11comp_targetILNS1_3genE2ELNS1_11target_archE906ELNS1_3gpuE6ELNS1_3repE0EEENS1_47radix_sort_onesweep_sort_config_static_selectorELNS0_4arch9wavefront6targetE1EEEvSG_: ; @_ZN7rocprim17ROCPRIM_400000_NS6detail17trampoline_kernelINS0_14default_configENS1_35radix_sort_onesweep_config_selectorIilEEZZNS1_29radix_sort_onesweep_iterationIS3_Lb0EPiS7_N6thrust23THRUST_200600_302600_NS10device_ptrIlEESB_jNS0_19identity_decomposerENS1_16block_id_wrapperIjLb0EEEEE10hipError_tT1_PNSt15iterator_traitsISG_E10value_typeET2_T3_PNSH_ISM_E10value_typeET4_T5_PSR_SS_PNS1_23onesweep_lookback_stateEbbT6_jjT7_P12ihipStream_tbENKUlT_T0_SG_SL_E_clIS7_S7_SB_SB_EEDaSZ_S10_SG_SL_EUlSZ_E_NS1_11comp_targetILNS1_3genE2ELNS1_11target_archE906ELNS1_3gpuE6ELNS1_3repE0EEENS1_47radix_sort_onesweep_sort_config_static_selectorELNS0_4arch9wavefront6targetE1EEEvSG_
; %bb.0:
	.section	.rodata,"a",@progbits
	.p2align	6, 0x0
	.amdhsa_kernel _ZN7rocprim17ROCPRIM_400000_NS6detail17trampoline_kernelINS0_14default_configENS1_35radix_sort_onesweep_config_selectorIilEEZZNS1_29radix_sort_onesweep_iterationIS3_Lb0EPiS7_N6thrust23THRUST_200600_302600_NS10device_ptrIlEESB_jNS0_19identity_decomposerENS1_16block_id_wrapperIjLb0EEEEE10hipError_tT1_PNSt15iterator_traitsISG_E10value_typeET2_T3_PNSH_ISM_E10value_typeET4_T5_PSR_SS_PNS1_23onesweep_lookback_stateEbbT6_jjT7_P12ihipStream_tbENKUlT_T0_SG_SL_E_clIS7_S7_SB_SB_EEDaSZ_S10_SG_SL_EUlSZ_E_NS1_11comp_targetILNS1_3genE2ELNS1_11target_archE906ELNS1_3gpuE6ELNS1_3repE0EEENS1_47radix_sort_onesweep_sort_config_static_selectorELNS0_4arch9wavefront6targetE1EEEvSG_
		.amdhsa_group_segment_fixed_size 0
		.amdhsa_private_segment_fixed_size 0
		.amdhsa_kernarg_size 88
		.amdhsa_user_sgpr_count 6
		.amdhsa_user_sgpr_private_segment_buffer 1
		.amdhsa_user_sgpr_dispatch_ptr 0
		.amdhsa_user_sgpr_queue_ptr 0
		.amdhsa_user_sgpr_kernarg_segment_ptr 1
		.amdhsa_user_sgpr_dispatch_id 0
		.amdhsa_user_sgpr_flat_scratch_init 0
		.amdhsa_user_sgpr_kernarg_preload_length 0
		.amdhsa_user_sgpr_kernarg_preload_offset 0
		.amdhsa_user_sgpr_private_segment_size 0
		.amdhsa_uses_dynamic_stack 0
		.amdhsa_system_sgpr_private_segment_wavefront_offset 0
		.amdhsa_system_sgpr_workgroup_id_x 1
		.amdhsa_system_sgpr_workgroup_id_y 0
		.amdhsa_system_sgpr_workgroup_id_z 0
		.amdhsa_system_sgpr_workgroup_info 0
		.amdhsa_system_vgpr_workitem_id 0
		.amdhsa_next_free_vgpr 1
		.amdhsa_next_free_sgpr 0
		.amdhsa_accum_offset 4
		.amdhsa_reserve_vcc 0
		.amdhsa_reserve_flat_scratch 0
		.amdhsa_float_round_mode_32 0
		.amdhsa_float_round_mode_16_64 0
		.amdhsa_float_denorm_mode_32 3
		.amdhsa_float_denorm_mode_16_64 3
		.amdhsa_dx10_clamp 1
		.amdhsa_ieee_mode 1
		.amdhsa_fp16_overflow 0
		.amdhsa_tg_split 0
		.amdhsa_exception_fp_ieee_invalid_op 0
		.amdhsa_exception_fp_denorm_src 0
		.amdhsa_exception_fp_ieee_div_zero 0
		.amdhsa_exception_fp_ieee_overflow 0
		.amdhsa_exception_fp_ieee_underflow 0
		.amdhsa_exception_fp_ieee_inexact 0
		.amdhsa_exception_int_div_zero 0
	.end_amdhsa_kernel
	.section	.text._ZN7rocprim17ROCPRIM_400000_NS6detail17trampoline_kernelINS0_14default_configENS1_35radix_sort_onesweep_config_selectorIilEEZZNS1_29radix_sort_onesweep_iterationIS3_Lb0EPiS7_N6thrust23THRUST_200600_302600_NS10device_ptrIlEESB_jNS0_19identity_decomposerENS1_16block_id_wrapperIjLb0EEEEE10hipError_tT1_PNSt15iterator_traitsISG_E10value_typeET2_T3_PNSH_ISM_E10value_typeET4_T5_PSR_SS_PNS1_23onesweep_lookback_stateEbbT6_jjT7_P12ihipStream_tbENKUlT_T0_SG_SL_E_clIS7_S7_SB_SB_EEDaSZ_S10_SG_SL_EUlSZ_E_NS1_11comp_targetILNS1_3genE2ELNS1_11target_archE906ELNS1_3gpuE6ELNS1_3repE0EEENS1_47radix_sort_onesweep_sort_config_static_selectorELNS0_4arch9wavefront6targetE1EEEvSG_,"axG",@progbits,_ZN7rocprim17ROCPRIM_400000_NS6detail17trampoline_kernelINS0_14default_configENS1_35radix_sort_onesweep_config_selectorIilEEZZNS1_29radix_sort_onesweep_iterationIS3_Lb0EPiS7_N6thrust23THRUST_200600_302600_NS10device_ptrIlEESB_jNS0_19identity_decomposerENS1_16block_id_wrapperIjLb0EEEEE10hipError_tT1_PNSt15iterator_traitsISG_E10value_typeET2_T3_PNSH_ISM_E10value_typeET4_T5_PSR_SS_PNS1_23onesweep_lookback_stateEbbT6_jjT7_P12ihipStream_tbENKUlT_T0_SG_SL_E_clIS7_S7_SB_SB_EEDaSZ_S10_SG_SL_EUlSZ_E_NS1_11comp_targetILNS1_3genE2ELNS1_11target_archE906ELNS1_3gpuE6ELNS1_3repE0EEENS1_47radix_sort_onesweep_sort_config_static_selectorELNS0_4arch9wavefront6targetE1EEEvSG_,comdat
.Lfunc_end896:
	.size	_ZN7rocprim17ROCPRIM_400000_NS6detail17trampoline_kernelINS0_14default_configENS1_35radix_sort_onesweep_config_selectorIilEEZZNS1_29radix_sort_onesweep_iterationIS3_Lb0EPiS7_N6thrust23THRUST_200600_302600_NS10device_ptrIlEESB_jNS0_19identity_decomposerENS1_16block_id_wrapperIjLb0EEEEE10hipError_tT1_PNSt15iterator_traitsISG_E10value_typeET2_T3_PNSH_ISM_E10value_typeET4_T5_PSR_SS_PNS1_23onesweep_lookback_stateEbbT6_jjT7_P12ihipStream_tbENKUlT_T0_SG_SL_E_clIS7_S7_SB_SB_EEDaSZ_S10_SG_SL_EUlSZ_E_NS1_11comp_targetILNS1_3genE2ELNS1_11target_archE906ELNS1_3gpuE6ELNS1_3repE0EEENS1_47radix_sort_onesweep_sort_config_static_selectorELNS0_4arch9wavefront6targetE1EEEvSG_, .Lfunc_end896-_ZN7rocprim17ROCPRIM_400000_NS6detail17trampoline_kernelINS0_14default_configENS1_35radix_sort_onesweep_config_selectorIilEEZZNS1_29radix_sort_onesweep_iterationIS3_Lb0EPiS7_N6thrust23THRUST_200600_302600_NS10device_ptrIlEESB_jNS0_19identity_decomposerENS1_16block_id_wrapperIjLb0EEEEE10hipError_tT1_PNSt15iterator_traitsISG_E10value_typeET2_T3_PNSH_ISM_E10value_typeET4_T5_PSR_SS_PNS1_23onesweep_lookback_stateEbbT6_jjT7_P12ihipStream_tbENKUlT_T0_SG_SL_E_clIS7_S7_SB_SB_EEDaSZ_S10_SG_SL_EUlSZ_E_NS1_11comp_targetILNS1_3genE2ELNS1_11target_archE906ELNS1_3gpuE6ELNS1_3repE0EEENS1_47radix_sort_onesweep_sort_config_static_selectorELNS0_4arch9wavefront6targetE1EEEvSG_
                                        ; -- End function
	.section	.AMDGPU.csdata,"",@progbits
; Kernel info:
; codeLenInByte = 0
; NumSgprs: 4
; NumVgprs: 0
; NumAgprs: 0
; TotalNumVgprs: 0
; ScratchSize: 0
; MemoryBound: 0
; FloatMode: 240
; IeeeMode: 1
; LDSByteSize: 0 bytes/workgroup (compile time only)
; SGPRBlocks: 0
; VGPRBlocks: 0
; NumSGPRsForWavesPerEU: 4
; NumVGPRsForWavesPerEU: 1
; AccumOffset: 4
; Occupancy: 8
; WaveLimiterHint : 0
; COMPUTE_PGM_RSRC2:SCRATCH_EN: 0
; COMPUTE_PGM_RSRC2:USER_SGPR: 6
; COMPUTE_PGM_RSRC2:TRAP_HANDLER: 0
; COMPUTE_PGM_RSRC2:TGID_X_EN: 1
; COMPUTE_PGM_RSRC2:TGID_Y_EN: 0
; COMPUTE_PGM_RSRC2:TGID_Z_EN: 0
; COMPUTE_PGM_RSRC2:TIDIG_COMP_CNT: 0
; COMPUTE_PGM_RSRC3_GFX90A:ACCUM_OFFSET: 0
; COMPUTE_PGM_RSRC3_GFX90A:TG_SPLIT: 0
	.section	.text._ZN7rocprim17ROCPRIM_400000_NS6detail17trampoline_kernelINS0_14default_configENS1_35radix_sort_onesweep_config_selectorIilEEZZNS1_29radix_sort_onesweep_iterationIS3_Lb0EPiS7_N6thrust23THRUST_200600_302600_NS10device_ptrIlEESB_jNS0_19identity_decomposerENS1_16block_id_wrapperIjLb0EEEEE10hipError_tT1_PNSt15iterator_traitsISG_E10value_typeET2_T3_PNSH_ISM_E10value_typeET4_T5_PSR_SS_PNS1_23onesweep_lookback_stateEbbT6_jjT7_P12ihipStream_tbENKUlT_T0_SG_SL_E_clIS7_S7_SB_SB_EEDaSZ_S10_SG_SL_EUlSZ_E_NS1_11comp_targetILNS1_3genE4ELNS1_11target_archE910ELNS1_3gpuE8ELNS1_3repE0EEENS1_47radix_sort_onesweep_sort_config_static_selectorELNS0_4arch9wavefront6targetE1EEEvSG_,"axG",@progbits,_ZN7rocprim17ROCPRIM_400000_NS6detail17trampoline_kernelINS0_14default_configENS1_35radix_sort_onesweep_config_selectorIilEEZZNS1_29radix_sort_onesweep_iterationIS3_Lb0EPiS7_N6thrust23THRUST_200600_302600_NS10device_ptrIlEESB_jNS0_19identity_decomposerENS1_16block_id_wrapperIjLb0EEEEE10hipError_tT1_PNSt15iterator_traitsISG_E10value_typeET2_T3_PNSH_ISM_E10value_typeET4_T5_PSR_SS_PNS1_23onesweep_lookback_stateEbbT6_jjT7_P12ihipStream_tbENKUlT_T0_SG_SL_E_clIS7_S7_SB_SB_EEDaSZ_S10_SG_SL_EUlSZ_E_NS1_11comp_targetILNS1_3genE4ELNS1_11target_archE910ELNS1_3gpuE8ELNS1_3repE0EEENS1_47radix_sort_onesweep_sort_config_static_selectorELNS0_4arch9wavefront6targetE1EEEvSG_,comdat
	.protected	_ZN7rocprim17ROCPRIM_400000_NS6detail17trampoline_kernelINS0_14default_configENS1_35radix_sort_onesweep_config_selectorIilEEZZNS1_29radix_sort_onesweep_iterationIS3_Lb0EPiS7_N6thrust23THRUST_200600_302600_NS10device_ptrIlEESB_jNS0_19identity_decomposerENS1_16block_id_wrapperIjLb0EEEEE10hipError_tT1_PNSt15iterator_traitsISG_E10value_typeET2_T3_PNSH_ISM_E10value_typeET4_T5_PSR_SS_PNS1_23onesweep_lookback_stateEbbT6_jjT7_P12ihipStream_tbENKUlT_T0_SG_SL_E_clIS7_S7_SB_SB_EEDaSZ_S10_SG_SL_EUlSZ_E_NS1_11comp_targetILNS1_3genE4ELNS1_11target_archE910ELNS1_3gpuE8ELNS1_3repE0EEENS1_47radix_sort_onesweep_sort_config_static_selectorELNS0_4arch9wavefront6targetE1EEEvSG_ ; -- Begin function _ZN7rocprim17ROCPRIM_400000_NS6detail17trampoline_kernelINS0_14default_configENS1_35radix_sort_onesweep_config_selectorIilEEZZNS1_29radix_sort_onesweep_iterationIS3_Lb0EPiS7_N6thrust23THRUST_200600_302600_NS10device_ptrIlEESB_jNS0_19identity_decomposerENS1_16block_id_wrapperIjLb0EEEEE10hipError_tT1_PNSt15iterator_traitsISG_E10value_typeET2_T3_PNSH_ISM_E10value_typeET4_T5_PSR_SS_PNS1_23onesweep_lookback_stateEbbT6_jjT7_P12ihipStream_tbENKUlT_T0_SG_SL_E_clIS7_S7_SB_SB_EEDaSZ_S10_SG_SL_EUlSZ_E_NS1_11comp_targetILNS1_3genE4ELNS1_11target_archE910ELNS1_3gpuE8ELNS1_3repE0EEENS1_47radix_sort_onesweep_sort_config_static_selectorELNS0_4arch9wavefront6targetE1EEEvSG_
	.globl	_ZN7rocprim17ROCPRIM_400000_NS6detail17trampoline_kernelINS0_14default_configENS1_35radix_sort_onesweep_config_selectorIilEEZZNS1_29radix_sort_onesweep_iterationIS3_Lb0EPiS7_N6thrust23THRUST_200600_302600_NS10device_ptrIlEESB_jNS0_19identity_decomposerENS1_16block_id_wrapperIjLb0EEEEE10hipError_tT1_PNSt15iterator_traitsISG_E10value_typeET2_T3_PNSH_ISM_E10value_typeET4_T5_PSR_SS_PNS1_23onesweep_lookback_stateEbbT6_jjT7_P12ihipStream_tbENKUlT_T0_SG_SL_E_clIS7_S7_SB_SB_EEDaSZ_S10_SG_SL_EUlSZ_E_NS1_11comp_targetILNS1_3genE4ELNS1_11target_archE910ELNS1_3gpuE8ELNS1_3repE0EEENS1_47radix_sort_onesweep_sort_config_static_selectorELNS0_4arch9wavefront6targetE1EEEvSG_
	.p2align	8
	.type	_ZN7rocprim17ROCPRIM_400000_NS6detail17trampoline_kernelINS0_14default_configENS1_35radix_sort_onesweep_config_selectorIilEEZZNS1_29radix_sort_onesweep_iterationIS3_Lb0EPiS7_N6thrust23THRUST_200600_302600_NS10device_ptrIlEESB_jNS0_19identity_decomposerENS1_16block_id_wrapperIjLb0EEEEE10hipError_tT1_PNSt15iterator_traitsISG_E10value_typeET2_T3_PNSH_ISM_E10value_typeET4_T5_PSR_SS_PNS1_23onesweep_lookback_stateEbbT6_jjT7_P12ihipStream_tbENKUlT_T0_SG_SL_E_clIS7_S7_SB_SB_EEDaSZ_S10_SG_SL_EUlSZ_E_NS1_11comp_targetILNS1_3genE4ELNS1_11target_archE910ELNS1_3gpuE8ELNS1_3repE0EEENS1_47radix_sort_onesweep_sort_config_static_selectorELNS0_4arch9wavefront6targetE1EEEvSG_,@function
_ZN7rocprim17ROCPRIM_400000_NS6detail17trampoline_kernelINS0_14default_configENS1_35radix_sort_onesweep_config_selectorIilEEZZNS1_29radix_sort_onesweep_iterationIS3_Lb0EPiS7_N6thrust23THRUST_200600_302600_NS10device_ptrIlEESB_jNS0_19identity_decomposerENS1_16block_id_wrapperIjLb0EEEEE10hipError_tT1_PNSt15iterator_traitsISG_E10value_typeET2_T3_PNSH_ISM_E10value_typeET4_T5_PSR_SS_PNS1_23onesweep_lookback_stateEbbT6_jjT7_P12ihipStream_tbENKUlT_T0_SG_SL_E_clIS7_S7_SB_SB_EEDaSZ_S10_SG_SL_EUlSZ_E_NS1_11comp_targetILNS1_3genE4ELNS1_11target_archE910ELNS1_3gpuE8ELNS1_3repE0EEENS1_47radix_sort_onesweep_sort_config_static_selectorELNS0_4arch9wavefront6targetE1EEEvSG_: ; @_ZN7rocprim17ROCPRIM_400000_NS6detail17trampoline_kernelINS0_14default_configENS1_35radix_sort_onesweep_config_selectorIilEEZZNS1_29radix_sort_onesweep_iterationIS3_Lb0EPiS7_N6thrust23THRUST_200600_302600_NS10device_ptrIlEESB_jNS0_19identity_decomposerENS1_16block_id_wrapperIjLb0EEEEE10hipError_tT1_PNSt15iterator_traitsISG_E10value_typeET2_T3_PNSH_ISM_E10value_typeET4_T5_PSR_SS_PNS1_23onesweep_lookback_stateEbbT6_jjT7_P12ihipStream_tbENKUlT_T0_SG_SL_E_clIS7_S7_SB_SB_EEDaSZ_S10_SG_SL_EUlSZ_E_NS1_11comp_targetILNS1_3genE4ELNS1_11target_archE910ELNS1_3gpuE8ELNS1_3repE0EEENS1_47radix_sort_onesweep_sort_config_static_selectorELNS0_4arch9wavefront6targetE1EEEvSG_
; %bb.0:
	s_load_dwordx8 s[40:47], s[4:5], 0x0
	s_load_dwordx4 s[52:55], s[4:5], 0x44
	s_load_dwordx4 s[48:51], s[4:5], 0x28
	s_load_dwordx2 s[56:57], s[4:5], 0x38
	v_mbcnt_lo_u32_b32 v1, -1, 0
	s_waitcnt lgkmcnt(0)
	s_cmp_ge_u32 s6, s54
	s_cbranch_scc0 .LBB897_95
; %bb.1:
	s_load_dword s0, s[4:5], 0x20
	s_lshl_b32 s1, s54, 13
	s_lshl_b32 s54, s6, 13
	s_mov_b32 s55, 0
	v_and_b32_e32 v18, 0x3ff, v0
	s_waitcnt lgkmcnt(0)
	s_sub_i32 s7, s0, s1
	s_lshl_b64 s[0:1], s[54:55], 2
	v_mbcnt_hi_u32_b32 v6, -1, v1
	s_add_u32 s0, s40, s0
	v_and_b32_e32 v22, 63, v6
	v_lshlrev_b32_e32 v2, 4, v18
	s_addc_u32 s1, s41, s1
	v_and_b32_e32 v19, 0x1c00, v2
	v_lshlrev_b32_e32 v2, 2, v22
	v_mov_b32_e32 v3, s1
	v_add_co_u32_e32 v2, vcc, s0, v2
	v_addc_co_u32_e32 v3, vcc, 0, v3, vcc
	v_lshlrev_b32_e32 v4, 2, v19
	v_add_co_u32_e32 v2, vcc, v2, v4
	v_addc_co_u32_e32 v3, vcc, 0, v3, vcc
	v_or_b32_e32 v5, v22, v19
	v_cmp_gt_u32_e32 vcc, s7, v5
	v_bfrev_b32_e32 v9, -2
	v_bfrev_b32_e32 v4, -2
	s_and_saveexec_b64 s[0:1], vcc
	s_cbranch_execz .LBB897_3
; %bb.2:
	global_load_dword v4, v[2:3], off
.LBB897_3:
	s_or_b64 exec, exec, s[0:1]
	v_or_b32_e32 v7, 64, v5
	v_cmp_gt_u32_e64 s[36:37], s7, v7
	s_and_saveexec_b64 s[0:1], s[36:37]
	s_cbranch_execz .LBB897_5
; %bb.4:
	global_load_dword v9, v[2:3], off offset:256
.LBB897_5:
	s_or_b64 exec, exec, s[0:1]
	v_or_b32_e32 v7, 0x80, v5
	v_cmp_gt_u32_e64 s[10:11], s7, v7
	v_bfrev_b32_e32 v16, -2
	v_bfrev_b32_e32 v11, -2
	s_and_saveexec_b64 s[0:1], s[10:11]
	s_cbranch_execz .LBB897_7
; %bb.6:
	global_load_dword v11, v[2:3], off offset:512
.LBB897_7:
	s_or_b64 exec, exec, s[0:1]
	v_or_b32_e32 v7, 0xc0, v5
	v_cmp_gt_u32_e64 s[14:15], s7, v7
	s_and_saveexec_b64 s[0:1], s[14:15]
	s_cbranch_execz .LBB897_9
; %bb.8:
	global_load_dword v16, v[2:3], off offset:768
.LBB897_9:
	s_or_b64 exec, exec, s[0:1]
	v_or_b32_e32 v7, 0x100, v5
	v_cmp_gt_u32_e64 s[16:17], s7, v7
	v_bfrev_b32_e32 v28, -2
	v_bfrev_b32_e32 v27, -2
	s_and_saveexec_b64 s[0:1], s[16:17]
	s_cbranch_execz .LBB897_11
; %bb.10:
	global_load_dword v27, v[2:3], off offset:1024
.LBB897_11:
	s_or_b64 exec, exec, s[0:1]
	v_or_b32_e32 v7, 0x140, v5
	v_cmp_gt_u32_e64 s[20:21], s7, v7
	s_and_saveexec_b64 s[0:1], s[20:21]
	s_cbranch_execz .LBB897_13
; %bb.12:
	global_load_dword v28, v[2:3], off offset:1280
.LBB897_13:
	s_or_b64 exec, exec, s[0:1]
	v_or_b32_e32 v7, 0x180, v5
	v_cmp_gt_u32_e64 s[24:25], s7, v7
	v_bfrev_b32_e32 v33, -2
	v_bfrev_b32_e32 v29, -2
	s_and_saveexec_b64 s[0:1], s[24:25]
	s_cbranch_execz .LBB897_15
; %bb.14:
	global_load_dword v29, v[2:3], off offset:1536
.LBB897_15:
	s_or_b64 exec, exec, s[0:1]
	v_or_b32_e32 v7, 0x1c0, v5
	v_cmp_gt_u32_e64 s[28:29], s7, v7
	s_and_saveexec_b64 s[0:1], s[28:29]
	s_cbranch_execz .LBB897_17
; %bb.16:
	global_load_dword v33, v[2:3], off offset:1792
.LBB897_17:
	s_or_b64 exec, exec, s[0:1]
	v_or_b32_e32 v7, 0x200, v5
	v_cmp_gt_u32_e64 s[30:31], s7, v7
	v_bfrev_b32_e32 v43, -2
	v_bfrev_b32_e32 v38, -2
	s_and_saveexec_b64 s[0:1], s[30:31]
	s_cbranch_execz .LBB897_19
; %bb.18:
	global_load_dword v38, v[2:3], off offset:2048
.LBB897_19:
	s_or_b64 exec, exec, s[0:1]
	v_or_b32_e32 v7, 0x240, v5
	v_cmp_gt_u32_e64 s[26:27], s7, v7
	s_and_saveexec_b64 s[0:1], s[26:27]
	s_cbranch_execz .LBB897_21
; %bb.20:
	global_load_dword v43, v[2:3], off offset:2304
.LBB897_21:
	s_or_b64 exec, exec, s[0:1]
	v_or_b32_e32 v7, 0x280, v5
	v_cmp_gt_u32_e64 s[22:23], s7, v7
	v_bfrev_b32_e32 v42, -2
	v_bfrev_b32_e32 v47, -2
	s_and_saveexec_b64 s[0:1], s[22:23]
	s_cbranch_execz .LBB897_23
; %bb.22:
	global_load_dword v47, v[2:3], off offset:2560
.LBB897_23:
	s_or_b64 exec, exec, s[0:1]
	v_or_b32_e32 v7, 0x2c0, v5
	v_cmp_gt_u32_e64 s[18:19], s7, v7
	s_and_saveexec_b64 s[0:1], s[18:19]
	s_cbranch_execz .LBB897_25
; %bb.24:
	global_load_dword v42, v[2:3], off offset:2816
.LBB897_25:
	s_or_b64 exec, exec, s[0:1]
	v_or_b32_e32 v7, 0x300, v5
	v_cmp_gt_u32_e64 s[12:13], s7, v7
	v_bfrev_b32_e32 v32, -2
	v_bfrev_b32_e32 v37, -2
	s_and_saveexec_b64 s[0:1], s[12:13]
	s_cbranch_execz .LBB897_27
; %bb.26:
	global_load_dword v37, v[2:3], off offset:3072
.LBB897_27:
	s_or_b64 exec, exec, s[0:1]
	v_or_b32_e32 v7, 0x340, v5
	v_cmp_gt_u32_e64 s[8:9], s7, v7
	s_and_saveexec_b64 s[0:1], s[8:9]
	s_cbranch_execz .LBB897_29
; %bb.28:
	global_load_dword v32, v[2:3], off offset:3328
.LBB897_29:
	s_or_b64 exec, exec, s[0:1]
	v_or_b32_e32 v7, 0x380, v5
	v_cmp_gt_u32_e64 s[2:3], s7, v7
	v_bfrev_b32_e32 v15, -2
	v_bfrev_b32_e32 v21, -2
	s_and_saveexec_b64 s[0:1], s[2:3]
	s_cbranch_execz .LBB897_31
; %bb.30:
	global_load_dword v21, v[2:3], off offset:3584
.LBB897_31:
	s_or_b64 exec, exec, s[0:1]
	v_or_b32_e32 v5, 0x3c0, v5
	v_cmp_gt_u32_e64 s[0:1], s7, v5
	s_and_saveexec_b64 s[34:35], s[0:1]
	s_cbranch_execz .LBB897_33
; %bb.32:
	global_load_dword v15, v[2:3], off offset:3840
.LBB897_33:
	s_or_b64 exec, exec, s[34:35]
	s_load_dword s34, s[4:5], 0x64
	s_load_dword s33, s[4:5], 0x58
	s_add_u32 s35, s4, 0x58
	s_addc_u32 s38, s5, 0
	v_mov_b32_e32 v2, 0
	s_waitcnt lgkmcnt(0)
	s_lshr_b32 s39, s34, 16
	s_cmp_lt_u32 s6, s33
	s_cselect_b32 s34, 12, 18
	s_add_u32 s34, s35, s34
	s_addc_u32 s35, s38, 0
	global_load_ushort v5, v2, s[34:35]
	s_waitcnt vmcnt(1)
	v_xor_b32_e32 v23, 0x80000000, v4
	s_lshl_b32 s34, -1, s53
	v_lshrrev_b32_e32 v8, s52, v23
	s_not_b32 s66, s34
	v_and_b32_e32 v8, s66, v8
	v_and_b32_e32 v12, 1, v8
	v_bfe_u32 v3, v0, 10, 10
	v_bfe_u32 v4, v0, 20, 10
	v_add_co_u32_e64 v13, s[34:35], -1, v12
	v_mad_u32_u24 v4, v4, s39, v3
	v_lshlrev_b32_e32 v3, 30, v8
	v_addc_co_u32_e64 v14, s[34:35], 0, -1, s[34:35]
	v_cmp_ne_u32_e64 s[34:35], 0, v12
	v_cmp_gt_i64_e64 s[38:39], 0, v[2:3]
	v_not_b32_e32 v12, v3
	v_lshlrev_b32_e32 v3, 29, v8
	v_xor_b32_e32 v14, s35, v14
	v_xor_b32_e32 v13, s34, v13
	v_ashrrev_i32_e32 v12, 31, v12
	v_cmp_gt_i64_e64 s[34:35], 0, v[2:3]
	v_not_b32_e32 v17, v3
	v_lshlrev_b32_e32 v3, 28, v8
	v_and_b32_e32 v14, exec_hi, v14
	v_and_b32_e32 v13, exec_lo, v13
	v_xor_b32_e32 v20, s39, v12
	v_xor_b32_e32 v12, s38, v12
	v_ashrrev_i32_e32 v17, 31, v17
	v_cmp_gt_i64_e64 s[38:39], 0, v[2:3]
	v_not_b32_e32 v24, v3
	v_lshlrev_b32_e32 v3, 27, v8
	v_and_b32_e32 v14, v14, v20
	v_and_b32_e32 v12, v13, v12
	v_xor_b32_e32 v13, s35, v17
	v_xor_b32_e32 v17, s34, v17
	v_ashrrev_i32_e32 v20, 31, v24
	v_cmp_gt_i64_e64 s[34:35], 0, v[2:3]
	v_not_b32_e32 v24, v3
	v_lshlrev_b32_e32 v3, 26, v8
	v_and_b32_e32 v13, v14, v13
	v_and_b32_e32 v12, v12, v17
	;; [unrolled: 8-line block ×3, first 2 shown]
	v_xor_b32_e32 v14, s35, v20
	v_xor_b32_e32 v17, s34, v20
	v_ashrrev_i32_e32 v20, 31, v24
	v_cmp_gt_i64_e64 s[34:35], 0, v[2:3]
	v_not_b32_e32 v24, v3
	v_lshlrev_b32_e32 v3, 24, v8
	v_lshl_add_u32 v10, v8, 3, v8
	v_and_b32_e32 v8, v13, v14
	v_and_b32_e32 v12, v12, v17
	v_xor_b32_e32 v13, s39, v20
	v_xor_b32_e32 v14, s38, v20
	v_ashrrev_i32_e32 v17, 31, v24
	v_cmp_gt_i64_e64 s[38:39], 0, v[2:3]
	v_not_b32_e32 v3, v3
	v_and_b32_e32 v8, v8, v13
	v_and_b32_e32 v12, v12, v14
	v_xor_b32_e32 v13, s35, v17
	v_xor_b32_e32 v14, s34, v17
	v_ashrrev_i32_e32 v3, 31, v3
	v_and_b32_e32 v8, v8, v13
	v_and_b32_e32 v13, v12, v14
	v_mul_u32_u24_e32 v7, 5, v18
	v_lshlrev_b32_e32 v7, 2, v7
	ds_write2_b32 v7, v2, v2 offset0:8 offset1:9
	ds_write2_b32 v7, v2, v2 offset0:10 offset1:11
	ds_write_b32 v7, v2 offset:48
	s_waitcnt lgkmcnt(0)
	s_barrier
	s_waitcnt lgkmcnt(0)
	; wave barrier
	s_waitcnt vmcnt(0)
	v_mad_u64_u32 v[4:5], s[34:35], v4, v5, v[18:19]
	v_lshrrev_b32_e32 v31, 6, v4
	v_xor_b32_e32 v4, s39, v3
	v_xor_b32_e32 v3, s38, v3
	v_and_b32_e32 v5, v8, v4
	v_and_b32_e32 v4, v13, v3
	v_mbcnt_lo_u32_b32 v3, v4, 0
	v_mbcnt_hi_u32_b32 v8, v5, v3
	v_cmp_eq_u32_e64 s[34:35], 0, v8
	v_cmp_ne_u64_e64 s[38:39], 0, v[4:5]
	v_add_lshl_u32 v12, v31, v10, 2
	s_and_b64 s[38:39], s[38:39], s[34:35]
	s_and_saveexec_b64 s[34:35], s[38:39]
	s_cbranch_execz .LBB897_35
; %bb.34:
	v_bcnt_u32_b32 v3, v4, 0
	v_bcnt_u32_b32 v3, v5, v3
	ds_write_b32 v12, v3 offset:32
.LBB897_35:
	s_or_b64 exec, exec, s[34:35]
	v_xor_b32_e32 v24, 0x80000000, v9
	v_lshrrev_b32_e32 v3, s52, v24
	v_and_b32_e32 v4, s66, v3
	v_lshl_add_u32 v3, v4, 3, v4
	v_add_lshl_u32 v13, v31, v3, 2
	v_and_b32_e32 v3, 1, v4
	v_add_co_u32_e64 v5, s[34:35], -1, v3
	v_addc_co_u32_e64 v10, s[34:35], 0, -1, s[34:35]
	v_cmp_ne_u32_e64 s[34:35], 0, v3
	v_xor_b32_e32 v3, s35, v10
	v_and_b32_e32 v10, exec_hi, v3
	v_lshlrev_b32_e32 v3, 30, v4
	v_xor_b32_e32 v5, s34, v5
	v_cmp_gt_i64_e64 s[34:35], 0, v[2:3]
	v_not_b32_e32 v3, v3
	v_ashrrev_i32_e32 v3, 31, v3
	v_and_b32_e32 v5, exec_lo, v5
	v_xor_b32_e32 v14, s35, v3
	v_xor_b32_e32 v3, s34, v3
	v_and_b32_e32 v5, v5, v3
	v_lshlrev_b32_e32 v3, 29, v4
	v_cmp_gt_i64_e64 s[34:35], 0, v[2:3]
	v_not_b32_e32 v3, v3
	v_ashrrev_i32_e32 v3, 31, v3
	v_and_b32_e32 v10, v10, v14
	v_xor_b32_e32 v14, s35, v3
	v_xor_b32_e32 v3, s34, v3
	v_and_b32_e32 v5, v5, v3
	v_lshlrev_b32_e32 v3, 28, v4
	v_cmp_gt_i64_e64 s[34:35], 0, v[2:3]
	v_not_b32_e32 v3, v3
	v_ashrrev_i32_e32 v3, 31, v3
	v_and_b32_e32 v10, v10, v14
	;; [unrolled: 8-line block ×5, first 2 shown]
	v_xor_b32_e32 v14, s35, v3
	v_xor_b32_e32 v3, s34, v3
	v_and_b32_e32 v5, v5, v3
	v_lshlrev_b32_e32 v3, 24, v4
	v_cmp_gt_i64_e64 s[34:35], 0, v[2:3]
	v_not_b32_e32 v2, v3
	v_ashrrev_i32_e32 v2, 31, v2
	v_xor_b32_e32 v3, s35, v2
	v_xor_b32_e32 v2, s34, v2
	; wave barrier
	ds_read_b32 v9, v13 offset:32
	v_and_b32_e32 v10, v10, v14
	v_and_b32_e32 v2, v5, v2
	;; [unrolled: 1-line block ×3, first 2 shown]
	v_mbcnt_lo_u32_b32 v4, v2, 0
	v_mbcnt_hi_u32_b32 v10, v3, v4
	v_cmp_eq_u32_e64 s[34:35], 0, v10
	v_cmp_ne_u64_e64 s[38:39], 0, v[2:3]
	s_and_b64 s[38:39], s[38:39], s[34:35]
	; wave barrier
	s_and_saveexec_b64 s[34:35], s[38:39]
	s_cbranch_execz .LBB897_37
; %bb.36:
	v_bcnt_u32_b32 v2, v2, 0
	v_bcnt_u32_b32 v2, v3, v2
	s_waitcnt lgkmcnt(0)
	v_add_u32_e32 v2, v9, v2
	ds_write_b32 v13, v2 offset:32
.LBB897_37:
	s_or_b64 exec, exec, s[34:35]
	v_xor_b32_e32 v25, 0x80000000, v11
	v_lshrrev_b32_e32 v2, s52, v25
	v_and_b32_e32 v4, s66, v2
	v_and_b32_e32 v3, 1, v4
	v_add_co_u32_e64 v5, s[34:35], -1, v3
	v_addc_co_u32_e64 v14, s[34:35], 0, -1, s[34:35]
	v_cmp_ne_u32_e64 s[34:35], 0, v3
	v_lshl_add_u32 v2, v4, 3, v4
	v_xor_b32_e32 v3, s35, v14
	v_add_lshl_u32 v17, v31, v2, 2
	v_mov_b32_e32 v2, 0
	v_and_b32_e32 v14, exec_hi, v3
	v_lshlrev_b32_e32 v3, 30, v4
	v_xor_b32_e32 v5, s34, v5
	v_cmp_gt_i64_e64 s[34:35], 0, v[2:3]
	v_not_b32_e32 v3, v3
	v_ashrrev_i32_e32 v3, 31, v3
	v_and_b32_e32 v5, exec_lo, v5
	v_xor_b32_e32 v20, s35, v3
	v_xor_b32_e32 v3, s34, v3
	v_and_b32_e32 v5, v5, v3
	v_lshlrev_b32_e32 v3, 29, v4
	v_cmp_gt_i64_e64 s[34:35], 0, v[2:3]
	v_not_b32_e32 v3, v3
	v_ashrrev_i32_e32 v3, 31, v3
	v_and_b32_e32 v14, v14, v20
	v_xor_b32_e32 v20, s35, v3
	v_xor_b32_e32 v3, s34, v3
	v_and_b32_e32 v5, v5, v3
	v_lshlrev_b32_e32 v3, 28, v4
	v_cmp_gt_i64_e64 s[34:35], 0, v[2:3]
	v_not_b32_e32 v3, v3
	v_ashrrev_i32_e32 v3, 31, v3
	v_and_b32_e32 v14, v14, v20
	;; [unrolled: 8-line block ×5, first 2 shown]
	v_xor_b32_e32 v20, s35, v3
	v_xor_b32_e32 v3, s34, v3
	v_and_b32_e32 v14, v14, v20
	v_and_b32_e32 v20, v5, v3
	v_lshlrev_b32_e32 v3, 24, v4
	v_cmp_gt_i64_e64 s[34:35], 0, v[2:3]
	v_not_b32_e32 v3, v3
	v_ashrrev_i32_e32 v3, 31, v3
	v_xor_b32_e32 v4, s35, v3
	v_xor_b32_e32 v3, s34, v3
	; wave barrier
	ds_read_b32 v11, v17 offset:32
	v_and_b32_e32 v5, v14, v4
	v_and_b32_e32 v4, v20, v3
	v_mbcnt_lo_u32_b32 v3, v4, 0
	v_mbcnt_hi_u32_b32 v14, v5, v3
	v_cmp_eq_u32_e64 s[34:35], 0, v14
	v_cmp_ne_u64_e64 s[38:39], 0, v[4:5]
	s_and_b64 s[38:39], s[38:39], s[34:35]
	; wave barrier
	s_and_saveexec_b64 s[34:35], s[38:39]
	s_cbranch_execz .LBB897_39
; %bb.38:
	v_bcnt_u32_b32 v3, v4, 0
	v_bcnt_u32_b32 v3, v5, v3
	s_waitcnt lgkmcnt(0)
	v_add_u32_e32 v3, v11, v3
	ds_write_b32 v17, v3 offset:32
.LBB897_39:
	s_or_b64 exec, exec, s[34:35]
	v_xor_b32_e32 v26, 0x80000000, v16
	v_lshrrev_b32_e32 v3, s52, v26
	v_and_b32_e32 v4, s66, v3
	v_lshl_add_u32 v3, v4, 3, v4
	v_add_lshl_u32 v34, v31, v3, 2
	v_and_b32_e32 v3, 1, v4
	v_add_co_u32_e64 v5, s[34:35], -1, v3
	v_addc_co_u32_e64 v20, s[34:35], 0, -1, s[34:35]
	v_cmp_ne_u32_e64 s[34:35], 0, v3
	v_xor_b32_e32 v3, s35, v20
	v_and_b32_e32 v20, exec_hi, v3
	v_lshlrev_b32_e32 v3, 30, v4
	v_xor_b32_e32 v5, s34, v5
	v_cmp_gt_i64_e64 s[34:35], 0, v[2:3]
	v_not_b32_e32 v3, v3
	v_ashrrev_i32_e32 v3, 31, v3
	v_and_b32_e32 v5, exec_lo, v5
	v_xor_b32_e32 v30, s35, v3
	v_xor_b32_e32 v3, s34, v3
	v_and_b32_e32 v5, v5, v3
	v_lshlrev_b32_e32 v3, 29, v4
	v_cmp_gt_i64_e64 s[34:35], 0, v[2:3]
	v_not_b32_e32 v3, v3
	v_ashrrev_i32_e32 v3, 31, v3
	v_and_b32_e32 v20, v20, v30
	v_xor_b32_e32 v30, s35, v3
	v_xor_b32_e32 v3, s34, v3
	v_and_b32_e32 v5, v5, v3
	v_lshlrev_b32_e32 v3, 28, v4
	v_cmp_gt_i64_e64 s[34:35], 0, v[2:3]
	v_not_b32_e32 v3, v3
	v_ashrrev_i32_e32 v3, 31, v3
	v_and_b32_e32 v20, v20, v30
	;; [unrolled: 8-line block ×5, first 2 shown]
	v_xor_b32_e32 v30, s35, v3
	v_xor_b32_e32 v3, s34, v3
	v_and_b32_e32 v5, v5, v3
	v_lshlrev_b32_e32 v3, 24, v4
	v_cmp_gt_i64_e64 s[34:35], 0, v[2:3]
	v_not_b32_e32 v2, v3
	v_ashrrev_i32_e32 v2, 31, v2
	v_xor_b32_e32 v3, s35, v2
	v_xor_b32_e32 v2, s34, v2
	; wave barrier
	ds_read_b32 v16, v34 offset:32
	v_and_b32_e32 v20, v20, v30
	v_and_b32_e32 v2, v5, v2
	;; [unrolled: 1-line block ×3, first 2 shown]
	v_mbcnt_lo_u32_b32 v4, v2, 0
	v_mbcnt_hi_u32_b32 v20, v3, v4
	v_cmp_eq_u32_e64 s[34:35], 0, v20
	v_cmp_ne_u64_e64 s[38:39], 0, v[2:3]
	s_and_b64 s[38:39], s[38:39], s[34:35]
	; wave barrier
	s_and_saveexec_b64 s[34:35], s[38:39]
	s_cbranch_execz .LBB897_41
; %bb.40:
	v_bcnt_u32_b32 v2, v2, 0
	v_bcnt_u32_b32 v2, v3, v2
	s_waitcnt lgkmcnt(0)
	v_add_u32_e32 v2, v16, v2
	ds_write_b32 v34, v2 offset:32
.LBB897_41:
	s_or_b64 exec, exec, s[34:35]
	v_xor_b32_e32 v27, 0x80000000, v27
	v_lshrrev_b32_e32 v2, s52, v27
	v_and_b32_e32 v4, s66, v2
	v_and_b32_e32 v3, 1, v4
	v_add_co_u32_e64 v5, s[34:35], -1, v3
	v_addc_co_u32_e64 v35, s[34:35], 0, -1, s[34:35]
	v_cmp_ne_u32_e64 s[34:35], 0, v3
	v_lshl_add_u32 v2, v4, 3, v4
	v_xor_b32_e32 v3, s35, v35
	v_add_lshl_u32 v39, v31, v2, 2
	v_mov_b32_e32 v2, 0
	v_and_b32_e32 v35, exec_hi, v3
	v_lshlrev_b32_e32 v3, 30, v4
	v_xor_b32_e32 v5, s34, v5
	v_cmp_gt_i64_e64 s[34:35], 0, v[2:3]
	v_not_b32_e32 v3, v3
	v_ashrrev_i32_e32 v3, 31, v3
	v_and_b32_e32 v5, exec_lo, v5
	v_xor_b32_e32 v36, s35, v3
	v_xor_b32_e32 v3, s34, v3
	v_and_b32_e32 v5, v5, v3
	v_lshlrev_b32_e32 v3, 29, v4
	v_cmp_gt_i64_e64 s[34:35], 0, v[2:3]
	v_not_b32_e32 v3, v3
	v_ashrrev_i32_e32 v3, 31, v3
	v_and_b32_e32 v35, v35, v36
	v_xor_b32_e32 v36, s35, v3
	v_xor_b32_e32 v3, s34, v3
	v_and_b32_e32 v5, v5, v3
	v_lshlrev_b32_e32 v3, 28, v4
	v_cmp_gt_i64_e64 s[34:35], 0, v[2:3]
	v_not_b32_e32 v3, v3
	v_ashrrev_i32_e32 v3, 31, v3
	v_and_b32_e32 v35, v35, v36
	;; [unrolled: 8-line block ×5, first 2 shown]
	v_xor_b32_e32 v36, s35, v3
	v_xor_b32_e32 v3, s34, v3
	v_and_b32_e32 v35, v35, v36
	v_and_b32_e32 v36, v5, v3
	v_lshlrev_b32_e32 v3, 24, v4
	v_cmp_gt_i64_e64 s[34:35], 0, v[2:3]
	v_not_b32_e32 v3, v3
	v_ashrrev_i32_e32 v3, 31, v3
	v_xor_b32_e32 v4, s35, v3
	v_xor_b32_e32 v3, s34, v3
	; wave barrier
	ds_read_b32 v30, v39 offset:32
	v_and_b32_e32 v5, v35, v4
	v_and_b32_e32 v4, v36, v3
	v_mbcnt_lo_u32_b32 v3, v4, 0
	v_mbcnt_hi_u32_b32 v35, v5, v3
	v_cmp_eq_u32_e64 s[34:35], 0, v35
	v_cmp_ne_u64_e64 s[38:39], 0, v[4:5]
	s_and_b64 s[38:39], s[38:39], s[34:35]
	; wave barrier
	s_and_saveexec_b64 s[34:35], s[38:39]
	s_cbranch_execz .LBB897_43
; %bb.42:
	v_bcnt_u32_b32 v3, v4, 0
	v_bcnt_u32_b32 v3, v5, v3
	s_waitcnt lgkmcnt(0)
	v_add_u32_e32 v3, v30, v3
	ds_write_b32 v39, v3 offset:32
.LBB897_43:
	s_or_b64 exec, exec, s[34:35]
	v_xor_b32_e32 v28, 0x80000000, v28
	v_lshrrev_b32_e32 v3, s52, v28
	v_and_b32_e32 v4, s66, v3
	v_lshl_add_u32 v3, v4, 3, v4
	v_add_lshl_u32 v44, v31, v3, 2
	v_and_b32_e32 v3, 1, v4
	v_add_co_u32_e64 v5, s[34:35], -1, v3
	v_addc_co_u32_e64 v40, s[34:35], 0, -1, s[34:35]
	v_cmp_ne_u32_e64 s[34:35], 0, v3
	v_xor_b32_e32 v3, s35, v40
	v_and_b32_e32 v40, exec_hi, v3
	v_lshlrev_b32_e32 v3, 30, v4
	v_xor_b32_e32 v5, s34, v5
	v_cmp_gt_i64_e64 s[34:35], 0, v[2:3]
	v_not_b32_e32 v3, v3
	v_ashrrev_i32_e32 v3, 31, v3
	v_and_b32_e32 v5, exec_lo, v5
	v_xor_b32_e32 v41, s35, v3
	v_xor_b32_e32 v3, s34, v3
	v_and_b32_e32 v5, v5, v3
	v_lshlrev_b32_e32 v3, 29, v4
	v_cmp_gt_i64_e64 s[34:35], 0, v[2:3]
	v_not_b32_e32 v3, v3
	v_ashrrev_i32_e32 v3, 31, v3
	v_and_b32_e32 v40, v40, v41
	v_xor_b32_e32 v41, s35, v3
	v_xor_b32_e32 v3, s34, v3
	v_and_b32_e32 v5, v5, v3
	v_lshlrev_b32_e32 v3, 28, v4
	v_cmp_gt_i64_e64 s[34:35], 0, v[2:3]
	v_not_b32_e32 v3, v3
	v_ashrrev_i32_e32 v3, 31, v3
	v_and_b32_e32 v40, v40, v41
	;; [unrolled: 8-line block ×5, first 2 shown]
	v_xor_b32_e32 v41, s35, v3
	v_xor_b32_e32 v3, s34, v3
	v_and_b32_e32 v5, v5, v3
	v_lshlrev_b32_e32 v3, 24, v4
	v_cmp_gt_i64_e64 s[34:35], 0, v[2:3]
	v_not_b32_e32 v2, v3
	v_ashrrev_i32_e32 v2, 31, v2
	v_xor_b32_e32 v3, s35, v2
	v_xor_b32_e32 v2, s34, v2
	; wave barrier
	ds_read_b32 v36, v44 offset:32
	v_and_b32_e32 v40, v40, v41
	v_and_b32_e32 v2, v5, v2
	;; [unrolled: 1-line block ×3, first 2 shown]
	v_mbcnt_lo_u32_b32 v4, v2, 0
	v_mbcnt_hi_u32_b32 v40, v3, v4
	v_cmp_eq_u32_e64 s[34:35], 0, v40
	v_cmp_ne_u64_e64 s[38:39], 0, v[2:3]
	s_and_b64 s[38:39], s[38:39], s[34:35]
	; wave barrier
	s_and_saveexec_b64 s[34:35], s[38:39]
	s_cbranch_execz .LBB897_45
; %bb.44:
	v_bcnt_u32_b32 v2, v2, 0
	v_bcnt_u32_b32 v2, v3, v2
	s_waitcnt lgkmcnt(0)
	v_add_u32_e32 v2, v36, v2
	ds_write_b32 v44, v2 offset:32
.LBB897_45:
	s_or_b64 exec, exec, s[34:35]
	v_xor_b32_e32 v29, 0x80000000, v29
	v_lshrrev_b32_e32 v2, s52, v29
	v_and_b32_e32 v4, s66, v2
	v_and_b32_e32 v3, 1, v4
	v_add_co_u32_e64 v5, s[34:35], -1, v3
	v_addc_co_u32_e64 v45, s[34:35], 0, -1, s[34:35]
	v_cmp_ne_u32_e64 s[34:35], 0, v3
	v_lshl_add_u32 v2, v4, 3, v4
	v_xor_b32_e32 v3, s35, v45
	v_add_lshl_u32 v48, v31, v2, 2
	v_mov_b32_e32 v2, 0
	v_and_b32_e32 v45, exec_hi, v3
	v_lshlrev_b32_e32 v3, 30, v4
	v_xor_b32_e32 v5, s34, v5
	v_cmp_gt_i64_e64 s[34:35], 0, v[2:3]
	v_not_b32_e32 v3, v3
	v_ashrrev_i32_e32 v3, 31, v3
	v_and_b32_e32 v5, exec_lo, v5
	v_xor_b32_e32 v46, s35, v3
	v_xor_b32_e32 v3, s34, v3
	v_and_b32_e32 v5, v5, v3
	v_lshlrev_b32_e32 v3, 29, v4
	v_cmp_gt_i64_e64 s[34:35], 0, v[2:3]
	v_not_b32_e32 v3, v3
	v_ashrrev_i32_e32 v3, 31, v3
	v_and_b32_e32 v45, v45, v46
	v_xor_b32_e32 v46, s35, v3
	v_xor_b32_e32 v3, s34, v3
	v_and_b32_e32 v5, v5, v3
	v_lshlrev_b32_e32 v3, 28, v4
	v_cmp_gt_i64_e64 s[34:35], 0, v[2:3]
	v_not_b32_e32 v3, v3
	v_ashrrev_i32_e32 v3, 31, v3
	v_and_b32_e32 v45, v45, v46
	;; [unrolled: 8-line block ×5, first 2 shown]
	v_xor_b32_e32 v46, s35, v3
	v_xor_b32_e32 v3, s34, v3
	v_and_b32_e32 v45, v45, v46
	v_and_b32_e32 v46, v5, v3
	v_lshlrev_b32_e32 v3, 24, v4
	v_cmp_gt_i64_e64 s[34:35], 0, v[2:3]
	v_not_b32_e32 v3, v3
	v_ashrrev_i32_e32 v3, 31, v3
	v_xor_b32_e32 v4, s35, v3
	v_xor_b32_e32 v3, s34, v3
	; wave barrier
	ds_read_b32 v41, v48 offset:32
	v_and_b32_e32 v5, v45, v4
	v_and_b32_e32 v4, v46, v3
	v_mbcnt_lo_u32_b32 v3, v4, 0
	v_mbcnt_hi_u32_b32 v45, v5, v3
	v_cmp_eq_u32_e64 s[34:35], 0, v45
	v_cmp_ne_u64_e64 s[38:39], 0, v[4:5]
	s_and_b64 s[38:39], s[38:39], s[34:35]
	; wave barrier
	s_and_saveexec_b64 s[34:35], s[38:39]
	s_cbranch_execz .LBB897_47
; %bb.46:
	v_bcnt_u32_b32 v3, v4, 0
	v_bcnt_u32_b32 v3, v5, v3
	s_waitcnt lgkmcnt(0)
	v_add_u32_e32 v3, v41, v3
	ds_write_b32 v48, v3 offset:32
.LBB897_47:
	s_or_b64 exec, exec, s[34:35]
	v_xor_b32_e32 v33, 0x80000000, v33
	v_lshrrev_b32_e32 v3, s52, v33
	v_and_b32_e32 v4, s66, v3
	v_lshl_add_u32 v3, v4, 3, v4
	v_add_lshl_u32 v51, v31, v3, 2
	v_and_b32_e32 v3, 1, v4
	v_add_co_u32_e64 v5, s[34:35], -1, v3
	v_addc_co_u32_e64 v49, s[34:35], 0, -1, s[34:35]
	v_cmp_ne_u32_e64 s[34:35], 0, v3
	v_xor_b32_e32 v3, s35, v49
	v_and_b32_e32 v49, exec_hi, v3
	v_lshlrev_b32_e32 v3, 30, v4
	v_xor_b32_e32 v5, s34, v5
	v_cmp_gt_i64_e64 s[34:35], 0, v[2:3]
	v_not_b32_e32 v3, v3
	v_ashrrev_i32_e32 v3, 31, v3
	v_and_b32_e32 v5, exec_lo, v5
	v_xor_b32_e32 v50, s35, v3
	v_xor_b32_e32 v3, s34, v3
	v_and_b32_e32 v5, v5, v3
	v_lshlrev_b32_e32 v3, 29, v4
	v_cmp_gt_i64_e64 s[34:35], 0, v[2:3]
	v_not_b32_e32 v3, v3
	v_ashrrev_i32_e32 v3, 31, v3
	v_and_b32_e32 v49, v49, v50
	v_xor_b32_e32 v50, s35, v3
	v_xor_b32_e32 v3, s34, v3
	v_and_b32_e32 v5, v5, v3
	v_lshlrev_b32_e32 v3, 28, v4
	v_cmp_gt_i64_e64 s[34:35], 0, v[2:3]
	v_not_b32_e32 v3, v3
	v_ashrrev_i32_e32 v3, 31, v3
	v_and_b32_e32 v49, v49, v50
	;; [unrolled: 8-line block ×5, first 2 shown]
	v_xor_b32_e32 v50, s35, v3
	v_xor_b32_e32 v3, s34, v3
	v_and_b32_e32 v5, v5, v3
	v_lshlrev_b32_e32 v3, 24, v4
	v_cmp_gt_i64_e64 s[34:35], 0, v[2:3]
	v_not_b32_e32 v2, v3
	v_ashrrev_i32_e32 v2, 31, v2
	v_xor_b32_e32 v3, s35, v2
	v_xor_b32_e32 v2, s34, v2
	; wave barrier
	ds_read_b32 v46, v51 offset:32
	v_and_b32_e32 v49, v49, v50
	v_and_b32_e32 v2, v5, v2
	v_and_b32_e32 v3, v49, v3
	v_mbcnt_lo_u32_b32 v4, v2, 0
	v_mbcnt_hi_u32_b32 v49, v3, v4
	v_cmp_eq_u32_e64 s[34:35], 0, v49
	v_cmp_ne_u64_e64 s[38:39], 0, v[2:3]
	s_and_b64 s[38:39], s[38:39], s[34:35]
	; wave barrier
	s_and_saveexec_b64 s[34:35], s[38:39]
	s_cbranch_execz .LBB897_49
; %bb.48:
	v_bcnt_u32_b32 v2, v2, 0
	v_bcnt_u32_b32 v2, v3, v2
	s_waitcnt lgkmcnt(0)
	v_add_u32_e32 v2, v46, v2
	ds_write_b32 v51, v2 offset:32
.LBB897_49:
	s_or_b64 exec, exec, s[34:35]
	v_xor_b32_e32 v38, 0x80000000, v38
	v_lshrrev_b32_e32 v2, s52, v38
	v_and_b32_e32 v4, s66, v2
	v_and_b32_e32 v3, 1, v4
	v_add_co_u32_e64 v5, s[34:35], -1, v3
	v_addc_co_u32_e64 v52, s[34:35], 0, -1, s[34:35]
	v_cmp_ne_u32_e64 s[34:35], 0, v3
	v_lshl_add_u32 v2, v4, 3, v4
	v_xor_b32_e32 v3, s35, v52
	v_add_lshl_u32 v54, v31, v2, 2
	v_mov_b32_e32 v2, 0
	v_and_b32_e32 v52, exec_hi, v3
	v_lshlrev_b32_e32 v3, 30, v4
	v_xor_b32_e32 v5, s34, v5
	v_cmp_gt_i64_e64 s[34:35], 0, v[2:3]
	v_not_b32_e32 v3, v3
	v_ashrrev_i32_e32 v3, 31, v3
	v_and_b32_e32 v5, exec_lo, v5
	v_xor_b32_e32 v53, s35, v3
	v_xor_b32_e32 v3, s34, v3
	v_and_b32_e32 v5, v5, v3
	v_lshlrev_b32_e32 v3, 29, v4
	v_cmp_gt_i64_e64 s[34:35], 0, v[2:3]
	v_not_b32_e32 v3, v3
	v_ashrrev_i32_e32 v3, 31, v3
	v_and_b32_e32 v52, v52, v53
	v_xor_b32_e32 v53, s35, v3
	v_xor_b32_e32 v3, s34, v3
	v_and_b32_e32 v5, v5, v3
	v_lshlrev_b32_e32 v3, 28, v4
	v_cmp_gt_i64_e64 s[34:35], 0, v[2:3]
	v_not_b32_e32 v3, v3
	v_ashrrev_i32_e32 v3, 31, v3
	v_and_b32_e32 v52, v52, v53
	;; [unrolled: 8-line block ×5, first 2 shown]
	v_xor_b32_e32 v53, s35, v3
	v_xor_b32_e32 v3, s34, v3
	v_and_b32_e32 v52, v52, v53
	v_and_b32_e32 v53, v5, v3
	v_lshlrev_b32_e32 v3, 24, v4
	v_cmp_gt_i64_e64 s[34:35], 0, v[2:3]
	v_not_b32_e32 v3, v3
	v_ashrrev_i32_e32 v3, 31, v3
	v_xor_b32_e32 v4, s35, v3
	v_xor_b32_e32 v3, s34, v3
	; wave barrier
	ds_read_b32 v50, v54 offset:32
	v_and_b32_e32 v5, v52, v4
	v_and_b32_e32 v4, v53, v3
	v_mbcnt_lo_u32_b32 v3, v4, 0
	v_mbcnt_hi_u32_b32 v52, v5, v3
	v_cmp_eq_u32_e64 s[34:35], 0, v52
	v_cmp_ne_u64_e64 s[38:39], 0, v[4:5]
	s_and_b64 s[38:39], s[38:39], s[34:35]
	; wave barrier
	s_and_saveexec_b64 s[34:35], s[38:39]
	s_cbranch_execz .LBB897_51
; %bb.50:
	v_bcnt_u32_b32 v3, v4, 0
	v_bcnt_u32_b32 v3, v5, v3
	s_waitcnt lgkmcnt(0)
	v_add_u32_e32 v3, v50, v3
	ds_write_b32 v54, v3 offset:32
.LBB897_51:
	s_or_b64 exec, exec, s[34:35]
	v_xor_b32_e32 v43, 0x80000000, v43
	v_lshrrev_b32_e32 v3, s52, v43
	v_and_b32_e32 v4, s66, v3
	v_lshl_add_u32 v3, v4, 3, v4
	v_add_lshl_u32 v57, v31, v3, 2
	v_and_b32_e32 v3, 1, v4
	v_add_co_u32_e64 v5, s[34:35], -1, v3
	v_addc_co_u32_e64 v55, s[34:35], 0, -1, s[34:35]
	v_cmp_ne_u32_e64 s[34:35], 0, v3
	v_xor_b32_e32 v3, s35, v55
	v_and_b32_e32 v55, exec_hi, v3
	v_lshlrev_b32_e32 v3, 30, v4
	v_xor_b32_e32 v5, s34, v5
	v_cmp_gt_i64_e64 s[34:35], 0, v[2:3]
	v_not_b32_e32 v3, v3
	v_ashrrev_i32_e32 v3, 31, v3
	v_and_b32_e32 v5, exec_lo, v5
	v_xor_b32_e32 v56, s35, v3
	v_xor_b32_e32 v3, s34, v3
	v_and_b32_e32 v5, v5, v3
	v_lshlrev_b32_e32 v3, 29, v4
	v_cmp_gt_i64_e64 s[34:35], 0, v[2:3]
	v_not_b32_e32 v3, v3
	v_ashrrev_i32_e32 v3, 31, v3
	v_and_b32_e32 v55, v55, v56
	v_xor_b32_e32 v56, s35, v3
	v_xor_b32_e32 v3, s34, v3
	v_and_b32_e32 v5, v5, v3
	v_lshlrev_b32_e32 v3, 28, v4
	v_cmp_gt_i64_e64 s[34:35], 0, v[2:3]
	v_not_b32_e32 v3, v3
	v_ashrrev_i32_e32 v3, 31, v3
	v_and_b32_e32 v55, v55, v56
	;; [unrolled: 8-line block ×5, first 2 shown]
	v_xor_b32_e32 v56, s35, v3
	v_xor_b32_e32 v3, s34, v3
	v_and_b32_e32 v5, v5, v3
	v_lshlrev_b32_e32 v3, 24, v4
	v_cmp_gt_i64_e64 s[34:35], 0, v[2:3]
	v_not_b32_e32 v2, v3
	v_ashrrev_i32_e32 v2, 31, v2
	v_xor_b32_e32 v3, s35, v2
	v_xor_b32_e32 v2, s34, v2
	; wave barrier
	ds_read_b32 v53, v57 offset:32
	v_and_b32_e32 v55, v55, v56
	v_and_b32_e32 v2, v5, v2
	;; [unrolled: 1-line block ×3, first 2 shown]
	v_mbcnt_lo_u32_b32 v4, v2, 0
	v_mbcnt_hi_u32_b32 v55, v3, v4
	v_cmp_eq_u32_e64 s[34:35], 0, v55
	v_cmp_ne_u64_e64 s[38:39], 0, v[2:3]
	s_and_b64 s[38:39], s[38:39], s[34:35]
	; wave barrier
	s_and_saveexec_b64 s[34:35], s[38:39]
	s_cbranch_execz .LBB897_53
; %bb.52:
	v_bcnt_u32_b32 v2, v2, 0
	v_bcnt_u32_b32 v2, v3, v2
	s_waitcnt lgkmcnt(0)
	v_add_u32_e32 v2, v53, v2
	ds_write_b32 v57, v2 offset:32
.LBB897_53:
	s_or_b64 exec, exec, s[34:35]
	v_xor_b32_e32 v47, 0x80000000, v47
	v_lshrrev_b32_e32 v2, s52, v47
	v_and_b32_e32 v4, s66, v2
	v_and_b32_e32 v3, 1, v4
	v_add_co_u32_e64 v5, s[34:35], -1, v3
	v_addc_co_u32_e64 v58, s[34:35], 0, -1, s[34:35]
	v_cmp_ne_u32_e64 s[34:35], 0, v3
	v_lshl_add_u32 v2, v4, 3, v4
	v_xor_b32_e32 v3, s35, v58
	v_add_lshl_u32 v60, v31, v2, 2
	v_mov_b32_e32 v2, 0
	v_and_b32_e32 v58, exec_hi, v3
	v_lshlrev_b32_e32 v3, 30, v4
	v_xor_b32_e32 v5, s34, v5
	v_cmp_gt_i64_e64 s[34:35], 0, v[2:3]
	v_not_b32_e32 v3, v3
	v_ashrrev_i32_e32 v3, 31, v3
	v_and_b32_e32 v5, exec_lo, v5
	v_xor_b32_e32 v59, s35, v3
	v_xor_b32_e32 v3, s34, v3
	v_and_b32_e32 v5, v5, v3
	v_lshlrev_b32_e32 v3, 29, v4
	v_cmp_gt_i64_e64 s[34:35], 0, v[2:3]
	v_not_b32_e32 v3, v3
	v_ashrrev_i32_e32 v3, 31, v3
	v_and_b32_e32 v58, v58, v59
	v_xor_b32_e32 v59, s35, v3
	v_xor_b32_e32 v3, s34, v3
	v_and_b32_e32 v5, v5, v3
	v_lshlrev_b32_e32 v3, 28, v4
	v_cmp_gt_i64_e64 s[34:35], 0, v[2:3]
	v_not_b32_e32 v3, v3
	v_ashrrev_i32_e32 v3, 31, v3
	v_and_b32_e32 v58, v58, v59
	;; [unrolled: 8-line block ×5, first 2 shown]
	v_xor_b32_e32 v59, s35, v3
	v_xor_b32_e32 v3, s34, v3
	v_and_b32_e32 v58, v58, v59
	v_and_b32_e32 v59, v5, v3
	v_lshlrev_b32_e32 v3, 24, v4
	v_cmp_gt_i64_e64 s[34:35], 0, v[2:3]
	v_not_b32_e32 v3, v3
	v_ashrrev_i32_e32 v3, 31, v3
	v_xor_b32_e32 v4, s35, v3
	v_xor_b32_e32 v3, s34, v3
	; wave barrier
	ds_read_b32 v56, v60 offset:32
	v_and_b32_e32 v5, v58, v4
	v_and_b32_e32 v4, v59, v3
	v_mbcnt_lo_u32_b32 v3, v4, 0
	v_mbcnt_hi_u32_b32 v58, v5, v3
	v_cmp_eq_u32_e64 s[34:35], 0, v58
	v_cmp_ne_u64_e64 s[38:39], 0, v[4:5]
	s_and_b64 s[38:39], s[38:39], s[34:35]
	; wave barrier
	s_and_saveexec_b64 s[34:35], s[38:39]
	s_cbranch_execz .LBB897_55
; %bb.54:
	v_bcnt_u32_b32 v3, v4, 0
	v_bcnt_u32_b32 v3, v5, v3
	s_waitcnt lgkmcnt(0)
	v_add_u32_e32 v3, v56, v3
	ds_write_b32 v60, v3 offset:32
.LBB897_55:
	s_or_b64 exec, exec, s[34:35]
	v_xor_b32_e32 v42, 0x80000000, v42
	v_lshrrev_b32_e32 v3, s52, v42
	v_and_b32_e32 v4, s66, v3
	v_lshl_add_u32 v3, v4, 3, v4
	v_add_lshl_u32 v64, v31, v3, 2
	v_and_b32_e32 v3, 1, v4
	v_add_co_u32_e64 v5, s[34:35], -1, v3
	v_addc_co_u32_e64 v61, s[34:35], 0, -1, s[34:35]
	v_cmp_ne_u32_e64 s[34:35], 0, v3
	v_xor_b32_e32 v3, s35, v61
	v_and_b32_e32 v61, exec_hi, v3
	v_lshlrev_b32_e32 v3, 30, v4
	v_xor_b32_e32 v5, s34, v5
	v_cmp_gt_i64_e64 s[34:35], 0, v[2:3]
	v_not_b32_e32 v3, v3
	v_ashrrev_i32_e32 v3, 31, v3
	v_and_b32_e32 v5, exec_lo, v5
	v_xor_b32_e32 v62, s35, v3
	v_xor_b32_e32 v3, s34, v3
	v_and_b32_e32 v5, v5, v3
	v_lshlrev_b32_e32 v3, 29, v4
	v_cmp_gt_i64_e64 s[34:35], 0, v[2:3]
	v_not_b32_e32 v3, v3
	v_ashrrev_i32_e32 v3, 31, v3
	v_and_b32_e32 v61, v61, v62
	v_xor_b32_e32 v62, s35, v3
	v_xor_b32_e32 v3, s34, v3
	v_and_b32_e32 v5, v5, v3
	v_lshlrev_b32_e32 v3, 28, v4
	v_cmp_gt_i64_e64 s[34:35], 0, v[2:3]
	v_not_b32_e32 v3, v3
	v_ashrrev_i32_e32 v3, 31, v3
	v_and_b32_e32 v61, v61, v62
	;; [unrolled: 8-line block ×5, first 2 shown]
	v_xor_b32_e32 v62, s35, v3
	v_xor_b32_e32 v3, s34, v3
	v_and_b32_e32 v5, v5, v3
	v_lshlrev_b32_e32 v3, 24, v4
	v_cmp_gt_i64_e64 s[34:35], 0, v[2:3]
	v_not_b32_e32 v2, v3
	v_ashrrev_i32_e32 v2, 31, v2
	v_xor_b32_e32 v3, s35, v2
	v_xor_b32_e32 v2, s34, v2
	; wave barrier
	ds_read_b32 v59, v64 offset:32
	v_and_b32_e32 v61, v61, v62
	v_and_b32_e32 v2, v5, v2
	;; [unrolled: 1-line block ×3, first 2 shown]
	v_mbcnt_lo_u32_b32 v4, v2, 0
	v_mbcnt_hi_u32_b32 v62, v3, v4
	v_cmp_eq_u32_e64 s[34:35], 0, v62
	v_cmp_ne_u64_e64 s[38:39], 0, v[2:3]
	s_and_b64 s[38:39], s[38:39], s[34:35]
	; wave barrier
	s_and_saveexec_b64 s[34:35], s[38:39]
	s_cbranch_execz .LBB897_57
; %bb.56:
	v_bcnt_u32_b32 v2, v2, 0
	v_bcnt_u32_b32 v2, v3, v2
	s_waitcnt lgkmcnt(0)
	v_add_u32_e32 v2, v59, v2
	ds_write_b32 v64, v2 offset:32
.LBB897_57:
	s_or_b64 exec, exec, s[34:35]
	v_xor_b32_e32 v37, 0x80000000, v37
	v_lshrrev_b32_e32 v2, s52, v37
	v_and_b32_e32 v4, s66, v2
	v_and_b32_e32 v3, 1, v4
	v_add_co_u32_e64 v5, s[34:35], -1, v3
	v_addc_co_u32_e64 v61, s[34:35], 0, -1, s[34:35]
	v_cmp_ne_u32_e64 s[34:35], 0, v3
	v_lshl_add_u32 v2, v4, 3, v4
	v_xor_b32_e32 v3, s35, v61
	v_add_lshl_u32 v66, v31, v2, 2
	v_mov_b32_e32 v2, 0
	v_and_b32_e32 v61, exec_hi, v3
	v_lshlrev_b32_e32 v3, 30, v4
	v_xor_b32_e32 v5, s34, v5
	v_cmp_gt_i64_e64 s[34:35], 0, v[2:3]
	v_not_b32_e32 v3, v3
	v_ashrrev_i32_e32 v3, 31, v3
	v_and_b32_e32 v5, exec_lo, v5
	v_xor_b32_e32 v65, s35, v3
	v_xor_b32_e32 v3, s34, v3
	v_and_b32_e32 v5, v5, v3
	v_lshlrev_b32_e32 v3, 29, v4
	v_cmp_gt_i64_e64 s[34:35], 0, v[2:3]
	v_not_b32_e32 v3, v3
	v_ashrrev_i32_e32 v3, 31, v3
	v_and_b32_e32 v61, v61, v65
	v_xor_b32_e32 v65, s35, v3
	v_xor_b32_e32 v3, s34, v3
	v_and_b32_e32 v5, v5, v3
	v_lshlrev_b32_e32 v3, 28, v4
	v_cmp_gt_i64_e64 s[34:35], 0, v[2:3]
	v_not_b32_e32 v3, v3
	v_ashrrev_i32_e32 v3, 31, v3
	v_and_b32_e32 v61, v61, v65
	;; [unrolled: 8-line block ×5, first 2 shown]
	v_xor_b32_e32 v65, s35, v3
	v_xor_b32_e32 v3, s34, v3
	v_and_b32_e32 v61, v61, v65
	v_and_b32_e32 v65, v5, v3
	v_lshlrev_b32_e32 v3, 24, v4
	v_cmp_gt_i64_e64 s[34:35], 0, v[2:3]
	v_not_b32_e32 v3, v3
	v_ashrrev_i32_e32 v3, 31, v3
	v_xor_b32_e32 v4, s35, v3
	v_xor_b32_e32 v3, s34, v3
	; wave barrier
	ds_read_b32 v63, v66 offset:32
	v_and_b32_e32 v5, v61, v4
	v_and_b32_e32 v4, v65, v3
	v_mbcnt_lo_u32_b32 v3, v4, 0
	v_mbcnt_hi_u32_b32 v68, v5, v3
	v_cmp_eq_u32_e64 s[34:35], 0, v68
	v_cmp_ne_u64_e64 s[38:39], 0, v[4:5]
	s_and_b64 s[38:39], s[38:39], s[34:35]
	; wave barrier
	s_and_saveexec_b64 s[34:35], s[38:39]
	s_cbranch_execz .LBB897_59
; %bb.58:
	v_bcnt_u32_b32 v3, v4, 0
	v_bcnt_u32_b32 v3, v5, v3
	s_waitcnt lgkmcnt(0)
	v_add_u32_e32 v3, v63, v3
	ds_write_b32 v66, v3 offset:32
.LBB897_59:
	s_or_b64 exec, exec, s[34:35]
	v_xor_b32_e32 v32, 0x80000000, v32
	v_lshrrev_b32_e32 v3, s52, v32
	v_and_b32_e32 v4, s66, v3
	v_lshl_add_u32 v3, v4, 3, v4
	v_add_lshl_u32 v70, v31, v3, 2
	v_and_b32_e32 v3, 1, v4
	v_add_co_u32_e64 v5, s[34:35], -1, v3
	v_addc_co_u32_e64 v61, s[34:35], 0, -1, s[34:35]
	v_cmp_ne_u32_e64 s[34:35], 0, v3
	v_xor_b32_e32 v3, s35, v61
	v_and_b32_e32 v61, exec_hi, v3
	v_lshlrev_b32_e32 v3, 30, v4
	v_xor_b32_e32 v5, s34, v5
	v_cmp_gt_i64_e64 s[34:35], 0, v[2:3]
	v_not_b32_e32 v3, v3
	v_ashrrev_i32_e32 v3, 31, v3
	v_and_b32_e32 v5, exec_lo, v5
	v_xor_b32_e32 v65, s35, v3
	v_xor_b32_e32 v3, s34, v3
	v_and_b32_e32 v5, v5, v3
	v_lshlrev_b32_e32 v3, 29, v4
	v_cmp_gt_i64_e64 s[34:35], 0, v[2:3]
	v_not_b32_e32 v3, v3
	v_ashrrev_i32_e32 v3, 31, v3
	v_and_b32_e32 v61, v61, v65
	v_xor_b32_e32 v65, s35, v3
	v_xor_b32_e32 v3, s34, v3
	v_and_b32_e32 v5, v5, v3
	v_lshlrev_b32_e32 v3, 28, v4
	v_cmp_gt_i64_e64 s[34:35], 0, v[2:3]
	v_not_b32_e32 v3, v3
	v_ashrrev_i32_e32 v3, 31, v3
	v_and_b32_e32 v61, v61, v65
	v_xor_b32_e32 v65, s35, v3
	v_xor_b32_e32 v3, s34, v3
	v_and_b32_e32 v5, v5, v3
	v_lshlrev_b32_e32 v3, 27, v4
	v_cmp_gt_i64_e64 s[34:35], 0, v[2:3]
	v_not_b32_e32 v3, v3
	v_ashrrev_i32_e32 v3, 31, v3
	v_and_b32_e32 v61, v61, v65
	v_xor_b32_e32 v65, s35, v3
	v_xor_b32_e32 v3, s34, v3
	v_and_b32_e32 v5, v5, v3
	v_lshlrev_b32_e32 v3, 26, v4
	v_cmp_gt_i64_e64 s[34:35], 0, v[2:3]
	v_not_b32_e32 v3, v3
	v_ashrrev_i32_e32 v3, 31, v3
	v_and_b32_e32 v61, v61, v65
	v_xor_b32_e32 v65, s35, v3
	v_xor_b32_e32 v3, s34, v3
	v_and_b32_e32 v5, v5, v3
	v_lshlrev_b32_e32 v3, 25, v4
	v_cmp_gt_i64_e64 s[34:35], 0, v[2:3]
	v_not_b32_e32 v3, v3
	v_ashrrev_i32_e32 v3, 31, v3
	v_and_b32_e32 v61, v61, v65
	v_xor_b32_e32 v65, s35, v3
	v_xor_b32_e32 v3, s34, v3
	v_and_b32_e32 v5, v5, v3
	v_lshlrev_b32_e32 v3, 24, v4
	v_cmp_gt_i64_e64 s[34:35], 0, v[2:3]
	v_not_b32_e32 v2, v3
	v_ashrrev_i32_e32 v2, 31, v2
	v_xor_b32_e32 v3, s35, v2
	v_xor_b32_e32 v2, s34, v2
	; wave barrier
	ds_read_b32 v67, v70 offset:32
	v_and_b32_e32 v61, v61, v65
	v_and_b32_e32 v2, v5, v2
	;; [unrolled: 1-line block ×3, first 2 shown]
	v_mbcnt_lo_u32_b32 v4, v2, 0
	v_mbcnt_hi_u32_b32 v69, v3, v4
	v_cmp_eq_u32_e64 s[34:35], 0, v69
	v_cmp_ne_u64_e64 s[38:39], 0, v[2:3]
	s_and_b64 s[38:39], s[38:39], s[34:35]
	; wave barrier
	s_and_saveexec_b64 s[34:35], s[38:39]
	s_cbranch_execz .LBB897_61
; %bb.60:
	v_bcnt_u32_b32 v2, v2, 0
	v_bcnt_u32_b32 v2, v3, v2
	s_waitcnt lgkmcnt(0)
	v_add_u32_e32 v2, v67, v2
	ds_write_b32 v70, v2 offset:32
.LBB897_61:
	s_or_b64 exec, exec, s[34:35]
	v_xor_b32_e32 v61, 0x80000000, v21
	v_lshrrev_b32_e32 v2, s52, v61
	v_and_b32_e32 v4, s66, v2
	v_and_b32_e32 v3, 1, v4
	v_add_co_u32_e64 v5, s[34:35], -1, v3
	v_addc_co_u32_e64 v65, s[34:35], 0, -1, s[34:35]
	v_cmp_ne_u32_e64 s[34:35], 0, v3
	v_lshl_add_u32 v2, v4, 3, v4
	v_xor_b32_e32 v3, s35, v65
	v_add_lshl_u32 v72, v31, v2, 2
	v_mov_b32_e32 v2, 0
	v_and_b32_e32 v65, exec_hi, v3
	v_lshlrev_b32_e32 v3, 30, v4
	v_xor_b32_e32 v5, s34, v5
	v_cmp_gt_i64_e64 s[34:35], 0, v[2:3]
	v_not_b32_e32 v3, v3
	v_ashrrev_i32_e32 v3, 31, v3
	v_and_b32_e32 v5, exec_lo, v5
	v_xor_b32_e32 v71, s35, v3
	v_xor_b32_e32 v3, s34, v3
	v_and_b32_e32 v5, v5, v3
	v_lshlrev_b32_e32 v3, 29, v4
	v_cmp_gt_i64_e64 s[34:35], 0, v[2:3]
	v_not_b32_e32 v3, v3
	v_ashrrev_i32_e32 v3, 31, v3
	v_and_b32_e32 v65, v65, v71
	v_xor_b32_e32 v71, s35, v3
	v_xor_b32_e32 v3, s34, v3
	v_and_b32_e32 v5, v5, v3
	v_lshlrev_b32_e32 v3, 28, v4
	v_cmp_gt_i64_e64 s[34:35], 0, v[2:3]
	v_not_b32_e32 v3, v3
	v_ashrrev_i32_e32 v3, 31, v3
	v_and_b32_e32 v65, v65, v71
	v_xor_b32_e32 v71, s35, v3
	v_xor_b32_e32 v3, s34, v3
	v_and_b32_e32 v5, v5, v3
	v_lshlrev_b32_e32 v3, 27, v4
	v_cmp_gt_i64_e64 s[34:35], 0, v[2:3]
	v_not_b32_e32 v3, v3
	v_ashrrev_i32_e32 v3, 31, v3
	v_and_b32_e32 v65, v65, v71
	v_xor_b32_e32 v71, s35, v3
	v_xor_b32_e32 v3, s34, v3
	v_and_b32_e32 v5, v5, v3
	v_lshlrev_b32_e32 v3, 26, v4
	v_cmp_gt_i64_e64 s[34:35], 0, v[2:3]
	v_not_b32_e32 v3, v3
	v_ashrrev_i32_e32 v3, 31, v3
	v_and_b32_e32 v65, v65, v71
	v_xor_b32_e32 v71, s35, v3
	v_xor_b32_e32 v3, s34, v3
	v_and_b32_e32 v5, v5, v3
	v_lshlrev_b32_e32 v3, 25, v4
	v_cmp_gt_i64_e64 s[34:35], 0, v[2:3]
	v_not_b32_e32 v3, v3
	v_ashrrev_i32_e32 v3, 31, v3
	v_and_b32_e32 v65, v65, v71
	v_xor_b32_e32 v71, s35, v3
	v_xor_b32_e32 v3, s34, v3
	v_and_b32_e32 v65, v65, v71
	v_and_b32_e32 v71, v5, v3
	v_lshlrev_b32_e32 v3, 24, v4
	v_cmp_gt_i64_e64 s[34:35], 0, v[2:3]
	v_not_b32_e32 v3, v3
	v_ashrrev_i32_e32 v3, 31, v3
	v_xor_b32_e32 v4, s35, v3
	v_xor_b32_e32 v3, s34, v3
	; wave barrier
	ds_read_b32 v21, v72 offset:32
	v_and_b32_e32 v5, v65, v4
	v_and_b32_e32 v4, v71, v3
	v_mbcnt_lo_u32_b32 v3, v4, 0
	v_mbcnt_hi_u32_b32 v71, v5, v3
	v_cmp_eq_u32_e64 s[34:35], 0, v71
	v_cmp_ne_u64_e64 s[38:39], 0, v[4:5]
	s_and_b64 s[38:39], s[38:39], s[34:35]
	; wave barrier
	s_and_saveexec_b64 s[34:35], s[38:39]
	s_cbranch_execz .LBB897_63
; %bb.62:
	v_bcnt_u32_b32 v3, v4, 0
	v_bcnt_u32_b32 v3, v5, v3
	s_waitcnt lgkmcnt(0)
	v_add_u32_e32 v3, v21, v3
	ds_write_b32 v72, v3 offset:32
.LBB897_63:
	s_or_b64 exec, exec, s[34:35]
	v_xor_b32_e32 v65, 0x80000000, v15
	v_lshrrev_b32_e32 v3, s52, v65
	v_and_b32_e32 v4, s66, v3
	v_lshl_add_u32 v3, v4, 3, v4
	v_add_lshl_u32 v74, v31, v3, 2
	v_and_b32_e32 v3, 1, v4
	v_add_co_u32_e64 v5, s[34:35], -1, v3
	v_addc_co_u32_e64 v31, s[34:35], 0, -1, s[34:35]
	v_cmp_ne_u32_e64 s[34:35], 0, v3
	v_xor_b32_e32 v3, s35, v31
	v_and_b32_e32 v31, exec_hi, v3
	v_lshlrev_b32_e32 v3, 30, v4
	v_xor_b32_e32 v5, s34, v5
	v_cmp_gt_i64_e64 s[34:35], 0, v[2:3]
	v_not_b32_e32 v3, v3
	v_ashrrev_i32_e32 v3, 31, v3
	v_and_b32_e32 v5, exec_lo, v5
	v_xor_b32_e32 v73, s35, v3
	v_xor_b32_e32 v3, s34, v3
	v_and_b32_e32 v5, v5, v3
	v_lshlrev_b32_e32 v3, 29, v4
	v_cmp_gt_i64_e64 s[34:35], 0, v[2:3]
	v_not_b32_e32 v3, v3
	v_ashrrev_i32_e32 v3, 31, v3
	v_and_b32_e32 v31, v31, v73
	v_xor_b32_e32 v73, s35, v3
	v_xor_b32_e32 v3, s34, v3
	v_and_b32_e32 v5, v5, v3
	v_lshlrev_b32_e32 v3, 28, v4
	v_cmp_gt_i64_e64 s[34:35], 0, v[2:3]
	v_not_b32_e32 v3, v3
	v_ashrrev_i32_e32 v3, 31, v3
	v_and_b32_e32 v31, v31, v73
	;; [unrolled: 8-line block ×5, first 2 shown]
	v_xor_b32_e32 v73, s35, v3
	v_xor_b32_e32 v3, s34, v3
	v_and_b32_e32 v5, v5, v3
	v_lshlrev_b32_e32 v3, 24, v4
	v_cmp_gt_i64_e64 s[34:35], 0, v[2:3]
	v_not_b32_e32 v2, v3
	v_ashrrev_i32_e32 v2, 31, v2
	v_xor_b32_e32 v3, s35, v2
	v_xor_b32_e32 v2, s34, v2
	; wave barrier
	ds_read_b32 v15, v74 offset:32
	v_and_b32_e32 v31, v31, v73
	v_and_b32_e32 v2, v5, v2
	;; [unrolled: 1-line block ×3, first 2 shown]
	v_mbcnt_lo_u32_b32 v4, v2, 0
	v_mbcnt_hi_u32_b32 v73, v3, v4
	v_cmp_eq_u32_e64 s[34:35], 0, v73
	v_cmp_ne_u64_e64 s[38:39], 0, v[2:3]
	v_add_u32_e32 v75, 32, v7
	s_and_b64 s[38:39], s[38:39], s[34:35]
	; wave barrier
	s_and_saveexec_b64 s[34:35], s[38:39]
	s_cbranch_execz .LBB897_65
; %bb.64:
	v_bcnt_u32_b32 v2, v2, 0
	v_bcnt_u32_b32 v2, v3, v2
	s_waitcnt lgkmcnt(0)
	v_add_u32_e32 v2, v15, v2
	ds_write_b32 v74, v2 offset:32
.LBB897_65:
	s_or_b64 exec, exec, s[34:35]
	; wave barrier
	s_waitcnt lgkmcnt(0)
	s_barrier
	ds_read2_b32 v[4:5], v7 offset0:8 offset1:9
	ds_read2_b32 v[2:3], v75 offset0:2 offset1:3
	ds_read_b32 v31, v75 offset:16
	s_waitcnt lgkmcnt(1)
	v_add3_u32 v76, v5, v4, v2
	s_waitcnt lgkmcnt(0)
	v_add3_u32 v31, v76, v3, v31
	v_and_b32_e32 v76, 15, v6
	v_cmp_ne_u32_e64 s[34:35], 0, v76
	v_mov_b32_dpp v77, v31 row_shr:1 row_mask:0xf bank_mask:0xf
	v_cndmask_b32_e64 v77, 0, v77, s[34:35]
	v_add_u32_e32 v31, v77, v31
	v_cmp_lt_u32_e64 s[34:35], 1, v76
	s_nop 0
	v_mov_b32_dpp v77, v31 row_shr:2 row_mask:0xf bank_mask:0xf
	v_cndmask_b32_e64 v77, 0, v77, s[34:35]
	v_add_u32_e32 v31, v31, v77
	v_cmp_lt_u32_e64 s[34:35], 3, v76
	s_nop 0
	v_mov_b32_dpp v77, v31 row_shr:4 row_mask:0xf bank_mask:0xf
	v_cndmask_b32_e64 v77, 0, v77, s[34:35]
	v_add_u32_e32 v31, v31, v77
	v_cmp_lt_u32_e64 s[34:35], 7, v76
	s_nop 0
	v_mov_b32_dpp v77, v31 row_shr:8 row_mask:0xf bank_mask:0xf
	v_cndmask_b32_e64 v76, 0, v77, s[34:35]
	v_add_u32_e32 v31, v31, v76
	v_bfe_i32 v77, v6, 4, 1
	v_cmp_lt_u32_e64 s[34:35], 31, v6
	v_mov_b32_dpp v76, v31 row_bcast:15 row_mask:0xf bank_mask:0xf
	v_and_b32_e32 v76, v77, v76
	v_add_u32_e32 v31, v31, v76
	v_lshrrev_b32_e32 v77, 6, v18
	s_nop 0
	v_mov_b32_dpp v76, v31 row_bcast:31 row_mask:0xf bank_mask:0xf
	v_cndmask_b32_e64 v76, 0, v76, s[34:35]
	v_add_u32_e32 v76, v31, v76
	v_and_b32_e32 v31, 0x3c0, v18
	v_min_u32_e32 v31, 0x1c0, v31
	v_or_b32_e32 v31, 63, v31
	v_cmp_eq_u32_e64 s[34:35], v31, v18
	s_and_saveexec_b64 s[38:39], s[34:35]
	s_cbranch_execz .LBB897_67
; %bb.66:
	v_lshlrev_b32_e32 v31, 2, v77
	ds_write_b32 v31, v76
.LBB897_67:
	s_or_b64 exec, exec, s[38:39]
	v_cmp_gt_u32_e64 s[34:35], 8, v18
	v_lshlrev_b32_e32 v31, 2, v18
	s_waitcnt lgkmcnt(0)
	s_barrier
	s_and_saveexec_b64 s[58:59], s[34:35]
	s_cbranch_execz .LBB897_69
; %bb.68:
	ds_read_b32 v78, v31
	v_and_b32_e32 v79, 7, v6
	v_cmp_ne_u32_e64 s[34:35], 0, v79
	v_cmp_lt_u32_e64 s[38:39], 1, v79
	s_waitcnt lgkmcnt(0)
	v_mov_b32_dpp v80, v78 row_shr:1 row_mask:0xf bank_mask:0xf
	v_cndmask_b32_e64 v80, 0, v80, s[34:35]
	v_add_u32_e32 v78, v80, v78
	v_cmp_lt_u32_e64 s[34:35], 3, v79
	s_nop 0
	v_mov_b32_dpp v80, v78 row_shr:2 row_mask:0xf bank_mask:0xf
	v_cndmask_b32_e64 v80, 0, v80, s[38:39]
	v_add_u32_e32 v78, v78, v80
	s_nop 1
	v_mov_b32_dpp v80, v78 row_shr:4 row_mask:0xf bank_mask:0xf
	v_cndmask_b32_e64 v79, 0, v80, s[34:35]
	v_add_u32_e32 v78, v78, v79
	ds_write_b32 v31, v78
.LBB897_69:
	s_or_b64 exec, exec, s[58:59]
	v_cmp_lt_u32_e64 s[34:35], 63, v18
	v_mov_b32_e32 v78, 0
	s_waitcnt lgkmcnt(0)
	s_barrier
	s_and_saveexec_b64 s[38:39], s[34:35]
	s_cbranch_execz .LBB897_71
; %bb.70:
	v_lshl_add_u32 v77, v77, 2, -4
	ds_read_b32 v78, v77
.LBB897_71:
	s_or_b64 exec, exec, s[38:39]
	v_add_u32_e32 v77, -1, v6
	v_and_b32_e32 v79, 64, v6
	v_cmp_lt_i32_e64 s[34:35], v77, v79
	v_cndmask_b32_e64 v77, v77, v6, s[34:35]
	s_waitcnt lgkmcnt(0)
	v_add_u32_e32 v76, v78, v76
	v_lshlrev_b32_e32 v77, 2, v77
	ds_bpermute_b32 v76, v77, v76
	v_cmp_eq_u32_e64 s[34:35], 0, v6
	s_waitcnt lgkmcnt(0)
	v_cndmask_b32_e64 v6, v76, v78, s[34:35]
	v_cmp_ne_u32_e64 s[34:35], 0, v18
	v_cndmask_b32_e64 v6, 0, v6, s[34:35]
	v_add_u32_e32 v4, v6, v4
	v_add_u32_e32 v5, v4, v5
	;; [unrolled: 1-line block ×4, first 2 shown]
	ds_write2_b32 v7, v6, v4 offset0:8 offset1:9
	ds_write2_b32 v75, v5, v2 offset0:2 offset1:3
	ds_write_b32 v75, v3 offset:16
	s_waitcnt lgkmcnt(0)
	s_barrier
	ds_read_b32 v76, v12 offset:32
	ds_read_b32 v12, v13 offset:32
	;; [unrolled: 1-line block ×16, first 2 shown]
	s_movk_i32 s34, 0x100
	v_cmp_gt_u32_e64 s[34:35], s34, v18
                                        ; implicit-def: $vgpr54
                                        ; implicit-def: $vgpr57
	s_and_saveexec_b64 s[58:59], s[34:35]
	s_cbranch_execz .LBB897_75
; %bb.72:
	v_mul_u32_u24_e32 v2, 9, v18
	v_lshlrev_b32_e32 v3, 2, v2
	ds_read_b32 v54, v3 offset:32
	s_movk_i32 s38, 0xff
	v_cmp_ne_u32_e64 s[38:39], s38, v18
	v_mov_b32_e32 v2, 0x2000
	s_and_saveexec_b64 s[60:61], s[38:39]
	s_cbranch_execz .LBB897_74
; %bb.73:
	ds_read_b32 v2, v3 offset:68
.LBB897_74:
	s_or_b64 exec, exec, s[60:61]
	s_waitcnt lgkmcnt(0)
	v_sub_u32_e32 v57, v2, v54
.LBB897_75:
	s_or_b64 exec, exec, s[58:59]
	s_waitcnt lgkmcnt(0)
	s_barrier
	s_and_saveexec_b64 s[58:59], s[34:35]
	s_cbranch_execz .LBB897_85
; %bb.76:
	v_lshl_or_b32 v2, s6, 8, v18
	v_mov_b32_e32 v3, 0
	v_lshlrev_b64 v[4:5], 2, v[2:3]
	v_mov_b32_e32 v34, s57
	v_add_co_u32_e64 v4, s[38:39], s56, v4
	v_addc_co_u32_e64 v5, s[38:39], v34, v5, s[38:39]
	v_or_b32_e32 v2, 2.0, v57
	s_mov_b64 s[60:61], 0
	s_brev_b32 s67, 1
	s_mov_b32 s68, s6
	v_mov_b32_e32 v60, 0
	global_store_dword v[4:5], v2, off
                                        ; implicit-def: $sgpr38_sgpr39
	s_branch .LBB897_78
.LBB897_77:                             ;   in Loop: Header=BB897_78 Depth=1
	s_or_b64 exec, exec, s[62:63]
	v_and_b32_e32 v6, 0x3fffffff, v72
	v_add_u32_e32 v60, v6, v60
	v_cmp_eq_u32_e64 s[38:39], s67, v2
	s_and_b64 s[62:63], exec, s[38:39]
	s_or_b64 s[60:61], s[62:63], s[60:61]
	s_andn2_b64 exec, exec, s[60:61]
	s_cbranch_execz .LBB897_84
.LBB897_78:                             ; =>This Loop Header: Depth=1
                                        ;     Child Loop BB897_81 Depth 2
	s_or_b64 s[38:39], s[38:39], exec
	s_cmp_eq_u32 s68, 0
	s_cbranch_scc1 .LBB897_83
; %bb.79:                               ;   in Loop: Header=BB897_78 Depth=1
	s_add_i32 s68, s68, -1
	v_lshl_or_b32 v2, s68, 8, v18
	v_lshlrev_b64 v[6:7], 2, v[2:3]
	v_add_co_u32_e64 v6, s[38:39], s56, v6
	v_addc_co_u32_e64 v7, s[38:39], v34, v7, s[38:39]
	global_load_dword v72, v[6:7], off glc
	s_waitcnt vmcnt(0)
	v_and_b32_e32 v2, -2.0, v72
	v_cmp_eq_u32_e64 s[38:39], 0, v2
	s_and_saveexec_b64 s[62:63], s[38:39]
	s_cbranch_execz .LBB897_77
; %bb.80:                               ;   in Loop: Header=BB897_78 Depth=1
	s_mov_b64 s[64:65], 0
.LBB897_81:                             ;   Parent Loop BB897_78 Depth=1
                                        ; =>  This Inner Loop Header: Depth=2
	global_load_dword v72, v[6:7], off glc
	s_waitcnt vmcnt(0)
	v_and_b32_e32 v2, -2.0, v72
	v_cmp_ne_u32_e64 s[38:39], 0, v2
	s_or_b64 s[64:65], s[38:39], s[64:65]
	s_andn2_b64 exec, exec, s[64:65]
	s_cbranch_execnz .LBB897_81
; %bb.82:                               ;   in Loop: Header=BB897_78 Depth=1
	s_or_b64 exec, exec, s[64:65]
	s_branch .LBB897_77
.LBB897_83:                             ;   in Loop: Header=BB897_78 Depth=1
                                        ; implicit-def: $sgpr68
	s_and_b64 s[62:63], exec, s[38:39]
	s_or_b64 s[60:61], s[62:63], s[60:61]
	s_andn2_b64 exec, exec, s[60:61]
	s_cbranch_execnz .LBB897_78
.LBB897_84:
	s_or_b64 exec, exec, s[60:61]
	v_add_u32_e32 v2, v60, v57
	v_or_b32_e32 v2, 0x80000000, v2
	global_store_dword v[4:5], v2, off
	global_load_dword v2, v31, s[48:49]
	v_sub_u32_e32 v3, v60, v54
	s_waitcnt vmcnt(0)
	v_add_u32_e32 v2, v3, v2
	ds_write_b32 v31, v2
.LBB897_85:
	s_or_b64 exec, exec, s[58:59]
	v_add_u32_e32 v60, v76, v8
	s_movk_i32 s60, 0x400
	v_add_u32_e32 v34, 0x400, v31
	v_add3_u32 v64, v73, v64, v15
	v_add3_u32 v66, v71, v66, v21
	;; [unrolled: 1-line block ×15, first 2 shown]
	s_mov_b32 s61, 0
	v_mov_b32_e32 v21, 0
	s_movk_i32 s62, 0x200
	s_movk_i32 s63, 0x600
	s_mov_b32 s64, 0
	s_mov_b32 s65, 0
                                        ; implicit-def: $vgpr2_vgpr3_vgpr4_vgpr5_vgpr6_vgpr7_vgpr8_vgpr9_vgpr10_vgpr11_vgpr12_vgpr13_vgpr14_vgpr15_vgpr16_vgpr17
	s_branch .LBB897_87
.LBB897_86:                             ;   in Loop: Header=BB897_87 Depth=1
	s_or_b64 exec, exec, s[58:59]
	s_addk_i32 s65, 0x800
	s_addk_i32 s64, 0xf800
	s_add_i32 s61, s61, 4
	s_cmpk_eq_i32 s64, 0xe000
	s_barrier
	s_cbranch_scc1 .LBB897_96
.LBB897_87:                             ; =>This Inner Loop Header: Depth=1
	v_add_u32_e32 v20, s64, v60
	v_min_u32_e32 v20, 0x800, v20
	v_lshlrev_b32_e32 v20, 2, v20
	ds_write_b32 v20, v23 offset:1024
	v_add_u32_e32 v20, s64, v73
	v_min_u32_e32 v20, 0x800, v20
	v_lshlrev_b32_e32 v20, 2, v20
	ds_write_b32 v20, v24 offset:1024
	;; [unrolled: 4-line block ×15, first 2 shown]
	v_add_u32_e32 v20, s64, v64
	v_min_u32_e32 v20, 0x800, v20
	v_add_u32_e32 v30, s65, v18
	v_lshlrev_b32_e32 v20, 2, v20
	v_cmp_gt_u32_e64 s[38:39], s7, v30
	ds_write_b32 v20, v65 offset:1024
	s_waitcnt lgkmcnt(0)
	s_barrier
	s_and_saveexec_b64 s[58:59], s[38:39]
	s_cbranch_execz .LBB897_89
; %bb.88:                               ;   in Loop: Header=BB897_87 Depth=1
	ds_read_b32 v20, v31 offset:1024
	v_mov_b32_e32 v39, s43
	s_waitcnt lgkmcnt(0)
	v_lshrrev_b32_e32 v35, s52, v20
	v_and_b32_e32 v35, s66, v35
	v_lshlrev_b32_e32 v36, 2, v35
	ds_read_b32 v36, v36
	v_xor_b32_e32 v44, 0x80000000, v20
	s_waitcnt lgkmcnt(0)
	v_add_u32_e32 v20, v30, v36
	v_lshlrev_b64 v[40:41], 2, v[20:21]
	v_add_co_u32_e64 v40, s[38:39], s42, v40
	v_addc_co_u32_e64 v41, s[38:39], v39, v41, s[38:39]
	global_store_dword v[40:41], v44, off
	s_set_gpr_idx_on s61, gpr_idx(DST)
	v_mov_b32_e32 v2, v35
	s_set_gpr_idx_off
.LBB897_89:                             ;   in Loop: Header=BB897_87 Depth=1
	s_or_b64 exec, exec, s[58:59]
	v_add_u32_e32 v20, 0x200, v30
	v_cmp_gt_u32_e64 s[38:39], s7, v20
	s_and_saveexec_b64 s[58:59], s[38:39]
	s_cbranch_execz .LBB897_91
; %bb.90:                               ;   in Loop: Header=BB897_87 Depth=1
	ds_read_b32 v20, v34 offset:2048
	v_mov_b32_e32 v39, s43
	s_add_i32 s67, s61, 1
	s_waitcnt lgkmcnt(0)
	v_lshrrev_b32_e32 v35, s52, v20
	v_and_b32_e32 v35, s66, v35
	v_lshlrev_b32_e32 v36, 2, v35
	ds_read_b32 v36, v36
	v_xor_b32_e32 v44, 0x80000000, v20
	s_waitcnt lgkmcnt(0)
	v_add3_u32 v20, v30, v36, s62
	v_lshlrev_b64 v[40:41], 2, v[20:21]
	v_add_co_u32_e64 v40, s[38:39], s42, v40
	v_addc_co_u32_e64 v41, s[38:39], v39, v41, s[38:39]
	global_store_dword v[40:41], v44, off
	s_set_gpr_idx_on s67, gpr_idx(DST)
	v_mov_b32_e32 v2, v35
	s_set_gpr_idx_off
.LBB897_91:                             ;   in Loop: Header=BB897_87 Depth=1
	s_or_b64 exec, exec, s[58:59]
	v_add_u32_e32 v20, 0x400, v30
	v_cmp_gt_u32_e64 s[38:39], s7, v20
	s_and_saveexec_b64 s[58:59], s[38:39]
	s_cbranch_execz .LBB897_93
; %bb.92:                               ;   in Loop: Header=BB897_87 Depth=1
	ds_read_b32 v20, v34 offset:4096
	v_mov_b32_e32 v39, s43
	s_add_i32 s67, s61, 2
	s_waitcnt lgkmcnt(0)
	v_lshrrev_b32_e32 v35, s52, v20
	v_and_b32_e32 v35, s66, v35
	v_lshlrev_b32_e32 v36, 2, v35
	ds_read_b32 v36, v36
	v_xor_b32_e32 v44, 0x80000000, v20
	s_waitcnt lgkmcnt(0)
	v_add3_u32 v20, v30, v36, s60
	v_lshlrev_b64 v[40:41], 2, v[20:21]
	v_add_co_u32_e64 v40, s[38:39], s42, v40
	v_addc_co_u32_e64 v41, s[38:39], v39, v41, s[38:39]
	global_store_dword v[40:41], v44, off
	s_set_gpr_idx_on s67, gpr_idx(DST)
	v_mov_b32_e32 v2, v35
	s_set_gpr_idx_off
.LBB897_93:                             ;   in Loop: Header=BB897_87 Depth=1
	s_or_b64 exec, exec, s[58:59]
	v_add_u32_e32 v20, 0x600, v30
	v_cmp_gt_u32_e64 s[38:39], s7, v20
	s_and_saveexec_b64 s[58:59], s[38:39]
	s_cbranch_execz .LBB897_86
; %bb.94:                               ;   in Loop: Header=BB897_87 Depth=1
	ds_read_b32 v20, v34 offset:6144
	v_mov_b32_e32 v39, s43
	s_add_i32 s67, s61, 3
	s_waitcnt lgkmcnt(0)
	v_lshrrev_b32_e32 v35, s52, v20
	v_and_b32_e32 v35, s66, v35
	v_lshlrev_b32_e32 v36, 2, v35
	ds_read_b32 v36, v36
	v_xor_b32_e32 v44, 0x80000000, v20
	s_waitcnt lgkmcnt(0)
	v_add3_u32 v20, v30, v36, s63
	v_lshlrev_b64 v[40:41], 2, v[20:21]
	v_add_co_u32_e64 v40, s[38:39], s42, v40
	v_addc_co_u32_e64 v41, s[38:39], v39, v41, s[38:39]
	global_store_dword v[40:41], v44, off
	s_set_gpr_idx_on s67, gpr_idx(DST)
	v_mov_b32_e32 v2, v35
	s_set_gpr_idx_off
	s_branch .LBB897_86
.LBB897_95:
	s_mov_b64 s[2:3], 0
                                        ; implicit-def: $vgpr2
                                        ; implicit-def: $vgpr18
	s_cbranch_execnz .LBB897_122
	s_branch .LBB897_181
.LBB897_96:
	s_lshl_b64 s[38:39], s[54:55], 3
	s_add_u32 s38, s44, s38
	s_addc_u32 s39, s45, s39
	v_lshlrev_b32_e32 v20, 3, v22
	v_mov_b32_e32 v21, s39
	v_add_co_u32_e64 v20, s[38:39], s38, v20
	v_addc_co_u32_e64 v21, s[38:39], 0, v21, s[38:39]
	v_lshlrev_b32_e32 v19, 3, v19
	v_add_co_u32_e64 v42, s[38:39], v20, v19
	v_addc_co_u32_e64 v43, s[38:39], 0, v21, s[38:39]
                                        ; implicit-def: $vgpr20_vgpr21
	s_and_saveexec_b64 s[38:39], vcc
	s_cbranch_execnz .LBB897_184
; %bb.97:
	s_or_b64 exec, exec, s[38:39]
                                        ; implicit-def: $vgpr22_vgpr23
	s_and_saveexec_b64 s[38:39], s[36:37]
	s_cbranch_execnz .LBB897_185
.LBB897_98:
	s_or_b64 exec, exec, s[38:39]
                                        ; implicit-def: $vgpr24_vgpr25
	s_and_saveexec_b64 s[36:37], s[10:11]
	s_cbranch_execnz .LBB897_186
.LBB897_99:
	s_or_b64 exec, exec, s[36:37]
                                        ; implicit-def: $vgpr26_vgpr27
	s_and_saveexec_b64 s[10:11], s[14:15]
	s_cbranch_execnz .LBB897_187
.LBB897_100:
	s_or_b64 exec, exec, s[10:11]
                                        ; implicit-def: $vgpr28_vgpr29
	s_and_saveexec_b64 s[10:11], s[16:17]
	s_cbranch_execnz .LBB897_188
.LBB897_101:
	s_or_b64 exec, exec, s[10:11]
                                        ; implicit-def: $vgpr30_vgpr31
	s_and_saveexec_b64 s[10:11], s[20:21]
	s_cbranch_execnz .LBB897_189
.LBB897_102:
	s_or_b64 exec, exec, s[10:11]
                                        ; implicit-def: $vgpr32_vgpr33
	s_and_saveexec_b64 s[10:11], s[24:25]
	s_cbranch_execnz .LBB897_190
.LBB897_103:
	s_or_b64 exec, exec, s[10:11]
                                        ; implicit-def: $vgpr34_vgpr35
	s_and_saveexec_b64 s[10:11], s[28:29]
	s_cbranch_execnz .LBB897_191
.LBB897_104:
	s_or_b64 exec, exec, s[10:11]
                                        ; implicit-def: $vgpr36_vgpr37
	s_and_saveexec_b64 s[10:11], s[30:31]
	s_cbranch_execnz .LBB897_192
.LBB897_105:
	s_or_b64 exec, exec, s[10:11]
                                        ; implicit-def: $vgpr38_vgpr39
	s_and_saveexec_b64 s[10:11], s[26:27]
	s_cbranch_execnz .LBB897_193
.LBB897_106:
	s_or_b64 exec, exec, s[10:11]
                                        ; implicit-def: $vgpr40_vgpr41
	s_and_saveexec_b64 s[10:11], s[22:23]
	s_cbranch_execnz .LBB897_194
.LBB897_107:
	s_or_b64 exec, exec, s[10:11]
                                        ; implicit-def: $vgpr44_vgpr45
	s_and_saveexec_b64 s[10:11], s[18:19]
	s_cbranch_execnz .LBB897_195
.LBB897_108:
	s_or_b64 exec, exec, s[10:11]
                                        ; implicit-def: $vgpr46_vgpr47
	s_and_saveexec_b64 s[10:11], s[12:13]
	s_cbranch_execnz .LBB897_196
.LBB897_109:
	s_or_b64 exec, exec, s[10:11]
                                        ; implicit-def: $vgpr48_vgpr49
	s_and_saveexec_b64 s[10:11], s[8:9]
	s_cbranch_execnz .LBB897_197
.LBB897_110:
	s_or_b64 exec, exec, s[10:11]
                                        ; implicit-def: $vgpr50_vgpr51
	s_and_saveexec_b64 s[8:9], s[2:3]
	s_cbranch_execnz .LBB897_198
.LBB897_111:
	s_or_b64 exec, exec, s[8:9]
                                        ; implicit-def: $vgpr52_vgpr53
	s_and_saveexec_b64 s[2:3], s[0:1]
	s_cbranch_execz .LBB897_113
.LBB897_112:
	v_add_co_u32_e32 v42, vcc, 0x1000, v42
	v_addc_co_u32_e32 v43, vcc, 0, v43, vcc
	global_load_dwordx2 v[52:53], v[42:43], off offset:3584
.LBB897_113:
	s_or_b64 exec, exec, s[2:3]
	v_lshlrev_b32_e32 v19, 3, v18
	v_add_u32_e32 v61, 0x400, v19
	s_mov_b32 s2, 0
	v_mov_b32_e32 v43, 0
	s_movk_i32 s3, 0x200
	s_mov_b32 s8, 0
	v_mov_b32_e32 v65, v18
	s_waitcnt vmcnt(0)
	s_branch .LBB897_115
.LBB897_114:                            ;   in Loop: Header=BB897_115 Depth=1
	s_or_b64 exec, exec, s[0:1]
	s_addk_i32 s8, 0xfc00
	s_add_i32 s2, s2, 2
	s_cmpk_eq_i32 s8, 0xe000
	v_add_u32_e32 v65, 0x400, v65
	s_barrier
	s_cbranch_scc1 .LBB897_119
.LBB897_115:                            ; =>This Inner Loop Header: Depth=1
	v_add_u32_e32 v42, s8, v60
	v_min_u32_e32 v42, 0x400, v42
	v_lshlrev_b32_e32 v42, 3, v42
	ds_write_b64 v42, v[20:21] offset:1024
	v_add_u32_e32 v42, s8, v73
	v_min_u32_e32 v42, 0x400, v42
	v_lshlrev_b32_e32 v42, 3, v42
	ds_write_b64 v42, v[22:23] offset:1024
	;; [unrolled: 4-line block ×15, first 2 shown]
	v_add_u32_e32 v42, s8, v64
	v_min_u32_e32 v42, 0x400, v42
	v_lshlrev_b32_e32 v42, 3, v42
	v_cmp_gt_u32_e32 vcc, s7, v65
	ds_write_b64 v42, v[52:53] offset:1024
	s_waitcnt lgkmcnt(0)
	s_barrier
	s_and_saveexec_b64 s[0:1], vcc
	s_cbranch_execz .LBB897_117
; %bb.116:                              ;   in Loop: Header=BB897_115 Depth=1
	ds_read_b64 v[74:75], v19 offset:1024
	s_set_gpr_idx_on s2, gpr_idx(SRC0)
	v_mov_b32_e32 v42, v2
	s_set_gpr_idx_off
	v_lshlrev_b32_e32 v42, 2, v42
	ds_read_b32 v42, v42
	v_mov_b32_e32 v78, s47
	s_waitcnt lgkmcnt(0)
	v_add_u32_e32 v42, v65, v42
	v_lshlrev_b64 v[76:77], 3, v[42:43]
	v_add_co_u32_e32 v76, vcc, s46, v76
	v_addc_co_u32_e32 v77, vcc, v78, v77, vcc
	global_store_dwordx2 v[76:77], v[74:75], off
.LBB897_117:                            ;   in Loop: Header=BB897_115 Depth=1
	s_or_b64 exec, exec, s[0:1]
	v_add_u32_e32 v42, 0x200, v65
	v_cmp_gt_u32_e32 vcc, s7, v42
	s_and_saveexec_b64 s[0:1], vcc
	s_cbranch_execz .LBB897_114
; %bb.118:                              ;   in Loop: Header=BB897_115 Depth=1
	s_add_i32 s9, s2, 1
	ds_read_b64 v[74:75], v61 offset:4096
	s_set_gpr_idx_on s9, gpr_idx(SRC0)
	v_mov_b32_e32 v42, v2
	s_set_gpr_idx_off
	v_lshlrev_b32_e32 v42, 2, v42
	ds_read_b32 v42, v42
	v_mov_b32_e32 v78, s47
	s_waitcnt lgkmcnt(0)
	v_add3_u32 v42, v65, v42, s3
	v_lshlrev_b64 v[76:77], 3, v[42:43]
	v_add_co_u32_e32 v76, vcc, s46, v76
	v_addc_co_u32_e32 v77, vcc, v78, v77, vcc
	global_store_dwordx2 v[76:77], v[74:75], off
	s_branch .LBB897_114
.LBB897_119:
	s_add_i32 s33, s33, -1
	s_cmp_eq_u32 s33, s6
	s_cselect_b64 s[0:1], -1, 0
	s_and_b64 s[8:9], s[34:35], s[0:1]
	s_mov_b64 s[0:1], 0
	s_mov_b64 s[2:3], 0
                                        ; implicit-def: $vgpr2
	s_and_saveexec_b64 s[10:11], s[8:9]
	s_xor_b64 s[8:9], exec, s[10:11]
; %bb.120:
	s_mov_b64 s[2:3], exec
	v_add_u32_e32 v2, v54, v57
; %bb.121:
	s_or_b64 exec, exec, s[8:9]
	s_and_b64 vcc, exec, s[0:1]
	s_cbranch_vccz .LBB897_181
.LBB897_122:
	v_and_b32_e32 v18, 0x3ff, v0
	s_lshl_b32 s8, s6, 13
	s_mov_b32 s9, 0
	v_mbcnt_hi_u32_b32 v4, -1, v1
	s_lshl_b64 s[0:1], s[8:9], 2
	v_and_b32_e32 v20, 63, v4
	v_lshlrev_b32_e32 v1, 4, v18
	s_add_u32 s0, s40, s0
	v_and_b32_e32 v19, 0x1c00, v1
	v_lshlrev_b32_e32 v1, 2, v20
	v_add_co_u32_e32 v1, vcc, s0, v1
	s_load_dword s7, s[4:5], 0x58
	s_load_dword s0, s[4:5], 0x64
	s_addc_u32 s1, s41, s1
	v_mov_b32_e32 v3, s1
	v_addc_co_u32_e32 v3, vcc, 0, v3, vcc
	v_lshlrev_b32_e32 v5, 2, v19
	s_add_u32 s1, s4, 0x58
	v_add_co_u32_e32 v8, vcc, v1, v5
	s_addc_u32 s4, s5, 0
	s_waitcnt lgkmcnt(0)
	s_lshr_b32 s5, s0, 16
	v_addc_co_u32_e32 v9, vcc, 0, v3, vcc
	s_cmp_lt_u32 s6, s7
	global_load_dword v1, v[8:9], off
	s_cselect_b32 s0, 12, 18
	s_add_u32 s0, s1, s0
	v_mov_b32_e32 v2, 0
	s_addc_u32 s1, s4, 0
	global_load_ushort v3, v2, s[0:1]
	v_mul_u32_u24_e32 v5, 5, v18
	v_lshlrev_b32_e32 v5, 2, v5
	ds_write2_b32 v5, v2, v2 offset0:8 offset1:9
	ds_write2_b32 v5, v2, v2 offset0:10 offset1:11
	ds_write_b32 v5, v2 offset:48
	global_load_dword v7, v[8:9], off offset:256
	global_load_dword v10, v[8:9], off offset:512
	global_load_dword v13, v[8:9], off offset:768
	global_load_dword v25, v[8:9], off offset:1024
	global_load_dword v26, v[8:9], off offset:1280
	global_load_dword v27, v[8:9], off offset:1536
	global_load_dword v28, v[8:9], off offset:1792
	global_load_dword v32, v[8:9], off offset:2048
	global_load_dword v37, v[8:9], off offset:2304
	global_load_dword v42, v[8:9], off offset:2560
	global_load_dword v45, v[8:9], off offset:2816
	global_load_dword v40, v[8:9], off offset:3072
	global_load_dword v35, v[8:9], off offset:3328
	global_load_dword v30, v[8:9], off offset:3584
	global_load_dword v14, v[8:9], off offset:3840
	s_lshl_b32 s0, -1, s53
	v_bfe_u32 v6, v0, 10, 10
	v_bfe_u32 v0, v0, 20, 10
	s_not_b32 s16, s0
	v_mad_u32_u24 v0, v0, s5, v6
	s_waitcnt lgkmcnt(0)
	s_barrier
	s_waitcnt lgkmcnt(0)
	; wave barrier
	s_waitcnt vmcnt(16)
	v_xor_b32_e32 v21, 0x80000000, v1
	v_lshrrev_b32_e32 v1, s52, v21
	v_and_b32_e32 v6, s16, v1
	v_and_b32_e32 v8, 1, v6
	s_waitcnt vmcnt(15)
	v_mad_u64_u32 v[0:1], s[0:1], v0, v3, v[18:19]
	v_lshrrev_b32_e32 v15, 6, v0
	v_add_co_u32_e32 v0, vcc, -1, v8
	v_lshlrev_b32_e32 v3, 30, v6
	v_addc_co_u32_e64 v11, s[0:1], 0, -1, vcc
	v_lshl_add_u32 v1, v6, 3, v6
	v_cmp_ne_u32_e32 vcc, 0, v8
	v_cmp_gt_i64_e64 s[0:1], 0, v[2:3]
	v_not_b32_e32 v8, v3
	v_lshlrev_b32_e32 v3, 29, v6
	v_add_lshl_u32 v9, v15, v1, 2
	v_xor_b32_e32 v1, vcc_hi, v11
	v_xor_b32_e32 v0, vcc_lo, v0
	v_ashrrev_i32_e32 v8, 31, v8
	v_not_b32_e32 v11, v3
	v_cmp_gt_i64_e32 vcc, 0, v[2:3]
	v_lshlrev_b32_e32 v3, 28, v6
	v_and_b32_e32 v0, exec_lo, v0
	v_xor_b32_e32 v12, s1, v8
	v_xor_b32_e32 v8, s0, v8
	v_ashrrev_i32_e32 v11, 31, v11
	v_and_b32_e32 v1, exec_hi, v1
	v_and_b32_e32 v0, v0, v8
	v_xor_b32_e32 v8, vcc_hi, v11
	v_xor_b32_e32 v11, vcc_lo, v11
	v_cmp_gt_i64_e32 vcc, 0, v[2:3]
	v_not_b32_e32 v3, v3
	v_and_b32_e32 v1, v1, v12
	v_ashrrev_i32_e32 v3, 31, v3
	v_and_b32_e32 v1, v1, v8
	v_and_b32_e32 v0, v0, v11
	v_xor_b32_e32 v8, vcc_hi, v3
	v_xor_b32_e32 v3, vcc_lo, v3
	v_and_b32_e32 v0, v0, v3
	v_lshlrev_b32_e32 v3, 27, v6
	v_cmp_gt_i64_e32 vcc, 0, v[2:3]
	v_not_b32_e32 v3, v3
	v_ashrrev_i32_e32 v3, 31, v3
	v_and_b32_e32 v1, v1, v8
	v_xor_b32_e32 v8, vcc_hi, v3
	v_xor_b32_e32 v3, vcc_lo, v3
	v_and_b32_e32 v0, v0, v3
	v_lshlrev_b32_e32 v3, 26, v6
	v_cmp_gt_i64_e32 vcc, 0, v[2:3]
	v_not_b32_e32 v3, v3
	v_ashrrev_i32_e32 v3, 31, v3
	;; [unrolled: 8-line block ×4, first 2 shown]
	v_xor_b32_e32 v6, vcc_hi, v3
	v_xor_b32_e32 v3, vcc_lo, v3
	v_and_b32_e32 v1, v1, v8
	v_and_b32_e32 v0, v0, v3
	;; [unrolled: 1-line block ×3, first 2 shown]
	v_mbcnt_lo_u32_b32 v3, v0, 0
	v_mbcnt_hi_u32_b32 v6, v1, v3
	v_cmp_eq_u32_e32 vcc, 0, v6
	v_cmp_ne_u64_e64 s[0:1], 0, v[0:1]
	s_and_b64 s[4:5], s[0:1], vcc
	s_and_saveexec_b64 s[0:1], s[4:5]
	s_cbranch_execz .LBB897_124
; %bb.123:
	v_bcnt_u32_b32 v0, v0, 0
	v_bcnt_u32_b32 v0, v1, v0
	ds_write_b32 v9, v0 offset:32
.LBB897_124:
	s_or_b64 exec, exec, s[0:1]
	s_waitcnt vmcnt(14)
	v_xor_b32_e32 v22, 0x80000000, v7
	v_lshrrev_b32_e32 v0, s52, v22
	v_and_b32_e32 v0, s16, v0
	v_lshl_add_u32 v1, v0, 3, v0
	v_add_lshl_u32 v11, v15, v1, 2
	v_and_b32_e32 v1, 1, v0
	v_add_co_u32_e32 v3, vcc, -1, v1
	v_addc_co_u32_e64 v8, s[0:1], 0, -1, vcc
	v_cmp_ne_u32_e32 vcc, 0, v1
	v_xor_b32_e32 v3, vcc_lo, v3
	v_xor_b32_e32 v1, vcc_hi, v8
	v_and_b32_e32 v8, exec_lo, v3
	v_lshlrev_b32_e32 v3, 30, v0
	v_cmp_gt_i64_e32 vcc, 0, v[2:3]
	v_not_b32_e32 v3, v3
	v_ashrrev_i32_e32 v3, 31, v3
	v_xor_b32_e32 v12, vcc_hi, v3
	v_xor_b32_e32 v3, vcc_lo, v3
	v_and_b32_e32 v8, v8, v3
	v_lshlrev_b32_e32 v3, 29, v0
	v_cmp_gt_i64_e32 vcc, 0, v[2:3]
	v_not_b32_e32 v3, v3
	v_and_b32_e32 v1, exec_hi, v1
	v_ashrrev_i32_e32 v3, 31, v3
	v_and_b32_e32 v1, v1, v12
	v_xor_b32_e32 v12, vcc_hi, v3
	v_xor_b32_e32 v3, vcc_lo, v3
	v_and_b32_e32 v8, v8, v3
	v_lshlrev_b32_e32 v3, 28, v0
	v_cmp_gt_i64_e32 vcc, 0, v[2:3]
	v_not_b32_e32 v3, v3
	v_ashrrev_i32_e32 v3, 31, v3
	v_and_b32_e32 v1, v1, v12
	v_xor_b32_e32 v12, vcc_hi, v3
	v_xor_b32_e32 v3, vcc_lo, v3
	v_and_b32_e32 v8, v8, v3
	v_lshlrev_b32_e32 v3, 27, v0
	v_cmp_gt_i64_e32 vcc, 0, v[2:3]
	v_not_b32_e32 v3, v3
	;; [unrolled: 8-line block ×4, first 2 shown]
	v_ashrrev_i32_e32 v3, 31, v3
	v_and_b32_e32 v1, v1, v12
	v_xor_b32_e32 v12, vcc_hi, v3
	v_xor_b32_e32 v3, vcc_lo, v3
	v_and_b32_e32 v8, v8, v3
	v_lshlrev_b32_e32 v3, 24, v0
	v_not_b32_e32 v0, v3
	v_cmp_gt_i64_e32 vcc, 0, v[2:3]
	v_ashrrev_i32_e32 v0, 31, v0
	v_xor_b32_e32 v2, vcc_hi, v0
	v_xor_b32_e32 v0, vcc_lo, v0
	; wave barrier
	ds_read_b32 v7, v11 offset:32
	v_and_b32_e32 v1, v1, v12
	v_and_b32_e32 v0, v8, v0
	;; [unrolled: 1-line block ×3, first 2 shown]
	v_mbcnt_lo_u32_b32 v2, v0, 0
	v_mbcnt_hi_u32_b32 v8, v1, v2
	v_cmp_eq_u32_e32 vcc, 0, v8
	v_cmp_ne_u64_e64 s[0:1], 0, v[0:1]
	s_and_b64 s[4:5], s[0:1], vcc
	; wave barrier
	s_and_saveexec_b64 s[0:1], s[4:5]
	s_cbranch_execz .LBB897_126
; %bb.125:
	v_bcnt_u32_b32 v0, v0, 0
	v_bcnt_u32_b32 v0, v1, v0
	s_waitcnt lgkmcnt(0)
	v_add_u32_e32 v0, v7, v0
	ds_write_b32 v11, v0 offset:32
.LBB897_126:
	s_or_b64 exec, exec, s[0:1]
	s_waitcnt vmcnt(13)
	v_xor_b32_e32 v23, 0x80000000, v10
	v_lshrrev_b32_e32 v0, s52, v23
	v_and_b32_e32 v2, s16, v0
	v_and_b32_e32 v1, 1, v2
	v_add_co_u32_e32 v3, vcc, -1, v1
	v_addc_co_u32_e64 v12, s[0:1], 0, -1, vcc
	v_cmp_ne_u32_e32 vcc, 0, v1
	v_lshl_add_u32 v0, v2, 3, v2
	v_xor_b32_e32 v1, vcc_hi, v12
	v_add_lshl_u32 v16, v15, v0, 2
	v_mov_b32_e32 v0, 0
	v_and_b32_e32 v12, exec_hi, v1
	v_lshlrev_b32_e32 v1, 30, v2
	v_xor_b32_e32 v3, vcc_lo, v3
	v_cmp_gt_i64_e32 vcc, 0, v[0:1]
	v_not_b32_e32 v1, v1
	v_ashrrev_i32_e32 v1, 31, v1
	v_and_b32_e32 v3, exec_lo, v3
	v_xor_b32_e32 v17, vcc_hi, v1
	v_xor_b32_e32 v1, vcc_lo, v1
	v_and_b32_e32 v3, v3, v1
	v_lshlrev_b32_e32 v1, 29, v2
	v_cmp_gt_i64_e32 vcc, 0, v[0:1]
	v_not_b32_e32 v1, v1
	v_ashrrev_i32_e32 v1, 31, v1
	v_and_b32_e32 v12, v12, v17
	v_xor_b32_e32 v17, vcc_hi, v1
	v_xor_b32_e32 v1, vcc_lo, v1
	v_and_b32_e32 v3, v3, v1
	v_lshlrev_b32_e32 v1, 28, v2
	v_cmp_gt_i64_e32 vcc, 0, v[0:1]
	v_not_b32_e32 v1, v1
	v_ashrrev_i32_e32 v1, 31, v1
	v_and_b32_e32 v12, v12, v17
	;; [unrolled: 8-line block ×5, first 2 shown]
	v_xor_b32_e32 v17, vcc_hi, v1
	v_xor_b32_e32 v1, vcc_lo, v1
	v_and_b32_e32 v12, v12, v17
	v_and_b32_e32 v17, v3, v1
	v_lshlrev_b32_e32 v1, 24, v2
	v_cmp_gt_i64_e32 vcc, 0, v[0:1]
	v_not_b32_e32 v1, v1
	v_ashrrev_i32_e32 v1, 31, v1
	v_xor_b32_e32 v2, vcc_hi, v1
	v_xor_b32_e32 v1, vcc_lo, v1
	; wave barrier
	ds_read_b32 v10, v16 offset:32
	v_and_b32_e32 v3, v12, v2
	v_and_b32_e32 v2, v17, v1
	v_mbcnt_lo_u32_b32 v1, v2, 0
	v_mbcnt_hi_u32_b32 v12, v3, v1
	v_cmp_eq_u32_e32 vcc, 0, v12
	v_cmp_ne_u64_e64 s[0:1], 0, v[2:3]
	s_and_b64 s[4:5], s[0:1], vcc
	; wave barrier
	s_and_saveexec_b64 s[0:1], s[4:5]
	s_cbranch_execz .LBB897_128
; %bb.127:
	v_bcnt_u32_b32 v1, v2, 0
	v_bcnt_u32_b32 v1, v3, v1
	s_waitcnt lgkmcnt(0)
	v_add_u32_e32 v1, v10, v1
	ds_write_b32 v16, v1 offset:32
.LBB897_128:
	s_or_b64 exec, exec, s[0:1]
	s_waitcnt vmcnt(12)
	v_xor_b32_e32 v24, 0x80000000, v13
	v_lshrrev_b32_e32 v1, s52, v24
	v_and_b32_e32 v2, s16, v1
	v_lshl_add_u32 v1, v2, 3, v2
	v_add_lshl_u32 v31, v15, v1, 2
	v_and_b32_e32 v1, 1, v2
	v_add_co_u32_e32 v3, vcc, -1, v1
	v_addc_co_u32_e64 v17, s[0:1], 0, -1, vcc
	v_cmp_ne_u32_e32 vcc, 0, v1
	v_xor_b32_e32 v1, vcc_hi, v17
	v_and_b32_e32 v17, exec_hi, v1
	v_lshlrev_b32_e32 v1, 30, v2
	v_xor_b32_e32 v3, vcc_lo, v3
	v_cmp_gt_i64_e32 vcc, 0, v[0:1]
	v_not_b32_e32 v1, v1
	v_ashrrev_i32_e32 v1, 31, v1
	v_and_b32_e32 v3, exec_lo, v3
	v_xor_b32_e32 v29, vcc_hi, v1
	v_xor_b32_e32 v1, vcc_lo, v1
	v_and_b32_e32 v3, v3, v1
	v_lshlrev_b32_e32 v1, 29, v2
	v_cmp_gt_i64_e32 vcc, 0, v[0:1]
	v_not_b32_e32 v1, v1
	v_ashrrev_i32_e32 v1, 31, v1
	v_and_b32_e32 v17, v17, v29
	v_xor_b32_e32 v29, vcc_hi, v1
	v_xor_b32_e32 v1, vcc_lo, v1
	v_and_b32_e32 v3, v3, v1
	v_lshlrev_b32_e32 v1, 28, v2
	v_cmp_gt_i64_e32 vcc, 0, v[0:1]
	v_not_b32_e32 v1, v1
	v_ashrrev_i32_e32 v1, 31, v1
	v_and_b32_e32 v17, v17, v29
	;; [unrolled: 8-line block ×5, first 2 shown]
	v_xor_b32_e32 v29, vcc_hi, v1
	v_xor_b32_e32 v1, vcc_lo, v1
	v_and_b32_e32 v3, v3, v1
	v_lshlrev_b32_e32 v1, 24, v2
	v_cmp_gt_i64_e32 vcc, 0, v[0:1]
	v_not_b32_e32 v0, v1
	v_ashrrev_i32_e32 v0, 31, v0
	v_xor_b32_e32 v1, vcc_hi, v0
	v_xor_b32_e32 v0, vcc_lo, v0
	; wave barrier
	ds_read_b32 v13, v31 offset:32
	v_and_b32_e32 v17, v17, v29
	v_and_b32_e32 v0, v3, v0
	;; [unrolled: 1-line block ×3, first 2 shown]
	v_mbcnt_lo_u32_b32 v2, v0, 0
	v_mbcnt_hi_u32_b32 v17, v1, v2
	v_cmp_eq_u32_e32 vcc, 0, v17
	v_cmp_ne_u64_e64 s[0:1], 0, v[0:1]
	s_and_b64 s[4:5], s[0:1], vcc
	; wave barrier
	s_and_saveexec_b64 s[0:1], s[4:5]
	s_cbranch_execz .LBB897_130
; %bb.129:
	v_bcnt_u32_b32 v0, v0, 0
	v_bcnt_u32_b32 v0, v1, v0
	s_waitcnt lgkmcnt(0)
	v_add_u32_e32 v0, v13, v0
	ds_write_b32 v31, v0 offset:32
.LBB897_130:
	s_or_b64 exec, exec, s[0:1]
	s_waitcnt vmcnt(11)
	v_xor_b32_e32 v25, 0x80000000, v25
	v_lshrrev_b32_e32 v0, s52, v25
	v_and_b32_e32 v2, s16, v0
	v_and_b32_e32 v1, 1, v2
	v_add_co_u32_e32 v3, vcc, -1, v1
	v_addc_co_u32_e64 v33, s[0:1], 0, -1, vcc
	v_cmp_ne_u32_e32 vcc, 0, v1
	v_lshl_add_u32 v0, v2, 3, v2
	v_xor_b32_e32 v1, vcc_hi, v33
	v_add_lshl_u32 v36, v15, v0, 2
	v_mov_b32_e32 v0, 0
	v_and_b32_e32 v33, exec_hi, v1
	v_lshlrev_b32_e32 v1, 30, v2
	v_xor_b32_e32 v3, vcc_lo, v3
	v_cmp_gt_i64_e32 vcc, 0, v[0:1]
	v_not_b32_e32 v1, v1
	v_ashrrev_i32_e32 v1, 31, v1
	v_and_b32_e32 v3, exec_lo, v3
	v_xor_b32_e32 v34, vcc_hi, v1
	v_xor_b32_e32 v1, vcc_lo, v1
	v_and_b32_e32 v3, v3, v1
	v_lshlrev_b32_e32 v1, 29, v2
	v_cmp_gt_i64_e32 vcc, 0, v[0:1]
	v_not_b32_e32 v1, v1
	v_ashrrev_i32_e32 v1, 31, v1
	v_and_b32_e32 v33, v33, v34
	v_xor_b32_e32 v34, vcc_hi, v1
	v_xor_b32_e32 v1, vcc_lo, v1
	v_and_b32_e32 v3, v3, v1
	v_lshlrev_b32_e32 v1, 28, v2
	v_cmp_gt_i64_e32 vcc, 0, v[0:1]
	v_not_b32_e32 v1, v1
	v_ashrrev_i32_e32 v1, 31, v1
	v_and_b32_e32 v33, v33, v34
	;; [unrolled: 8-line block ×5, first 2 shown]
	v_xor_b32_e32 v34, vcc_hi, v1
	v_xor_b32_e32 v1, vcc_lo, v1
	v_and_b32_e32 v33, v33, v34
	v_and_b32_e32 v34, v3, v1
	v_lshlrev_b32_e32 v1, 24, v2
	v_cmp_gt_i64_e32 vcc, 0, v[0:1]
	v_not_b32_e32 v1, v1
	v_ashrrev_i32_e32 v1, 31, v1
	v_xor_b32_e32 v2, vcc_hi, v1
	v_xor_b32_e32 v1, vcc_lo, v1
	; wave barrier
	ds_read_b32 v29, v36 offset:32
	v_and_b32_e32 v3, v33, v2
	v_and_b32_e32 v2, v34, v1
	v_mbcnt_lo_u32_b32 v1, v2, 0
	v_mbcnt_hi_u32_b32 v33, v3, v1
	v_cmp_eq_u32_e32 vcc, 0, v33
	v_cmp_ne_u64_e64 s[0:1], 0, v[2:3]
	s_and_b64 s[4:5], s[0:1], vcc
	; wave barrier
	s_and_saveexec_b64 s[0:1], s[4:5]
	s_cbranch_execz .LBB897_132
; %bb.131:
	v_bcnt_u32_b32 v1, v2, 0
	v_bcnt_u32_b32 v1, v3, v1
	s_waitcnt lgkmcnt(0)
	v_add_u32_e32 v1, v29, v1
	ds_write_b32 v36, v1 offset:32
.LBB897_132:
	s_or_b64 exec, exec, s[0:1]
	s_waitcnt vmcnt(10)
	v_xor_b32_e32 v26, 0x80000000, v26
	v_lshrrev_b32_e32 v1, s52, v26
	v_and_b32_e32 v2, s16, v1
	v_lshl_add_u32 v1, v2, 3, v2
	v_add_lshl_u32 v41, v15, v1, 2
	v_and_b32_e32 v1, 1, v2
	v_add_co_u32_e32 v3, vcc, -1, v1
	v_addc_co_u32_e64 v38, s[0:1], 0, -1, vcc
	v_cmp_ne_u32_e32 vcc, 0, v1
	v_xor_b32_e32 v1, vcc_hi, v38
	v_and_b32_e32 v38, exec_hi, v1
	v_lshlrev_b32_e32 v1, 30, v2
	v_xor_b32_e32 v3, vcc_lo, v3
	v_cmp_gt_i64_e32 vcc, 0, v[0:1]
	v_not_b32_e32 v1, v1
	v_ashrrev_i32_e32 v1, 31, v1
	v_and_b32_e32 v3, exec_lo, v3
	v_xor_b32_e32 v39, vcc_hi, v1
	v_xor_b32_e32 v1, vcc_lo, v1
	v_and_b32_e32 v3, v3, v1
	v_lshlrev_b32_e32 v1, 29, v2
	v_cmp_gt_i64_e32 vcc, 0, v[0:1]
	v_not_b32_e32 v1, v1
	v_ashrrev_i32_e32 v1, 31, v1
	v_and_b32_e32 v38, v38, v39
	v_xor_b32_e32 v39, vcc_hi, v1
	v_xor_b32_e32 v1, vcc_lo, v1
	v_and_b32_e32 v3, v3, v1
	v_lshlrev_b32_e32 v1, 28, v2
	v_cmp_gt_i64_e32 vcc, 0, v[0:1]
	v_not_b32_e32 v1, v1
	v_ashrrev_i32_e32 v1, 31, v1
	v_and_b32_e32 v38, v38, v39
	;; [unrolled: 8-line block ×5, first 2 shown]
	v_xor_b32_e32 v39, vcc_hi, v1
	v_xor_b32_e32 v1, vcc_lo, v1
	v_and_b32_e32 v3, v3, v1
	v_lshlrev_b32_e32 v1, 24, v2
	v_cmp_gt_i64_e32 vcc, 0, v[0:1]
	v_not_b32_e32 v0, v1
	v_ashrrev_i32_e32 v0, 31, v0
	v_xor_b32_e32 v1, vcc_hi, v0
	v_xor_b32_e32 v0, vcc_lo, v0
	; wave barrier
	ds_read_b32 v34, v41 offset:32
	v_and_b32_e32 v38, v38, v39
	v_and_b32_e32 v0, v3, v0
	;; [unrolled: 1-line block ×3, first 2 shown]
	v_mbcnt_lo_u32_b32 v2, v0, 0
	v_mbcnt_hi_u32_b32 v38, v1, v2
	v_cmp_eq_u32_e32 vcc, 0, v38
	v_cmp_ne_u64_e64 s[0:1], 0, v[0:1]
	s_and_b64 s[4:5], s[0:1], vcc
	; wave barrier
	s_and_saveexec_b64 s[0:1], s[4:5]
	s_cbranch_execz .LBB897_134
; %bb.133:
	v_bcnt_u32_b32 v0, v0, 0
	v_bcnt_u32_b32 v0, v1, v0
	s_waitcnt lgkmcnt(0)
	v_add_u32_e32 v0, v34, v0
	ds_write_b32 v41, v0 offset:32
.LBB897_134:
	s_or_b64 exec, exec, s[0:1]
	s_waitcnt vmcnt(9)
	v_xor_b32_e32 v27, 0x80000000, v27
	v_lshrrev_b32_e32 v0, s52, v27
	v_and_b32_e32 v2, s16, v0
	v_and_b32_e32 v1, 1, v2
	v_add_co_u32_e32 v3, vcc, -1, v1
	v_addc_co_u32_e64 v43, s[0:1], 0, -1, vcc
	v_cmp_ne_u32_e32 vcc, 0, v1
	v_lshl_add_u32 v0, v2, 3, v2
	v_xor_b32_e32 v1, vcc_hi, v43
	v_add_lshl_u32 v46, v15, v0, 2
	v_mov_b32_e32 v0, 0
	v_and_b32_e32 v43, exec_hi, v1
	v_lshlrev_b32_e32 v1, 30, v2
	v_xor_b32_e32 v3, vcc_lo, v3
	v_cmp_gt_i64_e32 vcc, 0, v[0:1]
	v_not_b32_e32 v1, v1
	v_ashrrev_i32_e32 v1, 31, v1
	v_and_b32_e32 v3, exec_lo, v3
	v_xor_b32_e32 v44, vcc_hi, v1
	v_xor_b32_e32 v1, vcc_lo, v1
	v_and_b32_e32 v3, v3, v1
	v_lshlrev_b32_e32 v1, 29, v2
	v_cmp_gt_i64_e32 vcc, 0, v[0:1]
	v_not_b32_e32 v1, v1
	v_ashrrev_i32_e32 v1, 31, v1
	v_and_b32_e32 v43, v43, v44
	v_xor_b32_e32 v44, vcc_hi, v1
	v_xor_b32_e32 v1, vcc_lo, v1
	v_and_b32_e32 v3, v3, v1
	v_lshlrev_b32_e32 v1, 28, v2
	v_cmp_gt_i64_e32 vcc, 0, v[0:1]
	v_not_b32_e32 v1, v1
	v_ashrrev_i32_e32 v1, 31, v1
	v_and_b32_e32 v43, v43, v44
	v_xor_b32_e32 v44, vcc_hi, v1
	v_xor_b32_e32 v1, vcc_lo, v1
	v_and_b32_e32 v3, v3, v1
	v_lshlrev_b32_e32 v1, 27, v2
	v_cmp_gt_i64_e32 vcc, 0, v[0:1]
	v_not_b32_e32 v1, v1
	v_ashrrev_i32_e32 v1, 31, v1
	v_and_b32_e32 v43, v43, v44
	v_xor_b32_e32 v44, vcc_hi, v1
	v_xor_b32_e32 v1, vcc_lo, v1
	v_and_b32_e32 v3, v3, v1
	v_lshlrev_b32_e32 v1, 26, v2
	v_cmp_gt_i64_e32 vcc, 0, v[0:1]
	v_not_b32_e32 v1, v1
	v_ashrrev_i32_e32 v1, 31, v1
	v_and_b32_e32 v43, v43, v44
	v_xor_b32_e32 v44, vcc_hi, v1
	v_xor_b32_e32 v1, vcc_lo, v1
	v_and_b32_e32 v3, v3, v1
	v_lshlrev_b32_e32 v1, 25, v2
	v_cmp_gt_i64_e32 vcc, 0, v[0:1]
	v_not_b32_e32 v1, v1
	v_ashrrev_i32_e32 v1, 31, v1
	v_and_b32_e32 v43, v43, v44
	v_xor_b32_e32 v44, vcc_hi, v1
	v_xor_b32_e32 v1, vcc_lo, v1
	v_and_b32_e32 v43, v43, v44
	v_and_b32_e32 v44, v3, v1
	v_lshlrev_b32_e32 v1, 24, v2
	v_cmp_gt_i64_e32 vcc, 0, v[0:1]
	v_not_b32_e32 v1, v1
	v_ashrrev_i32_e32 v1, 31, v1
	v_xor_b32_e32 v2, vcc_hi, v1
	v_xor_b32_e32 v1, vcc_lo, v1
	; wave barrier
	ds_read_b32 v39, v46 offset:32
	v_and_b32_e32 v3, v43, v2
	v_and_b32_e32 v2, v44, v1
	v_mbcnt_lo_u32_b32 v1, v2, 0
	v_mbcnt_hi_u32_b32 v43, v3, v1
	v_cmp_eq_u32_e32 vcc, 0, v43
	v_cmp_ne_u64_e64 s[0:1], 0, v[2:3]
	s_and_b64 s[4:5], s[0:1], vcc
	; wave barrier
	s_and_saveexec_b64 s[0:1], s[4:5]
	s_cbranch_execz .LBB897_136
; %bb.135:
	v_bcnt_u32_b32 v1, v2, 0
	v_bcnt_u32_b32 v1, v3, v1
	s_waitcnt lgkmcnt(0)
	v_add_u32_e32 v1, v39, v1
	ds_write_b32 v46, v1 offset:32
.LBB897_136:
	s_or_b64 exec, exec, s[0:1]
	s_waitcnt vmcnt(8)
	v_xor_b32_e32 v28, 0x80000000, v28
	v_lshrrev_b32_e32 v1, s52, v28
	v_and_b32_e32 v2, s16, v1
	v_lshl_add_u32 v1, v2, 3, v2
	v_add_lshl_u32 v49, v15, v1, 2
	v_and_b32_e32 v1, 1, v2
	v_add_co_u32_e32 v3, vcc, -1, v1
	v_addc_co_u32_e64 v47, s[0:1], 0, -1, vcc
	v_cmp_ne_u32_e32 vcc, 0, v1
	v_xor_b32_e32 v1, vcc_hi, v47
	v_and_b32_e32 v47, exec_hi, v1
	v_lshlrev_b32_e32 v1, 30, v2
	v_xor_b32_e32 v3, vcc_lo, v3
	v_cmp_gt_i64_e32 vcc, 0, v[0:1]
	v_not_b32_e32 v1, v1
	v_ashrrev_i32_e32 v1, 31, v1
	v_and_b32_e32 v3, exec_lo, v3
	v_xor_b32_e32 v48, vcc_hi, v1
	v_xor_b32_e32 v1, vcc_lo, v1
	v_and_b32_e32 v3, v3, v1
	v_lshlrev_b32_e32 v1, 29, v2
	v_cmp_gt_i64_e32 vcc, 0, v[0:1]
	v_not_b32_e32 v1, v1
	v_ashrrev_i32_e32 v1, 31, v1
	v_and_b32_e32 v47, v47, v48
	v_xor_b32_e32 v48, vcc_hi, v1
	v_xor_b32_e32 v1, vcc_lo, v1
	v_and_b32_e32 v3, v3, v1
	v_lshlrev_b32_e32 v1, 28, v2
	v_cmp_gt_i64_e32 vcc, 0, v[0:1]
	v_not_b32_e32 v1, v1
	v_ashrrev_i32_e32 v1, 31, v1
	v_and_b32_e32 v47, v47, v48
	;; [unrolled: 8-line block ×5, first 2 shown]
	v_xor_b32_e32 v48, vcc_hi, v1
	v_xor_b32_e32 v1, vcc_lo, v1
	v_and_b32_e32 v3, v3, v1
	v_lshlrev_b32_e32 v1, 24, v2
	v_cmp_gt_i64_e32 vcc, 0, v[0:1]
	v_not_b32_e32 v0, v1
	v_ashrrev_i32_e32 v0, 31, v0
	v_xor_b32_e32 v1, vcc_hi, v0
	v_xor_b32_e32 v0, vcc_lo, v0
	; wave barrier
	ds_read_b32 v44, v49 offset:32
	v_and_b32_e32 v47, v47, v48
	v_and_b32_e32 v0, v3, v0
	;; [unrolled: 1-line block ×3, first 2 shown]
	v_mbcnt_lo_u32_b32 v2, v0, 0
	v_mbcnt_hi_u32_b32 v47, v1, v2
	v_cmp_eq_u32_e32 vcc, 0, v47
	v_cmp_ne_u64_e64 s[0:1], 0, v[0:1]
	s_and_b64 s[4:5], s[0:1], vcc
	; wave barrier
	s_and_saveexec_b64 s[0:1], s[4:5]
	s_cbranch_execz .LBB897_138
; %bb.137:
	v_bcnt_u32_b32 v0, v0, 0
	v_bcnt_u32_b32 v0, v1, v0
	s_waitcnt lgkmcnt(0)
	v_add_u32_e32 v0, v44, v0
	ds_write_b32 v49, v0 offset:32
.LBB897_138:
	s_or_b64 exec, exec, s[0:1]
	s_waitcnt vmcnt(7)
	v_xor_b32_e32 v32, 0x80000000, v32
	v_lshrrev_b32_e32 v0, s52, v32
	v_and_b32_e32 v2, s16, v0
	v_and_b32_e32 v1, 1, v2
	v_add_co_u32_e32 v3, vcc, -1, v1
	v_addc_co_u32_e64 v50, s[0:1], 0, -1, vcc
	v_cmp_ne_u32_e32 vcc, 0, v1
	v_lshl_add_u32 v0, v2, 3, v2
	v_xor_b32_e32 v1, vcc_hi, v50
	v_add_lshl_u32 v52, v15, v0, 2
	v_mov_b32_e32 v0, 0
	v_and_b32_e32 v50, exec_hi, v1
	v_lshlrev_b32_e32 v1, 30, v2
	v_xor_b32_e32 v3, vcc_lo, v3
	v_cmp_gt_i64_e32 vcc, 0, v[0:1]
	v_not_b32_e32 v1, v1
	v_ashrrev_i32_e32 v1, 31, v1
	v_and_b32_e32 v3, exec_lo, v3
	v_xor_b32_e32 v51, vcc_hi, v1
	v_xor_b32_e32 v1, vcc_lo, v1
	v_and_b32_e32 v3, v3, v1
	v_lshlrev_b32_e32 v1, 29, v2
	v_cmp_gt_i64_e32 vcc, 0, v[0:1]
	v_not_b32_e32 v1, v1
	v_ashrrev_i32_e32 v1, 31, v1
	v_and_b32_e32 v50, v50, v51
	v_xor_b32_e32 v51, vcc_hi, v1
	v_xor_b32_e32 v1, vcc_lo, v1
	v_and_b32_e32 v3, v3, v1
	v_lshlrev_b32_e32 v1, 28, v2
	v_cmp_gt_i64_e32 vcc, 0, v[0:1]
	v_not_b32_e32 v1, v1
	v_ashrrev_i32_e32 v1, 31, v1
	v_and_b32_e32 v50, v50, v51
	;; [unrolled: 8-line block ×5, first 2 shown]
	v_xor_b32_e32 v51, vcc_hi, v1
	v_xor_b32_e32 v1, vcc_lo, v1
	v_and_b32_e32 v50, v50, v51
	v_and_b32_e32 v51, v3, v1
	v_lshlrev_b32_e32 v1, 24, v2
	v_cmp_gt_i64_e32 vcc, 0, v[0:1]
	v_not_b32_e32 v1, v1
	v_ashrrev_i32_e32 v1, 31, v1
	v_xor_b32_e32 v2, vcc_hi, v1
	v_xor_b32_e32 v1, vcc_lo, v1
	; wave barrier
	ds_read_b32 v48, v52 offset:32
	v_and_b32_e32 v3, v50, v2
	v_and_b32_e32 v2, v51, v1
	v_mbcnt_lo_u32_b32 v1, v2, 0
	v_mbcnt_hi_u32_b32 v50, v3, v1
	v_cmp_eq_u32_e32 vcc, 0, v50
	v_cmp_ne_u64_e64 s[0:1], 0, v[2:3]
	s_and_b64 s[4:5], s[0:1], vcc
	; wave barrier
	s_and_saveexec_b64 s[0:1], s[4:5]
	s_cbranch_execz .LBB897_140
; %bb.139:
	v_bcnt_u32_b32 v1, v2, 0
	v_bcnt_u32_b32 v1, v3, v1
	s_waitcnt lgkmcnt(0)
	v_add_u32_e32 v1, v48, v1
	ds_write_b32 v52, v1 offset:32
.LBB897_140:
	s_or_b64 exec, exec, s[0:1]
	s_waitcnt vmcnt(6)
	v_xor_b32_e32 v37, 0x80000000, v37
	v_lshrrev_b32_e32 v1, s52, v37
	v_and_b32_e32 v2, s16, v1
	v_lshl_add_u32 v1, v2, 3, v2
	v_add_lshl_u32 v55, v15, v1, 2
	v_and_b32_e32 v1, 1, v2
	v_add_co_u32_e32 v3, vcc, -1, v1
	v_addc_co_u32_e64 v53, s[0:1], 0, -1, vcc
	v_cmp_ne_u32_e32 vcc, 0, v1
	v_xor_b32_e32 v1, vcc_hi, v53
	v_and_b32_e32 v53, exec_hi, v1
	v_lshlrev_b32_e32 v1, 30, v2
	v_xor_b32_e32 v3, vcc_lo, v3
	v_cmp_gt_i64_e32 vcc, 0, v[0:1]
	v_not_b32_e32 v1, v1
	v_ashrrev_i32_e32 v1, 31, v1
	v_and_b32_e32 v3, exec_lo, v3
	v_xor_b32_e32 v54, vcc_hi, v1
	v_xor_b32_e32 v1, vcc_lo, v1
	v_and_b32_e32 v3, v3, v1
	v_lshlrev_b32_e32 v1, 29, v2
	v_cmp_gt_i64_e32 vcc, 0, v[0:1]
	v_not_b32_e32 v1, v1
	v_ashrrev_i32_e32 v1, 31, v1
	v_and_b32_e32 v53, v53, v54
	v_xor_b32_e32 v54, vcc_hi, v1
	v_xor_b32_e32 v1, vcc_lo, v1
	v_and_b32_e32 v3, v3, v1
	v_lshlrev_b32_e32 v1, 28, v2
	v_cmp_gt_i64_e32 vcc, 0, v[0:1]
	v_not_b32_e32 v1, v1
	v_ashrrev_i32_e32 v1, 31, v1
	v_and_b32_e32 v53, v53, v54
	;; [unrolled: 8-line block ×5, first 2 shown]
	v_xor_b32_e32 v54, vcc_hi, v1
	v_xor_b32_e32 v1, vcc_lo, v1
	v_and_b32_e32 v3, v3, v1
	v_lshlrev_b32_e32 v1, 24, v2
	v_cmp_gt_i64_e32 vcc, 0, v[0:1]
	v_not_b32_e32 v0, v1
	v_ashrrev_i32_e32 v0, 31, v0
	v_xor_b32_e32 v1, vcc_hi, v0
	v_xor_b32_e32 v0, vcc_lo, v0
	; wave barrier
	ds_read_b32 v51, v55 offset:32
	v_and_b32_e32 v53, v53, v54
	v_and_b32_e32 v0, v3, v0
	;; [unrolled: 1-line block ×3, first 2 shown]
	v_mbcnt_lo_u32_b32 v2, v0, 0
	v_mbcnt_hi_u32_b32 v53, v1, v2
	v_cmp_eq_u32_e32 vcc, 0, v53
	v_cmp_ne_u64_e64 s[0:1], 0, v[0:1]
	s_and_b64 s[4:5], s[0:1], vcc
	; wave barrier
	s_and_saveexec_b64 s[0:1], s[4:5]
	s_cbranch_execz .LBB897_142
; %bb.141:
	v_bcnt_u32_b32 v0, v0, 0
	v_bcnt_u32_b32 v0, v1, v0
	s_waitcnt lgkmcnt(0)
	v_add_u32_e32 v0, v51, v0
	ds_write_b32 v55, v0 offset:32
.LBB897_142:
	s_or_b64 exec, exec, s[0:1]
	s_waitcnt vmcnt(5)
	v_xor_b32_e32 v42, 0x80000000, v42
	v_lshrrev_b32_e32 v0, s52, v42
	v_and_b32_e32 v2, s16, v0
	v_and_b32_e32 v1, 1, v2
	v_add_co_u32_e32 v3, vcc, -1, v1
	v_addc_co_u32_e64 v56, s[0:1], 0, -1, vcc
	v_cmp_ne_u32_e32 vcc, 0, v1
	v_lshl_add_u32 v0, v2, 3, v2
	v_xor_b32_e32 v1, vcc_hi, v56
	v_add_lshl_u32 v58, v15, v0, 2
	v_mov_b32_e32 v0, 0
	v_and_b32_e32 v56, exec_hi, v1
	v_lshlrev_b32_e32 v1, 30, v2
	v_xor_b32_e32 v3, vcc_lo, v3
	v_cmp_gt_i64_e32 vcc, 0, v[0:1]
	v_not_b32_e32 v1, v1
	v_ashrrev_i32_e32 v1, 31, v1
	v_and_b32_e32 v3, exec_lo, v3
	v_xor_b32_e32 v57, vcc_hi, v1
	v_xor_b32_e32 v1, vcc_lo, v1
	v_and_b32_e32 v3, v3, v1
	v_lshlrev_b32_e32 v1, 29, v2
	v_cmp_gt_i64_e32 vcc, 0, v[0:1]
	v_not_b32_e32 v1, v1
	v_ashrrev_i32_e32 v1, 31, v1
	v_and_b32_e32 v56, v56, v57
	v_xor_b32_e32 v57, vcc_hi, v1
	v_xor_b32_e32 v1, vcc_lo, v1
	v_and_b32_e32 v3, v3, v1
	v_lshlrev_b32_e32 v1, 28, v2
	v_cmp_gt_i64_e32 vcc, 0, v[0:1]
	v_not_b32_e32 v1, v1
	v_ashrrev_i32_e32 v1, 31, v1
	v_and_b32_e32 v56, v56, v57
	;; [unrolled: 8-line block ×5, first 2 shown]
	v_xor_b32_e32 v57, vcc_hi, v1
	v_xor_b32_e32 v1, vcc_lo, v1
	v_and_b32_e32 v56, v56, v57
	v_and_b32_e32 v57, v3, v1
	v_lshlrev_b32_e32 v1, 24, v2
	v_cmp_gt_i64_e32 vcc, 0, v[0:1]
	v_not_b32_e32 v1, v1
	v_ashrrev_i32_e32 v1, 31, v1
	v_xor_b32_e32 v2, vcc_hi, v1
	v_xor_b32_e32 v1, vcc_lo, v1
	; wave barrier
	ds_read_b32 v54, v58 offset:32
	v_and_b32_e32 v3, v56, v2
	v_and_b32_e32 v2, v57, v1
	v_mbcnt_lo_u32_b32 v1, v2, 0
	v_mbcnt_hi_u32_b32 v56, v3, v1
	v_cmp_eq_u32_e32 vcc, 0, v56
	v_cmp_ne_u64_e64 s[0:1], 0, v[2:3]
	s_and_b64 s[4:5], s[0:1], vcc
	; wave barrier
	s_and_saveexec_b64 s[0:1], s[4:5]
	s_cbranch_execz .LBB897_144
; %bb.143:
	v_bcnt_u32_b32 v1, v2, 0
	v_bcnt_u32_b32 v1, v3, v1
	s_waitcnt lgkmcnt(0)
	v_add_u32_e32 v1, v54, v1
	ds_write_b32 v58, v1 offset:32
.LBB897_144:
	s_or_b64 exec, exec, s[0:1]
	s_waitcnt vmcnt(4)
	v_xor_b32_e32 v45, 0x80000000, v45
	v_lshrrev_b32_e32 v1, s52, v45
	v_and_b32_e32 v2, s16, v1
	v_lshl_add_u32 v1, v2, 3, v2
	v_add_lshl_u32 v62, v15, v1, 2
	v_and_b32_e32 v1, 1, v2
	v_add_co_u32_e32 v3, vcc, -1, v1
	v_addc_co_u32_e64 v59, s[0:1], 0, -1, vcc
	v_cmp_ne_u32_e32 vcc, 0, v1
	v_xor_b32_e32 v1, vcc_hi, v59
	v_and_b32_e32 v59, exec_hi, v1
	v_lshlrev_b32_e32 v1, 30, v2
	v_xor_b32_e32 v3, vcc_lo, v3
	v_cmp_gt_i64_e32 vcc, 0, v[0:1]
	v_not_b32_e32 v1, v1
	v_ashrrev_i32_e32 v1, 31, v1
	v_and_b32_e32 v3, exec_lo, v3
	v_xor_b32_e32 v60, vcc_hi, v1
	v_xor_b32_e32 v1, vcc_lo, v1
	v_and_b32_e32 v3, v3, v1
	v_lshlrev_b32_e32 v1, 29, v2
	v_cmp_gt_i64_e32 vcc, 0, v[0:1]
	v_not_b32_e32 v1, v1
	v_ashrrev_i32_e32 v1, 31, v1
	v_and_b32_e32 v59, v59, v60
	v_xor_b32_e32 v60, vcc_hi, v1
	v_xor_b32_e32 v1, vcc_lo, v1
	v_and_b32_e32 v3, v3, v1
	v_lshlrev_b32_e32 v1, 28, v2
	v_cmp_gt_i64_e32 vcc, 0, v[0:1]
	v_not_b32_e32 v1, v1
	v_ashrrev_i32_e32 v1, 31, v1
	v_and_b32_e32 v59, v59, v60
	;; [unrolled: 8-line block ×5, first 2 shown]
	v_xor_b32_e32 v60, vcc_hi, v1
	v_xor_b32_e32 v1, vcc_lo, v1
	v_and_b32_e32 v3, v3, v1
	v_lshlrev_b32_e32 v1, 24, v2
	v_cmp_gt_i64_e32 vcc, 0, v[0:1]
	v_not_b32_e32 v0, v1
	v_ashrrev_i32_e32 v0, 31, v0
	v_xor_b32_e32 v1, vcc_hi, v0
	v_xor_b32_e32 v0, vcc_lo, v0
	; wave barrier
	ds_read_b32 v57, v62 offset:32
	v_and_b32_e32 v59, v59, v60
	v_and_b32_e32 v0, v3, v0
	;; [unrolled: 1-line block ×3, first 2 shown]
	v_mbcnt_lo_u32_b32 v2, v0, 0
	v_mbcnt_hi_u32_b32 v60, v1, v2
	v_cmp_eq_u32_e32 vcc, 0, v60
	v_cmp_ne_u64_e64 s[0:1], 0, v[0:1]
	s_and_b64 s[4:5], s[0:1], vcc
	; wave barrier
	s_and_saveexec_b64 s[0:1], s[4:5]
	s_cbranch_execz .LBB897_146
; %bb.145:
	v_bcnt_u32_b32 v0, v0, 0
	v_bcnt_u32_b32 v0, v1, v0
	s_waitcnt lgkmcnt(0)
	v_add_u32_e32 v0, v57, v0
	ds_write_b32 v62, v0 offset:32
.LBB897_146:
	s_or_b64 exec, exec, s[0:1]
	s_waitcnt vmcnt(3)
	v_xor_b32_e32 v40, 0x80000000, v40
	v_lshrrev_b32_e32 v0, s52, v40
	v_and_b32_e32 v2, s16, v0
	v_and_b32_e32 v1, 1, v2
	v_add_co_u32_e32 v3, vcc, -1, v1
	v_addc_co_u32_e64 v59, s[0:1], 0, -1, vcc
	v_cmp_ne_u32_e32 vcc, 0, v1
	v_lshl_add_u32 v0, v2, 3, v2
	v_xor_b32_e32 v1, vcc_hi, v59
	v_add_lshl_u32 v64, v15, v0, 2
	v_mov_b32_e32 v0, 0
	v_and_b32_e32 v59, exec_hi, v1
	v_lshlrev_b32_e32 v1, 30, v2
	v_xor_b32_e32 v3, vcc_lo, v3
	v_cmp_gt_i64_e32 vcc, 0, v[0:1]
	v_not_b32_e32 v1, v1
	v_ashrrev_i32_e32 v1, 31, v1
	v_and_b32_e32 v3, exec_lo, v3
	v_xor_b32_e32 v63, vcc_hi, v1
	v_xor_b32_e32 v1, vcc_lo, v1
	v_and_b32_e32 v3, v3, v1
	v_lshlrev_b32_e32 v1, 29, v2
	v_cmp_gt_i64_e32 vcc, 0, v[0:1]
	v_not_b32_e32 v1, v1
	v_ashrrev_i32_e32 v1, 31, v1
	v_and_b32_e32 v59, v59, v63
	v_xor_b32_e32 v63, vcc_hi, v1
	v_xor_b32_e32 v1, vcc_lo, v1
	v_and_b32_e32 v3, v3, v1
	v_lshlrev_b32_e32 v1, 28, v2
	v_cmp_gt_i64_e32 vcc, 0, v[0:1]
	v_not_b32_e32 v1, v1
	v_ashrrev_i32_e32 v1, 31, v1
	v_and_b32_e32 v59, v59, v63
	;; [unrolled: 8-line block ×5, first 2 shown]
	v_xor_b32_e32 v63, vcc_hi, v1
	v_xor_b32_e32 v1, vcc_lo, v1
	v_and_b32_e32 v59, v59, v63
	v_and_b32_e32 v63, v3, v1
	v_lshlrev_b32_e32 v1, 24, v2
	v_cmp_gt_i64_e32 vcc, 0, v[0:1]
	v_not_b32_e32 v1, v1
	v_ashrrev_i32_e32 v1, 31, v1
	v_xor_b32_e32 v2, vcc_hi, v1
	v_xor_b32_e32 v1, vcc_lo, v1
	; wave barrier
	ds_read_b32 v61, v64 offset:32
	v_and_b32_e32 v3, v59, v2
	v_and_b32_e32 v2, v63, v1
	v_mbcnt_lo_u32_b32 v1, v2, 0
	v_mbcnt_hi_u32_b32 v63, v3, v1
	v_cmp_eq_u32_e32 vcc, 0, v63
	v_cmp_ne_u64_e64 s[0:1], 0, v[2:3]
	s_and_b64 s[4:5], s[0:1], vcc
	; wave barrier
	s_and_saveexec_b64 s[0:1], s[4:5]
	s_cbranch_execz .LBB897_148
; %bb.147:
	v_bcnt_u32_b32 v1, v2, 0
	v_bcnt_u32_b32 v1, v3, v1
	s_waitcnt lgkmcnt(0)
	v_add_u32_e32 v1, v61, v1
	ds_write_b32 v64, v1 offset:32
.LBB897_148:
	s_or_b64 exec, exec, s[0:1]
	s_waitcnt vmcnt(2)
	v_xor_b32_e32 v35, 0x80000000, v35
	v_lshrrev_b32_e32 v1, s52, v35
	v_and_b32_e32 v2, s16, v1
	v_lshl_add_u32 v1, v2, 3, v2
	v_add_lshl_u32 v68, v15, v1, 2
	v_and_b32_e32 v1, 1, v2
	v_add_co_u32_e32 v3, vcc, -1, v1
	v_addc_co_u32_e64 v59, s[0:1], 0, -1, vcc
	v_cmp_ne_u32_e32 vcc, 0, v1
	v_xor_b32_e32 v1, vcc_hi, v59
	v_and_b32_e32 v59, exec_hi, v1
	v_lshlrev_b32_e32 v1, 30, v2
	v_xor_b32_e32 v3, vcc_lo, v3
	v_cmp_gt_i64_e32 vcc, 0, v[0:1]
	v_not_b32_e32 v1, v1
	v_ashrrev_i32_e32 v1, 31, v1
	v_and_b32_e32 v3, exec_lo, v3
	v_xor_b32_e32 v66, vcc_hi, v1
	v_xor_b32_e32 v1, vcc_lo, v1
	v_and_b32_e32 v3, v3, v1
	v_lshlrev_b32_e32 v1, 29, v2
	v_cmp_gt_i64_e32 vcc, 0, v[0:1]
	v_not_b32_e32 v1, v1
	v_ashrrev_i32_e32 v1, 31, v1
	v_and_b32_e32 v59, v59, v66
	v_xor_b32_e32 v66, vcc_hi, v1
	v_xor_b32_e32 v1, vcc_lo, v1
	v_and_b32_e32 v3, v3, v1
	v_lshlrev_b32_e32 v1, 28, v2
	v_cmp_gt_i64_e32 vcc, 0, v[0:1]
	v_not_b32_e32 v1, v1
	v_ashrrev_i32_e32 v1, 31, v1
	v_and_b32_e32 v59, v59, v66
	;; [unrolled: 8-line block ×5, first 2 shown]
	v_xor_b32_e32 v66, vcc_hi, v1
	v_xor_b32_e32 v1, vcc_lo, v1
	v_and_b32_e32 v3, v3, v1
	v_lshlrev_b32_e32 v1, 24, v2
	v_cmp_gt_i64_e32 vcc, 0, v[0:1]
	v_not_b32_e32 v0, v1
	v_ashrrev_i32_e32 v0, 31, v0
	v_xor_b32_e32 v1, vcc_hi, v0
	v_xor_b32_e32 v0, vcc_lo, v0
	; wave barrier
	ds_read_b32 v65, v68 offset:32
	v_and_b32_e32 v59, v59, v66
	v_and_b32_e32 v0, v3, v0
	;; [unrolled: 1-line block ×3, first 2 shown]
	v_mbcnt_lo_u32_b32 v2, v0, 0
	v_mbcnt_hi_u32_b32 v66, v1, v2
	v_cmp_eq_u32_e32 vcc, 0, v66
	v_cmp_ne_u64_e64 s[0:1], 0, v[0:1]
	s_and_b64 s[4:5], s[0:1], vcc
	; wave barrier
	s_and_saveexec_b64 s[0:1], s[4:5]
	s_cbranch_execz .LBB897_150
; %bb.149:
	v_bcnt_u32_b32 v0, v0, 0
	v_bcnt_u32_b32 v0, v1, v0
	s_waitcnt lgkmcnt(0)
	v_add_u32_e32 v0, v65, v0
	ds_write_b32 v68, v0 offset:32
.LBB897_150:
	s_or_b64 exec, exec, s[0:1]
	s_waitcnt vmcnt(1)
	v_xor_b32_e32 v30, 0x80000000, v30
	v_lshrrev_b32_e32 v0, s52, v30
	v_and_b32_e32 v2, s16, v0
	v_and_b32_e32 v1, 1, v2
	v_add_co_u32_e32 v3, vcc, -1, v1
	v_addc_co_u32_e64 v59, s[0:1], 0, -1, vcc
	v_cmp_ne_u32_e32 vcc, 0, v1
	v_lshl_add_u32 v0, v2, 3, v2
	v_xor_b32_e32 v1, vcc_hi, v59
	v_add_lshl_u32 v70, v15, v0, 2
	v_mov_b32_e32 v0, 0
	v_and_b32_e32 v59, exec_hi, v1
	v_lshlrev_b32_e32 v1, 30, v2
	v_xor_b32_e32 v3, vcc_lo, v3
	v_cmp_gt_i64_e32 vcc, 0, v[0:1]
	v_not_b32_e32 v1, v1
	v_ashrrev_i32_e32 v1, 31, v1
	v_and_b32_e32 v3, exec_lo, v3
	v_xor_b32_e32 v69, vcc_hi, v1
	v_xor_b32_e32 v1, vcc_lo, v1
	v_and_b32_e32 v3, v3, v1
	v_lshlrev_b32_e32 v1, 29, v2
	v_cmp_gt_i64_e32 vcc, 0, v[0:1]
	v_not_b32_e32 v1, v1
	v_ashrrev_i32_e32 v1, 31, v1
	v_and_b32_e32 v59, v59, v69
	v_xor_b32_e32 v69, vcc_hi, v1
	v_xor_b32_e32 v1, vcc_lo, v1
	v_and_b32_e32 v3, v3, v1
	v_lshlrev_b32_e32 v1, 28, v2
	v_cmp_gt_i64_e32 vcc, 0, v[0:1]
	v_not_b32_e32 v1, v1
	v_ashrrev_i32_e32 v1, 31, v1
	v_and_b32_e32 v59, v59, v69
	;; [unrolled: 8-line block ×5, first 2 shown]
	v_xor_b32_e32 v69, vcc_hi, v1
	v_xor_b32_e32 v1, vcc_lo, v1
	v_and_b32_e32 v59, v59, v69
	v_and_b32_e32 v69, v3, v1
	v_lshlrev_b32_e32 v1, 24, v2
	v_cmp_gt_i64_e32 vcc, 0, v[0:1]
	v_not_b32_e32 v1, v1
	v_ashrrev_i32_e32 v1, 31, v1
	v_xor_b32_e32 v2, vcc_hi, v1
	v_xor_b32_e32 v1, vcc_lo, v1
	; wave barrier
	ds_read_b32 v67, v70 offset:32
	v_and_b32_e32 v3, v59, v2
	v_and_b32_e32 v2, v69, v1
	v_mbcnt_lo_u32_b32 v1, v2, 0
	v_mbcnt_hi_u32_b32 v69, v3, v1
	v_cmp_eq_u32_e32 vcc, 0, v69
	v_cmp_ne_u64_e64 s[0:1], 0, v[2:3]
	s_and_b64 s[4:5], s[0:1], vcc
	; wave barrier
	s_and_saveexec_b64 s[0:1], s[4:5]
	s_cbranch_execz .LBB897_152
; %bb.151:
	v_bcnt_u32_b32 v1, v2, 0
	v_bcnt_u32_b32 v1, v3, v1
	s_waitcnt lgkmcnt(0)
	v_add_u32_e32 v1, v67, v1
	ds_write_b32 v70, v1 offset:32
.LBB897_152:
	s_or_b64 exec, exec, s[0:1]
	s_waitcnt vmcnt(0)
	v_xor_b32_e32 v59, 0x80000000, v14
	v_lshrrev_b32_e32 v1, s52, v59
	v_and_b32_e32 v2, s16, v1
	v_lshl_add_u32 v1, v2, 3, v2
	v_add_lshl_u32 v72, v15, v1, 2
	v_and_b32_e32 v1, 1, v2
	v_add_co_u32_e32 v3, vcc, -1, v1
	v_addc_co_u32_e64 v15, s[0:1], 0, -1, vcc
	v_cmp_ne_u32_e32 vcc, 0, v1
	v_xor_b32_e32 v1, vcc_hi, v15
	v_and_b32_e32 v15, exec_hi, v1
	v_lshlrev_b32_e32 v1, 30, v2
	v_xor_b32_e32 v3, vcc_lo, v3
	v_cmp_gt_i64_e32 vcc, 0, v[0:1]
	v_not_b32_e32 v1, v1
	v_ashrrev_i32_e32 v1, 31, v1
	v_and_b32_e32 v3, exec_lo, v3
	v_xor_b32_e32 v71, vcc_hi, v1
	v_xor_b32_e32 v1, vcc_lo, v1
	v_and_b32_e32 v3, v3, v1
	v_lshlrev_b32_e32 v1, 29, v2
	v_cmp_gt_i64_e32 vcc, 0, v[0:1]
	v_not_b32_e32 v1, v1
	v_ashrrev_i32_e32 v1, 31, v1
	v_and_b32_e32 v15, v15, v71
	v_xor_b32_e32 v71, vcc_hi, v1
	v_xor_b32_e32 v1, vcc_lo, v1
	v_and_b32_e32 v3, v3, v1
	v_lshlrev_b32_e32 v1, 28, v2
	v_cmp_gt_i64_e32 vcc, 0, v[0:1]
	v_not_b32_e32 v1, v1
	v_ashrrev_i32_e32 v1, 31, v1
	v_and_b32_e32 v15, v15, v71
	v_xor_b32_e32 v71, vcc_hi, v1
	v_xor_b32_e32 v1, vcc_lo, v1
	v_and_b32_e32 v3, v3, v1
	v_lshlrev_b32_e32 v1, 27, v2
	v_cmp_gt_i64_e32 vcc, 0, v[0:1]
	v_not_b32_e32 v1, v1
	v_ashrrev_i32_e32 v1, 31, v1
	v_and_b32_e32 v15, v15, v71
	v_xor_b32_e32 v71, vcc_hi, v1
	v_xor_b32_e32 v1, vcc_lo, v1
	v_and_b32_e32 v3, v3, v1
	v_lshlrev_b32_e32 v1, 26, v2
	v_cmp_gt_i64_e32 vcc, 0, v[0:1]
	v_not_b32_e32 v1, v1
	v_ashrrev_i32_e32 v1, 31, v1
	v_and_b32_e32 v15, v15, v71
	v_xor_b32_e32 v71, vcc_hi, v1
	v_xor_b32_e32 v1, vcc_lo, v1
	v_and_b32_e32 v3, v3, v1
	v_lshlrev_b32_e32 v1, 25, v2
	v_cmp_gt_i64_e32 vcc, 0, v[0:1]
	v_not_b32_e32 v1, v1
	v_ashrrev_i32_e32 v1, 31, v1
	v_and_b32_e32 v15, v15, v71
	v_xor_b32_e32 v71, vcc_hi, v1
	v_xor_b32_e32 v1, vcc_lo, v1
	v_and_b32_e32 v3, v3, v1
	v_lshlrev_b32_e32 v1, 24, v2
	v_cmp_gt_i64_e32 vcc, 0, v[0:1]
	v_not_b32_e32 v0, v1
	v_ashrrev_i32_e32 v0, 31, v0
	v_xor_b32_e32 v1, vcc_hi, v0
	v_xor_b32_e32 v0, vcc_lo, v0
	; wave barrier
	ds_read_b32 v14, v72 offset:32
	v_and_b32_e32 v15, v15, v71
	v_and_b32_e32 v0, v3, v0
	;; [unrolled: 1-line block ×3, first 2 shown]
	v_mbcnt_lo_u32_b32 v2, v0, 0
	v_mbcnt_hi_u32_b32 v15, v1, v2
	v_cmp_eq_u32_e32 vcc, 0, v15
	v_cmp_ne_u64_e64 s[0:1], 0, v[0:1]
	v_add_u32_e32 v73, 32, v5
	s_and_b64 s[4:5], s[0:1], vcc
	; wave barrier
	s_and_saveexec_b64 s[0:1], s[4:5]
	s_cbranch_execz .LBB897_154
; %bb.153:
	v_bcnt_u32_b32 v0, v0, 0
	v_bcnt_u32_b32 v0, v1, v0
	s_waitcnt lgkmcnt(0)
	v_add_u32_e32 v0, v14, v0
	ds_write_b32 v72, v0 offset:32
.LBB897_154:
	s_or_b64 exec, exec, s[0:1]
	; wave barrier
	s_waitcnt lgkmcnt(0)
	s_barrier
	ds_read2_b32 v[2:3], v5 offset0:8 offset1:9
	ds_read2_b32 v[0:1], v73 offset0:2 offset1:3
	ds_read_b32 v71, v73 offset:16
	s_waitcnt lgkmcnt(1)
	v_add3_u32 v74, v3, v2, v0
	s_waitcnt lgkmcnt(0)
	v_add3_u32 v71, v74, v1, v71
	v_and_b32_e32 v74, 15, v4
	v_cmp_ne_u32_e32 vcc, 0, v74
	v_mov_b32_dpp v75, v71 row_shr:1 row_mask:0xf bank_mask:0xf
	v_cndmask_b32_e32 v75, 0, v75, vcc
	v_add_u32_e32 v71, v75, v71
	v_cmp_lt_u32_e32 vcc, 1, v74
	s_nop 0
	v_mov_b32_dpp v75, v71 row_shr:2 row_mask:0xf bank_mask:0xf
	v_cndmask_b32_e32 v75, 0, v75, vcc
	v_add_u32_e32 v71, v71, v75
	v_cmp_lt_u32_e32 vcc, 3, v74
	s_nop 0
	;; [unrolled: 5-line block ×3, first 2 shown]
	v_mov_b32_dpp v75, v71 row_shr:8 row_mask:0xf bank_mask:0xf
	v_cndmask_b32_e32 v74, 0, v75, vcc
	v_add_u32_e32 v71, v71, v74
	v_bfe_i32 v75, v4, 4, 1
	v_cmp_lt_u32_e32 vcc, 31, v4
	v_mov_b32_dpp v74, v71 row_bcast:15 row_mask:0xf bank_mask:0xf
	v_and_b32_e32 v74, v75, v74
	v_add_u32_e32 v71, v71, v74
	v_lshrrev_b32_e32 v75, 6, v18
	s_nop 0
	v_mov_b32_dpp v74, v71 row_bcast:31 row_mask:0xf bank_mask:0xf
	v_cndmask_b32_e32 v74, 0, v74, vcc
	v_add_u32_e32 v74, v71, v74
	v_and_b32_e32 v71, 0x3c0, v18
	v_min_u32_e32 v71, 0x1c0, v71
	v_or_b32_e32 v71, 63, v71
	v_cmp_eq_u32_e32 vcc, v71, v18
	s_and_saveexec_b64 s[0:1], vcc
	s_cbranch_execz .LBB897_156
; %bb.155:
	v_lshlrev_b32_e32 v71, 2, v75
	ds_write_b32 v71, v74
.LBB897_156:
	s_or_b64 exec, exec, s[0:1]
	v_cmp_gt_u32_e32 vcc, 8, v18
	v_lshlrev_b32_e32 v71, 2, v18
	s_waitcnt lgkmcnt(0)
	s_barrier
	s_and_saveexec_b64 s[0:1], vcc
	s_cbranch_execz .LBB897_158
; %bb.157:
	ds_read_b32 v76, v71
	v_and_b32_e32 v77, 7, v4
	v_cmp_ne_u32_e32 vcc, 0, v77
	s_waitcnt lgkmcnt(0)
	v_mov_b32_dpp v78, v76 row_shr:1 row_mask:0xf bank_mask:0xf
	v_cndmask_b32_e32 v78, 0, v78, vcc
	v_add_u32_e32 v76, v78, v76
	v_cmp_lt_u32_e32 vcc, 1, v77
	s_nop 0
	v_mov_b32_dpp v78, v76 row_shr:2 row_mask:0xf bank_mask:0xf
	v_cndmask_b32_e32 v78, 0, v78, vcc
	v_add_u32_e32 v76, v76, v78
	v_cmp_lt_u32_e32 vcc, 3, v77
	s_nop 0
	v_mov_b32_dpp v78, v76 row_shr:4 row_mask:0xf bank_mask:0xf
	v_cndmask_b32_e32 v77, 0, v78, vcc
	v_add_u32_e32 v76, v76, v77
	ds_write_b32 v71, v76
.LBB897_158:
	s_or_b64 exec, exec, s[0:1]
	v_cmp_lt_u32_e32 vcc, 63, v18
	v_mov_b32_e32 v76, 0
	s_waitcnt lgkmcnt(0)
	s_barrier
	s_and_saveexec_b64 s[0:1], vcc
	s_cbranch_execz .LBB897_160
; %bb.159:
	v_lshl_add_u32 v75, v75, 2, -4
	ds_read_b32 v76, v75
.LBB897_160:
	s_or_b64 exec, exec, s[0:1]
	v_add_u32_e32 v75, -1, v4
	v_and_b32_e32 v77, 64, v4
	v_cmp_lt_i32_e32 vcc, v75, v77
	v_cndmask_b32_e32 v75, v75, v4, vcc
	s_waitcnt lgkmcnt(0)
	v_add_u32_e32 v74, v76, v74
	v_lshlrev_b32_e32 v75, 2, v75
	ds_bpermute_b32 v74, v75, v74
	v_cmp_eq_u32_e32 vcc, 0, v4
	s_movk_i32 s0, 0x100
	s_waitcnt lgkmcnt(0)
	v_cndmask_b32_e32 v4, v74, v76, vcc
	v_cmp_ne_u32_e32 vcc, 0, v18
	v_cndmask_b32_e32 v4, 0, v4, vcc
	v_add_u32_e32 v2, v4, v2
	v_add_u32_e32 v3, v2, v3
	;; [unrolled: 1-line block ×4, first 2 shown]
	ds_write2_b32 v5, v4, v2 offset0:8 offset1:9
	ds_write2_b32 v73, v3, v0 offset0:2 offset1:3
	ds_write_b32 v73, v1 offset:16
	s_waitcnt lgkmcnt(0)
	s_barrier
	ds_read_b32 v74, v9 offset:32
	ds_read_b32 v9, v11 offset:32
	;; [unrolled: 1-line block ×16, first 2 shown]
	v_cmp_gt_u32_e32 vcc, s0, v18
                                        ; implicit-def: $vgpr52
                                        ; implicit-def: $vgpr55
	s_and_saveexec_b64 s[4:5], vcc
	s_cbranch_execz .LBB897_164
; %bb.161:
	v_mul_u32_u24_e32 v0, 9, v18
	v_lshlrev_b32_e32 v1, 2, v0
	ds_read_b32 v52, v1 offset:32
	s_movk_i32 s0, 0xff
	v_cmp_ne_u32_e64 s[0:1], s0, v18
	v_mov_b32_e32 v0, 0x2000
	s_and_saveexec_b64 s[10:11], s[0:1]
	s_cbranch_execz .LBB897_163
; %bb.162:
	ds_read_b32 v0, v1 offset:68
.LBB897_163:
	s_or_b64 exec, exec, s[10:11]
	s_waitcnt lgkmcnt(0)
	v_sub_u32_e32 v55, v0, v52
.LBB897_164:
	s_or_b64 exec, exec, s[4:5]
	s_waitcnt lgkmcnt(0)
	s_barrier
	s_and_saveexec_b64 s[4:5], vcc
	s_cbranch_execz .LBB897_174
; %bb.165:
	v_lshl_or_b32 v0, s6, 8, v18
	v_mov_b32_e32 v1, 0
	v_lshlrev_b64 v[2:3], 2, v[0:1]
	v_mov_b32_e32 v31, s57
	v_add_co_u32_e64 v2, s[0:1], s56, v2
	v_addc_co_u32_e64 v3, s[0:1], v31, v3, s[0:1]
	v_or_b32_e32 v0, 2.0, v55
	s_mov_b64 s[10:11], 0
	s_brev_b32 s17, 1
	s_mov_b32 s18, s6
	v_mov_b32_e32 v58, 0
	global_store_dword v[2:3], v0, off
                                        ; implicit-def: $sgpr0_sgpr1
	s_branch .LBB897_168
.LBB897_166:                            ;   in Loop: Header=BB897_168 Depth=1
	s_or_b64 exec, exec, s[14:15]
.LBB897_167:                            ;   in Loop: Header=BB897_168 Depth=1
	s_or_b64 exec, exec, s[12:13]
	v_and_b32_e32 v4, 0x3fffffff, v70
	v_add_u32_e32 v58, v4, v58
	v_cmp_eq_u32_e64 s[0:1], s17, v0
	s_and_b64 s[12:13], exec, s[0:1]
	s_or_b64 s[10:11], s[12:13], s[10:11]
	s_andn2_b64 exec, exec, s[10:11]
	s_cbranch_execz .LBB897_173
.LBB897_168:                            ; =>This Loop Header: Depth=1
                                        ;     Child Loop BB897_171 Depth 2
	s_or_b64 s[0:1], s[0:1], exec
	s_cmp_eq_u32 s18, 0
	s_cbranch_scc1 .LBB897_172
; %bb.169:                              ;   in Loop: Header=BB897_168 Depth=1
	s_add_i32 s18, s18, -1
	v_lshl_or_b32 v0, s18, 8, v18
	v_lshlrev_b64 v[4:5], 2, v[0:1]
	v_add_co_u32_e64 v4, s[0:1], s56, v4
	v_addc_co_u32_e64 v5, s[0:1], v31, v5, s[0:1]
	global_load_dword v70, v[4:5], off glc
	s_waitcnt vmcnt(0)
	v_and_b32_e32 v0, -2.0, v70
	v_cmp_eq_u32_e64 s[0:1], 0, v0
	s_and_saveexec_b64 s[12:13], s[0:1]
	s_cbranch_execz .LBB897_167
; %bb.170:                              ;   in Loop: Header=BB897_168 Depth=1
	s_mov_b64 s[14:15], 0
.LBB897_171:                            ;   Parent Loop BB897_168 Depth=1
                                        ; =>  This Inner Loop Header: Depth=2
	global_load_dword v70, v[4:5], off glc
	s_waitcnt vmcnt(0)
	v_and_b32_e32 v0, -2.0, v70
	v_cmp_ne_u32_e64 s[0:1], 0, v0
	s_or_b64 s[14:15], s[0:1], s[14:15]
	s_andn2_b64 exec, exec, s[14:15]
	s_cbranch_execnz .LBB897_171
	s_branch .LBB897_166
.LBB897_172:                            ;   in Loop: Header=BB897_168 Depth=1
                                        ; implicit-def: $sgpr18
	s_and_b64 s[12:13], exec, s[0:1]
	s_or_b64 s[10:11], s[12:13], s[10:11]
	s_andn2_b64 exec, exec, s[10:11]
	s_cbranch_execnz .LBB897_168
.LBB897_173:
	s_or_b64 exec, exec, s[10:11]
	v_add_u32_e32 v0, v58, v55
	v_or_b32_e32 v0, 0x80000000, v0
	global_store_dword v[2:3], v0, off
	global_load_dword v0, v71, s[48:49]
	v_sub_u32_e32 v1, v58, v52
	s_waitcnt vmcnt(0)
	v_add_u32_e32 v0, v1, v0
	ds_write_b32 v71, v0
.LBB897_174:
	s_or_b64 exec, exec, s[4:5]
	v_add_u32_e32 v58, v74, v6
	s_movk_i32 s4, 0x400
	v_add_u32_e32 v31, 0x400, v71
	v_add3_u32 v62, v15, v62, v14
	v_add3_u32 v64, v69, v64, v67
	;; [unrolled: 1-line block ×15, first 2 shown]
	s_mov_b32 s5, 0
	s_mov_b32 s10, 3
	s_movk_i32 s11, 0x200
	s_movk_i32 s12, 0x600
	v_mov_b32_e32 v17, 0
	v_mov_b32_e32 v29, s43
	s_mov_b32 s13, 0
                                        ; implicit-def: $vgpr0
.LBB897_175:                            ; =>This Inner Loop Header: Depth=1
	v_add_u32_e32 v16, s5, v58
	v_add_u32_e32 v33, s5, v70
	;; [unrolled: 1-line block ×16, first 2 shown]
	v_min_u32_e32 v16, 0x800, v16
	v_min_u32_e32 v33, 0x800, v33
	;; [unrolled: 1-line block ×16, first 2 shown]
	v_lshlrev_b32_e32 v16, 2, v16
	v_lshlrev_b32_e32 v33, 2, v33
	;; [unrolled: 1-line block ×16, first 2 shown]
	ds_write_b32 v16, v21 offset:1024
	ds_write_b32 v33, v22 offset:1024
	;; [unrolled: 1-line block ×16, first 2 shown]
	s_waitcnt lgkmcnt(0)
	s_barrier
	ds_read_b32 v16, v71 offset:1024
	v_add_u32_e32 v73, s13, v18
	s_add_i32 s14, s10, -3
	s_add_i32 s15, s10, -2
	;; [unrolled: 1-line block ×3, first 2 shown]
	s_waitcnt lgkmcnt(0)
	v_lshrrev_b32_e32 v33, s52, v16
	v_and_b32_e32 v33, s16, v33
	v_xor_b32_e32 v34, 0x80000000, v16
	v_lshlrev_b32_e32 v16, 2, v33
	ds_read_b32 v16, v16
	s_addk_i32 s13, 0x800
	s_addk_i32 s5, 0xf800
	s_waitcnt lgkmcnt(0)
	v_add_u32_e32 v16, v73, v16
	v_lshlrev_b64 v[38:39], 2, v[16:17]
	v_add_co_u32_e64 v38, s[0:1], s42, v38
	v_addc_co_u32_e64 v39, s[0:1], v29, v39, s[0:1]
	global_store_dword v[38:39], v34, off
	s_set_gpr_idx_on s14, gpr_idx(DST)
	v_mov_b32_e32 v0, v33
	s_set_gpr_idx_off
	ds_read_b32 v16, v31 offset:2048
	s_waitcnt lgkmcnt(0)
	v_lshrrev_b32_e32 v33, s52, v16
	v_and_b32_e32 v33, s16, v33
	v_xor_b32_e32 v34, 0x80000000, v16
	v_lshlrev_b32_e32 v16, 2, v33
	ds_read_b32 v16, v16
	s_waitcnt lgkmcnt(0)
	v_add3_u32 v16, v73, v16, s11
	v_lshlrev_b64 v[38:39], 2, v[16:17]
	v_add_co_u32_e64 v38, s[0:1], s42, v38
	v_addc_co_u32_e64 v39, s[0:1], v29, v39, s[0:1]
	global_store_dword v[38:39], v34, off
	s_set_gpr_idx_on s15, gpr_idx(DST)
	v_mov_b32_e32 v0, v33
	s_set_gpr_idx_off
	ds_read_b32 v16, v31 offset:4096
	s_waitcnt lgkmcnt(0)
	v_lshrrev_b32_e32 v33, s52, v16
	v_and_b32_e32 v33, s16, v33
	v_xor_b32_e32 v34, 0x80000000, v16
	v_lshlrev_b32_e32 v16, 2, v33
	ds_read_b32 v16, v16
	s_waitcnt lgkmcnt(0)
	v_add3_u32 v16, v73, v16, s4
	;; [unrolled: 16-line block ×3, first 2 shown]
	v_lshlrev_b64 v[38:39], 2, v[16:17]
	v_add_co_u32_e64 v38, s[0:1], s42, v38
	v_addc_co_u32_e64 v39, s[0:1], v29, v39, s[0:1]
	global_store_dword v[38:39], v34, off
	s_set_gpr_idx_on s10, gpr_idx(DST)
	v_mov_b32_e32 v0, v33
	s_set_gpr_idx_off
	s_add_i32 s10, s10, 4
	s_cmpk_lg_i32 s5, 0xe000
	s_barrier
	s_cbranch_scc1 .LBB897_175
; %bb.176:
	s_lshl_b64 s[0:1], s[8:9], 3
	s_add_u32 s0, s44, s0
	s_addc_u32 s1, s45, s1
	v_lshlrev_b32_e32 v16, 3, v20
	v_mov_b32_e32 v17, s1
	v_add_co_u32_e64 v16, s[0:1], s0, v16
	v_addc_co_u32_e64 v17, s[0:1], 0, v17, s[0:1]
	v_lshlrev_b32_e32 v19, 3, v19
	v_add_co_u32_e64 v34, s[0:1], v16, v19
	v_addc_co_u32_e64 v35, s[0:1], 0, v17, s[0:1]
	s_movk_i32 s0, 0x1000
	v_add_co_u32_e64 v50, s[0:1], s0, v34
	v_addc_co_u32_e64 v51, s[0:1], 0, v35, s[0:1]
	global_load_dwordx2 v[16:17], v[34:35], off
	global_load_dwordx2 v[20:21], v[34:35], off offset:512
	global_load_dwordx2 v[22:23], v[34:35], off offset:1024
	;; [unrolled: 1-line block ×7, first 2 shown]
	s_nop 0
	global_load_dwordx2 v[34:35], v[50:51], off
	global_load_dwordx2 v[36:37], v[50:51], off offset:512
	global_load_dwordx2 v[38:39], v[50:51], off offset:1024
	;; [unrolled: 1-line block ×7, first 2 shown]
	v_lshlrev_b32_e32 v19, 3, v18
	s_mov_b32 s4, 0
	v_add_u32_e32 v59, 0x400, v19
	s_mov_b32 s5, 1
	s_movk_i32 s8, 0x200
	v_mov_b32_e32 v51, 0
	v_mov_b32_e32 v71, v18
	s_waitcnt vmcnt(0)
.LBB897_177:                            ; =>This Inner Loop Header: Depth=1
	v_add_u32_e32 v50, s4, v58
	v_add_u32_e32 v72, s4, v70
	;; [unrolled: 1-line block ×16, first 2 shown]
	v_min_u32_e32 v50, 0x400, v50
	v_min_u32_e32 v72, 0x400, v72
	;; [unrolled: 1-line block ×3, first 2 shown]
	s_add_i32 s0, s5, -1
	v_min_u32_e32 v74, 0x400, v74
	v_min_u32_e32 v75, 0x400, v75
	;; [unrolled: 1-line block ×13, first 2 shown]
	v_lshlrev_b32_e32 v50, 3, v50
	v_lshlrev_b32_e32 v72, 3, v72
	;; [unrolled: 1-line block ×16, first 2 shown]
	ds_write_b64 v50, v[16:17] offset:1024
	ds_write_b64 v72, v[20:21] offset:1024
	;; [unrolled: 1-line block ×16, first 2 shown]
	s_waitcnt lgkmcnt(0)
	s_barrier
	ds_read_b64 v[72:73], v19 offset:1024
	s_set_gpr_idx_on s0, gpr_idx(SRC0)
	v_mov_b32_e32 v50, v0
	s_set_gpr_idx_off
	v_lshlrev_b32_e32 v50, 2, v50
	ds_read_b32 v50, v50
	ds_read_b64 v[74:75], v59 offset:4096
	v_mov_b32_e32 v87, s47
	s_addk_i32 s4, 0xfc00
	s_waitcnt lgkmcnt(1)
	v_add_u32_e32 v50, v71, v50
	v_lshlrev_b64 v[76:77], 3, v[50:51]
	v_add_co_u32_e64 v76, s[0:1], s46, v76
	v_addc_co_u32_e64 v77, s[0:1], v87, v77, s[0:1]
	global_store_dwordx2 v[76:77], v[72:73], off
	s_set_gpr_idx_on s5, gpr_idx(SRC0)
	v_mov_b32_e32 v50, v0
	s_set_gpr_idx_off
	v_lshlrev_b32_e32 v50, 2, v50
	ds_read_b32 v50, v50
	s_add_i32 s5, s5, 2
	s_cmpk_lg_i32 s4, 0xe000
	s_waitcnt lgkmcnt(0)
	v_add3_u32 v50, v71, v50, s8
	v_lshlrev_b64 v[72:73], 3, v[50:51]
	v_add_co_u32_e64 v72, s[0:1], s46, v72
	v_add_u32_e32 v71, 0x400, v71
	v_addc_co_u32_e64 v73, s[0:1], v87, v73, s[0:1]
	global_store_dwordx2 v[72:73], v[74:75], off
	s_barrier
	s_cbranch_scc1 .LBB897_177
; %bb.178:
	s_add_i32 s7, s7, -1
	s_cmp_eq_u32 s7, s6
	s_cselect_b64 s[0:1], -1, 0
	s_and_b64 s[4:5], vcc, s[0:1]
                                        ; implicit-def: $vgpr2
	s_and_saveexec_b64 s[0:1], s[4:5]
; %bb.179:
	v_add_u32_e32 v2, v52, v55
	s_or_b64 s[2:3], s[2:3], exec
; %bb.180:
	s_or_b64 exec, exec, s[0:1]
.LBB897_181:
	s_and_saveexec_b64 s[0:1], s[2:3]
	s_cbranch_execnz .LBB897_183
; %bb.182:
	s_endpgm
.LBB897_183:
	v_lshlrev_b32_e32 v3, 2, v18
	ds_read_b32 v3, v3
	v_mov_b32_e32 v19, 0
	v_lshlrev_b64 v[0:1], 2, v[18:19]
	v_mov_b32_e32 v4, s51
	v_add_co_u32_e32 v0, vcc, s50, v0
	v_addc_co_u32_e32 v1, vcc, v4, v1, vcc
	s_waitcnt lgkmcnt(0)
	v_add_u32_e32 v2, v3, v2
	global_store_dword v[0:1], v2, off
	s_endpgm
.LBB897_184:
	global_load_dwordx2 v[20:21], v[42:43], off
	s_or_b64 exec, exec, s[38:39]
                                        ; implicit-def: $vgpr22_vgpr23
	s_and_saveexec_b64 s[38:39], s[36:37]
	s_cbranch_execz .LBB897_98
.LBB897_185:
	global_load_dwordx2 v[22:23], v[42:43], off offset:512
	s_or_b64 exec, exec, s[38:39]
                                        ; implicit-def: $vgpr24_vgpr25
	s_and_saveexec_b64 s[36:37], s[10:11]
	s_cbranch_execz .LBB897_99
.LBB897_186:
	global_load_dwordx2 v[24:25], v[42:43], off offset:1024
	s_or_b64 exec, exec, s[36:37]
                                        ; implicit-def: $vgpr26_vgpr27
	s_and_saveexec_b64 s[10:11], s[14:15]
	s_cbranch_execz .LBB897_100
.LBB897_187:
	global_load_dwordx2 v[26:27], v[42:43], off offset:1536
	s_or_b64 exec, exec, s[10:11]
                                        ; implicit-def: $vgpr28_vgpr29
	s_and_saveexec_b64 s[10:11], s[16:17]
	s_cbranch_execz .LBB897_101
.LBB897_188:
	global_load_dwordx2 v[28:29], v[42:43], off offset:2048
	s_or_b64 exec, exec, s[10:11]
                                        ; implicit-def: $vgpr30_vgpr31
	s_and_saveexec_b64 s[10:11], s[20:21]
	s_cbranch_execz .LBB897_102
.LBB897_189:
	global_load_dwordx2 v[30:31], v[42:43], off offset:2560
	s_or_b64 exec, exec, s[10:11]
                                        ; implicit-def: $vgpr32_vgpr33
	s_and_saveexec_b64 s[10:11], s[24:25]
	s_cbranch_execz .LBB897_103
.LBB897_190:
	global_load_dwordx2 v[32:33], v[42:43], off offset:3072
	s_or_b64 exec, exec, s[10:11]
                                        ; implicit-def: $vgpr34_vgpr35
	s_and_saveexec_b64 s[10:11], s[28:29]
	s_cbranch_execz .LBB897_104
.LBB897_191:
	global_load_dwordx2 v[34:35], v[42:43], off offset:3584
	s_or_b64 exec, exec, s[10:11]
                                        ; implicit-def: $vgpr36_vgpr37
	s_and_saveexec_b64 s[10:11], s[30:31]
	s_cbranch_execz .LBB897_105
.LBB897_192:
	v_add_co_u32_e32 v36, vcc, 0x1000, v42
	v_addc_co_u32_e32 v37, vcc, 0, v43, vcc
	global_load_dwordx2 v[36:37], v[36:37], off
	s_or_b64 exec, exec, s[10:11]
                                        ; implicit-def: $vgpr38_vgpr39
	s_and_saveexec_b64 s[10:11], s[26:27]
	s_cbranch_execz .LBB897_106
.LBB897_193:
	v_add_co_u32_e32 v38, vcc, 0x1000, v42
	v_addc_co_u32_e32 v39, vcc, 0, v43, vcc
	global_load_dwordx2 v[38:39], v[38:39], off offset:512
	s_or_b64 exec, exec, s[10:11]
                                        ; implicit-def: $vgpr40_vgpr41
	s_and_saveexec_b64 s[10:11], s[22:23]
	s_cbranch_execz .LBB897_107
.LBB897_194:
	v_add_co_u32_e32 v40, vcc, 0x1000, v42
	v_addc_co_u32_e32 v41, vcc, 0, v43, vcc
	global_load_dwordx2 v[40:41], v[40:41], off offset:1024
	s_or_b64 exec, exec, s[10:11]
                                        ; implicit-def: $vgpr44_vgpr45
	s_and_saveexec_b64 s[10:11], s[18:19]
	s_cbranch_execz .LBB897_108
.LBB897_195:
	v_add_co_u32_e32 v44, vcc, 0x1000, v42
	v_addc_co_u32_e32 v45, vcc, 0, v43, vcc
	global_load_dwordx2 v[44:45], v[44:45], off offset:1536
	s_or_b64 exec, exec, s[10:11]
                                        ; implicit-def: $vgpr46_vgpr47
	s_and_saveexec_b64 s[10:11], s[12:13]
	s_cbranch_execz .LBB897_109
.LBB897_196:
	v_add_co_u32_e32 v46, vcc, 0x1000, v42
	v_addc_co_u32_e32 v47, vcc, 0, v43, vcc
	global_load_dwordx2 v[46:47], v[46:47], off offset:2048
	s_or_b64 exec, exec, s[10:11]
                                        ; implicit-def: $vgpr48_vgpr49
	s_and_saveexec_b64 s[10:11], s[8:9]
	s_cbranch_execz .LBB897_110
.LBB897_197:
	v_add_co_u32_e32 v48, vcc, 0x1000, v42
	v_addc_co_u32_e32 v49, vcc, 0, v43, vcc
	global_load_dwordx2 v[48:49], v[48:49], off offset:2560
	s_or_b64 exec, exec, s[10:11]
                                        ; implicit-def: $vgpr50_vgpr51
	s_and_saveexec_b64 s[8:9], s[2:3]
	s_cbranch_execz .LBB897_111
.LBB897_198:
	v_add_co_u32_e32 v50, vcc, 0x1000, v42
	v_addc_co_u32_e32 v51, vcc, 0, v43, vcc
	global_load_dwordx2 v[50:51], v[50:51], off offset:3072
	s_or_b64 exec, exec, s[8:9]
                                        ; implicit-def: $vgpr52_vgpr53
	s_and_saveexec_b64 s[2:3], s[0:1]
	s_cbranch_execnz .LBB897_112
	s_branch .LBB897_113
	.section	.rodata,"a",@progbits
	.p2align	6, 0x0
	.amdhsa_kernel _ZN7rocprim17ROCPRIM_400000_NS6detail17trampoline_kernelINS0_14default_configENS1_35radix_sort_onesweep_config_selectorIilEEZZNS1_29radix_sort_onesweep_iterationIS3_Lb0EPiS7_N6thrust23THRUST_200600_302600_NS10device_ptrIlEESB_jNS0_19identity_decomposerENS1_16block_id_wrapperIjLb0EEEEE10hipError_tT1_PNSt15iterator_traitsISG_E10value_typeET2_T3_PNSH_ISM_E10value_typeET4_T5_PSR_SS_PNS1_23onesweep_lookback_stateEbbT6_jjT7_P12ihipStream_tbENKUlT_T0_SG_SL_E_clIS7_S7_SB_SB_EEDaSZ_S10_SG_SL_EUlSZ_E_NS1_11comp_targetILNS1_3genE4ELNS1_11target_archE910ELNS1_3gpuE8ELNS1_3repE0EEENS1_47radix_sort_onesweep_sort_config_static_selectorELNS0_4arch9wavefront6targetE1EEEvSG_
		.amdhsa_group_segment_fixed_size 10280
		.amdhsa_private_segment_fixed_size 0
		.amdhsa_kernarg_size 344
		.amdhsa_user_sgpr_count 6
		.amdhsa_user_sgpr_private_segment_buffer 1
		.amdhsa_user_sgpr_dispatch_ptr 0
		.amdhsa_user_sgpr_queue_ptr 0
		.amdhsa_user_sgpr_kernarg_segment_ptr 1
		.amdhsa_user_sgpr_dispatch_id 0
		.amdhsa_user_sgpr_flat_scratch_init 0
		.amdhsa_user_sgpr_kernarg_preload_length 0
		.amdhsa_user_sgpr_kernarg_preload_offset 0
		.amdhsa_user_sgpr_private_segment_size 0
		.amdhsa_uses_dynamic_stack 0
		.amdhsa_system_sgpr_private_segment_wavefront_offset 0
		.amdhsa_system_sgpr_workgroup_id_x 1
		.amdhsa_system_sgpr_workgroup_id_y 0
		.amdhsa_system_sgpr_workgroup_id_z 0
		.amdhsa_system_sgpr_workgroup_info 0
		.amdhsa_system_vgpr_workitem_id 2
		.amdhsa_next_free_vgpr 88
		.amdhsa_next_free_sgpr 69
		.amdhsa_accum_offset 88
		.amdhsa_reserve_vcc 1
		.amdhsa_reserve_flat_scratch 0
		.amdhsa_float_round_mode_32 0
		.amdhsa_float_round_mode_16_64 0
		.amdhsa_float_denorm_mode_32 3
		.amdhsa_float_denorm_mode_16_64 3
		.amdhsa_dx10_clamp 1
		.amdhsa_ieee_mode 1
		.amdhsa_fp16_overflow 0
		.amdhsa_tg_split 0
		.amdhsa_exception_fp_ieee_invalid_op 0
		.amdhsa_exception_fp_denorm_src 0
		.amdhsa_exception_fp_ieee_div_zero 0
		.amdhsa_exception_fp_ieee_overflow 0
		.amdhsa_exception_fp_ieee_underflow 0
		.amdhsa_exception_fp_ieee_inexact 0
		.amdhsa_exception_int_div_zero 0
	.end_amdhsa_kernel
	.section	.text._ZN7rocprim17ROCPRIM_400000_NS6detail17trampoline_kernelINS0_14default_configENS1_35radix_sort_onesweep_config_selectorIilEEZZNS1_29radix_sort_onesweep_iterationIS3_Lb0EPiS7_N6thrust23THRUST_200600_302600_NS10device_ptrIlEESB_jNS0_19identity_decomposerENS1_16block_id_wrapperIjLb0EEEEE10hipError_tT1_PNSt15iterator_traitsISG_E10value_typeET2_T3_PNSH_ISM_E10value_typeET4_T5_PSR_SS_PNS1_23onesweep_lookback_stateEbbT6_jjT7_P12ihipStream_tbENKUlT_T0_SG_SL_E_clIS7_S7_SB_SB_EEDaSZ_S10_SG_SL_EUlSZ_E_NS1_11comp_targetILNS1_3genE4ELNS1_11target_archE910ELNS1_3gpuE8ELNS1_3repE0EEENS1_47radix_sort_onesweep_sort_config_static_selectorELNS0_4arch9wavefront6targetE1EEEvSG_,"axG",@progbits,_ZN7rocprim17ROCPRIM_400000_NS6detail17trampoline_kernelINS0_14default_configENS1_35radix_sort_onesweep_config_selectorIilEEZZNS1_29radix_sort_onesweep_iterationIS3_Lb0EPiS7_N6thrust23THRUST_200600_302600_NS10device_ptrIlEESB_jNS0_19identity_decomposerENS1_16block_id_wrapperIjLb0EEEEE10hipError_tT1_PNSt15iterator_traitsISG_E10value_typeET2_T3_PNSH_ISM_E10value_typeET4_T5_PSR_SS_PNS1_23onesweep_lookback_stateEbbT6_jjT7_P12ihipStream_tbENKUlT_T0_SG_SL_E_clIS7_S7_SB_SB_EEDaSZ_S10_SG_SL_EUlSZ_E_NS1_11comp_targetILNS1_3genE4ELNS1_11target_archE910ELNS1_3gpuE8ELNS1_3repE0EEENS1_47radix_sort_onesweep_sort_config_static_selectorELNS0_4arch9wavefront6targetE1EEEvSG_,comdat
.Lfunc_end897:
	.size	_ZN7rocprim17ROCPRIM_400000_NS6detail17trampoline_kernelINS0_14default_configENS1_35radix_sort_onesweep_config_selectorIilEEZZNS1_29radix_sort_onesweep_iterationIS3_Lb0EPiS7_N6thrust23THRUST_200600_302600_NS10device_ptrIlEESB_jNS0_19identity_decomposerENS1_16block_id_wrapperIjLb0EEEEE10hipError_tT1_PNSt15iterator_traitsISG_E10value_typeET2_T3_PNSH_ISM_E10value_typeET4_T5_PSR_SS_PNS1_23onesweep_lookback_stateEbbT6_jjT7_P12ihipStream_tbENKUlT_T0_SG_SL_E_clIS7_S7_SB_SB_EEDaSZ_S10_SG_SL_EUlSZ_E_NS1_11comp_targetILNS1_3genE4ELNS1_11target_archE910ELNS1_3gpuE8ELNS1_3repE0EEENS1_47radix_sort_onesweep_sort_config_static_selectorELNS0_4arch9wavefront6targetE1EEEvSG_, .Lfunc_end897-_ZN7rocprim17ROCPRIM_400000_NS6detail17trampoline_kernelINS0_14default_configENS1_35radix_sort_onesweep_config_selectorIilEEZZNS1_29radix_sort_onesweep_iterationIS3_Lb0EPiS7_N6thrust23THRUST_200600_302600_NS10device_ptrIlEESB_jNS0_19identity_decomposerENS1_16block_id_wrapperIjLb0EEEEE10hipError_tT1_PNSt15iterator_traitsISG_E10value_typeET2_T3_PNSH_ISM_E10value_typeET4_T5_PSR_SS_PNS1_23onesweep_lookback_stateEbbT6_jjT7_P12ihipStream_tbENKUlT_T0_SG_SL_E_clIS7_S7_SB_SB_EEDaSZ_S10_SG_SL_EUlSZ_E_NS1_11comp_targetILNS1_3genE4ELNS1_11target_archE910ELNS1_3gpuE8ELNS1_3repE0EEENS1_47radix_sort_onesweep_sort_config_static_selectorELNS0_4arch9wavefront6targetE1EEEvSG_
                                        ; -- End function
	.section	.AMDGPU.csdata,"",@progbits
; Kernel info:
; codeLenInByte = 20664
; NumSgprs: 73
; NumVgprs: 88
; NumAgprs: 0
; TotalNumVgprs: 88
; ScratchSize: 0
; MemoryBound: 0
; FloatMode: 240
; IeeeMode: 1
; LDSByteSize: 10280 bytes/workgroup (compile time only)
; SGPRBlocks: 9
; VGPRBlocks: 10
; NumSGPRsForWavesPerEU: 73
; NumVGPRsForWavesPerEU: 88
; AccumOffset: 88
; Occupancy: 5
; WaveLimiterHint : 1
; COMPUTE_PGM_RSRC2:SCRATCH_EN: 0
; COMPUTE_PGM_RSRC2:USER_SGPR: 6
; COMPUTE_PGM_RSRC2:TRAP_HANDLER: 0
; COMPUTE_PGM_RSRC2:TGID_X_EN: 1
; COMPUTE_PGM_RSRC2:TGID_Y_EN: 0
; COMPUTE_PGM_RSRC2:TGID_Z_EN: 0
; COMPUTE_PGM_RSRC2:TIDIG_COMP_CNT: 2
; COMPUTE_PGM_RSRC3_GFX90A:ACCUM_OFFSET: 21
; COMPUTE_PGM_RSRC3_GFX90A:TG_SPLIT: 0
	.section	.text._ZN7rocprim17ROCPRIM_400000_NS6detail17trampoline_kernelINS0_14default_configENS1_35radix_sort_onesweep_config_selectorIilEEZZNS1_29radix_sort_onesweep_iterationIS3_Lb0EPiS7_N6thrust23THRUST_200600_302600_NS10device_ptrIlEESB_jNS0_19identity_decomposerENS1_16block_id_wrapperIjLb0EEEEE10hipError_tT1_PNSt15iterator_traitsISG_E10value_typeET2_T3_PNSH_ISM_E10value_typeET4_T5_PSR_SS_PNS1_23onesweep_lookback_stateEbbT6_jjT7_P12ihipStream_tbENKUlT_T0_SG_SL_E_clIS7_S7_SB_SB_EEDaSZ_S10_SG_SL_EUlSZ_E_NS1_11comp_targetILNS1_3genE3ELNS1_11target_archE908ELNS1_3gpuE7ELNS1_3repE0EEENS1_47radix_sort_onesweep_sort_config_static_selectorELNS0_4arch9wavefront6targetE1EEEvSG_,"axG",@progbits,_ZN7rocprim17ROCPRIM_400000_NS6detail17trampoline_kernelINS0_14default_configENS1_35radix_sort_onesweep_config_selectorIilEEZZNS1_29radix_sort_onesweep_iterationIS3_Lb0EPiS7_N6thrust23THRUST_200600_302600_NS10device_ptrIlEESB_jNS0_19identity_decomposerENS1_16block_id_wrapperIjLb0EEEEE10hipError_tT1_PNSt15iterator_traitsISG_E10value_typeET2_T3_PNSH_ISM_E10value_typeET4_T5_PSR_SS_PNS1_23onesweep_lookback_stateEbbT6_jjT7_P12ihipStream_tbENKUlT_T0_SG_SL_E_clIS7_S7_SB_SB_EEDaSZ_S10_SG_SL_EUlSZ_E_NS1_11comp_targetILNS1_3genE3ELNS1_11target_archE908ELNS1_3gpuE7ELNS1_3repE0EEENS1_47radix_sort_onesweep_sort_config_static_selectorELNS0_4arch9wavefront6targetE1EEEvSG_,comdat
	.protected	_ZN7rocprim17ROCPRIM_400000_NS6detail17trampoline_kernelINS0_14default_configENS1_35radix_sort_onesweep_config_selectorIilEEZZNS1_29radix_sort_onesweep_iterationIS3_Lb0EPiS7_N6thrust23THRUST_200600_302600_NS10device_ptrIlEESB_jNS0_19identity_decomposerENS1_16block_id_wrapperIjLb0EEEEE10hipError_tT1_PNSt15iterator_traitsISG_E10value_typeET2_T3_PNSH_ISM_E10value_typeET4_T5_PSR_SS_PNS1_23onesweep_lookback_stateEbbT6_jjT7_P12ihipStream_tbENKUlT_T0_SG_SL_E_clIS7_S7_SB_SB_EEDaSZ_S10_SG_SL_EUlSZ_E_NS1_11comp_targetILNS1_3genE3ELNS1_11target_archE908ELNS1_3gpuE7ELNS1_3repE0EEENS1_47radix_sort_onesweep_sort_config_static_selectorELNS0_4arch9wavefront6targetE1EEEvSG_ ; -- Begin function _ZN7rocprim17ROCPRIM_400000_NS6detail17trampoline_kernelINS0_14default_configENS1_35radix_sort_onesweep_config_selectorIilEEZZNS1_29radix_sort_onesweep_iterationIS3_Lb0EPiS7_N6thrust23THRUST_200600_302600_NS10device_ptrIlEESB_jNS0_19identity_decomposerENS1_16block_id_wrapperIjLb0EEEEE10hipError_tT1_PNSt15iterator_traitsISG_E10value_typeET2_T3_PNSH_ISM_E10value_typeET4_T5_PSR_SS_PNS1_23onesweep_lookback_stateEbbT6_jjT7_P12ihipStream_tbENKUlT_T0_SG_SL_E_clIS7_S7_SB_SB_EEDaSZ_S10_SG_SL_EUlSZ_E_NS1_11comp_targetILNS1_3genE3ELNS1_11target_archE908ELNS1_3gpuE7ELNS1_3repE0EEENS1_47radix_sort_onesweep_sort_config_static_selectorELNS0_4arch9wavefront6targetE1EEEvSG_
	.globl	_ZN7rocprim17ROCPRIM_400000_NS6detail17trampoline_kernelINS0_14default_configENS1_35radix_sort_onesweep_config_selectorIilEEZZNS1_29radix_sort_onesweep_iterationIS3_Lb0EPiS7_N6thrust23THRUST_200600_302600_NS10device_ptrIlEESB_jNS0_19identity_decomposerENS1_16block_id_wrapperIjLb0EEEEE10hipError_tT1_PNSt15iterator_traitsISG_E10value_typeET2_T3_PNSH_ISM_E10value_typeET4_T5_PSR_SS_PNS1_23onesweep_lookback_stateEbbT6_jjT7_P12ihipStream_tbENKUlT_T0_SG_SL_E_clIS7_S7_SB_SB_EEDaSZ_S10_SG_SL_EUlSZ_E_NS1_11comp_targetILNS1_3genE3ELNS1_11target_archE908ELNS1_3gpuE7ELNS1_3repE0EEENS1_47radix_sort_onesweep_sort_config_static_selectorELNS0_4arch9wavefront6targetE1EEEvSG_
	.p2align	8
	.type	_ZN7rocprim17ROCPRIM_400000_NS6detail17trampoline_kernelINS0_14default_configENS1_35radix_sort_onesweep_config_selectorIilEEZZNS1_29radix_sort_onesweep_iterationIS3_Lb0EPiS7_N6thrust23THRUST_200600_302600_NS10device_ptrIlEESB_jNS0_19identity_decomposerENS1_16block_id_wrapperIjLb0EEEEE10hipError_tT1_PNSt15iterator_traitsISG_E10value_typeET2_T3_PNSH_ISM_E10value_typeET4_T5_PSR_SS_PNS1_23onesweep_lookback_stateEbbT6_jjT7_P12ihipStream_tbENKUlT_T0_SG_SL_E_clIS7_S7_SB_SB_EEDaSZ_S10_SG_SL_EUlSZ_E_NS1_11comp_targetILNS1_3genE3ELNS1_11target_archE908ELNS1_3gpuE7ELNS1_3repE0EEENS1_47radix_sort_onesweep_sort_config_static_selectorELNS0_4arch9wavefront6targetE1EEEvSG_,@function
_ZN7rocprim17ROCPRIM_400000_NS6detail17trampoline_kernelINS0_14default_configENS1_35radix_sort_onesweep_config_selectorIilEEZZNS1_29radix_sort_onesweep_iterationIS3_Lb0EPiS7_N6thrust23THRUST_200600_302600_NS10device_ptrIlEESB_jNS0_19identity_decomposerENS1_16block_id_wrapperIjLb0EEEEE10hipError_tT1_PNSt15iterator_traitsISG_E10value_typeET2_T3_PNSH_ISM_E10value_typeET4_T5_PSR_SS_PNS1_23onesweep_lookback_stateEbbT6_jjT7_P12ihipStream_tbENKUlT_T0_SG_SL_E_clIS7_S7_SB_SB_EEDaSZ_S10_SG_SL_EUlSZ_E_NS1_11comp_targetILNS1_3genE3ELNS1_11target_archE908ELNS1_3gpuE7ELNS1_3repE0EEENS1_47radix_sort_onesweep_sort_config_static_selectorELNS0_4arch9wavefront6targetE1EEEvSG_: ; @_ZN7rocprim17ROCPRIM_400000_NS6detail17trampoline_kernelINS0_14default_configENS1_35radix_sort_onesweep_config_selectorIilEEZZNS1_29radix_sort_onesweep_iterationIS3_Lb0EPiS7_N6thrust23THRUST_200600_302600_NS10device_ptrIlEESB_jNS0_19identity_decomposerENS1_16block_id_wrapperIjLb0EEEEE10hipError_tT1_PNSt15iterator_traitsISG_E10value_typeET2_T3_PNSH_ISM_E10value_typeET4_T5_PSR_SS_PNS1_23onesweep_lookback_stateEbbT6_jjT7_P12ihipStream_tbENKUlT_T0_SG_SL_E_clIS7_S7_SB_SB_EEDaSZ_S10_SG_SL_EUlSZ_E_NS1_11comp_targetILNS1_3genE3ELNS1_11target_archE908ELNS1_3gpuE7ELNS1_3repE0EEENS1_47radix_sort_onesweep_sort_config_static_selectorELNS0_4arch9wavefront6targetE1EEEvSG_
; %bb.0:
	.section	.rodata,"a",@progbits
	.p2align	6, 0x0
	.amdhsa_kernel _ZN7rocprim17ROCPRIM_400000_NS6detail17trampoline_kernelINS0_14default_configENS1_35radix_sort_onesweep_config_selectorIilEEZZNS1_29radix_sort_onesweep_iterationIS3_Lb0EPiS7_N6thrust23THRUST_200600_302600_NS10device_ptrIlEESB_jNS0_19identity_decomposerENS1_16block_id_wrapperIjLb0EEEEE10hipError_tT1_PNSt15iterator_traitsISG_E10value_typeET2_T3_PNSH_ISM_E10value_typeET4_T5_PSR_SS_PNS1_23onesweep_lookback_stateEbbT6_jjT7_P12ihipStream_tbENKUlT_T0_SG_SL_E_clIS7_S7_SB_SB_EEDaSZ_S10_SG_SL_EUlSZ_E_NS1_11comp_targetILNS1_3genE3ELNS1_11target_archE908ELNS1_3gpuE7ELNS1_3repE0EEENS1_47radix_sort_onesweep_sort_config_static_selectorELNS0_4arch9wavefront6targetE1EEEvSG_
		.amdhsa_group_segment_fixed_size 0
		.amdhsa_private_segment_fixed_size 0
		.amdhsa_kernarg_size 88
		.amdhsa_user_sgpr_count 6
		.amdhsa_user_sgpr_private_segment_buffer 1
		.amdhsa_user_sgpr_dispatch_ptr 0
		.amdhsa_user_sgpr_queue_ptr 0
		.amdhsa_user_sgpr_kernarg_segment_ptr 1
		.amdhsa_user_sgpr_dispatch_id 0
		.amdhsa_user_sgpr_flat_scratch_init 0
		.amdhsa_user_sgpr_kernarg_preload_length 0
		.amdhsa_user_sgpr_kernarg_preload_offset 0
		.amdhsa_user_sgpr_private_segment_size 0
		.amdhsa_uses_dynamic_stack 0
		.amdhsa_system_sgpr_private_segment_wavefront_offset 0
		.amdhsa_system_sgpr_workgroup_id_x 1
		.amdhsa_system_sgpr_workgroup_id_y 0
		.amdhsa_system_sgpr_workgroup_id_z 0
		.amdhsa_system_sgpr_workgroup_info 0
		.amdhsa_system_vgpr_workitem_id 0
		.amdhsa_next_free_vgpr 1
		.amdhsa_next_free_sgpr 0
		.amdhsa_accum_offset 4
		.amdhsa_reserve_vcc 0
		.amdhsa_reserve_flat_scratch 0
		.amdhsa_float_round_mode_32 0
		.amdhsa_float_round_mode_16_64 0
		.amdhsa_float_denorm_mode_32 3
		.amdhsa_float_denorm_mode_16_64 3
		.amdhsa_dx10_clamp 1
		.amdhsa_ieee_mode 1
		.amdhsa_fp16_overflow 0
		.amdhsa_tg_split 0
		.amdhsa_exception_fp_ieee_invalid_op 0
		.amdhsa_exception_fp_denorm_src 0
		.amdhsa_exception_fp_ieee_div_zero 0
		.amdhsa_exception_fp_ieee_overflow 0
		.amdhsa_exception_fp_ieee_underflow 0
		.amdhsa_exception_fp_ieee_inexact 0
		.amdhsa_exception_int_div_zero 0
	.end_amdhsa_kernel
	.section	.text._ZN7rocprim17ROCPRIM_400000_NS6detail17trampoline_kernelINS0_14default_configENS1_35radix_sort_onesweep_config_selectorIilEEZZNS1_29radix_sort_onesweep_iterationIS3_Lb0EPiS7_N6thrust23THRUST_200600_302600_NS10device_ptrIlEESB_jNS0_19identity_decomposerENS1_16block_id_wrapperIjLb0EEEEE10hipError_tT1_PNSt15iterator_traitsISG_E10value_typeET2_T3_PNSH_ISM_E10value_typeET4_T5_PSR_SS_PNS1_23onesweep_lookback_stateEbbT6_jjT7_P12ihipStream_tbENKUlT_T0_SG_SL_E_clIS7_S7_SB_SB_EEDaSZ_S10_SG_SL_EUlSZ_E_NS1_11comp_targetILNS1_3genE3ELNS1_11target_archE908ELNS1_3gpuE7ELNS1_3repE0EEENS1_47radix_sort_onesweep_sort_config_static_selectorELNS0_4arch9wavefront6targetE1EEEvSG_,"axG",@progbits,_ZN7rocprim17ROCPRIM_400000_NS6detail17trampoline_kernelINS0_14default_configENS1_35radix_sort_onesweep_config_selectorIilEEZZNS1_29radix_sort_onesweep_iterationIS3_Lb0EPiS7_N6thrust23THRUST_200600_302600_NS10device_ptrIlEESB_jNS0_19identity_decomposerENS1_16block_id_wrapperIjLb0EEEEE10hipError_tT1_PNSt15iterator_traitsISG_E10value_typeET2_T3_PNSH_ISM_E10value_typeET4_T5_PSR_SS_PNS1_23onesweep_lookback_stateEbbT6_jjT7_P12ihipStream_tbENKUlT_T0_SG_SL_E_clIS7_S7_SB_SB_EEDaSZ_S10_SG_SL_EUlSZ_E_NS1_11comp_targetILNS1_3genE3ELNS1_11target_archE908ELNS1_3gpuE7ELNS1_3repE0EEENS1_47radix_sort_onesweep_sort_config_static_selectorELNS0_4arch9wavefront6targetE1EEEvSG_,comdat
.Lfunc_end898:
	.size	_ZN7rocprim17ROCPRIM_400000_NS6detail17trampoline_kernelINS0_14default_configENS1_35radix_sort_onesweep_config_selectorIilEEZZNS1_29radix_sort_onesweep_iterationIS3_Lb0EPiS7_N6thrust23THRUST_200600_302600_NS10device_ptrIlEESB_jNS0_19identity_decomposerENS1_16block_id_wrapperIjLb0EEEEE10hipError_tT1_PNSt15iterator_traitsISG_E10value_typeET2_T3_PNSH_ISM_E10value_typeET4_T5_PSR_SS_PNS1_23onesweep_lookback_stateEbbT6_jjT7_P12ihipStream_tbENKUlT_T0_SG_SL_E_clIS7_S7_SB_SB_EEDaSZ_S10_SG_SL_EUlSZ_E_NS1_11comp_targetILNS1_3genE3ELNS1_11target_archE908ELNS1_3gpuE7ELNS1_3repE0EEENS1_47radix_sort_onesweep_sort_config_static_selectorELNS0_4arch9wavefront6targetE1EEEvSG_, .Lfunc_end898-_ZN7rocprim17ROCPRIM_400000_NS6detail17trampoline_kernelINS0_14default_configENS1_35radix_sort_onesweep_config_selectorIilEEZZNS1_29radix_sort_onesweep_iterationIS3_Lb0EPiS7_N6thrust23THRUST_200600_302600_NS10device_ptrIlEESB_jNS0_19identity_decomposerENS1_16block_id_wrapperIjLb0EEEEE10hipError_tT1_PNSt15iterator_traitsISG_E10value_typeET2_T3_PNSH_ISM_E10value_typeET4_T5_PSR_SS_PNS1_23onesweep_lookback_stateEbbT6_jjT7_P12ihipStream_tbENKUlT_T0_SG_SL_E_clIS7_S7_SB_SB_EEDaSZ_S10_SG_SL_EUlSZ_E_NS1_11comp_targetILNS1_3genE3ELNS1_11target_archE908ELNS1_3gpuE7ELNS1_3repE0EEENS1_47radix_sort_onesweep_sort_config_static_selectorELNS0_4arch9wavefront6targetE1EEEvSG_
                                        ; -- End function
	.section	.AMDGPU.csdata,"",@progbits
; Kernel info:
; codeLenInByte = 0
; NumSgprs: 4
; NumVgprs: 0
; NumAgprs: 0
; TotalNumVgprs: 0
; ScratchSize: 0
; MemoryBound: 0
; FloatMode: 240
; IeeeMode: 1
; LDSByteSize: 0 bytes/workgroup (compile time only)
; SGPRBlocks: 0
; VGPRBlocks: 0
; NumSGPRsForWavesPerEU: 4
; NumVGPRsForWavesPerEU: 1
; AccumOffset: 4
; Occupancy: 8
; WaveLimiterHint : 0
; COMPUTE_PGM_RSRC2:SCRATCH_EN: 0
; COMPUTE_PGM_RSRC2:USER_SGPR: 6
; COMPUTE_PGM_RSRC2:TRAP_HANDLER: 0
; COMPUTE_PGM_RSRC2:TGID_X_EN: 1
; COMPUTE_PGM_RSRC2:TGID_Y_EN: 0
; COMPUTE_PGM_RSRC2:TGID_Z_EN: 0
; COMPUTE_PGM_RSRC2:TIDIG_COMP_CNT: 0
; COMPUTE_PGM_RSRC3_GFX90A:ACCUM_OFFSET: 0
; COMPUTE_PGM_RSRC3_GFX90A:TG_SPLIT: 0
	.section	.text._ZN7rocprim17ROCPRIM_400000_NS6detail17trampoline_kernelINS0_14default_configENS1_35radix_sort_onesweep_config_selectorIilEEZZNS1_29radix_sort_onesweep_iterationIS3_Lb0EPiS7_N6thrust23THRUST_200600_302600_NS10device_ptrIlEESB_jNS0_19identity_decomposerENS1_16block_id_wrapperIjLb0EEEEE10hipError_tT1_PNSt15iterator_traitsISG_E10value_typeET2_T3_PNSH_ISM_E10value_typeET4_T5_PSR_SS_PNS1_23onesweep_lookback_stateEbbT6_jjT7_P12ihipStream_tbENKUlT_T0_SG_SL_E_clIS7_S7_SB_SB_EEDaSZ_S10_SG_SL_EUlSZ_E_NS1_11comp_targetILNS1_3genE10ELNS1_11target_archE1201ELNS1_3gpuE5ELNS1_3repE0EEENS1_47radix_sort_onesweep_sort_config_static_selectorELNS0_4arch9wavefront6targetE1EEEvSG_,"axG",@progbits,_ZN7rocprim17ROCPRIM_400000_NS6detail17trampoline_kernelINS0_14default_configENS1_35radix_sort_onesweep_config_selectorIilEEZZNS1_29radix_sort_onesweep_iterationIS3_Lb0EPiS7_N6thrust23THRUST_200600_302600_NS10device_ptrIlEESB_jNS0_19identity_decomposerENS1_16block_id_wrapperIjLb0EEEEE10hipError_tT1_PNSt15iterator_traitsISG_E10value_typeET2_T3_PNSH_ISM_E10value_typeET4_T5_PSR_SS_PNS1_23onesweep_lookback_stateEbbT6_jjT7_P12ihipStream_tbENKUlT_T0_SG_SL_E_clIS7_S7_SB_SB_EEDaSZ_S10_SG_SL_EUlSZ_E_NS1_11comp_targetILNS1_3genE10ELNS1_11target_archE1201ELNS1_3gpuE5ELNS1_3repE0EEENS1_47radix_sort_onesweep_sort_config_static_selectorELNS0_4arch9wavefront6targetE1EEEvSG_,comdat
	.protected	_ZN7rocprim17ROCPRIM_400000_NS6detail17trampoline_kernelINS0_14default_configENS1_35radix_sort_onesweep_config_selectorIilEEZZNS1_29radix_sort_onesweep_iterationIS3_Lb0EPiS7_N6thrust23THRUST_200600_302600_NS10device_ptrIlEESB_jNS0_19identity_decomposerENS1_16block_id_wrapperIjLb0EEEEE10hipError_tT1_PNSt15iterator_traitsISG_E10value_typeET2_T3_PNSH_ISM_E10value_typeET4_T5_PSR_SS_PNS1_23onesweep_lookback_stateEbbT6_jjT7_P12ihipStream_tbENKUlT_T0_SG_SL_E_clIS7_S7_SB_SB_EEDaSZ_S10_SG_SL_EUlSZ_E_NS1_11comp_targetILNS1_3genE10ELNS1_11target_archE1201ELNS1_3gpuE5ELNS1_3repE0EEENS1_47radix_sort_onesweep_sort_config_static_selectorELNS0_4arch9wavefront6targetE1EEEvSG_ ; -- Begin function _ZN7rocprim17ROCPRIM_400000_NS6detail17trampoline_kernelINS0_14default_configENS1_35radix_sort_onesweep_config_selectorIilEEZZNS1_29radix_sort_onesweep_iterationIS3_Lb0EPiS7_N6thrust23THRUST_200600_302600_NS10device_ptrIlEESB_jNS0_19identity_decomposerENS1_16block_id_wrapperIjLb0EEEEE10hipError_tT1_PNSt15iterator_traitsISG_E10value_typeET2_T3_PNSH_ISM_E10value_typeET4_T5_PSR_SS_PNS1_23onesweep_lookback_stateEbbT6_jjT7_P12ihipStream_tbENKUlT_T0_SG_SL_E_clIS7_S7_SB_SB_EEDaSZ_S10_SG_SL_EUlSZ_E_NS1_11comp_targetILNS1_3genE10ELNS1_11target_archE1201ELNS1_3gpuE5ELNS1_3repE0EEENS1_47radix_sort_onesweep_sort_config_static_selectorELNS0_4arch9wavefront6targetE1EEEvSG_
	.globl	_ZN7rocprim17ROCPRIM_400000_NS6detail17trampoline_kernelINS0_14default_configENS1_35radix_sort_onesweep_config_selectorIilEEZZNS1_29radix_sort_onesweep_iterationIS3_Lb0EPiS7_N6thrust23THRUST_200600_302600_NS10device_ptrIlEESB_jNS0_19identity_decomposerENS1_16block_id_wrapperIjLb0EEEEE10hipError_tT1_PNSt15iterator_traitsISG_E10value_typeET2_T3_PNSH_ISM_E10value_typeET4_T5_PSR_SS_PNS1_23onesweep_lookback_stateEbbT6_jjT7_P12ihipStream_tbENKUlT_T0_SG_SL_E_clIS7_S7_SB_SB_EEDaSZ_S10_SG_SL_EUlSZ_E_NS1_11comp_targetILNS1_3genE10ELNS1_11target_archE1201ELNS1_3gpuE5ELNS1_3repE0EEENS1_47radix_sort_onesweep_sort_config_static_selectorELNS0_4arch9wavefront6targetE1EEEvSG_
	.p2align	8
	.type	_ZN7rocprim17ROCPRIM_400000_NS6detail17trampoline_kernelINS0_14default_configENS1_35radix_sort_onesweep_config_selectorIilEEZZNS1_29radix_sort_onesweep_iterationIS3_Lb0EPiS7_N6thrust23THRUST_200600_302600_NS10device_ptrIlEESB_jNS0_19identity_decomposerENS1_16block_id_wrapperIjLb0EEEEE10hipError_tT1_PNSt15iterator_traitsISG_E10value_typeET2_T3_PNSH_ISM_E10value_typeET4_T5_PSR_SS_PNS1_23onesweep_lookback_stateEbbT6_jjT7_P12ihipStream_tbENKUlT_T0_SG_SL_E_clIS7_S7_SB_SB_EEDaSZ_S10_SG_SL_EUlSZ_E_NS1_11comp_targetILNS1_3genE10ELNS1_11target_archE1201ELNS1_3gpuE5ELNS1_3repE0EEENS1_47radix_sort_onesweep_sort_config_static_selectorELNS0_4arch9wavefront6targetE1EEEvSG_,@function
_ZN7rocprim17ROCPRIM_400000_NS6detail17trampoline_kernelINS0_14default_configENS1_35radix_sort_onesweep_config_selectorIilEEZZNS1_29radix_sort_onesweep_iterationIS3_Lb0EPiS7_N6thrust23THRUST_200600_302600_NS10device_ptrIlEESB_jNS0_19identity_decomposerENS1_16block_id_wrapperIjLb0EEEEE10hipError_tT1_PNSt15iterator_traitsISG_E10value_typeET2_T3_PNSH_ISM_E10value_typeET4_T5_PSR_SS_PNS1_23onesweep_lookback_stateEbbT6_jjT7_P12ihipStream_tbENKUlT_T0_SG_SL_E_clIS7_S7_SB_SB_EEDaSZ_S10_SG_SL_EUlSZ_E_NS1_11comp_targetILNS1_3genE10ELNS1_11target_archE1201ELNS1_3gpuE5ELNS1_3repE0EEENS1_47radix_sort_onesweep_sort_config_static_selectorELNS0_4arch9wavefront6targetE1EEEvSG_: ; @_ZN7rocprim17ROCPRIM_400000_NS6detail17trampoline_kernelINS0_14default_configENS1_35radix_sort_onesweep_config_selectorIilEEZZNS1_29radix_sort_onesweep_iterationIS3_Lb0EPiS7_N6thrust23THRUST_200600_302600_NS10device_ptrIlEESB_jNS0_19identity_decomposerENS1_16block_id_wrapperIjLb0EEEEE10hipError_tT1_PNSt15iterator_traitsISG_E10value_typeET2_T3_PNSH_ISM_E10value_typeET4_T5_PSR_SS_PNS1_23onesweep_lookback_stateEbbT6_jjT7_P12ihipStream_tbENKUlT_T0_SG_SL_E_clIS7_S7_SB_SB_EEDaSZ_S10_SG_SL_EUlSZ_E_NS1_11comp_targetILNS1_3genE10ELNS1_11target_archE1201ELNS1_3gpuE5ELNS1_3repE0EEENS1_47radix_sort_onesweep_sort_config_static_selectorELNS0_4arch9wavefront6targetE1EEEvSG_
; %bb.0:
	.section	.rodata,"a",@progbits
	.p2align	6, 0x0
	.amdhsa_kernel _ZN7rocprim17ROCPRIM_400000_NS6detail17trampoline_kernelINS0_14default_configENS1_35radix_sort_onesweep_config_selectorIilEEZZNS1_29radix_sort_onesweep_iterationIS3_Lb0EPiS7_N6thrust23THRUST_200600_302600_NS10device_ptrIlEESB_jNS0_19identity_decomposerENS1_16block_id_wrapperIjLb0EEEEE10hipError_tT1_PNSt15iterator_traitsISG_E10value_typeET2_T3_PNSH_ISM_E10value_typeET4_T5_PSR_SS_PNS1_23onesweep_lookback_stateEbbT6_jjT7_P12ihipStream_tbENKUlT_T0_SG_SL_E_clIS7_S7_SB_SB_EEDaSZ_S10_SG_SL_EUlSZ_E_NS1_11comp_targetILNS1_3genE10ELNS1_11target_archE1201ELNS1_3gpuE5ELNS1_3repE0EEENS1_47radix_sort_onesweep_sort_config_static_selectorELNS0_4arch9wavefront6targetE1EEEvSG_
		.amdhsa_group_segment_fixed_size 0
		.amdhsa_private_segment_fixed_size 0
		.amdhsa_kernarg_size 88
		.amdhsa_user_sgpr_count 6
		.amdhsa_user_sgpr_private_segment_buffer 1
		.amdhsa_user_sgpr_dispatch_ptr 0
		.amdhsa_user_sgpr_queue_ptr 0
		.amdhsa_user_sgpr_kernarg_segment_ptr 1
		.amdhsa_user_sgpr_dispatch_id 0
		.amdhsa_user_sgpr_flat_scratch_init 0
		.amdhsa_user_sgpr_kernarg_preload_length 0
		.amdhsa_user_sgpr_kernarg_preload_offset 0
		.amdhsa_user_sgpr_private_segment_size 0
		.amdhsa_uses_dynamic_stack 0
		.amdhsa_system_sgpr_private_segment_wavefront_offset 0
		.amdhsa_system_sgpr_workgroup_id_x 1
		.amdhsa_system_sgpr_workgroup_id_y 0
		.amdhsa_system_sgpr_workgroup_id_z 0
		.amdhsa_system_sgpr_workgroup_info 0
		.amdhsa_system_vgpr_workitem_id 0
		.amdhsa_next_free_vgpr 1
		.amdhsa_next_free_sgpr 0
		.amdhsa_accum_offset 4
		.amdhsa_reserve_vcc 0
		.amdhsa_reserve_flat_scratch 0
		.amdhsa_float_round_mode_32 0
		.amdhsa_float_round_mode_16_64 0
		.amdhsa_float_denorm_mode_32 3
		.amdhsa_float_denorm_mode_16_64 3
		.amdhsa_dx10_clamp 1
		.amdhsa_ieee_mode 1
		.amdhsa_fp16_overflow 0
		.amdhsa_tg_split 0
		.amdhsa_exception_fp_ieee_invalid_op 0
		.amdhsa_exception_fp_denorm_src 0
		.amdhsa_exception_fp_ieee_div_zero 0
		.amdhsa_exception_fp_ieee_overflow 0
		.amdhsa_exception_fp_ieee_underflow 0
		.amdhsa_exception_fp_ieee_inexact 0
		.amdhsa_exception_int_div_zero 0
	.end_amdhsa_kernel
	.section	.text._ZN7rocprim17ROCPRIM_400000_NS6detail17trampoline_kernelINS0_14default_configENS1_35radix_sort_onesweep_config_selectorIilEEZZNS1_29radix_sort_onesweep_iterationIS3_Lb0EPiS7_N6thrust23THRUST_200600_302600_NS10device_ptrIlEESB_jNS0_19identity_decomposerENS1_16block_id_wrapperIjLb0EEEEE10hipError_tT1_PNSt15iterator_traitsISG_E10value_typeET2_T3_PNSH_ISM_E10value_typeET4_T5_PSR_SS_PNS1_23onesweep_lookback_stateEbbT6_jjT7_P12ihipStream_tbENKUlT_T0_SG_SL_E_clIS7_S7_SB_SB_EEDaSZ_S10_SG_SL_EUlSZ_E_NS1_11comp_targetILNS1_3genE10ELNS1_11target_archE1201ELNS1_3gpuE5ELNS1_3repE0EEENS1_47radix_sort_onesweep_sort_config_static_selectorELNS0_4arch9wavefront6targetE1EEEvSG_,"axG",@progbits,_ZN7rocprim17ROCPRIM_400000_NS6detail17trampoline_kernelINS0_14default_configENS1_35radix_sort_onesweep_config_selectorIilEEZZNS1_29radix_sort_onesweep_iterationIS3_Lb0EPiS7_N6thrust23THRUST_200600_302600_NS10device_ptrIlEESB_jNS0_19identity_decomposerENS1_16block_id_wrapperIjLb0EEEEE10hipError_tT1_PNSt15iterator_traitsISG_E10value_typeET2_T3_PNSH_ISM_E10value_typeET4_T5_PSR_SS_PNS1_23onesweep_lookback_stateEbbT6_jjT7_P12ihipStream_tbENKUlT_T0_SG_SL_E_clIS7_S7_SB_SB_EEDaSZ_S10_SG_SL_EUlSZ_E_NS1_11comp_targetILNS1_3genE10ELNS1_11target_archE1201ELNS1_3gpuE5ELNS1_3repE0EEENS1_47radix_sort_onesweep_sort_config_static_selectorELNS0_4arch9wavefront6targetE1EEEvSG_,comdat
.Lfunc_end899:
	.size	_ZN7rocprim17ROCPRIM_400000_NS6detail17trampoline_kernelINS0_14default_configENS1_35radix_sort_onesweep_config_selectorIilEEZZNS1_29radix_sort_onesweep_iterationIS3_Lb0EPiS7_N6thrust23THRUST_200600_302600_NS10device_ptrIlEESB_jNS0_19identity_decomposerENS1_16block_id_wrapperIjLb0EEEEE10hipError_tT1_PNSt15iterator_traitsISG_E10value_typeET2_T3_PNSH_ISM_E10value_typeET4_T5_PSR_SS_PNS1_23onesweep_lookback_stateEbbT6_jjT7_P12ihipStream_tbENKUlT_T0_SG_SL_E_clIS7_S7_SB_SB_EEDaSZ_S10_SG_SL_EUlSZ_E_NS1_11comp_targetILNS1_3genE10ELNS1_11target_archE1201ELNS1_3gpuE5ELNS1_3repE0EEENS1_47radix_sort_onesweep_sort_config_static_selectorELNS0_4arch9wavefront6targetE1EEEvSG_, .Lfunc_end899-_ZN7rocprim17ROCPRIM_400000_NS6detail17trampoline_kernelINS0_14default_configENS1_35radix_sort_onesweep_config_selectorIilEEZZNS1_29radix_sort_onesweep_iterationIS3_Lb0EPiS7_N6thrust23THRUST_200600_302600_NS10device_ptrIlEESB_jNS0_19identity_decomposerENS1_16block_id_wrapperIjLb0EEEEE10hipError_tT1_PNSt15iterator_traitsISG_E10value_typeET2_T3_PNSH_ISM_E10value_typeET4_T5_PSR_SS_PNS1_23onesweep_lookback_stateEbbT6_jjT7_P12ihipStream_tbENKUlT_T0_SG_SL_E_clIS7_S7_SB_SB_EEDaSZ_S10_SG_SL_EUlSZ_E_NS1_11comp_targetILNS1_3genE10ELNS1_11target_archE1201ELNS1_3gpuE5ELNS1_3repE0EEENS1_47radix_sort_onesweep_sort_config_static_selectorELNS0_4arch9wavefront6targetE1EEEvSG_
                                        ; -- End function
	.section	.AMDGPU.csdata,"",@progbits
; Kernel info:
; codeLenInByte = 0
; NumSgprs: 4
; NumVgprs: 0
; NumAgprs: 0
; TotalNumVgprs: 0
; ScratchSize: 0
; MemoryBound: 0
; FloatMode: 240
; IeeeMode: 1
; LDSByteSize: 0 bytes/workgroup (compile time only)
; SGPRBlocks: 0
; VGPRBlocks: 0
; NumSGPRsForWavesPerEU: 4
; NumVGPRsForWavesPerEU: 1
; AccumOffset: 4
; Occupancy: 8
; WaveLimiterHint : 0
; COMPUTE_PGM_RSRC2:SCRATCH_EN: 0
; COMPUTE_PGM_RSRC2:USER_SGPR: 6
; COMPUTE_PGM_RSRC2:TRAP_HANDLER: 0
; COMPUTE_PGM_RSRC2:TGID_X_EN: 1
; COMPUTE_PGM_RSRC2:TGID_Y_EN: 0
; COMPUTE_PGM_RSRC2:TGID_Z_EN: 0
; COMPUTE_PGM_RSRC2:TIDIG_COMP_CNT: 0
; COMPUTE_PGM_RSRC3_GFX90A:ACCUM_OFFSET: 0
; COMPUTE_PGM_RSRC3_GFX90A:TG_SPLIT: 0
	.section	.text._ZN7rocprim17ROCPRIM_400000_NS6detail17trampoline_kernelINS0_14default_configENS1_35radix_sort_onesweep_config_selectorIilEEZZNS1_29radix_sort_onesweep_iterationIS3_Lb0EPiS7_N6thrust23THRUST_200600_302600_NS10device_ptrIlEESB_jNS0_19identity_decomposerENS1_16block_id_wrapperIjLb0EEEEE10hipError_tT1_PNSt15iterator_traitsISG_E10value_typeET2_T3_PNSH_ISM_E10value_typeET4_T5_PSR_SS_PNS1_23onesweep_lookback_stateEbbT6_jjT7_P12ihipStream_tbENKUlT_T0_SG_SL_E_clIS7_S7_SB_SB_EEDaSZ_S10_SG_SL_EUlSZ_E_NS1_11comp_targetILNS1_3genE9ELNS1_11target_archE1100ELNS1_3gpuE3ELNS1_3repE0EEENS1_47radix_sort_onesweep_sort_config_static_selectorELNS0_4arch9wavefront6targetE1EEEvSG_,"axG",@progbits,_ZN7rocprim17ROCPRIM_400000_NS6detail17trampoline_kernelINS0_14default_configENS1_35radix_sort_onesweep_config_selectorIilEEZZNS1_29radix_sort_onesweep_iterationIS3_Lb0EPiS7_N6thrust23THRUST_200600_302600_NS10device_ptrIlEESB_jNS0_19identity_decomposerENS1_16block_id_wrapperIjLb0EEEEE10hipError_tT1_PNSt15iterator_traitsISG_E10value_typeET2_T3_PNSH_ISM_E10value_typeET4_T5_PSR_SS_PNS1_23onesweep_lookback_stateEbbT6_jjT7_P12ihipStream_tbENKUlT_T0_SG_SL_E_clIS7_S7_SB_SB_EEDaSZ_S10_SG_SL_EUlSZ_E_NS1_11comp_targetILNS1_3genE9ELNS1_11target_archE1100ELNS1_3gpuE3ELNS1_3repE0EEENS1_47radix_sort_onesweep_sort_config_static_selectorELNS0_4arch9wavefront6targetE1EEEvSG_,comdat
	.protected	_ZN7rocprim17ROCPRIM_400000_NS6detail17trampoline_kernelINS0_14default_configENS1_35radix_sort_onesweep_config_selectorIilEEZZNS1_29radix_sort_onesweep_iterationIS3_Lb0EPiS7_N6thrust23THRUST_200600_302600_NS10device_ptrIlEESB_jNS0_19identity_decomposerENS1_16block_id_wrapperIjLb0EEEEE10hipError_tT1_PNSt15iterator_traitsISG_E10value_typeET2_T3_PNSH_ISM_E10value_typeET4_T5_PSR_SS_PNS1_23onesweep_lookback_stateEbbT6_jjT7_P12ihipStream_tbENKUlT_T0_SG_SL_E_clIS7_S7_SB_SB_EEDaSZ_S10_SG_SL_EUlSZ_E_NS1_11comp_targetILNS1_3genE9ELNS1_11target_archE1100ELNS1_3gpuE3ELNS1_3repE0EEENS1_47radix_sort_onesweep_sort_config_static_selectorELNS0_4arch9wavefront6targetE1EEEvSG_ ; -- Begin function _ZN7rocprim17ROCPRIM_400000_NS6detail17trampoline_kernelINS0_14default_configENS1_35radix_sort_onesweep_config_selectorIilEEZZNS1_29radix_sort_onesweep_iterationIS3_Lb0EPiS7_N6thrust23THRUST_200600_302600_NS10device_ptrIlEESB_jNS0_19identity_decomposerENS1_16block_id_wrapperIjLb0EEEEE10hipError_tT1_PNSt15iterator_traitsISG_E10value_typeET2_T3_PNSH_ISM_E10value_typeET4_T5_PSR_SS_PNS1_23onesweep_lookback_stateEbbT6_jjT7_P12ihipStream_tbENKUlT_T0_SG_SL_E_clIS7_S7_SB_SB_EEDaSZ_S10_SG_SL_EUlSZ_E_NS1_11comp_targetILNS1_3genE9ELNS1_11target_archE1100ELNS1_3gpuE3ELNS1_3repE0EEENS1_47radix_sort_onesweep_sort_config_static_selectorELNS0_4arch9wavefront6targetE1EEEvSG_
	.globl	_ZN7rocprim17ROCPRIM_400000_NS6detail17trampoline_kernelINS0_14default_configENS1_35radix_sort_onesweep_config_selectorIilEEZZNS1_29radix_sort_onesweep_iterationIS3_Lb0EPiS7_N6thrust23THRUST_200600_302600_NS10device_ptrIlEESB_jNS0_19identity_decomposerENS1_16block_id_wrapperIjLb0EEEEE10hipError_tT1_PNSt15iterator_traitsISG_E10value_typeET2_T3_PNSH_ISM_E10value_typeET4_T5_PSR_SS_PNS1_23onesweep_lookback_stateEbbT6_jjT7_P12ihipStream_tbENKUlT_T0_SG_SL_E_clIS7_S7_SB_SB_EEDaSZ_S10_SG_SL_EUlSZ_E_NS1_11comp_targetILNS1_3genE9ELNS1_11target_archE1100ELNS1_3gpuE3ELNS1_3repE0EEENS1_47radix_sort_onesweep_sort_config_static_selectorELNS0_4arch9wavefront6targetE1EEEvSG_
	.p2align	8
	.type	_ZN7rocprim17ROCPRIM_400000_NS6detail17trampoline_kernelINS0_14default_configENS1_35radix_sort_onesweep_config_selectorIilEEZZNS1_29radix_sort_onesweep_iterationIS3_Lb0EPiS7_N6thrust23THRUST_200600_302600_NS10device_ptrIlEESB_jNS0_19identity_decomposerENS1_16block_id_wrapperIjLb0EEEEE10hipError_tT1_PNSt15iterator_traitsISG_E10value_typeET2_T3_PNSH_ISM_E10value_typeET4_T5_PSR_SS_PNS1_23onesweep_lookback_stateEbbT6_jjT7_P12ihipStream_tbENKUlT_T0_SG_SL_E_clIS7_S7_SB_SB_EEDaSZ_S10_SG_SL_EUlSZ_E_NS1_11comp_targetILNS1_3genE9ELNS1_11target_archE1100ELNS1_3gpuE3ELNS1_3repE0EEENS1_47radix_sort_onesweep_sort_config_static_selectorELNS0_4arch9wavefront6targetE1EEEvSG_,@function
_ZN7rocprim17ROCPRIM_400000_NS6detail17trampoline_kernelINS0_14default_configENS1_35radix_sort_onesweep_config_selectorIilEEZZNS1_29radix_sort_onesweep_iterationIS3_Lb0EPiS7_N6thrust23THRUST_200600_302600_NS10device_ptrIlEESB_jNS0_19identity_decomposerENS1_16block_id_wrapperIjLb0EEEEE10hipError_tT1_PNSt15iterator_traitsISG_E10value_typeET2_T3_PNSH_ISM_E10value_typeET4_T5_PSR_SS_PNS1_23onesweep_lookback_stateEbbT6_jjT7_P12ihipStream_tbENKUlT_T0_SG_SL_E_clIS7_S7_SB_SB_EEDaSZ_S10_SG_SL_EUlSZ_E_NS1_11comp_targetILNS1_3genE9ELNS1_11target_archE1100ELNS1_3gpuE3ELNS1_3repE0EEENS1_47radix_sort_onesweep_sort_config_static_selectorELNS0_4arch9wavefront6targetE1EEEvSG_: ; @_ZN7rocprim17ROCPRIM_400000_NS6detail17trampoline_kernelINS0_14default_configENS1_35radix_sort_onesweep_config_selectorIilEEZZNS1_29radix_sort_onesweep_iterationIS3_Lb0EPiS7_N6thrust23THRUST_200600_302600_NS10device_ptrIlEESB_jNS0_19identity_decomposerENS1_16block_id_wrapperIjLb0EEEEE10hipError_tT1_PNSt15iterator_traitsISG_E10value_typeET2_T3_PNSH_ISM_E10value_typeET4_T5_PSR_SS_PNS1_23onesweep_lookback_stateEbbT6_jjT7_P12ihipStream_tbENKUlT_T0_SG_SL_E_clIS7_S7_SB_SB_EEDaSZ_S10_SG_SL_EUlSZ_E_NS1_11comp_targetILNS1_3genE9ELNS1_11target_archE1100ELNS1_3gpuE3ELNS1_3repE0EEENS1_47radix_sort_onesweep_sort_config_static_selectorELNS0_4arch9wavefront6targetE1EEEvSG_
; %bb.0:
	.section	.rodata,"a",@progbits
	.p2align	6, 0x0
	.amdhsa_kernel _ZN7rocprim17ROCPRIM_400000_NS6detail17trampoline_kernelINS0_14default_configENS1_35radix_sort_onesweep_config_selectorIilEEZZNS1_29radix_sort_onesweep_iterationIS3_Lb0EPiS7_N6thrust23THRUST_200600_302600_NS10device_ptrIlEESB_jNS0_19identity_decomposerENS1_16block_id_wrapperIjLb0EEEEE10hipError_tT1_PNSt15iterator_traitsISG_E10value_typeET2_T3_PNSH_ISM_E10value_typeET4_T5_PSR_SS_PNS1_23onesweep_lookback_stateEbbT6_jjT7_P12ihipStream_tbENKUlT_T0_SG_SL_E_clIS7_S7_SB_SB_EEDaSZ_S10_SG_SL_EUlSZ_E_NS1_11comp_targetILNS1_3genE9ELNS1_11target_archE1100ELNS1_3gpuE3ELNS1_3repE0EEENS1_47radix_sort_onesweep_sort_config_static_selectorELNS0_4arch9wavefront6targetE1EEEvSG_
		.amdhsa_group_segment_fixed_size 0
		.amdhsa_private_segment_fixed_size 0
		.amdhsa_kernarg_size 88
		.amdhsa_user_sgpr_count 6
		.amdhsa_user_sgpr_private_segment_buffer 1
		.amdhsa_user_sgpr_dispatch_ptr 0
		.amdhsa_user_sgpr_queue_ptr 0
		.amdhsa_user_sgpr_kernarg_segment_ptr 1
		.amdhsa_user_sgpr_dispatch_id 0
		.amdhsa_user_sgpr_flat_scratch_init 0
		.amdhsa_user_sgpr_kernarg_preload_length 0
		.amdhsa_user_sgpr_kernarg_preload_offset 0
		.amdhsa_user_sgpr_private_segment_size 0
		.amdhsa_uses_dynamic_stack 0
		.amdhsa_system_sgpr_private_segment_wavefront_offset 0
		.amdhsa_system_sgpr_workgroup_id_x 1
		.amdhsa_system_sgpr_workgroup_id_y 0
		.amdhsa_system_sgpr_workgroup_id_z 0
		.amdhsa_system_sgpr_workgroup_info 0
		.amdhsa_system_vgpr_workitem_id 0
		.amdhsa_next_free_vgpr 1
		.amdhsa_next_free_sgpr 0
		.amdhsa_accum_offset 4
		.amdhsa_reserve_vcc 0
		.amdhsa_reserve_flat_scratch 0
		.amdhsa_float_round_mode_32 0
		.amdhsa_float_round_mode_16_64 0
		.amdhsa_float_denorm_mode_32 3
		.amdhsa_float_denorm_mode_16_64 3
		.amdhsa_dx10_clamp 1
		.amdhsa_ieee_mode 1
		.amdhsa_fp16_overflow 0
		.amdhsa_tg_split 0
		.amdhsa_exception_fp_ieee_invalid_op 0
		.amdhsa_exception_fp_denorm_src 0
		.amdhsa_exception_fp_ieee_div_zero 0
		.amdhsa_exception_fp_ieee_overflow 0
		.amdhsa_exception_fp_ieee_underflow 0
		.amdhsa_exception_fp_ieee_inexact 0
		.amdhsa_exception_int_div_zero 0
	.end_amdhsa_kernel
	.section	.text._ZN7rocprim17ROCPRIM_400000_NS6detail17trampoline_kernelINS0_14default_configENS1_35radix_sort_onesweep_config_selectorIilEEZZNS1_29radix_sort_onesweep_iterationIS3_Lb0EPiS7_N6thrust23THRUST_200600_302600_NS10device_ptrIlEESB_jNS0_19identity_decomposerENS1_16block_id_wrapperIjLb0EEEEE10hipError_tT1_PNSt15iterator_traitsISG_E10value_typeET2_T3_PNSH_ISM_E10value_typeET4_T5_PSR_SS_PNS1_23onesweep_lookback_stateEbbT6_jjT7_P12ihipStream_tbENKUlT_T0_SG_SL_E_clIS7_S7_SB_SB_EEDaSZ_S10_SG_SL_EUlSZ_E_NS1_11comp_targetILNS1_3genE9ELNS1_11target_archE1100ELNS1_3gpuE3ELNS1_3repE0EEENS1_47radix_sort_onesweep_sort_config_static_selectorELNS0_4arch9wavefront6targetE1EEEvSG_,"axG",@progbits,_ZN7rocprim17ROCPRIM_400000_NS6detail17trampoline_kernelINS0_14default_configENS1_35radix_sort_onesweep_config_selectorIilEEZZNS1_29radix_sort_onesweep_iterationIS3_Lb0EPiS7_N6thrust23THRUST_200600_302600_NS10device_ptrIlEESB_jNS0_19identity_decomposerENS1_16block_id_wrapperIjLb0EEEEE10hipError_tT1_PNSt15iterator_traitsISG_E10value_typeET2_T3_PNSH_ISM_E10value_typeET4_T5_PSR_SS_PNS1_23onesweep_lookback_stateEbbT6_jjT7_P12ihipStream_tbENKUlT_T0_SG_SL_E_clIS7_S7_SB_SB_EEDaSZ_S10_SG_SL_EUlSZ_E_NS1_11comp_targetILNS1_3genE9ELNS1_11target_archE1100ELNS1_3gpuE3ELNS1_3repE0EEENS1_47radix_sort_onesweep_sort_config_static_selectorELNS0_4arch9wavefront6targetE1EEEvSG_,comdat
.Lfunc_end900:
	.size	_ZN7rocprim17ROCPRIM_400000_NS6detail17trampoline_kernelINS0_14default_configENS1_35radix_sort_onesweep_config_selectorIilEEZZNS1_29radix_sort_onesweep_iterationIS3_Lb0EPiS7_N6thrust23THRUST_200600_302600_NS10device_ptrIlEESB_jNS0_19identity_decomposerENS1_16block_id_wrapperIjLb0EEEEE10hipError_tT1_PNSt15iterator_traitsISG_E10value_typeET2_T3_PNSH_ISM_E10value_typeET4_T5_PSR_SS_PNS1_23onesweep_lookback_stateEbbT6_jjT7_P12ihipStream_tbENKUlT_T0_SG_SL_E_clIS7_S7_SB_SB_EEDaSZ_S10_SG_SL_EUlSZ_E_NS1_11comp_targetILNS1_3genE9ELNS1_11target_archE1100ELNS1_3gpuE3ELNS1_3repE0EEENS1_47radix_sort_onesweep_sort_config_static_selectorELNS0_4arch9wavefront6targetE1EEEvSG_, .Lfunc_end900-_ZN7rocprim17ROCPRIM_400000_NS6detail17trampoline_kernelINS0_14default_configENS1_35radix_sort_onesweep_config_selectorIilEEZZNS1_29radix_sort_onesweep_iterationIS3_Lb0EPiS7_N6thrust23THRUST_200600_302600_NS10device_ptrIlEESB_jNS0_19identity_decomposerENS1_16block_id_wrapperIjLb0EEEEE10hipError_tT1_PNSt15iterator_traitsISG_E10value_typeET2_T3_PNSH_ISM_E10value_typeET4_T5_PSR_SS_PNS1_23onesweep_lookback_stateEbbT6_jjT7_P12ihipStream_tbENKUlT_T0_SG_SL_E_clIS7_S7_SB_SB_EEDaSZ_S10_SG_SL_EUlSZ_E_NS1_11comp_targetILNS1_3genE9ELNS1_11target_archE1100ELNS1_3gpuE3ELNS1_3repE0EEENS1_47radix_sort_onesweep_sort_config_static_selectorELNS0_4arch9wavefront6targetE1EEEvSG_
                                        ; -- End function
	.section	.AMDGPU.csdata,"",@progbits
; Kernel info:
; codeLenInByte = 0
; NumSgprs: 4
; NumVgprs: 0
; NumAgprs: 0
; TotalNumVgprs: 0
; ScratchSize: 0
; MemoryBound: 0
; FloatMode: 240
; IeeeMode: 1
; LDSByteSize: 0 bytes/workgroup (compile time only)
; SGPRBlocks: 0
; VGPRBlocks: 0
; NumSGPRsForWavesPerEU: 4
; NumVGPRsForWavesPerEU: 1
; AccumOffset: 4
; Occupancy: 8
; WaveLimiterHint : 0
; COMPUTE_PGM_RSRC2:SCRATCH_EN: 0
; COMPUTE_PGM_RSRC2:USER_SGPR: 6
; COMPUTE_PGM_RSRC2:TRAP_HANDLER: 0
; COMPUTE_PGM_RSRC2:TGID_X_EN: 1
; COMPUTE_PGM_RSRC2:TGID_Y_EN: 0
; COMPUTE_PGM_RSRC2:TGID_Z_EN: 0
; COMPUTE_PGM_RSRC2:TIDIG_COMP_CNT: 0
; COMPUTE_PGM_RSRC3_GFX90A:ACCUM_OFFSET: 0
; COMPUTE_PGM_RSRC3_GFX90A:TG_SPLIT: 0
	.section	.text._ZN7rocprim17ROCPRIM_400000_NS6detail17trampoline_kernelINS0_14default_configENS1_35radix_sort_onesweep_config_selectorIilEEZZNS1_29radix_sort_onesweep_iterationIS3_Lb0EPiS7_N6thrust23THRUST_200600_302600_NS10device_ptrIlEESB_jNS0_19identity_decomposerENS1_16block_id_wrapperIjLb0EEEEE10hipError_tT1_PNSt15iterator_traitsISG_E10value_typeET2_T3_PNSH_ISM_E10value_typeET4_T5_PSR_SS_PNS1_23onesweep_lookback_stateEbbT6_jjT7_P12ihipStream_tbENKUlT_T0_SG_SL_E_clIS7_S7_SB_SB_EEDaSZ_S10_SG_SL_EUlSZ_E_NS1_11comp_targetILNS1_3genE8ELNS1_11target_archE1030ELNS1_3gpuE2ELNS1_3repE0EEENS1_47radix_sort_onesweep_sort_config_static_selectorELNS0_4arch9wavefront6targetE1EEEvSG_,"axG",@progbits,_ZN7rocprim17ROCPRIM_400000_NS6detail17trampoline_kernelINS0_14default_configENS1_35radix_sort_onesweep_config_selectorIilEEZZNS1_29radix_sort_onesweep_iterationIS3_Lb0EPiS7_N6thrust23THRUST_200600_302600_NS10device_ptrIlEESB_jNS0_19identity_decomposerENS1_16block_id_wrapperIjLb0EEEEE10hipError_tT1_PNSt15iterator_traitsISG_E10value_typeET2_T3_PNSH_ISM_E10value_typeET4_T5_PSR_SS_PNS1_23onesweep_lookback_stateEbbT6_jjT7_P12ihipStream_tbENKUlT_T0_SG_SL_E_clIS7_S7_SB_SB_EEDaSZ_S10_SG_SL_EUlSZ_E_NS1_11comp_targetILNS1_3genE8ELNS1_11target_archE1030ELNS1_3gpuE2ELNS1_3repE0EEENS1_47radix_sort_onesweep_sort_config_static_selectorELNS0_4arch9wavefront6targetE1EEEvSG_,comdat
	.protected	_ZN7rocprim17ROCPRIM_400000_NS6detail17trampoline_kernelINS0_14default_configENS1_35radix_sort_onesweep_config_selectorIilEEZZNS1_29radix_sort_onesweep_iterationIS3_Lb0EPiS7_N6thrust23THRUST_200600_302600_NS10device_ptrIlEESB_jNS0_19identity_decomposerENS1_16block_id_wrapperIjLb0EEEEE10hipError_tT1_PNSt15iterator_traitsISG_E10value_typeET2_T3_PNSH_ISM_E10value_typeET4_T5_PSR_SS_PNS1_23onesweep_lookback_stateEbbT6_jjT7_P12ihipStream_tbENKUlT_T0_SG_SL_E_clIS7_S7_SB_SB_EEDaSZ_S10_SG_SL_EUlSZ_E_NS1_11comp_targetILNS1_3genE8ELNS1_11target_archE1030ELNS1_3gpuE2ELNS1_3repE0EEENS1_47radix_sort_onesweep_sort_config_static_selectorELNS0_4arch9wavefront6targetE1EEEvSG_ ; -- Begin function _ZN7rocprim17ROCPRIM_400000_NS6detail17trampoline_kernelINS0_14default_configENS1_35radix_sort_onesweep_config_selectorIilEEZZNS1_29radix_sort_onesweep_iterationIS3_Lb0EPiS7_N6thrust23THRUST_200600_302600_NS10device_ptrIlEESB_jNS0_19identity_decomposerENS1_16block_id_wrapperIjLb0EEEEE10hipError_tT1_PNSt15iterator_traitsISG_E10value_typeET2_T3_PNSH_ISM_E10value_typeET4_T5_PSR_SS_PNS1_23onesweep_lookback_stateEbbT6_jjT7_P12ihipStream_tbENKUlT_T0_SG_SL_E_clIS7_S7_SB_SB_EEDaSZ_S10_SG_SL_EUlSZ_E_NS1_11comp_targetILNS1_3genE8ELNS1_11target_archE1030ELNS1_3gpuE2ELNS1_3repE0EEENS1_47radix_sort_onesweep_sort_config_static_selectorELNS0_4arch9wavefront6targetE1EEEvSG_
	.globl	_ZN7rocprim17ROCPRIM_400000_NS6detail17trampoline_kernelINS0_14default_configENS1_35radix_sort_onesweep_config_selectorIilEEZZNS1_29radix_sort_onesweep_iterationIS3_Lb0EPiS7_N6thrust23THRUST_200600_302600_NS10device_ptrIlEESB_jNS0_19identity_decomposerENS1_16block_id_wrapperIjLb0EEEEE10hipError_tT1_PNSt15iterator_traitsISG_E10value_typeET2_T3_PNSH_ISM_E10value_typeET4_T5_PSR_SS_PNS1_23onesweep_lookback_stateEbbT6_jjT7_P12ihipStream_tbENKUlT_T0_SG_SL_E_clIS7_S7_SB_SB_EEDaSZ_S10_SG_SL_EUlSZ_E_NS1_11comp_targetILNS1_3genE8ELNS1_11target_archE1030ELNS1_3gpuE2ELNS1_3repE0EEENS1_47radix_sort_onesweep_sort_config_static_selectorELNS0_4arch9wavefront6targetE1EEEvSG_
	.p2align	8
	.type	_ZN7rocprim17ROCPRIM_400000_NS6detail17trampoline_kernelINS0_14default_configENS1_35radix_sort_onesweep_config_selectorIilEEZZNS1_29radix_sort_onesweep_iterationIS3_Lb0EPiS7_N6thrust23THRUST_200600_302600_NS10device_ptrIlEESB_jNS0_19identity_decomposerENS1_16block_id_wrapperIjLb0EEEEE10hipError_tT1_PNSt15iterator_traitsISG_E10value_typeET2_T3_PNSH_ISM_E10value_typeET4_T5_PSR_SS_PNS1_23onesweep_lookback_stateEbbT6_jjT7_P12ihipStream_tbENKUlT_T0_SG_SL_E_clIS7_S7_SB_SB_EEDaSZ_S10_SG_SL_EUlSZ_E_NS1_11comp_targetILNS1_3genE8ELNS1_11target_archE1030ELNS1_3gpuE2ELNS1_3repE0EEENS1_47radix_sort_onesweep_sort_config_static_selectorELNS0_4arch9wavefront6targetE1EEEvSG_,@function
_ZN7rocprim17ROCPRIM_400000_NS6detail17trampoline_kernelINS0_14default_configENS1_35radix_sort_onesweep_config_selectorIilEEZZNS1_29radix_sort_onesweep_iterationIS3_Lb0EPiS7_N6thrust23THRUST_200600_302600_NS10device_ptrIlEESB_jNS0_19identity_decomposerENS1_16block_id_wrapperIjLb0EEEEE10hipError_tT1_PNSt15iterator_traitsISG_E10value_typeET2_T3_PNSH_ISM_E10value_typeET4_T5_PSR_SS_PNS1_23onesweep_lookback_stateEbbT6_jjT7_P12ihipStream_tbENKUlT_T0_SG_SL_E_clIS7_S7_SB_SB_EEDaSZ_S10_SG_SL_EUlSZ_E_NS1_11comp_targetILNS1_3genE8ELNS1_11target_archE1030ELNS1_3gpuE2ELNS1_3repE0EEENS1_47radix_sort_onesweep_sort_config_static_selectorELNS0_4arch9wavefront6targetE1EEEvSG_: ; @_ZN7rocprim17ROCPRIM_400000_NS6detail17trampoline_kernelINS0_14default_configENS1_35radix_sort_onesweep_config_selectorIilEEZZNS1_29radix_sort_onesweep_iterationIS3_Lb0EPiS7_N6thrust23THRUST_200600_302600_NS10device_ptrIlEESB_jNS0_19identity_decomposerENS1_16block_id_wrapperIjLb0EEEEE10hipError_tT1_PNSt15iterator_traitsISG_E10value_typeET2_T3_PNSH_ISM_E10value_typeET4_T5_PSR_SS_PNS1_23onesweep_lookback_stateEbbT6_jjT7_P12ihipStream_tbENKUlT_T0_SG_SL_E_clIS7_S7_SB_SB_EEDaSZ_S10_SG_SL_EUlSZ_E_NS1_11comp_targetILNS1_3genE8ELNS1_11target_archE1030ELNS1_3gpuE2ELNS1_3repE0EEENS1_47radix_sort_onesweep_sort_config_static_selectorELNS0_4arch9wavefront6targetE1EEEvSG_
; %bb.0:
	.section	.rodata,"a",@progbits
	.p2align	6, 0x0
	.amdhsa_kernel _ZN7rocprim17ROCPRIM_400000_NS6detail17trampoline_kernelINS0_14default_configENS1_35radix_sort_onesweep_config_selectorIilEEZZNS1_29radix_sort_onesweep_iterationIS3_Lb0EPiS7_N6thrust23THRUST_200600_302600_NS10device_ptrIlEESB_jNS0_19identity_decomposerENS1_16block_id_wrapperIjLb0EEEEE10hipError_tT1_PNSt15iterator_traitsISG_E10value_typeET2_T3_PNSH_ISM_E10value_typeET4_T5_PSR_SS_PNS1_23onesweep_lookback_stateEbbT6_jjT7_P12ihipStream_tbENKUlT_T0_SG_SL_E_clIS7_S7_SB_SB_EEDaSZ_S10_SG_SL_EUlSZ_E_NS1_11comp_targetILNS1_3genE8ELNS1_11target_archE1030ELNS1_3gpuE2ELNS1_3repE0EEENS1_47radix_sort_onesweep_sort_config_static_selectorELNS0_4arch9wavefront6targetE1EEEvSG_
		.amdhsa_group_segment_fixed_size 0
		.amdhsa_private_segment_fixed_size 0
		.amdhsa_kernarg_size 88
		.amdhsa_user_sgpr_count 6
		.amdhsa_user_sgpr_private_segment_buffer 1
		.amdhsa_user_sgpr_dispatch_ptr 0
		.amdhsa_user_sgpr_queue_ptr 0
		.amdhsa_user_sgpr_kernarg_segment_ptr 1
		.amdhsa_user_sgpr_dispatch_id 0
		.amdhsa_user_sgpr_flat_scratch_init 0
		.amdhsa_user_sgpr_kernarg_preload_length 0
		.amdhsa_user_sgpr_kernarg_preload_offset 0
		.amdhsa_user_sgpr_private_segment_size 0
		.amdhsa_uses_dynamic_stack 0
		.amdhsa_system_sgpr_private_segment_wavefront_offset 0
		.amdhsa_system_sgpr_workgroup_id_x 1
		.amdhsa_system_sgpr_workgroup_id_y 0
		.amdhsa_system_sgpr_workgroup_id_z 0
		.amdhsa_system_sgpr_workgroup_info 0
		.amdhsa_system_vgpr_workitem_id 0
		.amdhsa_next_free_vgpr 1
		.amdhsa_next_free_sgpr 0
		.amdhsa_accum_offset 4
		.amdhsa_reserve_vcc 0
		.amdhsa_reserve_flat_scratch 0
		.amdhsa_float_round_mode_32 0
		.amdhsa_float_round_mode_16_64 0
		.amdhsa_float_denorm_mode_32 3
		.amdhsa_float_denorm_mode_16_64 3
		.amdhsa_dx10_clamp 1
		.amdhsa_ieee_mode 1
		.amdhsa_fp16_overflow 0
		.amdhsa_tg_split 0
		.amdhsa_exception_fp_ieee_invalid_op 0
		.amdhsa_exception_fp_denorm_src 0
		.amdhsa_exception_fp_ieee_div_zero 0
		.amdhsa_exception_fp_ieee_overflow 0
		.amdhsa_exception_fp_ieee_underflow 0
		.amdhsa_exception_fp_ieee_inexact 0
		.amdhsa_exception_int_div_zero 0
	.end_amdhsa_kernel
	.section	.text._ZN7rocprim17ROCPRIM_400000_NS6detail17trampoline_kernelINS0_14default_configENS1_35radix_sort_onesweep_config_selectorIilEEZZNS1_29radix_sort_onesweep_iterationIS3_Lb0EPiS7_N6thrust23THRUST_200600_302600_NS10device_ptrIlEESB_jNS0_19identity_decomposerENS1_16block_id_wrapperIjLb0EEEEE10hipError_tT1_PNSt15iterator_traitsISG_E10value_typeET2_T3_PNSH_ISM_E10value_typeET4_T5_PSR_SS_PNS1_23onesweep_lookback_stateEbbT6_jjT7_P12ihipStream_tbENKUlT_T0_SG_SL_E_clIS7_S7_SB_SB_EEDaSZ_S10_SG_SL_EUlSZ_E_NS1_11comp_targetILNS1_3genE8ELNS1_11target_archE1030ELNS1_3gpuE2ELNS1_3repE0EEENS1_47radix_sort_onesweep_sort_config_static_selectorELNS0_4arch9wavefront6targetE1EEEvSG_,"axG",@progbits,_ZN7rocprim17ROCPRIM_400000_NS6detail17trampoline_kernelINS0_14default_configENS1_35radix_sort_onesweep_config_selectorIilEEZZNS1_29radix_sort_onesweep_iterationIS3_Lb0EPiS7_N6thrust23THRUST_200600_302600_NS10device_ptrIlEESB_jNS0_19identity_decomposerENS1_16block_id_wrapperIjLb0EEEEE10hipError_tT1_PNSt15iterator_traitsISG_E10value_typeET2_T3_PNSH_ISM_E10value_typeET4_T5_PSR_SS_PNS1_23onesweep_lookback_stateEbbT6_jjT7_P12ihipStream_tbENKUlT_T0_SG_SL_E_clIS7_S7_SB_SB_EEDaSZ_S10_SG_SL_EUlSZ_E_NS1_11comp_targetILNS1_3genE8ELNS1_11target_archE1030ELNS1_3gpuE2ELNS1_3repE0EEENS1_47radix_sort_onesweep_sort_config_static_selectorELNS0_4arch9wavefront6targetE1EEEvSG_,comdat
.Lfunc_end901:
	.size	_ZN7rocprim17ROCPRIM_400000_NS6detail17trampoline_kernelINS0_14default_configENS1_35radix_sort_onesweep_config_selectorIilEEZZNS1_29radix_sort_onesweep_iterationIS3_Lb0EPiS7_N6thrust23THRUST_200600_302600_NS10device_ptrIlEESB_jNS0_19identity_decomposerENS1_16block_id_wrapperIjLb0EEEEE10hipError_tT1_PNSt15iterator_traitsISG_E10value_typeET2_T3_PNSH_ISM_E10value_typeET4_T5_PSR_SS_PNS1_23onesweep_lookback_stateEbbT6_jjT7_P12ihipStream_tbENKUlT_T0_SG_SL_E_clIS7_S7_SB_SB_EEDaSZ_S10_SG_SL_EUlSZ_E_NS1_11comp_targetILNS1_3genE8ELNS1_11target_archE1030ELNS1_3gpuE2ELNS1_3repE0EEENS1_47radix_sort_onesweep_sort_config_static_selectorELNS0_4arch9wavefront6targetE1EEEvSG_, .Lfunc_end901-_ZN7rocprim17ROCPRIM_400000_NS6detail17trampoline_kernelINS0_14default_configENS1_35radix_sort_onesweep_config_selectorIilEEZZNS1_29radix_sort_onesweep_iterationIS3_Lb0EPiS7_N6thrust23THRUST_200600_302600_NS10device_ptrIlEESB_jNS0_19identity_decomposerENS1_16block_id_wrapperIjLb0EEEEE10hipError_tT1_PNSt15iterator_traitsISG_E10value_typeET2_T3_PNSH_ISM_E10value_typeET4_T5_PSR_SS_PNS1_23onesweep_lookback_stateEbbT6_jjT7_P12ihipStream_tbENKUlT_T0_SG_SL_E_clIS7_S7_SB_SB_EEDaSZ_S10_SG_SL_EUlSZ_E_NS1_11comp_targetILNS1_3genE8ELNS1_11target_archE1030ELNS1_3gpuE2ELNS1_3repE0EEENS1_47radix_sort_onesweep_sort_config_static_selectorELNS0_4arch9wavefront6targetE1EEEvSG_
                                        ; -- End function
	.section	.AMDGPU.csdata,"",@progbits
; Kernel info:
; codeLenInByte = 0
; NumSgprs: 4
; NumVgprs: 0
; NumAgprs: 0
; TotalNumVgprs: 0
; ScratchSize: 0
; MemoryBound: 0
; FloatMode: 240
; IeeeMode: 1
; LDSByteSize: 0 bytes/workgroup (compile time only)
; SGPRBlocks: 0
; VGPRBlocks: 0
; NumSGPRsForWavesPerEU: 4
; NumVGPRsForWavesPerEU: 1
; AccumOffset: 4
; Occupancy: 8
; WaveLimiterHint : 0
; COMPUTE_PGM_RSRC2:SCRATCH_EN: 0
; COMPUTE_PGM_RSRC2:USER_SGPR: 6
; COMPUTE_PGM_RSRC2:TRAP_HANDLER: 0
; COMPUTE_PGM_RSRC2:TGID_X_EN: 1
; COMPUTE_PGM_RSRC2:TGID_Y_EN: 0
; COMPUTE_PGM_RSRC2:TGID_Z_EN: 0
; COMPUTE_PGM_RSRC2:TIDIG_COMP_CNT: 0
; COMPUTE_PGM_RSRC3_GFX90A:ACCUM_OFFSET: 0
; COMPUTE_PGM_RSRC3_GFX90A:TG_SPLIT: 0
	.section	.text._ZN7rocprim17ROCPRIM_400000_NS6detail17trampoline_kernelINS0_14default_configENS1_35radix_sort_onesweep_config_selectorIilEEZZNS1_29radix_sort_onesweep_iterationIS3_Lb0EPiS7_N6thrust23THRUST_200600_302600_NS10device_ptrIlEESB_jNS0_19identity_decomposerENS1_16block_id_wrapperIjLb0EEEEE10hipError_tT1_PNSt15iterator_traitsISG_E10value_typeET2_T3_PNSH_ISM_E10value_typeET4_T5_PSR_SS_PNS1_23onesweep_lookback_stateEbbT6_jjT7_P12ihipStream_tbENKUlT_T0_SG_SL_E_clIS7_S7_SB_PlEEDaSZ_S10_SG_SL_EUlSZ_E_NS1_11comp_targetILNS1_3genE0ELNS1_11target_archE4294967295ELNS1_3gpuE0ELNS1_3repE0EEENS1_47radix_sort_onesweep_sort_config_static_selectorELNS0_4arch9wavefront6targetE1EEEvSG_,"axG",@progbits,_ZN7rocprim17ROCPRIM_400000_NS6detail17trampoline_kernelINS0_14default_configENS1_35radix_sort_onesweep_config_selectorIilEEZZNS1_29radix_sort_onesweep_iterationIS3_Lb0EPiS7_N6thrust23THRUST_200600_302600_NS10device_ptrIlEESB_jNS0_19identity_decomposerENS1_16block_id_wrapperIjLb0EEEEE10hipError_tT1_PNSt15iterator_traitsISG_E10value_typeET2_T3_PNSH_ISM_E10value_typeET4_T5_PSR_SS_PNS1_23onesweep_lookback_stateEbbT6_jjT7_P12ihipStream_tbENKUlT_T0_SG_SL_E_clIS7_S7_SB_PlEEDaSZ_S10_SG_SL_EUlSZ_E_NS1_11comp_targetILNS1_3genE0ELNS1_11target_archE4294967295ELNS1_3gpuE0ELNS1_3repE0EEENS1_47radix_sort_onesweep_sort_config_static_selectorELNS0_4arch9wavefront6targetE1EEEvSG_,comdat
	.protected	_ZN7rocprim17ROCPRIM_400000_NS6detail17trampoline_kernelINS0_14default_configENS1_35radix_sort_onesweep_config_selectorIilEEZZNS1_29radix_sort_onesweep_iterationIS3_Lb0EPiS7_N6thrust23THRUST_200600_302600_NS10device_ptrIlEESB_jNS0_19identity_decomposerENS1_16block_id_wrapperIjLb0EEEEE10hipError_tT1_PNSt15iterator_traitsISG_E10value_typeET2_T3_PNSH_ISM_E10value_typeET4_T5_PSR_SS_PNS1_23onesweep_lookback_stateEbbT6_jjT7_P12ihipStream_tbENKUlT_T0_SG_SL_E_clIS7_S7_SB_PlEEDaSZ_S10_SG_SL_EUlSZ_E_NS1_11comp_targetILNS1_3genE0ELNS1_11target_archE4294967295ELNS1_3gpuE0ELNS1_3repE0EEENS1_47radix_sort_onesweep_sort_config_static_selectorELNS0_4arch9wavefront6targetE1EEEvSG_ ; -- Begin function _ZN7rocprim17ROCPRIM_400000_NS6detail17trampoline_kernelINS0_14default_configENS1_35radix_sort_onesweep_config_selectorIilEEZZNS1_29radix_sort_onesweep_iterationIS3_Lb0EPiS7_N6thrust23THRUST_200600_302600_NS10device_ptrIlEESB_jNS0_19identity_decomposerENS1_16block_id_wrapperIjLb0EEEEE10hipError_tT1_PNSt15iterator_traitsISG_E10value_typeET2_T3_PNSH_ISM_E10value_typeET4_T5_PSR_SS_PNS1_23onesweep_lookback_stateEbbT6_jjT7_P12ihipStream_tbENKUlT_T0_SG_SL_E_clIS7_S7_SB_PlEEDaSZ_S10_SG_SL_EUlSZ_E_NS1_11comp_targetILNS1_3genE0ELNS1_11target_archE4294967295ELNS1_3gpuE0ELNS1_3repE0EEENS1_47radix_sort_onesweep_sort_config_static_selectorELNS0_4arch9wavefront6targetE1EEEvSG_
	.globl	_ZN7rocprim17ROCPRIM_400000_NS6detail17trampoline_kernelINS0_14default_configENS1_35radix_sort_onesweep_config_selectorIilEEZZNS1_29radix_sort_onesweep_iterationIS3_Lb0EPiS7_N6thrust23THRUST_200600_302600_NS10device_ptrIlEESB_jNS0_19identity_decomposerENS1_16block_id_wrapperIjLb0EEEEE10hipError_tT1_PNSt15iterator_traitsISG_E10value_typeET2_T3_PNSH_ISM_E10value_typeET4_T5_PSR_SS_PNS1_23onesweep_lookback_stateEbbT6_jjT7_P12ihipStream_tbENKUlT_T0_SG_SL_E_clIS7_S7_SB_PlEEDaSZ_S10_SG_SL_EUlSZ_E_NS1_11comp_targetILNS1_3genE0ELNS1_11target_archE4294967295ELNS1_3gpuE0ELNS1_3repE0EEENS1_47radix_sort_onesweep_sort_config_static_selectorELNS0_4arch9wavefront6targetE1EEEvSG_
	.p2align	8
	.type	_ZN7rocprim17ROCPRIM_400000_NS6detail17trampoline_kernelINS0_14default_configENS1_35radix_sort_onesweep_config_selectorIilEEZZNS1_29radix_sort_onesweep_iterationIS3_Lb0EPiS7_N6thrust23THRUST_200600_302600_NS10device_ptrIlEESB_jNS0_19identity_decomposerENS1_16block_id_wrapperIjLb0EEEEE10hipError_tT1_PNSt15iterator_traitsISG_E10value_typeET2_T3_PNSH_ISM_E10value_typeET4_T5_PSR_SS_PNS1_23onesweep_lookback_stateEbbT6_jjT7_P12ihipStream_tbENKUlT_T0_SG_SL_E_clIS7_S7_SB_PlEEDaSZ_S10_SG_SL_EUlSZ_E_NS1_11comp_targetILNS1_3genE0ELNS1_11target_archE4294967295ELNS1_3gpuE0ELNS1_3repE0EEENS1_47radix_sort_onesweep_sort_config_static_selectorELNS0_4arch9wavefront6targetE1EEEvSG_,@function
_ZN7rocprim17ROCPRIM_400000_NS6detail17trampoline_kernelINS0_14default_configENS1_35radix_sort_onesweep_config_selectorIilEEZZNS1_29radix_sort_onesweep_iterationIS3_Lb0EPiS7_N6thrust23THRUST_200600_302600_NS10device_ptrIlEESB_jNS0_19identity_decomposerENS1_16block_id_wrapperIjLb0EEEEE10hipError_tT1_PNSt15iterator_traitsISG_E10value_typeET2_T3_PNSH_ISM_E10value_typeET4_T5_PSR_SS_PNS1_23onesweep_lookback_stateEbbT6_jjT7_P12ihipStream_tbENKUlT_T0_SG_SL_E_clIS7_S7_SB_PlEEDaSZ_S10_SG_SL_EUlSZ_E_NS1_11comp_targetILNS1_3genE0ELNS1_11target_archE4294967295ELNS1_3gpuE0ELNS1_3repE0EEENS1_47radix_sort_onesweep_sort_config_static_selectorELNS0_4arch9wavefront6targetE1EEEvSG_: ; @_ZN7rocprim17ROCPRIM_400000_NS6detail17trampoline_kernelINS0_14default_configENS1_35radix_sort_onesweep_config_selectorIilEEZZNS1_29radix_sort_onesweep_iterationIS3_Lb0EPiS7_N6thrust23THRUST_200600_302600_NS10device_ptrIlEESB_jNS0_19identity_decomposerENS1_16block_id_wrapperIjLb0EEEEE10hipError_tT1_PNSt15iterator_traitsISG_E10value_typeET2_T3_PNSH_ISM_E10value_typeET4_T5_PSR_SS_PNS1_23onesweep_lookback_stateEbbT6_jjT7_P12ihipStream_tbENKUlT_T0_SG_SL_E_clIS7_S7_SB_PlEEDaSZ_S10_SG_SL_EUlSZ_E_NS1_11comp_targetILNS1_3genE0ELNS1_11target_archE4294967295ELNS1_3gpuE0ELNS1_3repE0EEENS1_47radix_sort_onesweep_sort_config_static_selectorELNS0_4arch9wavefront6targetE1EEEvSG_
; %bb.0:
	.section	.rodata,"a",@progbits
	.p2align	6, 0x0
	.amdhsa_kernel _ZN7rocprim17ROCPRIM_400000_NS6detail17trampoline_kernelINS0_14default_configENS1_35radix_sort_onesweep_config_selectorIilEEZZNS1_29radix_sort_onesweep_iterationIS3_Lb0EPiS7_N6thrust23THRUST_200600_302600_NS10device_ptrIlEESB_jNS0_19identity_decomposerENS1_16block_id_wrapperIjLb0EEEEE10hipError_tT1_PNSt15iterator_traitsISG_E10value_typeET2_T3_PNSH_ISM_E10value_typeET4_T5_PSR_SS_PNS1_23onesweep_lookback_stateEbbT6_jjT7_P12ihipStream_tbENKUlT_T0_SG_SL_E_clIS7_S7_SB_PlEEDaSZ_S10_SG_SL_EUlSZ_E_NS1_11comp_targetILNS1_3genE0ELNS1_11target_archE4294967295ELNS1_3gpuE0ELNS1_3repE0EEENS1_47radix_sort_onesweep_sort_config_static_selectorELNS0_4arch9wavefront6targetE1EEEvSG_
		.amdhsa_group_segment_fixed_size 0
		.amdhsa_private_segment_fixed_size 0
		.amdhsa_kernarg_size 88
		.amdhsa_user_sgpr_count 6
		.amdhsa_user_sgpr_private_segment_buffer 1
		.amdhsa_user_sgpr_dispatch_ptr 0
		.amdhsa_user_sgpr_queue_ptr 0
		.amdhsa_user_sgpr_kernarg_segment_ptr 1
		.amdhsa_user_sgpr_dispatch_id 0
		.amdhsa_user_sgpr_flat_scratch_init 0
		.amdhsa_user_sgpr_kernarg_preload_length 0
		.amdhsa_user_sgpr_kernarg_preload_offset 0
		.amdhsa_user_sgpr_private_segment_size 0
		.amdhsa_uses_dynamic_stack 0
		.amdhsa_system_sgpr_private_segment_wavefront_offset 0
		.amdhsa_system_sgpr_workgroup_id_x 1
		.amdhsa_system_sgpr_workgroup_id_y 0
		.amdhsa_system_sgpr_workgroup_id_z 0
		.amdhsa_system_sgpr_workgroup_info 0
		.amdhsa_system_vgpr_workitem_id 0
		.amdhsa_next_free_vgpr 1
		.amdhsa_next_free_sgpr 0
		.amdhsa_accum_offset 4
		.amdhsa_reserve_vcc 0
		.amdhsa_reserve_flat_scratch 0
		.amdhsa_float_round_mode_32 0
		.amdhsa_float_round_mode_16_64 0
		.amdhsa_float_denorm_mode_32 3
		.amdhsa_float_denorm_mode_16_64 3
		.amdhsa_dx10_clamp 1
		.amdhsa_ieee_mode 1
		.amdhsa_fp16_overflow 0
		.amdhsa_tg_split 0
		.amdhsa_exception_fp_ieee_invalid_op 0
		.amdhsa_exception_fp_denorm_src 0
		.amdhsa_exception_fp_ieee_div_zero 0
		.amdhsa_exception_fp_ieee_overflow 0
		.amdhsa_exception_fp_ieee_underflow 0
		.amdhsa_exception_fp_ieee_inexact 0
		.amdhsa_exception_int_div_zero 0
	.end_amdhsa_kernel
	.section	.text._ZN7rocprim17ROCPRIM_400000_NS6detail17trampoline_kernelINS0_14default_configENS1_35radix_sort_onesweep_config_selectorIilEEZZNS1_29radix_sort_onesweep_iterationIS3_Lb0EPiS7_N6thrust23THRUST_200600_302600_NS10device_ptrIlEESB_jNS0_19identity_decomposerENS1_16block_id_wrapperIjLb0EEEEE10hipError_tT1_PNSt15iterator_traitsISG_E10value_typeET2_T3_PNSH_ISM_E10value_typeET4_T5_PSR_SS_PNS1_23onesweep_lookback_stateEbbT6_jjT7_P12ihipStream_tbENKUlT_T0_SG_SL_E_clIS7_S7_SB_PlEEDaSZ_S10_SG_SL_EUlSZ_E_NS1_11comp_targetILNS1_3genE0ELNS1_11target_archE4294967295ELNS1_3gpuE0ELNS1_3repE0EEENS1_47radix_sort_onesweep_sort_config_static_selectorELNS0_4arch9wavefront6targetE1EEEvSG_,"axG",@progbits,_ZN7rocprim17ROCPRIM_400000_NS6detail17trampoline_kernelINS0_14default_configENS1_35radix_sort_onesweep_config_selectorIilEEZZNS1_29radix_sort_onesweep_iterationIS3_Lb0EPiS7_N6thrust23THRUST_200600_302600_NS10device_ptrIlEESB_jNS0_19identity_decomposerENS1_16block_id_wrapperIjLb0EEEEE10hipError_tT1_PNSt15iterator_traitsISG_E10value_typeET2_T3_PNSH_ISM_E10value_typeET4_T5_PSR_SS_PNS1_23onesweep_lookback_stateEbbT6_jjT7_P12ihipStream_tbENKUlT_T0_SG_SL_E_clIS7_S7_SB_PlEEDaSZ_S10_SG_SL_EUlSZ_E_NS1_11comp_targetILNS1_3genE0ELNS1_11target_archE4294967295ELNS1_3gpuE0ELNS1_3repE0EEENS1_47radix_sort_onesweep_sort_config_static_selectorELNS0_4arch9wavefront6targetE1EEEvSG_,comdat
.Lfunc_end902:
	.size	_ZN7rocprim17ROCPRIM_400000_NS6detail17trampoline_kernelINS0_14default_configENS1_35radix_sort_onesweep_config_selectorIilEEZZNS1_29radix_sort_onesweep_iterationIS3_Lb0EPiS7_N6thrust23THRUST_200600_302600_NS10device_ptrIlEESB_jNS0_19identity_decomposerENS1_16block_id_wrapperIjLb0EEEEE10hipError_tT1_PNSt15iterator_traitsISG_E10value_typeET2_T3_PNSH_ISM_E10value_typeET4_T5_PSR_SS_PNS1_23onesweep_lookback_stateEbbT6_jjT7_P12ihipStream_tbENKUlT_T0_SG_SL_E_clIS7_S7_SB_PlEEDaSZ_S10_SG_SL_EUlSZ_E_NS1_11comp_targetILNS1_3genE0ELNS1_11target_archE4294967295ELNS1_3gpuE0ELNS1_3repE0EEENS1_47radix_sort_onesweep_sort_config_static_selectorELNS0_4arch9wavefront6targetE1EEEvSG_, .Lfunc_end902-_ZN7rocprim17ROCPRIM_400000_NS6detail17trampoline_kernelINS0_14default_configENS1_35radix_sort_onesweep_config_selectorIilEEZZNS1_29radix_sort_onesweep_iterationIS3_Lb0EPiS7_N6thrust23THRUST_200600_302600_NS10device_ptrIlEESB_jNS0_19identity_decomposerENS1_16block_id_wrapperIjLb0EEEEE10hipError_tT1_PNSt15iterator_traitsISG_E10value_typeET2_T3_PNSH_ISM_E10value_typeET4_T5_PSR_SS_PNS1_23onesweep_lookback_stateEbbT6_jjT7_P12ihipStream_tbENKUlT_T0_SG_SL_E_clIS7_S7_SB_PlEEDaSZ_S10_SG_SL_EUlSZ_E_NS1_11comp_targetILNS1_3genE0ELNS1_11target_archE4294967295ELNS1_3gpuE0ELNS1_3repE0EEENS1_47radix_sort_onesweep_sort_config_static_selectorELNS0_4arch9wavefront6targetE1EEEvSG_
                                        ; -- End function
	.section	.AMDGPU.csdata,"",@progbits
; Kernel info:
; codeLenInByte = 0
; NumSgprs: 4
; NumVgprs: 0
; NumAgprs: 0
; TotalNumVgprs: 0
; ScratchSize: 0
; MemoryBound: 0
; FloatMode: 240
; IeeeMode: 1
; LDSByteSize: 0 bytes/workgroup (compile time only)
; SGPRBlocks: 0
; VGPRBlocks: 0
; NumSGPRsForWavesPerEU: 4
; NumVGPRsForWavesPerEU: 1
; AccumOffset: 4
; Occupancy: 8
; WaveLimiterHint : 0
; COMPUTE_PGM_RSRC2:SCRATCH_EN: 0
; COMPUTE_PGM_RSRC2:USER_SGPR: 6
; COMPUTE_PGM_RSRC2:TRAP_HANDLER: 0
; COMPUTE_PGM_RSRC2:TGID_X_EN: 1
; COMPUTE_PGM_RSRC2:TGID_Y_EN: 0
; COMPUTE_PGM_RSRC2:TGID_Z_EN: 0
; COMPUTE_PGM_RSRC2:TIDIG_COMP_CNT: 0
; COMPUTE_PGM_RSRC3_GFX90A:ACCUM_OFFSET: 0
; COMPUTE_PGM_RSRC3_GFX90A:TG_SPLIT: 0
	.section	.text._ZN7rocprim17ROCPRIM_400000_NS6detail17trampoline_kernelINS0_14default_configENS1_35radix_sort_onesweep_config_selectorIilEEZZNS1_29radix_sort_onesweep_iterationIS3_Lb0EPiS7_N6thrust23THRUST_200600_302600_NS10device_ptrIlEESB_jNS0_19identity_decomposerENS1_16block_id_wrapperIjLb0EEEEE10hipError_tT1_PNSt15iterator_traitsISG_E10value_typeET2_T3_PNSH_ISM_E10value_typeET4_T5_PSR_SS_PNS1_23onesweep_lookback_stateEbbT6_jjT7_P12ihipStream_tbENKUlT_T0_SG_SL_E_clIS7_S7_SB_PlEEDaSZ_S10_SG_SL_EUlSZ_E_NS1_11comp_targetILNS1_3genE6ELNS1_11target_archE950ELNS1_3gpuE13ELNS1_3repE0EEENS1_47radix_sort_onesweep_sort_config_static_selectorELNS0_4arch9wavefront6targetE1EEEvSG_,"axG",@progbits,_ZN7rocprim17ROCPRIM_400000_NS6detail17trampoline_kernelINS0_14default_configENS1_35radix_sort_onesweep_config_selectorIilEEZZNS1_29radix_sort_onesweep_iterationIS3_Lb0EPiS7_N6thrust23THRUST_200600_302600_NS10device_ptrIlEESB_jNS0_19identity_decomposerENS1_16block_id_wrapperIjLb0EEEEE10hipError_tT1_PNSt15iterator_traitsISG_E10value_typeET2_T3_PNSH_ISM_E10value_typeET4_T5_PSR_SS_PNS1_23onesweep_lookback_stateEbbT6_jjT7_P12ihipStream_tbENKUlT_T0_SG_SL_E_clIS7_S7_SB_PlEEDaSZ_S10_SG_SL_EUlSZ_E_NS1_11comp_targetILNS1_3genE6ELNS1_11target_archE950ELNS1_3gpuE13ELNS1_3repE0EEENS1_47radix_sort_onesweep_sort_config_static_selectorELNS0_4arch9wavefront6targetE1EEEvSG_,comdat
	.protected	_ZN7rocprim17ROCPRIM_400000_NS6detail17trampoline_kernelINS0_14default_configENS1_35radix_sort_onesweep_config_selectorIilEEZZNS1_29radix_sort_onesweep_iterationIS3_Lb0EPiS7_N6thrust23THRUST_200600_302600_NS10device_ptrIlEESB_jNS0_19identity_decomposerENS1_16block_id_wrapperIjLb0EEEEE10hipError_tT1_PNSt15iterator_traitsISG_E10value_typeET2_T3_PNSH_ISM_E10value_typeET4_T5_PSR_SS_PNS1_23onesweep_lookback_stateEbbT6_jjT7_P12ihipStream_tbENKUlT_T0_SG_SL_E_clIS7_S7_SB_PlEEDaSZ_S10_SG_SL_EUlSZ_E_NS1_11comp_targetILNS1_3genE6ELNS1_11target_archE950ELNS1_3gpuE13ELNS1_3repE0EEENS1_47radix_sort_onesweep_sort_config_static_selectorELNS0_4arch9wavefront6targetE1EEEvSG_ ; -- Begin function _ZN7rocprim17ROCPRIM_400000_NS6detail17trampoline_kernelINS0_14default_configENS1_35radix_sort_onesweep_config_selectorIilEEZZNS1_29radix_sort_onesweep_iterationIS3_Lb0EPiS7_N6thrust23THRUST_200600_302600_NS10device_ptrIlEESB_jNS0_19identity_decomposerENS1_16block_id_wrapperIjLb0EEEEE10hipError_tT1_PNSt15iterator_traitsISG_E10value_typeET2_T3_PNSH_ISM_E10value_typeET4_T5_PSR_SS_PNS1_23onesweep_lookback_stateEbbT6_jjT7_P12ihipStream_tbENKUlT_T0_SG_SL_E_clIS7_S7_SB_PlEEDaSZ_S10_SG_SL_EUlSZ_E_NS1_11comp_targetILNS1_3genE6ELNS1_11target_archE950ELNS1_3gpuE13ELNS1_3repE0EEENS1_47radix_sort_onesweep_sort_config_static_selectorELNS0_4arch9wavefront6targetE1EEEvSG_
	.globl	_ZN7rocprim17ROCPRIM_400000_NS6detail17trampoline_kernelINS0_14default_configENS1_35radix_sort_onesweep_config_selectorIilEEZZNS1_29radix_sort_onesweep_iterationIS3_Lb0EPiS7_N6thrust23THRUST_200600_302600_NS10device_ptrIlEESB_jNS0_19identity_decomposerENS1_16block_id_wrapperIjLb0EEEEE10hipError_tT1_PNSt15iterator_traitsISG_E10value_typeET2_T3_PNSH_ISM_E10value_typeET4_T5_PSR_SS_PNS1_23onesweep_lookback_stateEbbT6_jjT7_P12ihipStream_tbENKUlT_T0_SG_SL_E_clIS7_S7_SB_PlEEDaSZ_S10_SG_SL_EUlSZ_E_NS1_11comp_targetILNS1_3genE6ELNS1_11target_archE950ELNS1_3gpuE13ELNS1_3repE0EEENS1_47radix_sort_onesweep_sort_config_static_selectorELNS0_4arch9wavefront6targetE1EEEvSG_
	.p2align	8
	.type	_ZN7rocprim17ROCPRIM_400000_NS6detail17trampoline_kernelINS0_14default_configENS1_35radix_sort_onesweep_config_selectorIilEEZZNS1_29radix_sort_onesweep_iterationIS3_Lb0EPiS7_N6thrust23THRUST_200600_302600_NS10device_ptrIlEESB_jNS0_19identity_decomposerENS1_16block_id_wrapperIjLb0EEEEE10hipError_tT1_PNSt15iterator_traitsISG_E10value_typeET2_T3_PNSH_ISM_E10value_typeET4_T5_PSR_SS_PNS1_23onesweep_lookback_stateEbbT6_jjT7_P12ihipStream_tbENKUlT_T0_SG_SL_E_clIS7_S7_SB_PlEEDaSZ_S10_SG_SL_EUlSZ_E_NS1_11comp_targetILNS1_3genE6ELNS1_11target_archE950ELNS1_3gpuE13ELNS1_3repE0EEENS1_47radix_sort_onesweep_sort_config_static_selectorELNS0_4arch9wavefront6targetE1EEEvSG_,@function
_ZN7rocprim17ROCPRIM_400000_NS6detail17trampoline_kernelINS0_14default_configENS1_35radix_sort_onesweep_config_selectorIilEEZZNS1_29radix_sort_onesweep_iterationIS3_Lb0EPiS7_N6thrust23THRUST_200600_302600_NS10device_ptrIlEESB_jNS0_19identity_decomposerENS1_16block_id_wrapperIjLb0EEEEE10hipError_tT1_PNSt15iterator_traitsISG_E10value_typeET2_T3_PNSH_ISM_E10value_typeET4_T5_PSR_SS_PNS1_23onesweep_lookback_stateEbbT6_jjT7_P12ihipStream_tbENKUlT_T0_SG_SL_E_clIS7_S7_SB_PlEEDaSZ_S10_SG_SL_EUlSZ_E_NS1_11comp_targetILNS1_3genE6ELNS1_11target_archE950ELNS1_3gpuE13ELNS1_3repE0EEENS1_47radix_sort_onesweep_sort_config_static_selectorELNS0_4arch9wavefront6targetE1EEEvSG_: ; @_ZN7rocprim17ROCPRIM_400000_NS6detail17trampoline_kernelINS0_14default_configENS1_35radix_sort_onesweep_config_selectorIilEEZZNS1_29radix_sort_onesweep_iterationIS3_Lb0EPiS7_N6thrust23THRUST_200600_302600_NS10device_ptrIlEESB_jNS0_19identity_decomposerENS1_16block_id_wrapperIjLb0EEEEE10hipError_tT1_PNSt15iterator_traitsISG_E10value_typeET2_T3_PNSH_ISM_E10value_typeET4_T5_PSR_SS_PNS1_23onesweep_lookback_stateEbbT6_jjT7_P12ihipStream_tbENKUlT_T0_SG_SL_E_clIS7_S7_SB_PlEEDaSZ_S10_SG_SL_EUlSZ_E_NS1_11comp_targetILNS1_3genE6ELNS1_11target_archE950ELNS1_3gpuE13ELNS1_3repE0EEENS1_47radix_sort_onesweep_sort_config_static_selectorELNS0_4arch9wavefront6targetE1EEEvSG_
; %bb.0:
	.section	.rodata,"a",@progbits
	.p2align	6, 0x0
	.amdhsa_kernel _ZN7rocprim17ROCPRIM_400000_NS6detail17trampoline_kernelINS0_14default_configENS1_35radix_sort_onesweep_config_selectorIilEEZZNS1_29radix_sort_onesweep_iterationIS3_Lb0EPiS7_N6thrust23THRUST_200600_302600_NS10device_ptrIlEESB_jNS0_19identity_decomposerENS1_16block_id_wrapperIjLb0EEEEE10hipError_tT1_PNSt15iterator_traitsISG_E10value_typeET2_T3_PNSH_ISM_E10value_typeET4_T5_PSR_SS_PNS1_23onesweep_lookback_stateEbbT6_jjT7_P12ihipStream_tbENKUlT_T0_SG_SL_E_clIS7_S7_SB_PlEEDaSZ_S10_SG_SL_EUlSZ_E_NS1_11comp_targetILNS1_3genE6ELNS1_11target_archE950ELNS1_3gpuE13ELNS1_3repE0EEENS1_47radix_sort_onesweep_sort_config_static_selectorELNS0_4arch9wavefront6targetE1EEEvSG_
		.amdhsa_group_segment_fixed_size 0
		.amdhsa_private_segment_fixed_size 0
		.amdhsa_kernarg_size 88
		.amdhsa_user_sgpr_count 6
		.amdhsa_user_sgpr_private_segment_buffer 1
		.amdhsa_user_sgpr_dispatch_ptr 0
		.amdhsa_user_sgpr_queue_ptr 0
		.amdhsa_user_sgpr_kernarg_segment_ptr 1
		.amdhsa_user_sgpr_dispatch_id 0
		.amdhsa_user_sgpr_flat_scratch_init 0
		.amdhsa_user_sgpr_kernarg_preload_length 0
		.amdhsa_user_sgpr_kernarg_preload_offset 0
		.amdhsa_user_sgpr_private_segment_size 0
		.amdhsa_uses_dynamic_stack 0
		.amdhsa_system_sgpr_private_segment_wavefront_offset 0
		.amdhsa_system_sgpr_workgroup_id_x 1
		.amdhsa_system_sgpr_workgroup_id_y 0
		.amdhsa_system_sgpr_workgroup_id_z 0
		.amdhsa_system_sgpr_workgroup_info 0
		.amdhsa_system_vgpr_workitem_id 0
		.amdhsa_next_free_vgpr 1
		.amdhsa_next_free_sgpr 0
		.amdhsa_accum_offset 4
		.amdhsa_reserve_vcc 0
		.amdhsa_reserve_flat_scratch 0
		.amdhsa_float_round_mode_32 0
		.amdhsa_float_round_mode_16_64 0
		.amdhsa_float_denorm_mode_32 3
		.amdhsa_float_denorm_mode_16_64 3
		.amdhsa_dx10_clamp 1
		.amdhsa_ieee_mode 1
		.amdhsa_fp16_overflow 0
		.amdhsa_tg_split 0
		.amdhsa_exception_fp_ieee_invalid_op 0
		.amdhsa_exception_fp_denorm_src 0
		.amdhsa_exception_fp_ieee_div_zero 0
		.amdhsa_exception_fp_ieee_overflow 0
		.amdhsa_exception_fp_ieee_underflow 0
		.amdhsa_exception_fp_ieee_inexact 0
		.amdhsa_exception_int_div_zero 0
	.end_amdhsa_kernel
	.section	.text._ZN7rocprim17ROCPRIM_400000_NS6detail17trampoline_kernelINS0_14default_configENS1_35radix_sort_onesweep_config_selectorIilEEZZNS1_29radix_sort_onesweep_iterationIS3_Lb0EPiS7_N6thrust23THRUST_200600_302600_NS10device_ptrIlEESB_jNS0_19identity_decomposerENS1_16block_id_wrapperIjLb0EEEEE10hipError_tT1_PNSt15iterator_traitsISG_E10value_typeET2_T3_PNSH_ISM_E10value_typeET4_T5_PSR_SS_PNS1_23onesweep_lookback_stateEbbT6_jjT7_P12ihipStream_tbENKUlT_T0_SG_SL_E_clIS7_S7_SB_PlEEDaSZ_S10_SG_SL_EUlSZ_E_NS1_11comp_targetILNS1_3genE6ELNS1_11target_archE950ELNS1_3gpuE13ELNS1_3repE0EEENS1_47radix_sort_onesweep_sort_config_static_selectorELNS0_4arch9wavefront6targetE1EEEvSG_,"axG",@progbits,_ZN7rocprim17ROCPRIM_400000_NS6detail17trampoline_kernelINS0_14default_configENS1_35radix_sort_onesweep_config_selectorIilEEZZNS1_29radix_sort_onesweep_iterationIS3_Lb0EPiS7_N6thrust23THRUST_200600_302600_NS10device_ptrIlEESB_jNS0_19identity_decomposerENS1_16block_id_wrapperIjLb0EEEEE10hipError_tT1_PNSt15iterator_traitsISG_E10value_typeET2_T3_PNSH_ISM_E10value_typeET4_T5_PSR_SS_PNS1_23onesweep_lookback_stateEbbT6_jjT7_P12ihipStream_tbENKUlT_T0_SG_SL_E_clIS7_S7_SB_PlEEDaSZ_S10_SG_SL_EUlSZ_E_NS1_11comp_targetILNS1_3genE6ELNS1_11target_archE950ELNS1_3gpuE13ELNS1_3repE0EEENS1_47radix_sort_onesweep_sort_config_static_selectorELNS0_4arch9wavefront6targetE1EEEvSG_,comdat
.Lfunc_end903:
	.size	_ZN7rocprim17ROCPRIM_400000_NS6detail17trampoline_kernelINS0_14default_configENS1_35radix_sort_onesweep_config_selectorIilEEZZNS1_29radix_sort_onesweep_iterationIS3_Lb0EPiS7_N6thrust23THRUST_200600_302600_NS10device_ptrIlEESB_jNS0_19identity_decomposerENS1_16block_id_wrapperIjLb0EEEEE10hipError_tT1_PNSt15iterator_traitsISG_E10value_typeET2_T3_PNSH_ISM_E10value_typeET4_T5_PSR_SS_PNS1_23onesweep_lookback_stateEbbT6_jjT7_P12ihipStream_tbENKUlT_T0_SG_SL_E_clIS7_S7_SB_PlEEDaSZ_S10_SG_SL_EUlSZ_E_NS1_11comp_targetILNS1_3genE6ELNS1_11target_archE950ELNS1_3gpuE13ELNS1_3repE0EEENS1_47radix_sort_onesweep_sort_config_static_selectorELNS0_4arch9wavefront6targetE1EEEvSG_, .Lfunc_end903-_ZN7rocprim17ROCPRIM_400000_NS6detail17trampoline_kernelINS0_14default_configENS1_35radix_sort_onesweep_config_selectorIilEEZZNS1_29radix_sort_onesweep_iterationIS3_Lb0EPiS7_N6thrust23THRUST_200600_302600_NS10device_ptrIlEESB_jNS0_19identity_decomposerENS1_16block_id_wrapperIjLb0EEEEE10hipError_tT1_PNSt15iterator_traitsISG_E10value_typeET2_T3_PNSH_ISM_E10value_typeET4_T5_PSR_SS_PNS1_23onesweep_lookback_stateEbbT6_jjT7_P12ihipStream_tbENKUlT_T0_SG_SL_E_clIS7_S7_SB_PlEEDaSZ_S10_SG_SL_EUlSZ_E_NS1_11comp_targetILNS1_3genE6ELNS1_11target_archE950ELNS1_3gpuE13ELNS1_3repE0EEENS1_47radix_sort_onesweep_sort_config_static_selectorELNS0_4arch9wavefront6targetE1EEEvSG_
                                        ; -- End function
	.section	.AMDGPU.csdata,"",@progbits
; Kernel info:
; codeLenInByte = 0
; NumSgprs: 4
; NumVgprs: 0
; NumAgprs: 0
; TotalNumVgprs: 0
; ScratchSize: 0
; MemoryBound: 0
; FloatMode: 240
; IeeeMode: 1
; LDSByteSize: 0 bytes/workgroup (compile time only)
; SGPRBlocks: 0
; VGPRBlocks: 0
; NumSGPRsForWavesPerEU: 4
; NumVGPRsForWavesPerEU: 1
; AccumOffset: 4
; Occupancy: 8
; WaveLimiterHint : 0
; COMPUTE_PGM_RSRC2:SCRATCH_EN: 0
; COMPUTE_PGM_RSRC2:USER_SGPR: 6
; COMPUTE_PGM_RSRC2:TRAP_HANDLER: 0
; COMPUTE_PGM_RSRC2:TGID_X_EN: 1
; COMPUTE_PGM_RSRC2:TGID_Y_EN: 0
; COMPUTE_PGM_RSRC2:TGID_Z_EN: 0
; COMPUTE_PGM_RSRC2:TIDIG_COMP_CNT: 0
; COMPUTE_PGM_RSRC3_GFX90A:ACCUM_OFFSET: 0
; COMPUTE_PGM_RSRC3_GFX90A:TG_SPLIT: 0
	.section	.text._ZN7rocprim17ROCPRIM_400000_NS6detail17trampoline_kernelINS0_14default_configENS1_35radix_sort_onesweep_config_selectorIilEEZZNS1_29radix_sort_onesweep_iterationIS3_Lb0EPiS7_N6thrust23THRUST_200600_302600_NS10device_ptrIlEESB_jNS0_19identity_decomposerENS1_16block_id_wrapperIjLb0EEEEE10hipError_tT1_PNSt15iterator_traitsISG_E10value_typeET2_T3_PNSH_ISM_E10value_typeET4_T5_PSR_SS_PNS1_23onesweep_lookback_stateEbbT6_jjT7_P12ihipStream_tbENKUlT_T0_SG_SL_E_clIS7_S7_SB_PlEEDaSZ_S10_SG_SL_EUlSZ_E_NS1_11comp_targetILNS1_3genE5ELNS1_11target_archE942ELNS1_3gpuE9ELNS1_3repE0EEENS1_47radix_sort_onesweep_sort_config_static_selectorELNS0_4arch9wavefront6targetE1EEEvSG_,"axG",@progbits,_ZN7rocprim17ROCPRIM_400000_NS6detail17trampoline_kernelINS0_14default_configENS1_35radix_sort_onesweep_config_selectorIilEEZZNS1_29radix_sort_onesweep_iterationIS3_Lb0EPiS7_N6thrust23THRUST_200600_302600_NS10device_ptrIlEESB_jNS0_19identity_decomposerENS1_16block_id_wrapperIjLb0EEEEE10hipError_tT1_PNSt15iterator_traitsISG_E10value_typeET2_T3_PNSH_ISM_E10value_typeET4_T5_PSR_SS_PNS1_23onesweep_lookback_stateEbbT6_jjT7_P12ihipStream_tbENKUlT_T0_SG_SL_E_clIS7_S7_SB_PlEEDaSZ_S10_SG_SL_EUlSZ_E_NS1_11comp_targetILNS1_3genE5ELNS1_11target_archE942ELNS1_3gpuE9ELNS1_3repE0EEENS1_47radix_sort_onesweep_sort_config_static_selectorELNS0_4arch9wavefront6targetE1EEEvSG_,comdat
	.protected	_ZN7rocprim17ROCPRIM_400000_NS6detail17trampoline_kernelINS0_14default_configENS1_35radix_sort_onesweep_config_selectorIilEEZZNS1_29radix_sort_onesweep_iterationIS3_Lb0EPiS7_N6thrust23THRUST_200600_302600_NS10device_ptrIlEESB_jNS0_19identity_decomposerENS1_16block_id_wrapperIjLb0EEEEE10hipError_tT1_PNSt15iterator_traitsISG_E10value_typeET2_T3_PNSH_ISM_E10value_typeET4_T5_PSR_SS_PNS1_23onesweep_lookback_stateEbbT6_jjT7_P12ihipStream_tbENKUlT_T0_SG_SL_E_clIS7_S7_SB_PlEEDaSZ_S10_SG_SL_EUlSZ_E_NS1_11comp_targetILNS1_3genE5ELNS1_11target_archE942ELNS1_3gpuE9ELNS1_3repE0EEENS1_47radix_sort_onesweep_sort_config_static_selectorELNS0_4arch9wavefront6targetE1EEEvSG_ ; -- Begin function _ZN7rocprim17ROCPRIM_400000_NS6detail17trampoline_kernelINS0_14default_configENS1_35radix_sort_onesweep_config_selectorIilEEZZNS1_29radix_sort_onesweep_iterationIS3_Lb0EPiS7_N6thrust23THRUST_200600_302600_NS10device_ptrIlEESB_jNS0_19identity_decomposerENS1_16block_id_wrapperIjLb0EEEEE10hipError_tT1_PNSt15iterator_traitsISG_E10value_typeET2_T3_PNSH_ISM_E10value_typeET4_T5_PSR_SS_PNS1_23onesweep_lookback_stateEbbT6_jjT7_P12ihipStream_tbENKUlT_T0_SG_SL_E_clIS7_S7_SB_PlEEDaSZ_S10_SG_SL_EUlSZ_E_NS1_11comp_targetILNS1_3genE5ELNS1_11target_archE942ELNS1_3gpuE9ELNS1_3repE0EEENS1_47radix_sort_onesweep_sort_config_static_selectorELNS0_4arch9wavefront6targetE1EEEvSG_
	.globl	_ZN7rocprim17ROCPRIM_400000_NS6detail17trampoline_kernelINS0_14default_configENS1_35radix_sort_onesweep_config_selectorIilEEZZNS1_29radix_sort_onesweep_iterationIS3_Lb0EPiS7_N6thrust23THRUST_200600_302600_NS10device_ptrIlEESB_jNS0_19identity_decomposerENS1_16block_id_wrapperIjLb0EEEEE10hipError_tT1_PNSt15iterator_traitsISG_E10value_typeET2_T3_PNSH_ISM_E10value_typeET4_T5_PSR_SS_PNS1_23onesweep_lookback_stateEbbT6_jjT7_P12ihipStream_tbENKUlT_T0_SG_SL_E_clIS7_S7_SB_PlEEDaSZ_S10_SG_SL_EUlSZ_E_NS1_11comp_targetILNS1_3genE5ELNS1_11target_archE942ELNS1_3gpuE9ELNS1_3repE0EEENS1_47radix_sort_onesweep_sort_config_static_selectorELNS0_4arch9wavefront6targetE1EEEvSG_
	.p2align	8
	.type	_ZN7rocprim17ROCPRIM_400000_NS6detail17trampoline_kernelINS0_14default_configENS1_35radix_sort_onesweep_config_selectorIilEEZZNS1_29radix_sort_onesweep_iterationIS3_Lb0EPiS7_N6thrust23THRUST_200600_302600_NS10device_ptrIlEESB_jNS0_19identity_decomposerENS1_16block_id_wrapperIjLb0EEEEE10hipError_tT1_PNSt15iterator_traitsISG_E10value_typeET2_T3_PNSH_ISM_E10value_typeET4_T5_PSR_SS_PNS1_23onesweep_lookback_stateEbbT6_jjT7_P12ihipStream_tbENKUlT_T0_SG_SL_E_clIS7_S7_SB_PlEEDaSZ_S10_SG_SL_EUlSZ_E_NS1_11comp_targetILNS1_3genE5ELNS1_11target_archE942ELNS1_3gpuE9ELNS1_3repE0EEENS1_47radix_sort_onesweep_sort_config_static_selectorELNS0_4arch9wavefront6targetE1EEEvSG_,@function
_ZN7rocprim17ROCPRIM_400000_NS6detail17trampoline_kernelINS0_14default_configENS1_35radix_sort_onesweep_config_selectorIilEEZZNS1_29radix_sort_onesweep_iterationIS3_Lb0EPiS7_N6thrust23THRUST_200600_302600_NS10device_ptrIlEESB_jNS0_19identity_decomposerENS1_16block_id_wrapperIjLb0EEEEE10hipError_tT1_PNSt15iterator_traitsISG_E10value_typeET2_T3_PNSH_ISM_E10value_typeET4_T5_PSR_SS_PNS1_23onesweep_lookback_stateEbbT6_jjT7_P12ihipStream_tbENKUlT_T0_SG_SL_E_clIS7_S7_SB_PlEEDaSZ_S10_SG_SL_EUlSZ_E_NS1_11comp_targetILNS1_3genE5ELNS1_11target_archE942ELNS1_3gpuE9ELNS1_3repE0EEENS1_47radix_sort_onesweep_sort_config_static_selectorELNS0_4arch9wavefront6targetE1EEEvSG_: ; @_ZN7rocprim17ROCPRIM_400000_NS6detail17trampoline_kernelINS0_14default_configENS1_35radix_sort_onesweep_config_selectorIilEEZZNS1_29radix_sort_onesweep_iterationIS3_Lb0EPiS7_N6thrust23THRUST_200600_302600_NS10device_ptrIlEESB_jNS0_19identity_decomposerENS1_16block_id_wrapperIjLb0EEEEE10hipError_tT1_PNSt15iterator_traitsISG_E10value_typeET2_T3_PNSH_ISM_E10value_typeET4_T5_PSR_SS_PNS1_23onesweep_lookback_stateEbbT6_jjT7_P12ihipStream_tbENKUlT_T0_SG_SL_E_clIS7_S7_SB_PlEEDaSZ_S10_SG_SL_EUlSZ_E_NS1_11comp_targetILNS1_3genE5ELNS1_11target_archE942ELNS1_3gpuE9ELNS1_3repE0EEENS1_47radix_sort_onesweep_sort_config_static_selectorELNS0_4arch9wavefront6targetE1EEEvSG_
; %bb.0:
	.section	.rodata,"a",@progbits
	.p2align	6, 0x0
	.amdhsa_kernel _ZN7rocprim17ROCPRIM_400000_NS6detail17trampoline_kernelINS0_14default_configENS1_35radix_sort_onesweep_config_selectorIilEEZZNS1_29radix_sort_onesweep_iterationIS3_Lb0EPiS7_N6thrust23THRUST_200600_302600_NS10device_ptrIlEESB_jNS0_19identity_decomposerENS1_16block_id_wrapperIjLb0EEEEE10hipError_tT1_PNSt15iterator_traitsISG_E10value_typeET2_T3_PNSH_ISM_E10value_typeET4_T5_PSR_SS_PNS1_23onesweep_lookback_stateEbbT6_jjT7_P12ihipStream_tbENKUlT_T0_SG_SL_E_clIS7_S7_SB_PlEEDaSZ_S10_SG_SL_EUlSZ_E_NS1_11comp_targetILNS1_3genE5ELNS1_11target_archE942ELNS1_3gpuE9ELNS1_3repE0EEENS1_47radix_sort_onesweep_sort_config_static_selectorELNS0_4arch9wavefront6targetE1EEEvSG_
		.amdhsa_group_segment_fixed_size 0
		.amdhsa_private_segment_fixed_size 0
		.amdhsa_kernarg_size 88
		.amdhsa_user_sgpr_count 6
		.amdhsa_user_sgpr_private_segment_buffer 1
		.amdhsa_user_sgpr_dispatch_ptr 0
		.amdhsa_user_sgpr_queue_ptr 0
		.amdhsa_user_sgpr_kernarg_segment_ptr 1
		.amdhsa_user_sgpr_dispatch_id 0
		.amdhsa_user_sgpr_flat_scratch_init 0
		.amdhsa_user_sgpr_kernarg_preload_length 0
		.amdhsa_user_sgpr_kernarg_preload_offset 0
		.amdhsa_user_sgpr_private_segment_size 0
		.amdhsa_uses_dynamic_stack 0
		.amdhsa_system_sgpr_private_segment_wavefront_offset 0
		.amdhsa_system_sgpr_workgroup_id_x 1
		.amdhsa_system_sgpr_workgroup_id_y 0
		.amdhsa_system_sgpr_workgroup_id_z 0
		.amdhsa_system_sgpr_workgroup_info 0
		.amdhsa_system_vgpr_workitem_id 0
		.amdhsa_next_free_vgpr 1
		.amdhsa_next_free_sgpr 0
		.amdhsa_accum_offset 4
		.amdhsa_reserve_vcc 0
		.amdhsa_reserve_flat_scratch 0
		.amdhsa_float_round_mode_32 0
		.amdhsa_float_round_mode_16_64 0
		.amdhsa_float_denorm_mode_32 3
		.amdhsa_float_denorm_mode_16_64 3
		.amdhsa_dx10_clamp 1
		.amdhsa_ieee_mode 1
		.amdhsa_fp16_overflow 0
		.amdhsa_tg_split 0
		.amdhsa_exception_fp_ieee_invalid_op 0
		.amdhsa_exception_fp_denorm_src 0
		.amdhsa_exception_fp_ieee_div_zero 0
		.amdhsa_exception_fp_ieee_overflow 0
		.amdhsa_exception_fp_ieee_underflow 0
		.amdhsa_exception_fp_ieee_inexact 0
		.amdhsa_exception_int_div_zero 0
	.end_amdhsa_kernel
	.section	.text._ZN7rocprim17ROCPRIM_400000_NS6detail17trampoline_kernelINS0_14default_configENS1_35radix_sort_onesweep_config_selectorIilEEZZNS1_29radix_sort_onesweep_iterationIS3_Lb0EPiS7_N6thrust23THRUST_200600_302600_NS10device_ptrIlEESB_jNS0_19identity_decomposerENS1_16block_id_wrapperIjLb0EEEEE10hipError_tT1_PNSt15iterator_traitsISG_E10value_typeET2_T3_PNSH_ISM_E10value_typeET4_T5_PSR_SS_PNS1_23onesweep_lookback_stateEbbT6_jjT7_P12ihipStream_tbENKUlT_T0_SG_SL_E_clIS7_S7_SB_PlEEDaSZ_S10_SG_SL_EUlSZ_E_NS1_11comp_targetILNS1_3genE5ELNS1_11target_archE942ELNS1_3gpuE9ELNS1_3repE0EEENS1_47radix_sort_onesweep_sort_config_static_selectorELNS0_4arch9wavefront6targetE1EEEvSG_,"axG",@progbits,_ZN7rocprim17ROCPRIM_400000_NS6detail17trampoline_kernelINS0_14default_configENS1_35radix_sort_onesweep_config_selectorIilEEZZNS1_29radix_sort_onesweep_iterationIS3_Lb0EPiS7_N6thrust23THRUST_200600_302600_NS10device_ptrIlEESB_jNS0_19identity_decomposerENS1_16block_id_wrapperIjLb0EEEEE10hipError_tT1_PNSt15iterator_traitsISG_E10value_typeET2_T3_PNSH_ISM_E10value_typeET4_T5_PSR_SS_PNS1_23onesweep_lookback_stateEbbT6_jjT7_P12ihipStream_tbENKUlT_T0_SG_SL_E_clIS7_S7_SB_PlEEDaSZ_S10_SG_SL_EUlSZ_E_NS1_11comp_targetILNS1_3genE5ELNS1_11target_archE942ELNS1_3gpuE9ELNS1_3repE0EEENS1_47radix_sort_onesweep_sort_config_static_selectorELNS0_4arch9wavefront6targetE1EEEvSG_,comdat
.Lfunc_end904:
	.size	_ZN7rocprim17ROCPRIM_400000_NS6detail17trampoline_kernelINS0_14default_configENS1_35radix_sort_onesweep_config_selectorIilEEZZNS1_29radix_sort_onesweep_iterationIS3_Lb0EPiS7_N6thrust23THRUST_200600_302600_NS10device_ptrIlEESB_jNS0_19identity_decomposerENS1_16block_id_wrapperIjLb0EEEEE10hipError_tT1_PNSt15iterator_traitsISG_E10value_typeET2_T3_PNSH_ISM_E10value_typeET4_T5_PSR_SS_PNS1_23onesweep_lookback_stateEbbT6_jjT7_P12ihipStream_tbENKUlT_T0_SG_SL_E_clIS7_S7_SB_PlEEDaSZ_S10_SG_SL_EUlSZ_E_NS1_11comp_targetILNS1_3genE5ELNS1_11target_archE942ELNS1_3gpuE9ELNS1_3repE0EEENS1_47radix_sort_onesweep_sort_config_static_selectorELNS0_4arch9wavefront6targetE1EEEvSG_, .Lfunc_end904-_ZN7rocprim17ROCPRIM_400000_NS6detail17trampoline_kernelINS0_14default_configENS1_35radix_sort_onesweep_config_selectorIilEEZZNS1_29radix_sort_onesweep_iterationIS3_Lb0EPiS7_N6thrust23THRUST_200600_302600_NS10device_ptrIlEESB_jNS0_19identity_decomposerENS1_16block_id_wrapperIjLb0EEEEE10hipError_tT1_PNSt15iterator_traitsISG_E10value_typeET2_T3_PNSH_ISM_E10value_typeET4_T5_PSR_SS_PNS1_23onesweep_lookback_stateEbbT6_jjT7_P12ihipStream_tbENKUlT_T0_SG_SL_E_clIS7_S7_SB_PlEEDaSZ_S10_SG_SL_EUlSZ_E_NS1_11comp_targetILNS1_3genE5ELNS1_11target_archE942ELNS1_3gpuE9ELNS1_3repE0EEENS1_47radix_sort_onesweep_sort_config_static_selectorELNS0_4arch9wavefront6targetE1EEEvSG_
                                        ; -- End function
	.section	.AMDGPU.csdata,"",@progbits
; Kernel info:
; codeLenInByte = 0
; NumSgprs: 4
; NumVgprs: 0
; NumAgprs: 0
; TotalNumVgprs: 0
; ScratchSize: 0
; MemoryBound: 0
; FloatMode: 240
; IeeeMode: 1
; LDSByteSize: 0 bytes/workgroup (compile time only)
; SGPRBlocks: 0
; VGPRBlocks: 0
; NumSGPRsForWavesPerEU: 4
; NumVGPRsForWavesPerEU: 1
; AccumOffset: 4
; Occupancy: 8
; WaveLimiterHint : 0
; COMPUTE_PGM_RSRC2:SCRATCH_EN: 0
; COMPUTE_PGM_RSRC2:USER_SGPR: 6
; COMPUTE_PGM_RSRC2:TRAP_HANDLER: 0
; COMPUTE_PGM_RSRC2:TGID_X_EN: 1
; COMPUTE_PGM_RSRC2:TGID_Y_EN: 0
; COMPUTE_PGM_RSRC2:TGID_Z_EN: 0
; COMPUTE_PGM_RSRC2:TIDIG_COMP_CNT: 0
; COMPUTE_PGM_RSRC3_GFX90A:ACCUM_OFFSET: 0
; COMPUTE_PGM_RSRC3_GFX90A:TG_SPLIT: 0
	.section	.text._ZN7rocprim17ROCPRIM_400000_NS6detail17trampoline_kernelINS0_14default_configENS1_35radix_sort_onesweep_config_selectorIilEEZZNS1_29radix_sort_onesweep_iterationIS3_Lb0EPiS7_N6thrust23THRUST_200600_302600_NS10device_ptrIlEESB_jNS0_19identity_decomposerENS1_16block_id_wrapperIjLb0EEEEE10hipError_tT1_PNSt15iterator_traitsISG_E10value_typeET2_T3_PNSH_ISM_E10value_typeET4_T5_PSR_SS_PNS1_23onesweep_lookback_stateEbbT6_jjT7_P12ihipStream_tbENKUlT_T0_SG_SL_E_clIS7_S7_SB_PlEEDaSZ_S10_SG_SL_EUlSZ_E_NS1_11comp_targetILNS1_3genE2ELNS1_11target_archE906ELNS1_3gpuE6ELNS1_3repE0EEENS1_47radix_sort_onesweep_sort_config_static_selectorELNS0_4arch9wavefront6targetE1EEEvSG_,"axG",@progbits,_ZN7rocprim17ROCPRIM_400000_NS6detail17trampoline_kernelINS0_14default_configENS1_35radix_sort_onesweep_config_selectorIilEEZZNS1_29radix_sort_onesweep_iterationIS3_Lb0EPiS7_N6thrust23THRUST_200600_302600_NS10device_ptrIlEESB_jNS0_19identity_decomposerENS1_16block_id_wrapperIjLb0EEEEE10hipError_tT1_PNSt15iterator_traitsISG_E10value_typeET2_T3_PNSH_ISM_E10value_typeET4_T5_PSR_SS_PNS1_23onesweep_lookback_stateEbbT6_jjT7_P12ihipStream_tbENKUlT_T0_SG_SL_E_clIS7_S7_SB_PlEEDaSZ_S10_SG_SL_EUlSZ_E_NS1_11comp_targetILNS1_3genE2ELNS1_11target_archE906ELNS1_3gpuE6ELNS1_3repE0EEENS1_47radix_sort_onesweep_sort_config_static_selectorELNS0_4arch9wavefront6targetE1EEEvSG_,comdat
	.protected	_ZN7rocprim17ROCPRIM_400000_NS6detail17trampoline_kernelINS0_14default_configENS1_35radix_sort_onesweep_config_selectorIilEEZZNS1_29radix_sort_onesweep_iterationIS3_Lb0EPiS7_N6thrust23THRUST_200600_302600_NS10device_ptrIlEESB_jNS0_19identity_decomposerENS1_16block_id_wrapperIjLb0EEEEE10hipError_tT1_PNSt15iterator_traitsISG_E10value_typeET2_T3_PNSH_ISM_E10value_typeET4_T5_PSR_SS_PNS1_23onesweep_lookback_stateEbbT6_jjT7_P12ihipStream_tbENKUlT_T0_SG_SL_E_clIS7_S7_SB_PlEEDaSZ_S10_SG_SL_EUlSZ_E_NS1_11comp_targetILNS1_3genE2ELNS1_11target_archE906ELNS1_3gpuE6ELNS1_3repE0EEENS1_47radix_sort_onesweep_sort_config_static_selectorELNS0_4arch9wavefront6targetE1EEEvSG_ ; -- Begin function _ZN7rocprim17ROCPRIM_400000_NS6detail17trampoline_kernelINS0_14default_configENS1_35radix_sort_onesweep_config_selectorIilEEZZNS1_29radix_sort_onesweep_iterationIS3_Lb0EPiS7_N6thrust23THRUST_200600_302600_NS10device_ptrIlEESB_jNS0_19identity_decomposerENS1_16block_id_wrapperIjLb0EEEEE10hipError_tT1_PNSt15iterator_traitsISG_E10value_typeET2_T3_PNSH_ISM_E10value_typeET4_T5_PSR_SS_PNS1_23onesweep_lookback_stateEbbT6_jjT7_P12ihipStream_tbENKUlT_T0_SG_SL_E_clIS7_S7_SB_PlEEDaSZ_S10_SG_SL_EUlSZ_E_NS1_11comp_targetILNS1_3genE2ELNS1_11target_archE906ELNS1_3gpuE6ELNS1_3repE0EEENS1_47radix_sort_onesweep_sort_config_static_selectorELNS0_4arch9wavefront6targetE1EEEvSG_
	.globl	_ZN7rocprim17ROCPRIM_400000_NS6detail17trampoline_kernelINS0_14default_configENS1_35radix_sort_onesweep_config_selectorIilEEZZNS1_29radix_sort_onesweep_iterationIS3_Lb0EPiS7_N6thrust23THRUST_200600_302600_NS10device_ptrIlEESB_jNS0_19identity_decomposerENS1_16block_id_wrapperIjLb0EEEEE10hipError_tT1_PNSt15iterator_traitsISG_E10value_typeET2_T3_PNSH_ISM_E10value_typeET4_T5_PSR_SS_PNS1_23onesweep_lookback_stateEbbT6_jjT7_P12ihipStream_tbENKUlT_T0_SG_SL_E_clIS7_S7_SB_PlEEDaSZ_S10_SG_SL_EUlSZ_E_NS1_11comp_targetILNS1_3genE2ELNS1_11target_archE906ELNS1_3gpuE6ELNS1_3repE0EEENS1_47radix_sort_onesweep_sort_config_static_selectorELNS0_4arch9wavefront6targetE1EEEvSG_
	.p2align	8
	.type	_ZN7rocprim17ROCPRIM_400000_NS6detail17trampoline_kernelINS0_14default_configENS1_35radix_sort_onesweep_config_selectorIilEEZZNS1_29radix_sort_onesweep_iterationIS3_Lb0EPiS7_N6thrust23THRUST_200600_302600_NS10device_ptrIlEESB_jNS0_19identity_decomposerENS1_16block_id_wrapperIjLb0EEEEE10hipError_tT1_PNSt15iterator_traitsISG_E10value_typeET2_T3_PNSH_ISM_E10value_typeET4_T5_PSR_SS_PNS1_23onesweep_lookback_stateEbbT6_jjT7_P12ihipStream_tbENKUlT_T0_SG_SL_E_clIS7_S7_SB_PlEEDaSZ_S10_SG_SL_EUlSZ_E_NS1_11comp_targetILNS1_3genE2ELNS1_11target_archE906ELNS1_3gpuE6ELNS1_3repE0EEENS1_47radix_sort_onesweep_sort_config_static_selectorELNS0_4arch9wavefront6targetE1EEEvSG_,@function
_ZN7rocprim17ROCPRIM_400000_NS6detail17trampoline_kernelINS0_14default_configENS1_35radix_sort_onesweep_config_selectorIilEEZZNS1_29radix_sort_onesweep_iterationIS3_Lb0EPiS7_N6thrust23THRUST_200600_302600_NS10device_ptrIlEESB_jNS0_19identity_decomposerENS1_16block_id_wrapperIjLb0EEEEE10hipError_tT1_PNSt15iterator_traitsISG_E10value_typeET2_T3_PNSH_ISM_E10value_typeET4_T5_PSR_SS_PNS1_23onesweep_lookback_stateEbbT6_jjT7_P12ihipStream_tbENKUlT_T0_SG_SL_E_clIS7_S7_SB_PlEEDaSZ_S10_SG_SL_EUlSZ_E_NS1_11comp_targetILNS1_3genE2ELNS1_11target_archE906ELNS1_3gpuE6ELNS1_3repE0EEENS1_47radix_sort_onesweep_sort_config_static_selectorELNS0_4arch9wavefront6targetE1EEEvSG_: ; @_ZN7rocprim17ROCPRIM_400000_NS6detail17trampoline_kernelINS0_14default_configENS1_35radix_sort_onesweep_config_selectorIilEEZZNS1_29radix_sort_onesweep_iterationIS3_Lb0EPiS7_N6thrust23THRUST_200600_302600_NS10device_ptrIlEESB_jNS0_19identity_decomposerENS1_16block_id_wrapperIjLb0EEEEE10hipError_tT1_PNSt15iterator_traitsISG_E10value_typeET2_T3_PNSH_ISM_E10value_typeET4_T5_PSR_SS_PNS1_23onesweep_lookback_stateEbbT6_jjT7_P12ihipStream_tbENKUlT_T0_SG_SL_E_clIS7_S7_SB_PlEEDaSZ_S10_SG_SL_EUlSZ_E_NS1_11comp_targetILNS1_3genE2ELNS1_11target_archE906ELNS1_3gpuE6ELNS1_3repE0EEENS1_47radix_sort_onesweep_sort_config_static_selectorELNS0_4arch9wavefront6targetE1EEEvSG_
; %bb.0:
	.section	.rodata,"a",@progbits
	.p2align	6, 0x0
	.amdhsa_kernel _ZN7rocprim17ROCPRIM_400000_NS6detail17trampoline_kernelINS0_14default_configENS1_35radix_sort_onesweep_config_selectorIilEEZZNS1_29radix_sort_onesweep_iterationIS3_Lb0EPiS7_N6thrust23THRUST_200600_302600_NS10device_ptrIlEESB_jNS0_19identity_decomposerENS1_16block_id_wrapperIjLb0EEEEE10hipError_tT1_PNSt15iterator_traitsISG_E10value_typeET2_T3_PNSH_ISM_E10value_typeET4_T5_PSR_SS_PNS1_23onesweep_lookback_stateEbbT6_jjT7_P12ihipStream_tbENKUlT_T0_SG_SL_E_clIS7_S7_SB_PlEEDaSZ_S10_SG_SL_EUlSZ_E_NS1_11comp_targetILNS1_3genE2ELNS1_11target_archE906ELNS1_3gpuE6ELNS1_3repE0EEENS1_47radix_sort_onesweep_sort_config_static_selectorELNS0_4arch9wavefront6targetE1EEEvSG_
		.amdhsa_group_segment_fixed_size 0
		.amdhsa_private_segment_fixed_size 0
		.amdhsa_kernarg_size 88
		.amdhsa_user_sgpr_count 6
		.amdhsa_user_sgpr_private_segment_buffer 1
		.amdhsa_user_sgpr_dispatch_ptr 0
		.amdhsa_user_sgpr_queue_ptr 0
		.amdhsa_user_sgpr_kernarg_segment_ptr 1
		.amdhsa_user_sgpr_dispatch_id 0
		.amdhsa_user_sgpr_flat_scratch_init 0
		.amdhsa_user_sgpr_kernarg_preload_length 0
		.amdhsa_user_sgpr_kernarg_preload_offset 0
		.amdhsa_user_sgpr_private_segment_size 0
		.amdhsa_uses_dynamic_stack 0
		.amdhsa_system_sgpr_private_segment_wavefront_offset 0
		.amdhsa_system_sgpr_workgroup_id_x 1
		.amdhsa_system_sgpr_workgroup_id_y 0
		.amdhsa_system_sgpr_workgroup_id_z 0
		.amdhsa_system_sgpr_workgroup_info 0
		.amdhsa_system_vgpr_workitem_id 0
		.amdhsa_next_free_vgpr 1
		.amdhsa_next_free_sgpr 0
		.amdhsa_accum_offset 4
		.amdhsa_reserve_vcc 0
		.amdhsa_reserve_flat_scratch 0
		.amdhsa_float_round_mode_32 0
		.amdhsa_float_round_mode_16_64 0
		.amdhsa_float_denorm_mode_32 3
		.amdhsa_float_denorm_mode_16_64 3
		.amdhsa_dx10_clamp 1
		.amdhsa_ieee_mode 1
		.amdhsa_fp16_overflow 0
		.amdhsa_tg_split 0
		.amdhsa_exception_fp_ieee_invalid_op 0
		.amdhsa_exception_fp_denorm_src 0
		.amdhsa_exception_fp_ieee_div_zero 0
		.amdhsa_exception_fp_ieee_overflow 0
		.amdhsa_exception_fp_ieee_underflow 0
		.amdhsa_exception_fp_ieee_inexact 0
		.amdhsa_exception_int_div_zero 0
	.end_amdhsa_kernel
	.section	.text._ZN7rocprim17ROCPRIM_400000_NS6detail17trampoline_kernelINS0_14default_configENS1_35radix_sort_onesweep_config_selectorIilEEZZNS1_29radix_sort_onesweep_iterationIS3_Lb0EPiS7_N6thrust23THRUST_200600_302600_NS10device_ptrIlEESB_jNS0_19identity_decomposerENS1_16block_id_wrapperIjLb0EEEEE10hipError_tT1_PNSt15iterator_traitsISG_E10value_typeET2_T3_PNSH_ISM_E10value_typeET4_T5_PSR_SS_PNS1_23onesweep_lookback_stateEbbT6_jjT7_P12ihipStream_tbENKUlT_T0_SG_SL_E_clIS7_S7_SB_PlEEDaSZ_S10_SG_SL_EUlSZ_E_NS1_11comp_targetILNS1_3genE2ELNS1_11target_archE906ELNS1_3gpuE6ELNS1_3repE0EEENS1_47radix_sort_onesweep_sort_config_static_selectorELNS0_4arch9wavefront6targetE1EEEvSG_,"axG",@progbits,_ZN7rocprim17ROCPRIM_400000_NS6detail17trampoline_kernelINS0_14default_configENS1_35radix_sort_onesweep_config_selectorIilEEZZNS1_29radix_sort_onesweep_iterationIS3_Lb0EPiS7_N6thrust23THRUST_200600_302600_NS10device_ptrIlEESB_jNS0_19identity_decomposerENS1_16block_id_wrapperIjLb0EEEEE10hipError_tT1_PNSt15iterator_traitsISG_E10value_typeET2_T3_PNSH_ISM_E10value_typeET4_T5_PSR_SS_PNS1_23onesweep_lookback_stateEbbT6_jjT7_P12ihipStream_tbENKUlT_T0_SG_SL_E_clIS7_S7_SB_PlEEDaSZ_S10_SG_SL_EUlSZ_E_NS1_11comp_targetILNS1_3genE2ELNS1_11target_archE906ELNS1_3gpuE6ELNS1_3repE0EEENS1_47radix_sort_onesweep_sort_config_static_selectorELNS0_4arch9wavefront6targetE1EEEvSG_,comdat
.Lfunc_end905:
	.size	_ZN7rocprim17ROCPRIM_400000_NS6detail17trampoline_kernelINS0_14default_configENS1_35radix_sort_onesweep_config_selectorIilEEZZNS1_29radix_sort_onesweep_iterationIS3_Lb0EPiS7_N6thrust23THRUST_200600_302600_NS10device_ptrIlEESB_jNS0_19identity_decomposerENS1_16block_id_wrapperIjLb0EEEEE10hipError_tT1_PNSt15iterator_traitsISG_E10value_typeET2_T3_PNSH_ISM_E10value_typeET4_T5_PSR_SS_PNS1_23onesweep_lookback_stateEbbT6_jjT7_P12ihipStream_tbENKUlT_T0_SG_SL_E_clIS7_S7_SB_PlEEDaSZ_S10_SG_SL_EUlSZ_E_NS1_11comp_targetILNS1_3genE2ELNS1_11target_archE906ELNS1_3gpuE6ELNS1_3repE0EEENS1_47radix_sort_onesweep_sort_config_static_selectorELNS0_4arch9wavefront6targetE1EEEvSG_, .Lfunc_end905-_ZN7rocprim17ROCPRIM_400000_NS6detail17trampoline_kernelINS0_14default_configENS1_35radix_sort_onesweep_config_selectorIilEEZZNS1_29radix_sort_onesweep_iterationIS3_Lb0EPiS7_N6thrust23THRUST_200600_302600_NS10device_ptrIlEESB_jNS0_19identity_decomposerENS1_16block_id_wrapperIjLb0EEEEE10hipError_tT1_PNSt15iterator_traitsISG_E10value_typeET2_T3_PNSH_ISM_E10value_typeET4_T5_PSR_SS_PNS1_23onesweep_lookback_stateEbbT6_jjT7_P12ihipStream_tbENKUlT_T0_SG_SL_E_clIS7_S7_SB_PlEEDaSZ_S10_SG_SL_EUlSZ_E_NS1_11comp_targetILNS1_3genE2ELNS1_11target_archE906ELNS1_3gpuE6ELNS1_3repE0EEENS1_47radix_sort_onesweep_sort_config_static_selectorELNS0_4arch9wavefront6targetE1EEEvSG_
                                        ; -- End function
	.section	.AMDGPU.csdata,"",@progbits
; Kernel info:
; codeLenInByte = 0
; NumSgprs: 4
; NumVgprs: 0
; NumAgprs: 0
; TotalNumVgprs: 0
; ScratchSize: 0
; MemoryBound: 0
; FloatMode: 240
; IeeeMode: 1
; LDSByteSize: 0 bytes/workgroup (compile time only)
; SGPRBlocks: 0
; VGPRBlocks: 0
; NumSGPRsForWavesPerEU: 4
; NumVGPRsForWavesPerEU: 1
; AccumOffset: 4
; Occupancy: 8
; WaveLimiterHint : 0
; COMPUTE_PGM_RSRC2:SCRATCH_EN: 0
; COMPUTE_PGM_RSRC2:USER_SGPR: 6
; COMPUTE_PGM_RSRC2:TRAP_HANDLER: 0
; COMPUTE_PGM_RSRC2:TGID_X_EN: 1
; COMPUTE_PGM_RSRC2:TGID_Y_EN: 0
; COMPUTE_PGM_RSRC2:TGID_Z_EN: 0
; COMPUTE_PGM_RSRC2:TIDIG_COMP_CNT: 0
; COMPUTE_PGM_RSRC3_GFX90A:ACCUM_OFFSET: 0
; COMPUTE_PGM_RSRC3_GFX90A:TG_SPLIT: 0
	.section	.text._ZN7rocprim17ROCPRIM_400000_NS6detail17trampoline_kernelINS0_14default_configENS1_35radix_sort_onesweep_config_selectorIilEEZZNS1_29radix_sort_onesweep_iterationIS3_Lb0EPiS7_N6thrust23THRUST_200600_302600_NS10device_ptrIlEESB_jNS0_19identity_decomposerENS1_16block_id_wrapperIjLb0EEEEE10hipError_tT1_PNSt15iterator_traitsISG_E10value_typeET2_T3_PNSH_ISM_E10value_typeET4_T5_PSR_SS_PNS1_23onesweep_lookback_stateEbbT6_jjT7_P12ihipStream_tbENKUlT_T0_SG_SL_E_clIS7_S7_SB_PlEEDaSZ_S10_SG_SL_EUlSZ_E_NS1_11comp_targetILNS1_3genE4ELNS1_11target_archE910ELNS1_3gpuE8ELNS1_3repE0EEENS1_47radix_sort_onesweep_sort_config_static_selectorELNS0_4arch9wavefront6targetE1EEEvSG_,"axG",@progbits,_ZN7rocprim17ROCPRIM_400000_NS6detail17trampoline_kernelINS0_14default_configENS1_35radix_sort_onesweep_config_selectorIilEEZZNS1_29radix_sort_onesweep_iterationIS3_Lb0EPiS7_N6thrust23THRUST_200600_302600_NS10device_ptrIlEESB_jNS0_19identity_decomposerENS1_16block_id_wrapperIjLb0EEEEE10hipError_tT1_PNSt15iterator_traitsISG_E10value_typeET2_T3_PNSH_ISM_E10value_typeET4_T5_PSR_SS_PNS1_23onesweep_lookback_stateEbbT6_jjT7_P12ihipStream_tbENKUlT_T0_SG_SL_E_clIS7_S7_SB_PlEEDaSZ_S10_SG_SL_EUlSZ_E_NS1_11comp_targetILNS1_3genE4ELNS1_11target_archE910ELNS1_3gpuE8ELNS1_3repE0EEENS1_47radix_sort_onesweep_sort_config_static_selectorELNS0_4arch9wavefront6targetE1EEEvSG_,comdat
	.protected	_ZN7rocprim17ROCPRIM_400000_NS6detail17trampoline_kernelINS0_14default_configENS1_35radix_sort_onesweep_config_selectorIilEEZZNS1_29radix_sort_onesweep_iterationIS3_Lb0EPiS7_N6thrust23THRUST_200600_302600_NS10device_ptrIlEESB_jNS0_19identity_decomposerENS1_16block_id_wrapperIjLb0EEEEE10hipError_tT1_PNSt15iterator_traitsISG_E10value_typeET2_T3_PNSH_ISM_E10value_typeET4_T5_PSR_SS_PNS1_23onesweep_lookback_stateEbbT6_jjT7_P12ihipStream_tbENKUlT_T0_SG_SL_E_clIS7_S7_SB_PlEEDaSZ_S10_SG_SL_EUlSZ_E_NS1_11comp_targetILNS1_3genE4ELNS1_11target_archE910ELNS1_3gpuE8ELNS1_3repE0EEENS1_47radix_sort_onesweep_sort_config_static_selectorELNS0_4arch9wavefront6targetE1EEEvSG_ ; -- Begin function _ZN7rocprim17ROCPRIM_400000_NS6detail17trampoline_kernelINS0_14default_configENS1_35radix_sort_onesweep_config_selectorIilEEZZNS1_29radix_sort_onesweep_iterationIS3_Lb0EPiS7_N6thrust23THRUST_200600_302600_NS10device_ptrIlEESB_jNS0_19identity_decomposerENS1_16block_id_wrapperIjLb0EEEEE10hipError_tT1_PNSt15iterator_traitsISG_E10value_typeET2_T3_PNSH_ISM_E10value_typeET4_T5_PSR_SS_PNS1_23onesweep_lookback_stateEbbT6_jjT7_P12ihipStream_tbENKUlT_T0_SG_SL_E_clIS7_S7_SB_PlEEDaSZ_S10_SG_SL_EUlSZ_E_NS1_11comp_targetILNS1_3genE4ELNS1_11target_archE910ELNS1_3gpuE8ELNS1_3repE0EEENS1_47radix_sort_onesweep_sort_config_static_selectorELNS0_4arch9wavefront6targetE1EEEvSG_
	.globl	_ZN7rocprim17ROCPRIM_400000_NS6detail17trampoline_kernelINS0_14default_configENS1_35radix_sort_onesweep_config_selectorIilEEZZNS1_29radix_sort_onesweep_iterationIS3_Lb0EPiS7_N6thrust23THRUST_200600_302600_NS10device_ptrIlEESB_jNS0_19identity_decomposerENS1_16block_id_wrapperIjLb0EEEEE10hipError_tT1_PNSt15iterator_traitsISG_E10value_typeET2_T3_PNSH_ISM_E10value_typeET4_T5_PSR_SS_PNS1_23onesweep_lookback_stateEbbT6_jjT7_P12ihipStream_tbENKUlT_T0_SG_SL_E_clIS7_S7_SB_PlEEDaSZ_S10_SG_SL_EUlSZ_E_NS1_11comp_targetILNS1_3genE4ELNS1_11target_archE910ELNS1_3gpuE8ELNS1_3repE0EEENS1_47radix_sort_onesweep_sort_config_static_selectorELNS0_4arch9wavefront6targetE1EEEvSG_
	.p2align	8
	.type	_ZN7rocprim17ROCPRIM_400000_NS6detail17trampoline_kernelINS0_14default_configENS1_35radix_sort_onesweep_config_selectorIilEEZZNS1_29radix_sort_onesweep_iterationIS3_Lb0EPiS7_N6thrust23THRUST_200600_302600_NS10device_ptrIlEESB_jNS0_19identity_decomposerENS1_16block_id_wrapperIjLb0EEEEE10hipError_tT1_PNSt15iterator_traitsISG_E10value_typeET2_T3_PNSH_ISM_E10value_typeET4_T5_PSR_SS_PNS1_23onesweep_lookback_stateEbbT6_jjT7_P12ihipStream_tbENKUlT_T0_SG_SL_E_clIS7_S7_SB_PlEEDaSZ_S10_SG_SL_EUlSZ_E_NS1_11comp_targetILNS1_3genE4ELNS1_11target_archE910ELNS1_3gpuE8ELNS1_3repE0EEENS1_47radix_sort_onesweep_sort_config_static_selectorELNS0_4arch9wavefront6targetE1EEEvSG_,@function
_ZN7rocprim17ROCPRIM_400000_NS6detail17trampoline_kernelINS0_14default_configENS1_35radix_sort_onesweep_config_selectorIilEEZZNS1_29radix_sort_onesweep_iterationIS3_Lb0EPiS7_N6thrust23THRUST_200600_302600_NS10device_ptrIlEESB_jNS0_19identity_decomposerENS1_16block_id_wrapperIjLb0EEEEE10hipError_tT1_PNSt15iterator_traitsISG_E10value_typeET2_T3_PNSH_ISM_E10value_typeET4_T5_PSR_SS_PNS1_23onesweep_lookback_stateEbbT6_jjT7_P12ihipStream_tbENKUlT_T0_SG_SL_E_clIS7_S7_SB_PlEEDaSZ_S10_SG_SL_EUlSZ_E_NS1_11comp_targetILNS1_3genE4ELNS1_11target_archE910ELNS1_3gpuE8ELNS1_3repE0EEENS1_47radix_sort_onesweep_sort_config_static_selectorELNS0_4arch9wavefront6targetE1EEEvSG_: ; @_ZN7rocprim17ROCPRIM_400000_NS6detail17trampoline_kernelINS0_14default_configENS1_35radix_sort_onesweep_config_selectorIilEEZZNS1_29radix_sort_onesweep_iterationIS3_Lb0EPiS7_N6thrust23THRUST_200600_302600_NS10device_ptrIlEESB_jNS0_19identity_decomposerENS1_16block_id_wrapperIjLb0EEEEE10hipError_tT1_PNSt15iterator_traitsISG_E10value_typeET2_T3_PNSH_ISM_E10value_typeET4_T5_PSR_SS_PNS1_23onesweep_lookback_stateEbbT6_jjT7_P12ihipStream_tbENKUlT_T0_SG_SL_E_clIS7_S7_SB_PlEEDaSZ_S10_SG_SL_EUlSZ_E_NS1_11comp_targetILNS1_3genE4ELNS1_11target_archE910ELNS1_3gpuE8ELNS1_3repE0EEENS1_47radix_sort_onesweep_sort_config_static_selectorELNS0_4arch9wavefront6targetE1EEEvSG_
; %bb.0:
	s_load_dwordx8 s[40:47], s[4:5], 0x0
	s_load_dwordx4 s[52:55], s[4:5], 0x44
	s_load_dwordx4 s[48:51], s[4:5], 0x28
	s_load_dwordx2 s[56:57], s[4:5], 0x38
	v_mbcnt_lo_u32_b32 v1, -1, 0
	s_waitcnt lgkmcnt(0)
	s_cmp_ge_u32 s6, s54
	s_cbranch_scc0 .LBB906_95
; %bb.1:
	s_load_dword s0, s[4:5], 0x20
	s_lshl_b32 s1, s54, 13
	s_lshl_b32 s54, s6, 13
	s_mov_b32 s55, 0
	v_and_b32_e32 v18, 0x3ff, v0
	s_waitcnt lgkmcnt(0)
	s_sub_i32 s7, s0, s1
	s_lshl_b64 s[0:1], s[54:55], 2
	v_mbcnt_hi_u32_b32 v6, -1, v1
	s_add_u32 s0, s40, s0
	v_and_b32_e32 v22, 63, v6
	v_lshlrev_b32_e32 v2, 4, v18
	s_addc_u32 s1, s41, s1
	v_and_b32_e32 v19, 0x1c00, v2
	v_lshlrev_b32_e32 v2, 2, v22
	v_mov_b32_e32 v3, s1
	v_add_co_u32_e32 v2, vcc, s0, v2
	v_addc_co_u32_e32 v3, vcc, 0, v3, vcc
	v_lshlrev_b32_e32 v4, 2, v19
	v_add_co_u32_e32 v2, vcc, v2, v4
	v_addc_co_u32_e32 v3, vcc, 0, v3, vcc
	v_or_b32_e32 v5, v22, v19
	v_cmp_gt_u32_e32 vcc, s7, v5
	v_bfrev_b32_e32 v9, -2
	v_bfrev_b32_e32 v4, -2
	s_and_saveexec_b64 s[0:1], vcc
	s_cbranch_execz .LBB906_3
; %bb.2:
	global_load_dword v4, v[2:3], off
.LBB906_3:
	s_or_b64 exec, exec, s[0:1]
	v_or_b32_e32 v7, 64, v5
	v_cmp_gt_u32_e64 s[36:37], s7, v7
	s_and_saveexec_b64 s[0:1], s[36:37]
	s_cbranch_execz .LBB906_5
; %bb.4:
	global_load_dword v9, v[2:3], off offset:256
.LBB906_5:
	s_or_b64 exec, exec, s[0:1]
	v_or_b32_e32 v7, 0x80, v5
	v_cmp_gt_u32_e64 s[10:11], s7, v7
	v_bfrev_b32_e32 v16, -2
	v_bfrev_b32_e32 v11, -2
	s_and_saveexec_b64 s[0:1], s[10:11]
	s_cbranch_execz .LBB906_7
; %bb.6:
	global_load_dword v11, v[2:3], off offset:512
.LBB906_7:
	s_or_b64 exec, exec, s[0:1]
	v_or_b32_e32 v7, 0xc0, v5
	v_cmp_gt_u32_e64 s[14:15], s7, v7
	s_and_saveexec_b64 s[0:1], s[14:15]
	s_cbranch_execz .LBB906_9
; %bb.8:
	global_load_dword v16, v[2:3], off offset:768
.LBB906_9:
	s_or_b64 exec, exec, s[0:1]
	v_or_b32_e32 v7, 0x100, v5
	v_cmp_gt_u32_e64 s[16:17], s7, v7
	v_bfrev_b32_e32 v28, -2
	v_bfrev_b32_e32 v27, -2
	s_and_saveexec_b64 s[0:1], s[16:17]
	s_cbranch_execz .LBB906_11
; %bb.10:
	global_load_dword v27, v[2:3], off offset:1024
.LBB906_11:
	;; [unrolled: 18-line block ×7, first 2 shown]
	s_or_b64 exec, exec, s[0:1]
	v_or_b32_e32 v5, 0x3c0, v5
	v_cmp_gt_u32_e64 s[0:1], s7, v5
	s_and_saveexec_b64 s[34:35], s[0:1]
	s_cbranch_execz .LBB906_33
; %bb.32:
	global_load_dword v15, v[2:3], off offset:3840
.LBB906_33:
	s_or_b64 exec, exec, s[34:35]
	s_load_dword s34, s[4:5], 0x64
	s_load_dword s33, s[4:5], 0x58
	s_add_u32 s35, s4, 0x58
	s_addc_u32 s38, s5, 0
	v_mov_b32_e32 v2, 0
	s_waitcnt lgkmcnt(0)
	s_lshr_b32 s39, s34, 16
	s_cmp_lt_u32 s6, s33
	s_cselect_b32 s34, 12, 18
	s_add_u32 s34, s35, s34
	s_addc_u32 s35, s38, 0
	global_load_ushort v5, v2, s[34:35]
	s_waitcnt vmcnt(1)
	v_xor_b32_e32 v23, 0x80000000, v4
	s_lshl_b32 s34, -1, s53
	v_lshrrev_b32_e32 v8, s52, v23
	s_not_b32 s66, s34
	v_and_b32_e32 v8, s66, v8
	v_and_b32_e32 v12, 1, v8
	v_bfe_u32 v3, v0, 10, 10
	v_bfe_u32 v4, v0, 20, 10
	v_add_co_u32_e64 v13, s[34:35], -1, v12
	v_mad_u32_u24 v4, v4, s39, v3
	v_lshlrev_b32_e32 v3, 30, v8
	v_addc_co_u32_e64 v14, s[34:35], 0, -1, s[34:35]
	v_cmp_ne_u32_e64 s[34:35], 0, v12
	v_cmp_gt_i64_e64 s[38:39], 0, v[2:3]
	v_not_b32_e32 v12, v3
	v_lshlrev_b32_e32 v3, 29, v8
	v_xor_b32_e32 v14, s35, v14
	v_xor_b32_e32 v13, s34, v13
	v_ashrrev_i32_e32 v12, 31, v12
	v_cmp_gt_i64_e64 s[34:35], 0, v[2:3]
	v_not_b32_e32 v17, v3
	v_lshlrev_b32_e32 v3, 28, v8
	v_and_b32_e32 v14, exec_hi, v14
	v_and_b32_e32 v13, exec_lo, v13
	v_xor_b32_e32 v20, s39, v12
	v_xor_b32_e32 v12, s38, v12
	v_ashrrev_i32_e32 v17, 31, v17
	v_cmp_gt_i64_e64 s[38:39], 0, v[2:3]
	v_not_b32_e32 v24, v3
	v_lshlrev_b32_e32 v3, 27, v8
	v_and_b32_e32 v14, v14, v20
	v_and_b32_e32 v12, v13, v12
	v_xor_b32_e32 v13, s35, v17
	v_xor_b32_e32 v17, s34, v17
	v_ashrrev_i32_e32 v20, 31, v24
	v_cmp_gt_i64_e64 s[34:35], 0, v[2:3]
	v_not_b32_e32 v24, v3
	v_lshlrev_b32_e32 v3, 26, v8
	v_and_b32_e32 v13, v14, v13
	v_and_b32_e32 v12, v12, v17
	;; [unrolled: 8-line block ×3, first 2 shown]
	v_xor_b32_e32 v14, s35, v20
	v_xor_b32_e32 v17, s34, v20
	v_ashrrev_i32_e32 v20, 31, v24
	v_cmp_gt_i64_e64 s[34:35], 0, v[2:3]
	v_not_b32_e32 v24, v3
	v_lshlrev_b32_e32 v3, 24, v8
	v_lshl_add_u32 v10, v8, 3, v8
	v_and_b32_e32 v8, v13, v14
	v_and_b32_e32 v12, v12, v17
	v_xor_b32_e32 v13, s39, v20
	v_xor_b32_e32 v14, s38, v20
	v_ashrrev_i32_e32 v17, 31, v24
	v_cmp_gt_i64_e64 s[38:39], 0, v[2:3]
	v_not_b32_e32 v3, v3
	v_and_b32_e32 v8, v8, v13
	v_and_b32_e32 v12, v12, v14
	v_xor_b32_e32 v13, s35, v17
	v_xor_b32_e32 v14, s34, v17
	v_ashrrev_i32_e32 v3, 31, v3
	v_and_b32_e32 v8, v8, v13
	v_and_b32_e32 v13, v12, v14
	v_mul_u32_u24_e32 v7, 5, v18
	v_lshlrev_b32_e32 v7, 2, v7
	ds_write2_b32 v7, v2, v2 offset0:8 offset1:9
	ds_write2_b32 v7, v2, v2 offset0:10 offset1:11
	ds_write_b32 v7, v2 offset:48
	s_waitcnt lgkmcnt(0)
	s_barrier
	s_waitcnt lgkmcnt(0)
	; wave barrier
	s_waitcnt vmcnt(0)
	v_mad_u64_u32 v[4:5], s[34:35], v4, v5, v[18:19]
	v_lshrrev_b32_e32 v31, 6, v4
	v_xor_b32_e32 v4, s39, v3
	v_xor_b32_e32 v3, s38, v3
	v_and_b32_e32 v5, v8, v4
	v_and_b32_e32 v4, v13, v3
	v_mbcnt_lo_u32_b32 v3, v4, 0
	v_mbcnt_hi_u32_b32 v8, v5, v3
	v_cmp_eq_u32_e64 s[34:35], 0, v8
	v_cmp_ne_u64_e64 s[38:39], 0, v[4:5]
	v_add_lshl_u32 v12, v31, v10, 2
	s_and_b64 s[38:39], s[38:39], s[34:35]
	s_and_saveexec_b64 s[34:35], s[38:39]
	s_cbranch_execz .LBB906_35
; %bb.34:
	v_bcnt_u32_b32 v3, v4, 0
	v_bcnt_u32_b32 v3, v5, v3
	ds_write_b32 v12, v3 offset:32
.LBB906_35:
	s_or_b64 exec, exec, s[34:35]
	v_xor_b32_e32 v24, 0x80000000, v9
	v_lshrrev_b32_e32 v3, s52, v24
	v_and_b32_e32 v4, s66, v3
	v_lshl_add_u32 v3, v4, 3, v4
	v_add_lshl_u32 v13, v31, v3, 2
	v_and_b32_e32 v3, 1, v4
	v_add_co_u32_e64 v5, s[34:35], -1, v3
	v_addc_co_u32_e64 v10, s[34:35], 0, -1, s[34:35]
	v_cmp_ne_u32_e64 s[34:35], 0, v3
	v_xor_b32_e32 v3, s35, v10
	v_and_b32_e32 v10, exec_hi, v3
	v_lshlrev_b32_e32 v3, 30, v4
	v_xor_b32_e32 v5, s34, v5
	v_cmp_gt_i64_e64 s[34:35], 0, v[2:3]
	v_not_b32_e32 v3, v3
	v_ashrrev_i32_e32 v3, 31, v3
	v_and_b32_e32 v5, exec_lo, v5
	v_xor_b32_e32 v14, s35, v3
	v_xor_b32_e32 v3, s34, v3
	v_and_b32_e32 v5, v5, v3
	v_lshlrev_b32_e32 v3, 29, v4
	v_cmp_gt_i64_e64 s[34:35], 0, v[2:3]
	v_not_b32_e32 v3, v3
	v_ashrrev_i32_e32 v3, 31, v3
	v_and_b32_e32 v10, v10, v14
	v_xor_b32_e32 v14, s35, v3
	v_xor_b32_e32 v3, s34, v3
	v_and_b32_e32 v5, v5, v3
	v_lshlrev_b32_e32 v3, 28, v4
	v_cmp_gt_i64_e64 s[34:35], 0, v[2:3]
	v_not_b32_e32 v3, v3
	v_ashrrev_i32_e32 v3, 31, v3
	v_and_b32_e32 v10, v10, v14
	v_xor_b32_e32 v14, s35, v3
	v_xor_b32_e32 v3, s34, v3
	v_and_b32_e32 v5, v5, v3
	v_lshlrev_b32_e32 v3, 27, v4
	v_cmp_gt_i64_e64 s[34:35], 0, v[2:3]
	v_not_b32_e32 v3, v3
	v_ashrrev_i32_e32 v3, 31, v3
	v_and_b32_e32 v10, v10, v14
	v_xor_b32_e32 v14, s35, v3
	v_xor_b32_e32 v3, s34, v3
	v_and_b32_e32 v5, v5, v3
	v_lshlrev_b32_e32 v3, 26, v4
	v_cmp_gt_i64_e64 s[34:35], 0, v[2:3]
	v_not_b32_e32 v3, v3
	v_ashrrev_i32_e32 v3, 31, v3
	v_and_b32_e32 v10, v10, v14
	v_xor_b32_e32 v14, s35, v3
	v_xor_b32_e32 v3, s34, v3
	v_and_b32_e32 v5, v5, v3
	v_lshlrev_b32_e32 v3, 25, v4
	v_cmp_gt_i64_e64 s[34:35], 0, v[2:3]
	v_not_b32_e32 v3, v3
	v_ashrrev_i32_e32 v3, 31, v3
	v_and_b32_e32 v10, v10, v14
	v_xor_b32_e32 v14, s35, v3
	v_xor_b32_e32 v3, s34, v3
	v_and_b32_e32 v5, v5, v3
	v_lshlrev_b32_e32 v3, 24, v4
	v_cmp_gt_i64_e64 s[34:35], 0, v[2:3]
	v_not_b32_e32 v2, v3
	v_ashrrev_i32_e32 v2, 31, v2
	v_xor_b32_e32 v3, s35, v2
	v_xor_b32_e32 v2, s34, v2
	; wave barrier
	ds_read_b32 v9, v13 offset:32
	v_and_b32_e32 v10, v10, v14
	v_and_b32_e32 v2, v5, v2
	;; [unrolled: 1-line block ×3, first 2 shown]
	v_mbcnt_lo_u32_b32 v4, v2, 0
	v_mbcnt_hi_u32_b32 v10, v3, v4
	v_cmp_eq_u32_e64 s[34:35], 0, v10
	v_cmp_ne_u64_e64 s[38:39], 0, v[2:3]
	s_and_b64 s[38:39], s[38:39], s[34:35]
	; wave barrier
	s_and_saveexec_b64 s[34:35], s[38:39]
	s_cbranch_execz .LBB906_37
; %bb.36:
	v_bcnt_u32_b32 v2, v2, 0
	v_bcnt_u32_b32 v2, v3, v2
	s_waitcnt lgkmcnt(0)
	v_add_u32_e32 v2, v9, v2
	ds_write_b32 v13, v2 offset:32
.LBB906_37:
	s_or_b64 exec, exec, s[34:35]
	v_xor_b32_e32 v25, 0x80000000, v11
	v_lshrrev_b32_e32 v2, s52, v25
	v_and_b32_e32 v4, s66, v2
	v_and_b32_e32 v3, 1, v4
	v_add_co_u32_e64 v5, s[34:35], -1, v3
	v_addc_co_u32_e64 v14, s[34:35], 0, -1, s[34:35]
	v_cmp_ne_u32_e64 s[34:35], 0, v3
	v_lshl_add_u32 v2, v4, 3, v4
	v_xor_b32_e32 v3, s35, v14
	v_add_lshl_u32 v17, v31, v2, 2
	v_mov_b32_e32 v2, 0
	v_and_b32_e32 v14, exec_hi, v3
	v_lshlrev_b32_e32 v3, 30, v4
	v_xor_b32_e32 v5, s34, v5
	v_cmp_gt_i64_e64 s[34:35], 0, v[2:3]
	v_not_b32_e32 v3, v3
	v_ashrrev_i32_e32 v3, 31, v3
	v_and_b32_e32 v5, exec_lo, v5
	v_xor_b32_e32 v20, s35, v3
	v_xor_b32_e32 v3, s34, v3
	v_and_b32_e32 v5, v5, v3
	v_lshlrev_b32_e32 v3, 29, v4
	v_cmp_gt_i64_e64 s[34:35], 0, v[2:3]
	v_not_b32_e32 v3, v3
	v_ashrrev_i32_e32 v3, 31, v3
	v_and_b32_e32 v14, v14, v20
	v_xor_b32_e32 v20, s35, v3
	v_xor_b32_e32 v3, s34, v3
	v_and_b32_e32 v5, v5, v3
	v_lshlrev_b32_e32 v3, 28, v4
	v_cmp_gt_i64_e64 s[34:35], 0, v[2:3]
	v_not_b32_e32 v3, v3
	v_ashrrev_i32_e32 v3, 31, v3
	v_and_b32_e32 v14, v14, v20
	;; [unrolled: 8-line block ×5, first 2 shown]
	v_xor_b32_e32 v20, s35, v3
	v_xor_b32_e32 v3, s34, v3
	v_and_b32_e32 v14, v14, v20
	v_and_b32_e32 v20, v5, v3
	v_lshlrev_b32_e32 v3, 24, v4
	v_cmp_gt_i64_e64 s[34:35], 0, v[2:3]
	v_not_b32_e32 v3, v3
	v_ashrrev_i32_e32 v3, 31, v3
	v_xor_b32_e32 v4, s35, v3
	v_xor_b32_e32 v3, s34, v3
	; wave barrier
	ds_read_b32 v11, v17 offset:32
	v_and_b32_e32 v5, v14, v4
	v_and_b32_e32 v4, v20, v3
	v_mbcnt_lo_u32_b32 v3, v4, 0
	v_mbcnt_hi_u32_b32 v14, v5, v3
	v_cmp_eq_u32_e64 s[34:35], 0, v14
	v_cmp_ne_u64_e64 s[38:39], 0, v[4:5]
	s_and_b64 s[38:39], s[38:39], s[34:35]
	; wave barrier
	s_and_saveexec_b64 s[34:35], s[38:39]
	s_cbranch_execz .LBB906_39
; %bb.38:
	v_bcnt_u32_b32 v3, v4, 0
	v_bcnt_u32_b32 v3, v5, v3
	s_waitcnt lgkmcnt(0)
	v_add_u32_e32 v3, v11, v3
	ds_write_b32 v17, v3 offset:32
.LBB906_39:
	s_or_b64 exec, exec, s[34:35]
	v_xor_b32_e32 v26, 0x80000000, v16
	v_lshrrev_b32_e32 v3, s52, v26
	v_and_b32_e32 v4, s66, v3
	v_lshl_add_u32 v3, v4, 3, v4
	v_add_lshl_u32 v34, v31, v3, 2
	v_and_b32_e32 v3, 1, v4
	v_add_co_u32_e64 v5, s[34:35], -1, v3
	v_addc_co_u32_e64 v20, s[34:35], 0, -1, s[34:35]
	v_cmp_ne_u32_e64 s[34:35], 0, v3
	v_xor_b32_e32 v3, s35, v20
	v_and_b32_e32 v20, exec_hi, v3
	v_lshlrev_b32_e32 v3, 30, v4
	v_xor_b32_e32 v5, s34, v5
	v_cmp_gt_i64_e64 s[34:35], 0, v[2:3]
	v_not_b32_e32 v3, v3
	v_ashrrev_i32_e32 v3, 31, v3
	v_and_b32_e32 v5, exec_lo, v5
	v_xor_b32_e32 v30, s35, v3
	v_xor_b32_e32 v3, s34, v3
	v_and_b32_e32 v5, v5, v3
	v_lshlrev_b32_e32 v3, 29, v4
	v_cmp_gt_i64_e64 s[34:35], 0, v[2:3]
	v_not_b32_e32 v3, v3
	v_ashrrev_i32_e32 v3, 31, v3
	v_and_b32_e32 v20, v20, v30
	v_xor_b32_e32 v30, s35, v3
	v_xor_b32_e32 v3, s34, v3
	v_and_b32_e32 v5, v5, v3
	v_lshlrev_b32_e32 v3, 28, v4
	v_cmp_gt_i64_e64 s[34:35], 0, v[2:3]
	v_not_b32_e32 v3, v3
	v_ashrrev_i32_e32 v3, 31, v3
	v_and_b32_e32 v20, v20, v30
	;; [unrolled: 8-line block ×5, first 2 shown]
	v_xor_b32_e32 v30, s35, v3
	v_xor_b32_e32 v3, s34, v3
	v_and_b32_e32 v5, v5, v3
	v_lshlrev_b32_e32 v3, 24, v4
	v_cmp_gt_i64_e64 s[34:35], 0, v[2:3]
	v_not_b32_e32 v2, v3
	v_ashrrev_i32_e32 v2, 31, v2
	v_xor_b32_e32 v3, s35, v2
	v_xor_b32_e32 v2, s34, v2
	; wave barrier
	ds_read_b32 v16, v34 offset:32
	v_and_b32_e32 v20, v20, v30
	v_and_b32_e32 v2, v5, v2
	;; [unrolled: 1-line block ×3, first 2 shown]
	v_mbcnt_lo_u32_b32 v4, v2, 0
	v_mbcnt_hi_u32_b32 v20, v3, v4
	v_cmp_eq_u32_e64 s[34:35], 0, v20
	v_cmp_ne_u64_e64 s[38:39], 0, v[2:3]
	s_and_b64 s[38:39], s[38:39], s[34:35]
	; wave barrier
	s_and_saveexec_b64 s[34:35], s[38:39]
	s_cbranch_execz .LBB906_41
; %bb.40:
	v_bcnt_u32_b32 v2, v2, 0
	v_bcnt_u32_b32 v2, v3, v2
	s_waitcnt lgkmcnt(0)
	v_add_u32_e32 v2, v16, v2
	ds_write_b32 v34, v2 offset:32
.LBB906_41:
	s_or_b64 exec, exec, s[34:35]
	v_xor_b32_e32 v27, 0x80000000, v27
	v_lshrrev_b32_e32 v2, s52, v27
	v_and_b32_e32 v4, s66, v2
	v_and_b32_e32 v3, 1, v4
	v_add_co_u32_e64 v5, s[34:35], -1, v3
	v_addc_co_u32_e64 v35, s[34:35], 0, -1, s[34:35]
	v_cmp_ne_u32_e64 s[34:35], 0, v3
	v_lshl_add_u32 v2, v4, 3, v4
	v_xor_b32_e32 v3, s35, v35
	v_add_lshl_u32 v39, v31, v2, 2
	v_mov_b32_e32 v2, 0
	v_and_b32_e32 v35, exec_hi, v3
	v_lshlrev_b32_e32 v3, 30, v4
	v_xor_b32_e32 v5, s34, v5
	v_cmp_gt_i64_e64 s[34:35], 0, v[2:3]
	v_not_b32_e32 v3, v3
	v_ashrrev_i32_e32 v3, 31, v3
	v_and_b32_e32 v5, exec_lo, v5
	v_xor_b32_e32 v36, s35, v3
	v_xor_b32_e32 v3, s34, v3
	v_and_b32_e32 v5, v5, v3
	v_lshlrev_b32_e32 v3, 29, v4
	v_cmp_gt_i64_e64 s[34:35], 0, v[2:3]
	v_not_b32_e32 v3, v3
	v_ashrrev_i32_e32 v3, 31, v3
	v_and_b32_e32 v35, v35, v36
	v_xor_b32_e32 v36, s35, v3
	v_xor_b32_e32 v3, s34, v3
	v_and_b32_e32 v5, v5, v3
	v_lshlrev_b32_e32 v3, 28, v4
	v_cmp_gt_i64_e64 s[34:35], 0, v[2:3]
	v_not_b32_e32 v3, v3
	v_ashrrev_i32_e32 v3, 31, v3
	v_and_b32_e32 v35, v35, v36
	;; [unrolled: 8-line block ×5, first 2 shown]
	v_xor_b32_e32 v36, s35, v3
	v_xor_b32_e32 v3, s34, v3
	v_and_b32_e32 v35, v35, v36
	v_and_b32_e32 v36, v5, v3
	v_lshlrev_b32_e32 v3, 24, v4
	v_cmp_gt_i64_e64 s[34:35], 0, v[2:3]
	v_not_b32_e32 v3, v3
	v_ashrrev_i32_e32 v3, 31, v3
	v_xor_b32_e32 v4, s35, v3
	v_xor_b32_e32 v3, s34, v3
	; wave barrier
	ds_read_b32 v30, v39 offset:32
	v_and_b32_e32 v5, v35, v4
	v_and_b32_e32 v4, v36, v3
	v_mbcnt_lo_u32_b32 v3, v4, 0
	v_mbcnt_hi_u32_b32 v35, v5, v3
	v_cmp_eq_u32_e64 s[34:35], 0, v35
	v_cmp_ne_u64_e64 s[38:39], 0, v[4:5]
	s_and_b64 s[38:39], s[38:39], s[34:35]
	; wave barrier
	s_and_saveexec_b64 s[34:35], s[38:39]
	s_cbranch_execz .LBB906_43
; %bb.42:
	v_bcnt_u32_b32 v3, v4, 0
	v_bcnt_u32_b32 v3, v5, v3
	s_waitcnt lgkmcnt(0)
	v_add_u32_e32 v3, v30, v3
	ds_write_b32 v39, v3 offset:32
.LBB906_43:
	s_or_b64 exec, exec, s[34:35]
	v_xor_b32_e32 v28, 0x80000000, v28
	v_lshrrev_b32_e32 v3, s52, v28
	v_and_b32_e32 v4, s66, v3
	v_lshl_add_u32 v3, v4, 3, v4
	v_add_lshl_u32 v44, v31, v3, 2
	v_and_b32_e32 v3, 1, v4
	v_add_co_u32_e64 v5, s[34:35], -1, v3
	v_addc_co_u32_e64 v40, s[34:35], 0, -1, s[34:35]
	v_cmp_ne_u32_e64 s[34:35], 0, v3
	v_xor_b32_e32 v3, s35, v40
	v_and_b32_e32 v40, exec_hi, v3
	v_lshlrev_b32_e32 v3, 30, v4
	v_xor_b32_e32 v5, s34, v5
	v_cmp_gt_i64_e64 s[34:35], 0, v[2:3]
	v_not_b32_e32 v3, v3
	v_ashrrev_i32_e32 v3, 31, v3
	v_and_b32_e32 v5, exec_lo, v5
	v_xor_b32_e32 v41, s35, v3
	v_xor_b32_e32 v3, s34, v3
	v_and_b32_e32 v5, v5, v3
	v_lshlrev_b32_e32 v3, 29, v4
	v_cmp_gt_i64_e64 s[34:35], 0, v[2:3]
	v_not_b32_e32 v3, v3
	v_ashrrev_i32_e32 v3, 31, v3
	v_and_b32_e32 v40, v40, v41
	v_xor_b32_e32 v41, s35, v3
	v_xor_b32_e32 v3, s34, v3
	v_and_b32_e32 v5, v5, v3
	v_lshlrev_b32_e32 v3, 28, v4
	v_cmp_gt_i64_e64 s[34:35], 0, v[2:3]
	v_not_b32_e32 v3, v3
	v_ashrrev_i32_e32 v3, 31, v3
	v_and_b32_e32 v40, v40, v41
	;; [unrolled: 8-line block ×5, first 2 shown]
	v_xor_b32_e32 v41, s35, v3
	v_xor_b32_e32 v3, s34, v3
	v_and_b32_e32 v5, v5, v3
	v_lshlrev_b32_e32 v3, 24, v4
	v_cmp_gt_i64_e64 s[34:35], 0, v[2:3]
	v_not_b32_e32 v2, v3
	v_ashrrev_i32_e32 v2, 31, v2
	v_xor_b32_e32 v3, s35, v2
	v_xor_b32_e32 v2, s34, v2
	; wave barrier
	ds_read_b32 v36, v44 offset:32
	v_and_b32_e32 v40, v40, v41
	v_and_b32_e32 v2, v5, v2
	;; [unrolled: 1-line block ×3, first 2 shown]
	v_mbcnt_lo_u32_b32 v4, v2, 0
	v_mbcnt_hi_u32_b32 v40, v3, v4
	v_cmp_eq_u32_e64 s[34:35], 0, v40
	v_cmp_ne_u64_e64 s[38:39], 0, v[2:3]
	s_and_b64 s[38:39], s[38:39], s[34:35]
	; wave barrier
	s_and_saveexec_b64 s[34:35], s[38:39]
	s_cbranch_execz .LBB906_45
; %bb.44:
	v_bcnt_u32_b32 v2, v2, 0
	v_bcnt_u32_b32 v2, v3, v2
	s_waitcnt lgkmcnt(0)
	v_add_u32_e32 v2, v36, v2
	ds_write_b32 v44, v2 offset:32
.LBB906_45:
	s_or_b64 exec, exec, s[34:35]
	v_xor_b32_e32 v29, 0x80000000, v29
	v_lshrrev_b32_e32 v2, s52, v29
	v_and_b32_e32 v4, s66, v2
	v_and_b32_e32 v3, 1, v4
	v_add_co_u32_e64 v5, s[34:35], -1, v3
	v_addc_co_u32_e64 v45, s[34:35], 0, -1, s[34:35]
	v_cmp_ne_u32_e64 s[34:35], 0, v3
	v_lshl_add_u32 v2, v4, 3, v4
	v_xor_b32_e32 v3, s35, v45
	v_add_lshl_u32 v48, v31, v2, 2
	v_mov_b32_e32 v2, 0
	v_and_b32_e32 v45, exec_hi, v3
	v_lshlrev_b32_e32 v3, 30, v4
	v_xor_b32_e32 v5, s34, v5
	v_cmp_gt_i64_e64 s[34:35], 0, v[2:3]
	v_not_b32_e32 v3, v3
	v_ashrrev_i32_e32 v3, 31, v3
	v_and_b32_e32 v5, exec_lo, v5
	v_xor_b32_e32 v46, s35, v3
	v_xor_b32_e32 v3, s34, v3
	v_and_b32_e32 v5, v5, v3
	v_lshlrev_b32_e32 v3, 29, v4
	v_cmp_gt_i64_e64 s[34:35], 0, v[2:3]
	v_not_b32_e32 v3, v3
	v_ashrrev_i32_e32 v3, 31, v3
	v_and_b32_e32 v45, v45, v46
	v_xor_b32_e32 v46, s35, v3
	v_xor_b32_e32 v3, s34, v3
	v_and_b32_e32 v5, v5, v3
	v_lshlrev_b32_e32 v3, 28, v4
	v_cmp_gt_i64_e64 s[34:35], 0, v[2:3]
	v_not_b32_e32 v3, v3
	v_ashrrev_i32_e32 v3, 31, v3
	v_and_b32_e32 v45, v45, v46
	;; [unrolled: 8-line block ×5, first 2 shown]
	v_xor_b32_e32 v46, s35, v3
	v_xor_b32_e32 v3, s34, v3
	v_and_b32_e32 v45, v45, v46
	v_and_b32_e32 v46, v5, v3
	v_lshlrev_b32_e32 v3, 24, v4
	v_cmp_gt_i64_e64 s[34:35], 0, v[2:3]
	v_not_b32_e32 v3, v3
	v_ashrrev_i32_e32 v3, 31, v3
	v_xor_b32_e32 v4, s35, v3
	v_xor_b32_e32 v3, s34, v3
	; wave barrier
	ds_read_b32 v41, v48 offset:32
	v_and_b32_e32 v5, v45, v4
	v_and_b32_e32 v4, v46, v3
	v_mbcnt_lo_u32_b32 v3, v4, 0
	v_mbcnt_hi_u32_b32 v45, v5, v3
	v_cmp_eq_u32_e64 s[34:35], 0, v45
	v_cmp_ne_u64_e64 s[38:39], 0, v[4:5]
	s_and_b64 s[38:39], s[38:39], s[34:35]
	; wave barrier
	s_and_saveexec_b64 s[34:35], s[38:39]
	s_cbranch_execz .LBB906_47
; %bb.46:
	v_bcnt_u32_b32 v3, v4, 0
	v_bcnt_u32_b32 v3, v5, v3
	s_waitcnt lgkmcnt(0)
	v_add_u32_e32 v3, v41, v3
	ds_write_b32 v48, v3 offset:32
.LBB906_47:
	s_or_b64 exec, exec, s[34:35]
	v_xor_b32_e32 v33, 0x80000000, v33
	v_lshrrev_b32_e32 v3, s52, v33
	v_and_b32_e32 v4, s66, v3
	v_lshl_add_u32 v3, v4, 3, v4
	v_add_lshl_u32 v51, v31, v3, 2
	v_and_b32_e32 v3, 1, v4
	v_add_co_u32_e64 v5, s[34:35], -1, v3
	v_addc_co_u32_e64 v49, s[34:35], 0, -1, s[34:35]
	v_cmp_ne_u32_e64 s[34:35], 0, v3
	v_xor_b32_e32 v3, s35, v49
	v_and_b32_e32 v49, exec_hi, v3
	v_lshlrev_b32_e32 v3, 30, v4
	v_xor_b32_e32 v5, s34, v5
	v_cmp_gt_i64_e64 s[34:35], 0, v[2:3]
	v_not_b32_e32 v3, v3
	v_ashrrev_i32_e32 v3, 31, v3
	v_and_b32_e32 v5, exec_lo, v5
	v_xor_b32_e32 v50, s35, v3
	v_xor_b32_e32 v3, s34, v3
	v_and_b32_e32 v5, v5, v3
	v_lshlrev_b32_e32 v3, 29, v4
	v_cmp_gt_i64_e64 s[34:35], 0, v[2:3]
	v_not_b32_e32 v3, v3
	v_ashrrev_i32_e32 v3, 31, v3
	v_and_b32_e32 v49, v49, v50
	v_xor_b32_e32 v50, s35, v3
	v_xor_b32_e32 v3, s34, v3
	v_and_b32_e32 v5, v5, v3
	v_lshlrev_b32_e32 v3, 28, v4
	v_cmp_gt_i64_e64 s[34:35], 0, v[2:3]
	v_not_b32_e32 v3, v3
	v_ashrrev_i32_e32 v3, 31, v3
	v_and_b32_e32 v49, v49, v50
	;; [unrolled: 8-line block ×5, first 2 shown]
	v_xor_b32_e32 v50, s35, v3
	v_xor_b32_e32 v3, s34, v3
	v_and_b32_e32 v5, v5, v3
	v_lshlrev_b32_e32 v3, 24, v4
	v_cmp_gt_i64_e64 s[34:35], 0, v[2:3]
	v_not_b32_e32 v2, v3
	v_ashrrev_i32_e32 v2, 31, v2
	v_xor_b32_e32 v3, s35, v2
	v_xor_b32_e32 v2, s34, v2
	; wave barrier
	ds_read_b32 v46, v51 offset:32
	v_and_b32_e32 v49, v49, v50
	v_and_b32_e32 v2, v5, v2
	;; [unrolled: 1-line block ×3, first 2 shown]
	v_mbcnt_lo_u32_b32 v4, v2, 0
	v_mbcnt_hi_u32_b32 v49, v3, v4
	v_cmp_eq_u32_e64 s[34:35], 0, v49
	v_cmp_ne_u64_e64 s[38:39], 0, v[2:3]
	s_and_b64 s[38:39], s[38:39], s[34:35]
	; wave barrier
	s_and_saveexec_b64 s[34:35], s[38:39]
	s_cbranch_execz .LBB906_49
; %bb.48:
	v_bcnt_u32_b32 v2, v2, 0
	v_bcnt_u32_b32 v2, v3, v2
	s_waitcnt lgkmcnt(0)
	v_add_u32_e32 v2, v46, v2
	ds_write_b32 v51, v2 offset:32
.LBB906_49:
	s_or_b64 exec, exec, s[34:35]
	v_xor_b32_e32 v38, 0x80000000, v38
	v_lshrrev_b32_e32 v2, s52, v38
	v_and_b32_e32 v4, s66, v2
	v_and_b32_e32 v3, 1, v4
	v_add_co_u32_e64 v5, s[34:35], -1, v3
	v_addc_co_u32_e64 v52, s[34:35], 0, -1, s[34:35]
	v_cmp_ne_u32_e64 s[34:35], 0, v3
	v_lshl_add_u32 v2, v4, 3, v4
	v_xor_b32_e32 v3, s35, v52
	v_add_lshl_u32 v54, v31, v2, 2
	v_mov_b32_e32 v2, 0
	v_and_b32_e32 v52, exec_hi, v3
	v_lshlrev_b32_e32 v3, 30, v4
	v_xor_b32_e32 v5, s34, v5
	v_cmp_gt_i64_e64 s[34:35], 0, v[2:3]
	v_not_b32_e32 v3, v3
	v_ashrrev_i32_e32 v3, 31, v3
	v_and_b32_e32 v5, exec_lo, v5
	v_xor_b32_e32 v53, s35, v3
	v_xor_b32_e32 v3, s34, v3
	v_and_b32_e32 v5, v5, v3
	v_lshlrev_b32_e32 v3, 29, v4
	v_cmp_gt_i64_e64 s[34:35], 0, v[2:3]
	v_not_b32_e32 v3, v3
	v_ashrrev_i32_e32 v3, 31, v3
	v_and_b32_e32 v52, v52, v53
	v_xor_b32_e32 v53, s35, v3
	v_xor_b32_e32 v3, s34, v3
	v_and_b32_e32 v5, v5, v3
	v_lshlrev_b32_e32 v3, 28, v4
	v_cmp_gt_i64_e64 s[34:35], 0, v[2:3]
	v_not_b32_e32 v3, v3
	v_ashrrev_i32_e32 v3, 31, v3
	v_and_b32_e32 v52, v52, v53
	v_xor_b32_e32 v53, s35, v3
	v_xor_b32_e32 v3, s34, v3
	v_and_b32_e32 v5, v5, v3
	v_lshlrev_b32_e32 v3, 27, v4
	v_cmp_gt_i64_e64 s[34:35], 0, v[2:3]
	v_not_b32_e32 v3, v3
	v_ashrrev_i32_e32 v3, 31, v3
	v_and_b32_e32 v52, v52, v53
	v_xor_b32_e32 v53, s35, v3
	v_xor_b32_e32 v3, s34, v3
	v_and_b32_e32 v5, v5, v3
	v_lshlrev_b32_e32 v3, 26, v4
	v_cmp_gt_i64_e64 s[34:35], 0, v[2:3]
	v_not_b32_e32 v3, v3
	v_ashrrev_i32_e32 v3, 31, v3
	v_and_b32_e32 v52, v52, v53
	v_xor_b32_e32 v53, s35, v3
	v_xor_b32_e32 v3, s34, v3
	v_and_b32_e32 v5, v5, v3
	v_lshlrev_b32_e32 v3, 25, v4
	v_cmp_gt_i64_e64 s[34:35], 0, v[2:3]
	v_not_b32_e32 v3, v3
	v_ashrrev_i32_e32 v3, 31, v3
	v_and_b32_e32 v52, v52, v53
	v_xor_b32_e32 v53, s35, v3
	v_xor_b32_e32 v3, s34, v3
	v_and_b32_e32 v52, v52, v53
	v_and_b32_e32 v53, v5, v3
	v_lshlrev_b32_e32 v3, 24, v4
	v_cmp_gt_i64_e64 s[34:35], 0, v[2:3]
	v_not_b32_e32 v3, v3
	v_ashrrev_i32_e32 v3, 31, v3
	v_xor_b32_e32 v4, s35, v3
	v_xor_b32_e32 v3, s34, v3
	; wave barrier
	ds_read_b32 v50, v54 offset:32
	v_and_b32_e32 v5, v52, v4
	v_and_b32_e32 v4, v53, v3
	v_mbcnt_lo_u32_b32 v3, v4, 0
	v_mbcnt_hi_u32_b32 v52, v5, v3
	v_cmp_eq_u32_e64 s[34:35], 0, v52
	v_cmp_ne_u64_e64 s[38:39], 0, v[4:5]
	s_and_b64 s[38:39], s[38:39], s[34:35]
	; wave barrier
	s_and_saveexec_b64 s[34:35], s[38:39]
	s_cbranch_execz .LBB906_51
; %bb.50:
	v_bcnt_u32_b32 v3, v4, 0
	v_bcnt_u32_b32 v3, v5, v3
	s_waitcnt lgkmcnt(0)
	v_add_u32_e32 v3, v50, v3
	ds_write_b32 v54, v3 offset:32
.LBB906_51:
	s_or_b64 exec, exec, s[34:35]
	v_xor_b32_e32 v43, 0x80000000, v43
	v_lshrrev_b32_e32 v3, s52, v43
	v_and_b32_e32 v4, s66, v3
	v_lshl_add_u32 v3, v4, 3, v4
	v_add_lshl_u32 v57, v31, v3, 2
	v_and_b32_e32 v3, 1, v4
	v_add_co_u32_e64 v5, s[34:35], -1, v3
	v_addc_co_u32_e64 v55, s[34:35], 0, -1, s[34:35]
	v_cmp_ne_u32_e64 s[34:35], 0, v3
	v_xor_b32_e32 v3, s35, v55
	v_and_b32_e32 v55, exec_hi, v3
	v_lshlrev_b32_e32 v3, 30, v4
	v_xor_b32_e32 v5, s34, v5
	v_cmp_gt_i64_e64 s[34:35], 0, v[2:3]
	v_not_b32_e32 v3, v3
	v_ashrrev_i32_e32 v3, 31, v3
	v_and_b32_e32 v5, exec_lo, v5
	v_xor_b32_e32 v56, s35, v3
	v_xor_b32_e32 v3, s34, v3
	v_and_b32_e32 v5, v5, v3
	v_lshlrev_b32_e32 v3, 29, v4
	v_cmp_gt_i64_e64 s[34:35], 0, v[2:3]
	v_not_b32_e32 v3, v3
	v_ashrrev_i32_e32 v3, 31, v3
	v_and_b32_e32 v55, v55, v56
	v_xor_b32_e32 v56, s35, v3
	v_xor_b32_e32 v3, s34, v3
	v_and_b32_e32 v5, v5, v3
	v_lshlrev_b32_e32 v3, 28, v4
	v_cmp_gt_i64_e64 s[34:35], 0, v[2:3]
	v_not_b32_e32 v3, v3
	v_ashrrev_i32_e32 v3, 31, v3
	v_and_b32_e32 v55, v55, v56
	v_xor_b32_e32 v56, s35, v3
	v_xor_b32_e32 v3, s34, v3
	v_and_b32_e32 v5, v5, v3
	v_lshlrev_b32_e32 v3, 27, v4
	v_cmp_gt_i64_e64 s[34:35], 0, v[2:3]
	v_not_b32_e32 v3, v3
	v_ashrrev_i32_e32 v3, 31, v3
	v_and_b32_e32 v55, v55, v56
	v_xor_b32_e32 v56, s35, v3
	v_xor_b32_e32 v3, s34, v3
	v_and_b32_e32 v5, v5, v3
	v_lshlrev_b32_e32 v3, 26, v4
	v_cmp_gt_i64_e64 s[34:35], 0, v[2:3]
	v_not_b32_e32 v3, v3
	v_ashrrev_i32_e32 v3, 31, v3
	v_and_b32_e32 v55, v55, v56
	v_xor_b32_e32 v56, s35, v3
	v_xor_b32_e32 v3, s34, v3
	v_and_b32_e32 v5, v5, v3
	v_lshlrev_b32_e32 v3, 25, v4
	v_cmp_gt_i64_e64 s[34:35], 0, v[2:3]
	v_not_b32_e32 v3, v3
	v_ashrrev_i32_e32 v3, 31, v3
	v_and_b32_e32 v55, v55, v56
	v_xor_b32_e32 v56, s35, v3
	v_xor_b32_e32 v3, s34, v3
	v_and_b32_e32 v5, v5, v3
	v_lshlrev_b32_e32 v3, 24, v4
	v_cmp_gt_i64_e64 s[34:35], 0, v[2:3]
	v_not_b32_e32 v2, v3
	v_ashrrev_i32_e32 v2, 31, v2
	v_xor_b32_e32 v3, s35, v2
	v_xor_b32_e32 v2, s34, v2
	; wave barrier
	ds_read_b32 v53, v57 offset:32
	v_and_b32_e32 v55, v55, v56
	v_and_b32_e32 v2, v5, v2
	v_and_b32_e32 v3, v55, v3
	v_mbcnt_lo_u32_b32 v4, v2, 0
	v_mbcnt_hi_u32_b32 v55, v3, v4
	v_cmp_eq_u32_e64 s[34:35], 0, v55
	v_cmp_ne_u64_e64 s[38:39], 0, v[2:3]
	s_and_b64 s[38:39], s[38:39], s[34:35]
	; wave barrier
	s_and_saveexec_b64 s[34:35], s[38:39]
	s_cbranch_execz .LBB906_53
; %bb.52:
	v_bcnt_u32_b32 v2, v2, 0
	v_bcnt_u32_b32 v2, v3, v2
	s_waitcnt lgkmcnt(0)
	v_add_u32_e32 v2, v53, v2
	ds_write_b32 v57, v2 offset:32
.LBB906_53:
	s_or_b64 exec, exec, s[34:35]
	v_xor_b32_e32 v47, 0x80000000, v47
	v_lshrrev_b32_e32 v2, s52, v47
	v_and_b32_e32 v4, s66, v2
	v_and_b32_e32 v3, 1, v4
	v_add_co_u32_e64 v5, s[34:35], -1, v3
	v_addc_co_u32_e64 v58, s[34:35], 0, -1, s[34:35]
	v_cmp_ne_u32_e64 s[34:35], 0, v3
	v_lshl_add_u32 v2, v4, 3, v4
	v_xor_b32_e32 v3, s35, v58
	v_add_lshl_u32 v60, v31, v2, 2
	v_mov_b32_e32 v2, 0
	v_and_b32_e32 v58, exec_hi, v3
	v_lshlrev_b32_e32 v3, 30, v4
	v_xor_b32_e32 v5, s34, v5
	v_cmp_gt_i64_e64 s[34:35], 0, v[2:3]
	v_not_b32_e32 v3, v3
	v_ashrrev_i32_e32 v3, 31, v3
	v_and_b32_e32 v5, exec_lo, v5
	v_xor_b32_e32 v59, s35, v3
	v_xor_b32_e32 v3, s34, v3
	v_and_b32_e32 v5, v5, v3
	v_lshlrev_b32_e32 v3, 29, v4
	v_cmp_gt_i64_e64 s[34:35], 0, v[2:3]
	v_not_b32_e32 v3, v3
	v_ashrrev_i32_e32 v3, 31, v3
	v_and_b32_e32 v58, v58, v59
	v_xor_b32_e32 v59, s35, v3
	v_xor_b32_e32 v3, s34, v3
	v_and_b32_e32 v5, v5, v3
	v_lshlrev_b32_e32 v3, 28, v4
	v_cmp_gt_i64_e64 s[34:35], 0, v[2:3]
	v_not_b32_e32 v3, v3
	v_ashrrev_i32_e32 v3, 31, v3
	v_and_b32_e32 v58, v58, v59
	;; [unrolled: 8-line block ×5, first 2 shown]
	v_xor_b32_e32 v59, s35, v3
	v_xor_b32_e32 v3, s34, v3
	v_and_b32_e32 v58, v58, v59
	v_and_b32_e32 v59, v5, v3
	v_lshlrev_b32_e32 v3, 24, v4
	v_cmp_gt_i64_e64 s[34:35], 0, v[2:3]
	v_not_b32_e32 v3, v3
	v_ashrrev_i32_e32 v3, 31, v3
	v_xor_b32_e32 v4, s35, v3
	v_xor_b32_e32 v3, s34, v3
	; wave barrier
	ds_read_b32 v56, v60 offset:32
	v_and_b32_e32 v5, v58, v4
	v_and_b32_e32 v4, v59, v3
	v_mbcnt_lo_u32_b32 v3, v4, 0
	v_mbcnt_hi_u32_b32 v58, v5, v3
	v_cmp_eq_u32_e64 s[34:35], 0, v58
	v_cmp_ne_u64_e64 s[38:39], 0, v[4:5]
	s_and_b64 s[38:39], s[38:39], s[34:35]
	; wave barrier
	s_and_saveexec_b64 s[34:35], s[38:39]
	s_cbranch_execz .LBB906_55
; %bb.54:
	v_bcnt_u32_b32 v3, v4, 0
	v_bcnt_u32_b32 v3, v5, v3
	s_waitcnt lgkmcnt(0)
	v_add_u32_e32 v3, v56, v3
	ds_write_b32 v60, v3 offset:32
.LBB906_55:
	s_or_b64 exec, exec, s[34:35]
	v_xor_b32_e32 v42, 0x80000000, v42
	v_lshrrev_b32_e32 v3, s52, v42
	v_and_b32_e32 v4, s66, v3
	v_lshl_add_u32 v3, v4, 3, v4
	v_add_lshl_u32 v64, v31, v3, 2
	v_and_b32_e32 v3, 1, v4
	v_add_co_u32_e64 v5, s[34:35], -1, v3
	v_addc_co_u32_e64 v61, s[34:35], 0, -1, s[34:35]
	v_cmp_ne_u32_e64 s[34:35], 0, v3
	v_xor_b32_e32 v3, s35, v61
	v_and_b32_e32 v61, exec_hi, v3
	v_lshlrev_b32_e32 v3, 30, v4
	v_xor_b32_e32 v5, s34, v5
	v_cmp_gt_i64_e64 s[34:35], 0, v[2:3]
	v_not_b32_e32 v3, v3
	v_ashrrev_i32_e32 v3, 31, v3
	v_and_b32_e32 v5, exec_lo, v5
	v_xor_b32_e32 v62, s35, v3
	v_xor_b32_e32 v3, s34, v3
	v_and_b32_e32 v5, v5, v3
	v_lshlrev_b32_e32 v3, 29, v4
	v_cmp_gt_i64_e64 s[34:35], 0, v[2:3]
	v_not_b32_e32 v3, v3
	v_ashrrev_i32_e32 v3, 31, v3
	v_and_b32_e32 v61, v61, v62
	v_xor_b32_e32 v62, s35, v3
	v_xor_b32_e32 v3, s34, v3
	v_and_b32_e32 v5, v5, v3
	v_lshlrev_b32_e32 v3, 28, v4
	v_cmp_gt_i64_e64 s[34:35], 0, v[2:3]
	v_not_b32_e32 v3, v3
	v_ashrrev_i32_e32 v3, 31, v3
	v_and_b32_e32 v61, v61, v62
	;; [unrolled: 8-line block ×5, first 2 shown]
	v_xor_b32_e32 v62, s35, v3
	v_xor_b32_e32 v3, s34, v3
	v_and_b32_e32 v5, v5, v3
	v_lshlrev_b32_e32 v3, 24, v4
	v_cmp_gt_i64_e64 s[34:35], 0, v[2:3]
	v_not_b32_e32 v2, v3
	v_ashrrev_i32_e32 v2, 31, v2
	v_xor_b32_e32 v3, s35, v2
	v_xor_b32_e32 v2, s34, v2
	; wave barrier
	ds_read_b32 v59, v64 offset:32
	v_and_b32_e32 v61, v61, v62
	v_and_b32_e32 v2, v5, v2
	;; [unrolled: 1-line block ×3, first 2 shown]
	v_mbcnt_lo_u32_b32 v4, v2, 0
	v_mbcnt_hi_u32_b32 v62, v3, v4
	v_cmp_eq_u32_e64 s[34:35], 0, v62
	v_cmp_ne_u64_e64 s[38:39], 0, v[2:3]
	s_and_b64 s[38:39], s[38:39], s[34:35]
	; wave barrier
	s_and_saveexec_b64 s[34:35], s[38:39]
	s_cbranch_execz .LBB906_57
; %bb.56:
	v_bcnt_u32_b32 v2, v2, 0
	v_bcnt_u32_b32 v2, v3, v2
	s_waitcnt lgkmcnt(0)
	v_add_u32_e32 v2, v59, v2
	ds_write_b32 v64, v2 offset:32
.LBB906_57:
	s_or_b64 exec, exec, s[34:35]
	v_xor_b32_e32 v37, 0x80000000, v37
	v_lshrrev_b32_e32 v2, s52, v37
	v_and_b32_e32 v4, s66, v2
	v_and_b32_e32 v3, 1, v4
	v_add_co_u32_e64 v5, s[34:35], -1, v3
	v_addc_co_u32_e64 v61, s[34:35], 0, -1, s[34:35]
	v_cmp_ne_u32_e64 s[34:35], 0, v3
	v_lshl_add_u32 v2, v4, 3, v4
	v_xor_b32_e32 v3, s35, v61
	v_add_lshl_u32 v66, v31, v2, 2
	v_mov_b32_e32 v2, 0
	v_and_b32_e32 v61, exec_hi, v3
	v_lshlrev_b32_e32 v3, 30, v4
	v_xor_b32_e32 v5, s34, v5
	v_cmp_gt_i64_e64 s[34:35], 0, v[2:3]
	v_not_b32_e32 v3, v3
	v_ashrrev_i32_e32 v3, 31, v3
	v_and_b32_e32 v5, exec_lo, v5
	v_xor_b32_e32 v65, s35, v3
	v_xor_b32_e32 v3, s34, v3
	v_and_b32_e32 v5, v5, v3
	v_lshlrev_b32_e32 v3, 29, v4
	v_cmp_gt_i64_e64 s[34:35], 0, v[2:3]
	v_not_b32_e32 v3, v3
	v_ashrrev_i32_e32 v3, 31, v3
	v_and_b32_e32 v61, v61, v65
	v_xor_b32_e32 v65, s35, v3
	v_xor_b32_e32 v3, s34, v3
	v_and_b32_e32 v5, v5, v3
	v_lshlrev_b32_e32 v3, 28, v4
	v_cmp_gt_i64_e64 s[34:35], 0, v[2:3]
	v_not_b32_e32 v3, v3
	v_ashrrev_i32_e32 v3, 31, v3
	v_and_b32_e32 v61, v61, v65
	;; [unrolled: 8-line block ×5, first 2 shown]
	v_xor_b32_e32 v65, s35, v3
	v_xor_b32_e32 v3, s34, v3
	v_and_b32_e32 v61, v61, v65
	v_and_b32_e32 v65, v5, v3
	v_lshlrev_b32_e32 v3, 24, v4
	v_cmp_gt_i64_e64 s[34:35], 0, v[2:3]
	v_not_b32_e32 v3, v3
	v_ashrrev_i32_e32 v3, 31, v3
	v_xor_b32_e32 v4, s35, v3
	v_xor_b32_e32 v3, s34, v3
	; wave barrier
	ds_read_b32 v63, v66 offset:32
	v_and_b32_e32 v5, v61, v4
	v_and_b32_e32 v4, v65, v3
	v_mbcnt_lo_u32_b32 v3, v4, 0
	v_mbcnt_hi_u32_b32 v68, v5, v3
	v_cmp_eq_u32_e64 s[34:35], 0, v68
	v_cmp_ne_u64_e64 s[38:39], 0, v[4:5]
	s_and_b64 s[38:39], s[38:39], s[34:35]
	; wave barrier
	s_and_saveexec_b64 s[34:35], s[38:39]
	s_cbranch_execz .LBB906_59
; %bb.58:
	v_bcnt_u32_b32 v3, v4, 0
	v_bcnt_u32_b32 v3, v5, v3
	s_waitcnt lgkmcnt(0)
	v_add_u32_e32 v3, v63, v3
	ds_write_b32 v66, v3 offset:32
.LBB906_59:
	s_or_b64 exec, exec, s[34:35]
	v_xor_b32_e32 v32, 0x80000000, v32
	v_lshrrev_b32_e32 v3, s52, v32
	v_and_b32_e32 v4, s66, v3
	v_lshl_add_u32 v3, v4, 3, v4
	v_add_lshl_u32 v70, v31, v3, 2
	v_and_b32_e32 v3, 1, v4
	v_add_co_u32_e64 v5, s[34:35], -1, v3
	v_addc_co_u32_e64 v61, s[34:35], 0, -1, s[34:35]
	v_cmp_ne_u32_e64 s[34:35], 0, v3
	v_xor_b32_e32 v3, s35, v61
	v_and_b32_e32 v61, exec_hi, v3
	v_lshlrev_b32_e32 v3, 30, v4
	v_xor_b32_e32 v5, s34, v5
	v_cmp_gt_i64_e64 s[34:35], 0, v[2:3]
	v_not_b32_e32 v3, v3
	v_ashrrev_i32_e32 v3, 31, v3
	v_and_b32_e32 v5, exec_lo, v5
	v_xor_b32_e32 v65, s35, v3
	v_xor_b32_e32 v3, s34, v3
	v_and_b32_e32 v5, v5, v3
	v_lshlrev_b32_e32 v3, 29, v4
	v_cmp_gt_i64_e64 s[34:35], 0, v[2:3]
	v_not_b32_e32 v3, v3
	v_ashrrev_i32_e32 v3, 31, v3
	v_and_b32_e32 v61, v61, v65
	v_xor_b32_e32 v65, s35, v3
	v_xor_b32_e32 v3, s34, v3
	v_and_b32_e32 v5, v5, v3
	v_lshlrev_b32_e32 v3, 28, v4
	v_cmp_gt_i64_e64 s[34:35], 0, v[2:3]
	v_not_b32_e32 v3, v3
	v_ashrrev_i32_e32 v3, 31, v3
	v_and_b32_e32 v61, v61, v65
	;; [unrolled: 8-line block ×5, first 2 shown]
	v_xor_b32_e32 v65, s35, v3
	v_xor_b32_e32 v3, s34, v3
	v_and_b32_e32 v5, v5, v3
	v_lshlrev_b32_e32 v3, 24, v4
	v_cmp_gt_i64_e64 s[34:35], 0, v[2:3]
	v_not_b32_e32 v2, v3
	v_ashrrev_i32_e32 v2, 31, v2
	v_xor_b32_e32 v3, s35, v2
	v_xor_b32_e32 v2, s34, v2
	; wave barrier
	ds_read_b32 v67, v70 offset:32
	v_and_b32_e32 v61, v61, v65
	v_and_b32_e32 v2, v5, v2
	;; [unrolled: 1-line block ×3, first 2 shown]
	v_mbcnt_lo_u32_b32 v4, v2, 0
	v_mbcnt_hi_u32_b32 v69, v3, v4
	v_cmp_eq_u32_e64 s[34:35], 0, v69
	v_cmp_ne_u64_e64 s[38:39], 0, v[2:3]
	s_and_b64 s[38:39], s[38:39], s[34:35]
	; wave barrier
	s_and_saveexec_b64 s[34:35], s[38:39]
	s_cbranch_execz .LBB906_61
; %bb.60:
	v_bcnt_u32_b32 v2, v2, 0
	v_bcnt_u32_b32 v2, v3, v2
	s_waitcnt lgkmcnt(0)
	v_add_u32_e32 v2, v67, v2
	ds_write_b32 v70, v2 offset:32
.LBB906_61:
	s_or_b64 exec, exec, s[34:35]
	v_xor_b32_e32 v61, 0x80000000, v21
	v_lshrrev_b32_e32 v2, s52, v61
	v_and_b32_e32 v4, s66, v2
	v_and_b32_e32 v3, 1, v4
	v_add_co_u32_e64 v5, s[34:35], -1, v3
	v_addc_co_u32_e64 v65, s[34:35], 0, -1, s[34:35]
	v_cmp_ne_u32_e64 s[34:35], 0, v3
	v_lshl_add_u32 v2, v4, 3, v4
	v_xor_b32_e32 v3, s35, v65
	v_add_lshl_u32 v72, v31, v2, 2
	v_mov_b32_e32 v2, 0
	v_and_b32_e32 v65, exec_hi, v3
	v_lshlrev_b32_e32 v3, 30, v4
	v_xor_b32_e32 v5, s34, v5
	v_cmp_gt_i64_e64 s[34:35], 0, v[2:3]
	v_not_b32_e32 v3, v3
	v_ashrrev_i32_e32 v3, 31, v3
	v_and_b32_e32 v5, exec_lo, v5
	v_xor_b32_e32 v71, s35, v3
	v_xor_b32_e32 v3, s34, v3
	v_and_b32_e32 v5, v5, v3
	v_lshlrev_b32_e32 v3, 29, v4
	v_cmp_gt_i64_e64 s[34:35], 0, v[2:3]
	v_not_b32_e32 v3, v3
	v_ashrrev_i32_e32 v3, 31, v3
	v_and_b32_e32 v65, v65, v71
	v_xor_b32_e32 v71, s35, v3
	v_xor_b32_e32 v3, s34, v3
	v_and_b32_e32 v5, v5, v3
	v_lshlrev_b32_e32 v3, 28, v4
	v_cmp_gt_i64_e64 s[34:35], 0, v[2:3]
	v_not_b32_e32 v3, v3
	v_ashrrev_i32_e32 v3, 31, v3
	v_and_b32_e32 v65, v65, v71
	;; [unrolled: 8-line block ×5, first 2 shown]
	v_xor_b32_e32 v71, s35, v3
	v_xor_b32_e32 v3, s34, v3
	v_and_b32_e32 v65, v65, v71
	v_and_b32_e32 v71, v5, v3
	v_lshlrev_b32_e32 v3, 24, v4
	v_cmp_gt_i64_e64 s[34:35], 0, v[2:3]
	v_not_b32_e32 v3, v3
	v_ashrrev_i32_e32 v3, 31, v3
	v_xor_b32_e32 v4, s35, v3
	v_xor_b32_e32 v3, s34, v3
	; wave barrier
	ds_read_b32 v21, v72 offset:32
	v_and_b32_e32 v5, v65, v4
	v_and_b32_e32 v4, v71, v3
	v_mbcnt_lo_u32_b32 v3, v4, 0
	v_mbcnt_hi_u32_b32 v71, v5, v3
	v_cmp_eq_u32_e64 s[34:35], 0, v71
	v_cmp_ne_u64_e64 s[38:39], 0, v[4:5]
	s_and_b64 s[38:39], s[38:39], s[34:35]
	; wave barrier
	s_and_saveexec_b64 s[34:35], s[38:39]
	s_cbranch_execz .LBB906_63
; %bb.62:
	v_bcnt_u32_b32 v3, v4, 0
	v_bcnt_u32_b32 v3, v5, v3
	s_waitcnt lgkmcnt(0)
	v_add_u32_e32 v3, v21, v3
	ds_write_b32 v72, v3 offset:32
.LBB906_63:
	s_or_b64 exec, exec, s[34:35]
	v_xor_b32_e32 v65, 0x80000000, v15
	v_lshrrev_b32_e32 v3, s52, v65
	v_and_b32_e32 v4, s66, v3
	v_lshl_add_u32 v3, v4, 3, v4
	v_add_lshl_u32 v74, v31, v3, 2
	v_and_b32_e32 v3, 1, v4
	v_add_co_u32_e64 v5, s[34:35], -1, v3
	v_addc_co_u32_e64 v31, s[34:35], 0, -1, s[34:35]
	v_cmp_ne_u32_e64 s[34:35], 0, v3
	v_xor_b32_e32 v3, s35, v31
	v_and_b32_e32 v31, exec_hi, v3
	v_lshlrev_b32_e32 v3, 30, v4
	v_xor_b32_e32 v5, s34, v5
	v_cmp_gt_i64_e64 s[34:35], 0, v[2:3]
	v_not_b32_e32 v3, v3
	v_ashrrev_i32_e32 v3, 31, v3
	v_and_b32_e32 v5, exec_lo, v5
	v_xor_b32_e32 v73, s35, v3
	v_xor_b32_e32 v3, s34, v3
	v_and_b32_e32 v5, v5, v3
	v_lshlrev_b32_e32 v3, 29, v4
	v_cmp_gt_i64_e64 s[34:35], 0, v[2:3]
	v_not_b32_e32 v3, v3
	v_ashrrev_i32_e32 v3, 31, v3
	v_and_b32_e32 v31, v31, v73
	v_xor_b32_e32 v73, s35, v3
	v_xor_b32_e32 v3, s34, v3
	v_and_b32_e32 v5, v5, v3
	v_lshlrev_b32_e32 v3, 28, v4
	v_cmp_gt_i64_e64 s[34:35], 0, v[2:3]
	v_not_b32_e32 v3, v3
	v_ashrrev_i32_e32 v3, 31, v3
	v_and_b32_e32 v31, v31, v73
	;; [unrolled: 8-line block ×5, first 2 shown]
	v_xor_b32_e32 v73, s35, v3
	v_xor_b32_e32 v3, s34, v3
	v_and_b32_e32 v5, v5, v3
	v_lshlrev_b32_e32 v3, 24, v4
	v_cmp_gt_i64_e64 s[34:35], 0, v[2:3]
	v_not_b32_e32 v2, v3
	v_ashrrev_i32_e32 v2, 31, v2
	v_xor_b32_e32 v3, s35, v2
	v_xor_b32_e32 v2, s34, v2
	; wave barrier
	ds_read_b32 v15, v74 offset:32
	v_and_b32_e32 v31, v31, v73
	v_and_b32_e32 v2, v5, v2
	;; [unrolled: 1-line block ×3, first 2 shown]
	v_mbcnt_lo_u32_b32 v4, v2, 0
	v_mbcnt_hi_u32_b32 v73, v3, v4
	v_cmp_eq_u32_e64 s[34:35], 0, v73
	v_cmp_ne_u64_e64 s[38:39], 0, v[2:3]
	v_add_u32_e32 v75, 32, v7
	s_and_b64 s[38:39], s[38:39], s[34:35]
	; wave barrier
	s_and_saveexec_b64 s[34:35], s[38:39]
	s_cbranch_execz .LBB906_65
; %bb.64:
	v_bcnt_u32_b32 v2, v2, 0
	v_bcnt_u32_b32 v2, v3, v2
	s_waitcnt lgkmcnt(0)
	v_add_u32_e32 v2, v15, v2
	ds_write_b32 v74, v2 offset:32
.LBB906_65:
	s_or_b64 exec, exec, s[34:35]
	; wave barrier
	s_waitcnt lgkmcnt(0)
	s_barrier
	ds_read2_b32 v[4:5], v7 offset0:8 offset1:9
	ds_read2_b32 v[2:3], v75 offset0:2 offset1:3
	ds_read_b32 v31, v75 offset:16
	s_waitcnt lgkmcnt(1)
	v_add3_u32 v76, v5, v4, v2
	s_waitcnt lgkmcnt(0)
	v_add3_u32 v31, v76, v3, v31
	v_and_b32_e32 v76, 15, v6
	v_cmp_ne_u32_e64 s[34:35], 0, v76
	v_mov_b32_dpp v77, v31 row_shr:1 row_mask:0xf bank_mask:0xf
	v_cndmask_b32_e64 v77, 0, v77, s[34:35]
	v_add_u32_e32 v31, v77, v31
	v_cmp_lt_u32_e64 s[34:35], 1, v76
	s_nop 0
	v_mov_b32_dpp v77, v31 row_shr:2 row_mask:0xf bank_mask:0xf
	v_cndmask_b32_e64 v77, 0, v77, s[34:35]
	v_add_u32_e32 v31, v31, v77
	v_cmp_lt_u32_e64 s[34:35], 3, v76
	s_nop 0
	v_mov_b32_dpp v77, v31 row_shr:4 row_mask:0xf bank_mask:0xf
	v_cndmask_b32_e64 v77, 0, v77, s[34:35]
	v_add_u32_e32 v31, v31, v77
	v_cmp_lt_u32_e64 s[34:35], 7, v76
	s_nop 0
	v_mov_b32_dpp v77, v31 row_shr:8 row_mask:0xf bank_mask:0xf
	v_cndmask_b32_e64 v76, 0, v77, s[34:35]
	v_add_u32_e32 v31, v31, v76
	v_bfe_i32 v77, v6, 4, 1
	v_cmp_lt_u32_e64 s[34:35], 31, v6
	v_mov_b32_dpp v76, v31 row_bcast:15 row_mask:0xf bank_mask:0xf
	v_and_b32_e32 v76, v77, v76
	v_add_u32_e32 v31, v31, v76
	v_lshrrev_b32_e32 v77, 6, v18
	s_nop 0
	v_mov_b32_dpp v76, v31 row_bcast:31 row_mask:0xf bank_mask:0xf
	v_cndmask_b32_e64 v76, 0, v76, s[34:35]
	v_add_u32_e32 v76, v31, v76
	v_and_b32_e32 v31, 0x3c0, v18
	v_min_u32_e32 v31, 0x1c0, v31
	v_or_b32_e32 v31, 63, v31
	v_cmp_eq_u32_e64 s[34:35], v31, v18
	s_and_saveexec_b64 s[38:39], s[34:35]
	s_cbranch_execz .LBB906_67
; %bb.66:
	v_lshlrev_b32_e32 v31, 2, v77
	ds_write_b32 v31, v76
.LBB906_67:
	s_or_b64 exec, exec, s[38:39]
	v_cmp_gt_u32_e64 s[34:35], 8, v18
	v_lshlrev_b32_e32 v31, 2, v18
	s_waitcnt lgkmcnt(0)
	s_barrier
	s_and_saveexec_b64 s[58:59], s[34:35]
	s_cbranch_execz .LBB906_69
; %bb.68:
	ds_read_b32 v78, v31
	v_and_b32_e32 v79, 7, v6
	v_cmp_ne_u32_e64 s[34:35], 0, v79
	v_cmp_lt_u32_e64 s[38:39], 1, v79
	s_waitcnt lgkmcnt(0)
	v_mov_b32_dpp v80, v78 row_shr:1 row_mask:0xf bank_mask:0xf
	v_cndmask_b32_e64 v80, 0, v80, s[34:35]
	v_add_u32_e32 v78, v80, v78
	v_cmp_lt_u32_e64 s[34:35], 3, v79
	s_nop 0
	v_mov_b32_dpp v80, v78 row_shr:2 row_mask:0xf bank_mask:0xf
	v_cndmask_b32_e64 v80, 0, v80, s[38:39]
	v_add_u32_e32 v78, v78, v80
	s_nop 1
	v_mov_b32_dpp v80, v78 row_shr:4 row_mask:0xf bank_mask:0xf
	v_cndmask_b32_e64 v79, 0, v80, s[34:35]
	v_add_u32_e32 v78, v78, v79
	ds_write_b32 v31, v78
.LBB906_69:
	s_or_b64 exec, exec, s[58:59]
	v_cmp_lt_u32_e64 s[34:35], 63, v18
	v_mov_b32_e32 v78, 0
	s_waitcnt lgkmcnt(0)
	s_barrier
	s_and_saveexec_b64 s[38:39], s[34:35]
	s_cbranch_execz .LBB906_71
; %bb.70:
	v_lshl_add_u32 v77, v77, 2, -4
	ds_read_b32 v78, v77
.LBB906_71:
	s_or_b64 exec, exec, s[38:39]
	v_add_u32_e32 v77, -1, v6
	v_and_b32_e32 v79, 64, v6
	v_cmp_lt_i32_e64 s[34:35], v77, v79
	v_cndmask_b32_e64 v77, v77, v6, s[34:35]
	s_waitcnt lgkmcnt(0)
	v_add_u32_e32 v76, v78, v76
	v_lshlrev_b32_e32 v77, 2, v77
	ds_bpermute_b32 v76, v77, v76
	v_cmp_eq_u32_e64 s[34:35], 0, v6
	s_waitcnt lgkmcnt(0)
	v_cndmask_b32_e64 v6, v76, v78, s[34:35]
	v_cmp_ne_u32_e64 s[34:35], 0, v18
	v_cndmask_b32_e64 v6, 0, v6, s[34:35]
	v_add_u32_e32 v4, v6, v4
	v_add_u32_e32 v5, v4, v5
	;; [unrolled: 1-line block ×4, first 2 shown]
	ds_write2_b32 v7, v6, v4 offset0:8 offset1:9
	ds_write2_b32 v75, v5, v2 offset0:2 offset1:3
	ds_write_b32 v75, v3 offset:16
	s_waitcnt lgkmcnt(0)
	s_barrier
	ds_read_b32 v76, v12 offset:32
	ds_read_b32 v12, v13 offset:32
	;; [unrolled: 1-line block ×16, first 2 shown]
	s_movk_i32 s34, 0x100
	v_cmp_gt_u32_e64 s[34:35], s34, v18
                                        ; implicit-def: $vgpr54
                                        ; implicit-def: $vgpr57
	s_and_saveexec_b64 s[58:59], s[34:35]
	s_cbranch_execz .LBB906_75
; %bb.72:
	v_mul_u32_u24_e32 v2, 9, v18
	v_lshlrev_b32_e32 v3, 2, v2
	ds_read_b32 v54, v3 offset:32
	s_movk_i32 s38, 0xff
	v_cmp_ne_u32_e64 s[38:39], s38, v18
	v_mov_b32_e32 v2, 0x2000
	s_and_saveexec_b64 s[60:61], s[38:39]
	s_cbranch_execz .LBB906_74
; %bb.73:
	ds_read_b32 v2, v3 offset:68
.LBB906_74:
	s_or_b64 exec, exec, s[60:61]
	s_waitcnt lgkmcnt(0)
	v_sub_u32_e32 v57, v2, v54
.LBB906_75:
	s_or_b64 exec, exec, s[58:59]
	s_waitcnt lgkmcnt(0)
	s_barrier
	s_and_saveexec_b64 s[58:59], s[34:35]
	s_cbranch_execz .LBB906_85
; %bb.76:
	v_lshl_or_b32 v2, s6, 8, v18
	v_mov_b32_e32 v3, 0
	v_lshlrev_b64 v[4:5], 2, v[2:3]
	v_mov_b32_e32 v34, s57
	v_add_co_u32_e64 v4, s[38:39], s56, v4
	v_addc_co_u32_e64 v5, s[38:39], v34, v5, s[38:39]
	v_or_b32_e32 v2, 2.0, v57
	s_mov_b64 s[60:61], 0
	s_brev_b32 s67, 1
	s_mov_b32 s68, s6
	v_mov_b32_e32 v60, 0
	global_store_dword v[4:5], v2, off
                                        ; implicit-def: $sgpr38_sgpr39
	s_branch .LBB906_78
.LBB906_77:                             ;   in Loop: Header=BB906_78 Depth=1
	s_or_b64 exec, exec, s[62:63]
	v_and_b32_e32 v6, 0x3fffffff, v72
	v_add_u32_e32 v60, v6, v60
	v_cmp_eq_u32_e64 s[38:39], s67, v2
	s_and_b64 s[62:63], exec, s[38:39]
	s_or_b64 s[60:61], s[62:63], s[60:61]
	s_andn2_b64 exec, exec, s[60:61]
	s_cbranch_execz .LBB906_84
.LBB906_78:                             ; =>This Loop Header: Depth=1
                                        ;     Child Loop BB906_81 Depth 2
	s_or_b64 s[38:39], s[38:39], exec
	s_cmp_eq_u32 s68, 0
	s_cbranch_scc1 .LBB906_83
; %bb.79:                               ;   in Loop: Header=BB906_78 Depth=1
	s_add_i32 s68, s68, -1
	v_lshl_or_b32 v2, s68, 8, v18
	v_lshlrev_b64 v[6:7], 2, v[2:3]
	v_add_co_u32_e64 v6, s[38:39], s56, v6
	v_addc_co_u32_e64 v7, s[38:39], v34, v7, s[38:39]
	global_load_dword v72, v[6:7], off glc
	s_waitcnt vmcnt(0)
	v_and_b32_e32 v2, -2.0, v72
	v_cmp_eq_u32_e64 s[38:39], 0, v2
	s_and_saveexec_b64 s[62:63], s[38:39]
	s_cbranch_execz .LBB906_77
; %bb.80:                               ;   in Loop: Header=BB906_78 Depth=1
	s_mov_b64 s[64:65], 0
.LBB906_81:                             ;   Parent Loop BB906_78 Depth=1
                                        ; =>  This Inner Loop Header: Depth=2
	global_load_dword v72, v[6:7], off glc
	s_waitcnt vmcnt(0)
	v_and_b32_e32 v2, -2.0, v72
	v_cmp_ne_u32_e64 s[38:39], 0, v2
	s_or_b64 s[64:65], s[38:39], s[64:65]
	s_andn2_b64 exec, exec, s[64:65]
	s_cbranch_execnz .LBB906_81
; %bb.82:                               ;   in Loop: Header=BB906_78 Depth=1
	s_or_b64 exec, exec, s[64:65]
	s_branch .LBB906_77
.LBB906_83:                             ;   in Loop: Header=BB906_78 Depth=1
                                        ; implicit-def: $sgpr68
	s_and_b64 s[62:63], exec, s[38:39]
	s_or_b64 s[60:61], s[62:63], s[60:61]
	s_andn2_b64 exec, exec, s[60:61]
	s_cbranch_execnz .LBB906_78
.LBB906_84:
	s_or_b64 exec, exec, s[60:61]
	v_add_u32_e32 v2, v60, v57
	v_or_b32_e32 v2, 0x80000000, v2
	global_store_dword v[4:5], v2, off
	global_load_dword v2, v31, s[48:49]
	v_sub_u32_e32 v3, v60, v54
	s_waitcnt vmcnt(0)
	v_add_u32_e32 v2, v3, v2
	ds_write_b32 v31, v2
.LBB906_85:
	s_or_b64 exec, exec, s[58:59]
	v_add_u32_e32 v60, v76, v8
	s_movk_i32 s60, 0x400
	v_add_u32_e32 v34, 0x400, v31
	v_add3_u32 v64, v73, v64, v15
	v_add3_u32 v66, v71, v66, v21
	;; [unrolled: 1-line block ×15, first 2 shown]
	s_mov_b32 s61, 0
	v_mov_b32_e32 v21, 0
	s_movk_i32 s62, 0x200
	s_movk_i32 s63, 0x600
	s_mov_b32 s64, 0
	s_mov_b32 s65, 0
                                        ; implicit-def: $vgpr2_vgpr3_vgpr4_vgpr5_vgpr6_vgpr7_vgpr8_vgpr9_vgpr10_vgpr11_vgpr12_vgpr13_vgpr14_vgpr15_vgpr16_vgpr17
	s_branch .LBB906_87
.LBB906_86:                             ;   in Loop: Header=BB906_87 Depth=1
	s_or_b64 exec, exec, s[58:59]
	s_addk_i32 s65, 0x800
	s_addk_i32 s64, 0xf800
	s_add_i32 s61, s61, 4
	s_cmpk_eq_i32 s64, 0xe000
	s_barrier
	s_cbranch_scc1 .LBB906_96
.LBB906_87:                             ; =>This Inner Loop Header: Depth=1
	v_add_u32_e32 v20, s64, v60
	v_min_u32_e32 v20, 0x800, v20
	v_lshlrev_b32_e32 v20, 2, v20
	ds_write_b32 v20, v23 offset:1024
	v_add_u32_e32 v20, s64, v73
	v_min_u32_e32 v20, 0x800, v20
	v_lshlrev_b32_e32 v20, 2, v20
	ds_write_b32 v20, v24 offset:1024
	;; [unrolled: 4-line block ×15, first 2 shown]
	v_add_u32_e32 v20, s64, v64
	v_min_u32_e32 v20, 0x800, v20
	v_add_u32_e32 v30, s65, v18
	v_lshlrev_b32_e32 v20, 2, v20
	v_cmp_gt_u32_e64 s[38:39], s7, v30
	ds_write_b32 v20, v65 offset:1024
	s_waitcnt lgkmcnt(0)
	s_barrier
	s_and_saveexec_b64 s[58:59], s[38:39]
	s_cbranch_execz .LBB906_89
; %bb.88:                               ;   in Loop: Header=BB906_87 Depth=1
	ds_read_b32 v20, v31 offset:1024
	v_mov_b32_e32 v39, s43
	s_waitcnt lgkmcnt(0)
	v_lshrrev_b32_e32 v35, s52, v20
	v_and_b32_e32 v35, s66, v35
	v_lshlrev_b32_e32 v36, 2, v35
	ds_read_b32 v36, v36
	v_xor_b32_e32 v44, 0x80000000, v20
	s_waitcnt lgkmcnt(0)
	v_add_u32_e32 v20, v30, v36
	v_lshlrev_b64 v[40:41], 2, v[20:21]
	v_add_co_u32_e64 v40, s[38:39], s42, v40
	v_addc_co_u32_e64 v41, s[38:39], v39, v41, s[38:39]
	global_store_dword v[40:41], v44, off
	s_set_gpr_idx_on s61, gpr_idx(DST)
	v_mov_b32_e32 v2, v35
	s_set_gpr_idx_off
.LBB906_89:                             ;   in Loop: Header=BB906_87 Depth=1
	s_or_b64 exec, exec, s[58:59]
	v_add_u32_e32 v20, 0x200, v30
	v_cmp_gt_u32_e64 s[38:39], s7, v20
	s_and_saveexec_b64 s[58:59], s[38:39]
	s_cbranch_execz .LBB906_91
; %bb.90:                               ;   in Loop: Header=BB906_87 Depth=1
	ds_read_b32 v20, v34 offset:2048
	v_mov_b32_e32 v39, s43
	s_add_i32 s67, s61, 1
	s_waitcnt lgkmcnt(0)
	v_lshrrev_b32_e32 v35, s52, v20
	v_and_b32_e32 v35, s66, v35
	v_lshlrev_b32_e32 v36, 2, v35
	ds_read_b32 v36, v36
	v_xor_b32_e32 v44, 0x80000000, v20
	s_waitcnt lgkmcnt(0)
	v_add3_u32 v20, v30, v36, s62
	v_lshlrev_b64 v[40:41], 2, v[20:21]
	v_add_co_u32_e64 v40, s[38:39], s42, v40
	v_addc_co_u32_e64 v41, s[38:39], v39, v41, s[38:39]
	global_store_dword v[40:41], v44, off
	s_set_gpr_idx_on s67, gpr_idx(DST)
	v_mov_b32_e32 v2, v35
	s_set_gpr_idx_off
.LBB906_91:                             ;   in Loop: Header=BB906_87 Depth=1
	s_or_b64 exec, exec, s[58:59]
	v_add_u32_e32 v20, 0x400, v30
	v_cmp_gt_u32_e64 s[38:39], s7, v20
	s_and_saveexec_b64 s[58:59], s[38:39]
	s_cbranch_execz .LBB906_93
; %bb.92:                               ;   in Loop: Header=BB906_87 Depth=1
	ds_read_b32 v20, v34 offset:4096
	v_mov_b32_e32 v39, s43
	s_add_i32 s67, s61, 2
	s_waitcnt lgkmcnt(0)
	v_lshrrev_b32_e32 v35, s52, v20
	v_and_b32_e32 v35, s66, v35
	v_lshlrev_b32_e32 v36, 2, v35
	ds_read_b32 v36, v36
	v_xor_b32_e32 v44, 0x80000000, v20
	s_waitcnt lgkmcnt(0)
	v_add3_u32 v20, v30, v36, s60
	v_lshlrev_b64 v[40:41], 2, v[20:21]
	v_add_co_u32_e64 v40, s[38:39], s42, v40
	v_addc_co_u32_e64 v41, s[38:39], v39, v41, s[38:39]
	global_store_dword v[40:41], v44, off
	s_set_gpr_idx_on s67, gpr_idx(DST)
	v_mov_b32_e32 v2, v35
	s_set_gpr_idx_off
.LBB906_93:                             ;   in Loop: Header=BB906_87 Depth=1
	s_or_b64 exec, exec, s[58:59]
	v_add_u32_e32 v20, 0x600, v30
	v_cmp_gt_u32_e64 s[38:39], s7, v20
	s_and_saveexec_b64 s[58:59], s[38:39]
	s_cbranch_execz .LBB906_86
; %bb.94:                               ;   in Loop: Header=BB906_87 Depth=1
	ds_read_b32 v20, v34 offset:6144
	v_mov_b32_e32 v39, s43
	s_add_i32 s67, s61, 3
	s_waitcnt lgkmcnt(0)
	v_lshrrev_b32_e32 v35, s52, v20
	v_and_b32_e32 v35, s66, v35
	v_lshlrev_b32_e32 v36, 2, v35
	ds_read_b32 v36, v36
	v_xor_b32_e32 v44, 0x80000000, v20
	s_waitcnt lgkmcnt(0)
	v_add3_u32 v20, v30, v36, s63
	v_lshlrev_b64 v[40:41], 2, v[20:21]
	v_add_co_u32_e64 v40, s[38:39], s42, v40
	v_addc_co_u32_e64 v41, s[38:39], v39, v41, s[38:39]
	global_store_dword v[40:41], v44, off
	s_set_gpr_idx_on s67, gpr_idx(DST)
	v_mov_b32_e32 v2, v35
	s_set_gpr_idx_off
	s_branch .LBB906_86
.LBB906_95:
	s_mov_b64 s[2:3], 0
                                        ; implicit-def: $vgpr2
                                        ; implicit-def: $vgpr18
	s_cbranch_execnz .LBB906_122
	s_branch .LBB906_181
.LBB906_96:
	s_lshl_b64 s[38:39], s[54:55], 3
	s_add_u32 s38, s44, s38
	s_addc_u32 s39, s45, s39
	v_lshlrev_b32_e32 v20, 3, v22
	v_mov_b32_e32 v21, s39
	v_add_co_u32_e64 v20, s[38:39], s38, v20
	v_addc_co_u32_e64 v21, s[38:39], 0, v21, s[38:39]
	v_lshlrev_b32_e32 v19, 3, v19
	v_add_co_u32_e64 v42, s[38:39], v20, v19
	v_addc_co_u32_e64 v43, s[38:39], 0, v21, s[38:39]
                                        ; implicit-def: $vgpr20_vgpr21
	s_and_saveexec_b64 s[38:39], vcc
	s_cbranch_execnz .LBB906_184
; %bb.97:
	s_or_b64 exec, exec, s[38:39]
                                        ; implicit-def: $vgpr22_vgpr23
	s_and_saveexec_b64 s[38:39], s[36:37]
	s_cbranch_execnz .LBB906_185
.LBB906_98:
	s_or_b64 exec, exec, s[38:39]
                                        ; implicit-def: $vgpr24_vgpr25
	s_and_saveexec_b64 s[36:37], s[10:11]
	s_cbranch_execnz .LBB906_186
.LBB906_99:
	s_or_b64 exec, exec, s[36:37]
                                        ; implicit-def: $vgpr26_vgpr27
	s_and_saveexec_b64 s[10:11], s[14:15]
	s_cbranch_execnz .LBB906_187
.LBB906_100:
	s_or_b64 exec, exec, s[10:11]
                                        ; implicit-def: $vgpr28_vgpr29
	s_and_saveexec_b64 s[10:11], s[16:17]
	s_cbranch_execnz .LBB906_188
.LBB906_101:
	s_or_b64 exec, exec, s[10:11]
                                        ; implicit-def: $vgpr30_vgpr31
	s_and_saveexec_b64 s[10:11], s[20:21]
	s_cbranch_execnz .LBB906_189
.LBB906_102:
	s_or_b64 exec, exec, s[10:11]
                                        ; implicit-def: $vgpr32_vgpr33
	s_and_saveexec_b64 s[10:11], s[24:25]
	s_cbranch_execnz .LBB906_190
.LBB906_103:
	s_or_b64 exec, exec, s[10:11]
                                        ; implicit-def: $vgpr34_vgpr35
	s_and_saveexec_b64 s[10:11], s[28:29]
	s_cbranch_execnz .LBB906_191
.LBB906_104:
	s_or_b64 exec, exec, s[10:11]
                                        ; implicit-def: $vgpr36_vgpr37
	s_and_saveexec_b64 s[10:11], s[30:31]
	s_cbranch_execnz .LBB906_192
.LBB906_105:
	s_or_b64 exec, exec, s[10:11]
                                        ; implicit-def: $vgpr38_vgpr39
	s_and_saveexec_b64 s[10:11], s[26:27]
	s_cbranch_execnz .LBB906_193
.LBB906_106:
	s_or_b64 exec, exec, s[10:11]
                                        ; implicit-def: $vgpr40_vgpr41
	s_and_saveexec_b64 s[10:11], s[22:23]
	s_cbranch_execnz .LBB906_194
.LBB906_107:
	s_or_b64 exec, exec, s[10:11]
                                        ; implicit-def: $vgpr44_vgpr45
	s_and_saveexec_b64 s[10:11], s[18:19]
	s_cbranch_execnz .LBB906_195
.LBB906_108:
	s_or_b64 exec, exec, s[10:11]
                                        ; implicit-def: $vgpr46_vgpr47
	s_and_saveexec_b64 s[10:11], s[12:13]
	s_cbranch_execnz .LBB906_196
.LBB906_109:
	s_or_b64 exec, exec, s[10:11]
                                        ; implicit-def: $vgpr48_vgpr49
	s_and_saveexec_b64 s[10:11], s[8:9]
	s_cbranch_execnz .LBB906_197
.LBB906_110:
	s_or_b64 exec, exec, s[10:11]
                                        ; implicit-def: $vgpr50_vgpr51
	s_and_saveexec_b64 s[8:9], s[2:3]
	s_cbranch_execnz .LBB906_198
.LBB906_111:
	s_or_b64 exec, exec, s[8:9]
                                        ; implicit-def: $vgpr52_vgpr53
	s_and_saveexec_b64 s[2:3], s[0:1]
	s_cbranch_execz .LBB906_113
.LBB906_112:
	v_add_co_u32_e32 v42, vcc, 0x1000, v42
	v_addc_co_u32_e32 v43, vcc, 0, v43, vcc
	global_load_dwordx2 v[52:53], v[42:43], off offset:3584
.LBB906_113:
	s_or_b64 exec, exec, s[2:3]
	v_lshlrev_b32_e32 v19, 3, v18
	v_add_u32_e32 v61, 0x400, v19
	s_mov_b32 s2, 0
	v_mov_b32_e32 v43, 0
	s_movk_i32 s3, 0x200
	s_mov_b32 s8, 0
	v_mov_b32_e32 v65, v18
	s_waitcnt vmcnt(0)
	s_branch .LBB906_115
.LBB906_114:                            ;   in Loop: Header=BB906_115 Depth=1
	s_or_b64 exec, exec, s[0:1]
	s_addk_i32 s8, 0xfc00
	s_add_i32 s2, s2, 2
	s_cmpk_eq_i32 s8, 0xe000
	v_add_u32_e32 v65, 0x400, v65
	s_barrier
	s_cbranch_scc1 .LBB906_119
.LBB906_115:                            ; =>This Inner Loop Header: Depth=1
	v_add_u32_e32 v42, s8, v60
	v_min_u32_e32 v42, 0x400, v42
	v_lshlrev_b32_e32 v42, 3, v42
	ds_write_b64 v42, v[20:21] offset:1024
	v_add_u32_e32 v42, s8, v73
	v_min_u32_e32 v42, 0x400, v42
	v_lshlrev_b32_e32 v42, 3, v42
	ds_write_b64 v42, v[22:23] offset:1024
	;; [unrolled: 4-line block ×15, first 2 shown]
	v_add_u32_e32 v42, s8, v64
	v_min_u32_e32 v42, 0x400, v42
	v_lshlrev_b32_e32 v42, 3, v42
	v_cmp_gt_u32_e32 vcc, s7, v65
	ds_write_b64 v42, v[52:53] offset:1024
	s_waitcnt lgkmcnt(0)
	s_barrier
	s_and_saveexec_b64 s[0:1], vcc
	s_cbranch_execz .LBB906_117
; %bb.116:                              ;   in Loop: Header=BB906_115 Depth=1
	ds_read_b64 v[74:75], v19 offset:1024
	s_set_gpr_idx_on s2, gpr_idx(SRC0)
	v_mov_b32_e32 v42, v2
	s_set_gpr_idx_off
	v_lshlrev_b32_e32 v42, 2, v42
	ds_read_b32 v42, v42
	v_mov_b32_e32 v78, s47
	s_waitcnt lgkmcnt(0)
	v_add_u32_e32 v42, v65, v42
	v_lshlrev_b64 v[76:77], 3, v[42:43]
	v_add_co_u32_e32 v76, vcc, s46, v76
	v_addc_co_u32_e32 v77, vcc, v78, v77, vcc
	global_store_dwordx2 v[76:77], v[74:75], off
.LBB906_117:                            ;   in Loop: Header=BB906_115 Depth=1
	s_or_b64 exec, exec, s[0:1]
	v_add_u32_e32 v42, 0x200, v65
	v_cmp_gt_u32_e32 vcc, s7, v42
	s_and_saveexec_b64 s[0:1], vcc
	s_cbranch_execz .LBB906_114
; %bb.118:                              ;   in Loop: Header=BB906_115 Depth=1
	s_add_i32 s9, s2, 1
	ds_read_b64 v[74:75], v61 offset:4096
	s_set_gpr_idx_on s9, gpr_idx(SRC0)
	v_mov_b32_e32 v42, v2
	s_set_gpr_idx_off
	v_lshlrev_b32_e32 v42, 2, v42
	ds_read_b32 v42, v42
	v_mov_b32_e32 v78, s47
	s_waitcnt lgkmcnt(0)
	v_add3_u32 v42, v65, v42, s3
	v_lshlrev_b64 v[76:77], 3, v[42:43]
	v_add_co_u32_e32 v76, vcc, s46, v76
	v_addc_co_u32_e32 v77, vcc, v78, v77, vcc
	global_store_dwordx2 v[76:77], v[74:75], off
	s_branch .LBB906_114
.LBB906_119:
	s_add_i32 s33, s33, -1
	s_cmp_eq_u32 s33, s6
	s_cselect_b64 s[0:1], -1, 0
	s_and_b64 s[8:9], s[34:35], s[0:1]
	s_mov_b64 s[0:1], 0
	s_mov_b64 s[2:3], 0
                                        ; implicit-def: $vgpr2
	s_and_saveexec_b64 s[10:11], s[8:9]
	s_xor_b64 s[8:9], exec, s[10:11]
; %bb.120:
	s_mov_b64 s[2:3], exec
	v_add_u32_e32 v2, v54, v57
; %bb.121:
	s_or_b64 exec, exec, s[8:9]
	s_and_b64 vcc, exec, s[0:1]
	s_cbranch_vccz .LBB906_181
.LBB906_122:
	v_and_b32_e32 v18, 0x3ff, v0
	s_lshl_b32 s8, s6, 13
	s_mov_b32 s9, 0
	v_mbcnt_hi_u32_b32 v4, -1, v1
	s_lshl_b64 s[0:1], s[8:9], 2
	v_and_b32_e32 v20, 63, v4
	v_lshlrev_b32_e32 v1, 4, v18
	s_add_u32 s0, s40, s0
	v_and_b32_e32 v19, 0x1c00, v1
	v_lshlrev_b32_e32 v1, 2, v20
	v_add_co_u32_e32 v1, vcc, s0, v1
	s_load_dword s7, s[4:5], 0x58
	s_load_dword s0, s[4:5], 0x64
	s_addc_u32 s1, s41, s1
	v_mov_b32_e32 v3, s1
	v_addc_co_u32_e32 v3, vcc, 0, v3, vcc
	v_lshlrev_b32_e32 v5, 2, v19
	s_add_u32 s1, s4, 0x58
	v_add_co_u32_e32 v8, vcc, v1, v5
	s_addc_u32 s4, s5, 0
	s_waitcnt lgkmcnt(0)
	s_lshr_b32 s5, s0, 16
	v_addc_co_u32_e32 v9, vcc, 0, v3, vcc
	s_cmp_lt_u32 s6, s7
	global_load_dword v1, v[8:9], off
	s_cselect_b32 s0, 12, 18
	s_add_u32 s0, s1, s0
	v_mov_b32_e32 v2, 0
	s_addc_u32 s1, s4, 0
	global_load_ushort v3, v2, s[0:1]
	v_mul_u32_u24_e32 v5, 5, v18
	v_lshlrev_b32_e32 v5, 2, v5
	ds_write2_b32 v5, v2, v2 offset0:8 offset1:9
	ds_write2_b32 v5, v2, v2 offset0:10 offset1:11
	ds_write_b32 v5, v2 offset:48
	global_load_dword v7, v[8:9], off offset:256
	global_load_dword v10, v[8:9], off offset:512
	;; [unrolled: 1-line block ×15, first 2 shown]
	s_lshl_b32 s0, -1, s53
	v_bfe_u32 v6, v0, 10, 10
	v_bfe_u32 v0, v0, 20, 10
	s_not_b32 s16, s0
	v_mad_u32_u24 v0, v0, s5, v6
	s_waitcnt lgkmcnt(0)
	s_barrier
	s_waitcnt lgkmcnt(0)
	; wave barrier
	s_waitcnt vmcnt(16)
	v_xor_b32_e32 v21, 0x80000000, v1
	v_lshrrev_b32_e32 v1, s52, v21
	v_and_b32_e32 v6, s16, v1
	v_and_b32_e32 v8, 1, v6
	s_waitcnt vmcnt(15)
	v_mad_u64_u32 v[0:1], s[0:1], v0, v3, v[18:19]
	v_lshrrev_b32_e32 v15, 6, v0
	v_add_co_u32_e32 v0, vcc, -1, v8
	v_lshlrev_b32_e32 v3, 30, v6
	v_addc_co_u32_e64 v11, s[0:1], 0, -1, vcc
	v_lshl_add_u32 v1, v6, 3, v6
	v_cmp_ne_u32_e32 vcc, 0, v8
	v_cmp_gt_i64_e64 s[0:1], 0, v[2:3]
	v_not_b32_e32 v8, v3
	v_lshlrev_b32_e32 v3, 29, v6
	v_add_lshl_u32 v9, v15, v1, 2
	v_xor_b32_e32 v1, vcc_hi, v11
	v_xor_b32_e32 v0, vcc_lo, v0
	v_ashrrev_i32_e32 v8, 31, v8
	v_not_b32_e32 v11, v3
	v_cmp_gt_i64_e32 vcc, 0, v[2:3]
	v_lshlrev_b32_e32 v3, 28, v6
	v_and_b32_e32 v0, exec_lo, v0
	v_xor_b32_e32 v12, s1, v8
	v_xor_b32_e32 v8, s0, v8
	v_ashrrev_i32_e32 v11, 31, v11
	v_and_b32_e32 v1, exec_hi, v1
	v_and_b32_e32 v0, v0, v8
	v_xor_b32_e32 v8, vcc_hi, v11
	v_xor_b32_e32 v11, vcc_lo, v11
	v_cmp_gt_i64_e32 vcc, 0, v[2:3]
	v_not_b32_e32 v3, v3
	v_and_b32_e32 v1, v1, v12
	v_ashrrev_i32_e32 v3, 31, v3
	v_and_b32_e32 v1, v1, v8
	v_and_b32_e32 v0, v0, v11
	v_xor_b32_e32 v8, vcc_hi, v3
	v_xor_b32_e32 v3, vcc_lo, v3
	v_and_b32_e32 v0, v0, v3
	v_lshlrev_b32_e32 v3, 27, v6
	v_cmp_gt_i64_e32 vcc, 0, v[2:3]
	v_not_b32_e32 v3, v3
	v_ashrrev_i32_e32 v3, 31, v3
	v_and_b32_e32 v1, v1, v8
	v_xor_b32_e32 v8, vcc_hi, v3
	v_xor_b32_e32 v3, vcc_lo, v3
	v_and_b32_e32 v0, v0, v3
	v_lshlrev_b32_e32 v3, 26, v6
	v_cmp_gt_i64_e32 vcc, 0, v[2:3]
	v_not_b32_e32 v3, v3
	v_ashrrev_i32_e32 v3, 31, v3
	;; [unrolled: 8-line block ×4, first 2 shown]
	v_xor_b32_e32 v6, vcc_hi, v3
	v_xor_b32_e32 v3, vcc_lo, v3
	v_and_b32_e32 v1, v1, v8
	v_and_b32_e32 v0, v0, v3
	;; [unrolled: 1-line block ×3, first 2 shown]
	v_mbcnt_lo_u32_b32 v3, v0, 0
	v_mbcnt_hi_u32_b32 v6, v1, v3
	v_cmp_eq_u32_e32 vcc, 0, v6
	v_cmp_ne_u64_e64 s[0:1], 0, v[0:1]
	s_and_b64 s[4:5], s[0:1], vcc
	s_and_saveexec_b64 s[0:1], s[4:5]
	s_cbranch_execz .LBB906_124
; %bb.123:
	v_bcnt_u32_b32 v0, v0, 0
	v_bcnt_u32_b32 v0, v1, v0
	ds_write_b32 v9, v0 offset:32
.LBB906_124:
	s_or_b64 exec, exec, s[0:1]
	s_waitcnt vmcnt(14)
	v_xor_b32_e32 v22, 0x80000000, v7
	v_lshrrev_b32_e32 v0, s52, v22
	v_and_b32_e32 v0, s16, v0
	v_lshl_add_u32 v1, v0, 3, v0
	v_add_lshl_u32 v11, v15, v1, 2
	v_and_b32_e32 v1, 1, v0
	v_add_co_u32_e32 v3, vcc, -1, v1
	v_addc_co_u32_e64 v8, s[0:1], 0, -1, vcc
	v_cmp_ne_u32_e32 vcc, 0, v1
	v_xor_b32_e32 v3, vcc_lo, v3
	v_xor_b32_e32 v1, vcc_hi, v8
	v_and_b32_e32 v8, exec_lo, v3
	v_lshlrev_b32_e32 v3, 30, v0
	v_cmp_gt_i64_e32 vcc, 0, v[2:3]
	v_not_b32_e32 v3, v3
	v_ashrrev_i32_e32 v3, 31, v3
	v_xor_b32_e32 v12, vcc_hi, v3
	v_xor_b32_e32 v3, vcc_lo, v3
	v_and_b32_e32 v8, v8, v3
	v_lshlrev_b32_e32 v3, 29, v0
	v_cmp_gt_i64_e32 vcc, 0, v[2:3]
	v_not_b32_e32 v3, v3
	v_and_b32_e32 v1, exec_hi, v1
	v_ashrrev_i32_e32 v3, 31, v3
	v_and_b32_e32 v1, v1, v12
	v_xor_b32_e32 v12, vcc_hi, v3
	v_xor_b32_e32 v3, vcc_lo, v3
	v_and_b32_e32 v8, v8, v3
	v_lshlrev_b32_e32 v3, 28, v0
	v_cmp_gt_i64_e32 vcc, 0, v[2:3]
	v_not_b32_e32 v3, v3
	v_ashrrev_i32_e32 v3, 31, v3
	v_and_b32_e32 v1, v1, v12
	v_xor_b32_e32 v12, vcc_hi, v3
	v_xor_b32_e32 v3, vcc_lo, v3
	v_and_b32_e32 v8, v8, v3
	v_lshlrev_b32_e32 v3, 27, v0
	v_cmp_gt_i64_e32 vcc, 0, v[2:3]
	v_not_b32_e32 v3, v3
	;; [unrolled: 8-line block ×4, first 2 shown]
	v_ashrrev_i32_e32 v3, 31, v3
	v_and_b32_e32 v1, v1, v12
	v_xor_b32_e32 v12, vcc_hi, v3
	v_xor_b32_e32 v3, vcc_lo, v3
	v_and_b32_e32 v8, v8, v3
	v_lshlrev_b32_e32 v3, 24, v0
	v_not_b32_e32 v0, v3
	v_cmp_gt_i64_e32 vcc, 0, v[2:3]
	v_ashrrev_i32_e32 v0, 31, v0
	v_xor_b32_e32 v2, vcc_hi, v0
	v_xor_b32_e32 v0, vcc_lo, v0
	; wave barrier
	ds_read_b32 v7, v11 offset:32
	v_and_b32_e32 v1, v1, v12
	v_and_b32_e32 v0, v8, v0
	;; [unrolled: 1-line block ×3, first 2 shown]
	v_mbcnt_lo_u32_b32 v2, v0, 0
	v_mbcnt_hi_u32_b32 v8, v1, v2
	v_cmp_eq_u32_e32 vcc, 0, v8
	v_cmp_ne_u64_e64 s[0:1], 0, v[0:1]
	s_and_b64 s[4:5], s[0:1], vcc
	; wave barrier
	s_and_saveexec_b64 s[0:1], s[4:5]
	s_cbranch_execz .LBB906_126
; %bb.125:
	v_bcnt_u32_b32 v0, v0, 0
	v_bcnt_u32_b32 v0, v1, v0
	s_waitcnt lgkmcnt(0)
	v_add_u32_e32 v0, v7, v0
	ds_write_b32 v11, v0 offset:32
.LBB906_126:
	s_or_b64 exec, exec, s[0:1]
	s_waitcnt vmcnt(13)
	v_xor_b32_e32 v23, 0x80000000, v10
	v_lshrrev_b32_e32 v0, s52, v23
	v_and_b32_e32 v2, s16, v0
	v_and_b32_e32 v1, 1, v2
	v_add_co_u32_e32 v3, vcc, -1, v1
	v_addc_co_u32_e64 v12, s[0:1], 0, -1, vcc
	v_cmp_ne_u32_e32 vcc, 0, v1
	v_lshl_add_u32 v0, v2, 3, v2
	v_xor_b32_e32 v1, vcc_hi, v12
	v_add_lshl_u32 v16, v15, v0, 2
	v_mov_b32_e32 v0, 0
	v_and_b32_e32 v12, exec_hi, v1
	v_lshlrev_b32_e32 v1, 30, v2
	v_xor_b32_e32 v3, vcc_lo, v3
	v_cmp_gt_i64_e32 vcc, 0, v[0:1]
	v_not_b32_e32 v1, v1
	v_ashrrev_i32_e32 v1, 31, v1
	v_and_b32_e32 v3, exec_lo, v3
	v_xor_b32_e32 v17, vcc_hi, v1
	v_xor_b32_e32 v1, vcc_lo, v1
	v_and_b32_e32 v3, v3, v1
	v_lshlrev_b32_e32 v1, 29, v2
	v_cmp_gt_i64_e32 vcc, 0, v[0:1]
	v_not_b32_e32 v1, v1
	v_ashrrev_i32_e32 v1, 31, v1
	v_and_b32_e32 v12, v12, v17
	v_xor_b32_e32 v17, vcc_hi, v1
	v_xor_b32_e32 v1, vcc_lo, v1
	v_and_b32_e32 v3, v3, v1
	v_lshlrev_b32_e32 v1, 28, v2
	v_cmp_gt_i64_e32 vcc, 0, v[0:1]
	v_not_b32_e32 v1, v1
	v_ashrrev_i32_e32 v1, 31, v1
	v_and_b32_e32 v12, v12, v17
	v_xor_b32_e32 v17, vcc_hi, v1
	v_xor_b32_e32 v1, vcc_lo, v1
	v_and_b32_e32 v3, v3, v1
	v_lshlrev_b32_e32 v1, 27, v2
	v_cmp_gt_i64_e32 vcc, 0, v[0:1]
	v_not_b32_e32 v1, v1
	v_ashrrev_i32_e32 v1, 31, v1
	v_and_b32_e32 v12, v12, v17
	v_xor_b32_e32 v17, vcc_hi, v1
	v_xor_b32_e32 v1, vcc_lo, v1
	v_and_b32_e32 v3, v3, v1
	v_lshlrev_b32_e32 v1, 26, v2
	v_cmp_gt_i64_e32 vcc, 0, v[0:1]
	v_not_b32_e32 v1, v1
	v_ashrrev_i32_e32 v1, 31, v1
	v_and_b32_e32 v12, v12, v17
	v_xor_b32_e32 v17, vcc_hi, v1
	v_xor_b32_e32 v1, vcc_lo, v1
	v_and_b32_e32 v3, v3, v1
	v_lshlrev_b32_e32 v1, 25, v2
	v_cmp_gt_i64_e32 vcc, 0, v[0:1]
	v_not_b32_e32 v1, v1
	v_ashrrev_i32_e32 v1, 31, v1
	v_and_b32_e32 v12, v12, v17
	v_xor_b32_e32 v17, vcc_hi, v1
	v_xor_b32_e32 v1, vcc_lo, v1
	v_and_b32_e32 v12, v12, v17
	v_and_b32_e32 v17, v3, v1
	v_lshlrev_b32_e32 v1, 24, v2
	v_cmp_gt_i64_e32 vcc, 0, v[0:1]
	v_not_b32_e32 v1, v1
	v_ashrrev_i32_e32 v1, 31, v1
	v_xor_b32_e32 v2, vcc_hi, v1
	v_xor_b32_e32 v1, vcc_lo, v1
	; wave barrier
	ds_read_b32 v10, v16 offset:32
	v_and_b32_e32 v3, v12, v2
	v_and_b32_e32 v2, v17, v1
	v_mbcnt_lo_u32_b32 v1, v2, 0
	v_mbcnt_hi_u32_b32 v12, v3, v1
	v_cmp_eq_u32_e32 vcc, 0, v12
	v_cmp_ne_u64_e64 s[0:1], 0, v[2:3]
	s_and_b64 s[4:5], s[0:1], vcc
	; wave barrier
	s_and_saveexec_b64 s[0:1], s[4:5]
	s_cbranch_execz .LBB906_128
; %bb.127:
	v_bcnt_u32_b32 v1, v2, 0
	v_bcnt_u32_b32 v1, v3, v1
	s_waitcnt lgkmcnt(0)
	v_add_u32_e32 v1, v10, v1
	ds_write_b32 v16, v1 offset:32
.LBB906_128:
	s_or_b64 exec, exec, s[0:1]
	s_waitcnt vmcnt(12)
	v_xor_b32_e32 v24, 0x80000000, v13
	v_lshrrev_b32_e32 v1, s52, v24
	v_and_b32_e32 v2, s16, v1
	v_lshl_add_u32 v1, v2, 3, v2
	v_add_lshl_u32 v31, v15, v1, 2
	v_and_b32_e32 v1, 1, v2
	v_add_co_u32_e32 v3, vcc, -1, v1
	v_addc_co_u32_e64 v17, s[0:1], 0, -1, vcc
	v_cmp_ne_u32_e32 vcc, 0, v1
	v_xor_b32_e32 v1, vcc_hi, v17
	v_and_b32_e32 v17, exec_hi, v1
	v_lshlrev_b32_e32 v1, 30, v2
	v_xor_b32_e32 v3, vcc_lo, v3
	v_cmp_gt_i64_e32 vcc, 0, v[0:1]
	v_not_b32_e32 v1, v1
	v_ashrrev_i32_e32 v1, 31, v1
	v_and_b32_e32 v3, exec_lo, v3
	v_xor_b32_e32 v29, vcc_hi, v1
	v_xor_b32_e32 v1, vcc_lo, v1
	v_and_b32_e32 v3, v3, v1
	v_lshlrev_b32_e32 v1, 29, v2
	v_cmp_gt_i64_e32 vcc, 0, v[0:1]
	v_not_b32_e32 v1, v1
	v_ashrrev_i32_e32 v1, 31, v1
	v_and_b32_e32 v17, v17, v29
	v_xor_b32_e32 v29, vcc_hi, v1
	v_xor_b32_e32 v1, vcc_lo, v1
	v_and_b32_e32 v3, v3, v1
	v_lshlrev_b32_e32 v1, 28, v2
	v_cmp_gt_i64_e32 vcc, 0, v[0:1]
	v_not_b32_e32 v1, v1
	v_ashrrev_i32_e32 v1, 31, v1
	v_and_b32_e32 v17, v17, v29
	;; [unrolled: 8-line block ×5, first 2 shown]
	v_xor_b32_e32 v29, vcc_hi, v1
	v_xor_b32_e32 v1, vcc_lo, v1
	v_and_b32_e32 v3, v3, v1
	v_lshlrev_b32_e32 v1, 24, v2
	v_cmp_gt_i64_e32 vcc, 0, v[0:1]
	v_not_b32_e32 v0, v1
	v_ashrrev_i32_e32 v0, 31, v0
	v_xor_b32_e32 v1, vcc_hi, v0
	v_xor_b32_e32 v0, vcc_lo, v0
	; wave barrier
	ds_read_b32 v13, v31 offset:32
	v_and_b32_e32 v17, v17, v29
	v_and_b32_e32 v0, v3, v0
	;; [unrolled: 1-line block ×3, first 2 shown]
	v_mbcnt_lo_u32_b32 v2, v0, 0
	v_mbcnt_hi_u32_b32 v17, v1, v2
	v_cmp_eq_u32_e32 vcc, 0, v17
	v_cmp_ne_u64_e64 s[0:1], 0, v[0:1]
	s_and_b64 s[4:5], s[0:1], vcc
	; wave barrier
	s_and_saveexec_b64 s[0:1], s[4:5]
	s_cbranch_execz .LBB906_130
; %bb.129:
	v_bcnt_u32_b32 v0, v0, 0
	v_bcnt_u32_b32 v0, v1, v0
	s_waitcnt lgkmcnt(0)
	v_add_u32_e32 v0, v13, v0
	ds_write_b32 v31, v0 offset:32
.LBB906_130:
	s_or_b64 exec, exec, s[0:1]
	s_waitcnt vmcnt(11)
	v_xor_b32_e32 v25, 0x80000000, v25
	v_lshrrev_b32_e32 v0, s52, v25
	v_and_b32_e32 v2, s16, v0
	v_and_b32_e32 v1, 1, v2
	v_add_co_u32_e32 v3, vcc, -1, v1
	v_addc_co_u32_e64 v33, s[0:1], 0, -1, vcc
	v_cmp_ne_u32_e32 vcc, 0, v1
	v_lshl_add_u32 v0, v2, 3, v2
	v_xor_b32_e32 v1, vcc_hi, v33
	v_add_lshl_u32 v36, v15, v0, 2
	v_mov_b32_e32 v0, 0
	v_and_b32_e32 v33, exec_hi, v1
	v_lshlrev_b32_e32 v1, 30, v2
	v_xor_b32_e32 v3, vcc_lo, v3
	v_cmp_gt_i64_e32 vcc, 0, v[0:1]
	v_not_b32_e32 v1, v1
	v_ashrrev_i32_e32 v1, 31, v1
	v_and_b32_e32 v3, exec_lo, v3
	v_xor_b32_e32 v34, vcc_hi, v1
	v_xor_b32_e32 v1, vcc_lo, v1
	v_and_b32_e32 v3, v3, v1
	v_lshlrev_b32_e32 v1, 29, v2
	v_cmp_gt_i64_e32 vcc, 0, v[0:1]
	v_not_b32_e32 v1, v1
	v_ashrrev_i32_e32 v1, 31, v1
	v_and_b32_e32 v33, v33, v34
	v_xor_b32_e32 v34, vcc_hi, v1
	v_xor_b32_e32 v1, vcc_lo, v1
	v_and_b32_e32 v3, v3, v1
	v_lshlrev_b32_e32 v1, 28, v2
	v_cmp_gt_i64_e32 vcc, 0, v[0:1]
	v_not_b32_e32 v1, v1
	v_ashrrev_i32_e32 v1, 31, v1
	v_and_b32_e32 v33, v33, v34
	;; [unrolled: 8-line block ×5, first 2 shown]
	v_xor_b32_e32 v34, vcc_hi, v1
	v_xor_b32_e32 v1, vcc_lo, v1
	v_and_b32_e32 v33, v33, v34
	v_and_b32_e32 v34, v3, v1
	v_lshlrev_b32_e32 v1, 24, v2
	v_cmp_gt_i64_e32 vcc, 0, v[0:1]
	v_not_b32_e32 v1, v1
	v_ashrrev_i32_e32 v1, 31, v1
	v_xor_b32_e32 v2, vcc_hi, v1
	v_xor_b32_e32 v1, vcc_lo, v1
	; wave barrier
	ds_read_b32 v29, v36 offset:32
	v_and_b32_e32 v3, v33, v2
	v_and_b32_e32 v2, v34, v1
	v_mbcnt_lo_u32_b32 v1, v2, 0
	v_mbcnt_hi_u32_b32 v33, v3, v1
	v_cmp_eq_u32_e32 vcc, 0, v33
	v_cmp_ne_u64_e64 s[0:1], 0, v[2:3]
	s_and_b64 s[4:5], s[0:1], vcc
	; wave barrier
	s_and_saveexec_b64 s[0:1], s[4:5]
	s_cbranch_execz .LBB906_132
; %bb.131:
	v_bcnt_u32_b32 v1, v2, 0
	v_bcnt_u32_b32 v1, v3, v1
	s_waitcnt lgkmcnt(0)
	v_add_u32_e32 v1, v29, v1
	ds_write_b32 v36, v1 offset:32
.LBB906_132:
	s_or_b64 exec, exec, s[0:1]
	s_waitcnt vmcnt(10)
	v_xor_b32_e32 v26, 0x80000000, v26
	v_lshrrev_b32_e32 v1, s52, v26
	v_and_b32_e32 v2, s16, v1
	v_lshl_add_u32 v1, v2, 3, v2
	v_add_lshl_u32 v41, v15, v1, 2
	v_and_b32_e32 v1, 1, v2
	v_add_co_u32_e32 v3, vcc, -1, v1
	v_addc_co_u32_e64 v38, s[0:1], 0, -1, vcc
	v_cmp_ne_u32_e32 vcc, 0, v1
	v_xor_b32_e32 v1, vcc_hi, v38
	v_and_b32_e32 v38, exec_hi, v1
	v_lshlrev_b32_e32 v1, 30, v2
	v_xor_b32_e32 v3, vcc_lo, v3
	v_cmp_gt_i64_e32 vcc, 0, v[0:1]
	v_not_b32_e32 v1, v1
	v_ashrrev_i32_e32 v1, 31, v1
	v_and_b32_e32 v3, exec_lo, v3
	v_xor_b32_e32 v39, vcc_hi, v1
	v_xor_b32_e32 v1, vcc_lo, v1
	v_and_b32_e32 v3, v3, v1
	v_lshlrev_b32_e32 v1, 29, v2
	v_cmp_gt_i64_e32 vcc, 0, v[0:1]
	v_not_b32_e32 v1, v1
	v_ashrrev_i32_e32 v1, 31, v1
	v_and_b32_e32 v38, v38, v39
	v_xor_b32_e32 v39, vcc_hi, v1
	v_xor_b32_e32 v1, vcc_lo, v1
	v_and_b32_e32 v3, v3, v1
	v_lshlrev_b32_e32 v1, 28, v2
	v_cmp_gt_i64_e32 vcc, 0, v[0:1]
	v_not_b32_e32 v1, v1
	v_ashrrev_i32_e32 v1, 31, v1
	v_and_b32_e32 v38, v38, v39
	;; [unrolled: 8-line block ×5, first 2 shown]
	v_xor_b32_e32 v39, vcc_hi, v1
	v_xor_b32_e32 v1, vcc_lo, v1
	v_and_b32_e32 v3, v3, v1
	v_lshlrev_b32_e32 v1, 24, v2
	v_cmp_gt_i64_e32 vcc, 0, v[0:1]
	v_not_b32_e32 v0, v1
	v_ashrrev_i32_e32 v0, 31, v0
	v_xor_b32_e32 v1, vcc_hi, v0
	v_xor_b32_e32 v0, vcc_lo, v0
	; wave barrier
	ds_read_b32 v34, v41 offset:32
	v_and_b32_e32 v38, v38, v39
	v_and_b32_e32 v0, v3, v0
	;; [unrolled: 1-line block ×3, first 2 shown]
	v_mbcnt_lo_u32_b32 v2, v0, 0
	v_mbcnt_hi_u32_b32 v38, v1, v2
	v_cmp_eq_u32_e32 vcc, 0, v38
	v_cmp_ne_u64_e64 s[0:1], 0, v[0:1]
	s_and_b64 s[4:5], s[0:1], vcc
	; wave barrier
	s_and_saveexec_b64 s[0:1], s[4:5]
	s_cbranch_execz .LBB906_134
; %bb.133:
	v_bcnt_u32_b32 v0, v0, 0
	v_bcnt_u32_b32 v0, v1, v0
	s_waitcnt lgkmcnt(0)
	v_add_u32_e32 v0, v34, v0
	ds_write_b32 v41, v0 offset:32
.LBB906_134:
	s_or_b64 exec, exec, s[0:1]
	s_waitcnt vmcnt(9)
	v_xor_b32_e32 v27, 0x80000000, v27
	v_lshrrev_b32_e32 v0, s52, v27
	v_and_b32_e32 v2, s16, v0
	v_and_b32_e32 v1, 1, v2
	v_add_co_u32_e32 v3, vcc, -1, v1
	v_addc_co_u32_e64 v43, s[0:1], 0, -1, vcc
	v_cmp_ne_u32_e32 vcc, 0, v1
	v_lshl_add_u32 v0, v2, 3, v2
	v_xor_b32_e32 v1, vcc_hi, v43
	v_add_lshl_u32 v46, v15, v0, 2
	v_mov_b32_e32 v0, 0
	v_and_b32_e32 v43, exec_hi, v1
	v_lshlrev_b32_e32 v1, 30, v2
	v_xor_b32_e32 v3, vcc_lo, v3
	v_cmp_gt_i64_e32 vcc, 0, v[0:1]
	v_not_b32_e32 v1, v1
	v_ashrrev_i32_e32 v1, 31, v1
	v_and_b32_e32 v3, exec_lo, v3
	v_xor_b32_e32 v44, vcc_hi, v1
	v_xor_b32_e32 v1, vcc_lo, v1
	v_and_b32_e32 v3, v3, v1
	v_lshlrev_b32_e32 v1, 29, v2
	v_cmp_gt_i64_e32 vcc, 0, v[0:1]
	v_not_b32_e32 v1, v1
	v_ashrrev_i32_e32 v1, 31, v1
	v_and_b32_e32 v43, v43, v44
	v_xor_b32_e32 v44, vcc_hi, v1
	v_xor_b32_e32 v1, vcc_lo, v1
	v_and_b32_e32 v3, v3, v1
	v_lshlrev_b32_e32 v1, 28, v2
	v_cmp_gt_i64_e32 vcc, 0, v[0:1]
	v_not_b32_e32 v1, v1
	v_ashrrev_i32_e32 v1, 31, v1
	v_and_b32_e32 v43, v43, v44
	;; [unrolled: 8-line block ×5, first 2 shown]
	v_xor_b32_e32 v44, vcc_hi, v1
	v_xor_b32_e32 v1, vcc_lo, v1
	v_and_b32_e32 v43, v43, v44
	v_and_b32_e32 v44, v3, v1
	v_lshlrev_b32_e32 v1, 24, v2
	v_cmp_gt_i64_e32 vcc, 0, v[0:1]
	v_not_b32_e32 v1, v1
	v_ashrrev_i32_e32 v1, 31, v1
	v_xor_b32_e32 v2, vcc_hi, v1
	v_xor_b32_e32 v1, vcc_lo, v1
	; wave barrier
	ds_read_b32 v39, v46 offset:32
	v_and_b32_e32 v3, v43, v2
	v_and_b32_e32 v2, v44, v1
	v_mbcnt_lo_u32_b32 v1, v2, 0
	v_mbcnt_hi_u32_b32 v43, v3, v1
	v_cmp_eq_u32_e32 vcc, 0, v43
	v_cmp_ne_u64_e64 s[0:1], 0, v[2:3]
	s_and_b64 s[4:5], s[0:1], vcc
	; wave barrier
	s_and_saveexec_b64 s[0:1], s[4:5]
	s_cbranch_execz .LBB906_136
; %bb.135:
	v_bcnt_u32_b32 v1, v2, 0
	v_bcnt_u32_b32 v1, v3, v1
	s_waitcnt lgkmcnt(0)
	v_add_u32_e32 v1, v39, v1
	ds_write_b32 v46, v1 offset:32
.LBB906_136:
	s_or_b64 exec, exec, s[0:1]
	s_waitcnt vmcnt(8)
	v_xor_b32_e32 v28, 0x80000000, v28
	v_lshrrev_b32_e32 v1, s52, v28
	v_and_b32_e32 v2, s16, v1
	v_lshl_add_u32 v1, v2, 3, v2
	v_add_lshl_u32 v49, v15, v1, 2
	v_and_b32_e32 v1, 1, v2
	v_add_co_u32_e32 v3, vcc, -1, v1
	v_addc_co_u32_e64 v47, s[0:1], 0, -1, vcc
	v_cmp_ne_u32_e32 vcc, 0, v1
	v_xor_b32_e32 v1, vcc_hi, v47
	v_and_b32_e32 v47, exec_hi, v1
	v_lshlrev_b32_e32 v1, 30, v2
	v_xor_b32_e32 v3, vcc_lo, v3
	v_cmp_gt_i64_e32 vcc, 0, v[0:1]
	v_not_b32_e32 v1, v1
	v_ashrrev_i32_e32 v1, 31, v1
	v_and_b32_e32 v3, exec_lo, v3
	v_xor_b32_e32 v48, vcc_hi, v1
	v_xor_b32_e32 v1, vcc_lo, v1
	v_and_b32_e32 v3, v3, v1
	v_lshlrev_b32_e32 v1, 29, v2
	v_cmp_gt_i64_e32 vcc, 0, v[0:1]
	v_not_b32_e32 v1, v1
	v_ashrrev_i32_e32 v1, 31, v1
	v_and_b32_e32 v47, v47, v48
	v_xor_b32_e32 v48, vcc_hi, v1
	v_xor_b32_e32 v1, vcc_lo, v1
	v_and_b32_e32 v3, v3, v1
	v_lshlrev_b32_e32 v1, 28, v2
	v_cmp_gt_i64_e32 vcc, 0, v[0:1]
	v_not_b32_e32 v1, v1
	v_ashrrev_i32_e32 v1, 31, v1
	v_and_b32_e32 v47, v47, v48
	;; [unrolled: 8-line block ×5, first 2 shown]
	v_xor_b32_e32 v48, vcc_hi, v1
	v_xor_b32_e32 v1, vcc_lo, v1
	v_and_b32_e32 v3, v3, v1
	v_lshlrev_b32_e32 v1, 24, v2
	v_cmp_gt_i64_e32 vcc, 0, v[0:1]
	v_not_b32_e32 v0, v1
	v_ashrrev_i32_e32 v0, 31, v0
	v_xor_b32_e32 v1, vcc_hi, v0
	v_xor_b32_e32 v0, vcc_lo, v0
	; wave barrier
	ds_read_b32 v44, v49 offset:32
	v_and_b32_e32 v47, v47, v48
	v_and_b32_e32 v0, v3, v0
	;; [unrolled: 1-line block ×3, first 2 shown]
	v_mbcnt_lo_u32_b32 v2, v0, 0
	v_mbcnt_hi_u32_b32 v47, v1, v2
	v_cmp_eq_u32_e32 vcc, 0, v47
	v_cmp_ne_u64_e64 s[0:1], 0, v[0:1]
	s_and_b64 s[4:5], s[0:1], vcc
	; wave barrier
	s_and_saveexec_b64 s[0:1], s[4:5]
	s_cbranch_execz .LBB906_138
; %bb.137:
	v_bcnt_u32_b32 v0, v0, 0
	v_bcnt_u32_b32 v0, v1, v0
	s_waitcnt lgkmcnt(0)
	v_add_u32_e32 v0, v44, v0
	ds_write_b32 v49, v0 offset:32
.LBB906_138:
	s_or_b64 exec, exec, s[0:1]
	s_waitcnt vmcnt(7)
	v_xor_b32_e32 v32, 0x80000000, v32
	v_lshrrev_b32_e32 v0, s52, v32
	v_and_b32_e32 v2, s16, v0
	v_and_b32_e32 v1, 1, v2
	v_add_co_u32_e32 v3, vcc, -1, v1
	v_addc_co_u32_e64 v50, s[0:1], 0, -1, vcc
	v_cmp_ne_u32_e32 vcc, 0, v1
	v_lshl_add_u32 v0, v2, 3, v2
	v_xor_b32_e32 v1, vcc_hi, v50
	v_add_lshl_u32 v52, v15, v0, 2
	v_mov_b32_e32 v0, 0
	v_and_b32_e32 v50, exec_hi, v1
	v_lshlrev_b32_e32 v1, 30, v2
	v_xor_b32_e32 v3, vcc_lo, v3
	v_cmp_gt_i64_e32 vcc, 0, v[0:1]
	v_not_b32_e32 v1, v1
	v_ashrrev_i32_e32 v1, 31, v1
	v_and_b32_e32 v3, exec_lo, v3
	v_xor_b32_e32 v51, vcc_hi, v1
	v_xor_b32_e32 v1, vcc_lo, v1
	v_and_b32_e32 v3, v3, v1
	v_lshlrev_b32_e32 v1, 29, v2
	v_cmp_gt_i64_e32 vcc, 0, v[0:1]
	v_not_b32_e32 v1, v1
	v_ashrrev_i32_e32 v1, 31, v1
	v_and_b32_e32 v50, v50, v51
	v_xor_b32_e32 v51, vcc_hi, v1
	v_xor_b32_e32 v1, vcc_lo, v1
	v_and_b32_e32 v3, v3, v1
	v_lshlrev_b32_e32 v1, 28, v2
	v_cmp_gt_i64_e32 vcc, 0, v[0:1]
	v_not_b32_e32 v1, v1
	v_ashrrev_i32_e32 v1, 31, v1
	v_and_b32_e32 v50, v50, v51
	;; [unrolled: 8-line block ×5, first 2 shown]
	v_xor_b32_e32 v51, vcc_hi, v1
	v_xor_b32_e32 v1, vcc_lo, v1
	v_and_b32_e32 v50, v50, v51
	v_and_b32_e32 v51, v3, v1
	v_lshlrev_b32_e32 v1, 24, v2
	v_cmp_gt_i64_e32 vcc, 0, v[0:1]
	v_not_b32_e32 v1, v1
	v_ashrrev_i32_e32 v1, 31, v1
	v_xor_b32_e32 v2, vcc_hi, v1
	v_xor_b32_e32 v1, vcc_lo, v1
	; wave barrier
	ds_read_b32 v48, v52 offset:32
	v_and_b32_e32 v3, v50, v2
	v_and_b32_e32 v2, v51, v1
	v_mbcnt_lo_u32_b32 v1, v2, 0
	v_mbcnt_hi_u32_b32 v50, v3, v1
	v_cmp_eq_u32_e32 vcc, 0, v50
	v_cmp_ne_u64_e64 s[0:1], 0, v[2:3]
	s_and_b64 s[4:5], s[0:1], vcc
	; wave barrier
	s_and_saveexec_b64 s[0:1], s[4:5]
	s_cbranch_execz .LBB906_140
; %bb.139:
	v_bcnt_u32_b32 v1, v2, 0
	v_bcnt_u32_b32 v1, v3, v1
	s_waitcnt lgkmcnt(0)
	v_add_u32_e32 v1, v48, v1
	ds_write_b32 v52, v1 offset:32
.LBB906_140:
	s_or_b64 exec, exec, s[0:1]
	s_waitcnt vmcnt(6)
	v_xor_b32_e32 v37, 0x80000000, v37
	v_lshrrev_b32_e32 v1, s52, v37
	v_and_b32_e32 v2, s16, v1
	v_lshl_add_u32 v1, v2, 3, v2
	v_add_lshl_u32 v55, v15, v1, 2
	v_and_b32_e32 v1, 1, v2
	v_add_co_u32_e32 v3, vcc, -1, v1
	v_addc_co_u32_e64 v53, s[0:1], 0, -1, vcc
	v_cmp_ne_u32_e32 vcc, 0, v1
	v_xor_b32_e32 v1, vcc_hi, v53
	v_and_b32_e32 v53, exec_hi, v1
	v_lshlrev_b32_e32 v1, 30, v2
	v_xor_b32_e32 v3, vcc_lo, v3
	v_cmp_gt_i64_e32 vcc, 0, v[0:1]
	v_not_b32_e32 v1, v1
	v_ashrrev_i32_e32 v1, 31, v1
	v_and_b32_e32 v3, exec_lo, v3
	v_xor_b32_e32 v54, vcc_hi, v1
	v_xor_b32_e32 v1, vcc_lo, v1
	v_and_b32_e32 v3, v3, v1
	v_lshlrev_b32_e32 v1, 29, v2
	v_cmp_gt_i64_e32 vcc, 0, v[0:1]
	v_not_b32_e32 v1, v1
	v_ashrrev_i32_e32 v1, 31, v1
	v_and_b32_e32 v53, v53, v54
	v_xor_b32_e32 v54, vcc_hi, v1
	v_xor_b32_e32 v1, vcc_lo, v1
	v_and_b32_e32 v3, v3, v1
	v_lshlrev_b32_e32 v1, 28, v2
	v_cmp_gt_i64_e32 vcc, 0, v[0:1]
	v_not_b32_e32 v1, v1
	v_ashrrev_i32_e32 v1, 31, v1
	v_and_b32_e32 v53, v53, v54
	;; [unrolled: 8-line block ×5, first 2 shown]
	v_xor_b32_e32 v54, vcc_hi, v1
	v_xor_b32_e32 v1, vcc_lo, v1
	v_and_b32_e32 v3, v3, v1
	v_lshlrev_b32_e32 v1, 24, v2
	v_cmp_gt_i64_e32 vcc, 0, v[0:1]
	v_not_b32_e32 v0, v1
	v_ashrrev_i32_e32 v0, 31, v0
	v_xor_b32_e32 v1, vcc_hi, v0
	v_xor_b32_e32 v0, vcc_lo, v0
	; wave barrier
	ds_read_b32 v51, v55 offset:32
	v_and_b32_e32 v53, v53, v54
	v_and_b32_e32 v0, v3, v0
	;; [unrolled: 1-line block ×3, first 2 shown]
	v_mbcnt_lo_u32_b32 v2, v0, 0
	v_mbcnt_hi_u32_b32 v53, v1, v2
	v_cmp_eq_u32_e32 vcc, 0, v53
	v_cmp_ne_u64_e64 s[0:1], 0, v[0:1]
	s_and_b64 s[4:5], s[0:1], vcc
	; wave barrier
	s_and_saveexec_b64 s[0:1], s[4:5]
	s_cbranch_execz .LBB906_142
; %bb.141:
	v_bcnt_u32_b32 v0, v0, 0
	v_bcnt_u32_b32 v0, v1, v0
	s_waitcnt lgkmcnt(0)
	v_add_u32_e32 v0, v51, v0
	ds_write_b32 v55, v0 offset:32
.LBB906_142:
	s_or_b64 exec, exec, s[0:1]
	s_waitcnt vmcnt(5)
	v_xor_b32_e32 v42, 0x80000000, v42
	v_lshrrev_b32_e32 v0, s52, v42
	v_and_b32_e32 v2, s16, v0
	v_and_b32_e32 v1, 1, v2
	v_add_co_u32_e32 v3, vcc, -1, v1
	v_addc_co_u32_e64 v56, s[0:1], 0, -1, vcc
	v_cmp_ne_u32_e32 vcc, 0, v1
	v_lshl_add_u32 v0, v2, 3, v2
	v_xor_b32_e32 v1, vcc_hi, v56
	v_add_lshl_u32 v58, v15, v0, 2
	v_mov_b32_e32 v0, 0
	v_and_b32_e32 v56, exec_hi, v1
	v_lshlrev_b32_e32 v1, 30, v2
	v_xor_b32_e32 v3, vcc_lo, v3
	v_cmp_gt_i64_e32 vcc, 0, v[0:1]
	v_not_b32_e32 v1, v1
	v_ashrrev_i32_e32 v1, 31, v1
	v_and_b32_e32 v3, exec_lo, v3
	v_xor_b32_e32 v57, vcc_hi, v1
	v_xor_b32_e32 v1, vcc_lo, v1
	v_and_b32_e32 v3, v3, v1
	v_lshlrev_b32_e32 v1, 29, v2
	v_cmp_gt_i64_e32 vcc, 0, v[0:1]
	v_not_b32_e32 v1, v1
	v_ashrrev_i32_e32 v1, 31, v1
	v_and_b32_e32 v56, v56, v57
	v_xor_b32_e32 v57, vcc_hi, v1
	v_xor_b32_e32 v1, vcc_lo, v1
	v_and_b32_e32 v3, v3, v1
	v_lshlrev_b32_e32 v1, 28, v2
	v_cmp_gt_i64_e32 vcc, 0, v[0:1]
	v_not_b32_e32 v1, v1
	v_ashrrev_i32_e32 v1, 31, v1
	v_and_b32_e32 v56, v56, v57
	;; [unrolled: 8-line block ×5, first 2 shown]
	v_xor_b32_e32 v57, vcc_hi, v1
	v_xor_b32_e32 v1, vcc_lo, v1
	v_and_b32_e32 v56, v56, v57
	v_and_b32_e32 v57, v3, v1
	v_lshlrev_b32_e32 v1, 24, v2
	v_cmp_gt_i64_e32 vcc, 0, v[0:1]
	v_not_b32_e32 v1, v1
	v_ashrrev_i32_e32 v1, 31, v1
	v_xor_b32_e32 v2, vcc_hi, v1
	v_xor_b32_e32 v1, vcc_lo, v1
	; wave barrier
	ds_read_b32 v54, v58 offset:32
	v_and_b32_e32 v3, v56, v2
	v_and_b32_e32 v2, v57, v1
	v_mbcnt_lo_u32_b32 v1, v2, 0
	v_mbcnt_hi_u32_b32 v56, v3, v1
	v_cmp_eq_u32_e32 vcc, 0, v56
	v_cmp_ne_u64_e64 s[0:1], 0, v[2:3]
	s_and_b64 s[4:5], s[0:1], vcc
	; wave barrier
	s_and_saveexec_b64 s[0:1], s[4:5]
	s_cbranch_execz .LBB906_144
; %bb.143:
	v_bcnt_u32_b32 v1, v2, 0
	v_bcnt_u32_b32 v1, v3, v1
	s_waitcnt lgkmcnt(0)
	v_add_u32_e32 v1, v54, v1
	ds_write_b32 v58, v1 offset:32
.LBB906_144:
	s_or_b64 exec, exec, s[0:1]
	s_waitcnt vmcnt(4)
	v_xor_b32_e32 v45, 0x80000000, v45
	v_lshrrev_b32_e32 v1, s52, v45
	v_and_b32_e32 v2, s16, v1
	v_lshl_add_u32 v1, v2, 3, v2
	v_add_lshl_u32 v62, v15, v1, 2
	v_and_b32_e32 v1, 1, v2
	v_add_co_u32_e32 v3, vcc, -1, v1
	v_addc_co_u32_e64 v59, s[0:1], 0, -1, vcc
	v_cmp_ne_u32_e32 vcc, 0, v1
	v_xor_b32_e32 v1, vcc_hi, v59
	v_and_b32_e32 v59, exec_hi, v1
	v_lshlrev_b32_e32 v1, 30, v2
	v_xor_b32_e32 v3, vcc_lo, v3
	v_cmp_gt_i64_e32 vcc, 0, v[0:1]
	v_not_b32_e32 v1, v1
	v_ashrrev_i32_e32 v1, 31, v1
	v_and_b32_e32 v3, exec_lo, v3
	v_xor_b32_e32 v60, vcc_hi, v1
	v_xor_b32_e32 v1, vcc_lo, v1
	v_and_b32_e32 v3, v3, v1
	v_lshlrev_b32_e32 v1, 29, v2
	v_cmp_gt_i64_e32 vcc, 0, v[0:1]
	v_not_b32_e32 v1, v1
	v_ashrrev_i32_e32 v1, 31, v1
	v_and_b32_e32 v59, v59, v60
	v_xor_b32_e32 v60, vcc_hi, v1
	v_xor_b32_e32 v1, vcc_lo, v1
	v_and_b32_e32 v3, v3, v1
	v_lshlrev_b32_e32 v1, 28, v2
	v_cmp_gt_i64_e32 vcc, 0, v[0:1]
	v_not_b32_e32 v1, v1
	v_ashrrev_i32_e32 v1, 31, v1
	v_and_b32_e32 v59, v59, v60
	;; [unrolled: 8-line block ×5, first 2 shown]
	v_xor_b32_e32 v60, vcc_hi, v1
	v_xor_b32_e32 v1, vcc_lo, v1
	v_and_b32_e32 v3, v3, v1
	v_lshlrev_b32_e32 v1, 24, v2
	v_cmp_gt_i64_e32 vcc, 0, v[0:1]
	v_not_b32_e32 v0, v1
	v_ashrrev_i32_e32 v0, 31, v0
	v_xor_b32_e32 v1, vcc_hi, v0
	v_xor_b32_e32 v0, vcc_lo, v0
	; wave barrier
	ds_read_b32 v57, v62 offset:32
	v_and_b32_e32 v59, v59, v60
	v_and_b32_e32 v0, v3, v0
	;; [unrolled: 1-line block ×3, first 2 shown]
	v_mbcnt_lo_u32_b32 v2, v0, 0
	v_mbcnt_hi_u32_b32 v60, v1, v2
	v_cmp_eq_u32_e32 vcc, 0, v60
	v_cmp_ne_u64_e64 s[0:1], 0, v[0:1]
	s_and_b64 s[4:5], s[0:1], vcc
	; wave barrier
	s_and_saveexec_b64 s[0:1], s[4:5]
	s_cbranch_execz .LBB906_146
; %bb.145:
	v_bcnt_u32_b32 v0, v0, 0
	v_bcnt_u32_b32 v0, v1, v0
	s_waitcnt lgkmcnt(0)
	v_add_u32_e32 v0, v57, v0
	ds_write_b32 v62, v0 offset:32
.LBB906_146:
	s_or_b64 exec, exec, s[0:1]
	s_waitcnt vmcnt(3)
	v_xor_b32_e32 v40, 0x80000000, v40
	v_lshrrev_b32_e32 v0, s52, v40
	v_and_b32_e32 v2, s16, v0
	v_and_b32_e32 v1, 1, v2
	v_add_co_u32_e32 v3, vcc, -1, v1
	v_addc_co_u32_e64 v59, s[0:1], 0, -1, vcc
	v_cmp_ne_u32_e32 vcc, 0, v1
	v_lshl_add_u32 v0, v2, 3, v2
	v_xor_b32_e32 v1, vcc_hi, v59
	v_add_lshl_u32 v64, v15, v0, 2
	v_mov_b32_e32 v0, 0
	v_and_b32_e32 v59, exec_hi, v1
	v_lshlrev_b32_e32 v1, 30, v2
	v_xor_b32_e32 v3, vcc_lo, v3
	v_cmp_gt_i64_e32 vcc, 0, v[0:1]
	v_not_b32_e32 v1, v1
	v_ashrrev_i32_e32 v1, 31, v1
	v_and_b32_e32 v3, exec_lo, v3
	v_xor_b32_e32 v63, vcc_hi, v1
	v_xor_b32_e32 v1, vcc_lo, v1
	v_and_b32_e32 v3, v3, v1
	v_lshlrev_b32_e32 v1, 29, v2
	v_cmp_gt_i64_e32 vcc, 0, v[0:1]
	v_not_b32_e32 v1, v1
	v_ashrrev_i32_e32 v1, 31, v1
	v_and_b32_e32 v59, v59, v63
	v_xor_b32_e32 v63, vcc_hi, v1
	v_xor_b32_e32 v1, vcc_lo, v1
	v_and_b32_e32 v3, v3, v1
	v_lshlrev_b32_e32 v1, 28, v2
	v_cmp_gt_i64_e32 vcc, 0, v[0:1]
	v_not_b32_e32 v1, v1
	v_ashrrev_i32_e32 v1, 31, v1
	v_and_b32_e32 v59, v59, v63
	;; [unrolled: 8-line block ×5, first 2 shown]
	v_xor_b32_e32 v63, vcc_hi, v1
	v_xor_b32_e32 v1, vcc_lo, v1
	v_and_b32_e32 v59, v59, v63
	v_and_b32_e32 v63, v3, v1
	v_lshlrev_b32_e32 v1, 24, v2
	v_cmp_gt_i64_e32 vcc, 0, v[0:1]
	v_not_b32_e32 v1, v1
	v_ashrrev_i32_e32 v1, 31, v1
	v_xor_b32_e32 v2, vcc_hi, v1
	v_xor_b32_e32 v1, vcc_lo, v1
	; wave barrier
	ds_read_b32 v61, v64 offset:32
	v_and_b32_e32 v3, v59, v2
	v_and_b32_e32 v2, v63, v1
	v_mbcnt_lo_u32_b32 v1, v2, 0
	v_mbcnt_hi_u32_b32 v63, v3, v1
	v_cmp_eq_u32_e32 vcc, 0, v63
	v_cmp_ne_u64_e64 s[0:1], 0, v[2:3]
	s_and_b64 s[4:5], s[0:1], vcc
	; wave barrier
	s_and_saveexec_b64 s[0:1], s[4:5]
	s_cbranch_execz .LBB906_148
; %bb.147:
	v_bcnt_u32_b32 v1, v2, 0
	v_bcnt_u32_b32 v1, v3, v1
	s_waitcnt lgkmcnt(0)
	v_add_u32_e32 v1, v61, v1
	ds_write_b32 v64, v1 offset:32
.LBB906_148:
	s_or_b64 exec, exec, s[0:1]
	s_waitcnt vmcnt(2)
	v_xor_b32_e32 v35, 0x80000000, v35
	v_lshrrev_b32_e32 v1, s52, v35
	v_and_b32_e32 v2, s16, v1
	v_lshl_add_u32 v1, v2, 3, v2
	v_add_lshl_u32 v68, v15, v1, 2
	v_and_b32_e32 v1, 1, v2
	v_add_co_u32_e32 v3, vcc, -1, v1
	v_addc_co_u32_e64 v59, s[0:1], 0, -1, vcc
	v_cmp_ne_u32_e32 vcc, 0, v1
	v_xor_b32_e32 v1, vcc_hi, v59
	v_and_b32_e32 v59, exec_hi, v1
	v_lshlrev_b32_e32 v1, 30, v2
	v_xor_b32_e32 v3, vcc_lo, v3
	v_cmp_gt_i64_e32 vcc, 0, v[0:1]
	v_not_b32_e32 v1, v1
	v_ashrrev_i32_e32 v1, 31, v1
	v_and_b32_e32 v3, exec_lo, v3
	v_xor_b32_e32 v66, vcc_hi, v1
	v_xor_b32_e32 v1, vcc_lo, v1
	v_and_b32_e32 v3, v3, v1
	v_lshlrev_b32_e32 v1, 29, v2
	v_cmp_gt_i64_e32 vcc, 0, v[0:1]
	v_not_b32_e32 v1, v1
	v_ashrrev_i32_e32 v1, 31, v1
	v_and_b32_e32 v59, v59, v66
	v_xor_b32_e32 v66, vcc_hi, v1
	v_xor_b32_e32 v1, vcc_lo, v1
	v_and_b32_e32 v3, v3, v1
	v_lshlrev_b32_e32 v1, 28, v2
	v_cmp_gt_i64_e32 vcc, 0, v[0:1]
	v_not_b32_e32 v1, v1
	v_ashrrev_i32_e32 v1, 31, v1
	v_and_b32_e32 v59, v59, v66
	;; [unrolled: 8-line block ×5, first 2 shown]
	v_xor_b32_e32 v66, vcc_hi, v1
	v_xor_b32_e32 v1, vcc_lo, v1
	v_and_b32_e32 v3, v3, v1
	v_lshlrev_b32_e32 v1, 24, v2
	v_cmp_gt_i64_e32 vcc, 0, v[0:1]
	v_not_b32_e32 v0, v1
	v_ashrrev_i32_e32 v0, 31, v0
	v_xor_b32_e32 v1, vcc_hi, v0
	v_xor_b32_e32 v0, vcc_lo, v0
	; wave barrier
	ds_read_b32 v65, v68 offset:32
	v_and_b32_e32 v59, v59, v66
	v_and_b32_e32 v0, v3, v0
	;; [unrolled: 1-line block ×3, first 2 shown]
	v_mbcnt_lo_u32_b32 v2, v0, 0
	v_mbcnt_hi_u32_b32 v66, v1, v2
	v_cmp_eq_u32_e32 vcc, 0, v66
	v_cmp_ne_u64_e64 s[0:1], 0, v[0:1]
	s_and_b64 s[4:5], s[0:1], vcc
	; wave barrier
	s_and_saveexec_b64 s[0:1], s[4:5]
	s_cbranch_execz .LBB906_150
; %bb.149:
	v_bcnt_u32_b32 v0, v0, 0
	v_bcnt_u32_b32 v0, v1, v0
	s_waitcnt lgkmcnt(0)
	v_add_u32_e32 v0, v65, v0
	ds_write_b32 v68, v0 offset:32
.LBB906_150:
	s_or_b64 exec, exec, s[0:1]
	s_waitcnt vmcnt(1)
	v_xor_b32_e32 v30, 0x80000000, v30
	v_lshrrev_b32_e32 v0, s52, v30
	v_and_b32_e32 v2, s16, v0
	v_and_b32_e32 v1, 1, v2
	v_add_co_u32_e32 v3, vcc, -1, v1
	v_addc_co_u32_e64 v59, s[0:1], 0, -1, vcc
	v_cmp_ne_u32_e32 vcc, 0, v1
	v_lshl_add_u32 v0, v2, 3, v2
	v_xor_b32_e32 v1, vcc_hi, v59
	v_add_lshl_u32 v70, v15, v0, 2
	v_mov_b32_e32 v0, 0
	v_and_b32_e32 v59, exec_hi, v1
	v_lshlrev_b32_e32 v1, 30, v2
	v_xor_b32_e32 v3, vcc_lo, v3
	v_cmp_gt_i64_e32 vcc, 0, v[0:1]
	v_not_b32_e32 v1, v1
	v_ashrrev_i32_e32 v1, 31, v1
	v_and_b32_e32 v3, exec_lo, v3
	v_xor_b32_e32 v69, vcc_hi, v1
	v_xor_b32_e32 v1, vcc_lo, v1
	v_and_b32_e32 v3, v3, v1
	v_lshlrev_b32_e32 v1, 29, v2
	v_cmp_gt_i64_e32 vcc, 0, v[0:1]
	v_not_b32_e32 v1, v1
	v_ashrrev_i32_e32 v1, 31, v1
	v_and_b32_e32 v59, v59, v69
	v_xor_b32_e32 v69, vcc_hi, v1
	v_xor_b32_e32 v1, vcc_lo, v1
	v_and_b32_e32 v3, v3, v1
	v_lshlrev_b32_e32 v1, 28, v2
	v_cmp_gt_i64_e32 vcc, 0, v[0:1]
	v_not_b32_e32 v1, v1
	v_ashrrev_i32_e32 v1, 31, v1
	v_and_b32_e32 v59, v59, v69
	;; [unrolled: 8-line block ×5, first 2 shown]
	v_xor_b32_e32 v69, vcc_hi, v1
	v_xor_b32_e32 v1, vcc_lo, v1
	v_and_b32_e32 v59, v59, v69
	v_and_b32_e32 v69, v3, v1
	v_lshlrev_b32_e32 v1, 24, v2
	v_cmp_gt_i64_e32 vcc, 0, v[0:1]
	v_not_b32_e32 v1, v1
	v_ashrrev_i32_e32 v1, 31, v1
	v_xor_b32_e32 v2, vcc_hi, v1
	v_xor_b32_e32 v1, vcc_lo, v1
	; wave barrier
	ds_read_b32 v67, v70 offset:32
	v_and_b32_e32 v3, v59, v2
	v_and_b32_e32 v2, v69, v1
	v_mbcnt_lo_u32_b32 v1, v2, 0
	v_mbcnt_hi_u32_b32 v69, v3, v1
	v_cmp_eq_u32_e32 vcc, 0, v69
	v_cmp_ne_u64_e64 s[0:1], 0, v[2:3]
	s_and_b64 s[4:5], s[0:1], vcc
	; wave barrier
	s_and_saveexec_b64 s[0:1], s[4:5]
	s_cbranch_execz .LBB906_152
; %bb.151:
	v_bcnt_u32_b32 v1, v2, 0
	v_bcnt_u32_b32 v1, v3, v1
	s_waitcnt lgkmcnt(0)
	v_add_u32_e32 v1, v67, v1
	ds_write_b32 v70, v1 offset:32
.LBB906_152:
	s_or_b64 exec, exec, s[0:1]
	s_waitcnt vmcnt(0)
	v_xor_b32_e32 v59, 0x80000000, v14
	v_lshrrev_b32_e32 v1, s52, v59
	v_and_b32_e32 v2, s16, v1
	v_lshl_add_u32 v1, v2, 3, v2
	v_add_lshl_u32 v72, v15, v1, 2
	v_and_b32_e32 v1, 1, v2
	v_add_co_u32_e32 v3, vcc, -1, v1
	v_addc_co_u32_e64 v15, s[0:1], 0, -1, vcc
	v_cmp_ne_u32_e32 vcc, 0, v1
	v_xor_b32_e32 v1, vcc_hi, v15
	v_and_b32_e32 v15, exec_hi, v1
	v_lshlrev_b32_e32 v1, 30, v2
	v_xor_b32_e32 v3, vcc_lo, v3
	v_cmp_gt_i64_e32 vcc, 0, v[0:1]
	v_not_b32_e32 v1, v1
	v_ashrrev_i32_e32 v1, 31, v1
	v_and_b32_e32 v3, exec_lo, v3
	v_xor_b32_e32 v71, vcc_hi, v1
	v_xor_b32_e32 v1, vcc_lo, v1
	v_and_b32_e32 v3, v3, v1
	v_lshlrev_b32_e32 v1, 29, v2
	v_cmp_gt_i64_e32 vcc, 0, v[0:1]
	v_not_b32_e32 v1, v1
	v_ashrrev_i32_e32 v1, 31, v1
	v_and_b32_e32 v15, v15, v71
	v_xor_b32_e32 v71, vcc_hi, v1
	v_xor_b32_e32 v1, vcc_lo, v1
	v_and_b32_e32 v3, v3, v1
	v_lshlrev_b32_e32 v1, 28, v2
	v_cmp_gt_i64_e32 vcc, 0, v[0:1]
	v_not_b32_e32 v1, v1
	v_ashrrev_i32_e32 v1, 31, v1
	v_and_b32_e32 v15, v15, v71
	;; [unrolled: 8-line block ×5, first 2 shown]
	v_xor_b32_e32 v71, vcc_hi, v1
	v_xor_b32_e32 v1, vcc_lo, v1
	v_and_b32_e32 v3, v3, v1
	v_lshlrev_b32_e32 v1, 24, v2
	v_cmp_gt_i64_e32 vcc, 0, v[0:1]
	v_not_b32_e32 v0, v1
	v_ashrrev_i32_e32 v0, 31, v0
	v_xor_b32_e32 v1, vcc_hi, v0
	v_xor_b32_e32 v0, vcc_lo, v0
	; wave barrier
	ds_read_b32 v14, v72 offset:32
	v_and_b32_e32 v15, v15, v71
	v_and_b32_e32 v0, v3, v0
	;; [unrolled: 1-line block ×3, first 2 shown]
	v_mbcnt_lo_u32_b32 v2, v0, 0
	v_mbcnt_hi_u32_b32 v15, v1, v2
	v_cmp_eq_u32_e32 vcc, 0, v15
	v_cmp_ne_u64_e64 s[0:1], 0, v[0:1]
	v_add_u32_e32 v73, 32, v5
	s_and_b64 s[4:5], s[0:1], vcc
	; wave barrier
	s_and_saveexec_b64 s[0:1], s[4:5]
	s_cbranch_execz .LBB906_154
; %bb.153:
	v_bcnt_u32_b32 v0, v0, 0
	v_bcnt_u32_b32 v0, v1, v0
	s_waitcnt lgkmcnt(0)
	v_add_u32_e32 v0, v14, v0
	ds_write_b32 v72, v0 offset:32
.LBB906_154:
	s_or_b64 exec, exec, s[0:1]
	; wave barrier
	s_waitcnt lgkmcnt(0)
	s_barrier
	ds_read2_b32 v[2:3], v5 offset0:8 offset1:9
	ds_read2_b32 v[0:1], v73 offset0:2 offset1:3
	ds_read_b32 v71, v73 offset:16
	s_waitcnt lgkmcnt(1)
	v_add3_u32 v74, v3, v2, v0
	s_waitcnt lgkmcnt(0)
	v_add3_u32 v71, v74, v1, v71
	v_and_b32_e32 v74, 15, v4
	v_cmp_ne_u32_e32 vcc, 0, v74
	v_mov_b32_dpp v75, v71 row_shr:1 row_mask:0xf bank_mask:0xf
	v_cndmask_b32_e32 v75, 0, v75, vcc
	v_add_u32_e32 v71, v75, v71
	v_cmp_lt_u32_e32 vcc, 1, v74
	s_nop 0
	v_mov_b32_dpp v75, v71 row_shr:2 row_mask:0xf bank_mask:0xf
	v_cndmask_b32_e32 v75, 0, v75, vcc
	v_add_u32_e32 v71, v71, v75
	v_cmp_lt_u32_e32 vcc, 3, v74
	s_nop 0
	;; [unrolled: 5-line block ×3, first 2 shown]
	v_mov_b32_dpp v75, v71 row_shr:8 row_mask:0xf bank_mask:0xf
	v_cndmask_b32_e32 v74, 0, v75, vcc
	v_add_u32_e32 v71, v71, v74
	v_bfe_i32 v75, v4, 4, 1
	v_cmp_lt_u32_e32 vcc, 31, v4
	v_mov_b32_dpp v74, v71 row_bcast:15 row_mask:0xf bank_mask:0xf
	v_and_b32_e32 v74, v75, v74
	v_add_u32_e32 v71, v71, v74
	v_lshrrev_b32_e32 v75, 6, v18
	s_nop 0
	v_mov_b32_dpp v74, v71 row_bcast:31 row_mask:0xf bank_mask:0xf
	v_cndmask_b32_e32 v74, 0, v74, vcc
	v_add_u32_e32 v74, v71, v74
	v_and_b32_e32 v71, 0x3c0, v18
	v_min_u32_e32 v71, 0x1c0, v71
	v_or_b32_e32 v71, 63, v71
	v_cmp_eq_u32_e32 vcc, v71, v18
	s_and_saveexec_b64 s[0:1], vcc
	s_cbranch_execz .LBB906_156
; %bb.155:
	v_lshlrev_b32_e32 v71, 2, v75
	ds_write_b32 v71, v74
.LBB906_156:
	s_or_b64 exec, exec, s[0:1]
	v_cmp_gt_u32_e32 vcc, 8, v18
	v_lshlrev_b32_e32 v71, 2, v18
	s_waitcnt lgkmcnt(0)
	s_barrier
	s_and_saveexec_b64 s[0:1], vcc
	s_cbranch_execz .LBB906_158
; %bb.157:
	ds_read_b32 v76, v71
	v_and_b32_e32 v77, 7, v4
	v_cmp_ne_u32_e32 vcc, 0, v77
	s_waitcnt lgkmcnt(0)
	v_mov_b32_dpp v78, v76 row_shr:1 row_mask:0xf bank_mask:0xf
	v_cndmask_b32_e32 v78, 0, v78, vcc
	v_add_u32_e32 v76, v78, v76
	v_cmp_lt_u32_e32 vcc, 1, v77
	s_nop 0
	v_mov_b32_dpp v78, v76 row_shr:2 row_mask:0xf bank_mask:0xf
	v_cndmask_b32_e32 v78, 0, v78, vcc
	v_add_u32_e32 v76, v76, v78
	v_cmp_lt_u32_e32 vcc, 3, v77
	s_nop 0
	v_mov_b32_dpp v78, v76 row_shr:4 row_mask:0xf bank_mask:0xf
	v_cndmask_b32_e32 v77, 0, v78, vcc
	v_add_u32_e32 v76, v76, v77
	ds_write_b32 v71, v76
.LBB906_158:
	s_or_b64 exec, exec, s[0:1]
	v_cmp_lt_u32_e32 vcc, 63, v18
	v_mov_b32_e32 v76, 0
	s_waitcnt lgkmcnt(0)
	s_barrier
	s_and_saveexec_b64 s[0:1], vcc
	s_cbranch_execz .LBB906_160
; %bb.159:
	v_lshl_add_u32 v75, v75, 2, -4
	ds_read_b32 v76, v75
.LBB906_160:
	s_or_b64 exec, exec, s[0:1]
	v_add_u32_e32 v75, -1, v4
	v_and_b32_e32 v77, 64, v4
	v_cmp_lt_i32_e32 vcc, v75, v77
	v_cndmask_b32_e32 v75, v75, v4, vcc
	s_waitcnt lgkmcnt(0)
	v_add_u32_e32 v74, v76, v74
	v_lshlrev_b32_e32 v75, 2, v75
	ds_bpermute_b32 v74, v75, v74
	v_cmp_eq_u32_e32 vcc, 0, v4
	s_movk_i32 s0, 0x100
	s_waitcnt lgkmcnt(0)
	v_cndmask_b32_e32 v4, v74, v76, vcc
	v_cmp_ne_u32_e32 vcc, 0, v18
	v_cndmask_b32_e32 v4, 0, v4, vcc
	v_add_u32_e32 v2, v4, v2
	v_add_u32_e32 v3, v2, v3
	;; [unrolled: 1-line block ×4, first 2 shown]
	ds_write2_b32 v5, v4, v2 offset0:8 offset1:9
	ds_write2_b32 v73, v3, v0 offset0:2 offset1:3
	ds_write_b32 v73, v1 offset:16
	s_waitcnt lgkmcnt(0)
	s_barrier
	ds_read_b32 v74, v9 offset:32
	ds_read_b32 v9, v11 offset:32
	;; [unrolled: 1-line block ×16, first 2 shown]
	v_cmp_gt_u32_e32 vcc, s0, v18
                                        ; implicit-def: $vgpr52
                                        ; implicit-def: $vgpr55
	s_and_saveexec_b64 s[4:5], vcc
	s_cbranch_execz .LBB906_164
; %bb.161:
	v_mul_u32_u24_e32 v0, 9, v18
	v_lshlrev_b32_e32 v1, 2, v0
	ds_read_b32 v52, v1 offset:32
	s_movk_i32 s0, 0xff
	v_cmp_ne_u32_e64 s[0:1], s0, v18
	v_mov_b32_e32 v0, 0x2000
	s_and_saveexec_b64 s[10:11], s[0:1]
	s_cbranch_execz .LBB906_163
; %bb.162:
	ds_read_b32 v0, v1 offset:68
.LBB906_163:
	s_or_b64 exec, exec, s[10:11]
	s_waitcnt lgkmcnt(0)
	v_sub_u32_e32 v55, v0, v52
.LBB906_164:
	s_or_b64 exec, exec, s[4:5]
	s_waitcnt lgkmcnt(0)
	s_barrier
	s_and_saveexec_b64 s[4:5], vcc
	s_cbranch_execz .LBB906_174
; %bb.165:
	v_lshl_or_b32 v0, s6, 8, v18
	v_mov_b32_e32 v1, 0
	v_lshlrev_b64 v[2:3], 2, v[0:1]
	v_mov_b32_e32 v31, s57
	v_add_co_u32_e64 v2, s[0:1], s56, v2
	v_addc_co_u32_e64 v3, s[0:1], v31, v3, s[0:1]
	v_or_b32_e32 v0, 2.0, v55
	s_mov_b64 s[10:11], 0
	s_brev_b32 s17, 1
	s_mov_b32 s18, s6
	v_mov_b32_e32 v58, 0
	global_store_dword v[2:3], v0, off
                                        ; implicit-def: $sgpr0_sgpr1
	s_branch .LBB906_168
.LBB906_166:                            ;   in Loop: Header=BB906_168 Depth=1
	s_or_b64 exec, exec, s[14:15]
.LBB906_167:                            ;   in Loop: Header=BB906_168 Depth=1
	s_or_b64 exec, exec, s[12:13]
	v_and_b32_e32 v4, 0x3fffffff, v70
	v_add_u32_e32 v58, v4, v58
	v_cmp_eq_u32_e64 s[0:1], s17, v0
	s_and_b64 s[12:13], exec, s[0:1]
	s_or_b64 s[10:11], s[12:13], s[10:11]
	s_andn2_b64 exec, exec, s[10:11]
	s_cbranch_execz .LBB906_173
.LBB906_168:                            ; =>This Loop Header: Depth=1
                                        ;     Child Loop BB906_171 Depth 2
	s_or_b64 s[0:1], s[0:1], exec
	s_cmp_eq_u32 s18, 0
	s_cbranch_scc1 .LBB906_172
; %bb.169:                              ;   in Loop: Header=BB906_168 Depth=1
	s_add_i32 s18, s18, -1
	v_lshl_or_b32 v0, s18, 8, v18
	v_lshlrev_b64 v[4:5], 2, v[0:1]
	v_add_co_u32_e64 v4, s[0:1], s56, v4
	v_addc_co_u32_e64 v5, s[0:1], v31, v5, s[0:1]
	global_load_dword v70, v[4:5], off glc
	s_waitcnt vmcnt(0)
	v_and_b32_e32 v0, -2.0, v70
	v_cmp_eq_u32_e64 s[0:1], 0, v0
	s_and_saveexec_b64 s[12:13], s[0:1]
	s_cbranch_execz .LBB906_167
; %bb.170:                              ;   in Loop: Header=BB906_168 Depth=1
	s_mov_b64 s[14:15], 0
.LBB906_171:                            ;   Parent Loop BB906_168 Depth=1
                                        ; =>  This Inner Loop Header: Depth=2
	global_load_dword v70, v[4:5], off glc
	s_waitcnt vmcnt(0)
	v_and_b32_e32 v0, -2.0, v70
	v_cmp_ne_u32_e64 s[0:1], 0, v0
	s_or_b64 s[14:15], s[0:1], s[14:15]
	s_andn2_b64 exec, exec, s[14:15]
	s_cbranch_execnz .LBB906_171
	s_branch .LBB906_166
.LBB906_172:                            ;   in Loop: Header=BB906_168 Depth=1
                                        ; implicit-def: $sgpr18
	s_and_b64 s[12:13], exec, s[0:1]
	s_or_b64 s[10:11], s[12:13], s[10:11]
	s_andn2_b64 exec, exec, s[10:11]
	s_cbranch_execnz .LBB906_168
.LBB906_173:
	s_or_b64 exec, exec, s[10:11]
	v_add_u32_e32 v0, v58, v55
	v_or_b32_e32 v0, 0x80000000, v0
	global_store_dword v[2:3], v0, off
	global_load_dword v0, v71, s[48:49]
	v_sub_u32_e32 v1, v58, v52
	s_waitcnt vmcnt(0)
	v_add_u32_e32 v0, v1, v0
	ds_write_b32 v71, v0
.LBB906_174:
	s_or_b64 exec, exec, s[4:5]
	v_add_u32_e32 v58, v74, v6
	s_movk_i32 s4, 0x400
	v_add_u32_e32 v31, 0x400, v71
	v_add3_u32 v62, v15, v62, v14
	v_add3_u32 v64, v69, v64, v67
	;; [unrolled: 1-line block ×15, first 2 shown]
	s_mov_b32 s5, 0
	s_mov_b32 s10, 3
	s_movk_i32 s11, 0x200
	s_movk_i32 s12, 0x600
	v_mov_b32_e32 v17, 0
	v_mov_b32_e32 v29, s43
	s_mov_b32 s13, 0
                                        ; implicit-def: $vgpr0
.LBB906_175:                            ; =>This Inner Loop Header: Depth=1
	v_add_u32_e32 v16, s5, v58
	v_add_u32_e32 v33, s5, v70
	;; [unrolled: 1-line block ×16, first 2 shown]
	v_min_u32_e32 v16, 0x800, v16
	v_min_u32_e32 v33, 0x800, v33
	;; [unrolled: 1-line block ×16, first 2 shown]
	v_lshlrev_b32_e32 v16, 2, v16
	v_lshlrev_b32_e32 v33, 2, v33
	;; [unrolled: 1-line block ×16, first 2 shown]
	ds_write_b32 v16, v21 offset:1024
	ds_write_b32 v33, v22 offset:1024
	;; [unrolled: 1-line block ×16, first 2 shown]
	s_waitcnt lgkmcnt(0)
	s_barrier
	ds_read_b32 v16, v71 offset:1024
	v_add_u32_e32 v73, s13, v18
	s_add_i32 s14, s10, -3
	s_add_i32 s15, s10, -2
	s_add_i32 s17, s10, -1
	s_waitcnt lgkmcnt(0)
	v_lshrrev_b32_e32 v33, s52, v16
	v_and_b32_e32 v33, s16, v33
	v_xor_b32_e32 v34, 0x80000000, v16
	v_lshlrev_b32_e32 v16, 2, v33
	ds_read_b32 v16, v16
	s_addk_i32 s13, 0x800
	s_addk_i32 s5, 0xf800
	s_waitcnt lgkmcnt(0)
	v_add_u32_e32 v16, v73, v16
	v_lshlrev_b64 v[38:39], 2, v[16:17]
	v_add_co_u32_e64 v38, s[0:1], s42, v38
	v_addc_co_u32_e64 v39, s[0:1], v29, v39, s[0:1]
	global_store_dword v[38:39], v34, off
	s_set_gpr_idx_on s14, gpr_idx(DST)
	v_mov_b32_e32 v0, v33
	s_set_gpr_idx_off
	ds_read_b32 v16, v31 offset:2048
	s_waitcnt lgkmcnt(0)
	v_lshrrev_b32_e32 v33, s52, v16
	v_and_b32_e32 v33, s16, v33
	v_xor_b32_e32 v34, 0x80000000, v16
	v_lshlrev_b32_e32 v16, 2, v33
	ds_read_b32 v16, v16
	s_waitcnt lgkmcnt(0)
	v_add3_u32 v16, v73, v16, s11
	v_lshlrev_b64 v[38:39], 2, v[16:17]
	v_add_co_u32_e64 v38, s[0:1], s42, v38
	v_addc_co_u32_e64 v39, s[0:1], v29, v39, s[0:1]
	global_store_dword v[38:39], v34, off
	s_set_gpr_idx_on s15, gpr_idx(DST)
	v_mov_b32_e32 v0, v33
	s_set_gpr_idx_off
	ds_read_b32 v16, v31 offset:4096
	s_waitcnt lgkmcnt(0)
	v_lshrrev_b32_e32 v33, s52, v16
	v_and_b32_e32 v33, s16, v33
	v_xor_b32_e32 v34, 0x80000000, v16
	v_lshlrev_b32_e32 v16, 2, v33
	ds_read_b32 v16, v16
	s_waitcnt lgkmcnt(0)
	v_add3_u32 v16, v73, v16, s4
	;; [unrolled: 16-line block ×3, first 2 shown]
	v_lshlrev_b64 v[38:39], 2, v[16:17]
	v_add_co_u32_e64 v38, s[0:1], s42, v38
	v_addc_co_u32_e64 v39, s[0:1], v29, v39, s[0:1]
	global_store_dword v[38:39], v34, off
	s_set_gpr_idx_on s10, gpr_idx(DST)
	v_mov_b32_e32 v0, v33
	s_set_gpr_idx_off
	s_add_i32 s10, s10, 4
	s_cmpk_lg_i32 s5, 0xe000
	s_barrier
	s_cbranch_scc1 .LBB906_175
; %bb.176:
	s_lshl_b64 s[0:1], s[8:9], 3
	s_add_u32 s0, s44, s0
	s_addc_u32 s1, s45, s1
	v_lshlrev_b32_e32 v16, 3, v20
	v_mov_b32_e32 v17, s1
	v_add_co_u32_e64 v16, s[0:1], s0, v16
	v_addc_co_u32_e64 v17, s[0:1], 0, v17, s[0:1]
	v_lshlrev_b32_e32 v19, 3, v19
	v_add_co_u32_e64 v34, s[0:1], v16, v19
	v_addc_co_u32_e64 v35, s[0:1], 0, v17, s[0:1]
	s_movk_i32 s0, 0x1000
	v_add_co_u32_e64 v50, s[0:1], s0, v34
	v_addc_co_u32_e64 v51, s[0:1], 0, v35, s[0:1]
	global_load_dwordx2 v[16:17], v[34:35], off
	global_load_dwordx2 v[20:21], v[34:35], off offset:512
	global_load_dwordx2 v[22:23], v[34:35], off offset:1024
	;; [unrolled: 1-line block ×7, first 2 shown]
	s_nop 0
	global_load_dwordx2 v[34:35], v[50:51], off
	global_load_dwordx2 v[36:37], v[50:51], off offset:512
	global_load_dwordx2 v[38:39], v[50:51], off offset:1024
	;; [unrolled: 1-line block ×7, first 2 shown]
	v_lshlrev_b32_e32 v19, 3, v18
	s_mov_b32 s4, 0
	v_add_u32_e32 v59, 0x400, v19
	s_mov_b32 s5, 1
	s_movk_i32 s8, 0x200
	v_mov_b32_e32 v51, 0
	v_mov_b32_e32 v71, v18
	s_waitcnt vmcnt(0)
.LBB906_177:                            ; =>This Inner Loop Header: Depth=1
	v_add_u32_e32 v50, s4, v58
	v_add_u32_e32 v72, s4, v70
	;; [unrolled: 1-line block ×16, first 2 shown]
	v_min_u32_e32 v50, 0x400, v50
	v_min_u32_e32 v72, 0x400, v72
	;; [unrolled: 1-line block ×3, first 2 shown]
	s_add_i32 s0, s5, -1
	v_min_u32_e32 v74, 0x400, v74
	v_min_u32_e32 v75, 0x400, v75
	v_min_u32_e32 v76, 0x400, v76
	v_min_u32_e32 v77, 0x400, v77
	v_min_u32_e32 v78, 0x400, v78
	v_min_u32_e32 v79, 0x400, v79
	v_min_u32_e32 v80, 0x400, v80
	v_min_u32_e32 v81, 0x400, v81
	v_min_u32_e32 v82, 0x400, v82
	v_min_u32_e32 v83, 0x400, v83
	v_min_u32_e32 v84, 0x400, v84
	v_min_u32_e32 v85, 0x400, v85
	v_min_u32_e32 v86, 0x400, v86
	v_lshlrev_b32_e32 v50, 3, v50
	v_lshlrev_b32_e32 v72, 3, v72
	;; [unrolled: 1-line block ×16, first 2 shown]
	ds_write_b64 v50, v[16:17] offset:1024
	ds_write_b64 v72, v[20:21] offset:1024
	;; [unrolled: 1-line block ×16, first 2 shown]
	s_waitcnt lgkmcnt(0)
	s_barrier
	ds_read_b64 v[72:73], v19 offset:1024
	s_set_gpr_idx_on s0, gpr_idx(SRC0)
	v_mov_b32_e32 v50, v0
	s_set_gpr_idx_off
	v_lshlrev_b32_e32 v50, 2, v50
	ds_read_b32 v50, v50
	ds_read_b64 v[74:75], v59 offset:4096
	v_mov_b32_e32 v87, s47
	s_addk_i32 s4, 0xfc00
	s_waitcnt lgkmcnt(1)
	v_add_u32_e32 v50, v71, v50
	v_lshlrev_b64 v[76:77], 3, v[50:51]
	v_add_co_u32_e64 v76, s[0:1], s46, v76
	v_addc_co_u32_e64 v77, s[0:1], v87, v77, s[0:1]
	global_store_dwordx2 v[76:77], v[72:73], off
	s_set_gpr_idx_on s5, gpr_idx(SRC0)
	v_mov_b32_e32 v50, v0
	s_set_gpr_idx_off
	v_lshlrev_b32_e32 v50, 2, v50
	ds_read_b32 v50, v50
	s_add_i32 s5, s5, 2
	s_cmpk_lg_i32 s4, 0xe000
	s_waitcnt lgkmcnt(0)
	v_add3_u32 v50, v71, v50, s8
	v_lshlrev_b64 v[72:73], 3, v[50:51]
	v_add_co_u32_e64 v72, s[0:1], s46, v72
	v_add_u32_e32 v71, 0x400, v71
	v_addc_co_u32_e64 v73, s[0:1], v87, v73, s[0:1]
	global_store_dwordx2 v[72:73], v[74:75], off
	s_barrier
	s_cbranch_scc1 .LBB906_177
; %bb.178:
	s_add_i32 s7, s7, -1
	s_cmp_eq_u32 s7, s6
	s_cselect_b64 s[0:1], -1, 0
	s_and_b64 s[4:5], vcc, s[0:1]
                                        ; implicit-def: $vgpr2
	s_and_saveexec_b64 s[0:1], s[4:5]
; %bb.179:
	v_add_u32_e32 v2, v52, v55
	s_or_b64 s[2:3], s[2:3], exec
; %bb.180:
	s_or_b64 exec, exec, s[0:1]
.LBB906_181:
	s_and_saveexec_b64 s[0:1], s[2:3]
	s_cbranch_execnz .LBB906_183
; %bb.182:
	s_endpgm
.LBB906_183:
	v_lshlrev_b32_e32 v3, 2, v18
	ds_read_b32 v3, v3
	v_mov_b32_e32 v19, 0
	v_lshlrev_b64 v[0:1], 2, v[18:19]
	v_mov_b32_e32 v4, s51
	v_add_co_u32_e32 v0, vcc, s50, v0
	v_addc_co_u32_e32 v1, vcc, v4, v1, vcc
	s_waitcnt lgkmcnt(0)
	v_add_u32_e32 v2, v3, v2
	global_store_dword v[0:1], v2, off
	s_endpgm
.LBB906_184:
	global_load_dwordx2 v[20:21], v[42:43], off
	s_or_b64 exec, exec, s[38:39]
                                        ; implicit-def: $vgpr22_vgpr23
	s_and_saveexec_b64 s[38:39], s[36:37]
	s_cbranch_execz .LBB906_98
.LBB906_185:
	global_load_dwordx2 v[22:23], v[42:43], off offset:512
	s_or_b64 exec, exec, s[38:39]
                                        ; implicit-def: $vgpr24_vgpr25
	s_and_saveexec_b64 s[36:37], s[10:11]
	s_cbranch_execz .LBB906_99
.LBB906_186:
	global_load_dwordx2 v[24:25], v[42:43], off offset:1024
	s_or_b64 exec, exec, s[36:37]
                                        ; implicit-def: $vgpr26_vgpr27
	s_and_saveexec_b64 s[10:11], s[14:15]
	s_cbranch_execz .LBB906_100
.LBB906_187:
	global_load_dwordx2 v[26:27], v[42:43], off offset:1536
	s_or_b64 exec, exec, s[10:11]
                                        ; implicit-def: $vgpr28_vgpr29
	s_and_saveexec_b64 s[10:11], s[16:17]
	s_cbranch_execz .LBB906_101
.LBB906_188:
	global_load_dwordx2 v[28:29], v[42:43], off offset:2048
	s_or_b64 exec, exec, s[10:11]
                                        ; implicit-def: $vgpr30_vgpr31
	s_and_saveexec_b64 s[10:11], s[20:21]
	s_cbranch_execz .LBB906_102
.LBB906_189:
	global_load_dwordx2 v[30:31], v[42:43], off offset:2560
	s_or_b64 exec, exec, s[10:11]
                                        ; implicit-def: $vgpr32_vgpr33
	s_and_saveexec_b64 s[10:11], s[24:25]
	s_cbranch_execz .LBB906_103
.LBB906_190:
	global_load_dwordx2 v[32:33], v[42:43], off offset:3072
	s_or_b64 exec, exec, s[10:11]
                                        ; implicit-def: $vgpr34_vgpr35
	s_and_saveexec_b64 s[10:11], s[28:29]
	s_cbranch_execz .LBB906_104
.LBB906_191:
	global_load_dwordx2 v[34:35], v[42:43], off offset:3584
	s_or_b64 exec, exec, s[10:11]
                                        ; implicit-def: $vgpr36_vgpr37
	s_and_saveexec_b64 s[10:11], s[30:31]
	s_cbranch_execz .LBB906_105
.LBB906_192:
	v_add_co_u32_e32 v36, vcc, 0x1000, v42
	v_addc_co_u32_e32 v37, vcc, 0, v43, vcc
	global_load_dwordx2 v[36:37], v[36:37], off
	s_or_b64 exec, exec, s[10:11]
                                        ; implicit-def: $vgpr38_vgpr39
	s_and_saveexec_b64 s[10:11], s[26:27]
	s_cbranch_execz .LBB906_106
.LBB906_193:
	v_add_co_u32_e32 v38, vcc, 0x1000, v42
	v_addc_co_u32_e32 v39, vcc, 0, v43, vcc
	global_load_dwordx2 v[38:39], v[38:39], off offset:512
	s_or_b64 exec, exec, s[10:11]
                                        ; implicit-def: $vgpr40_vgpr41
	s_and_saveexec_b64 s[10:11], s[22:23]
	s_cbranch_execz .LBB906_107
.LBB906_194:
	v_add_co_u32_e32 v40, vcc, 0x1000, v42
	v_addc_co_u32_e32 v41, vcc, 0, v43, vcc
	global_load_dwordx2 v[40:41], v[40:41], off offset:1024
	s_or_b64 exec, exec, s[10:11]
                                        ; implicit-def: $vgpr44_vgpr45
	s_and_saveexec_b64 s[10:11], s[18:19]
	s_cbranch_execz .LBB906_108
.LBB906_195:
	v_add_co_u32_e32 v44, vcc, 0x1000, v42
	v_addc_co_u32_e32 v45, vcc, 0, v43, vcc
	global_load_dwordx2 v[44:45], v[44:45], off offset:1536
	s_or_b64 exec, exec, s[10:11]
                                        ; implicit-def: $vgpr46_vgpr47
	s_and_saveexec_b64 s[10:11], s[12:13]
	s_cbranch_execz .LBB906_109
.LBB906_196:
	v_add_co_u32_e32 v46, vcc, 0x1000, v42
	v_addc_co_u32_e32 v47, vcc, 0, v43, vcc
	global_load_dwordx2 v[46:47], v[46:47], off offset:2048
	s_or_b64 exec, exec, s[10:11]
                                        ; implicit-def: $vgpr48_vgpr49
	s_and_saveexec_b64 s[10:11], s[8:9]
	s_cbranch_execz .LBB906_110
.LBB906_197:
	v_add_co_u32_e32 v48, vcc, 0x1000, v42
	v_addc_co_u32_e32 v49, vcc, 0, v43, vcc
	global_load_dwordx2 v[48:49], v[48:49], off offset:2560
	s_or_b64 exec, exec, s[10:11]
                                        ; implicit-def: $vgpr50_vgpr51
	s_and_saveexec_b64 s[8:9], s[2:3]
	s_cbranch_execz .LBB906_111
.LBB906_198:
	v_add_co_u32_e32 v50, vcc, 0x1000, v42
	v_addc_co_u32_e32 v51, vcc, 0, v43, vcc
	global_load_dwordx2 v[50:51], v[50:51], off offset:3072
	s_or_b64 exec, exec, s[8:9]
                                        ; implicit-def: $vgpr52_vgpr53
	s_and_saveexec_b64 s[2:3], s[0:1]
	s_cbranch_execnz .LBB906_112
	s_branch .LBB906_113
	.section	.rodata,"a",@progbits
	.p2align	6, 0x0
	.amdhsa_kernel _ZN7rocprim17ROCPRIM_400000_NS6detail17trampoline_kernelINS0_14default_configENS1_35radix_sort_onesweep_config_selectorIilEEZZNS1_29radix_sort_onesweep_iterationIS3_Lb0EPiS7_N6thrust23THRUST_200600_302600_NS10device_ptrIlEESB_jNS0_19identity_decomposerENS1_16block_id_wrapperIjLb0EEEEE10hipError_tT1_PNSt15iterator_traitsISG_E10value_typeET2_T3_PNSH_ISM_E10value_typeET4_T5_PSR_SS_PNS1_23onesweep_lookback_stateEbbT6_jjT7_P12ihipStream_tbENKUlT_T0_SG_SL_E_clIS7_S7_SB_PlEEDaSZ_S10_SG_SL_EUlSZ_E_NS1_11comp_targetILNS1_3genE4ELNS1_11target_archE910ELNS1_3gpuE8ELNS1_3repE0EEENS1_47radix_sort_onesweep_sort_config_static_selectorELNS0_4arch9wavefront6targetE1EEEvSG_
		.amdhsa_group_segment_fixed_size 10280
		.amdhsa_private_segment_fixed_size 0
		.amdhsa_kernarg_size 344
		.amdhsa_user_sgpr_count 6
		.amdhsa_user_sgpr_private_segment_buffer 1
		.amdhsa_user_sgpr_dispatch_ptr 0
		.amdhsa_user_sgpr_queue_ptr 0
		.amdhsa_user_sgpr_kernarg_segment_ptr 1
		.amdhsa_user_sgpr_dispatch_id 0
		.amdhsa_user_sgpr_flat_scratch_init 0
		.amdhsa_user_sgpr_kernarg_preload_length 0
		.amdhsa_user_sgpr_kernarg_preload_offset 0
		.amdhsa_user_sgpr_private_segment_size 0
		.amdhsa_uses_dynamic_stack 0
		.amdhsa_system_sgpr_private_segment_wavefront_offset 0
		.amdhsa_system_sgpr_workgroup_id_x 1
		.amdhsa_system_sgpr_workgroup_id_y 0
		.amdhsa_system_sgpr_workgroup_id_z 0
		.amdhsa_system_sgpr_workgroup_info 0
		.amdhsa_system_vgpr_workitem_id 2
		.amdhsa_next_free_vgpr 88
		.amdhsa_next_free_sgpr 69
		.amdhsa_accum_offset 88
		.amdhsa_reserve_vcc 1
		.amdhsa_reserve_flat_scratch 0
		.amdhsa_float_round_mode_32 0
		.amdhsa_float_round_mode_16_64 0
		.amdhsa_float_denorm_mode_32 3
		.amdhsa_float_denorm_mode_16_64 3
		.amdhsa_dx10_clamp 1
		.amdhsa_ieee_mode 1
		.amdhsa_fp16_overflow 0
		.amdhsa_tg_split 0
		.amdhsa_exception_fp_ieee_invalid_op 0
		.amdhsa_exception_fp_denorm_src 0
		.amdhsa_exception_fp_ieee_div_zero 0
		.amdhsa_exception_fp_ieee_overflow 0
		.amdhsa_exception_fp_ieee_underflow 0
		.amdhsa_exception_fp_ieee_inexact 0
		.amdhsa_exception_int_div_zero 0
	.end_amdhsa_kernel
	.section	.text._ZN7rocprim17ROCPRIM_400000_NS6detail17trampoline_kernelINS0_14default_configENS1_35radix_sort_onesweep_config_selectorIilEEZZNS1_29radix_sort_onesweep_iterationIS3_Lb0EPiS7_N6thrust23THRUST_200600_302600_NS10device_ptrIlEESB_jNS0_19identity_decomposerENS1_16block_id_wrapperIjLb0EEEEE10hipError_tT1_PNSt15iterator_traitsISG_E10value_typeET2_T3_PNSH_ISM_E10value_typeET4_T5_PSR_SS_PNS1_23onesweep_lookback_stateEbbT6_jjT7_P12ihipStream_tbENKUlT_T0_SG_SL_E_clIS7_S7_SB_PlEEDaSZ_S10_SG_SL_EUlSZ_E_NS1_11comp_targetILNS1_3genE4ELNS1_11target_archE910ELNS1_3gpuE8ELNS1_3repE0EEENS1_47radix_sort_onesweep_sort_config_static_selectorELNS0_4arch9wavefront6targetE1EEEvSG_,"axG",@progbits,_ZN7rocprim17ROCPRIM_400000_NS6detail17trampoline_kernelINS0_14default_configENS1_35radix_sort_onesweep_config_selectorIilEEZZNS1_29radix_sort_onesweep_iterationIS3_Lb0EPiS7_N6thrust23THRUST_200600_302600_NS10device_ptrIlEESB_jNS0_19identity_decomposerENS1_16block_id_wrapperIjLb0EEEEE10hipError_tT1_PNSt15iterator_traitsISG_E10value_typeET2_T3_PNSH_ISM_E10value_typeET4_T5_PSR_SS_PNS1_23onesweep_lookback_stateEbbT6_jjT7_P12ihipStream_tbENKUlT_T0_SG_SL_E_clIS7_S7_SB_PlEEDaSZ_S10_SG_SL_EUlSZ_E_NS1_11comp_targetILNS1_3genE4ELNS1_11target_archE910ELNS1_3gpuE8ELNS1_3repE0EEENS1_47radix_sort_onesweep_sort_config_static_selectorELNS0_4arch9wavefront6targetE1EEEvSG_,comdat
.Lfunc_end906:
	.size	_ZN7rocprim17ROCPRIM_400000_NS6detail17trampoline_kernelINS0_14default_configENS1_35radix_sort_onesweep_config_selectorIilEEZZNS1_29radix_sort_onesweep_iterationIS3_Lb0EPiS7_N6thrust23THRUST_200600_302600_NS10device_ptrIlEESB_jNS0_19identity_decomposerENS1_16block_id_wrapperIjLb0EEEEE10hipError_tT1_PNSt15iterator_traitsISG_E10value_typeET2_T3_PNSH_ISM_E10value_typeET4_T5_PSR_SS_PNS1_23onesweep_lookback_stateEbbT6_jjT7_P12ihipStream_tbENKUlT_T0_SG_SL_E_clIS7_S7_SB_PlEEDaSZ_S10_SG_SL_EUlSZ_E_NS1_11comp_targetILNS1_3genE4ELNS1_11target_archE910ELNS1_3gpuE8ELNS1_3repE0EEENS1_47radix_sort_onesweep_sort_config_static_selectorELNS0_4arch9wavefront6targetE1EEEvSG_, .Lfunc_end906-_ZN7rocprim17ROCPRIM_400000_NS6detail17trampoline_kernelINS0_14default_configENS1_35radix_sort_onesweep_config_selectorIilEEZZNS1_29radix_sort_onesweep_iterationIS3_Lb0EPiS7_N6thrust23THRUST_200600_302600_NS10device_ptrIlEESB_jNS0_19identity_decomposerENS1_16block_id_wrapperIjLb0EEEEE10hipError_tT1_PNSt15iterator_traitsISG_E10value_typeET2_T3_PNSH_ISM_E10value_typeET4_T5_PSR_SS_PNS1_23onesweep_lookback_stateEbbT6_jjT7_P12ihipStream_tbENKUlT_T0_SG_SL_E_clIS7_S7_SB_PlEEDaSZ_S10_SG_SL_EUlSZ_E_NS1_11comp_targetILNS1_3genE4ELNS1_11target_archE910ELNS1_3gpuE8ELNS1_3repE0EEENS1_47radix_sort_onesweep_sort_config_static_selectorELNS0_4arch9wavefront6targetE1EEEvSG_
                                        ; -- End function
	.section	.AMDGPU.csdata,"",@progbits
; Kernel info:
; codeLenInByte = 20664
; NumSgprs: 73
; NumVgprs: 88
; NumAgprs: 0
; TotalNumVgprs: 88
; ScratchSize: 0
; MemoryBound: 0
; FloatMode: 240
; IeeeMode: 1
; LDSByteSize: 10280 bytes/workgroup (compile time only)
; SGPRBlocks: 9
; VGPRBlocks: 10
; NumSGPRsForWavesPerEU: 73
; NumVGPRsForWavesPerEU: 88
; AccumOffset: 88
; Occupancy: 5
; WaveLimiterHint : 1
; COMPUTE_PGM_RSRC2:SCRATCH_EN: 0
; COMPUTE_PGM_RSRC2:USER_SGPR: 6
; COMPUTE_PGM_RSRC2:TRAP_HANDLER: 0
; COMPUTE_PGM_RSRC2:TGID_X_EN: 1
; COMPUTE_PGM_RSRC2:TGID_Y_EN: 0
; COMPUTE_PGM_RSRC2:TGID_Z_EN: 0
; COMPUTE_PGM_RSRC2:TIDIG_COMP_CNT: 2
; COMPUTE_PGM_RSRC3_GFX90A:ACCUM_OFFSET: 21
; COMPUTE_PGM_RSRC3_GFX90A:TG_SPLIT: 0
	.section	.text._ZN7rocprim17ROCPRIM_400000_NS6detail17trampoline_kernelINS0_14default_configENS1_35radix_sort_onesweep_config_selectorIilEEZZNS1_29radix_sort_onesweep_iterationIS3_Lb0EPiS7_N6thrust23THRUST_200600_302600_NS10device_ptrIlEESB_jNS0_19identity_decomposerENS1_16block_id_wrapperIjLb0EEEEE10hipError_tT1_PNSt15iterator_traitsISG_E10value_typeET2_T3_PNSH_ISM_E10value_typeET4_T5_PSR_SS_PNS1_23onesweep_lookback_stateEbbT6_jjT7_P12ihipStream_tbENKUlT_T0_SG_SL_E_clIS7_S7_SB_PlEEDaSZ_S10_SG_SL_EUlSZ_E_NS1_11comp_targetILNS1_3genE3ELNS1_11target_archE908ELNS1_3gpuE7ELNS1_3repE0EEENS1_47radix_sort_onesweep_sort_config_static_selectorELNS0_4arch9wavefront6targetE1EEEvSG_,"axG",@progbits,_ZN7rocprim17ROCPRIM_400000_NS6detail17trampoline_kernelINS0_14default_configENS1_35radix_sort_onesweep_config_selectorIilEEZZNS1_29radix_sort_onesweep_iterationIS3_Lb0EPiS7_N6thrust23THRUST_200600_302600_NS10device_ptrIlEESB_jNS0_19identity_decomposerENS1_16block_id_wrapperIjLb0EEEEE10hipError_tT1_PNSt15iterator_traitsISG_E10value_typeET2_T3_PNSH_ISM_E10value_typeET4_T5_PSR_SS_PNS1_23onesweep_lookback_stateEbbT6_jjT7_P12ihipStream_tbENKUlT_T0_SG_SL_E_clIS7_S7_SB_PlEEDaSZ_S10_SG_SL_EUlSZ_E_NS1_11comp_targetILNS1_3genE3ELNS1_11target_archE908ELNS1_3gpuE7ELNS1_3repE0EEENS1_47radix_sort_onesweep_sort_config_static_selectorELNS0_4arch9wavefront6targetE1EEEvSG_,comdat
	.protected	_ZN7rocprim17ROCPRIM_400000_NS6detail17trampoline_kernelINS0_14default_configENS1_35radix_sort_onesweep_config_selectorIilEEZZNS1_29radix_sort_onesweep_iterationIS3_Lb0EPiS7_N6thrust23THRUST_200600_302600_NS10device_ptrIlEESB_jNS0_19identity_decomposerENS1_16block_id_wrapperIjLb0EEEEE10hipError_tT1_PNSt15iterator_traitsISG_E10value_typeET2_T3_PNSH_ISM_E10value_typeET4_T5_PSR_SS_PNS1_23onesweep_lookback_stateEbbT6_jjT7_P12ihipStream_tbENKUlT_T0_SG_SL_E_clIS7_S7_SB_PlEEDaSZ_S10_SG_SL_EUlSZ_E_NS1_11comp_targetILNS1_3genE3ELNS1_11target_archE908ELNS1_3gpuE7ELNS1_3repE0EEENS1_47radix_sort_onesweep_sort_config_static_selectorELNS0_4arch9wavefront6targetE1EEEvSG_ ; -- Begin function _ZN7rocprim17ROCPRIM_400000_NS6detail17trampoline_kernelINS0_14default_configENS1_35radix_sort_onesweep_config_selectorIilEEZZNS1_29radix_sort_onesweep_iterationIS3_Lb0EPiS7_N6thrust23THRUST_200600_302600_NS10device_ptrIlEESB_jNS0_19identity_decomposerENS1_16block_id_wrapperIjLb0EEEEE10hipError_tT1_PNSt15iterator_traitsISG_E10value_typeET2_T3_PNSH_ISM_E10value_typeET4_T5_PSR_SS_PNS1_23onesweep_lookback_stateEbbT6_jjT7_P12ihipStream_tbENKUlT_T0_SG_SL_E_clIS7_S7_SB_PlEEDaSZ_S10_SG_SL_EUlSZ_E_NS1_11comp_targetILNS1_3genE3ELNS1_11target_archE908ELNS1_3gpuE7ELNS1_3repE0EEENS1_47radix_sort_onesweep_sort_config_static_selectorELNS0_4arch9wavefront6targetE1EEEvSG_
	.globl	_ZN7rocprim17ROCPRIM_400000_NS6detail17trampoline_kernelINS0_14default_configENS1_35radix_sort_onesweep_config_selectorIilEEZZNS1_29radix_sort_onesweep_iterationIS3_Lb0EPiS7_N6thrust23THRUST_200600_302600_NS10device_ptrIlEESB_jNS0_19identity_decomposerENS1_16block_id_wrapperIjLb0EEEEE10hipError_tT1_PNSt15iterator_traitsISG_E10value_typeET2_T3_PNSH_ISM_E10value_typeET4_T5_PSR_SS_PNS1_23onesweep_lookback_stateEbbT6_jjT7_P12ihipStream_tbENKUlT_T0_SG_SL_E_clIS7_S7_SB_PlEEDaSZ_S10_SG_SL_EUlSZ_E_NS1_11comp_targetILNS1_3genE3ELNS1_11target_archE908ELNS1_3gpuE7ELNS1_3repE0EEENS1_47radix_sort_onesweep_sort_config_static_selectorELNS0_4arch9wavefront6targetE1EEEvSG_
	.p2align	8
	.type	_ZN7rocprim17ROCPRIM_400000_NS6detail17trampoline_kernelINS0_14default_configENS1_35radix_sort_onesweep_config_selectorIilEEZZNS1_29radix_sort_onesweep_iterationIS3_Lb0EPiS7_N6thrust23THRUST_200600_302600_NS10device_ptrIlEESB_jNS0_19identity_decomposerENS1_16block_id_wrapperIjLb0EEEEE10hipError_tT1_PNSt15iterator_traitsISG_E10value_typeET2_T3_PNSH_ISM_E10value_typeET4_T5_PSR_SS_PNS1_23onesweep_lookback_stateEbbT6_jjT7_P12ihipStream_tbENKUlT_T0_SG_SL_E_clIS7_S7_SB_PlEEDaSZ_S10_SG_SL_EUlSZ_E_NS1_11comp_targetILNS1_3genE3ELNS1_11target_archE908ELNS1_3gpuE7ELNS1_3repE0EEENS1_47radix_sort_onesweep_sort_config_static_selectorELNS0_4arch9wavefront6targetE1EEEvSG_,@function
_ZN7rocprim17ROCPRIM_400000_NS6detail17trampoline_kernelINS0_14default_configENS1_35radix_sort_onesweep_config_selectorIilEEZZNS1_29radix_sort_onesweep_iterationIS3_Lb0EPiS7_N6thrust23THRUST_200600_302600_NS10device_ptrIlEESB_jNS0_19identity_decomposerENS1_16block_id_wrapperIjLb0EEEEE10hipError_tT1_PNSt15iterator_traitsISG_E10value_typeET2_T3_PNSH_ISM_E10value_typeET4_T5_PSR_SS_PNS1_23onesweep_lookback_stateEbbT6_jjT7_P12ihipStream_tbENKUlT_T0_SG_SL_E_clIS7_S7_SB_PlEEDaSZ_S10_SG_SL_EUlSZ_E_NS1_11comp_targetILNS1_3genE3ELNS1_11target_archE908ELNS1_3gpuE7ELNS1_3repE0EEENS1_47radix_sort_onesweep_sort_config_static_selectorELNS0_4arch9wavefront6targetE1EEEvSG_: ; @_ZN7rocprim17ROCPRIM_400000_NS6detail17trampoline_kernelINS0_14default_configENS1_35radix_sort_onesweep_config_selectorIilEEZZNS1_29radix_sort_onesweep_iterationIS3_Lb0EPiS7_N6thrust23THRUST_200600_302600_NS10device_ptrIlEESB_jNS0_19identity_decomposerENS1_16block_id_wrapperIjLb0EEEEE10hipError_tT1_PNSt15iterator_traitsISG_E10value_typeET2_T3_PNSH_ISM_E10value_typeET4_T5_PSR_SS_PNS1_23onesweep_lookback_stateEbbT6_jjT7_P12ihipStream_tbENKUlT_T0_SG_SL_E_clIS7_S7_SB_PlEEDaSZ_S10_SG_SL_EUlSZ_E_NS1_11comp_targetILNS1_3genE3ELNS1_11target_archE908ELNS1_3gpuE7ELNS1_3repE0EEENS1_47radix_sort_onesweep_sort_config_static_selectorELNS0_4arch9wavefront6targetE1EEEvSG_
; %bb.0:
	.section	.rodata,"a",@progbits
	.p2align	6, 0x0
	.amdhsa_kernel _ZN7rocprim17ROCPRIM_400000_NS6detail17trampoline_kernelINS0_14default_configENS1_35radix_sort_onesweep_config_selectorIilEEZZNS1_29radix_sort_onesweep_iterationIS3_Lb0EPiS7_N6thrust23THRUST_200600_302600_NS10device_ptrIlEESB_jNS0_19identity_decomposerENS1_16block_id_wrapperIjLb0EEEEE10hipError_tT1_PNSt15iterator_traitsISG_E10value_typeET2_T3_PNSH_ISM_E10value_typeET4_T5_PSR_SS_PNS1_23onesweep_lookback_stateEbbT6_jjT7_P12ihipStream_tbENKUlT_T0_SG_SL_E_clIS7_S7_SB_PlEEDaSZ_S10_SG_SL_EUlSZ_E_NS1_11comp_targetILNS1_3genE3ELNS1_11target_archE908ELNS1_3gpuE7ELNS1_3repE0EEENS1_47radix_sort_onesweep_sort_config_static_selectorELNS0_4arch9wavefront6targetE1EEEvSG_
		.amdhsa_group_segment_fixed_size 0
		.amdhsa_private_segment_fixed_size 0
		.amdhsa_kernarg_size 88
		.amdhsa_user_sgpr_count 6
		.amdhsa_user_sgpr_private_segment_buffer 1
		.amdhsa_user_sgpr_dispatch_ptr 0
		.amdhsa_user_sgpr_queue_ptr 0
		.amdhsa_user_sgpr_kernarg_segment_ptr 1
		.amdhsa_user_sgpr_dispatch_id 0
		.amdhsa_user_sgpr_flat_scratch_init 0
		.amdhsa_user_sgpr_kernarg_preload_length 0
		.amdhsa_user_sgpr_kernarg_preload_offset 0
		.amdhsa_user_sgpr_private_segment_size 0
		.amdhsa_uses_dynamic_stack 0
		.amdhsa_system_sgpr_private_segment_wavefront_offset 0
		.amdhsa_system_sgpr_workgroup_id_x 1
		.amdhsa_system_sgpr_workgroup_id_y 0
		.amdhsa_system_sgpr_workgroup_id_z 0
		.amdhsa_system_sgpr_workgroup_info 0
		.amdhsa_system_vgpr_workitem_id 0
		.amdhsa_next_free_vgpr 1
		.amdhsa_next_free_sgpr 0
		.amdhsa_accum_offset 4
		.amdhsa_reserve_vcc 0
		.amdhsa_reserve_flat_scratch 0
		.amdhsa_float_round_mode_32 0
		.amdhsa_float_round_mode_16_64 0
		.amdhsa_float_denorm_mode_32 3
		.amdhsa_float_denorm_mode_16_64 3
		.amdhsa_dx10_clamp 1
		.amdhsa_ieee_mode 1
		.amdhsa_fp16_overflow 0
		.amdhsa_tg_split 0
		.amdhsa_exception_fp_ieee_invalid_op 0
		.amdhsa_exception_fp_denorm_src 0
		.amdhsa_exception_fp_ieee_div_zero 0
		.amdhsa_exception_fp_ieee_overflow 0
		.amdhsa_exception_fp_ieee_underflow 0
		.amdhsa_exception_fp_ieee_inexact 0
		.amdhsa_exception_int_div_zero 0
	.end_amdhsa_kernel
	.section	.text._ZN7rocprim17ROCPRIM_400000_NS6detail17trampoline_kernelINS0_14default_configENS1_35radix_sort_onesweep_config_selectorIilEEZZNS1_29radix_sort_onesweep_iterationIS3_Lb0EPiS7_N6thrust23THRUST_200600_302600_NS10device_ptrIlEESB_jNS0_19identity_decomposerENS1_16block_id_wrapperIjLb0EEEEE10hipError_tT1_PNSt15iterator_traitsISG_E10value_typeET2_T3_PNSH_ISM_E10value_typeET4_T5_PSR_SS_PNS1_23onesweep_lookback_stateEbbT6_jjT7_P12ihipStream_tbENKUlT_T0_SG_SL_E_clIS7_S7_SB_PlEEDaSZ_S10_SG_SL_EUlSZ_E_NS1_11comp_targetILNS1_3genE3ELNS1_11target_archE908ELNS1_3gpuE7ELNS1_3repE0EEENS1_47radix_sort_onesweep_sort_config_static_selectorELNS0_4arch9wavefront6targetE1EEEvSG_,"axG",@progbits,_ZN7rocprim17ROCPRIM_400000_NS6detail17trampoline_kernelINS0_14default_configENS1_35radix_sort_onesweep_config_selectorIilEEZZNS1_29radix_sort_onesweep_iterationIS3_Lb0EPiS7_N6thrust23THRUST_200600_302600_NS10device_ptrIlEESB_jNS0_19identity_decomposerENS1_16block_id_wrapperIjLb0EEEEE10hipError_tT1_PNSt15iterator_traitsISG_E10value_typeET2_T3_PNSH_ISM_E10value_typeET4_T5_PSR_SS_PNS1_23onesweep_lookback_stateEbbT6_jjT7_P12ihipStream_tbENKUlT_T0_SG_SL_E_clIS7_S7_SB_PlEEDaSZ_S10_SG_SL_EUlSZ_E_NS1_11comp_targetILNS1_3genE3ELNS1_11target_archE908ELNS1_3gpuE7ELNS1_3repE0EEENS1_47radix_sort_onesweep_sort_config_static_selectorELNS0_4arch9wavefront6targetE1EEEvSG_,comdat
.Lfunc_end907:
	.size	_ZN7rocprim17ROCPRIM_400000_NS6detail17trampoline_kernelINS0_14default_configENS1_35radix_sort_onesweep_config_selectorIilEEZZNS1_29radix_sort_onesweep_iterationIS3_Lb0EPiS7_N6thrust23THRUST_200600_302600_NS10device_ptrIlEESB_jNS0_19identity_decomposerENS1_16block_id_wrapperIjLb0EEEEE10hipError_tT1_PNSt15iterator_traitsISG_E10value_typeET2_T3_PNSH_ISM_E10value_typeET4_T5_PSR_SS_PNS1_23onesweep_lookback_stateEbbT6_jjT7_P12ihipStream_tbENKUlT_T0_SG_SL_E_clIS7_S7_SB_PlEEDaSZ_S10_SG_SL_EUlSZ_E_NS1_11comp_targetILNS1_3genE3ELNS1_11target_archE908ELNS1_3gpuE7ELNS1_3repE0EEENS1_47radix_sort_onesweep_sort_config_static_selectorELNS0_4arch9wavefront6targetE1EEEvSG_, .Lfunc_end907-_ZN7rocprim17ROCPRIM_400000_NS6detail17trampoline_kernelINS0_14default_configENS1_35radix_sort_onesweep_config_selectorIilEEZZNS1_29radix_sort_onesweep_iterationIS3_Lb0EPiS7_N6thrust23THRUST_200600_302600_NS10device_ptrIlEESB_jNS0_19identity_decomposerENS1_16block_id_wrapperIjLb0EEEEE10hipError_tT1_PNSt15iterator_traitsISG_E10value_typeET2_T3_PNSH_ISM_E10value_typeET4_T5_PSR_SS_PNS1_23onesweep_lookback_stateEbbT6_jjT7_P12ihipStream_tbENKUlT_T0_SG_SL_E_clIS7_S7_SB_PlEEDaSZ_S10_SG_SL_EUlSZ_E_NS1_11comp_targetILNS1_3genE3ELNS1_11target_archE908ELNS1_3gpuE7ELNS1_3repE0EEENS1_47radix_sort_onesweep_sort_config_static_selectorELNS0_4arch9wavefront6targetE1EEEvSG_
                                        ; -- End function
	.section	.AMDGPU.csdata,"",@progbits
; Kernel info:
; codeLenInByte = 0
; NumSgprs: 4
; NumVgprs: 0
; NumAgprs: 0
; TotalNumVgprs: 0
; ScratchSize: 0
; MemoryBound: 0
; FloatMode: 240
; IeeeMode: 1
; LDSByteSize: 0 bytes/workgroup (compile time only)
; SGPRBlocks: 0
; VGPRBlocks: 0
; NumSGPRsForWavesPerEU: 4
; NumVGPRsForWavesPerEU: 1
; AccumOffset: 4
; Occupancy: 8
; WaveLimiterHint : 0
; COMPUTE_PGM_RSRC2:SCRATCH_EN: 0
; COMPUTE_PGM_RSRC2:USER_SGPR: 6
; COMPUTE_PGM_RSRC2:TRAP_HANDLER: 0
; COMPUTE_PGM_RSRC2:TGID_X_EN: 1
; COMPUTE_PGM_RSRC2:TGID_Y_EN: 0
; COMPUTE_PGM_RSRC2:TGID_Z_EN: 0
; COMPUTE_PGM_RSRC2:TIDIG_COMP_CNT: 0
; COMPUTE_PGM_RSRC3_GFX90A:ACCUM_OFFSET: 0
; COMPUTE_PGM_RSRC3_GFX90A:TG_SPLIT: 0
	.section	.text._ZN7rocprim17ROCPRIM_400000_NS6detail17trampoline_kernelINS0_14default_configENS1_35radix_sort_onesweep_config_selectorIilEEZZNS1_29radix_sort_onesweep_iterationIS3_Lb0EPiS7_N6thrust23THRUST_200600_302600_NS10device_ptrIlEESB_jNS0_19identity_decomposerENS1_16block_id_wrapperIjLb0EEEEE10hipError_tT1_PNSt15iterator_traitsISG_E10value_typeET2_T3_PNSH_ISM_E10value_typeET4_T5_PSR_SS_PNS1_23onesweep_lookback_stateEbbT6_jjT7_P12ihipStream_tbENKUlT_T0_SG_SL_E_clIS7_S7_SB_PlEEDaSZ_S10_SG_SL_EUlSZ_E_NS1_11comp_targetILNS1_3genE10ELNS1_11target_archE1201ELNS1_3gpuE5ELNS1_3repE0EEENS1_47radix_sort_onesweep_sort_config_static_selectorELNS0_4arch9wavefront6targetE1EEEvSG_,"axG",@progbits,_ZN7rocprim17ROCPRIM_400000_NS6detail17trampoline_kernelINS0_14default_configENS1_35radix_sort_onesweep_config_selectorIilEEZZNS1_29radix_sort_onesweep_iterationIS3_Lb0EPiS7_N6thrust23THRUST_200600_302600_NS10device_ptrIlEESB_jNS0_19identity_decomposerENS1_16block_id_wrapperIjLb0EEEEE10hipError_tT1_PNSt15iterator_traitsISG_E10value_typeET2_T3_PNSH_ISM_E10value_typeET4_T5_PSR_SS_PNS1_23onesweep_lookback_stateEbbT6_jjT7_P12ihipStream_tbENKUlT_T0_SG_SL_E_clIS7_S7_SB_PlEEDaSZ_S10_SG_SL_EUlSZ_E_NS1_11comp_targetILNS1_3genE10ELNS1_11target_archE1201ELNS1_3gpuE5ELNS1_3repE0EEENS1_47radix_sort_onesweep_sort_config_static_selectorELNS0_4arch9wavefront6targetE1EEEvSG_,comdat
	.protected	_ZN7rocprim17ROCPRIM_400000_NS6detail17trampoline_kernelINS0_14default_configENS1_35radix_sort_onesweep_config_selectorIilEEZZNS1_29radix_sort_onesweep_iterationIS3_Lb0EPiS7_N6thrust23THRUST_200600_302600_NS10device_ptrIlEESB_jNS0_19identity_decomposerENS1_16block_id_wrapperIjLb0EEEEE10hipError_tT1_PNSt15iterator_traitsISG_E10value_typeET2_T3_PNSH_ISM_E10value_typeET4_T5_PSR_SS_PNS1_23onesweep_lookback_stateEbbT6_jjT7_P12ihipStream_tbENKUlT_T0_SG_SL_E_clIS7_S7_SB_PlEEDaSZ_S10_SG_SL_EUlSZ_E_NS1_11comp_targetILNS1_3genE10ELNS1_11target_archE1201ELNS1_3gpuE5ELNS1_3repE0EEENS1_47radix_sort_onesweep_sort_config_static_selectorELNS0_4arch9wavefront6targetE1EEEvSG_ ; -- Begin function _ZN7rocprim17ROCPRIM_400000_NS6detail17trampoline_kernelINS0_14default_configENS1_35radix_sort_onesweep_config_selectorIilEEZZNS1_29radix_sort_onesweep_iterationIS3_Lb0EPiS7_N6thrust23THRUST_200600_302600_NS10device_ptrIlEESB_jNS0_19identity_decomposerENS1_16block_id_wrapperIjLb0EEEEE10hipError_tT1_PNSt15iterator_traitsISG_E10value_typeET2_T3_PNSH_ISM_E10value_typeET4_T5_PSR_SS_PNS1_23onesweep_lookback_stateEbbT6_jjT7_P12ihipStream_tbENKUlT_T0_SG_SL_E_clIS7_S7_SB_PlEEDaSZ_S10_SG_SL_EUlSZ_E_NS1_11comp_targetILNS1_3genE10ELNS1_11target_archE1201ELNS1_3gpuE5ELNS1_3repE0EEENS1_47radix_sort_onesweep_sort_config_static_selectorELNS0_4arch9wavefront6targetE1EEEvSG_
	.globl	_ZN7rocprim17ROCPRIM_400000_NS6detail17trampoline_kernelINS0_14default_configENS1_35radix_sort_onesweep_config_selectorIilEEZZNS1_29radix_sort_onesweep_iterationIS3_Lb0EPiS7_N6thrust23THRUST_200600_302600_NS10device_ptrIlEESB_jNS0_19identity_decomposerENS1_16block_id_wrapperIjLb0EEEEE10hipError_tT1_PNSt15iterator_traitsISG_E10value_typeET2_T3_PNSH_ISM_E10value_typeET4_T5_PSR_SS_PNS1_23onesweep_lookback_stateEbbT6_jjT7_P12ihipStream_tbENKUlT_T0_SG_SL_E_clIS7_S7_SB_PlEEDaSZ_S10_SG_SL_EUlSZ_E_NS1_11comp_targetILNS1_3genE10ELNS1_11target_archE1201ELNS1_3gpuE5ELNS1_3repE0EEENS1_47radix_sort_onesweep_sort_config_static_selectorELNS0_4arch9wavefront6targetE1EEEvSG_
	.p2align	8
	.type	_ZN7rocprim17ROCPRIM_400000_NS6detail17trampoline_kernelINS0_14default_configENS1_35radix_sort_onesweep_config_selectorIilEEZZNS1_29radix_sort_onesweep_iterationIS3_Lb0EPiS7_N6thrust23THRUST_200600_302600_NS10device_ptrIlEESB_jNS0_19identity_decomposerENS1_16block_id_wrapperIjLb0EEEEE10hipError_tT1_PNSt15iterator_traitsISG_E10value_typeET2_T3_PNSH_ISM_E10value_typeET4_T5_PSR_SS_PNS1_23onesweep_lookback_stateEbbT6_jjT7_P12ihipStream_tbENKUlT_T0_SG_SL_E_clIS7_S7_SB_PlEEDaSZ_S10_SG_SL_EUlSZ_E_NS1_11comp_targetILNS1_3genE10ELNS1_11target_archE1201ELNS1_3gpuE5ELNS1_3repE0EEENS1_47radix_sort_onesweep_sort_config_static_selectorELNS0_4arch9wavefront6targetE1EEEvSG_,@function
_ZN7rocprim17ROCPRIM_400000_NS6detail17trampoline_kernelINS0_14default_configENS1_35radix_sort_onesweep_config_selectorIilEEZZNS1_29radix_sort_onesweep_iterationIS3_Lb0EPiS7_N6thrust23THRUST_200600_302600_NS10device_ptrIlEESB_jNS0_19identity_decomposerENS1_16block_id_wrapperIjLb0EEEEE10hipError_tT1_PNSt15iterator_traitsISG_E10value_typeET2_T3_PNSH_ISM_E10value_typeET4_T5_PSR_SS_PNS1_23onesweep_lookback_stateEbbT6_jjT7_P12ihipStream_tbENKUlT_T0_SG_SL_E_clIS7_S7_SB_PlEEDaSZ_S10_SG_SL_EUlSZ_E_NS1_11comp_targetILNS1_3genE10ELNS1_11target_archE1201ELNS1_3gpuE5ELNS1_3repE0EEENS1_47radix_sort_onesweep_sort_config_static_selectorELNS0_4arch9wavefront6targetE1EEEvSG_: ; @_ZN7rocprim17ROCPRIM_400000_NS6detail17trampoline_kernelINS0_14default_configENS1_35radix_sort_onesweep_config_selectorIilEEZZNS1_29radix_sort_onesweep_iterationIS3_Lb0EPiS7_N6thrust23THRUST_200600_302600_NS10device_ptrIlEESB_jNS0_19identity_decomposerENS1_16block_id_wrapperIjLb0EEEEE10hipError_tT1_PNSt15iterator_traitsISG_E10value_typeET2_T3_PNSH_ISM_E10value_typeET4_T5_PSR_SS_PNS1_23onesweep_lookback_stateEbbT6_jjT7_P12ihipStream_tbENKUlT_T0_SG_SL_E_clIS7_S7_SB_PlEEDaSZ_S10_SG_SL_EUlSZ_E_NS1_11comp_targetILNS1_3genE10ELNS1_11target_archE1201ELNS1_3gpuE5ELNS1_3repE0EEENS1_47radix_sort_onesweep_sort_config_static_selectorELNS0_4arch9wavefront6targetE1EEEvSG_
; %bb.0:
	.section	.rodata,"a",@progbits
	.p2align	6, 0x0
	.amdhsa_kernel _ZN7rocprim17ROCPRIM_400000_NS6detail17trampoline_kernelINS0_14default_configENS1_35radix_sort_onesweep_config_selectorIilEEZZNS1_29radix_sort_onesweep_iterationIS3_Lb0EPiS7_N6thrust23THRUST_200600_302600_NS10device_ptrIlEESB_jNS0_19identity_decomposerENS1_16block_id_wrapperIjLb0EEEEE10hipError_tT1_PNSt15iterator_traitsISG_E10value_typeET2_T3_PNSH_ISM_E10value_typeET4_T5_PSR_SS_PNS1_23onesweep_lookback_stateEbbT6_jjT7_P12ihipStream_tbENKUlT_T0_SG_SL_E_clIS7_S7_SB_PlEEDaSZ_S10_SG_SL_EUlSZ_E_NS1_11comp_targetILNS1_3genE10ELNS1_11target_archE1201ELNS1_3gpuE5ELNS1_3repE0EEENS1_47radix_sort_onesweep_sort_config_static_selectorELNS0_4arch9wavefront6targetE1EEEvSG_
		.amdhsa_group_segment_fixed_size 0
		.amdhsa_private_segment_fixed_size 0
		.amdhsa_kernarg_size 88
		.amdhsa_user_sgpr_count 6
		.amdhsa_user_sgpr_private_segment_buffer 1
		.amdhsa_user_sgpr_dispatch_ptr 0
		.amdhsa_user_sgpr_queue_ptr 0
		.amdhsa_user_sgpr_kernarg_segment_ptr 1
		.amdhsa_user_sgpr_dispatch_id 0
		.amdhsa_user_sgpr_flat_scratch_init 0
		.amdhsa_user_sgpr_kernarg_preload_length 0
		.amdhsa_user_sgpr_kernarg_preload_offset 0
		.amdhsa_user_sgpr_private_segment_size 0
		.amdhsa_uses_dynamic_stack 0
		.amdhsa_system_sgpr_private_segment_wavefront_offset 0
		.amdhsa_system_sgpr_workgroup_id_x 1
		.amdhsa_system_sgpr_workgroup_id_y 0
		.amdhsa_system_sgpr_workgroup_id_z 0
		.amdhsa_system_sgpr_workgroup_info 0
		.amdhsa_system_vgpr_workitem_id 0
		.amdhsa_next_free_vgpr 1
		.amdhsa_next_free_sgpr 0
		.amdhsa_accum_offset 4
		.amdhsa_reserve_vcc 0
		.amdhsa_reserve_flat_scratch 0
		.amdhsa_float_round_mode_32 0
		.amdhsa_float_round_mode_16_64 0
		.amdhsa_float_denorm_mode_32 3
		.amdhsa_float_denorm_mode_16_64 3
		.amdhsa_dx10_clamp 1
		.amdhsa_ieee_mode 1
		.amdhsa_fp16_overflow 0
		.amdhsa_tg_split 0
		.amdhsa_exception_fp_ieee_invalid_op 0
		.amdhsa_exception_fp_denorm_src 0
		.amdhsa_exception_fp_ieee_div_zero 0
		.amdhsa_exception_fp_ieee_overflow 0
		.amdhsa_exception_fp_ieee_underflow 0
		.amdhsa_exception_fp_ieee_inexact 0
		.amdhsa_exception_int_div_zero 0
	.end_amdhsa_kernel
	.section	.text._ZN7rocprim17ROCPRIM_400000_NS6detail17trampoline_kernelINS0_14default_configENS1_35radix_sort_onesweep_config_selectorIilEEZZNS1_29radix_sort_onesweep_iterationIS3_Lb0EPiS7_N6thrust23THRUST_200600_302600_NS10device_ptrIlEESB_jNS0_19identity_decomposerENS1_16block_id_wrapperIjLb0EEEEE10hipError_tT1_PNSt15iterator_traitsISG_E10value_typeET2_T3_PNSH_ISM_E10value_typeET4_T5_PSR_SS_PNS1_23onesweep_lookback_stateEbbT6_jjT7_P12ihipStream_tbENKUlT_T0_SG_SL_E_clIS7_S7_SB_PlEEDaSZ_S10_SG_SL_EUlSZ_E_NS1_11comp_targetILNS1_3genE10ELNS1_11target_archE1201ELNS1_3gpuE5ELNS1_3repE0EEENS1_47radix_sort_onesweep_sort_config_static_selectorELNS0_4arch9wavefront6targetE1EEEvSG_,"axG",@progbits,_ZN7rocprim17ROCPRIM_400000_NS6detail17trampoline_kernelINS0_14default_configENS1_35radix_sort_onesweep_config_selectorIilEEZZNS1_29radix_sort_onesweep_iterationIS3_Lb0EPiS7_N6thrust23THRUST_200600_302600_NS10device_ptrIlEESB_jNS0_19identity_decomposerENS1_16block_id_wrapperIjLb0EEEEE10hipError_tT1_PNSt15iterator_traitsISG_E10value_typeET2_T3_PNSH_ISM_E10value_typeET4_T5_PSR_SS_PNS1_23onesweep_lookback_stateEbbT6_jjT7_P12ihipStream_tbENKUlT_T0_SG_SL_E_clIS7_S7_SB_PlEEDaSZ_S10_SG_SL_EUlSZ_E_NS1_11comp_targetILNS1_3genE10ELNS1_11target_archE1201ELNS1_3gpuE5ELNS1_3repE0EEENS1_47radix_sort_onesweep_sort_config_static_selectorELNS0_4arch9wavefront6targetE1EEEvSG_,comdat
.Lfunc_end908:
	.size	_ZN7rocprim17ROCPRIM_400000_NS6detail17trampoline_kernelINS0_14default_configENS1_35radix_sort_onesweep_config_selectorIilEEZZNS1_29radix_sort_onesweep_iterationIS3_Lb0EPiS7_N6thrust23THRUST_200600_302600_NS10device_ptrIlEESB_jNS0_19identity_decomposerENS1_16block_id_wrapperIjLb0EEEEE10hipError_tT1_PNSt15iterator_traitsISG_E10value_typeET2_T3_PNSH_ISM_E10value_typeET4_T5_PSR_SS_PNS1_23onesweep_lookback_stateEbbT6_jjT7_P12ihipStream_tbENKUlT_T0_SG_SL_E_clIS7_S7_SB_PlEEDaSZ_S10_SG_SL_EUlSZ_E_NS1_11comp_targetILNS1_3genE10ELNS1_11target_archE1201ELNS1_3gpuE5ELNS1_3repE0EEENS1_47radix_sort_onesweep_sort_config_static_selectorELNS0_4arch9wavefront6targetE1EEEvSG_, .Lfunc_end908-_ZN7rocprim17ROCPRIM_400000_NS6detail17trampoline_kernelINS0_14default_configENS1_35radix_sort_onesweep_config_selectorIilEEZZNS1_29radix_sort_onesweep_iterationIS3_Lb0EPiS7_N6thrust23THRUST_200600_302600_NS10device_ptrIlEESB_jNS0_19identity_decomposerENS1_16block_id_wrapperIjLb0EEEEE10hipError_tT1_PNSt15iterator_traitsISG_E10value_typeET2_T3_PNSH_ISM_E10value_typeET4_T5_PSR_SS_PNS1_23onesweep_lookback_stateEbbT6_jjT7_P12ihipStream_tbENKUlT_T0_SG_SL_E_clIS7_S7_SB_PlEEDaSZ_S10_SG_SL_EUlSZ_E_NS1_11comp_targetILNS1_3genE10ELNS1_11target_archE1201ELNS1_3gpuE5ELNS1_3repE0EEENS1_47radix_sort_onesweep_sort_config_static_selectorELNS0_4arch9wavefront6targetE1EEEvSG_
                                        ; -- End function
	.section	.AMDGPU.csdata,"",@progbits
; Kernel info:
; codeLenInByte = 0
; NumSgprs: 4
; NumVgprs: 0
; NumAgprs: 0
; TotalNumVgprs: 0
; ScratchSize: 0
; MemoryBound: 0
; FloatMode: 240
; IeeeMode: 1
; LDSByteSize: 0 bytes/workgroup (compile time only)
; SGPRBlocks: 0
; VGPRBlocks: 0
; NumSGPRsForWavesPerEU: 4
; NumVGPRsForWavesPerEU: 1
; AccumOffset: 4
; Occupancy: 8
; WaveLimiterHint : 0
; COMPUTE_PGM_RSRC2:SCRATCH_EN: 0
; COMPUTE_PGM_RSRC2:USER_SGPR: 6
; COMPUTE_PGM_RSRC2:TRAP_HANDLER: 0
; COMPUTE_PGM_RSRC2:TGID_X_EN: 1
; COMPUTE_PGM_RSRC2:TGID_Y_EN: 0
; COMPUTE_PGM_RSRC2:TGID_Z_EN: 0
; COMPUTE_PGM_RSRC2:TIDIG_COMP_CNT: 0
; COMPUTE_PGM_RSRC3_GFX90A:ACCUM_OFFSET: 0
; COMPUTE_PGM_RSRC3_GFX90A:TG_SPLIT: 0
	.section	.text._ZN7rocprim17ROCPRIM_400000_NS6detail17trampoline_kernelINS0_14default_configENS1_35radix_sort_onesweep_config_selectorIilEEZZNS1_29radix_sort_onesweep_iterationIS3_Lb0EPiS7_N6thrust23THRUST_200600_302600_NS10device_ptrIlEESB_jNS0_19identity_decomposerENS1_16block_id_wrapperIjLb0EEEEE10hipError_tT1_PNSt15iterator_traitsISG_E10value_typeET2_T3_PNSH_ISM_E10value_typeET4_T5_PSR_SS_PNS1_23onesweep_lookback_stateEbbT6_jjT7_P12ihipStream_tbENKUlT_T0_SG_SL_E_clIS7_S7_SB_PlEEDaSZ_S10_SG_SL_EUlSZ_E_NS1_11comp_targetILNS1_3genE9ELNS1_11target_archE1100ELNS1_3gpuE3ELNS1_3repE0EEENS1_47radix_sort_onesweep_sort_config_static_selectorELNS0_4arch9wavefront6targetE1EEEvSG_,"axG",@progbits,_ZN7rocprim17ROCPRIM_400000_NS6detail17trampoline_kernelINS0_14default_configENS1_35radix_sort_onesweep_config_selectorIilEEZZNS1_29radix_sort_onesweep_iterationIS3_Lb0EPiS7_N6thrust23THRUST_200600_302600_NS10device_ptrIlEESB_jNS0_19identity_decomposerENS1_16block_id_wrapperIjLb0EEEEE10hipError_tT1_PNSt15iterator_traitsISG_E10value_typeET2_T3_PNSH_ISM_E10value_typeET4_T5_PSR_SS_PNS1_23onesweep_lookback_stateEbbT6_jjT7_P12ihipStream_tbENKUlT_T0_SG_SL_E_clIS7_S7_SB_PlEEDaSZ_S10_SG_SL_EUlSZ_E_NS1_11comp_targetILNS1_3genE9ELNS1_11target_archE1100ELNS1_3gpuE3ELNS1_3repE0EEENS1_47radix_sort_onesweep_sort_config_static_selectorELNS0_4arch9wavefront6targetE1EEEvSG_,comdat
	.protected	_ZN7rocprim17ROCPRIM_400000_NS6detail17trampoline_kernelINS0_14default_configENS1_35radix_sort_onesweep_config_selectorIilEEZZNS1_29radix_sort_onesweep_iterationIS3_Lb0EPiS7_N6thrust23THRUST_200600_302600_NS10device_ptrIlEESB_jNS0_19identity_decomposerENS1_16block_id_wrapperIjLb0EEEEE10hipError_tT1_PNSt15iterator_traitsISG_E10value_typeET2_T3_PNSH_ISM_E10value_typeET4_T5_PSR_SS_PNS1_23onesweep_lookback_stateEbbT6_jjT7_P12ihipStream_tbENKUlT_T0_SG_SL_E_clIS7_S7_SB_PlEEDaSZ_S10_SG_SL_EUlSZ_E_NS1_11comp_targetILNS1_3genE9ELNS1_11target_archE1100ELNS1_3gpuE3ELNS1_3repE0EEENS1_47radix_sort_onesweep_sort_config_static_selectorELNS0_4arch9wavefront6targetE1EEEvSG_ ; -- Begin function _ZN7rocprim17ROCPRIM_400000_NS6detail17trampoline_kernelINS0_14default_configENS1_35radix_sort_onesweep_config_selectorIilEEZZNS1_29radix_sort_onesweep_iterationIS3_Lb0EPiS7_N6thrust23THRUST_200600_302600_NS10device_ptrIlEESB_jNS0_19identity_decomposerENS1_16block_id_wrapperIjLb0EEEEE10hipError_tT1_PNSt15iterator_traitsISG_E10value_typeET2_T3_PNSH_ISM_E10value_typeET4_T5_PSR_SS_PNS1_23onesweep_lookback_stateEbbT6_jjT7_P12ihipStream_tbENKUlT_T0_SG_SL_E_clIS7_S7_SB_PlEEDaSZ_S10_SG_SL_EUlSZ_E_NS1_11comp_targetILNS1_3genE9ELNS1_11target_archE1100ELNS1_3gpuE3ELNS1_3repE0EEENS1_47radix_sort_onesweep_sort_config_static_selectorELNS0_4arch9wavefront6targetE1EEEvSG_
	.globl	_ZN7rocprim17ROCPRIM_400000_NS6detail17trampoline_kernelINS0_14default_configENS1_35radix_sort_onesweep_config_selectorIilEEZZNS1_29radix_sort_onesweep_iterationIS3_Lb0EPiS7_N6thrust23THRUST_200600_302600_NS10device_ptrIlEESB_jNS0_19identity_decomposerENS1_16block_id_wrapperIjLb0EEEEE10hipError_tT1_PNSt15iterator_traitsISG_E10value_typeET2_T3_PNSH_ISM_E10value_typeET4_T5_PSR_SS_PNS1_23onesweep_lookback_stateEbbT6_jjT7_P12ihipStream_tbENKUlT_T0_SG_SL_E_clIS7_S7_SB_PlEEDaSZ_S10_SG_SL_EUlSZ_E_NS1_11comp_targetILNS1_3genE9ELNS1_11target_archE1100ELNS1_3gpuE3ELNS1_3repE0EEENS1_47radix_sort_onesweep_sort_config_static_selectorELNS0_4arch9wavefront6targetE1EEEvSG_
	.p2align	8
	.type	_ZN7rocprim17ROCPRIM_400000_NS6detail17trampoline_kernelINS0_14default_configENS1_35radix_sort_onesweep_config_selectorIilEEZZNS1_29radix_sort_onesweep_iterationIS3_Lb0EPiS7_N6thrust23THRUST_200600_302600_NS10device_ptrIlEESB_jNS0_19identity_decomposerENS1_16block_id_wrapperIjLb0EEEEE10hipError_tT1_PNSt15iterator_traitsISG_E10value_typeET2_T3_PNSH_ISM_E10value_typeET4_T5_PSR_SS_PNS1_23onesweep_lookback_stateEbbT6_jjT7_P12ihipStream_tbENKUlT_T0_SG_SL_E_clIS7_S7_SB_PlEEDaSZ_S10_SG_SL_EUlSZ_E_NS1_11comp_targetILNS1_3genE9ELNS1_11target_archE1100ELNS1_3gpuE3ELNS1_3repE0EEENS1_47radix_sort_onesweep_sort_config_static_selectorELNS0_4arch9wavefront6targetE1EEEvSG_,@function
_ZN7rocprim17ROCPRIM_400000_NS6detail17trampoline_kernelINS0_14default_configENS1_35radix_sort_onesweep_config_selectorIilEEZZNS1_29radix_sort_onesweep_iterationIS3_Lb0EPiS7_N6thrust23THRUST_200600_302600_NS10device_ptrIlEESB_jNS0_19identity_decomposerENS1_16block_id_wrapperIjLb0EEEEE10hipError_tT1_PNSt15iterator_traitsISG_E10value_typeET2_T3_PNSH_ISM_E10value_typeET4_T5_PSR_SS_PNS1_23onesweep_lookback_stateEbbT6_jjT7_P12ihipStream_tbENKUlT_T0_SG_SL_E_clIS7_S7_SB_PlEEDaSZ_S10_SG_SL_EUlSZ_E_NS1_11comp_targetILNS1_3genE9ELNS1_11target_archE1100ELNS1_3gpuE3ELNS1_3repE0EEENS1_47radix_sort_onesweep_sort_config_static_selectorELNS0_4arch9wavefront6targetE1EEEvSG_: ; @_ZN7rocprim17ROCPRIM_400000_NS6detail17trampoline_kernelINS0_14default_configENS1_35radix_sort_onesweep_config_selectorIilEEZZNS1_29radix_sort_onesweep_iterationIS3_Lb0EPiS7_N6thrust23THRUST_200600_302600_NS10device_ptrIlEESB_jNS0_19identity_decomposerENS1_16block_id_wrapperIjLb0EEEEE10hipError_tT1_PNSt15iterator_traitsISG_E10value_typeET2_T3_PNSH_ISM_E10value_typeET4_T5_PSR_SS_PNS1_23onesweep_lookback_stateEbbT6_jjT7_P12ihipStream_tbENKUlT_T0_SG_SL_E_clIS7_S7_SB_PlEEDaSZ_S10_SG_SL_EUlSZ_E_NS1_11comp_targetILNS1_3genE9ELNS1_11target_archE1100ELNS1_3gpuE3ELNS1_3repE0EEENS1_47radix_sort_onesweep_sort_config_static_selectorELNS0_4arch9wavefront6targetE1EEEvSG_
; %bb.0:
	.section	.rodata,"a",@progbits
	.p2align	6, 0x0
	.amdhsa_kernel _ZN7rocprim17ROCPRIM_400000_NS6detail17trampoline_kernelINS0_14default_configENS1_35radix_sort_onesweep_config_selectorIilEEZZNS1_29radix_sort_onesweep_iterationIS3_Lb0EPiS7_N6thrust23THRUST_200600_302600_NS10device_ptrIlEESB_jNS0_19identity_decomposerENS1_16block_id_wrapperIjLb0EEEEE10hipError_tT1_PNSt15iterator_traitsISG_E10value_typeET2_T3_PNSH_ISM_E10value_typeET4_T5_PSR_SS_PNS1_23onesweep_lookback_stateEbbT6_jjT7_P12ihipStream_tbENKUlT_T0_SG_SL_E_clIS7_S7_SB_PlEEDaSZ_S10_SG_SL_EUlSZ_E_NS1_11comp_targetILNS1_3genE9ELNS1_11target_archE1100ELNS1_3gpuE3ELNS1_3repE0EEENS1_47radix_sort_onesweep_sort_config_static_selectorELNS0_4arch9wavefront6targetE1EEEvSG_
		.amdhsa_group_segment_fixed_size 0
		.amdhsa_private_segment_fixed_size 0
		.amdhsa_kernarg_size 88
		.amdhsa_user_sgpr_count 6
		.amdhsa_user_sgpr_private_segment_buffer 1
		.amdhsa_user_sgpr_dispatch_ptr 0
		.amdhsa_user_sgpr_queue_ptr 0
		.amdhsa_user_sgpr_kernarg_segment_ptr 1
		.amdhsa_user_sgpr_dispatch_id 0
		.amdhsa_user_sgpr_flat_scratch_init 0
		.amdhsa_user_sgpr_kernarg_preload_length 0
		.amdhsa_user_sgpr_kernarg_preload_offset 0
		.amdhsa_user_sgpr_private_segment_size 0
		.amdhsa_uses_dynamic_stack 0
		.amdhsa_system_sgpr_private_segment_wavefront_offset 0
		.amdhsa_system_sgpr_workgroup_id_x 1
		.amdhsa_system_sgpr_workgroup_id_y 0
		.amdhsa_system_sgpr_workgroup_id_z 0
		.amdhsa_system_sgpr_workgroup_info 0
		.amdhsa_system_vgpr_workitem_id 0
		.amdhsa_next_free_vgpr 1
		.amdhsa_next_free_sgpr 0
		.amdhsa_accum_offset 4
		.amdhsa_reserve_vcc 0
		.amdhsa_reserve_flat_scratch 0
		.amdhsa_float_round_mode_32 0
		.amdhsa_float_round_mode_16_64 0
		.amdhsa_float_denorm_mode_32 3
		.amdhsa_float_denorm_mode_16_64 3
		.amdhsa_dx10_clamp 1
		.amdhsa_ieee_mode 1
		.amdhsa_fp16_overflow 0
		.amdhsa_tg_split 0
		.amdhsa_exception_fp_ieee_invalid_op 0
		.amdhsa_exception_fp_denorm_src 0
		.amdhsa_exception_fp_ieee_div_zero 0
		.amdhsa_exception_fp_ieee_overflow 0
		.amdhsa_exception_fp_ieee_underflow 0
		.amdhsa_exception_fp_ieee_inexact 0
		.amdhsa_exception_int_div_zero 0
	.end_amdhsa_kernel
	.section	.text._ZN7rocprim17ROCPRIM_400000_NS6detail17trampoline_kernelINS0_14default_configENS1_35radix_sort_onesweep_config_selectorIilEEZZNS1_29radix_sort_onesweep_iterationIS3_Lb0EPiS7_N6thrust23THRUST_200600_302600_NS10device_ptrIlEESB_jNS0_19identity_decomposerENS1_16block_id_wrapperIjLb0EEEEE10hipError_tT1_PNSt15iterator_traitsISG_E10value_typeET2_T3_PNSH_ISM_E10value_typeET4_T5_PSR_SS_PNS1_23onesweep_lookback_stateEbbT6_jjT7_P12ihipStream_tbENKUlT_T0_SG_SL_E_clIS7_S7_SB_PlEEDaSZ_S10_SG_SL_EUlSZ_E_NS1_11comp_targetILNS1_3genE9ELNS1_11target_archE1100ELNS1_3gpuE3ELNS1_3repE0EEENS1_47radix_sort_onesweep_sort_config_static_selectorELNS0_4arch9wavefront6targetE1EEEvSG_,"axG",@progbits,_ZN7rocprim17ROCPRIM_400000_NS6detail17trampoline_kernelINS0_14default_configENS1_35radix_sort_onesweep_config_selectorIilEEZZNS1_29radix_sort_onesweep_iterationIS3_Lb0EPiS7_N6thrust23THRUST_200600_302600_NS10device_ptrIlEESB_jNS0_19identity_decomposerENS1_16block_id_wrapperIjLb0EEEEE10hipError_tT1_PNSt15iterator_traitsISG_E10value_typeET2_T3_PNSH_ISM_E10value_typeET4_T5_PSR_SS_PNS1_23onesweep_lookback_stateEbbT6_jjT7_P12ihipStream_tbENKUlT_T0_SG_SL_E_clIS7_S7_SB_PlEEDaSZ_S10_SG_SL_EUlSZ_E_NS1_11comp_targetILNS1_3genE9ELNS1_11target_archE1100ELNS1_3gpuE3ELNS1_3repE0EEENS1_47radix_sort_onesweep_sort_config_static_selectorELNS0_4arch9wavefront6targetE1EEEvSG_,comdat
.Lfunc_end909:
	.size	_ZN7rocprim17ROCPRIM_400000_NS6detail17trampoline_kernelINS0_14default_configENS1_35radix_sort_onesweep_config_selectorIilEEZZNS1_29radix_sort_onesweep_iterationIS3_Lb0EPiS7_N6thrust23THRUST_200600_302600_NS10device_ptrIlEESB_jNS0_19identity_decomposerENS1_16block_id_wrapperIjLb0EEEEE10hipError_tT1_PNSt15iterator_traitsISG_E10value_typeET2_T3_PNSH_ISM_E10value_typeET4_T5_PSR_SS_PNS1_23onesweep_lookback_stateEbbT6_jjT7_P12ihipStream_tbENKUlT_T0_SG_SL_E_clIS7_S7_SB_PlEEDaSZ_S10_SG_SL_EUlSZ_E_NS1_11comp_targetILNS1_3genE9ELNS1_11target_archE1100ELNS1_3gpuE3ELNS1_3repE0EEENS1_47radix_sort_onesweep_sort_config_static_selectorELNS0_4arch9wavefront6targetE1EEEvSG_, .Lfunc_end909-_ZN7rocprim17ROCPRIM_400000_NS6detail17trampoline_kernelINS0_14default_configENS1_35radix_sort_onesweep_config_selectorIilEEZZNS1_29radix_sort_onesweep_iterationIS3_Lb0EPiS7_N6thrust23THRUST_200600_302600_NS10device_ptrIlEESB_jNS0_19identity_decomposerENS1_16block_id_wrapperIjLb0EEEEE10hipError_tT1_PNSt15iterator_traitsISG_E10value_typeET2_T3_PNSH_ISM_E10value_typeET4_T5_PSR_SS_PNS1_23onesweep_lookback_stateEbbT6_jjT7_P12ihipStream_tbENKUlT_T0_SG_SL_E_clIS7_S7_SB_PlEEDaSZ_S10_SG_SL_EUlSZ_E_NS1_11comp_targetILNS1_3genE9ELNS1_11target_archE1100ELNS1_3gpuE3ELNS1_3repE0EEENS1_47radix_sort_onesweep_sort_config_static_selectorELNS0_4arch9wavefront6targetE1EEEvSG_
                                        ; -- End function
	.section	.AMDGPU.csdata,"",@progbits
; Kernel info:
; codeLenInByte = 0
; NumSgprs: 4
; NumVgprs: 0
; NumAgprs: 0
; TotalNumVgprs: 0
; ScratchSize: 0
; MemoryBound: 0
; FloatMode: 240
; IeeeMode: 1
; LDSByteSize: 0 bytes/workgroup (compile time only)
; SGPRBlocks: 0
; VGPRBlocks: 0
; NumSGPRsForWavesPerEU: 4
; NumVGPRsForWavesPerEU: 1
; AccumOffset: 4
; Occupancy: 8
; WaveLimiterHint : 0
; COMPUTE_PGM_RSRC2:SCRATCH_EN: 0
; COMPUTE_PGM_RSRC2:USER_SGPR: 6
; COMPUTE_PGM_RSRC2:TRAP_HANDLER: 0
; COMPUTE_PGM_RSRC2:TGID_X_EN: 1
; COMPUTE_PGM_RSRC2:TGID_Y_EN: 0
; COMPUTE_PGM_RSRC2:TGID_Z_EN: 0
; COMPUTE_PGM_RSRC2:TIDIG_COMP_CNT: 0
; COMPUTE_PGM_RSRC3_GFX90A:ACCUM_OFFSET: 0
; COMPUTE_PGM_RSRC3_GFX90A:TG_SPLIT: 0
	.section	.text._ZN7rocprim17ROCPRIM_400000_NS6detail17trampoline_kernelINS0_14default_configENS1_35radix_sort_onesweep_config_selectorIilEEZZNS1_29radix_sort_onesweep_iterationIS3_Lb0EPiS7_N6thrust23THRUST_200600_302600_NS10device_ptrIlEESB_jNS0_19identity_decomposerENS1_16block_id_wrapperIjLb0EEEEE10hipError_tT1_PNSt15iterator_traitsISG_E10value_typeET2_T3_PNSH_ISM_E10value_typeET4_T5_PSR_SS_PNS1_23onesweep_lookback_stateEbbT6_jjT7_P12ihipStream_tbENKUlT_T0_SG_SL_E_clIS7_S7_SB_PlEEDaSZ_S10_SG_SL_EUlSZ_E_NS1_11comp_targetILNS1_3genE8ELNS1_11target_archE1030ELNS1_3gpuE2ELNS1_3repE0EEENS1_47radix_sort_onesweep_sort_config_static_selectorELNS0_4arch9wavefront6targetE1EEEvSG_,"axG",@progbits,_ZN7rocprim17ROCPRIM_400000_NS6detail17trampoline_kernelINS0_14default_configENS1_35radix_sort_onesweep_config_selectorIilEEZZNS1_29radix_sort_onesweep_iterationIS3_Lb0EPiS7_N6thrust23THRUST_200600_302600_NS10device_ptrIlEESB_jNS0_19identity_decomposerENS1_16block_id_wrapperIjLb0EEEEE10hipError_tT1_PNSt15iterator_traitsISG_E10value_typeET2_T3_PNSH_ISM_E10value_typeET4_T5_PSR_SS_PNS1_23onesweep_lookback_stateEbbT6_jjT7_P12ihipStream_tbENKUlT_T0_SG_SL_E_clIS7_S7_SB_PlEEDaSZ_S10_SG_SL_EUlSZ_E_NS1_11comp_targetILNS1_3genE8ELNS1_11target_archE1030ELNS1_3gpuE2ELNS1_3repE0EEENS1_47radix_sort_onesweep_sort_config_static_selectorELNS0_4arch9wavefront6targetE1EEEvSG_,comdat
	.protected	_ZN7rocprim17ROCPRIM_400000_NS6detail17trampoline_kernelINS0_14default_configENS1_35radix_sort_onesweep_config_selectorIilEEZZNS1_29radix_sort_onesweep_iterationIS3_Lb0EPiS7_N6thrust23THRUST_200600_302600_NS10device_ptrIlEESB_jNS0_19identity_decomposerENS1_16block_id_wrapperIjLb0EEEEE10hipError_tT1_PNSt15iterator_traitsISG_E10value_typeET2_T3_PNSH_ISM_E10value_typeET4_T5_PSR_SS_PNS1_23onesweep_lookback_stateEbbT6_jjT7_P12ihipStream_tbENKUlT_T0_SG_SL_E_clIS7_S7_SB_PlEEDaSZ_S10_SG_SL_EUlSZ_E_NS1_11comp_targetILNS1_3genE8ELNS1_11target_archE1030ELNS1_3gpuE2ELNS1_3repE0EEENS1_47radix_sort_onesweep_sort_config_static_selectorELNS0_4arch9wavefront6targetE1EEEvSG_ ; -- Begin function _ZN7rocprim17ROCPRIM_400000_NS6detail17trampoline_kernelINS0_14default_configENS1_35radix_sort_onesweep_config_selectorIilEEZZNS1_29radix_sort_onesweep_iterationIS3_Lb0EPiS7_N6thrust23THRUST_200600_302600_NS10device_ptrIlEESB_jNS0_19identity_decomposerENS1_16block_id_wrapperIjLb0EEEEE10hipError_tT1_PNSt15iterator_traitsISG_E10value_typeET2_T3_PNSH_ISM_E10value_typeET4_T5_PSR_SS_PNS1_23onesweep_lookback_stateEbbT6_jjT7_P12ihipStream_tbENKUlT_T0_SG_SL_E_clIS7_S7_SB_PlEEDaSZ_S10_SG_SL_EUlSZ_E_NS1_11comp_targetILNS1_3genE8ELNS1_11target_archE1030ELNS1_3gpuE2ELNS1_3repE0EEENS1_47radix_sort_onesweep_sort_config_static_selectorELNS0_4arch9wavefront6targetE1EEEvSG_
	.globl	_ZN7rocprim17ROCPRIM_400000_NS6detail17trampoline_kernelINS0_14default_configENS1_35radix_sort_onesweep_config_selectorIilEEZZNS1_29radix_sort_onesweep_iterationIS3_Lb0EPiS7_N6thrust23THRUST_200600_302600_NS10device_ptrIlEESB_jNS0_19identity_decomposerENS1_16block_id_wrapperIjLb0EEEEE10hipError_tT1_PNSt15iterator_traitsISG_E10value_typeET2_T3_PNSH_ISM_E10value_typeET4_T5_PSR_SS_PNS1_23onesweep_lookback_stateEbbT6_jjT7_P12ihipStream_tbENKUlT_T0_SG_SL_E_clIS7_S7_SB_PlEEDaSZ_S10_SG_SL_EUlSZ_E_NS1_11comp_targetILNS1_3genE8ELNS1_11target_archE1030ELNS1_3gpuE2ELNS1_3repE0EEENS1_47radix_sort_onesweep_sort_config_static_selectorELNS0_4arch9wavefront6targetE1EEEvSG_
	.p2align	8
	.type	_ZN7rocprim17ROCPRIM_400000_NS6detail17trampoline_kernelINS0_14default_configENS1_35radix_sort_onesweep_config_selectorIilEEZZNS1_29radix_sort_onesweep_iterationIS3_Lb0EPiS7_N6thrust23THRUST_200600_302600_NS10device_ptrIlEESB_jNS0_19identity_decomposerENS1_16block_id_wrapperIjLb0EEEEE10hipError_tT1_PNSt15iterator_traitsISG_E10value_typeET2_T3_PNSH_ISM_E10value_typeET4_T5_PSR_SS_PNS1_23onesweep_lookback_stateEbbT6_jjT7_P12ihipStream_tbENKUlT_T0_SG_SL_E_clIS7_S7_SB_PlEEDaSZ_S10_SG_SL_EUlSZ_E_NS1_11comp_targetILNS1_3genE8ELNS1_11target_archE1030ELNS1_3gpuE2ELNS1_3repE0EEENS1_47radix_sort_onesweep_sort_config_static_selectorELNS0_4arch9wavefront6targetE1EEEvSG_,@function
_ZN7rocprim17ROCPRIM_400000_NS6detail17trampoline_kernelINS0_14default_configENS1_35radix_sort_onesweep_config_selectorIilEEZZNS1_29radix_sort_onesweep_iterationIS3_Lb0EPiS7_N6thrust23THRUST_200600_302600_NS10device_ptrIlEESB_jNS0_19identity_decomposerENS1_16block_id_wrapperIjLb0EEEEE10hipError_tT1_PNSt15iterator_traitsISG_E10value_typeET2_T3_PNSH_ISM_E10value_typeET4_T5_PSR_SS_PNS1_23onesweep_lookback_stateEbbT6_jjT7_P12ihipStream_tbENKUlT_T0_SG_SL_E_clIS7_S7_SB_PlEEDaSZ_S10_SG_SL_EUlSZ_E_NS1_11comp_targetILNS1_3genE8ELNS1_11target_archE1030ELNS1_3gpuE2ELNS1_3repE0EEENS1_47radix_sort_onesweep_sort_config_static_selectorELNS0_4arch9wavefront6targetE1EEEvSG_: ; @_ZN7rocprim17ROCPRIM_400000_NS6detail17trampoline_kernelINS0_14default_configENS1_35radix_sort_onesweep_config_selectorIilEEZZNS1_29radix_sort_onesweep_iterationIS3_Lb0EPiS7_N6thrust23THRUST_200600_302600_NS10device_ptrIlEESB_jNS0_19identity_decomposerENS1_16block_id_wrapperIjLb0EEEEE10hipError_tT1_PNSt15iterator_traitsISG_E10value_typeET2_T3_PNSH_ISM_E10value_typeET4_T5_PSR_SS_PNS1_23onesweep_lookback_stateEbbT6_jjT7_P12ihipStream_tbENKUlT_T0_SG_SL_E_clIS7_S7_SB_PlEEDaSZ_S10_SG_SL_EUlSZ_E_NS1_11comp_targetILNS1_3genE8ELNS1_11target_archE1030ELNS1_3gpuE2ELNS1_3repE0EEENS1_47radix_sort_onesweep_sort_config_static_selectorELNS0_4arch9wavefront6targetE1EEEvSG_
; %bb.0:
	.section	.rodata,"a",@progbits
	.p2align	6, 0x0
	.amdhsa_kernel _ZN7rocprim17ROCPRIM_400000_NS6detail17trampoline_kernelINS0_14default_configENS1_35radix_sort_onesweep_config_selectorIilEEZZNS1_29radix_sort_onesweep_iterationIS3_Lb0EPiS7_N6thrust23THRUST_200600_302600_NS10device_ptrIlEESB_jNS0_19identity_decomposerENS1_16block_id_wrapperIjLb0EEEEE10hipError_tT1_PNSt15iterator_traitsISG_E10value_typeET2_T3_PNSH_ISM_E10value_typeET4_T5_PSR_SS_PNS1_23onesweep_lookback_stateEbbT6_jjT7_P12ihipStream_tbENKUlT_T0_SG_SL_E_clIS7_S7_SB_PlEEDaSZ_S10_SG_SL_EUlSZ_E_NS1_11comp_targetILNS1_3genE8ELNS1_11target_archE1030ELNS1_3gpuE2ELNS1_3repE0EEENS1_47radix_sort_onesweep_sort_config_static_selectorELNS0_4arch9wavefront6targetE1EEEvSG_
		.amdhsa_group_segment_fixed_size 0
		.amdhsa_private_segment_fixed_size 0
		.amdhsa_kernarg_size 88
		.amdhsa_user_sgpr_count 6
		.amdhsa_user_sgpr_private_segment_buffer 1
		.amdhsa_user_sgpr_dispatch_ptr 0
		.amdhsa_user_sgpr_queue_ptr 0
		.amdhsa_user_sgpr_kernarg_segment_ptr 1
		.amdhsa_user_sgpr_dispatch_id 0
		.amdhsa_user_sgpr_flat_scratch_init 0
		.amdhsa_user_sgpr_kernarg_preload_length 0
		.amdhsa_user_sgpr_kernarg_preload_offset 0
		.amdhsa_user_sgpr_private_segment_size 0
		.amdhsa_uses_dynamic_stack 0
		.amdhsa_system_sgpr_private_segment_wavefront_offset 0
		.amdhsa_system_sgpr_workgroup_id_x 1
		.amdhsa_system_sgpr_workgroup_id_y 0
		.amdhsa_system_sgpr_workgroup_id_z 0
		.amdhsa_system_sgpr_workgroup_info 0
		.amdhsa_system_vgpr_workitem_id 0
		.amdhsa_next_free_vgpr 1
		.amdhsa_next_free_sgpr 0
		.amdhsa_accum_offset 4
		.amdhsa_reserve_vcc 0
		.amdhsa_reserve_flat_scratch 0
		.amdhsa_float_round_mode_32 0
		.amdhsa_float_round_mode_16_64 0
		.amdhsa_float_denorm_mode_32 3
		.amdhsa_float_denorm_mode_16_64 3
		.amdhsa_dx10_clamp 1
		.amdhsa_ieee_mode 1
		.amdhsa_fp16_overflow 0
		.amdhsa_tg_split 0
		.amdhsa_exception_fp_ieee_invalid_op 0
		.amdhsa_exception_fp_denorm_src 0
		.amdhsa_exception_fp_ieee_div_zero 0
		.amdhsa_exception_fp_ieee_overflow 0
		.amdhsa_exception_fp_ieee_underflow 0
		.amdhsa_exception_fp_ieee_inexact 0
		.amdhsa_exception_int_div_zero 0
	.end_amdhsa_kernel
	.section	.text._ZN7rocprim17ROCPRIM_400000_NS6detail17trampoline_kernelINS0_14default_configENS1_35radix_sort_onesweep_config_selectorIilEEZZNS1_29radix_sort_onesweep_iterationIS3_Lb0EPiS7_N6thrust23THRUST_200600_302600_NS10device_ptrIlEESB_jNS0_19identity_decomposerENS1_16block_id_wrapperIjLb0EEEEE10hipError_tT1_PNSt15iterator_traitsISG_E10value_typeET2_T3_PNSH_ISM_E10value_typeET4_T5_PSR_SS_PNS1_23onesweep_lookback_stateEbbT6_jjT7_P12ihipStream_tbENKUlT_T0_SG_SL_E_clIS7_S7_SB_PlEEDaSZ_S10_SG_SL_EUlSZ_E_NS1_11comp_targetILNS1_3genE8ELNS1_11target_archE1030ELNS1_3gpuE2ELNS1_3repE0EEENS1_47radix_sort_onesweep_sort_config_static_selectorELNS0_4arch9wavefront6targetE1EEEvSG_,"axG",@progbits,_ZN7rocprim17ROCPRIM_400000_NS6detail17trampoline_kernelINS0_14default_configENS1_35radix_sort_onesweep_config_selectorIilEEZZNS1_29radix_sort_onesweep_iterationIS3_Lb0EPiS7_N6thrust23THRUST_200600_302600_NS10device_ptrIlEESB_jNS0_19identity_decomposerENS1_16block_id_wrapperIjLb0EEEEE10hipError_tT1_PNSt15iterator_traitsISG_E10value_typeET2_T3_PNSH_ISM_E10value_typeET4_T5_PSR_SS_PNS1_23onesweep_lookback_stateEbbT6_jjT7_P12ihipStream_tbENKUlT_T0_SG_SL_E_clIS7_S7_SB_PlEEDaSZ_S10_SG_SL_EUlSZ_E_NS1_11comp_targetILNS1_3genE8ELNS1_11target_archE1030ELNS1_3gpuE2ELNS1_3repE0EEENS1_47radix_sort_onesweep_sort_config_static_selectorELNS0_4arch9wavefront6targetE1EEEvSG_,comdat
.Lfunc_end910:
	.size	_ZN7rocprim17ROCPRIM_400000_NS6detail17trampoline_kernelINS0_14default_configENS1_35radix_sort_onesweep_config_selectorIilEEZZNS1_29radix_sort_onesweep_iterationIS3_Lb0EPiS7_N6thrust23THRUST_200600_302600_NS10device_ptrIlEESB_jNS0_19identity_decomposerENS1_16block_id_wrapperIjLb0EEEEE10hipError_tT1_PNSt15iterator_traitsISG_E10value_typeET2_T3_PNSH_ISM_E10value_typeET4_T5_PSR_SS_PNS1_23onesweep_lookback_stateEbbT6_jjT7_P12ihipStream_tbENKUlT_T0_SG_SL_E_clIS7_S7_SB_PlEEDaSZ_S10_SG_SL_EUlSZ_E_NS1_11comp_targetILNS1_3genE8ELNS1_11target_archE1030ELNS1_3gpuE2ELNS1_3repE0EEENS1_47radix_sort_onesweep_sort_config_static_selectorELNS0_4arch9wavefront6targetE1EEEvSG_, .Lfunc_end910-_ZN7rocprim17ROCPRIM_400000_NS6detail17trampoline_kernelINS0_14default_configENS1_35radix_sort_onesweep_config_selectorIilEEZZNS1_29radix_sort_onesweep_iterationIS3_Lb0EPiS7_N6thrust23THRUST_200600_302600_NS10device_ptrIlEESB_jNS0_19identity_decomposerENS1_16block_id_wrapperIjLb0EEEEE10hipError_tT1_PNSt15iterator_traitsISG_E10value_typeET2_T3_PNSH_ISM_E10value_typeET4_T5_PSR_SS_PNS1_23onesweep_lookback_stateEbbT6_jjT7_P12ihipStream_tbENKUlT_T0_SG_SL_E_clIS7_S7_SB_PlEEDaSZ_S10_SG_SL_EUlSZ_E_NS1_11comp_targetILNS1_3genE8ELNS1_11target_archE1030ELNS1_3gpuE2ELNS1_3repE0EEENS1_47radix_sort_onesweep_sort_config_static_selectorELNS0_4arch9wavefront6targetE1EEEvSG_
                                        ; -- End function
	.section	.AMDGPU.csdata,"",@progbits
; Kernel info:
; codeLenInByte = 0
; NumSgprs: 4
; NumVgprs: 0
; NumAgprs: 0
; TotalNumVgprs: 0
; ScratchSize: 0
; MemoryBound: 0
; FloatMode: 240
; IeeeMode: 1
; LDSByteSize: 0 bytes/workgroup (compile time only)
; SGPRBlocks: 0
; VGPRBlocks: 0
; NumSGPRsForWavesPerEU: 4
; NumVGPRsForWavesPerEU: 1
; AccumOffset: 4
; Occupancy: 8
; WaveLimiterHint : 0
; COMPUTE_PGM_RSRC2:SCRATCH_EN: 0
; COMPUTE_PGM_RSRC2:USER_SGPR: 6
; COMPUTE_PGM_RSRC2:TRAP_HANDLER: 0
; COMPUTE_PGM_RSRC2:TGID_X_EN: 1
; COMPUTE_PGM_RSRC2:TGID_Y_EN: 0
; COMPUTE_PGM_RSRC2:TGID_Z_EN: 0
; COMPUTE_PGM_RSRC2:TIDIG_COMP_CNT: 0
; COMPUTE_PGM_RSRC3_GFX90A:ACCUM_OFFSET: 0
; COMPUTE_PGM_RSRC3_GFX90A:TG_SPLIT: 0
	.section	.text._ZN7rocprim17ROCPRIM_400000_NS6detail17trampoline_kernelINS0_14default_configENS1_35radix_sort_onesweep_config_selectorIilEEZZNS1_29radix_sort_onesweep_iterationIS3_Lb0EPiS7_N6thrust23THRUST_200600_302600_NS10device_ptrIlEESB_jNS0_19identity_decomposerENS1_16block_id_wrapperIjLb0EEEEE10hipError_tT1_PNSt15iterator_traitsISG_E10value_typeET2_T3_PNSH_ISM_E10value_typeET4_T5_PSR_SS_PNS1_23onesweep_lookback_stateEbbT6_jjT7_P12ihipStream_tbENKUlT_T0_SG_SL_E_clIS7_S7_PlSB_EEDaSZ_S10_SG_SL_EUlSZ_E_NS1_11comp_targetILNS1_3genE0ELNS1_11target_archE4294967295ELNS1_3gpuE0ELNS1_3repE0EEENS1_47radix_sort_onesweep_sort_config_static_selectorELNS0_4arch9wavefront6targetE1EEEvSG_,"axG",@progbits,_ZN7rocprim17ROCPRIM_400000_NS6detail17trampoline_kernelINS0_14default_configENS1_35radix_sort_onesweep_config_selectorIilEEZZNS1_29radix_sort_onesweep_iterationIS3_Lb0EPiS7_N6thrust23THRUST_200600_302600_NS10device_ptrIlEESB_jNS0_19identity_decomposerENS1_16block_id_wrapperIjLb0EEEEE10hipError_tT1_PNSt15iterator_traitsISG_E10value_typeET2_T3_PNSH_ISM_E10value_typeET4_T5_PSR_SS_PNS1_23onesweep_lookback_stateEbbT6_jjT7_P12ihipStream_tbENKUlT_T0_SG_SL_E_clIS7_S7_PlSB_EEDaSZ_S10_SG_SL_EUlSZ_E_NS1_11comp_targetILNS1_3genE0ELNS1_11target_archE4294967295ELNS1_3gpuE0ELNS1_3repE0EEENS1_47radix_sort_onesweep_sort_config_static_selectorELNS0_4arch9wavefront6targetE1EEEvSG_,comdat
	.protected	_ZN7rocprim17ROCPRIM_400000_NS6detail17trampoline_kernelINS0_14default_configENS1_35radix_sort_onesweep_config_selectorIilEEZZNS1_29radix_sort_onesweep_iterationIS3_Lb0EPiS7_N6thrust23THRUST_200600_302600_NS10device_ptrIlEESB_jNS0_19identity_decomposerENS1_16block_id_wrapperIjLb0EEEEE10hipError_tT1_PNSt15iterator_traitsISG_E10value_typeET2_T3_PNSH_ISM_E10value_typeET4_T5_PSR_SS_PNS1_23onesweep_lookback_stateEbbT6_jjT7_P12ihipStream_tbENKUlT_T0_SG_SL_E_clIS7_S7_PlSB_EEDaSZ_S10_SG_SL_EUlSZ_E_NS1_11comp_targetILNS1_3genE0ELNS1_11target_archE4294967295ELNS1_3gpuE0ELNS1_3repE0EEENS1_47radix_sort_onesweep_sort_config_static_selectorELNS0_4arch9wavefront6targetE1EEEvSG_ ; -- Begin function _ZN7rocprim17ROCPRIM_400000_NS6detail17trampoline_kernelINS0_14default_configENS1_35radix_sort_onesweep_config_selectorIilEEZZNS1_29radix_sort_onesweep_iterationIS3_Lb0EPiS7_N6thrust23THRUST_200600_302600_NS10device_ptrIlEESB_jNS0_19identity_decomposerENS1_16block_id_wrapperIjLb0EEEEE10hipError_tT1_PNSt15iterator_traitsISG_E10value_typeET2_T3_PNSH_ISM_E10value_typeET4_T5_PSR_SS_PNS1_23onesweep_lookback_stateEbbT6_jjT7_P12ihipStream_tbENKUlT_T0_SG_SL_E_clIS7_S7_PlSB_EEDaSZ_S10_SG_SL_EUlSZ_E_NS1_11comp_targetILNS1_3genE0ELNS1_11target_archE4294967295ELNS1_3gpuE0ELNS1_3repE0EEENS1_47radix_sort_onesweep_sort_config_static_selectorELNS0_4arch9wavefront6targetE1EEEvSG_
	.globl	_ZN7rocprim17ROCPRIM_400000_NS6detail17trampoline_kernelINS0_14default_configENS1_35radix_sort_onesweep_config_selectorIilEEZZNS1_29radix_sort_onesweep_iterationIS3_Lb0EPiS7_N6thrust23THRUST_200600_302600_NS10device_ptrIlEESB_jNS0_19identity_decomposerENS1_16block_id_wrapperIjLb0EEEEE10hipError_tT1_PNSt15iterator_traitsISG_E10value_typeET2_T3_PNSH_ISM_E10value_typeET4_T5_PSR_SS_PNS1_23onesweep_lookback_stateEbbT6_jjT7_P12ihipStream_tbENKUlT_T0_SG_SL_E_clIS7_S7_PlSB_EEDaSZ_S10_SG_SL_EUlSZ_E_NS1_11comp_targetILNS1_3genE0ELNS1_11target_archE4294967295ELNS1_3gpuE0ELNS1_3repE0EEENS1_47radix_sort_onesweep_sort_config_static_selectorELNS0_4arch9wavefront6targetE1EEEvSG_
	.p2align	8
	.type	_ZN7rocprim17ROCPRIM_400000_NS6detail17trampoline_kernelINS0_14default_configENS1_35radix_sort_onesweep_config_selectorIilEEZZNS1_29radix_sort_onesweep_iterationIS3_Lb0EPiS7_N6thrust23THRUST_200600_302600_NS10device_ptrIlEESB_jNS0_19identity_decomposerENS1_16block_id_wrapperIjLb0EEEEE10hipError_tT1_PNSt15iterator_traitsISG_E10value_typeET2_T3_PNSH_ISM_E10value_typeET4_T5_PSR_SS_PNS1_23onesweep_lookback_stateEbbT6_jjT7_P12ihipStream_tbENKUlT_T0_SG_SL_E_clIS7_S7_PlSB_EEDaSZ_S10_SG_SL_EUlSZ_E_NS1_11comp_targetILNS1_3genE0ELNS1_11target_archE4294967295ELNS1_3gpuE0ELNS1_3repE0EEENS1_47radix_sort_onesweep_sort_config_static_selectorELNS0_4arch9wavefront6targetE1EEEvSG_,@function
_ZN7rocprim17ROCPRIM_400000_NS6detail17trampoline_kernelINS0_14default_configENS1_35radix_sort_onesweep_config_selectorIilEEZZNS1_29radix_sort_onesweep_iterationIS3_Lb0EPiS7_N6thrust23THRUST_200600_302600_NS10device_ptrIlEESB_jNS0_19identity_decomposerENS1_16block_id_wrapperIjLb0EEEEE10hipError_tT1_PNSt15iterator_traitsISG_E10value_typeET2_T3_PNSH_ISM_E10value_typeET4_T5_PSR_SS_PNS1_23onesweep_lookback_stateEbbT6_jjT7_P12ihipStream_tbENKUlT_T0_SG_SL_E_clIS7_S7_PlSB_EEDaSZ_S10_SG_SL_EUlSZ_E_NS1_11comp_targetILNS1_3genE0ELNS1_11target_archE4294967295ELNS1_3gpuE0ELNS1_3repE0EEENS1_47radix_sort_onesweep_sort_config_static_selectorELNS0_4arch9wavefront6targetE1EEEvSG_: ; @_ZN7rocprim17ROCPRIM_400000_NS6detail17trampoline_kernelINS0_14default_configENS1_35radix_sort_onesweep_config_selectorIilEEZZNS1_29radix_sort_onesweep_iterationIS3_Lb0EPiS7_N6thrust23THRUST_200600_302600_NS10device_ptrIlEESB_jNS0_19identity_decomposerENS1_16block_id_wrapperIjLb0EEEEE10hipError_tT1_PNSt15iterator_traitsISG_E10value_typeET2_T3_PNSH_ISM_E10value_typeET4_T5_PSR_SS_PNS1_23onesweep_lookback_stateEbbT6_jjT7_P12ihipStream_tbENKUlT_T0_SG_SL_E_clIS7_S7_PlSB_EEDaSZ_S10_SG_SL_EUlSZ_E_NS1_11comp_targetILNS1_3genE0ELNS1_11target_archE4294967295ELNS1_3gpuE0ELNS1_3repE0EEENS1_47radix_sort_onesweep_sort_config_static_selectorELNS0_4arch9wavefront6targetE1EEEvSG_
; %bb.0:
	.section	.rodata,"a",@progbits
	.p2align	6, 0x0
	.amdhsa_kernel _ZN7rocprim17ROCPRIM_400000_NS6detail17trampoline_kernelINS0_14default_configENS1_35radix_sort_onesweep_config_selectorIilEEZZNS1_29radix_sort_onesweep_iterationIS3_Lb0EPiS7_N6thrust23THRUST_200600_302600_NS10device_ptrIlEESB_jNS0_19identity_decomposerENS1_16block_id_wrapperIjLb0EEEEE10hipError_tT1_PNSt15iterator_traitsISG_E10value_typeET2_T3_PNSH_ISM_E10value_typeET4_T5_PSR_SS_PNS1_23onesweep_lookback_stateEbbT6_jjT7_P12ihipStream_tbENKUlT_T0_SG_SL_E_clIS7_S7_PlSB_EEDaSZ_S10_SG_SL_EUlSZ_E_NS1_11comp_targetILNS1_3genE0ELNS1_11target_archE4294967295ELNS1_3gpuE0ELNS1_3repE0EEENS1_47radix_sort_onesweep_sort_config_static_selectorELNS0_4arch9wavefront6targetE1EEEvSG_
		.amdhsa_group_segment_fixed_size 0
		.amdhsa_private_segment_fixed_size 0
		.amdhsa_kernarg_size 88
		.amdhsa_user_sgpr_count 6
		.amdhsa_user_sgpr_private_segment_buffer 1
		.amdhsa_user_sgpr_dispatch_ptr 0
		.amdhsa_user_sgpr_queue_ptr 0
		.amdhsa_user_sgpr_kernarg_segment_ptr 1
		.amdhsa_user_sgpr_dispatch_id 0
		.amdhsa_user_sgpr_flat_scratch_init 0
		.amdhsa_user_sgpr_kernarg_preload_length 0
		.amdhsa_user_sgpr_kernarg_preload_offset 0
		.amdhsa_user_sgpr_private_segment_size 0
		.amdhsa_uses_dynamic_stack 0
		.amdhsa_system_sgpr_private_segment_wavefront_offset 0
		.amdhsa_system_sgpr_workgroup_id_x 1
		.amdhsa_system_sgpr_workgroup_id_y 0
		.amdhsa_system_sgpr_workgroup_id_z 0
		.amdhsa_system_sgpr_workgroup_info 0
		.amdhsa_system_vgpr_workitem_id 0
		.amdhsa_next_free_vgpr 1
		.amdhsa_next_free_sgpr 0
		.amdhsa_accum_offset 4
		.amdhsa_reserve_vcc 0
		.amdhsa_reserve_flat_scratch 0
		.amdhsa_float_round_mode_32 0
		.amdhsa_float_round_mode_16_64 0
		.amdhsa_float_denorm_mode_32 3
		.amdhsa_float_denorm_mode_16_64 3
		.amdhsa_dx10_clamp 1
		.amdhsa_ieee_mode 1
		.amdhsa_fp16_overflow 0
		.amdhsa_tg_split 0
		.amdhsa_exception_fp_ieee_invalid_op 0
		.amdhsa_exception_fp_denorm_src 0
		.amdhsa_exception_fp_ieee_div_zero 0
		.amdhsa_exception_fp_ieee_overflow 0
		.amdhsa_exception_fp_ieee_underflow 0
		.amdhsa_exception_fp_ieee_inexact 0
		.amdhsa_exception_int_div_zero 0
	.end_amdhsa_kernel
	.section	.text._ZN7rocprim17ROCPRIM_400000_NS6detail17trampoline_kernelINS0_14default_configENS1_35radix_sort_onesweep_config_selectorIilEEZZNS1_29radix_sort_onesweep_iterationIS3_Lb0EPiS7_N6thrust23THRUST_200600_302600_NS10device_ptrIlEESB_jNS0_19identity_decomposerENS1_16block_id_wrapperIjLb0EEEEE10hipError_tT1_PNSt15iterator_traitsISG_E10value_typeET2_T3_PNSH_ISM_E10value_typeET4_T5_PSR_SS_PNS1_23onesweep_lookback_stateEbbT6_jjT7_P12ihipStream_tbENKUlT_T0_SG_SL_E_clIS7_S7_PlSB_EEDaSZ_S10_SG_SL_EUlSZ_E_NS1_11comp_targetILNS1_3genE0ELNS1_11target_archE4294967295ELNS1_3gpuE0ELNS1_3repE0EEENS1_47radix_sort_onesweep_sort_config_static_selectorELNS0_4arch9wavefront6targetE1EEEvSG_,"axG",@progbits,_ZN7rocprim17ROCPRIM_400000_NS6detail17trampoline_kernelINS0_14default_configENS1_35radix_sort_onesweep_config_selectorIilEEZZNS1_29radix_sort_onesweep_iterationIS3_Lb0EPiS7_N6thrust23THRUST_200600_302600_NS10device_ptrIlEESB_jNS0_19identity_decomposerENS1_16block_id_wrapperIjLb0EEEEE10hipError_tT1_PNSt15iterator_traitsISG_E10value_typeET2_T3_PNSH_ISM_E10value_typeET4_T5_PSR_SS_PNS1_23onesweep_lookback_stateEbbT6_jjT7_P12ihipStream_tbENKUlT_T0_SG_SL_E_clIS7_S7_PlSB_EEDaSZ_S10_SG_SL_EUlSZ_E_NS1_11comp_targetILNS1_3genE0ELNS1_11target_archE4294967295ELNS1_3gpuE0ELNS1_3repE0EEENS1_47radix_sort_onesweep_sort_config_static_selectorELNS0_4arch9wavefront6targetE1EEEvSG_,comdat
.Lfunc_end911:
	.size	_ZN7rocprim17ROCPRIM_400000_NS6detail17trampoline_kernelINS0_14default_configENS1_35radix_sort_onesweep_config_selectorIilEEZZNS1_29radix_sort_onesweep_iterationIS3_Lb0EPiS7_N6thrust23THRUST_200600_302600_NS10device_ptrIlEESB_jNS0_19identity_decomposerENS1_16block_id_wrapperIjLb0EEEEE10hipError_tT1_PNSt15iterator_traitsISG_E10value_typeET2_T3_PNSH_ISM_E10value_typeET4_T5_PSR_SS_PNS1_23onesweep_lookback_stateEbbT6_jjT7_P12ihipStream_tbENKUlT_T0_SG_SL_E_clIS7_S7_PlSB_EEDaSZ_S10_SG_SL_EUlSZ_E_NS1_11comp_targetILNS1_3genE0ELNS1_11target_archE4294967295ELNS1_3gpuE0ELNS1_3repE0EEENS1_47radix_sort_onesweep_sort_config_static_selectorELNS0_4arch9wavefront6targetE1EEEvSG_, .Lfunc_end911-_ZN7rocprim17ROCPRIM_400000_NS6detail17trampoline_kernelINS0_14default_configENS1_35radix_sort_onesweep_config_selectorIilEEZZNS1_29radix_sort_onesweep_iterationIS3_Lb0EPiS7_N6thrust23THRUST_200600_302600_NS10device_ptrIlEESB_jNS0_19identity_decomposerENS1_16block_id_wrapperIjLb0EEEEE10hipError_tT1_PNSt15iterator_traitsISG_E10value_typeET2_T3_PNSH_ISM_E10value_typeET4_T5_PSR_SS_PNS1_23onesweep_lookback_stateEbbT6_jjT7_P12ihipStream_tbENKUlT_T0_SG_SL_E_clIS7_S7_PlSB_EEDaSZ_S10_SG_SL_EUlSZ_E_NS1_11comp_targetILNS1_3genE0ELNS1_11target_archE4294967295ELNS1_3gpuE0ELNS1_3repE0EEENS1_47radix_sort_onesweep_sort_config_static_selectorELNS0_4arch9wavefront6targetE1EEEvSG_
                                        ; -- End function
	.section	.AMDGPU.csdata,"",@progbits
; Kernel info:
; codeLenInByte = 0
; NumSgprs: 4
; NumVgprs: 0
; NumAgprs: 0
; TotalNumVgprs: 0
; ScratchSize: 0
; MemoryBound: 0
; FloatMode: 240
; IeeeMode: 1
; LDSByteSize: 0 bytes/workgroup (compile time only)
; SGPRBlocks: 0
; VGPRBlocks: 0
; NumSGPRsForWavesPerEU: 4
; NumVGPRsForWavesPerEU: 1
; AccumOffset: 4
; Occupancy: 8
; WaveLimiterHint : 0
; COMPUTE_PGM_RSRC2:SCRATCH_EN: 0
; COMPUTE_PGM_RSRC2:USER_SGPR: 6
; COMPUTE_PGM_RSRC2:TRAP_HANDLER: 0
; COMPUTE_PGM_RSRC2:TGID_X_EN: 1
; COMPUTE_PGM_RSRC2:TGID_Y_EN: 0
; COMPUTE_PGM_RSRC2:TGID_Z_EN: 0
; COMPUTE_PGM_RSRC2:TIDIG_COMP_CNT: 0
; COMPUTE_PGM_RSRC3_GFX90A:ACCUM_OFFSET: 0
; COMPUTE_PGM_RSRC3_GFX90A:TG_SPLIT: 0
	.section	.text._ZN7rocprim17ROCPRIM_400000_NS6detail17trampoline_kernelINS0_14default_configENS1_35radix_sort_onesweep_config_selectorIilEEZZNS1_29radix_sort_onesweep_iterationIS3_Lb0EPiS7_N6thrust23THRUST_200600_302600_NS10device_ptrIlEESB_jNS0_19identity_decomposerENS1_16block_id_wrapperIjLb0EEEEE10hipError_tT1_PNSt15iterator_traitsISG_E10value_typeET2_T3_PNSH_ISM_E10value_typeET4_T5_PSR_SS_PNS1_23onesweep_lookback_stateEbbT6_jjT7_P12ihipStream_tbENKUlT_T0_SG_SL_E_clIS7_S7_PlSB_EEDaSZ_S10_SG_SL_EUlSZ_E_NS1_11comp_targetILNS1_3genE6ELNS1_11target_archE950ELNS1_3gpuE13ELNS1_3repE0EEENS1_47radix_sort_onesweep_sort_config_static_selectorELNS0_4arch9wavefront6targetE1EEEvSG_,"axG",@progbits,_ZN7rocprim17ROCPRIM_400000_NS6detail17trampoline_kernelINS0_14default_configENS1_35radix_sort_onesweep_config_selectorIilEEZZNS1_29radix_sort_onesweep_iterationIS3_Lb0EPiS7_N6thrust23THRUST_200600_302600_NS10device_ptrIlEESB_jNS0_19identity_decomposerENS1_16block_id_wrapperIjLb0EEEEE10hipError_tT1_PNSt15iterator_traitsISG_E10value_typeET2_T3_PNSH_ISM_E10value_typeET4_T5_PSR_SS_PNS1_23onesweep_lookback_stateEbbT6_jjT7_P12ihipStream_tbENKUlT_T0_SG_SL_E_clIS7_S7_PlSB_EEDaSZ_S10_SG_SL_EUlSZ_E_NS1_11comp_targetILNS1_3genE6ELNS1_11target_archE950ELNS1_3gpuE13ELNS1_3repE0EEENS1_47radix_sort_onesweep_sort_config_static_selectorELNS0_4arch9wavefront6targetE1EEEvSG_,comdat
	.protected	_ZN7rocprim17ROCPRIM_400000_NS6detail17trampoline_kernelINS0_14default_configENS1_35radix_sort_onesweep_config_selectorIilEEZZNS1_29radix_sort_onesweep_iterationIS3_Lb0EPiS7_N6thrust23THRUST_200600_302600_NS10device_ptrIlEESB_jNS0_19identity_decomposerENS1_16block_id_wrapperIjLb0EEEEE10hipError_tT1_PNSt15iterator_traitsISG_E10value_typeET2_T3_PNSH_ISM_E10value_typeET4_T5_PSR_SS_PNS1_23onesweep_lookback_stateEbbT6_jjT7_P12ihipStream_tbENKUlT_T0_SG_SL_E_clIS7_S7_PlSB_EEDaSZ_S10_SG_SL_EUlSZ_E_NS1_11comp_targetILNS1_3genE6ELNS1_11target_archE950ELNS1_3gpuE13ELNS1_3repE0EEENS1_47radix_sort_onesweep_sort_config_static_selectorELNS0_4arch9wavefront6targetE1EEEvSG_ ; -- Begin function _ZN7rocprim17ROCPRIM_400000_NS6detail17trampoline_kernelINS0_14default_configENS1_35radix_sort_onesweep_config_selectorIilEEZZNS1_29radix_sort_onesweep_iterationIS3_Lb0EPiS7_N6thrust23THRUST_200600_302600_NS10device_ptrIlEESB_jNS0_19identity_decomposerENS1_16block_id_wrapperIjLb0EEEEE10hipError_tT1_PNSt15iterator_traitsISG_E10value_typeET2_T3_PNSH_ISM_E10value_typeET4_T5_PSR_SS_PNS1_23onesweep_lookback_stateEbbT6_jjT7_P12ihipStream_tbENKUlT_T0_SG_SL_E_clIS7_S7_PlSB_EEDaSZ_S10_SG_SL_EUlSZ_E_NS1_11comp_targetILNS1_3genE6ELNS1_11target_archE950ELNS1_3gpuE13ELNS1_3repE0EEENS1_47radix_sort_onesweep_sort_config_static_selectorELNS0_4arch9wavefront6targetE1EEEvSG_
	.globl	_ZN7rocprim17ROCPRIM_400000_NS6detail17trampoline_kernelINS0_14default_configENS1_35radix_sort_onesweep_config_selectorIilEEZZNS1_29radix_sort_onesweep_iterationIS3_Lb0EPiS7_N6thrust23THRUST_200600_302600_NS10device_ptrIlEESB_jNS0_19identity_decomposerENS1_16block_id_wrapperIjLb0EEEEE10hipError_tT1_PNSt15iterator_traitsISG_E10value_typeET2_T3_PNSH_ISM_E10value_typeET4_T5_PSR_SS_PNS1_23onesweep_lookback_stateEbbT6_jjT7_P12ihipStream_tbENKUlT_T0_SG_SL_E_clIS7_S7_PlSB_EEDaSZ_S10_SG_SL_EUlSZ_E_NS1_11comp_targetILNS1_3genE6ELNS1_11target_archE950ELNS1_3gpuE13ELNS1_3repE0EEENS1_47radix_sort_onesweep_sort_config_static_selectorELNS0_4arch9wavefront6targetE1EEEvSG_
	.p2align	8
	.type	_ZN7rocprim17ROCPRIM_400000_NS6detail17trampoline_kernelINS0_14default_configENS1_35radix_sort_onesweep_config_selectorIilEEZZNS1_29radix_sort_onesweep_iterationIS3_Lb0EPiS7_N6thrust23THRUST_200600_302600_NS10device_ptrIlEESB_jNS0_19identity_decomposerENS1_16block_id_wrapperIjLb0EEEEE10hipError_tT1_PNSt15iterator_traitsISG_E10value_typeET2_T3_PNSH_ISM_E10value_typeET4_T5_PSR_SS_PNS1_23onesweep_lookback_stateEbbT6_jjT7_P12ihipStream_tbENKUlT_T0_SG_SL_E_clIS7_S7_PlSB_EEDaSZ_S10_SG_SL_EUlSZ_E_NS1_11comp_targetILNS1_3genE6ELNS1_11target_archE950ELNS1_3gpuE13ELNS1_3repE0EEENS1_47radix_sort_onesweep_sort_config_static_selectorELNS0_4arch9wavefront6targetE1EEEvSG_,@function
_ZN7rocprim17ROCPRIM_400000_NS6detail17trampoline_kernelINS0_14default_configENS1_35radix_sort_onesweep_config_selectorIilEEZZNS1_29radix_sort_onesweep_iterationIS3_Lb0EPiS7_N6thrust23THRUST_200600_302600_NS10device_ptrIlEESB_jNS0_19identity_decomposerENS1_16block_id_wrapperIjLb0EEEEE10hipError_tT1_PNSt15iterator_traitsISG_E10value_typeET2_T3_PNSH_ISM_E10value_typeET4_T5_PSR_SS_PNS1_23onesweep_lookback_stateEbbT6_jjT7_P12ihipStream_tbENKUlT_T0_SG_SL_E_clIS7_S7_PlSB_EEDaSZ_S10_SG_SL_EUlSZ_E_NS1_11comp_targetILNS1_3genE6ELNS1_11target_archE950ELNS1_3gpuE13ELNS1_3repE0EEENS1_47radix_sort_onesweep_sort_config_static_selectorELNS0_4arch9wavefront6targetE1EEEvSG_: ; @_ZN7rocprim17ROCPRIM_400000_NS6detail17trampoline_kernelINS0_14default_configENS1_35radix_sort_onesweep_config_selectorIilEEZZNS1_29radix_sort_onesweep_iterationIS3_Lb0EPiS7_N6thrust23THRUST_200600_302600_NS10device_ptrIlEESB_jNS0_19identity_decomposerENS1_16block_id_wrapperIjLb0EEEEE10hipError_tT1_PNSt15iterator_traitsISG_E10value_typeET2_T3_PNSH_ISM_E10value_typeET4_T5_PSR_SS_PNS1_23onesweep_lookback_stateEbbT6_jjT7_P12ihipStream_tbENKUlT_T0_SG_SL_E_clIS7_S7_PlSB_EEDaSZ_S10_SG_SL_EUlSZ_E_NS1_11comp_targetILNS1_3genE6ELNS1_11target_archE950ELNS1_3gpuE13ELNS1_3repE0EEENS1_47radix_sort_onesweep_sort_config_static_selectorELNS0_4arch9wavefront6targetE1EEEvSG_
; %bb.0:
	.section	.rodata,"a",@progbits
	.p2align	6, 0x0
	.amdhsa_kernel _ZN7rocprim17ROCPRIM_400000_NS6detail17trampoline_kernelINS0_14default_configENS1_35radix_sort_onesweep_config_selectorIilEEZZNS1_29radix_sort_onesweep_iterationIS3_Lb0EPiS7_N6thrust23THRUST_200600_302600_NS10device_ptrIlEESB_jNS0_19identity_decomposerENS1_16block_id_wrapperIjLb0EEEEE10hipError_tT1_PNSt15iterator_traitsISG_E10value_typeET2_T3_PNSH_ISM_E10value_typeET4_T5_PSR_SS_PNS1_23onesweep_lookback_stateEbbT6_jjT7_P12ihipStream_tbENKUlT_T0_SG_SL_E_clIS7_S7_PlSB_EEDaSZ_S10_SG_SL_EUlSZ_E_NS1_11comp_targetILNS1_3genE6ELNS1_11target_archE950ELNS1_3gpuE13ELNS1_3repE0EEENS1_47radix_sort_onesweep_sort_config_static_selectorELNS0_4arch9wavefront6targetE1EEEvSG_
		.amdhsa_group_segment_fixed_size 0
		.amdhsa_private_segment_fixed_size 0
		.amdhsa_kernarg_size 88
		.amdhsa_user_sgpr_count 6
		.amdhsa_user_sgpr_private_segment_buffer 1
		.amdhsa_user_sgpr_dispatch_ptr 0
		.amdhsa_user_sgpr_queue_ptr 0
		.amdhsa_user_sgpr_kernarg_segment_ptr 1
		.amdhsa_user_sgpr_dispatch_id 0
		.amdhsa_user_sgpr_flat_scratch_init 0
		.amdhsa_user_sgpr_kernarg_preload_length 0
		.amdhsa_user_sgpr_kernarg_preload_offset 0
		.amdhsa_user_sgpr_private_segment_size 0
		.amdhsa_uses_dynamic_stack 0
		.amdhsa_system_sgpr_private_segment_wavefront_offset 0
		.amdhsa_system_sgpr_workgroup_id_x 1
		.amdhsa_system_sgpr_workgroup_id_y 0
		.amdhsa_system_sgpr_workgroup_id_z 0
		.amdhsa_system_sgpr_workgroup_info 0
		.amdhsa_system_vgpr_workitem_id 0
		.amdhsa_next_free_vgpr 1
		.amdhsa_next_free_sgpr 0
		.amdhsa_accum_offset 4
		.amdhsa_reserve_vcc 0
		.amdhsa_reserve_flat_scratch 0
		.amdhsa_float_round_mode_32 0
		.amdhsa_float_round_mode_16_64 0
		.amdhsa_float_denorm_mode_32 3
		.amdhsa_float_denorm_mode_16_64 3
		.amdhsa_dx10_clamp 1
		.amdhsa_ieee_mode 1
		.amdhsa_fp16_overflow 0
		.amdhsa_tg_split 0
		.amdhsa_exception_fp_ieee_invalid_op 0
		.amdhsa_exception_fp_denorm_src 0
		.amdhsa_exception_fp_ieee_div_zero 0
		.amdhsa_exception_fp_ieee_overflow 0
		.amdhsa_exception_fp_ieee_underflow 0
		.amdhsa_exception_fp_ieee_inexact 0
		.amdhsa_exception_int_div_zero 0
	.end_amdhsa_kernel
	.section	.text._ZN7rocprim17ROCPRIM_400000_NS6detail17trampoline_kernelINS0_14default_configENS1_35radix_sort_onesweep_config_selectorIilEEZZNS1_29radix_sort_onesweep_iterationIS3_Lb0EPiS7_N6thrust23THRUST_200600_302600_NS10device_ptrIlEESB_jNS0_19identity_decomposerENS1_16block_id_wrapperIjLb0EEEEE10hipError_tT1_PNSt15iterator_traitsISG_E10value_typeET2_T3_PNSH_ISM_E10value_typeET4_T5_PSR_SS_PNS1_23onesweep_lookback_stateEbbT6_jjT7_P12ihipStream_tbENKUlT_T0_SG_SL_E_clIS7_S7_PlSB_EEDaSZ_S10_SG_SL_EUlSZ_E_NS1_11comp_targetILNS1_3genE6ELNS1_11target_archE950ELNS1_3gpuE13ELNS1_3repE0EEENS1_47radix_sort_onesweep_sort_config_static_selectorELNS0_4arch9wavefront6targetE1EEEvSG_,"axG",@progbits,_ZN7rocprim17ROCPRIM_400000_NS6detail17trampoline_kernelINS0_14default_configENS1_35radix_sort_onesweep_config_selectorIilEEZZNS1_29radix_sort_onesweep_iterationIS3_Lb0EPiS7_N6thrust23THRUST_200600_302600_NS10device_ptrIlEESB_jNS0_19identity_decomposerENS1_16block_id_wrapperIjLb0EEEEE10hipError_tT1_PNSt15iterator_traitsISG_E10value_typeET2_T3_PNSH_ISM_E10value_typeET4_T5_PSR_SS_PNS1_23onesweep_lookback_stateEbbT6_jjT7_P12ihipStream_tbENKUlT_T0_SG_SL_E_clIS7_S7_PlSB_EEDaSZ_S10_SG_SL_EUlSZ_E_NS1_11comp_targetILNS1_3genE6ELNS1_11target_archE950ELNS1_3gpuE13ELNS1_3repE0EEENS1_47radix_sort_onesweep_sort_config_static_selectorELNS0_4arch9wavefront6targetE1EEEvSG_,comdat
.Lfunc_end912:
	.size	_ZN7rocprim17ROCPRIM_400000_NS6detail17trampoline_kernelINS0_14default_configENS1_35radix_sort_onesweep_config_selectorIilEEZZNS1_29radix_sort_onesweep_iterationIS3_Lb0EPiS7_N6thrust23THRUST_200600_302600_NS10device_ptrIlEESB_jNS0_19identity_decomposerENS1_16block_id_wrapperIjLb0EEEEE10hipError_tT1_PNSt15iterator_traitsISG_E10value_typeET2_T3_PNSH_ISM_E10value_typeET4_T5_PSR_SS_PNS1_23onesweep_lookback_stateEbbT6_jjT7_P12ihipStream_tbENKUlT_T0_SG_SL_E_clIS7_S7_PlSB_EEDaSZ_S10_SG_SL_EUlSZ_E_NS1_11comp_targetILNS1_3genE6ELNS1_11target_archE950ELNS1_3gpuE13ELNS1_3repE0EEENS1_47radix_sort_onesweep_sort_config_static_selectorELNS0_4arch9wavefront6targetE1EEEvSG_, .Lfunc_end912-_ZN7rocprim17ROCPRIM_400000_NS6detail17trampoline_kernelINS0_14default_configENS1_35radix_sort_onesweep_config_selectorIilEEZZNS1_29radix_sort_onesweep_iterationIS3_Lb0EPiS7_N6thrust23THRUST_200600_302600_NS10device_ptrIlEESB_jNS0_19identity_decomposerENS1_16block_id_wrapperIjLb0EEEEE10hipError_tT1_PNSt15iterator_traitsISG_E10value_typeET2_T3_PNSH_ISM_E10value_typeET4_T5_PSR_SS_PNS1_23onesweep_lookback_stateEbbT6_jjT7_P12ihipStream_tbENKUlT_T0_SG_SL_E_clIS7_S7_PlSB_EEDaSZ_S10_SG_SL_EUlSZ_E_NS1_11comp_targetILNS1_3genE6ELNS1_11target_archE950ELNS1_3gpuE13ELNS1_3repE0EEENS1_47radix_sort_onesweep_sort_config_static_selectorELNS0_4arch9wavefront6targetE1EEEvSG_
                                        ; -- End function
	.section	.AMDGPU.csdata,"",@progbits
; Kernel info:
; codeLenInByte = 0
; NumSgprs: 4
; NumVgprs: 0
; NumAgprs: 0
; TotalNumVgprs: 0
; ScratchSize: 0
; MemoryBound: 0
; FloatMode: 240
; IeeeMode: 1
; LDSByteSize: 0 bytes/workgroup (compile time only)
; SGPRBlocks: 0
; VGPRBlocks: 0
; NumSGPRsForWavesPerEU: 4
; NumVGPRsForWavesPerEU: 1
; AccumOffset: 4
; Occupancy: 8
; WaveLimiterHint : 0
; COMPUTE_PGM_RSRC2:SCRATCH_EN: 0
; COMPUTE_PGM_RSRC2:USER_SGPR: 6
; COMPUTE_PGM_RSRC2:TRAP_HANDLER: 0
; COMPUTE_PGM_RSRC2:TGID_X_EN: 1
; COMPUTE_PGM_RSRC2:TGID_Y_EN: 0
; COMPUTE_PGM_RSRC2:TGID_Z_EN: 0
; COMPUTE_PGM_RSRC2:TIDIG_COMP_CNT: 0
; COMPUTE_PGM_RSRC3_GFX90A:ACCUM_OFFSET: 0
; COMPUTE_PGM_RSRC3_GFX90A:TG_SPLIT: 0
	.section	.text._ZN7rocprim17ROCPRIM_400000_NS6detail17trampoline_kernelINS0_14default_configENS1_35radix_sort_onesweep_config_selectorIilEEZZNS1_29radix_sort_onesweep_iterationIS3_Lb0EPiS7_N6thrust23THRUST_200600_302600_NS10device_ptrIlEESB_jNS0_19identity_decomposerENS1_16block_id_wrapperIjLb0EEEEE10hipError_tT1_PNSt15iterator_traitsISG_E10value_typeET2_T3_PNSH_ISM_E10value_typeET4_T5_PSR_SS_PNS1_23onesweep_lookback_stateEbbT6_jjT7_P12ihipStream_tbENKUlT_T0_SG_SL_E_clIS7_S7_PlSB_EEDaSZ_S10_SG_SL_EUlSZ_E_NS1_11comp_targetILNS1_3genE5ELNS1_11target_archE942ELNS1_3gpuE9ELNS1_3repE0EEENS1_47radix_sort_onesweep_sort_config_static_selectorELNS0_4arch9wavefront6targetE1EEEvSG_,"axG",@progbits,_ZN7rocprim17ROCPRIM_400000_NS6detail17trampoline_kernelINS0_14default_configENS1_35radix_sort_onesweep_config_selectorIilEEZZNS1_29radix_sort_onesweep_iterationIS3_Lb0EPiS7_N6thrust23THRUST_200600_302600_NS10device_ptrIlEESB_jNS0_19identity_decomposerENS1_16block_id_wrapperIjLb0EEEEE10hipError_tT1_PNSt15iterator_traitsISG_E10value_typeET2_T3_PNSH_ISM_E10value_typeET4_T5_PSR_SS_PNS1_23onesweep_lookback_stateEbbT6_jjT7_P12ihipStream_tbENKUlT_T0_SG_SL_E_clIS7_S7_PlSB_EEDaSZ_S10_SG_SL_EUlSZ_E_NS1_11comp_targetILNS1_3genE5ELNS1_11target_archE942ELNS1_3gpuE9ELNS1_3repE0EEENS1_47radix_sort_onesweep_sort_config_static_selectorELNS0_4arch9wavefront6targetE1EEEvSG_,comdat
	.protected	_ZN7rocprim17ROCPRIM_400000_NS6detail17trampoline_kernelINS0_14default_configENS1_35radix_sort_onesweep_config_selectorIilEEZZNS1_29radix_sort_onesweep_iterationIS3_Lb0EPiS7_N6thrust23THRUST_200600_302600_NS10device_ptrIlEESB_jNS0_19identity_decomposerENS1_16block_id_wrapperIjLb0EEEEE10hipError_tT1_PNSt15iterator_traitsISG_E10value_typeET2_T3_PNSH_ISM_E10value_typeET4_T5_PSR_SS_PNS1_23onesweep_lookback_stateEbbT6_jjT7_P12ihipStream_tbENKUlT_T0_SG_SL_E_clIS7_S7_PlSB_EEDaSZ_S10_SG_SL_EUlSZ_E_NS1_11comp_targetILNS1_3genE5ELNS1_11target_archE942ELNS1_3gpuE9ELNS1_3repE0EEENS1_47radix_sort_onesweep_sort_config_static_selectorELNS0_4arch9wavefront6targetE1EEEvSG_ ; -- Begin function _ZN7rocprim17ROCPRIM_400000_NS6detail17trampoline_kernelINS0_14default_configENS1_35radix_sort_onesweep_config_selectorIilEEZZNS1_29radix_sort_onesweep_iterationIS3_Lb0EPiS7_N6thrust23THRUST_200600_302600_NS10device_ptrIlEESB_jNS0_19identity_decomposerENS1_16block_id_wrapperIjLb0EEEEE10hipError_tT1_PNSt15iterator_traitsISG_E10value_typeET2_T3_PNSH_ISM_E10value_typeET4_T5_PSR_SS_PNS1_23onesweep_lookback_stateEbbT6_jjT7_P12ihipStream_tbENKUlT_T0_SG_SL_E_clIS7_S7_PlSB_EEDaSZ_S10_SG_SL_EUlSZ_E_NS1_11comp_targetILNS1_3genE5ELNS1_11target_archE942ELNS1_3gpuE9ELNS1_3repE0EEENS1_47radix_sort_onesweep_sort_config_static_selectorELNS0_4arch9wavefront6targetE1EEEvSG_
	.globl	_ZN7rocprim17ROCPRIM_400000_NS6detail17trampoline_kernelINS0_14default_configENS1_35radix_sort_onesweep_config_selectorIilEEZZNS1_29radix_sort_onesweep_iterationIS3_Lb0EPiS7_N6thrust23THRUST_200600_302600_NS10device_ptrIlEESB_jNS0_19identity_decomposerENS1_16block_id_wrapperIjLb0EEEEE10hipError_tT1_PNSt15iterator_traitsISG_E10value_typeET2_T3_PNSH_ISM_E10value_typeET4_T5_PSR_SS_PNS1_23onesweep_lookback_stateEbbT6_jjT7_P12ihipStream_tbENKUlT_T0_SG_SL_E_clIS7_S7_PlSB_EEDaSZ_S10_SG_SL_EUlSZ_E_NS1_11comp_targetILNS1_3genE5ELNS1_11target_archE942ELNS1_3gpuE9ELNS1_3repE0EEENS1_47radix_sort_onesweep_sort_config_static_selectorELNS0_4arch9wavefront6targetE1EEEvSG_
	.p2align	8
	.type	_ZN7rocprim17ROCPRIM_400000_NS6detail17trampoline_kernelINS0_14default_configENS1_35radix_sort_onesweep_config_selectorIilEEZZNS1_29radix_sort_onesweep_iterationIS3_Lb0EPiS7_N6thrust23THRUST_200600_302600_NS10device_ptrIlEESB_jNS0_19identity_decomposerENS1_16block_id_wrapperIjLb0EEEEE10hipError_tT1_PNSt15iterator_traitsISG_E10value_typeET2_T3_PNSH_ISM_E10value_typeET4_T5_PSR_SS_PNS1_23onesweep_lookback_stateEbbT6_jjT7_P12ihipStream_tbENKUlT_T0_SG_SL_E_clIS7_S7_PlSB_EEDaSZ_S10_SG_SL_EUlSZ_E_NS1_11comp_targetILNS1_3genE5ELNS1_11target_archE942ELNS1_3gpuE9ELNS1_3repE0EEENS1_47radix_sort_onesweep_sort_config_static_selectorELNS0_4arch9wavefront6targetE1EEEvSG_,@function
_ZN7rocprim17ROCPRIM_400000_NS6detail17trampoline_kernelINS0_14default_configENS1_35radix_sort_onesweep_config_selectorIilEEZZNS1_29radix_sort_onesweep_iterationIS3_Lb0EPiS7_N6thrust23THRUST_200600_302600_NS10device_ptrIlEESB_jNS0_19identity_decomposerENS1_16block_id_wrapperIjLb0EEEEE10hipError_tT1_PNSt15iterator_traitsISG_E10value_typeET2_T3_PNSH_ISM_E10value_typeET4_T5_PSR_SS_PNS1_23onesweep_lookback_stateEbbT6_jjT7_P12ihipStream_tbENKUlT_T0_SG_SL_E_clIS7_S7_PlSB_EEDaSZ_S10_SG_SL_EUlSZ_E_NS1_11comp_targetILNS1_3genE5ELNS1_11target_archE942ELNS1_3gpuE9ELNS1_3repE0EEENS1_47radix_sort_onesweep_sort_config_static_selectorELNS0_4arch9wavefront6targetE1EEEvSG_: ; @_ZN7rocprim17ROCPRIM_400000_NS6detail17trampoline_kernelINS0_14default_configENS1_35radix_sort_onesweep_config_selectorIilEEZZNS1_29radix_sort_onesweep_iterationIS3_Lb0EPiS7_N6thrust23THRUST_200600_302600_NS10device_ptrIlEESB_jNS0_19identity_decomposerENS1_16block_id_wrapperIjLb0EEEEE10hipError_tT1_PNSt15iterator_traitsISG_E10value_typeET2_T3_PNSH_ISM_E10value_typeET4_T5_PSR_SS_PNS1_23onesweep_lookback_stateEbbT6_jjT7_P12ihipStream_tbENKUlT_T0_SG_SL_E_clIS7_S7_PlSB_EEDaSZ_S10_SG_SL_EUlSZ_E_NS1_11comp_targetILNS1_3genE5ELNS1_11target_archE942ELNS1_3gpuE9ELNS1_3repE0EEENS1_47radix_sort_onesweep_sort_config_static_selectorELNS0_4arch9wavefront6targetE1EEEvSG_
; %bb.0:
	.section	.rodata,"a",@progbits
	.p2align	6, 0x0
	.amdhsa_kernel _ZN7rocprim17ROCPRIM_400000_NS6detail17trampoline_kernelINS0_14default_configENS1_35radix_sort_onesweep_config_selectorIilEEZZNS1_29radix_sort_onesweep_iterationIS3_Lb0EPiS7_N6thrust23THRUST_200600_302600_NS10device_ptrIlEESB_jNS0_19identity_decomposerENS1_16block_id_wrapperIjLb0EEEEE10hipError_tT1_PNSt15iterator_traitsISG_E10value_typeET2_T3_PNSH_ISM_E10value_typeET4_T5_PSR_SS_PNS1_23onesweep_lookback_stateEbbT6_jjT7_P12ihipStream_tbENKUlT_T0_SG_SL_E_clIS7_S7_PlSB_EEDaSZ_S10_SG_SL_EUlSZ_E_NS1_11comp_targetILNS1_3genE5ELNS1_11target_archE942ELNS1_3gpuE9ELNS1_3repE0EEENS1_47radix_sort_onesweep_sort_config_static_selectorELNS0_4arch9wavefront6targetE1EEEvSG_
		.amdhsa_group_segment_fixed_size 0
		.amdhsa_private_segment_fixed_size 0
		.amdhsa_kernarg_size 88
		.amdhsa_user_sgpr_count 6
		.amdhsa_user_sgpr_private_segment_buffer 1
		.amdhsa_user_sgpr_dispatch_ptr 0
		.amdhsa_user_sgpr_queue_ptr 0
		.amdhsa_user_sgpr_kernarg_segment_ptr 1
		.amdhsa_user_sgpr_dispatch_id 0
		.amdhsa_user_sgpr_flat_scratch_init 0
		.amdhsa_user_sgpr_kernarg_preload_length 0
		.amdhsa_user_sgpr_kernarg_preload_offset 0
		.amdhsa_user_sgpr_private_segment_size 0
		.amdhsa_uses_dynamic_stack 0
		.amdhsa_system_sgpr_private_segment_wavefront_offset 0
		.amdhsa_system_sgpr_workgroup_id_x 1
		.amdhsa_system_sgpr_workgroup_id_y 0
		.amdhsa_system_sgpr_workgroup_id_z 0
		.amdhsa_system_sgpr_workgroup_info 0
		.amdhsa_system_vgpr_workitem_id 0
		.amdhsa_next_free_vgpr 1
		.amdhsa_next_free_sgpr 0
		.amdhsa_accum_offset 4
		.amdhsa_reserve_vcc 0
		.amdhsa_reserve_flat_scratch 0
		.amdhsa_float_round_mode_32 0
		.amdhsa_float_round_mode_16_64 0
		.amdhsa_float_denorm_mode_32 3
		.amdhsa_float_denorm_mode_16_64 3
		.amdhsa_dx10_clamp 1
		.amdhsa_ieee_mode 1
		.amdhsa_fp16_overflow 0
		.amdhsa_tg_split 0
		.amdhsa_exception_fp_ieee_invalid_op 0
		.amdhsa_exception_fp_denorm_src 0
		.amdhsa_exception_fp_ieee_div_zero 0
		.amdhsa_exception_fp_ieee_overflow 0
		.amdhsa_exception_fp_ieee_underflow 0
		.amdhsa_exception_fp_ieee_inexact 0
		.amdhsa_exception_int_div_zero 0
	.end_amdhsa_kernel
	.section	.text._ZN7rocprim17ROCPRIM_400000_NS6detail17trampoline_kernelINS0_14default_configENS1_35radix_sort_onesweep_config_selectorIilEEZZNS1_29radix_sort_onesweep_iterationIS3_Lb0EPiS7_N6thrust23THRUST_200600_302600_NS10device_ptrIlEESB_jNS0_19identity_decomposerENS1_16block_id_wrapperIjLb0EEEEE10hipError_tT1_PNSt15iterator_traitsISG_E10value_typeET2_T3_PNSH_ISM_E10value_typeET4_T5_PSR_SS_PNS1_23onesweep_lookback_stateEbbT6_jjT7_P12ihipStream_tbENKUlT_T0_SG_SL_E_clIS7_S7_PlSB_EEDaSZ_S10_SG_SL_EUlSZ_E_NS1_11comp_targetILNS1_3genE5ELNS1_11target_archE942ELNS1_3gpuE9ELNS1_3repE0EEENS1_47radix_sort_onesweep_sort_config_static_selectorELNS0_4arch9wavefront6targetE1EEEvSG_,"axG",@progbits,_ZN7rocprim17ROCPRIM_400000_NS6detail17trampoline_kernelINS0_14default_configENS1_35radix_sort_onesweep_config_selectorIilEEZZNS1_29radix_sort_onesweep_iterationIS3_Lb0EPiS7_N6thrust23THRUST_200600_302600_NS10device_ptrIlEESB_jNS0_19identity_decomposerENS1_16block_id_wrapperIjLb0EEEEE10hipError_tT1_PNSt15iterator_traitsISG_E10value_typeET2_T3_PNSH_ISM_E10value_typeET4_T5_PSR_SS_PNS1_23onesweep_lookback_stateEbbT6_jjT7_P12ihipStream_tbENKUlT_T0_SG_SL_E_clIS7_S7_PlSB_EEDaSZ_S10_SG_SL_EUlSZ_E_NS1_11comp_targetILNS1_3genE5ELNS1_11target_archE942ELNS1_3gpuE9ELNS1_3repE0EEENS1_47radix_sort_onesweep_sort_config_static_selectorELNS0_4arch9wavefront6targetE1EEEvSG_,comdat
.Lfunc_end913:
	.size	_ZN7rocprim17ROCPRIM_400000_NS6detail17trampoline_kernelINS0_14default_configENS1_35radix_sort_onesweep_config_selectorIilEEZZNS1_29radix_sort_onesweep_iterationIS3_Lb0EPiS7_N6thrust23THRUST_200600_302600_NS10device_ptrIlEESB_jNS0_19identity_decomposerENS1_16block_id_wrapperIjLb0EEEEE10hipError_tT1_PNSt15iterator_traitsISG_E10value_typeET2_T3_PNSH_ISM_E10value_typeET4_T5_PSR_SS_PNS1_23onesweep_lookback_stateEbbT6_jjT7_P12ihipStream_tbENKUlT_T0_SG_SL_E_clIS7_S7_PlSB_EEDaSZ_S10_SG_SL_EUlSZ_E_NS1_11comp_targetILNS1_3genE5ELNS1_11target_archE942ELNS1_3gpuE9ELNS1_3repE0EEENS1_47radix_sort_onesweep_sort_config_static_selectorELNS0_4arch9wavefront6targetE1EEEvSG_, .Lfunc_end913-_ZN7rocprim17ROCPRIM_400000_NS6detail17trampoline_kernelINS0_14default_configENS1_35radix_sort_onesweep_config_selectorIilEEZZNS1_29radix_sort_onesweep_iterationIS3_Lb0EPiS7_N6thrust23THRUST_200600_302600_NS10device_ptrIlEESB_jNS0_19identity_decomposerENS1_16block_id_wrapperIjLb0EEEEE10hipError_tT1_PNSt15iterator_traitsISG_E10value_typeET2_T3_PNSH_ISM_E10value_typeET4_T5_PSR_SS_PNS1_23onesweep_lookback_stateEbbT6_jjT7_P12ihipStream_tbENKUlT_T0_SG_SL_E_clIS7_S7_PlSB_EEDaSZ_S10_SG_SL_EUlSZ_E_NS1_11comp_targetILNS1_3genE5ELNS1_11target_archE942ELNS1_3gpuE9ELNS1_3repE0EEENS1_47radix_sort_onesweep_sort_config_static_selectorELNS0_4arch9wavefront6targetE1EEEvSG_
                                        ; -- End function
	.section	.AMDGPU.csdata,"",@progbits
; Kernel info:
; codeLenInByte = 0
; NumSgprs: 4
; NumVgprs: 0
; NumAgprs: 0
; TotalNumVgprs: 0
; ScratchSize: 0
; MemoryBound: 0
; FloatMode: 240
; IeeeMode: 1
; LDSByteSize: 0 bytes/workgroup (compile time only)
; SGPRBlocks: 0
; VGPRBlocks: 0
; NumSGPRsForWavesPerEU: 4
; NumVGPRsForWavesPerEU: 1
; AccumOffset: 4
; Occupancy: 8
; WaveLimiterHint : 0
; COMPUTE_PGM_RSRC2:SCRATCH_EN: 0
; COMPUTE_PGM_RSRC2:USER_SGPR: 6
; COMPUTE_PGM_RSRC2:TRAP_HANDLER: 0
; COMPUTE_PGM_RSRC2:TGID_X_EN: 1
; COMPUTE_PGM_RSRC2:TGID_Y_EN: 0
; COMPUTE_PGM_RSRC2:TGID_Z_EN: 0
; COMPUTE_PGM_RSRC2:TIDIG_COMP_CNT: 0
; COMPUTE_PGM_RSRC3_GFX90A:ACCUM_OFFSET: 0
; COMPUTE_PGM_RSRC3_GFX90A:TG_SPLIT: 0
	.section	.text._ZN7rocprim17ROCPRIM_400000_NS6detail17trampoline_kernelINS0_14default_configENS1_35radix_sort_onesweep_config_selectorIilEEZZNS1_29radix_sort_onesweep_iterationIS3_Lb0EPiS7_N6thrust23THRUST_200600_302600_NS10device_ptrIlEESB_jNS0_19identity_decomposerENS1_16block_id_wrapperIjLb0EEEEE10hipError_tT1_PNSt15iterator_traitsISG_E10value_typeET2_T3_PNSH_ISM_E10value_typeET4_T5_PSR_SS_PNS1_23onesweep_lookback_stateEbbT6_jjT7_P12ihipStream_tbENKUlT_T0_SG_SL_E_clIS7_S7_PlSB_EEDaSZ_S10_SG_SL_EUlSZ_E_NS1_11comp_targetILNS1_3genE2ELNS1_11target_archE906ELNS1_3gpuE6ELNS1_3repE0EEENS1_47radix_sort_onesweep_sort_config_static_selectorELNS0_4arch9wavefront6targetE1EEEvSG_,"axG",@progbits,_ZN7rocprim17ROCPRIM_400000_NS6detail17trampoline_kernelINS0_14default_configENS1_35radix_sort_onesweep_config_selectorIilEEZZNS1_29radix_sort_onesweep_iterationIS3_Lb0EPiS7_N6thrust23THRUST_200600_302600_NS10device_ptrIlEESB_jNS0_19identity_decomposerENS1_16block_id_wrapperIjLb0EEEEE10hipError_tT1_PNSt15iterator_traitsISG_E10value_typeET2_T3_PNSH_ISM_E10value_typeET4_T5_PSR_SS_PNS1_23onesweep_lookback_stateEbbT6_jjT7_P12ihipStream_tbENKUlT_T0_SG_SL_E_clIS7_S7_PlSB_EEDaSZ_S10_SG_SL_EUlSZ_E_NS1_11comp_targetILNS1_3genE2ELNS1_11target_archE906ELNS1_3gpuE6ELNS1_3repE0EEENS1_47radix_sort_onesweep_sort_config_static_selectorELNS0_4arch9wavefront6targetE1EEEvSG_,comdat
	.protected	_ZN7rocprim17ROCPRIM_400000_NS6detail17trampoline_kernelINS0_14default_configENS1_35radix_sort_onesweep_config_selectorIilEEZZNS1_29radix_sort_onesweep_iterationIS3_Lb0EPiS7_N6thrust23THRUST_200600_302600_NS10device_ptrIlEESB_jNS0_19identity_decomposerENS1_16block_id_wrapperIjLb0EEEEE10hipError_tT1_PNSt15iterator_traitsISG_E10value_typeET2_T3_PNSH_ISM_E10value_typeET4_T5_PSR_SS_PNS1_23onesweep_lookback_stateEbbT6_jjT7_P12ihipStream_tbENKUlT_T0_SG_SL_E_clIS7_S7_PlSB_EEDaSZ_S10_SG_SL_EUlSZ_E_NS1_11comp_targetILNS1_3genE2ELNS1_11target_archE906ELNS1_3gpuE6ELNS1_3repE0EEENS1_47radix_sort_onesweep_sort_config_static_selectorELNS0_4arch9wavefront6targetE1EEEvSG_ ; -- Begin function _ZN7rocprim17ROCPRIM_400000_NS6detail17trampoline_kernelINS0_14default_configENS1_35radix_sort_onesweep_config_selectorIilEEZZNS1_29radix_sort_onesweep_iterationIS3_Lb0EPiS7_N6thrust23THRUST_200600_302600_NS10device_ptrIlEESB_jNS0_19identity_decomposerENS1_16block_id_wrapperIjLb0EEEEE10hipError_tT1_PNSt15iterator_traitsISG_E10value_typeET2_T3_PNSH_ISM_E10value_typeET4_T5_PSR_SS_PNS1_23onesweep_lookback_stateEbbT6_jjT7_P12ihipStream_tbENKUlT_T0_SG_SL_E_clIS7_S7_PlSB_EEDaSZ_S10_SG_SL_EUlSZ_E_NS1_11comp_targetILNS1_3genE2ELNS1_11target_archE906ELNS1_3gpuE6ELNS1_3repE0EEENS1_47radix_sort_onesweep_sort_config_static_selectorELNS0_4arch9wavefront6targetE1EEEvSG_
	.globl	_ZN7rocprim17ROCPRIM_400000_NS6detail17trampoline_kernelINS0_14default_configENS1_35radix_sort_onesweep_config_selectorIilEEZZNS1_29radix_sort_onesweep_iterationIS3_Lb0EPiS7_N6thrust23THRUST_200600_302600_NS10device_ptrIlEESB_jNS0_19identity_decomposerENS1_16block_id_wrapperIjLb0EEEEE10hipError_tT1_PNSt15iterator_traitsISG_E10value_typeET2_T3_PNSH_ISM_E10value_typeET4_T5_PSR_SS_PNS1_23onesweep_lookback_stateEbbT6_jjT7_P12ihipStream_tbENKUlT_T0_SG_SL_E_clIS7_S7_PlSB_EEDaSZ_S10_SG_SL_EUlSZ_E_NS1_11comp_targetILNS1_3genE2ELNS1_11target_archE906ELNS1_3gpuE6ELNS1_3repE0EEENS1_47radix_sort_onesweep_sort_config_static_selectorELNS0_4arch9wavefront6targetE1EEEvSG_
	.p2align	8
	.type	_ZN7rocprim17ROCPRIM_400000_NS6detail17trampoline_kernelINS0_14default_configENS1_35radix_sort_onesweep_config_selectorIilEEZZNS1_29radix_sort_onesweep_iterationIS3_Lb0EPiS7_N6thrust23THRUST_200600_302600_NS10device_ptrIlEESB_jNS0_19identity_decomposerENS1_16block_id_wrapperIjLb0EEEEE10hipError_tT1_PNSt15iterator_traitsISG_E10value_typeET2_T3_PNSH_ISM_E10value_typeET4_T5_PSR_SS_PNS1_23onesweep_lookback_stateEbbT6_jjT7_P12ihipStream_tbENKUlT_T0_SG_SL_E_clIS7_S7_PlSB_EEDaSZ_S10_SG_SL_EUlSZ_E_NS1_11comp_targetILNS1_3genE2ELNS1_11target_archE906ELNS1_3gpuE6ELNS1_3repE0EEENS1_47radix_sort_onesweep_sort_config_static_selectorELNS0_4arch9wavefront6targetE1EEEvSG_,@function
_ZN7rocprim17ROCPRIM_400000_NS6detail17trampoline_kernelINS0_14default_configENS1_35radix_sort_onesweep_config_selectorIilEEZZNS1_29radix_sort_onesweep_iterationIS3_Lb0EPiS7_N6thrust23THRUST_200600_302600_NS10device_ptrIlEESB_jNS0_19identity_decomposerENS1_16block_id_wrapperIjLb0EEEEE10hipError_tT1_PNSt15iterator_traitsISG_E10value_typeET2_T3_PNSH_ISM_E10value_typeET4_T5_PSR_SS_PNS1_23onesweep_lookback_stateEbbT6_jjT7_P12ihipStream_tbENKUlT_T0_SG_SL_E_clIS7_S7_PlSB_EEDaSZ_S10_SG_SL_EUlSZ_E_NS1_11comp_targetILNS1_3genE2ELNS1_11target_archE906ELNS1_3gpuE6ELNS1_3repE0EEENS1_47radix_sort_onesweep_sort_config_static_selectorELNS0_4arch9wavefront6targetE1EEEvSG_: ; @_ZN7rocprim17ROCPRIM_400000_NS6detail17trampoline_kernelINS0_14default_configENS1_35radix_sort_onesweep_config_selectorIilEEZZNS1_29radix_sort_onesweep_iterationIS3_Lb0EPiS7_N6thrust23THRUST_200600_302600_NS10device_ptrIlEESB_jNS0_19identity_decomposerENS1_16block_id_wrapperIjLb0EEEEE10hipError_tT1_PNSt15iterator_traitsISG_E10value_typeET2_T3_PNSH_ISM_E10value_typeET4_T5_PSR_SS_PNS1_23onesweep_lookback_stateEbbT6_jjT7_P12ihipStream_tbENKUlT_T0_SG_SL_E_clIS7_S7_PlSB_EEDaSZ_S10_SG_SL_EUlSZ_E_NS1_11comp_targetILNS1_3genE2ELNS1_11target_archE906ELNS1_3gpuE6ELNS1_3repE0EEENS1_47radix_sort_onesweep_sort_config_static_selectorELNS0_4arch9wavefront6targetE1EEEvSG_
; %bb.0:
	.section	.rodata,"a",@progbits
	.p2align	6, 0x0
	.amdhsa_kernel _ZN7rocprim17ROCPRIM_400000_NS6detail17trampoline_kernelINS0_14default_configENS1_35radix_sort_onesweep_config_selectorIilEEZZNS1_29radix_sort_onesweep_iterationIS3_Lb0EPiS7_N6thrust23THRUST_200600_302600_NS10device_ptrIlEESB_jNS0_19identity_decomposerENS1_16block_id_wrapperIjLb0EEEEE10hipError_tT1_PNSt15iterator_traitsISG_E10value_typeET2_T3_PNSH_ISM_E10value_typeET4_T5_PSR_SS_PNS1_23onesweep_lookback_stateEbbT6_jjT7_P12ihipStream_tbENKUlT_T0_SG_SL_E_clIS7_S7_PlSB_EEDaSZ_S10_SG_SL_EUlSZ_E_NS1_11comp_targetILNS1_3genE2ELNS1_11target_archE906ELNS1_3gpuE6ELNS1_3repE0EEENS1_47radix_sort_onesweep_sort_config_static_selectorELNS0_4arch9wavefront6targetE1EEEvSG_
		.amdhsa_group_segment_fixed_size 0
		.amdhsa_private_segment_fixed_size 0
		.amdhsa_kernarg_size 88
		.amdhsa_user_sgpr_count 6
		.amdhsa_user_sgpr_private_segment_buffer 1
		.amdhsa_user_sgpr_dispatch_ptr 0
		.amdhsa_user_sgpr_queue_ptr 0
		.amdhsa_user_sgpr_kernarg_segment_ptr 1
		.amdhsa_user_sgpr_dispatch_id 0
		.amdhsa_user_sgpr_flat_scratch_init 0
		.amdhsa_user_sgpr_kernarg_preload_length 0
		.amdhsa_user_sgpr_kernarg_preload_offset 0
		.amdhsa_user_sgpr_private_segment_size 0
		.amdhsa_uses_dynamic_stack 0
		.amdhsa_system_sgpr_private_segment_wavefront_offset 0
		.amdhsa_system_sgpr_workgroup_id_x 1
		.amdhsa_system_sgpr_workgroup_id_y 0
		.amdhsa_system_sgpr_workgroup_id_z 0
		.amdhsa_system_sgpr_workgroup_info 0
		.amdhsa_system_vgpr_workitem_id 0
		.amdhsa_next_free_vgpr 1
		.amdhsa_next_free_sgpr 0
		.amdhsa_accum_offset 4
		.amdhsa_reserve_vcc 0
		.amdhsa_reserve_flat_scratch 0
		.amdhsa_float_round_mode_32 0
		.amdhsa_float_round_mode_16_64 0
		.amdhsa_float_denorm_mode_32 3
		.amdhsa_float_denorm_mode_16_64 3
		.amdhsa_dx10_clamp 1
		.amdhsa_ieee_mode 1
		.amdhsa_fp16_overflow 0
		.amdhsa_tg_split 0
		.amdhsa_exception_fp_ieee_invalid_op 0
		.amdhsa_exception_fp_denorm_src 0
		.amdhsa_exception_fp_ieee_div_zero 0
		.amdhsa_exception_fp_ieee_overflow 0
		.amdhsa_exception_fp_ieee_underflow 0
		.amdhsa_exception_fp_ieee_inexact 0
		.amdhsa_exception_int_div_zero 0
	.end_amdhsa_kernel
	.section	.text._ZN7rocprim17ROCPRIM_400000_NS6detail17trampoline_kernelINS0_14default_configENS1_35radix_sort_onesweep_config_selectorIilEEZZNS1_29radix_sort_onesweep_iterationIS3_Lb0EPiS7_N6thrust23THRUST_200600_302600_NS10device_ptrIlEESB_jNS0_19identity_decomposerENS1_16block_id_wrapperIjLb0EEEEE10hipError_tT1_PNSt15iterator_traitsISG_E10value_typeET2_T3_PNSH_ISM_E10value_typeET4_T5_PSR_SS_PNS1_23onesweep_lookback_stateEbbT6_jjT7_P12ihipStream_tbENKUlT_T0_SG_SL_E_clIS7_S7_PlSB_EEDaSZ_S10_SG_SL_EUlSZ_E_NS1_11comp_targetILNS1_3genE2ELNS1_11target_archE906ELNS1_3gpuE6ELNS1_3repE0EEENS1_47radix_sort_onesweep_sort_config_static_selectorELNS0_4arch9wavefront6targetE1EEEvSG_,"axG",@progbits,_ZN7rocprim17ROCPRIM_400000_NS6detail17trampoline_kernelINS0_14default_configENS1_35radix_sort_onesweep_config_selectorIilEEZZNS1_29radix_sort_onesweep_iterationIS3_Lb0EPiS7_N6thrust23THRUST_200600_302600_NS10device_ptrIlEESB_jNS0_19identity_decomposerENS1_16block_id_wrapperIjLb0EEEEE10hipError_tT1_PNSt15iterator_traitsISG_E10value_typeET2_T3_PNSH_ISM_E10value_typeET4_T5_PSR_SS_PNS1_23onesweep_lookback_stateEbbT6_jjT7_P12ihipStream_tbENKUlT_T0_SG_SL_E_clIS7_S7_PlSB_EEDaSZ_S10_SG_SL_EUlSZ_E_NS1_11comp_targetILNS1_3genE2ELNS1_11target_archE906ELNS1_3gpuE6ELNS1_3repE0EEENS1_47radix_sort_onesweep_sort_config_static_selectorELNS0_4arch9wavefront6targetE1EEEvSG_,comdat
.Lfunc_end914:
	.size	_ZN7rocprim17ROCPRIM_400000_NS6detail17trampoline_kernelINS0_14default_configENS1_35radix_sort_onesweep_config_selectorIilEEZZNS1_29radix_sort_onesweep_iterationIS3_Lb0EPiS7_N6thrust23THRUST_200600_302600_NS10device_ptrIlEESB_jNS0_19identity_decomposerENS1_16block_id_wrapperIjLb0EEEEE10hipError_tT1_PNSt15iterator_traitsISG_E10value_typeET2_T3_PNSH_ISM_E10value_typeET4_T5_PSR_SS_PNS1_23onesweep_lookback_stateEbbT6_jjT7_P12ihipStream_tbENKUlT_T0_SG_SL_E_clIS7_S7_PlSB_EEDaSZ_S10_SG_SL_EUlSZ_E_NS1_11comp_targetILNS1_3genE2ELNS1_11target_archE906ELNS1_3gpuE6ELNS1_3repE0EEENS1_47radix_sort_onesweep_sort_config_static_selectorELNS0_4arch9wavefront6targetE1EEEvSG_, .Lfunc_end914-_ZN7rocprim17ROCPRIM_400000_NS6detail17trampoline_kernelINS0_14default_configENS1_35radix_sort_onesweep_config_selectorIilEEZZNS1_29radix_sort_onesweep_iterationIS3_Lb0EPiS7_N6thrust23THRUST_200600_302600_NS10device_ptrIlEESB_jNS0_19identity_decomposerENS1_16block_id_wrapperIjLb0EEEEE10hipError_tT1_PNSt15iterator_traitsISG_E10value_typeET2_T3_PNSH_ISM_E10value_typeET4_T5_PSR_SS_PNS1_23onesweep_lookback_stateEbbT6_jjT7_P12ihipStream_tbENKUlT_T0_SG_SL_E_clIS7_S7_PlSB_EEDaSZ_S10_SG_SL_EUlSZ_E_NS1_11comp_targetILNS1_3genE2ELNS1_11target_archE906ELNS1_3gpuE6ELNS1_3repE0EEENS1_47radix_sort_onesweep_sort_config_static_selectorELNS0_4arch9wavefront6targetE1EEEvSG_
                                        ; -- End function
	.section	.AMDGPU.csdata,"",@progbits
; Kernel info:
; codeLenInByte = 0
; NumSgprs: 4
; NumVgprs: 0
; NumAgprs: 0
; TotalNumVgprs: 0
; ScratchSize: 0
; MemoryBound: 0
; FloatMode: 240
; IeeeMode: 1
; LDSByteSize: 0 bytes/workgroup (compile time only)
; SGPRBlocks: 0
; VGPRBlocks: 0
; NumSGPRsForWavesPerEU: 4
; NumVGPRsForWavesPerEU: 1
; AccumOffset: 4
; Occupancy: 8
; WaveLimiterHint : 0
; COMPUTE_PGM_RSRC2:SCRATCH_EN: 0
; COMPUTE_PGM_RSRC2:USER_SGPR: 6
; COMPUTE_PGM_RSRC2:TRAP_HANDLER: 0
; COMPUTE_PGM_RSRC2:TGID_X_EN: 1
; COMPUTE_PGM_RSRC2:TGID_Y_EN: 0
; COMPUTE_PGM_RSRC2:TGID_Z_EN: 0
; COMPUTE_PGM_RSRC2:TIDIG_COMP_CNT: 0
; COMPUTE_PGM_RSRC3_GFX90A:ACCUM_OFFSET: 0
; COMPUTE_PGM_RSRC3_GFX90A:TG_SPLIT: 0
	.section	.text._ZN7rocprim17ROCPRIM_400000_NS6detail17trampoline_kernelINS0_14default_configENS1_35radix_sort_onesweep_config_selectorIilEEZZNS1_29radix_sort_onesweep_iterationIS3_Lb0EPiS7_N6thrust23THRUST_200600_302600_NS10device_ptrIlEESB_jNS0_19identity_decomposerENS1_16block_id_wrapperIjLb0EEEEE10hipError_tT1_PNSt15iterator_traitsISG_E10value_typeET2_T3_PNSH_ISM_E10value_typeET4_T5_PSR_SS_PNS1_23onesweep_lookback_stateEbbT6_jjT7_P12ihipStream_tbENKUlT_T0_SG_SL_E_clIS7_S7_PlSB_EEDaSZ_S10_SG_SL_EUlSZ_E_NS1_11comp_targetILNS1_3genE4ELNS1_11target_archE910ELNS1_3gpuE8ELNS1_3repE0EEENS1_47radix_sort_onesweep_sort_config_static_selectorELNS0_4arch9wavefront6targetE1EEEvSG_,"axG",@progbits,_ZN7rocprim17ROCPRIM_400000_NS6detail17trampoline_kernelINS0_14default_configENS1_35radix_sort_onesweep_config_selectorIilEEZZNS1_29radix_sort_onesweep_iterationIS3_Lb0EPiS7_N6thrust23THRUST_200600_302600_NS10device_ptrIlEESB_jNS0_19identity_decomposerENS1_16block_id_wrapperIjLb0EEEEE10hipError_tT1_PNSt15iterator_traitsISG_E10value_typeET2_T3_PNSH_ISM_E10value_typeET4_T5_PSR_SS_PNS1_23onesweep_lookback_stateEbbT6_jjT7_P12ihipStream_tbENKUlT_T0_SG_SL_E_clIS7_S7_PlSB_EEDaSZ_S10_SG_SL_EUlSZ_E_NS1_11comp_targetILNS1_3genE4ELNS1_11target_archE910ELNS1_3gpuE8ELNS1_3repE0EEENS1_47radix_sort_onesweep_sort_config_static_selectorELNS0_4arch9wavefront6targetE1EEEvSG_,comdat
	.protected	_ZN7rocprim17ROCPRIM_400000_NS6detail17trampoline_kernelINS0_14default_configENS1_35radix_sort_onesweep_config_selectorIilEEZZNS1_29radix_sort_onesweep_iterationIS3_Lb0EPiS7_N6thrust23THRUST_200600_302600_NS10device_ptrIlEESB_jNS0_19identity_decomposerENS1_16block_id_wrapperIjLb0EEEEE10hipError_tT1_PNSt15iterator_traitsISG_E10value_typeET2_T3_PNSH_ISM_E10value_typeET4_T5_PSR_SS_PNS1_23onesweep_lookback_stateEbbT6_jjT7_P12ihipStream_tbENKUlT_T0_SG_SL_E_clIS7_S7_PlSB_EEDaSZ_S10_SG_SL_EUlSZ_E_NS1_11comp_targetILNS1_3genE4ELNS1_11target_archE910ELNS1_3gpuE8ELNS1_3repE0EEENS1_47radix_sort_onesweep_sort_config_static_selectorELNS0_4arch9wavefront6targetE1EEEvSG_ ; -- Begin function _ZN7rocprim17ROCPRIM_400000_NS6detail17trampoline_kernelINS0_14default_configENS1_35radix_sort_onesweep_config_selectorIilEEZZNS1_29radix_sort_onesweep_iterationIS3_Lb0EPiS7_N6thrust23THRUST_200600_302600_NS10device_ptrIlEESB_jNS0_19identity_decomposerENS1_16block_id_wrapperIjLb0EEEEE10hipError_tT1_PNSt15iterator_traitsISG_E10value_typeET2_T3_PNSH_ISM_E10value_typeET4_T5_PSR_SS_PNS1_23onesweep_lookback_stateEbbT6_jjT7_P12ihipStream_tbENKUlT_T0_SG_SL_E_clIS7_S7_PlSB_EEDaSZ_S10_SG_SL_EUlSZ_E_NS1_11comp_targetILNS1_3genE4ELNS1_11target_archE910ELNS1_3gpuE8ELNS1_3repE0EEENS1_47radix_sort_onesweep_sort_config_static_selectorELNS0_4arch9wavefront6targetE1EEEvSG_
	.globl	_ZN7rocprim17ROCPRIM_400000_NS6detail17trampoline_kernelINS0_14default_configENS1_35radix_sort_onesweep_config_selectorIilEEZZNS1_29radix_sort_onesweep_iterationIS3_Lb0EPiS7_N6thrust23THRUST_200600_302600_NS10device_ptrIlEESB_jNS0_19identity_decomposerENS1_16block_id_wrapperIjLb0EEEEE10hipError_tT1_PNSt15iterator_traitsISG_E10value_typeET2_T3_PNSH_ISM_E10value_typeET4_T5_PSR_SS_PNS1_23onesweep_lookback_stateEbbT6_jjT7_P12ihipStream_tbENKUlT_T0_SG_SL_E_clIS7_S7_PlSB_EEDaSZ_S10_SG_SL_EUlSZ_E_NS1_11comp_targetILNS1_3genE4ELNS1_11target_archE910ELNS1_3gpuE8ELNS1_3repE0EEENS1_47radix_sort_onesweep_sort_config_static_selectorELNS0_4arch9wavefront6targetE1EEEvSG_
	.p2align	8
	.type	_ZN7rocprim17ROCPRIM_400000_NS6detail17trampoline_kernelINS0_14default_configENS1_35radix_sort_onesweep_config_selectorIilEEZZNS1_29radix_sort_onesweep_iterationIS3_Lb0EPiS7_N6thrust23THRUST_200600_302600_NS10device_ptrIlEESB_jNS0_19identity_decomposerENS1_16block_id_wrapperIjLb0EEEEE10hipError_tT1_PNSt15iterator_traitsISG_E10value_typeET2_T3_PNSH_ISM_E10value_typeET4_T5_PSR_SS_PNS1_23onesweep_lookback_stateEbbT6_jjT7_P12ihipStream_tbENKUlT_T0_SG_SL_E_clIS7_S7_PlSB_EEDaSZ_S10_SG_SL_EUlSZ_E_NS1_11comp_targetILNS1_3genE4ELNS1_11target_archE910ELNS1_3gpuE8ELNS1_3repE0EEENS1_47radix_sort_onesweep_sort_config_static_selectorELNS0_4arch9wavefront6targetE1EEEvSG_,@function
_ZN7rocprim17ROCPRIM_400000_NS6detail17trampoline_kernelINS0_14default_configENS1_35radix_sort_onesweep_config_selectorIilEEZZNS1_29radix_sort_onesweep_iterationIS3_Lb0EPiS7_N6thrust23THRUST_200600_302600_NS10device_ptrIlEESB_jNS0_19identity_decomposerENS1_16block_id_wrapperIjLb0EEEEE10hipError_tT1_PNSt15iterator_traitsISG_E10value_typeET2_T3_PNSH_ISM_E10value_typeET4_T5_PSR_SS_PNS1_23onesweep_lookback_stateEbbT6_jjT7_P12ihipStream_tbENKUlT_T0_SG_SL_E_clIS7_S7_PlSB_EEDaSZ_S10_SG_SL_EUlSZ_E_NS1_11comp_targetILNS1_3genE4ELNS1_11target_archE910ELNS1_3gpuE8ELNS1_3repE0EEENS1_47radix_sort_onesweep_sort_config_static_selectorELNS0_4arch9wavefront6targetE1EEEvSG_: ; @_ZN7rocprim17ROCPRIM_400000_NS6detail17trampoline_kernelINS0_14default_configENS1_35radix_sort_onesweep_config_selectorIilEEZZNS1_29radix_sort_onesweep_iterationIS3_Lb0EPiS7_N6thrust23THRUST_200600_302600_NS10device_ptrIlEESB_jNS0_19identity_decomposerENS1_16block_id_wrapperIjLb0EEEEE10hipError_tT1_PNSt15iterator_traitsISG_E10value_typeET2_T3_PNSH_ISM_E10value_typeET4_T5_PSR_SS_PNS1_23onesweep_lookback_stateEbbT6_jjT7_P12ihipStream_tbENKUlT_T0_SG_SL_E_clIS7_S7_PlSB_EEDaSZ_S10_SG_SL_EUlSZ_E_NS1_11comp_targetILNS1_3genE4ELNS1_11target_archE910ELNS1_3gpuE8ELNS1_3repE0EEENS1_47radix_sort_onesweep_sort_config_static_selectorELNS0_4arch9wavefront6targetE1EEEvSG_
; %bb.0:
	s_load_dwordx8 s[40:47], s[4:5], 0x0
	s_load_dwordx4 s[52:55], s[4:5], 0x44
	s_load_dwordx4 s[48:51], s[4:5], 0x28
	s_load_dwordx2 s[56:57], s[4:5], 0x38
	v_mbcnt_lo_u32_b32 v1, -1, 0
	s_waitcnt lgkmcnt(0)
	s_cmp_ge_u32 s6, s54
	s_cbranch_scc0 .LBB915_95
; %bb.1:
	s_load_dword s0, s[4:5], 0x20
	s_lshl_b32 s1, s54, 13
	s_lshl_b32 s54, s6, 13
	s_mov_b32 s55, 0
	v_and_b32_e32 v18, 0x3ff, v0
	s_waitcnt lgkmcnt(0)
	s_sub_i32 s7, s0, s1
	s_lshl_b64 s[0:1], s[54:55], 2
	v_mbcnt_hi_u32_b32 v6, -1, v1
	s_add_u32 s0, s40, s0
	v_and_b32_e32 v22, 63, v6
	v_lshlrev_b32_e32 v2, 4, v18
	s_addc_u32 s1, s41, s1
	v_and_b32_e32 v19, 0x1c00, v2
	v_lshlrev_b32_e32 v2, 2, v22
	v_mov_b32_e32 v3, s1
	v_add_co_u32_e32 v2, vcc, s0, v2
	v_addc_co_u32_e32 v3, vcc, 0, v3, vcc
	v_lshlrev_b32_e32 v4, 2, v19
	v_add_co_u32_e32 v2, vcc, v2, v4
	v_addc_co_u32_e32 v3, vcc, 0, v3, vcc
	v_or_b32_e32 v5, v22, v19
	v_cmp_gt_u32_e32 vcc, s7, v5
	v_bfrev_b32_e32 v9, -2
	v_bfrev_b32_e32 v4, -2
	s_and_saveexec_b64 s[0:1], vcc
	s_cbranch_execz .LBB915_3
; %bb.2:
	global_load_dword v4, v[2:3], off
.LBB915_3:
	s_or_b64 exec, exec, s[0:1]
	v_or_b32_e32 v7, 64, v5
	v_cmp_gt_u32_e64 s[36:37], s7, v7
	s_and_saveexec_b64 s[0:1], s[36:37]
	s_cbranch_execz .LBB915_5
; %bb.4:
	global_load_dword v9, v[2:3], off offset:256
.LBB915_5:
	s_or_b64 exec, exec, s[0:1]
	v_or_b32_e32 v7, 0x80, v5
	v_cmp_gt_u32_e64 s[10:11], s7, v7
	v_bfrev_b32_e32 v16, -2
	v_bfrev_b32_e32 v11, -2
	s_and_saveexec_b64 s[0:1], s[10:11]
	s_cbranch_execz .LBB915_7
; %bb.6:
	global_load_dword v11, v[2:3], off offset:512
.LBB915_7:
	s_or_b64 exec, exec, s[0:1]
	v_or_b32_e32 v7, 0xc0, v5
	v_cmp_gt_u32_e64 s[14:15], s7, v7
	s_and_saveexec_b64 s[0:1], s[14:15]
	s_cbranch_execz .LBB915_9
; %bb.8:
	global_load_dword v16, v[2:3], off offset:768
.LBB915_9:
	s_or_b64 exec, exec, s[0:1]
	v_or_b32_e32 v7, 0x100, v5
	v_cmp_gt_u32_e64 s[16:17], s7, v7
	v_bfrev_b32_e32 v28, -2
	v_bfrev_b32_e32 v27, -2
	s_and_saveexec_b64 s[0:1], s[16:17]
	s_cbranch_execz .LBB915_11
; %bb.10:
	global_load_dword v27, v[2:3], off offset:1024
.LBB915_11:
	;; [unrolled: 18-line block ×7, first 2 shown]
	s_or_b64 exec, exec, s[0:1]
	v_or_b32_e32 v5, 0x3c0, v5
	v_cmp_gt_u32_e64 s[0:1], s7, v5
	s_and_saveexec_b64 s[34:35], s[0:1]
	s_cbranch_execz .LBB915_33
; %bb.32:
	global_load_dword v15, v[2:3], off offset:3840
.LBB915_33:
	s_or_b64 exec, exec, s[34:35]
	s_load_dword s34, s[4:5], 0x64
	s_load_dword s33, s[4:5], 0x58
	s_add_u32 s35, s4, 0x58
	s_addc_u32 s38, s5, 0
	v_mov_b32_e32 v2, 0
	s_waitcnt lgkmcnt(0)
	s_lshr_b32 s39, s34, 16
	s_cmp_lt_u32 s6, s33
	s_cselect_b32 s34, 12, 18
	s_add_u32 s34, s35, s34
	s_addc_u32 s35, s38, 0
	global_load_ushort v5, v2, s[34:35]
	s_waitcnt vmcnt(1)
	v_xor_b32_e32 v23, 0x80000000, v4
	s_lshl_b32 s34, -1, s53
	v_lshrrev_b32_e32 v8, s52, v23
	s_not_b32 s66, s34
	v_and_b32_e32 v8, s66, v8
	v_and_b32_e32 v12, 1, v8
	v_bfe_u32 v3, v0, 10, 10
	v_bfe_u32 v4, v0, 20, 10
	v_add_co_u32_e64 v13, s[34:35], -1, v12
	v_mad_u32_u24 v4, v4, s39, v3
	v_lshlrev_b32_e32 v3, 30, v8
	v_addc_co_u32_e64 v14, s[34:35], 0, -1, s[34:35]
	v_cmp_ne_u32_e64 s[34:35], 0, v12
	v_cmp_gt_i64_e64 s[38:39], 0, v[2:3]
	v_not_b32_e32 v12, v3
	v_lshlrev_b32_e32 v3, 29, v8
	v_xor_b32_e32 v14, s35, v14
	v_xor_b32_e32 v13, s34, v13
	v_ashrrev_i32_e32 v12, 31, v12
	v_cmp_gt_i64_e64 s[34:35], 0, v[2:3]
	v_not_b32_e32 v17, v3
	v_lshlrev_b32_e32 v3, 28, v8
	v_and_b32_e32 v14, exec_hi, v14
	v_and_b32_e32 v13, exec_lo, v13
	v_xor_b32_e32 v20, s39, v12
	v_xor_b32_e32 v12, s38, v12
	v_ashrrev_i32_e32 v17, 31, v17
	v_cmp_gt_i64_e64 s[38:39], 0, v[2:3]
	v_not_b32_e32 v24, v3
	v_lshlrev_b32_e32 v3, 27, v8
	v_and_b32_e32 v14, v14, v20
	v_and_b32_e32 v12, v13, v12
	v_xor_b32_e32 v13, s35, v17
	v_xor_b32_e32 v17, s34, v17
	v_ashrrev_i32_e32 v20, 31, v24
	v_cmp_gt_i64_e64 s[34:35], 0, v[2:3]
	v_not_b32_e32 v24, v3
	v_lshlrev_b32_e32 v3, 26, v8
	v_and_b32_e32 v13, v14, v13
	v_and_b32_e32 v12, v12, v17
	;; [unrolled: 8-line block ×3, first 2 shown]
	v_xor_b32_e32 v14, s35, v20
	v_xor_b32_e32 v17, s34, v20
	v_ashrrev_i32_e32 v20, 31, v24
	v_cmp_gt_i64_e64 s[34:35], 0, v[2:3]
	v_not_b32_e32 v24, v3
	v_lshlrev_b32_e32 v3, 24, v8
	v_lshl_add_u32 v10, v8, 3, v8
	v_and_b32_e32 v8, v13, v14
	v_and_b32_e32 v12, v12, v17
	v_xor_b32_e32 v13, s39, v20
	v_xor_b32_e32 v14, s38, v20
	v_ashrrev_i32_e32 v17, 31, v24
	v_cmp_gt_i64_e64 s[38:39], 0, v[2:3]
	v_not_b32_e32 v3, v3
	v_and_b32_e32 v8, v8, v13
	v_and_b32_e32 v12, v12, v14
	v_xor_b32_e32 v13, s35, v17
	v_xor_b32_e32 v14, s34, v17
	v_ashrrev_i32_e32 v3, 31, v3
	v_and_b32_e32 v8, v8, v13
	v_and_b32_e32 v13, v12, v14
	v_mul_u32_u24_e32 v7, 5, v18
	v_lshlrev_b32_e32 v7, 2, v7
	ds_write2_b32 v7, v2, v2 offset0:8 offset1:9
	ds_write2_b32 v7, v2, v2 offset0:10 offset1:11
	ds_write_b32 v7, v2 offset:48
	s_waitcnt lgkmcnt(0)
	s_barrier
	s_waitcnt lgkmcnt(0)
	; wave barrier
	s_waitcnt vmcnt(0)
	v_mad_u64_u32 v[4:5], s[34:35], v4, v5, v[18:19]
	v_lshrrev_b32_e32 v31, 6, v4
	v_xor_b32_e32 v4, s39, v3
	v_xor_b32_e32 v3, s38, v3
	v_and_b32_e32 v5, v8, v4
	v_and_b32_e32 v4, v13, v3
	v_mbcnt_lo_u32_b32 v3, v4, 0
	v_mbcnt_hi_u32_b32 v8, v5, v3
	v_cmp_eq_u32_e64 s[34:35], 0, v8
	v_cmp_ne_u64_e64 s[38:39], 0, v[4:5]
	v_add_lshl_u32 v12, v31, v10, 2
	s_and_b64 s[38:39], s[38:39], s[34:35]
	s_and_saveexec_b64 s[34:35], s[38:39]
	s_cbranch_execz .LBB915_35
; %bb.34:
	v_bcnt_u32_b32 v3, v4, 0
	v_bcnt_u32_b32 v3, v5, v3
	ds_write_b32 v12, v3 offset:32
.LBB915_35:
	s_or_b64 exec, exec, s[34:35]
	v_xor_b32_e32 v24, 0x80000000, v9
	v_lshrrev_b32_e32 v3, s52, v24
	v_and_b32_e32 v4, s66, v3
	v_lshl_add_u32 v3, v4, 3, v4
	v_add_lshl_u32 v13, v31, v3, 2
	v_and_b32_e32 v3, 1, v4
	v_add_co_u32_e64 v5, s[34:35], -1, v3
	v_addc_co_u32_e64 v10, s[34:35], 0, -1, s[34:35]
	v_cmp_ne_u32_e64 s[34:35], 0, v3
	v_xor_b32_e32 v3, s35, v10
	v_and_b32_e32 v10, exec_hi, v3
	v_lshlrev_b32_e32 v3, 30, v4
	v_xor_b32_e32 v5, s34, v5
	v_cmp_gt_i64_e64 s[34:35], 0, v[2:3]
	v_not_b32_e32 v3, v3
	v_ashrrev_i32_e32 v3, 31, v3
	v_and_b32_e32 v5, exec_lo, v5
	v_xor_b32_e32 v14, s35, v3
	v_xor_b32_e32 v3, s34, v3
	v_and_b32_e32 v5, v5, v3
	v_lshlrev_b32_e32 v3, 29, v4
	v_cmp_gt_i64_e64 s[34:35], 0, v[2:3]
	v_not_b32_e32 v3, v3
	v_ashrrev_i32_e32 v3, 31, v3
	v_and_b32_e32 v10, v10, v14
	v_xor_b32_e32 v14, s35, v3
	v_xor_b32_e32 v3, s34, v3
	v_and_b32_e32 v5, v5, v3
	v_lshlrev_b32_e32 v3, 28, v4
	v_cmp_gt_i64_e64 s[34:35], 0, v[2:3]
	v_not_b32_e32 v3, v3
	v_ashrrev_i32_e32 v3, 31, v3
	v_and_b32_e32 v10, v10, v14
	;; [unrolled: 8-line block ×5, first 2 shown]
	v_xor_b32_e32 v14, s35, v3
	v_xor_b32_e32 v3, s34, v3
	v_and_b32_e32 v5, v5, v3
	v_lshlrev_b32_e32 v3, 24, v4
	v_cmp_gt_i64_e64 s[34:35], 0, v[2:3]
	v_not_b32_e32 v2, v3
	v_ashrrev_i32_e32 v2, 31, v2
	v_xor_b32_e32 v3, s35, v2
	v_xor_b32_e32 v2, s34, v2
	; wave barrier
	ds_read_b32 v9, v13 offset:32
	v_and_b32_e32 v10, v10, v14
	v_and_b32_e32 v2, v5, v2
	;; [unrolled: 1-line block ×3, first 2 shown]
	v_mbcnt_lo_u32_b32 v4, v2, 0
	v_mbcnt_hi_u32_b32 v10, v3, v4
	v_cmp_eq_u32_e64 s[34:35], 0, v10
	v_cmp_ne_u64_e64 s[38:39], 0, v[2:3]
	s_and_b64 s[38:39], s[38:39], s[34:35]
	; wave barrier
	s_and_saveexec_b64 s[34:35], s[38:39]
	s_cbranch_execz .LBB915_37
; %bb.36:
	v_bcnt_u32_b32 v2, v2, 0
	v_bcnt_u32_b32 v2, v3, v2
	s_waitcnt lgkmcnt(0)
	v_add_u32_e32 v2, v9, v2
	ds_write_b32 v13, v2 offset:32
.LBB915_37:
	s_or_b64 exec, exec, s[34:35]
	v_xor_b32_e32 v25, 0x80000000, v11
	v_lshrrev_b32_e32 v2, s52, v25
	v_and_b32_e32 v4, s66, v2
	v_and_b32_e32 v3, 1, v4
	v_add_co_u32_e64 v5, s[34:35], -1, v3
	v_addc_co_u32_e64 v14, s[34:35], 0, -1, s[34:35]
	v_cmp_ne_u32_e64 s[34:35], 0, v3
	v_lshl_add_u32 v2, v4, 3, v4
	v_xor_b32_e32 v3, s35, v14
	v_add_lshl_u32 v17, v31, v2, 2
	v_mov_b32_e32 v2, 0
	v_and_b32_e32 v14, exec_hi, v3
	v_lshlrev_b32_e32 v3, 30, v4
	v_xor_b32_e32 v5, s34, v5
	v_cmp_gt_i64_e64 s[34:35], 0, v[2:3]
	v_not_b32_e32 v3, v3
	v_ashrrev_i32_e32 v3, 31, v3
	v_and_b32_e32 v5, exec_lo, v5
	v_xor_b32_e32 v20, s35, v3
	v_xor_b32_e32 v3, s34, v3
	v_and_b32_e32 v5, v5, v3
	v_lshlrev_b32_e32 v3, 29, v4
	v_cmp_gt_i64_e64 s[34:35], 0, v[2:3]
	v_not_b32_e32 v3, v3
	v_ashrrev_i32_e32 v3, 31, v3
	v_and_b32_e32 v14, v14, v20
	v_xor_b32_e32 v20, s35, v3
	v_xor_b32_e32 v3, s34, v3
	v_and_b32_e32 v5, v5, v3
	v_lshlrev_b32_e32 v3, 28, v4
	v_cmp_gt_i64_e64 s[34:35], 0, v[2:3]
	v_not_b32_e32 v3, v3
	v_ashrrev_i32_e32 v3, 31, v3
	v_and_b32_e32 v14, v14, v20
	;; [unrolled: 8-line block ×5, first 2 shown]
	v_xor_b32_e32 v20, s35, v3
	v_xor_b32_e32 v3, s34, v3
	v_and_b32_e32 v14, v14, v20
	v_and_b32_e32 v20, v5, v3
	v_lshlrev_b32_e32 v3, 24, v4
	v_cmp_gt_i64_e64 s[34:35], 0, v[2:3]
	v_not_b32_e32 v3, v3
	v_ashrrev_i32_e32 v3, 31, v3
	v_xor_b32_e32 v4, s35, v3
	v_xor_b32_e32 v3, s34, v3
	; wave barrier
	ds_read_b32 v11, v17 offset:32
	v_and_b32_e32 v5, v14, v4
	v_and_b32_e32 v4, v20, v3
	v_mbcnt_lo_u32_b32 v3, v4, 0
	v_mbcnt_hi_u32_b32 v14, v5, v3
	v_cmp_eq_u32_e64 s[34:35], 0, v14
	v_cmp_ne_u64_e64 s[38:39], 0, v[4:5]
	s_and_b64 s[38:39], s[38:39], s[34:35]
	; wave barrier
	s_and_saveexec_b64 s[34:35], s[38:39]
	s_cbranch_execz .LBB915_39
; %bb.38:
	v_bcnt_u32_b32 v3, v4, 0
	v_bcnt_u32_b32 v3, v5, v3
	s_waitcnt lgkmcnt(0)
	v_add_u32_e32 v3, v11, v3
	ds_write_b32 v17, v3 offset:32
.LBB915_39:
	s_or_b64 exec, exec, s[34:35]
	v_xor_b32_e32 v26, 0x80000000, v16
	v_lshrrev_b32_e32 v3, s52, v26
	v_and_b32_e32 v4, s66, v3
	v_lshl_add_u32 v3, v4, 3, v4
	v_add_lshl_u32 v34, v31, v3, 2
	v_and_b32_e32 v3, 1, v4
	v_add_co_u32_e64 v5, s[34:35], -1, v3
	v_addc_co_u32_e64 v20, s[34:35], 0, -1, s[34:35]
	v_cmp_ne_u32_e64 s[34:35], 0, v3
	v_xor_b32_e32 v3, s35, v20
	v_and_b32_e32 v20, exec_hi, v3
	v_lshlrev_b32_e32 v3, 30, v4
	v_xor_b32_e32 v5, s34, v5
	v_cmp_gt_i64_e64 s[34:35], 0, v[2:3]
	v_not_b32_e32 v3, v3
	v_ashrrev_i32_e32 v3, 31, v3
	v_and_b32_e32 v5, exec_lo, v5
	v_xor_b32_e32 v30, s35, v3
	v_xor_b32_e32 v3, s34, v3
	v_and_b32_e32 v5, v5, v3
	v_lshlrev_b32_e32 v3, 29, v4
	v_cmp_gt_i64_e64 s[34:35], 0, v[2:3]
	v_not_b32_e32 v3, v3
	v_ashrrev_i32_e32 v3, 31, v3
	v_and_b32_e32 v20, v20, v30
	v_xor_b32_e32 v30, s35, v3
	v_xor_b32_e32 v3, s34, v3
	v_and_b32_e32 v5, v5, v3
	v_lshlrev_b32_e32 v3, 28, v4
	v_cmp_gt_i64_e64 s[34:35], 0, v[2:3]
	v_not_b32_e32 v3, v3
	v_ashrrev_i32_e32 v3, 31, v3
	v_and_b32_e32 v20, v20, v30
	;; [unrolled: 8-line block ×5, first 2 shown]
	v_xor_b32_e32 v30, s35, v3
	v_xor_b32_e32 v3, s34, v3
	v_and_b32_e32 v5, v5, v3
	v_lshlrev_b32_e32 v3, 24, v4
	v_cmp_gt_i64_e64 s[34:35], 0, v[2:3]
	v_not_b32_e32 v2, v3
	v_ashrrev_i32_e32 v2, 31, v2
	v_xor_b32_e32 v3, s35, v2
	v_xor_b32_e32 v2, s34, v2
	; wave barrier
	ds_read_b32 v16, v34 offset:32
	v_and_b32_e32 v20, v20, v30
	v_and_b32_e32 v2, v5, v2
	;; [unrolled: 1-line block ×3, first 2 shown]
	v_mbcnt_lo_u32_b32 v4, v2, 0
	v_mbcnt_hi_u32_b32 v20, v3, v4
	v_cmp_eq_u32_e64 s[34:35], 0, v20
	v_cmp_ne_u64_e64 s[38:39], 0, v[2:3]
	s_and_b64 s[38:39], s[38:39], s[34:35]
	; wave barrier
	s_and_saveexec_b64 s[34:35], s[38:39]
	s_cbranch_execz .LBB915_41
; %bb.40:
	v_bcnt_u32_b32 v2, v2, 0
	v_bcnt_u32_b32 v2, v3, v2
	s_waitcnt lgkmcnt(0)
	v_add_u32_e32 v2, v16, v2
	ds_write_b32 v34, v2 offset:32
.LBB915_41:
	s_or_b64 exec, exec, s[34:35]
	v_xor_b32_e32 v27, 0x80000000, v27
	v_lshrrev_b32_e32 v2, s52, v27
	v_and_b32_e32 v4, s66, v2
	v_and_b32_e32 v3, 1, v4
	v_add_co_u32_e64 v5, s[34:35], -1, v3
	v_addc_co_u32_e64 v35, s[34:35], 0, -1, s[34:35]
	v_cmp_ne_u32_e64 s[34:35], 0, v3
	v_lshl_add_u32 v2, v4, 3, v4
	v_xor_b32_e32 v3, s35, v35
	v_add_lshl_u32 v39, v31, v2, 2
	v_mov_b32_e32 v2, 0
	v_and_b32_e32 v35, exec_hi, v3
	v_lshlrev_b32_e32 v3, 30, v4
	v_xor_b32_e32 v5, s34, v5
	v_cmp_gt_i64_e64 s[34:35], 0, v[2:3]
	v_not_b32_e32 v3, v3
	v_ashrrev_i32_e32 v3, 31, v3
	v_and_b32_e32 v5, exec_lo, v5
	v_xor_b32_e32 v36, s35, v3
	v_xor_b32_e32 v3, s34, v3
	v_and_b32_e32 v5, v5, v3
	v_lshlrev_b32_e32 v3, 29, v4
	v_cmp_gt_i64_e64 s[34:35], 0, v[2:3]
	v_not_b32_e32 v3, v3
	v_ashrrev_i32_e32 v3, 31, v3
	v_and_b32_e32 v35, v35, v36
	v_xor_b32_e32 v36, s35, v3
	v_xor_b32_e32 v3, s34, v3
	v_and_b32_e32 v5, v5, v3
	v_lshlrev_b32_e32 v3, 28, v4
	v_cmp_gt_i64_e64 s[34:35], 0, v[2:3]
	v_not_b32_e32 v3, v3
	v_ashrrev_i32_e32 v3, 31, v3
	v_and_b32_e32 v35, v35, v36
	;; [unrolled: 8-line block ×5, first 2 shown]
	v_xor_b32_e32 v36, s35, v3
	v_xor_b32_e32 v3, s34, v3
	v_and_b32_e32 v35, v35, v36
	v_and_b32_e32 v36, v5, v3
	v_lshlrev_b32_e32 v3, 24, v4
	v_cmp_gt_i64_e64 s[34:35], 0, v[2:3]
	v_not_b32_e32 v3, v3
	v_ashrrev_i32_e32 v3, 31, v3
	v_xor_b32_e32 v4, s35, v3
	v_xor_b32_e32 v3, s34, v3
	; wave barrier
	ds_read_b32 v30, v39 offset:32
	v_and_b32_e32 v5, v35, v4
	v_and_b32_e32 v4, v36, v3
	v_mbcnt_lo_u32_b32 v3, v4, 0
	v_mbcnt_hi_u32_b32 v35, v5, v3
	v_cmp_eq_u32_e64 s[34:35], 0, v35
	v_cmp_ne_u64_e64 s[38:39], 0, v[4:5]
	s_and_b64 s[38:39], s[38:39], s[34:35]
	; wave barrier
	s_and_saveexec_b64 s[34:35], s[38:39]
	s_cbranch_execz .LBB915_43
; %bb.42:
	v_bcnt_u32_b32 v3, v4, 0
	v_bcnt_u32_b32 v3, v5, v3
	s_waitcnt lgkmcnt(0)
	v_add_u32_e32 v3, v30, v3
	ds_write_b32 v39, v3 offset:32
.LBB915_43:
	s_or_b64 exec, exec, s[34:35]
	v_xor_b32_e32 v28, 0x80000000, v28
	v_lshrrev_b32_e32 v3, s52, v28
	v_and_b32_e32 v4, s66, v3
	v_lshl_add_u32 v3, v4, 3, v4
	v_add_lshl_u32 v44, v31, v3, 2
	v_and_b32_e32 v3, 1, v4
	v_add_co_u32_e64 v5, s[34:35], -1, v3
	v_addc_co_u32_e64 v40, s[34:35], 0, -1, s[34:35]
	v_cmp_ne_u32_e64 s[34:35], 0, v3
	v_xor_b32_e32 v3, s35, v40
	v_and_b32_e32 v40, exec_hi, v3
	v_lshlrev_b32_e32 v3, 30, v4
	v_xor_b32_e32 v5, s34, v5
	v_cmp_gt_i64_e64 s[34:35], 0, v[2:3]
	v_not_b32_e32 v3, v3
	v_ashrrev_i32_e32 v3, 31, v3
	v_and_b32_e32 v5, exec_lo, v5
	v_xor_b32_e32 v41, s35, v3
	v_xor_b32_e32 v3, s34, v3
	v_and_b32_e32 v5, v5, v3
	v_lshlrev_b32_e32 v3, 29, v4
	v_cmp_gt_i64_e64 s[34:35], 0, v[2:3]
	v_not_b32_e32 v3, v3
	v_ashrrev_i32_e32 v3, 31, v3
	v_and_b32_e32 v40, v40, v41
	v_xor_b32_e32 v41, s35, v3
	v_xor_b32_e32 v3, s34, v3
	v_and_b32_e32 v5, v5, v3
	v_lshlrev_b32_e32 v3, 28, v4
	v_cmp_gt_i64_e64 s[34:35], 0, v[2:3]
	v_not_b32_e32 v3, v3
	v_ashrrev_i32_e32 v3, 31, v3
	v_and_b32_e32 v40, v40, v41
	;; [unrolled: 8-line block ×5, first 2 shown]
	v_xor_b32_e32 v41, s35, v3
	v_xor_b32_e32 v3, s34, v3
	v_and_b32_e32 v5, v5, v3
	v_lshlrev_b32_e32 v3, 24, v4
	v_cmp_gt_i64_e64 s[34:35], 0, v[2:3]
	v_not_b32_e32 v2, v3
	v_ashrrev_i32_e32 v2, 31, v2
	v_xor_b32_e32 v3, s35, v2
	v_xor_b32_e32 v2, s34, v2
	; wave barrier
	ds_read_b32 v36, v44 offset:32
	v_and_b32_e32 v40, v40, v41
	v_and_b32_e32 v2, v5, v2
	;; [unrolled: 1-line block ×3, first 2 shown]
	v_mbcnt_lo_u32_b32 v4, v2, 0
	v_mbcnt_hi_u32_b32 v40, v3, v4
	v_cmp_eq_u32_e64 s[34:35], 0, v40
	v_cmp_ne_u64_e64 s[38:39], 0, v[2:3]
	s_and_b64 s[38:39], s[38:39], s[34:35]
	; wave barrier
	s_and_saveexec_b64 s[34:35], s[38:39]
	s_cbranch_execz .LBB915_45
; %bb.44:
	v_bcnt_u32_b32 v2, v2, 0
	v_bcnt_u32_b32 v2, v3, v2
	s_waitcnt lgkmcnt(0)
	v_add_u32_e32 v2, v36, v2
	ds_write_b32 v44, v2 offset:32
.LBB915_45:
	s_or_b64 exec, exec, s[34:35]
	v_xor_b32_e32 v29, 0x80000000, v29
	v_lshrrev_b32_e32 v2, s52, v29
	v_and_b32_e32 v4, s66, v2
	v_and_b32_e32 v3, 1, v4
	v_add_co_u32_e64 v5, s[34:35], -1, v3
	v_addc_co_u32_e64 v45, s[34:35], 0, -1, s[34:35]
	v_cmp_ne_u32_e64 s[34:35], 0, v3
	v_lshl_add_u32 v2, v4, 3, v4
	v_xor_b32_e32 v3, s35, v45
	v_add_lshl_u32 v48, v31, v2, 2
	v_mov_b32_e32 v2, 0
	v_and_b32_e32 v45, exec_hi, v3
	v_lshlrev_b32_e32 v3, 30, v4
	v_xor_b32_e32 v5, s34, v5
	v_cmp_gt_i64_e64 s[34:35], 0, v[2:3]
	v_not_b32_e32 v3, v3
	v_ashrrev_i32_e32 v3, 31, v3
	v_and_b32_e32 v5, exec_lo, v5
	v_xor_b32_e32 v46, s35, v3
	v_xor_b32_e32 v3, s34, v3
	v_and_b32_e32 v5, v5, v3
	v_lshlrev_b32_e32 v3, 29, v4
	v_cmp_gt_i64_e64 s[34:35], 0, v[2:3]
	v_not_b32_e32 v3, v3
	v_ashrrev_i32_e32 v3, 31, v3
	v_and_b32_e32 v45, v45, v46
	v_xor_b32_e32 v46, s35, v3
	v_xor_b32_e32 v3, s34, v3
	v_and_b32_e32 v5, v5, v3
	v_lshlrev_b32_e32 v3, 28, v4
	v_cmp_gt_i64_e64 s[34:35], 0, v[2:3]
	v_not_b32_e32 v3, v3
	v_ashrrev_i32_e32 v3, 31, v3
	v_and_b32_e32 v45, v45, v46
	;; [unrolled: 8-line block ×5, first 2 shown]
	v_xor_b32_e32 v46, s35, v3
	v_xor_b32_e32 v3, s34, v3
	v_and_b32_e32 v45, v45, v46
	v_and_b32_e32 v46, v5, v3
	v_lshlrev_b32_e32 v3, 24, v4
	v_cmp_gt_i64_e64 s[34:35], 0, v[2:3]
	v_not_b32_e32 v3, v3
	v_ashrrev_i32_e32 v3, 31, v3
	v_xor_b32_e32 v4, s35, v3
	v_xor_b32_e32 v3, s34, v3
	; wave barrier
	ds_read_b32 v41, v48 offset:32
	v_and_b32_e32 v5, v45, v4
	v_and_b32_e32 v4, v46, v3
	v_mbcnt_lo_u32_b32 v3, v4, 0
	v_mbcnt_hi_u32_b32 v45, v5, v3
	v_cmp_eq_u32_e64 s[34:35], 0, v45
	v_cmp_ne_u64_e64 s[38:39], 0, v[4:5]
	s_and_b64 s[38:39], s[38:39], s[34:35]
	; wave barrier
	s_and_saveexec_b64 s[34:35], s[38:39]
	s_cbranch_execz .LBB915_47
; %bb.46:
	v_bcnt_u32_b32 v3, v4, 0
	v_bcnt_u32_b32 v3, v5, v3
	s_waitcnt lgkmcnt(0)
	v_add_u32_e32 v3, v41, v3
	ds_write_b32 v48, v3 offset:32
.LBB915_47:
	s_or_b64 exec, exec, s[34:35]
	v_xor_b32_e32 v33, 0x80000000, v33
	v_lshrrev_b32_e32 v3, s52, v33
	v_and_b32_e32 v4, s66, v3
	v_lshl_add_u32 v3, v4, 3, v4
	v_add_lshl_u32 v51, v31, v3, 2
	v_and_b32_e32 v3, 1, v4
	v_add_co_u32_e64 v5, s[34:35], -1, v3
	v_addc_co_u32_e64 v49, s[34:35], 0, -1, s[34:35]
	v_cmp_ne_u32_e64 s[34:35], 0, v3
	v_xor_b32_e32 v3, s35, v49
	v_and_b32_e32 v49, exec_hi, v3
	v_lshlrev_b32_e32 v3, 30, v4
	v_xor_b32_e32 v5, s34, v5
	v_cmp_gt_i64_e64 s[34:35], 0, v[2:3]
	v_not_b32_e32 v3, v3
	v_ashrrev_i32_e32 v3, 31, v3
	v_and_b32_e32 v5, exec_lo, v5
	v_xor_b32_e32 v50, s35, v3
	v_xor_b32_e32 v3, s34, v3
	v_and_b32_e32 v5, v5, v3
	v_lshlrev_b32_e32 v3, 29, v4
	v_cmp_gt_i64_e64 s[34:35], 0, v[2:3]
	v_not_b32_e32 v3, v3
	v_ashrrev_i32_e32 v3, 31, v3
	v_and_b32_e32 v49, v49, v50
	v_xor_b32_e32 v50, s35, v3
	v_xor_b32_e32 v3, s34, v3
	v_and_b32_e32 v5, v5, v3
	v_lshlrev_b32_e32 v3, 28, v4
	v_cmp_gt_i64_e64 s[34:35], 0, v[2:3]
	v_not_b32_e32 v3, v3
	v_ashrrev_i32_e32 v3, 31, v3
	v_and_b32_e32 v49, v49, v50
	;; [unrolled: 8-line block ×5, first 2 shown]
	v_xor_b32_e32 v50, s35, v3
	v_xor_b32_e32 v3, s34, v3
	v_and_b32_e32 v5, v5, v3
	v_lshlrev_b32_e32 v3, 24, v4
	v_cmp_gt_i64_e64 s[34:35], 0, v[2:3]
	v_not_b32_e32 v2, v3
	v_ashrrev_i32_e32 v2, 31, v2
	v_xor_b32_e32 v3, s35, v2
	v_xor_b32_e32 v2, s34, v2
	; wave barrier
	ds_read_b32 v46, v51 offset:32
	v_and_b32_e32 v49, v49, v50
	v_and_b32_e32 v2, v5, v2
	v_and_b32_e32 v3, v49, v3
	v_mbcnt_lo_u32_b32 v4, v2, 0
	v_mbcnt_hi_u32_b32 v49, v3, v4
	v_cmp_eq_u32_e64 s[34:35], 0, v49
	v_cmp_ne_u64_e64 s[38:39], 0, v[2:3]
	s_and_b64 s[38:39], s[38:39], s[34:35]
	; wave barrier
	s_and_saveexec_b64 s[34:35], s[38:39]
	s_cbranch_execz .LBB915_49
; %bb.48:
	v_bcnt_u32_b32 v2, v2, 0
	v_bcnt_u32_b32 v2, v3, v2
	s_waitcnt lgkmcnt(0)
	v_add_u32_e32 v2, v46, v2
	ds_write_b32 v51, v2 offset:32
.LBB915_49:
	s_or_b64 exec, exec, s[34:35]
	v_xor_b32_e32 v38, 0x80000000, v38
	v_lshrrev_b32_e32 v2, s52, v38
	v_and_b32_e32 v4, s66, v2
	v_and_b32_e32 v3, 1, v4
	v_add_co_u32_e64 v5, s[34:35], -1, v3
	v_addc_co_u32_e64 v52, s[34:35], 0, -1, s[34:35]
	v_cmp_ne_u32_e64 s[34:35], 0, v3
	v_lshl_add_u32 v2, v4, 3, v4
	v_xor_b32_e32 v3, s35, v52
	v_add_lshl_u32 v54, v31, v2, 2
	v_mov_b32_e32 v2, 0
	v_and_b32_e32 v52, exec_hi, v3
	v_lshlrev_b32_e32 v3, 30, v4
	v_xor_b32_e32 v5, s34, v5
	v_cmp_gt_i64_e64 s[34:35], 0, v[2:3]
	v_not_b32_e32 v3, v3
	v_ashrrev_i32_e32 v3, 31, v3
	v_and_b32_e32 v5, exec_lo, v5
	v_xor_b32_e32 v53, s35, v3
	v_xor_b32_e32 v3, s34, v3
	v_and_b32_e32 v5, v5, v3
	v_lshlrev_b32_e32 v3, 29, v4
	v_cmp_gt_i64_e64 s[34:35], 0, v[2:3]
	v_not_b32_e32 v3, v3
	v_ashrrev_i32_e32 v3, 31, v3
	v_and_b32_e32 v52, v52, v53
	v_xor_b32_e32 v53, s35, v3
	v_xor_b32_e32 v3, s34, v3
	v_and_b32_e32 v5, v5, v3
	v_lshlrev_b32_e32 v3, 28, v4
	v_cmp_gt_i64_e64 s[34:35], 0, v[2:3]
	v_not_b32_e32 v3, v3
	v_ashrrev_i32_e32 v3, 31, v3
	v_and_b32_e32 v52, v52, v53
	;; [unrolled: 8-line block ×5, first 2 shown]
	v_xor_b32_e32 v53, s35, v3
	v_xor_b32_e32 v3, s34, v3
	v_and_b32_e32 v52, v52, v53
	v_and_b32_e32 v53, v5, v3
	v_lshlrev_b32_e32 v3, 24, v4
	v_cmp_gt_i64_e64 s[34:35], 0, v[2:3]
	v_not_b32_e32 v3, v3
	v_ashrrev_i32_e32 v3, 31, v3
	v_xor_b32_e32 v4, s35, v3
	v_xor_b32_e32 v3, s34, v3
	; wave barrier
	ds_read_b32 v50, v54 offset:32
	v_and_b32_e32 v5, v52, v4
	v_and_b32_e32 v4, v53, v3
	v_mbcnt_lo_u32_b32 v3, v4, 0
	v_mbcnt_hi_u32_b32 v52, v5, v3
	v_cmp_eq_u32_e64 s[34:35], 0, v52
	v_cmp_ne_u64_e64 s[38:39], 0, v[4:5]
	s_and_b64 s[38:39], s[38:39], s[34:35]
	; wave barrier
	s_and_saveexec_b64 s[34:35], s[38:39]
	s_cbranch_execz .LBB915_51
; %bb.50:
	v_bcnt_u32_b32 v3, v4, 0
	v_bcnt_u32_b32 v3, v5, v3
	s_waitcnt lgkmcnt(0)
	v_add_u32_e32 v3, v50, v3
	ds_write_b32 v54, v3 offset:32
.LBB915_51:
	s_or_b64 exec, exec, s[34:35]
	v_xor_b32_e32 v43, 0x80000000, v43
	v_lshrrev_b32_e32 v3, s52, v43
	v_and_b32_e32 v4, s66, v3
	v_lshl_add_u32 v3, v4, 3, v4
	v_add_lshl_u32 v57, v31, v3, 2
	v_and_b32_e32 v3, 1, v4
	v_add_co_u32_e64 v5, s[34:35], -1, v3
	v_addc_co_u32_e64 v55, s[34:35], 0, -1, s[34:35]
	v_cmp_ne_u32_e64 s[34:35], 0, v3
	v_xor_b32_e32 v3, s35, v55
	v_and_b32_e32 v55, exec_hi, v3
	v_lshlrev_b32_e32 v3, 30, v4
	v_xor_b32_e32 v5, s34, v5
	v_cmp_gt_i64_e64 s[34:35], 0, v[2:3]
	v_not_b32_e32 v3, v3
	v_ashrrev_i32_e32 v3, 31, v3
	v_and_b32_e32 v5, exec_lo, v5
	v_xor_b32_e32 v56, s35, v3
	v_xor_b32_e32 v3, s34, v3
	v_and_b32_e32 v5, v5, v3
	v_lshlrev_b32_e32 v3, 29, v4
	v_cmp_gt_i64_e64 s[34:35], 0, v[2:3]
	v_not_b32_e32 v3, v3
	v_ashrrev_i32_e32 v3, 31, v3
	v_and_b32_e32 v55, v55, v56
	v_xor_b32_e32 v56, s35, v3
	v_xor_b32_e32 v3, s34, v3
	v_and_b32_e32 v5, v5, v3
	v_lshlrev_b32_e32 v3, 28, v4
	v_cmp_gt_i64_e64 s[34:35], 0, v[2:3]
	v_not_b32_e32 v3, v3
	v_ashrrev_i32_e32 v3, 31, v3
	v_and_b32_e32 v55, v55, v56
	;; [unrolled: 8-line block ×5, first 2 shown]
	v_xor_b32_e32 v56, s35, v3
	v_xor_b32_e32 v3, s34, v3
	v_and_b32_e32 v5, v5, v3
	v_lshlrev_b32_e32 v3, 24, v4
	v_cmp_gt_i64_e64 s[34:35], 0, v[2:3]
	v_not_b32_e32 v2, v3
	v_ashrrev_i32_e32 v2, 31, v2
	v_xor_b32_e32 v3, s35, v2
	v_xor_b32_e32 v2, s34, v2
	; wave barrier
	ds_read_b32 v53, v57 offset:32
	v_and_b32_e32 v55, v55, v56
	v_and_b32_e32 v2, v5, v2
	v_and_b32_e32 v3, v55, v3
	v_mbcnt_lo_u32_b32 v4, v2, 0
	v_mbcnt_hi_u32_b32 v55, v3, v4
	v_cmp_eq_u32_e64 s[34:35], 0, v55
	v_cmp_ne_u64_e64 s[38:39], 0, v[2:3]
	s_and_b64 s[38:39], s[38:39], s[34:35]
	; wave barrier
	s_and_saveexec_b64 s[34:35], s[38:39]
	s_cbranch_execz .LBB915_53
; %bb.52:
	v_bcnt_u32_b32 v2, v2, 0
	v_bcnt_u32_b32 v2, v3, v2
	s_waitcnt lgkmcnt(0)
	v_add_u32_e32 v2, v53, v2
	ds_write_b32 v57, v2 offset:32
.LBB915_53:
	s_or_b64 exec, exec, s[34:35]
	v_xor_b32_e32 v47, 0x80000000, v47
	v_lshrrev_b32_e32 v2, s52, v47
	v_and_b32_e32 v4, s66, v2
	v_and_b32_e32 v3, 1, v4
	v_add_co_u32_e64 v5, s[34:35], -1, v3
	v_addc_co_u32_e64 v58, s[34:35], 0, -1, s[34:35]
	v_cmp_ne_u32_e64 s[34:35], 0, v3
	v_lshl_add_u32 v2, v4, 3, v4
	v_xor_b32_e32 v3, s35, v58
	v_add_lshl_u32 v60, v31, v2, 2
	v_mov_b32_e32 v2, 0
	v_and_b32_e32 v58, exec_hi, v3
	v_lshlrev_b32_e32 v3, 30, v4
	v_xor_b32_e32 v5, s34, v5
	v_cmp_gt_i64_e64 s[34:35], 0, v[2:3]
	v_not_b32_e32 v3, v3
	v_ashrrev_i32_e32 v3, 31, v3
	v_and_b32_e32 v5, exec_lo, v5
	v_xor_b32_e32 v59, s35, v3
	v_xor_b32_e32 v3, s34, v3
	v_and_b32_e32 v5, v5, v3
	v_lshlrev_b32_e32 v3, 29, v4
	v_cmp_gt_i64_e64 s[34:35], 0, v[2:3]
	v_not_b32_e32 v3, v3
	v_ashrrev_i32_e32 v3, 31, v3
	v_and_b32_e32 v58, v58, v59
	v_xor_b32_e32 v59, s35, v3
	v_xor_b32_e32 v3, s34, v3
	v_and_b32_e32 v5, v5, v3
	v_lshlrev_b32_e32 v3, 28, v4
	v_cmp_gt_i64_e64 s[34:35], 0, v[2:3]
	v_not_b32_e32 v3, v3
	v_ashrrev_i32_e32 v3, 31, v3
	v_and_b32_e32 v58, v58, v59
	;; [unrolled: 8-line block ×5, first 2 shown]
	v_xor_b32_e32 v59, s35, v3
	v_xor_b32_e32 v3, s34, v3
	v_and_b32_e32 v58, v58, v59
	v_and_b32_e32 v59, v5, v3
	v_lshlrev_b32_e32 v3, 24, v4
	v_cmp_gt_i64_e64 s[34:35], 0, v[2:3]
	v_not_b32_e32 v3, v3
	v_ashrrev_i32_e32 v3, 31, v3
	v_xor_b32_e32 v4, s35, v3
	v_xor_b32_e32 v3, s34, v3
	; wave barrier
	ds_read_b32 v56, v60 offset:32
	v_and_b32_e32 v5, v58, v4
	v_and_b32_e32 v4, v59, v3
	v_mbcnt_lo_u32_b32 v3, v4, 0
	v_mbcnt_hi_u32_b32 v58, v5, v3
	v_cmp_eq_u32_e64 s[34:35], 0, v58
	v_cmp_ne_u64_e64 s[38:39], 0, v[4:5]
	s_and_b64 s[38:39], s[38:39], s[34:35]
	; wave barrier
	s_and_saveexec_b64 s[34:35], s[38:39]
	s_cbranch_execz .LBB915_55
; %bb.54:
	v_bcnt_u32_b32 v3, v4, 0
	v_bcnt_u32_b32 v3, v5, v3
	s_waitcnt lgkmcnt(0)
	v_add_u32_e32 v3, v56, v3
	ds_write_b32 v60, v3 offset:32
.LBB915_55:
	s_or_b64 exec, exec, s[34:35]
	v_xor_b32_e32 v42, 0x80000000, v42
	v_lshrrev_b32_e32 v3, s52, v42
	v_and_b32_e32 v4, s66, v3
	v_lshl_add_u32 v3, v4, 3, v4
	v_add_lshl_u32 v64, v31, v3, 2
	v_and_b32_e32 v3, 1, v4
	v_add_co_u32_e64 v5, s[34:35], -1, v3
	v_addc_co_u32_e64 v61, s[34:35], 0, -1, s[34:35]
	v_cmp_ne_u32_e64 s[34:35], 0, v3
	v_xor_b32_e32 v3, s35, v61
	v_and_b32_e32 v61, exec_hi, v3
	v_lshlrev_b32_e32 v3, 30, v4
	v_xor_b32_e32 v5, s34, v5
	v_cmp_gt_i64_e64 s[34:35], 0, v[2:3]
	v_not_b32_e32 v3, v3
	v_ashrrev_i32_e32 v3, 31, v3
	v_and_b32_e32 v5, exec_lo, v5
	v_xor_b32_e32 v62, s35, v3
	v_xor_b32_e32 v3, s34, v3
	v_and_b32_e32 v5, v5, v3
	v_lshlrev_b32_e32 v3, 29, v4
	v_cmp_gt_i64_e64 s[34:35], 0, v[2:3]
	v_not_b32_e32 v3, v3
	v_ashrrev_i32_e32 v3, 31, v3
	v_and_b32_e32 v61, v61, v62
	v_xor_b32_e32 v62, s35, v3
	v_xor_b32_e32 v3, s34, v3
	v_and_b32_e32 v5, v5, v3
	v_lshlrev_b32_e32 v3, 28, v4
	v_cmp_gt_i64_e64 s[34:35], 0, v[2:3]
	v_not_b32_e32 v3, v3
	v_ashrrev_i32_e32 v3, 31, v3
	v_and_b32_e32 v61, v61, v62
	;; [unrolled: 8-line block ×5, first 2 shown]
	v_xor_b32_e32 v62, s35, v3
	v_xor_b32_e32 v3, s34, v3
	v_and_b32_e32 v5, v5, v3
	v_lshlrev_b32_e32 v3, 24, v4
	v_cmp_gt_i64_e64 s[34:35], 0, v[2:3]
	v_not_b32_e32 v2, v3
	v_ashrrev_i32_e32 v2, 31, v2
	v_xor_b32_e32 v3, s35, v2
	v_xor_b32_e32 v2, s34, v2
	; wave barrier
	ds_read_b32 v59, v64 offset:32
	v_and_b32_e32 v61, v61, v62
	v_and_b32_e32 v2, v5, v2
	;; [unrolled: 1-line block ×3, first 2 shown]
	v_mbcnt_lo_u32_b32 v4, v2, 0
	v_mbcnt_hi_u32_b32 v62, v3, v4
	v_cmp_eq_u32_e64 s[34:35], 0, v62
	v_cmp_ne_u64_e64 s[38:39], 0, v[2:3]
	s_and_b64 s[38:39], s[38:39], s[34:35]
	; wave barrier
	s_and_saveexec_b64 s[34:35], s[38:39]
	s_cbranch_execz .LBB915_57
; %bb.56:
	v_bcnt_u32_b32 v2, v2, 0
	v_bcnt_u32_b32 v2, v3, v2
	s_waitcnt lgkmcnt(0)
	v_add_u32_e32 v2, v59, v2
	ds_write_b32 v64, v2 offset:32
.LBB915_57:
	s_or_b64 exec, exec, s[34:35]
	v_xor_b32_e32 v37, 0x80000000, v37
	v_lshrrev_b32_e32 v2, s52, v37
	v_and_b32_e32 v4, s66, v2
	v_and_b32_e32 v3, 1, v4
	v_add_co_u32_e64 v5, s[34:35], -1, v3
	v_addc_co_u32_e64 v61, s[34:35], 0, -1, s[34:35]
	v_cmp_ne_u32_e64 s[34:35], 0, v3
	v_lshl_add_u32 v2, v4, 3, v4
	v_xor_b32_e32 v3, s35, v61
	v_add_lshl_u32 v66, v31, v2, 2
	v_mov_b32_e32 v2, 0
	v_and_b32_e32 v61, exec_hi, v3
	v_lshlrev_b32_e32 v3, 30, v4
	v_xor_b32_e32 v5, s34, v5
	v_cmp_gt_i64_e64 s[34:35], 0, v[2:3]
	v_not_b32_e32 v3, v3
	v_ashrrev_i32_e32 v3, 31, v3
	v_and_b32_e32 v5, exec_lo, v5
	v_xor_b32_e32 v65, s35, v3
	v_xor_b32_e32 v3, s34, v3
	v_and_b32_e32 v5, v5, v3
	v_lshlrev_b32_e32 v3, 29, v4
	v_cmp_gt_i64_e64 s[34:35], 0, v[2:3]
	v_not_b32_e32 v3, v3
	v_ashrrev_i32_e32 v3, 31, v3
	v_and_b32_e32 v61, v61, v65
	v_xor_b32_e32 v65, s35, v3
	v_xor_b32_e32 v3, s34, v3
	v_and_b32_e32 v5, v5, v3
	v_lshlrev_b32_e32 v3, 28, v4
	v_cmp_gt_i64_e64 s[34:35], 0, v[2:3]
	v_not_b32_e32 v3, v3
	v_ashrrev_i32_e32 v3, 31, v3
	v_and_b32_e32 v61, v61, v65
	v_xor_b32_e32 v65, s35, v3
	v_xor_b32_e32 v3, s34, v3
	v_and_b32_e32 v5, v5, v3
	v_lshlrev_b32_e32 v3, 27, v4
	v_cmp_gt_i64_e64 s[34:35], 0, v[2:3]
	v_not_b32_e32 v3, v3
	v_ashrrev_i32_e32 v3, 31, v3
	v_and_b32_e32 v61, v61, v65
	v_xor_b32_e32 v65, s35, v3
	v_xor_b32_e32 v3, s34, v3
	v_and_b32_e32 v5, v5, v3
	v_lshlrev_b32_e32 v3, 26, v4
	v_cmp_gt_i64_e64 s[34:35], 0, v[2:3]
	v_not_b32_e32 v3, v3
	v_ashrrev_i32_e32 v3, 31, v3
	v_and_b32_e32 v61, v61, v65
	v_xor_b32_e32 v65, s35, v3
	v_xor_b32_e32 v3, s34, v3
	v_and_b32_e32 v5, v5, v3
	v_lshlrev_b32_e32 v3, 25, v4
	v_cmp_gt_i64_e64 s[34:35], 0, v[2:3]
	v_not_b32_e32 v3, v3
	v_ashrrev_i32_e32 v3, 31, v3
	v_and_b32_e32 v61, v61, v65
	v_xor_b32_e32 v65, s35, v3
	v_xor_b32_e32 v3, s34, v3
	v_and_b32_e32 v61, v61, v65
	v_and_b32_e32 v65, v5, v3
	v_lshlrev_b32_e32 v3, 24, v4
	v_cmp_gt_i64_e64 s[34:35], 0, v[2:3]
	v_not_b32_e32 v3, v3
	v_ashrrev_i32_e32 v3, 31, v3
	v_xor_b32_e32 v4, s35, v3
	v_xor_b32_e32 v3, s34, v3
	; wave barrier
	ds_read_b32 v63, v66 offset:32
	v_and_b32_e32 v5, v61, v4
	v_and_b32_e32 v4, v65, v3
	v_mbcnt_lo_u32_b32 v3, v4, 0
	v_mbcnt_hi_u32_b32 v68, v5, v3
	v_cmp_eq_u32_e64 s[34:35], 0, v68
	v_cmp_ne_u64_e64 s[38:39], 0, v[4:5]
	s_and_b64 s[38:39], s[38:39], s[34:35]
	; wave barrier
	s_and_saveexec_b64 s[34:35], s[38:39]
	s_cbranch_execz .LBB915_59
; %bb.58:
	v_bcnt_u32_b32 v3, v4, 0
	v_bcnt_u32_b32 v3, v5, v3
	s_waitcnt lgkmcnt(0)
	v_add_u32_e32 v3, v63, v3
	ds_write_b32 v66, v3 offset:32
.LBB915_59:
	s_or_b64 exec, exec, s[34:35]
	v_xor_b32_e32 v32, 0x80000000, v32
	v_lshrrev_b32_e32 v3, s52, v32
	v_and_b32_e32 v4, s66, v3
	v_lshl_add_u32 v3, v4, 3, v4
	v_add_lshl_u32 v70, v31, v3, 2
	v_and_b32_e32 v3, 1, v4
	v_add_co_u32_e64 v5, s[34:35], -1, v3
	v_addc_co_u32_e64 v61, s[34:35], 0, -1, s[34:35]
	v_cmp_ne_u32_e64 s[34:35], 0, v3
	v_xor_b32_e32 v3, s35, v61
	v_and_b32_e32 v61, exec_hi, v3
	v_lshlrev_b32_e32 v3, 30, v4
	v_xor_b32_e32 v5, s34, v5
	v_cmp_gt_i64_e64 s[34:35], 0, v[2:3]
	v_not_b32_e32 v3, v3
	v_ashrrev_i32_e32 v3, 31, v3
	v_and_b32_e32 v5, exec_lo, v5
	v_xor_b32_e32 v65, s35, v3
	v_xor_b32_e32 v3, s34, v3
	v_and_b32_e32 v5, v5, v3
	v_lshlrev_b32_e32 v3, 29, v4
	v_cmp_gt_i64_e64 s[34:35], 0, v[2:3]
	v_not_b32_e32 v3, v3
	v_ashrrev_i32_e32 v3, 31, v3
	v_and_b32_e32 v61, v61, v65
	v_xor_b32_e32 v65, s35, v3
	v_xor_b32_e32 v3, s34, v3
	v_and_b32_e32 v5, v5, v3
	v_lshlrev_b32_e32 v3, 28, v4
	v_cmp_gt_i64_e64 s[34:35], 0, v[2:3]
	v_not_b32_e32 v3, v3
	v_ashrrev_i32_e32 v3, 31, v3
	v_and_b32_e32 v61, v61, v65
	;; [unrolled: 8-line block ×5, first 2 shown]
	v_xor_b32_e32 v65, s35, v3
	v_xor_b32_e32 v3, s34, v3
	v_and_b32_e32 v5, v5, v3
	v_lshlrev_b32_e32 v3, 24, v4
	v_cmp_gt_i64_e64 s[34:35], 0, v[2:3]
	v_not_b32_e32 v2, v3
	v_ashrrev_i32_e32 v2, 31, v2
	v_xor_b32_e32 v3, s35, v2
	v_xor_b32_e32 v2, s34, v2
	; wave barrier
	ds_read_b32 v67, v70 offset:32
	v_and_b32_e32 v61, v61, v65
	v_and_b32_e32 v2, v5, v2
	;; [unrolled: 1-line block ×3, first 2 shown]
	v_mbcnt_lo_u32_b32 v4, v2, 0
	v_mbcnt_hi_u32_b32 v69, v3, v4
	v_cmp_eq_u32_e64 s[34:35], 0, v69
	v_cmp_ne_u64_e64 s[38:39], 0, v[2:3]
	s_and_b64 s[38:39], s[38:39], s[34:35]
	; wave barrier
	s_and_saveexec_b64 s[34:35], s[38:39]
	s_cbranch_execz .LBB915_61
; %bb.60:
	v_bcnt_u32_b32 v2, v2, 0
	v_bcnt_u32_b32 v2, v3, v2
	s_waitcnt lgkmcnt(0)
	v_add_u32_e32 v2, v67, v2
	ds_write_b32 v70, v2 offset:32
.LBB915_61:
	s_or_b64 exec, exec, s[34:35]
	v_xor_b32_e32 v61, 0x80000000, v21
	v_lshrrev_b32_e32 v2, s52, v61
	v_and_b32_e32 v4, s66, v2
	v_and_b32_e32 v3, 1, v4
	v_add_co_u32_e64 v5, s[34:35], -1, v3
	v_addc_co_u32_e64 v65, s[34:35], 0, -1, s[34:35]
	v_cmp_ne_u32_e64 s[34:35], 0, v3
	v_lshl_add_u32 v2, v4, 3, v4
	v_xor_b32_e32 v3, s35, v65
	v_add_lshl_u32 v72, v31, v2, 2
	v_mov_b32_e32 v2, 0
	v_and_b32_e32 v65, exec_hi, v3
	v_lshlrev_b32_e32 v3, 30, v4
	v_xor_b32_e32 v5, s34, v5
	v_cmp_gt_i64_e64 s[34:35], 0, v[2:3]
	v_not_b32_e32 v3, v3
	v_ashrrev_i32_e32 v3, 31, v3
	v_and_b32_e32 v5, exec_lo, v5
	v_xor_b32_e32 v71, s35, v3
	v_xor_b32_e32 v3, s34, v3
	v_and_b32_e32 v5, v5, v3
	v_lshlrev_b32_e32 v3, 29, v4
	v_cmp_gt_i64_e64 s[34:35], 0, v[2:3]
	v_not_b32_e32 v3, v3
	v_ashrrev_i32_e32 v3, 31, v3
	v_and_b32_e32 v65, v65, v71
	v_xor_b32_e32 v71, s35, v3
	v_xor_b32_e32 v3, s34, v3
	v_and_b32_e32 v5, v5, v3
	v_lshlrev_b32_e32 v3, 28, v4
	v_cmp_gt_i64_e64 s[34:35], 0, v[2:3]
	v_not_b32_e32 v3, v3
	v_ashrrev_i32_e32 v3, 31, v3
	v_and_b32_e32 v65, v65, v71
	v_xor_b32_e32 v71, s35, v3
	v_xor_b32_e32 v3, s34, v3
	v_and_b32_e32 v5, v5, v3
	v_lshlrev_b32_e32 v3, 27, v4
	v_cmp_gt_i64_e64 s[34:35], 0, v[2:3]
	v_not_b32_e32 v3, v3
	v_ashrrev_i32_e32 v3, 31, v3
	v_and_b32_e32 v65, v65, v71
	v_xor_b32_e32 v71, s35, v3
	v_xor_b32_e32 v3, s34, v3
	v_and_b32_e32 v5, v5, v3
	v_lshlrev_b32_e32 v3, 26, v4
	v_cmp_gt_i64_e64 s[34:35], 0, v[2:3]
	v_not_b32_e32 v3, v3
	v_ashrrev_i32_e32 v3, 31, v3
	v_and_b32_e32 v65, v65, v71
	v_xor_b32_e32 v71, s35, v3
	v_xor_b32_e32 v3, s34, v3
	v_and_b32_e32 v5, v5, v3
	v_lshlrev_b32_e32 v3, 25, v4
	v_cmp_gt_i64_e64 s[34:35], 0, v[2:3]
	v_not_b32_e32 v3, v3
	v_ashrrev_i32_e32 v3, 31, v3
	v_and_b32_e32 v65, v65, v71
	v_xor_b32_e32 v71, s35, v3
	v_xor_b32_e32 v3, s34, v3
	v_and_b32_e32 v65, v65, v71
	v_and_b32_e32 v71, v5, v3
	v_lshlrev_b32_e32 v3, 24, v4
	v_cmp_gt_i64_e64 s[34:35], 0, v[2:3]
	v_not_b32_e32 v3, v3
	v_ashrrev_i32_e32 v3, 31, v3
	v_xor_b32_e32 v4, s35, v3
	v_xor_b32_e32 v3, s34, v3
	; wave barrier
	ds_read_b32 v21, v72 offset:32
	v_and_b32_e32 v5, v65, v4
	v_and_b32_e32 v4, v71, v3
	v_mbcnt_lo_u32_b32 v3, v4, 0
	v_mbcnt_hi_u32_b32 v71, v5, v3
	v_cmp_eq_u32_e64 s[34:35], 0, v71
	v_cmp_ne_u64_e64 s[38:39], 0, v[4:5]
	s_and_b64 s[38:39], s[38:39], s[34:35]
	; wave barrier
	s_and_saveexec_b64 s[34:35], s[38:39]
	s_cbranch_execz .LBB915_63
; %bb.62:
	v_bcnt_u32_b32 v3, v4, 0
	v_bcnt_u32_b32 v3, v5, v3
	s_waitcnt lgkmcnt(0)
	v_add_u32_e32 v3, v21, v3
	ds_write_b32 v72, v3 offset:32
.LBB915_63:
	s_or_b64 exec, exec, s[34:35]
	v_xor_b32_e32 v65, 0x80000000, v15
	v_lshrrev_b32_e32 v3, s52, v65
	v_and_b32_e32 v4, s66, v3
	v_lshl_add_u32 v3, v4, 3, v4
	v_add_lshl_u32 v74, v31, v3, 2
	v_and_b32_e32 v3, 1, v4
	v_add_co_u32_e64 v5, s[34:35], -1, v3
	v_addc_co_u32_e64 v31, s[34:35], 0, -1, s[34:35]
	v_cmp_ne_u32_e64 s[34:35], 0, v3
	v_xor_b32_e32 v3, s35, v31
	v_and_b32_e32 v31, exec_hi, v3
	v_lshlrev_b32_e32 v3, 30, v4
	v_xor_b32_e32 v5, s34, v5
	v_cmp_gt_i64_e64 s[34:35], 0, v[2:3]
	v_not_b32_e32 v3, v3
	v_ashrrev_i32_e32 v3, 31, v3
	v_and_b32_e32 v5, exec_lo, v5
	v_xor_b32_e32 v73, s35, v3
	v_xor_b32_e32 v3, s34, v3
	v_and_b32_e32 v5, v5, v3
	v_lshlrev_b32_e32 v3, 29, v4
	v_cmp_gt_i64_e64 s[34:35], 0, v[2:3]
	v_not_b32_e32 v3, v3
	v_ashrrev_i32_e32 v3, 31, v3
	v_and_b32_e32 v31, v31, v73
	v_xor_b32_e32 v73, s35, v3
	v_xor_b32_e32 v3, s34, v3
	v_and_b32_e32 v5, v5, v3
	v_lshlrev_b32_e32 v3, 28, v4
	v_cmp_gt_i64_e64 s[34:35], 0, v[2:3]
	v_not_b32_e32 v3, v3
	v_ashrrev_i32_e32 v3, 31, v3
	v_and_b32_e32 v31, v31, v73
	;; [unrolled: 8-line block ×5, first 2 shown]
	v_xor_b32_e32 v73, s35, v3
	v_xor_b32_e32 v3, s34, v3
	v_and_b32_e32 v5, v5, v3
	v_lshlrev_b32_e32 v3, 24, v4
	v_cmp_gt_i64_e64 s[34:35], 0, v[2:3]
	v_not_b32_e32 v2, v3
	v_ashrrev_i32_e32 v2, 31, v2
	v_xor_b32_e32 v3, s35, v2
	v_xor_b32_e32 v2, s34, v2
	; wave barrier
	ds_read_b32 v15, v74 offset:32
	v_and_b32_e32 v31, v31, v73
	v_and_b32_e32 v2, v5, v2
	;; [unrolled: 1-line block ×3, first 2 shown]
	v_mbcnt_lo_u32_b32 v4, v2, 0
	v_mbcnt_hi_u32_b32 v73, v3, v4
	v_cmp_eq_u32_e64 s[34:35], 0, v73
	v_cmp_ne_u64_e64 s[38:39], 0, v[2:3]
	v_add_u32_e32 v75, 32, v7
	s_and_b64 s[38:39], s[38:39], s[34:35]
	; wave barrier
	s_and_saveexec_b64 s[34:35], s[38:39]
	s_cbranch_execz .LBB915_65
; %bb.64:
	v_bcnt_u32_b32 v2, v2, 0
	v_bcnt_u32_b32 v2, v3, v2
	s_waitcnt lgkmcnt(0)
	v_add_u32_e32 v2, v15, v2
	ds_write_b32 v74, v2 offset:32
.LBB915_65:
	s_or_b64 exec, exec, s[34:35]
	; wave barrier
	s_waitcnt lgkmcnt(0)
	s_barrier
	ds_read2_b32 v[4:5], v7 offset0:8 offset1:9
	ds_read2_b32 v[2:3], v75 offset0:2 offset1:3
	ds_read_b32 v31, v75 offset:16
	s_waitcnt lgkmcnt(1)
	v_add3_u32 v76, v5, v4, v2
	s_waitcnt lgkmcnt(0)
	v_add3_u32 v31, v76, v3, v31
	v_and_b32_e32 v76, 15, v6
	v_cmp_ne_u32_e64 s[34:35], 0, v76
	v_mov_b32_dpp v77, v31 row_shr:1 row_mask:0xf bank_mask:0xf
	v_cndmask_b32_e64 v77, 0, v77, s[34:35]
	v_add_u32_e32 v31, v77, v31
	v_cmp_lt_u32_e64 s[34:35], 1, v76
	s_nop 0
	v_mov_b32_dpp v77, v31 row_shr:2 row_mask:0xf bank_mask:0xf
	v_cndmask_b32_e64 v77, 0, v77, s[34:35]
	v_add_u32_e32 v31, v31, v77
	v_cmp_lt_u32_e64 s[34:35], 3, v76
	s_nop 0
	;; [unrolled: 5-line block ×3, first 2 shown]
	v_mov_b32_dpp v77, v31 row_shr:8 row_mask:0xf bank_mask:0xf
	v_cndmask_b32_e64 v76, 0, v77, s[34:35]
	v_add_u32_e32 v31, v31, v76
	v_bfe_i32 v77, v6, 4, 1
	v_cmp_lt_u32_e64 s[34:35], 31, v6
	v_mov_b32_dpp v76, v31 row_bcast:15 row_mask:0xf bank_mask:0xf
	v_and_b32_e32 v76, v77, v76
	v_add_u32_e32 v31, v31, v76
	v_lshrrev_b32_e32 v77, 6, v18
	s_nop 0
	v_mov_b32_dpp v76, v31 row_bcast:31 row_mask:0xf bank_mask:0xf
	v_cndmask_b32_e64 v76, 0, v76, s[34:35]
	v_add_u32_e32 v76, v31, v76
	v_and_b32_e32 v31, 0x3c0, v18
	v_min_u32_e32 v31, 0x1c0, v31
	v_or_b32_e32 v31, 63, v31
	v_cmp_eq_u32_e64 s[34:35], v31, v18
	s_and_saveexec_b64 s[38:39], s[34:35]
	s_cbranch_execz .LBB915_67
; %bb.66:
	v_lshlrev_b32_e32 v31, 2, v77
	ds_write_b32 v31, v76
.LBB915_67:
	s_or_b64 exec, exec, s[38:39]
	v_cmp_gt_u32_e64 s[34:35], 8, v18
	v_lshlrev_b32_e32 v31, 2, v18
	s_waitcnt lgkmcnt(0)
	s_barrier
	s_and_saveexec_b64 s[58:59], s[34:35]
	s_cbranch_execz .LBB915_69
; %bb.68:
	ds_read_b32 v78, v31
	v_and_b32_e32 v79, 7, v6
	v_cmp_ne_u32_e64 s[34:35], 0, v79
	v_cmp_lt_u32_e64 s[38:39], 1, v79
	s_waitcnt lgkmcnt(0)
	v_mov_b32_dpp v80, v78 row_shr:1 row_mask:0xf bank_mask:0xf
	v_cndmask_b32_e64 v80, 0, v80, s[34:35]
	v_add_u32_e32 v78, v80, v78
	v_cmp_lt_u32_e64 s[34:35], 3, v79
	s_nop 0
	v_mov_b32_dpp v80, v78 row_shr:2 row_mask:0xf bank_mask:0xf
	v_cndmask_b32_e64 v80, 0, v80, s[38:39]
	v_add_u32_e32 v78, v78, v80
	s_nop 1
	v_mov_b32_dpp v80, v78 row_shr:4 row_mask:0xf bank_mask:0xf
	v_cndmask_b32_e64 v79, 0, v80, s[34:35]
	v_add_u32_e32 v78, v78, v79
	ds_write_b32 v31, v78
.LBB915_69:
	s_or_b64 exec, exec, s[58:59]
	v_cmp_lt_u32_e64 s[34:35], 63, v18
	v_mov_b32_e32 v78, 0
	s_waitcnt lgkmcnt(0)
	s_barrier
	s_and_saveexec_b64 s[38:39], s[34:35]
	s_cbranch_execz .LBB915_71
; %bb.70:
	v_lshl_add_u32 v77, v77, 2, -4
	ds_read_b32 v78, v77
.LBB915_71:
	s_or_b64 exec, exec, s[38:39]
	v_add_u32_e32 v77, -1, v6
	v_and_b32_e32 v79, 64, v6
	v_cmp_lt_i32_e64 s[34:35], v77, v79
	v_cndmask_b32_e64 v77, v77, v6, s[34:35]
	s_waitcnt lgkmcnt(0)
	v_add_u32_e32 v76, v78, v76
	v_lshlrev_b32_e32 v77, 2, v77
	ds_bpermute_b32 v76, v77, v76
	v_cmp_eq_u32_e64 s[34:35], 0, v6
	s_waitcnt lgkmcnt(0)
	v_cndmask_b32_e64 v6, v76, v78, s[34:35]
	v_cmp_ne_u32_e64 s[34:35], 0, v18
	v_cndmask_b32_e64 v6, 0, v6, s[34:35]
	v_add_u32_e32 v4, v6, v4
	v_add_u32_e32 v5, v4, v5
	;; [unrolled: 1-line block ×4, first 2 shown]
	ds_write2_b32 v7, v6, v4 offset0:8 offset1:9
	ds_write2_b32 v75, v5, v2 offset0:2 offset1:3
	ds_write_b32 v75, v3 offset:16
	s_waitcnt lgkmcnt(0)
	s_barrier
	ds_read_b32 v76, v12 offset:32
	ds_read_b32 v12, v13 offset:32
	ds_read_b32 v13, v17 offset:32
	ds_read_b32 v17, v34 offset:32
	ds_read_b32 v39, v39 offset:32
	ds_read_b32 v44, v44 offset:32
	ds_read_b32 v48, v48 offset:32
	ds_read_b32 v51, v51 offset:32
	ds_read_b32 v75, v54 offset:32
	ds_read_b32 v77, v57 offset:32
	ds_read_b32 v78, v60 offset:32
	ds_read_b32 v79, v64 offset:32
	ds_read_b32 v80, v66 offset:32
	ds_read_b32 v70, v70 offset:32
	ds_read_b32 v66, v72 offset:32
	ds_read_b32 v64, v74 offset:32
	s_movk_i32 s34, 0x100
	v_cmp_gt_u32_e64 s[34:35], s34, v18
                                        ; implicit-def: $vgpr54
                                        ; implicit-def: $vgpr57
	s_and_saveexec_b64 s[58:59], s[34:35]
	s_cbranch_execz .LBB915_75
; %bb.72:
	v_mul_u32_u24_e32 v2, 9, v18
	v_lshlrev_b32_e32 v3, 2, v2
	ds_read_b32 v54, v3 offset:32
	s_movk_i32 s38, 0xff
	v_cmp_ne_u32_e64 s[38:39], s38, v18
	v_mov_b32_e32 v2, 0x2000
	s_and_saveexec_b64 s[60:61], s[38:39]
	s_cbranch_execz .LBB915_74
; %bb.73:
	ds_read_b32 v2, v3 offset:68
.LBB915_74:
	s_or_b64 exec, exec, s[60:61]
	s_waitcnt lgkmcnt(0)
	v_sub_u32_e32 v57, v2, v54
.LBB915_75:
	s_or_b64 exec, exec, s[58:59]
	s_waitcnt lgkmcnt(0)
	s_barrier
	s_and_saveexec_b64 s[58:59], s[34:35]
	s_cbranch_execz .LBB915_85
; %bb.76:
	v_lshl_or_b32 v2, s6, 8, v18
	v_mov_b32_e32 v3, 0
	v_lshlrev_b64 v[4:5], 2, v[2:3]
	v_mov_b32_e32 v34, s57
	v_add_co_u32_e64 v4, s[38:39], s56, v4
	v_addc_co_u32_e64 v5, s[38:39], v34, v5, s[38:39]
	v_or_b32_e32 v2, 2.0, v57
	s_mov_b64 s[60:61], 0
	s_brev_b32 s67, 1
	s_mov_b32 s68, s6
	v_mov_b32_e32 v60, 0
	global_store_dword v[4:5], v2, off
                                        ; implicit-def: $sgpr38_sgpr39
	s_branch .LBB915_78
.LBB915_77:                             ;   in Loop: Header=BB915_78 Depth=1
	s_or_b64 exec, exec, s[62:63]
	v_and_b32_e32 v6, 0x3fffffff, v72
	v_add_u32_e32 v60, v6, v60
	v_cmp_eq_u32_e64 s[38:39], s67, v2
	s_and_b64 s[62:63], exec, s[38:39]
	s_or_b64 s[60:61], s[62:63], s[60:61]
	s_andn2_b64 exec, exec, s[60:61]
	s_cbranch_execz .LBB915_84
.LBB915_78:                             ; =>This Loop Header: Depth=1
                                        ;     Child Loop BB915_81 Depth 2
	s_or_b64 s[38:39], s[38:39], exec
	s_cmp_eq_u32 s68, 0
	s_cbranch_scc1 .LBB915_83
; %bb.79:                               ;   in Loop: Header=BB915_78 Depth=1
	s_add_i32 s68, s68, -1
	v_lshl_or_b32 v2, s68, 8, v18
	v_lshlrev_b64 v[6:7], 2, v[2:3]
	v_add_co_u32_e64 v6, s[38:39], s56, v6
	v_addc_co_u32_e64 v7, s[38:39], v34, v7, s[38:39]
	global_load_dword v72, v[6:7], off glc
	s_waitcnt vmcnt(0)
	v_and_b32_e32 v2, -2.0, v72
	v_cmp_eq_u32_e64 s[38:39], 0, v2
	s_and_saveexec_b64 s[62:63], s[38:39]
	s_cbranch_execz .LBB915_77
; %bb.80:                               ;   in Loop: Header=BB915_78 Depth=1
	s_mov_b64 s[64:65], 0
.LBB915_81:                             ;   Parent Loop BB915_78 Depth=1
                                        ; =>  This Inner Loop Header: Depth=2
	global_load_dword v72, v[6:7], off glc
	s_waitcnt vmcnt(0)
	v_and_b32_e32 v2, -2.0, v72
	v_cmp_ne_u32_e64 s[38:39], 0, v2
	s_or_b64 s[64:65], s[38:39], s[64:65]
	s_andn2_b64 exec, exec, s[64:65]
	s_cbranch_execnz .LBB915_81
; %bb.82:                               ;   in Loop: Header=BB915_78 Depth=1
	s_or_b64 exec, exec, s[64:65]
	s_branch .LBB915_77
.LBB915_83:                             ;   in Loop: Header=BB915_78 Depth=1
                                        ; implicit-def: $sgpr68
	s_and_b64 s[62:63], exec, s[38:39]
	s_or_b64 s[60:61], s[62:63], s[60:61]
	s_andn2_b64 exec, exec, s[60:61]
	s_cbranch_execnz .LBB915_78
.LBB915_84:
	s_or_b64 exec, exec, s[60:61]
	v_add_u32_e32 v2, v60, v57
	v_or_b32_e32 v2, 0x80000000, v2
	global_store_dword v[4:5], v2, off
	global_load_dword v2, v31, s[48:49]
	v_sub_u32_e32 v3, v60, v54
	s_waitcnt vmcnt(0)
	v_add_u32_e32 v2, v3, v2
	ds_write_b32 v31, v2
.LBB915_85:
	s_or_b64 exec, exec, s[58:59]
	v_add_u32_e32 v60, v76, v8
	s_movk_i32 s60, 0x400
	v_add_u32_e32 v34, 0x400, v31
	v_add3_u32 v64, v73, v64, v15
	v_add3_u32 v66, v71, v66, v21
	;; [unrolled: 1-line block ×15, first 2 shown]
	s_mov_b32 s61, 0
	v_mov_b32_e32 v21, 0
	s_movk_i32 s62, 0x200
	s_movk_i32 s63, 0x600
	s_mov_b32 s64, 0
	s_mov_b32 s65, 0
                                        ; implicit-def: $vgpr2_vgpr3_vgpr4_vgpr5_vgpr6_vgpr7_vgpr8_vgpr9_vgpr10_vgpr11_vgpr12_vgpr13_vgpr14_vgpr15_vgpr16_vgpr17
	s_branch .LBB915_87
.LBB915_86:                             ;   in Loop: Header=BB915_87 Depth=1
	s_or_b64 exec, exec, s[58:59]
	s_addk_i32 s65, 0x800
	s_addk_i32 s64, 0xf800
	s_add_i32 s61, s61, 4
	s_cmpk_eq_i32 s64, 0xe000
	s_barrier
	s_cbranch_scc1 .LBB915_96
.LBB915_87:                             ; =>This Inner Loop Header: Depth=1
	v_add_u32_e32 v20, s64, v60
	v_min_u32_e32 v20, 0x800, v20
	v_lshlrev_b32_e32 v20, 2, v20
	ds_write_b32 v20, v23 offset:1024
	v_add_u32_e32 v20, s64, v73
	v_min_u32_e32 v20, 0x800, v20
	v_lshlrev_b32_e32 v20, 2, v20
	ds_write_b32 v20, v24 offset:1024
	;; [unrolled: 4-line block ×15, first 2 shown]
	v_add_u32_e32 v20, s64, v64
	v_min_u32_e32 v20, 0x800, v20
	v_add_u32_e32 v30, s65, v18
	v_lshlrev_b32_e32 v20, 2, v20
	v_cmp_gt_u32_e64 s[38:39], s7, v30
	ds_write_b32 v20, v65 offset:1024
	s_waitcnt lgkmcnt(0)
	s_barrier
	s_and_saveexec_b64 s[58:59], s[38:39]
	s_cbranch_execz .LBB915_89
; %bb.88:                               ;   in Loop: Header=BB915_87 Depth=1
	ds_read_b32 v20, v31 offset:1024
	v_mov_b32_e32 v39, s43
	s_waitcnt lgkmcnt(0)
	v_lshrrev_b32_e32 v35, s52, v20
	v_and_b32_e32 v35, s66, v35
	v_lshlrev_b32_e32 v36, 2, v35
	ds_read_b32 v36, v36
	v_xor_b32_e32 v44, 0x80000000, v20
	s_waitcnt lgkmcnt(0)
	v_add_u32_e32 v20, v30, v36
	v_lshlrev_b64 v[40:41], 2, v[20:21]
	v_add_co_u32_e64 v40, s[38:39], s42, v40
	v_addc_co_u32_e64 v41, s[38:39], v39, v41, s[38:39]
	global_store_dword v[40:41], v44, off
	s_set_gpr_idx_on s61, gpr_idx(DST)
	v_mov_b32_e32 v2, v35
	s_set_gpr_idx_off
.LBB915_89:                             ;   in Loop: Header=BB915_87 Depth=1
	s_or_b64 exec, exec, s[58:59]
	v_add_u32_e32 v20, 0x200, v30
	v_cmp_gt_u32_e64 s[38:39], s7, v20
	s_and_saveexec_b64 s[58:59], s[38:39]
	s_cbranch_execz .LBB915_91
; %bb.90:                               ;   in Loop: Header=BB915_87 Depth=1
	ds_read_b32 v20, v34 offset:2048
	v_mov_b32_e32 v39, s43
	s_add_i32 s67, s61, 1
	s_waitcnt lgkmcnt(0)
	v_lshrrev_b32_e32 v35, s52, v20
	v_and_b32_e32 v35, s66, v35
	v_lshlrev_b32_e32 v36, 2, v35
	ds_read_b32 v36, v36
	v_xor_b32_e32 v44, 0x80000000, v20
	s_waitcnt lgkmcnt(0)
	v_add3_u32 v20, v30, v36, s62
	v_lshlrev_b64 v[40:41], 2, v[20:21]
	v_add_co_u32_e64 v40, s[38:39], s42, v40
	v_addc_co_u32_e64 v41, s[38:39], v39, v41, s[38:39]
	global_store_dword v[40:41], v44, off
	s_set_gpr_idx_on s67, gpr_idx(DST)
	v_mov_b32_e32 v2, v35
	s_set_gpr_idx_off
.LBB915_91:                             ;   in Loop: Header=BB915_87 Depth=1
	s_or_b64 exec, exec, s[58:59]
	v_add_u32_e32 v20, 0x400, v30
	v_cmp_gt_u32_e64 s[38:39], s7, v20
	s_and_saveexec_b64 s[58:59], s[38:39]
	s_cbranch_execz .LBB915_93
; %bb.92:                               ;   in Loop: Header=BB915_87 Depth=1
	ds_read_b32 v20, v34 offset:4096
	v_mov_b32_e32 v39, s43
	s_add_i32 s67, s61, 2
	s_waitcnt lgkmcnt(0)
	v_lshrrev_b32_e32 v35, s52, v20
	v_and_b32_e32 v35, s66, v35
	v_lshlrev_b32_e32 v36, 2, v35
	ds_read_b32 v36, v36
	v_xor_b32_e32 v44, 0x80000000, v20
	s_waitcnt lgkmcnt(0)
	v_add3_u32 v20, v30, v36, s60
	v_lshlrev_b64 v[40:41], 2, v[20:21]
	v_add_co_u32_e64 v40, s[38:39], s42, v40
	v_addc_co_u32_e64 v41, s[38:39], v39, v41, s[38:39]
	global_store_dword v[40:41], v44, off
	s_set_gpr_idx_on s67, gpr_idx(DST)
	v_mov_b32_e32 v2, v35
	s_set_gpr_idx_off
.LBB915_93:                             ;   in Loop: Header=BB915_87 Depth=1
	s_or_b64 exec, exec, s[58:59]
	v_add_u32_e32 v20, 0x600, v30
	v_cmp_gt_u32_e64 s[38:39], s7, v20
	s_and_saveexec_b64 s[58:59], s[38:39]
	s_cbranch_execz .LBB915_86
; %bb.94:                               ;   in Loop: Header=BB915_87 Depth=1
	ds_read_b32 v20, v34 offset:6144
	v_mov_b32_e32 v39, s43
	s_add_i32 s67, s61, 3
	s_waitcnt lgkmcnt(0)
	v_lshrrev_b32_e32 v35, s52, v20
	v_and_b32_e32 v35, s66, v35
	v_lshlrev_b32_e32 v36, 2, v35
	ds_read_b32 v36, v36
	v_xor_b32_e32 v44, 0x80000000, v20
	s_waitcnt lgkmcnt(0)
	v_add3_u32 v20, v30, v36, s63
	v_lshlrev_b64 v[40:41], 2, v[20:21]
	v_add_co_u32_e64 v40, s[38:39], s42, v40
	v_addc_co_u32_e64 v41, s[38:39], v39, v41, s[38:39]
	global_store_dword v[40:41], v44, off
	s_set_gpr_idx_on s67, gpr_idx(DST)
	v_mov_b32_e32 v2, v35
	s_set_gpr_idx_off
	s_branch .LBB915_86
.LBB915_95:
	s_mov_b64 s[2:3], 0
                                        ; implicit-def: $vgpr2
                                        ; implicit-def: $vgpr18
	s_cbranch_execnz .LBB915_122
	s_branch .LBB915_181
.LBB915_96:
	s_lshl_b64 s[38:39], s[54:55], 3
	s_add_u32 s38, s44, s38
	s_addc_u32 s39, s45, s39
	v_lshlrev_b32_e32 v20, 3, v22
	v_mov_b32_e32 v21, s39
	v_add_co_u32_e64 v20, s[38:39], s38, v20
	v_addc_co_u32_e64 v21, s[38:39], 0, v21, s[38:39]
	v_lshlrev_b32_e32 v19, 3, v19
	v_add_co_u32_e64 v42, s[38:39], v20, v19
	v_addc_co_u32_e64 v43, s[38:39], 0, v21, s[38:39]
                                        ; implicit-def: $vgpr20_vgpr21
	s_and_saveexec_b64 s[38:39], vcc
	s_cbranch_execnz .LBB915_184
; %bb.97:
	s_or_b64 exec, exec, s[38:39]
                                        ; implicit-def: $vgpr22_vgpr23
	s_and_saveexec_b64 s[38:39], s[36:37]
	s_cbranch_execnz .LBB915_185
.LBB915_98:
	s_or_b64 exec, exec, s[38:39]
                                        ; implicit-def: $vgpr24_vgpr25
	s_and_saveexec_b64 s[36:37], s[10:11]
	s_cbranch_execnz .LBB915_186
.LBB915_99:
	s_or_b64 exec, exec, s[36:37]
                                        ; implicit-def: $vgpr26_vgpr27
	s_and_saveexec_b64 s[10:11], s[14:15]
	s_cbranch_execnz .LBB915_187
.LBB915_100:
	s_or_b64 exec, exec, s[10:11]
                                        ; implicit-def: $vgpr28_vgpr29
	s_and_saveexec_b64 s[10:11], s[16:17]
	s_cbranch_execnz .LBB915_188
.LBB915_101:
	s_or_b64 exec, exec, s[10:11]
                                        ; implicit-def: $vgpr30_vgpr31
	s_and_saveexec_b64 s[10:11], s[20:21]
	s_cbranch_execnz .LBB915_189
.LBB915_102:
	s_or_b64 exec, exec, s[10:11]
                                        ; implicit-def: $vgpr32_vgpr33
	s_and_saveexec_b64 s[10:11], s[24:25]
	s_cbranch_execnz .LBB915_190
.LBB915_103:
	s_or_b64 exec, exec, s[10:11]
                                        ; implicit-def: $vgpr34_vgpr35
	s_and_saveexec_b64 s[10:11], s[28:29]
	s_cbranch_execnz .LBB915_191
.LBB915_104:
	s_or_b64 exec, exec, s[10:11]
                                        ; implicit-def: $vgpr36_vgpr37
	s_and_saveexec_b64 s[10:11], s[30:31]
	s_cbranch_execnz .LBB915_192
.LBB915_105:
	s_or_b64 exec, exec, s[10:11]
                                        ; implicit-def: $vgpr38_vgpr39
	s_and_saveexec_b64 s[10:11], s[26:27]
	s_cbranch_execnz .LBB915_193
.LBB915_106:
	s_or_b64 exec, exec, s[10:11]
                                        ; implicit-def: $vgpr40_vgpr41
	s_and_saveexec_b64 s[10:11], s[22:23]
	s_cbranch_execnz .LBB915_194
.LBB915_107:
	s_or_b64 exec, exec, s[10:11]
                                        ; implicit-def: $vgpr44_vgpr45
	s_and_saveexec_b64 s[10:11], s[18:19]
	s_cbranch_execnz .LBB915_195
.LBB915_108:
	s_or_b64 exec, exec, s[10:11]
                                        ; implicit-def: $vgpr46_vgpr47
	s_and_saveexec_b64 s[10:11], s[12:13]
	s_cbranch_execnz .LBB915_196
.LBB915_109:
	s_or_b64 exec, exec, s[10:11]
                                        ; implicit-def: $vgpr48_vgpr49
	s_and_saveexec_b64 s[10:11], s[8:9]
	s_cbranch_execnz .LBB915_197
.LBB915_110:
	s_or_b64 exec, exec, s[10:11]
                                        ; implicit-def: $vgpr50_vgpr51
	s_and_saveexec_b64 s[8:9], s[2:3]
	s_cbranch_execnz .LBB915_198
.LBB915_111:
	s_or_b64 exec, exec, s[8:9]
                                        ; implicit-def: $vgpr52_vgpr53
	s_and_saveexec_b64 s[2:3], s[0:1]
	s_cbranch_execz .LBB915_113
.LBB915_112:
	v_add_co_u32_e32 v42, vcc, 0x1000, v42
	v_addc_co_u32_e32 v43, vcc, 0, v43, vcc
	global_load_dwordx2 v[52:53], v[42:43], off offset:3584
.LBB915_113:
	s_or_b64 exec, exec, s[2:3]
	v_lshlrev_b32_e32 v19, 3, v18
	v_add_u32_e32 v61, 0x400, v19
	s_mov_b32 s2, 0
	v_mov_b32_e32 v43, 0
	s_movk_i32 s3, 0x200
	s_mov_b32 s8, 0
	v_mov_b32_e32 v65, v18
	s_waitcnt vmcnt(0)
	s_branch .LBB915_115
.LBB915_114:                            ;   in Loop: Header=BB915_115 Depth=1
	s_or_b64 exec, exec, s[0:1]
	s_addk_i32 s8, 0xfc00
	s_add_i32 s2, s2, 2
	s_cmpk_eq_i32 s8, 0xe000
	v_add_u32_e32 v65, 0x400, v65
	s_barrier
	s_cbranch_scc1 .LBB915_119
.LBB915_115:                            ; =>This Inner Loop Header: Depth=1
	v_add_u32_e32 v42, s8, v60
	v_min_u32_e32 v42, 0x400, v42
	v_lshlrev_b32_e32 v42, 3, v42
	ds_write_b64 v42, v[20:21] offset:1024
	v_add_u32_e32 v42, s8, v73
	v_min_u32_e32 v42, 0x400, v42
	v_lshlrev_b32_e32 v42, 3, v42
	ds_write_b64 v42, v[22:23] offset:1024
	;; [unrolled: 4-line block ×15, first 2 shown]
	v_add_u32_e32 v42, s8, v64
	v_min_u32_e32 v42, 0x400, v42
	v_lshlrev_b32_e32 v42, 3, v42
	v_cmp_gt_u32_e32 vcc, s7, v65
	ds_write_b64 v42, v[52:53] offset:1024
	s_waitcnt lgkmcnt(0)
	s_barrier
	s_and_saveexec_b64 s[0:1], vcc
	s_cbranch_execz .LBB915_117
; %bb.116:                              ;   in Loop: Header=BB915_115 Depth=1
	ds_read_b64 v[74:75], v19 offset:1024
	s_set_gpr_idx_on s2, gpr_idx(SRC0)
	v_mov_b32_e32 v42, v2
	s_set_gpr_idx_off
	v_lshlrev_b32_e32 v42, 2, v42
	ds_read_b32 v42, v42
	v_mov_b32_e32 v78, s47
	s_waitcnt lgkmcnt(0)
	v_add_u32_e32 v42, v65, v42
	v_lshlrev_b64 v[76:77], 3, v[42:43]
	v_add_co_u32_e32 v76, vcc, s46, v76
	v_addc_co_u32_e32 v77, vcc, v78, v77, vcc
	global_store_dwordx2 v[76:77], v[74:75], off
.LBB915_117:                            ;   in Loop: Header=BB915_115 Depth=1
	s_or_b64 exec, exec, s[0:1]
	v_add_u32_e32 v42, 0x200, v65
	v_cmp_gt_u32_e32 vcc, s7, v42
	s_and_saveexec_b64 s[0:1], vcc
	s_cbranch_execz .LBB915_114
; %bb.118:                              ;   in Loop: Header=BB915_115 Depth=1
	s_add_i32 s9, s2, 1
	ds_read_b64 v[74:75], v61 offset:4096
	s_set_gpr_idx_on s9, gpr_idx(SRC0)
	v_mov_b32_e32 v42, v2
	s_set_gpr_idx_off
	v_lshlrev_b32_e32 v42, 2, v42
	ds_read_b32 v42, v42
	v_mov_b32_e32 v78, s47
	s_waitcnt lgkmcnt(0)
	v_add3_u32 v42, v65, v42, s3
	v_lshlrev_b64 v[76:77], 3, v[42:43]
	v_add_co_u32_e32 v76, vcc, s46, v76
	v_addc_co_u32_e32 v77, vcc, v78, v77, vcc
	global_store_dwordx2 v[76:77], v[74:75], off
	s_branch .LBB915_114
.LBB915_119:
	s_add_i32 s33, s33, -1
	s_cmp_eq_u32 s33, s6
	s_cselect_b64 s[0:1], -1, 0
	s_and_b64 s[8:9], s[34:35], s[0:1]
	s_mov_b64 s[0:1], 0
	s_mov_b64 s[2:3], 0
                                        ; implicit-def: $vgpr2
	s_and_saveexec_b64 s[10:11], s[8:9]
	s_xor_b64 s[8:9], exec, s[10:11]
; %bb.120:
	s_mov_b64 s[2:3], exec
	v_add_u32_e32 v2, v54, v57
; %bb.121:
	s_or_b64 exec, exec, s[8:9]
	s_and_b64 vcc, exec, s[0:1]
	s_cbranch_vccz .LBB915_181
.LBB915_122:
	v_and_b32_e32 v18, 0x3ff, v0
	s_lshl_b32 s8, s6, 13
	s_mov_b32 s9, 0
	v_mbcnt_hi_u32_b32 v4, -1, v1
	s_lshl_b64 s[0:1], s[8:9], 2
	v_and_b32_e32 v20, 63, v4
	v_lshlrev_b32_e32 v1, 4, v18
	s_add_u32 s0, s40, s0
	v_and_b32_e32 v19, 0x1c00, v1
	v_lshlrev_b32_e32 v1, 2, v20
	v_add_co_u32_e32 v1, vcc, s0, v1
	s_load_dword s7, s[4:5], 0x58
	s_load_dword s0, s[4:5], 0x64
	s_addc_u32 s1, s41, s1
	v_mov_b32_e32 v3, s1
	v_addc_co_u32_e32 v3, vcc, 0, v3, vcc
	v_lshlrev_b32_e32 v5, 2, v19
	s_add_u32 s1, s4, 0x58
	v_add_co_u32_e32 v8, vcc, v1, v5
	s_addc_u32 s4, s5, 0
	s_waitcnt lgkmcnt(0)
	s_lshr_b32 s5, s0, 16
	v_addc_co_u32_e32 v9, vcc, 0, v3, vcc
	s_cmp_lt_u32 s6, s7
	global_load_dword v1, v[8:9], off
	s_cselect_b32 s0, 12, 18
	s_add_u32 s0, s1, s0
	v_mov_b32_e32 v2, 0
	s_addc_u32 s1, s4, 0
	global_load_ushort v3, v2, s[0:1]
	v_mul_u32_u24_e32 v5, 5, v18
	v_lshlrev_b32_e32 v5, 2, v5
	ds_write2_b32 v5, v2, v2 offset0:8 offset1:9
	ds_write2_b32 v5, v2, v2 offset0:10 offset1:11
	ds_write_b32 v5, v2 offset:48
	global_load_dword v7, v[8:9], off offset:256
	global_load_dword v10, v[8:9], off offset:512
	;; [unrolled: 1-line block ×15, first 2 shown]
	s_lshl_b32 s0, -1, s53
	v_bfe_u32 v6, v0, 10, 10
	v_bfe_u32 v0, v0, 20, 10
	s_not_b32 s16, s0
	v_mad_u32_u24 v0, v0, s5, v6
	s_waitcnt lgkmcnt(0)
	s_barrier
	s_waitcnt lgkmcnt(0)
	; wave barrier
	s_waitcnt vmcnt(16)
	v_xor_b32_e32 v21, 0x80000000, v1
	v_lshrrev_b32_e32 v1, s52, v21
	v_and_b32_e32 v6, s16, v1
	v_and_b32_e32 v8, 1, v6
	s_waitcnt vmcnt(15)
	v_mad_u64_u32 v[0:1], s[0:1], v0, v3, v[18:19]
	v_lshrrev_b32_e32 v15, 6, v0
	v_add_co_u32_e32 v0, vcc, -1, v8
	v_lshlrev_b32_e32 v3, 30, v6
	v_addc_co_u32_e64 v11, s[0:1], 0, -1, vcc
	v_lshl_add_u32 v1, v6, 3, v6
	v_cmp_ne_u32_e32 vcc, 0, v8
	v_cmp_gt_i64_e64 s[0:1], 0, v[2:3]
	v_not_b32_e32 v8, v3
	v_lshlrev_b32_e32 v3, 29, v6
	v_add_lshl_u32 v9, v15, v1, 2
	v_xor_b32_e32 v1, vcc_hi, v11
	v_xor_b32_e32 v0, vcc_lo, v0
	v_ashrrev_i32_e32 v8, 31, v8
	v_not_b32_e32 v11, v3
	v_cmp_gt_i64_e32 vcc, 0, v[2:3]
	v_lshlrev_b32_e32 v3, 28, v6
	v_and_b32_e32 v0, exec_lo, v0
	v_xor_b32_e32 v12, s1, v8
	v_xor_b32_e32 v8, s0, v8
	v_ashrrev_i32_e32 v11, 31, v11
	v_and_b32_e32 v1, exec_hi, v1
	v_and_b32_e32 v0, v0, v8
	v_xor_b32_e32 v8, vcc_hi, v11
	v_xor_b32_e32 v11, vcc_lo, v11
	v_cmp_gt_i64_e32 vcc, 0, v[2:3]
	v_not_b32_e32 v3, v3
	v_and_b32_e32 v1, v1, v12
	v_ashrrev_i32_e32 v3, 31, v3
	v_and_b32_e32 v1, v1, v8
	v_and_b32_e32 v0, v0, v11
	v_xor_b32_e32 v8, vcc_hi, v3
	v_xor_b32_e32 v3, vcc_lo, v3
	v_and_b32_e32 v0, v0, v3
	v_lshlrev_b32_e32 v3, 27, v6
	v_cmp_gt_i64_e32 vcc, 0, v[2:3]
	v_not_b32_e32 v3, v3
	v_ashrrev_i32_e32 v3, 31, v3
	v_and_b32_e32 v1, v1, v8
	v_xor_b32_e32 v8, vcc_hi, v3
	v_xor_b32_e32 v3, vcc_lo, v3
	v_and_b32_e32 v0, v0, v3
	v_lshlrev_b32_e32 v3, 26, v6
	v_cmp_gt_i64_e32 vcc, 0, v[2:3]
	v_not_b32_e32 v3, v3
	v_ashrrev_i32_e32 v3, 31, v3
	v_and_b32_e32 v1, v1, v8
	v_xor_b32_e32 v8, vcc_hi, v3
	v_xor_b32_e32 v3, vcc_lo, v3
	v_and_b32_e32 v0, v0, v3
	v_lshlrev_b32_e32 v3, 25, v6
	v_cmp_gt_i64_e32 vcc, 0, v[2:3]
	v_not_b32_e32 v3, v3
	v_ashrrev_i32_e32 v3, 31, v3
	v_and_b32_e32 v1, v1, v8
	v_xor_b32_e32 v8, vcc_hi, v3
	v_xor_b32_e32 v3, vcc_lo, v3
	v_and_b32_e32 v0, v0, v3
	v_lshlrev_b32_e32 v3, 24, v6
	v_cmp_gt_i64_e32 vcc, 0, v[2:3]
	v_not_b32_e32 v3, v3
	v_ashrrev_i32_e32 v3, 31, v3
	v_xor_b32_e32 v6, vcc_hi, v3
	v_xor_b32_e32 v3, vcc_lo, v3
	v_and_b32_e32 v1, v1, v8
	v_and_b32_e32 v0, v0, v3
	;; [unrolled: 1-line block ×3, first 2 shown]
	v_mbcnt_lo_u32_b32 v3, v0, 0
	v_mbcnt_hi_u32_b32 v6, v1, v3
	v_cmp_eq_u32_e32 vcc, 0, v6
	v_cmp_ne_u64_e64 s[0:1], 0, v[0:1]
	s_and_b64 s[4:5], s[0:1], vcc
	s_and_saveexec_b64 s[0:1], s[4:5]
	s_cbranch_execz .LBB915_124
; %bb.123:
	v_bcnt_u32_b32 v0, v0, 0
	v_bcnt_u32_b32 v0, v1, v0
	ds_write_b32 v9, v0 offset:32
.LBB915_124:
	s_or_b64 exec, exec, s[0:1]
	s_waitcnt vmcnt(14)
	v_xor_b32_e32 v22, 0x80000000, v7
	v_lshrrev_b32_e32 v0, s52, v22
	v_and_b32_e32 v0, s16, v0
	v_lshl_add_u32 v1, v0, 3, v0
	v_add_lshl_u32 v11, v15, v1, 2
	v_and_b32_e32 v1, 1, v0
	v_add_co_u32_e32 v3, vcc, -1, v1
	v_addc_co_u32_e64 v8, s[0:1], 0, -1, vcc
	v_cmp_ne_u32_e32 vcc, 0, v1
	v_xor_b32_e32 v3, vcc_lo, v3
	v_xor_b32_e32 v1, vcc_hi, v8
	v_and_b32_e32 v8, exec_lo, v3
	v_lshlrev_b32_e32 v3, 30, v0
	v_cmp_gt_i64_e32 vcc, 0, v[2:3]
	v_not_b32_e32 v3, v3
	v_ashrrev_i32_e32 v3, 31, v3
	v_xor_b32_e32 v12, vcc_hi, v3
	v_xor_b32_e32 v3, vcc_lo, v3
	v_and_b32_e32 v8, v8, v3
	v_lshlrev_b32_e32 v3, 29, v0
	v_cmp_gt_i64_e32 vcc, 0, v[2:3]
	v_not_b32_e32 v3, v3
	v_and_b32_e32 v1, exec_hi, v1
	v_ashrrev_i32_e32 v3, 31, v3
	v_and_b32_e32 v1, v1, v12
	v_xor_b32_e32 v12, vcc_hi, v3
	v_xor_b32_e32 v3, vcc_lo, v3
	v_and_b32_e32 v8, v8, v3
	v_lshlrev_b32_e32 v3, 28, v0
	v_cmp_gt_i64_e32 vcc, 0, v[2:3]
	v_not_b32_e32 v3, v3
	v_ashrrev_i32_e32 v3, 31, v3
	v_and_b32_e32 v1, v1, v12
	v_xor_b32_e32 v12, vcc_hi, v3
	v_xor_b32_e32 v3, vcc_lo, v3
	v_and_b32_e32 v8, v8, v3
	v_lshlrev_b32_e32 v3, 27, v0
	v_cmp_gt_i64_e32 vcc, 0, v[2:3]
	v_not_b32_e32 v3, v3
	;; [unrolled: 8-line block ×4, first 2 shown]
	v_ashrrev_i32_e32 v3, 31, v3
	v_and_b32_e32 v1, v1, v12
	v_xor_b32_e32 v12, vcc_hi, v3
	v_xor_b32_e32 v3, vcc_lo, v3
	v_and_b32_e32 v8, v8, v3
	v_lshlrev_b32_e32 v3, 24, v0
	v_not_b32_e32 v0, v3
	v_cmp_gt_i64_e32 vcc, 0, v[2:3]
	v_ashrrev_i32_e32 v0, 31, v0
	v_xor_b32_e32 v2, vcc_hi, v0
	v_xor_b32_e32 v0, vcc_lo, v0
	; wave barrier
	ds_read_b32 v7, v11 offset:32
	v_and_b32_e32 v1, v1, v12
	v_and_b32_e32 v0, v8, v0
	;; [unrolled: 1-line block ×3, first 2 shown]
	v_mbcnt_lo_u32_b32 v2, v0, 0
	v_mbcnt_hi_u32_b32 v8, v1, v2
	v_cmp_eq_u32_e32 vcc, 0, v8
	v_cmp_ne_u64_e64 s[0:1], 0, v[0:1]
	s_and_b64 s[4:5], s[0:1], vcc
	; wave barrier
	s_and_saveexec_b64 s[0:1], s[4:5]
	s_cbranch_execz .LBB915_126
; %bb.125:
	v_bcnt_u32_b32 v0, v0, 0
	v_bcnt_u32_b32 v0, v1, v0
	s_waitcnt lgkmcnt(0)
	v_add_u32_e32 v0, v7, v0
	ds_write_b32 v11, v0 offset:32
.LBB915_126:
	s_or_b64 exec, exec, s[0:1]
	s_waitcnt vmcnt(13)
	v_xor_b32_e32 v23, 0x80000000, v10
	v_lshrrev_b32_e32 v0, s52, v23
	v_and_b32_e32 v2, s16, v0
	v_and_b32_e32 v1, 1, v2
	v_add_co_u32_e32 v3, vcc, -1, v1
	v_addc_co_u32_e64 v12, s[0:1], 0, -1, vcc
	v_cmp_ne_u32_e32 vcc, 0, v1
	v_lshl_add_u32 v0, v2, 3, v2
	v_xor_b32_e32 v1, vcc_hi, v12
	v_add_lshl_u32 v16, v15, v0, 2
	v_mov_b32_e32 v0, 0
	v_and_b32_e32 v12, exec_hi, v1
	v_lshlrev_b32_e32 v1, 30, v2
	v_xor_b32_e32 v3, vcc_lo, v3
	v_cmp_gt_i64_e32 vcc, 0, v[0:1]
	v_not_b32_e32 v1, v1
	v_ashrrev_i32_e32 v1, 31, v1
	v_and_b32_e32 v3, exec_lo, v3
	v_xor_b32_e32 v17, vcc_hi, v1
	v_xor_b32_e32 v1, vcc_lo, v1
	v_and_b32_e32 v3, v3, v1
	v_lshlrev_b32_e32 v1, 29, v2
	v_cmp_gt_i64_e32 vcc, 0, v[0:1]
	v_not_b32_e32 v1, v1
	v_ashrrev_i32_e32 v1, 31, v1
	v_and_b32_e32 v12, v12, v17
	v_xor_b32_e32 v17, vcc_hi, v1
	v_xor_b32_e32 v1, vcc_lo, v1
	v_and_b32_e32 v3, v3, v1
	v_lshlrev_b32_e32 v1, 28, v2
	v_cmp_gt_i64_e32 vcc, 0, v[0:1]
	v_not_b32_e32 v1, v1
	v_ashrrev_i32_e32 v1, 31, v1
	v_and_b32_e32 v12, v12, v17
	v_xor_b32_e32 v17, vcc_hi, v1
	v_xor_b32_e32 v1, vcc_lo, v1
	v_and_b32_e32 v3, v3, v1
	v_lshlrev_b32_e32 v1, 27, v2
	v_cmp_gt_i64_e32 vcc, 0, v[0:1]
	v_not_b32_e32 v1, v1
	v_ashrrev_i32_e32 v1, 31, v1
	v_and_b32_e32 v12, v12, v17
	v_xor_b32_e32 v17, vcc_hi, v1
	v_xor_b32_e32 v1, vcc_lo, v1
	v_and_b32_e32 v3, v3, v1
	v_lshlrev_b32_e32 v1, 26, v2
	v_cmp_gt_i64_e32 vcc, 0, v[0:1]
	v_not_b32_e32 v1, v1
	v_ashrrev_i32_e32 v1, 31, v1
	v_and_b32_e32 v12, v12, v17
	v_xor_b32_e32 v17, vcc_hi, v1
	v_xor_b32_e32 v1, vcc_lo, v1
	v_and_b32_e32 v3, v3, v1
	v_lshlrev_b32_e32 v1, 25, v2
	v_cmp_gt_i64_e32 vcc, 0, v[0:1]
	v_not_b32_e32 v1, v1
	v_ashrrev_i32_e32 v1, 31, v1
	v_and_b32_e32 v12, v12, v17
	v_xor_b32_e32 v17, vcc_hi, v1
	v_xor_b32_e32 v1, vcc_lo, v1
	v_and_b32_e32 v12, v12, v17
	v_and_b32_e32 v17, v3, v1
	v_lshlrev_b32_e32 v1, 24, v2
	v_cmp_gt_i64_e32 vcc, 0, v[0:1]
	v_not_b32_e32 v1, v1
	v_ashrrev_i32_e32 v1, 31, v1
	v_xor_b32_e32 v2, vcc_hi, v1
	v_xor_b32_e32 v1, vcc_lo, v1
	; wave barrier
	ds_read_b32 v10, v16 offset:32
	v_and_b32_e32 v3, v12, v2
	v_and_b32_e32 v2, v17, v1
	v_mbcnt_lo_u32_b32 v1, v2, 0
	v_mbcnt_hi_u32_b32 v12, v3, v1
	v_cmp_eq_u32_e32 vcc, 0, v12
	v_cmp_ne_u64_e64 s[0:1], 0, v[2:3]
	s_and_b64 s[4:5], s[0:1], vcc
	; wave barrier
	s_and_saveexec_b64 s[0:1], s[4:5]
	s_cbranch_execz .LBB915_128
; %bb.127:
	v_bcnt_u32_b32 v1, v2, 0
	v_bcnt_u32_b32 v1, v3, v1
	s_waitcnt lgkmcnt(0)
	v_add_u32_e32 v1, v10, v1
	ds_write_b32 v16, v1 offset:32
.LBB915_128:
	s_or_b64 exec, exec, s[0:1]
	s_waitcnt vmcnt(12)
	v_xor_b32_e32 v24, 0x80000000, v13
	v_lshrrev_b32_e32 v1, s52, v24
	v_and_b32_e32 v2, s16, v1
	v_lshl_add_u32 v1, v2, 3, v2
	v_add_lshl_u32 v31, v15, v1, 2
	v_and_b32_e32 v1, 1, v2
	v_add_co_u32_e32 v3, vcc, -1, v1
	v_addc_co_u32_e64 v17, s[0:1], 0, -1, vcc
	v_cmp_ne_u32_e32 vcc, 0, v1
	v_xor_b32_e32 v1, vcc_hi, v17
	v_and_b32_e32 v17, exec_hi, v1
	v_lshlrev_b32_e32 v1, 30, v2
	v_xor_b32_e32 v3, vcc_lo, v3
	v_cmp_gt_i64_e32 vcc, 0, v[0:1]
	v_not_b32_e32 v1, v1
	v_ashrrev_i32_e32 v1, 31, v1
	v_and_b32_e32 v3, exec_lo, v3
	v_xor_b32_e32 v29, vcc_hi, v1
	v_xor_b32_e32 v1, vcc_lo, v1
	v_and_b32_e32 v3, v3, v1
	v_lshlrev_b32_e32 v1, 29, v2
	v_cmp_gt_i64_e32 vcc, 0, v[0:1]
	v_not_b32_e32 v1, v1
	v_ashrrev_i32_e32 v1, 31, v1
	v_and_b32_e32 v17, v17, v29
	v_xor_b32_e32 v29, vcc_hi, v1
	v_xor_b32_e32 v1, vcc_lo, v1
	v_and_b32_e32 v3, v3, v1
	v_lshlrev_b32_e32 v1, 28, v2
	v_cmp_gt_i64_e32 vcc, 0, v[0:1]
	v_not_b32_e32 v1, v1
	v_ashrrev_i32_e32 v1, 31, v1
	v_and_b32_e32 v17, v17, v29
	;; [unrolled: 8-line block ×5, first 2 shown]
	v_xor_b32_e32 v29, vcc_hi, v1
	v_xor_b32_e32 v1, vcc_lo, v1
	v_and_b32_e32 v3, v3, v1
	v_lshlrev_b32_e32 v1, 24, v2
	v_cmp_gt_i64_e32 vcc, 0, v[0:1]
	v_not_b32_e32 v0, v1
	v_ashrrev_i32_e32 v0, 31, v0
	v_xor_b32_e32 v1, vcc_hi, v0
	v_xor_b32_e32 v0, vcc_lo, v0
	; wave barrier
	ds_read_b32 v13, v31 offset:32
	v_and_b32_e32 v17, v17, v29
	v_and_b32_e32 v0, v3, v0
	;; [unrolled: 1-line block ×3, first 2 shown]
	v_mbcnt_lo_u32_b32 v2, v0, 0
	v_mbcnt_hi_u32_b32 v17, v1, v2
	v_cmp_eq_u32_e32 vcc, 0, v17
	v_cmp_ne_u64_e64 s[0:1], 0, v[0:1]
	s_and_b64 s[4:5], s[0:1], vcc
	; wave barrier
	s_and_saveexec_b64 s[0:1], s[4:5]
	s_cbranch_execz .LBB915_130
; %bb.129:
	v_bcnt_u32_b32 v0, v0, 0
	v_bcnt_u32_b32 v0, v1, v0
	s_waitcnt lgkmcnt(0)
	v_add_u32_e32 v0, v13, v0
	ds_write_b32 v31, v0 offset:32
.LBB915_130:
	s_or_b64 exec, exec, s[0:1]
	s_waitcnt vmcnt(11)
	v_xor_b32_e32 v25, 0x80000000, v25
	v_lshrrev_b32_e32 v0, s52, v25
	v_and_b32_e32 v2, s16, v0
	v_and_b32_e32 v1, 1, v2
	v_add_co_u32_e32 v3, vcc, -1, v1
	v_addc_co_u32_e64 v33, s[0:1], 0, -1, vcc
	v_cmp_ne_u32_e32 vcc, 0, v1
	v_lshl_add_u32 v0, v2, 3, v2
	v_xor_b32_e32 v1, vcc_hi, v33
	v_add_lshl_u32 v36, v15, v0, 2
	v_mov_b32_e32 v0, 0
	v_and_b32_e32 v33, exec_hi, v1
	v_lshlrev_b32_e32 v1, 30, v2
	v_xor_b32_e32 v3, vcc_lo, v3
	v_cmp_gt_i64_e32 vcc, 0, v[0:1]
	v_not_b32_e32 v1, v1
	v_ashrrev_i32_e32 v1, 31, v1
	v_and_b32_e32 v3, exec_lo, v3
	v_xor_b32_e32 v34, vcc_hi, v1
	v_xor_b32_e32 v1, vcc_lo, v1
	v_and_b32_e32 v3, v3, v1
	v_lshlrev_b32_e32 v1, 29, v2
	v_cmp_gt_i64_e32 vcc, 0, v[0:1]
	v_not_b32_e32 v1, v1
	v_ashrrev_i32_e32 v1, 31, v1
	v_and_b32_e32 v33, v33, v34
	v_xor_b32_e32 v34, vcc_hi, v1
	v_xor_b32_e32 v1, vcc_lo, v1
	v_and_b32_e32 v3, v3, v1
	v_lshlrev_b32_e32 v1, 28, v2
	v_cmp_gt_i64_e32 vcc, 0, v[0:1]
	v_not_b32_e32 v1, v1
	v_ashrrev_i32_e32 v1, 31, v1
	v_and_b32_e32 v33, v33, v34
	;; [unrolled: 8-line block ×5, first 2 shown]
	v_xor_b32_e32 v34, vcc_hi, v1
	v_xor_b32_e32 v1, vcc_lo, v1
	v_and_b32_e32 v33, v33, v34
	v_and_b32_e32 v34, v3, v1
	v_lshlrev_b32_e32 v1, 24, v2
	v_cmp_gt_i64_e32 vcc, 0, v[0:1]
	v_not_b32_e32 v1, v1
	v_ashrrev_i32_e32 v1, 31, v1
	v_xor_b32_e32 v2, vcc_hi, v1
	v_xor_b32_e32 v1, vcc_lo, v1
	; wave barrier
	ds_read_b32 v29, v36 offset:32
	v_and_b32_e32 v3, v33, v2
	v_and_b32_e32 v2, v34, v1
	v_mbcnt_lo_u32_b32 v1, v2, 0
	v_mbcnt_hi_u32_b32 v33, v3, v1
	v_cmp_eq_u32_e32 vcc, 0, v33
	v_cmp_ne_u64_e64 s[0:1], 0, v[2:3]
	s_and_b64 s[4:5], s[0:1], vcc
	; wave barrier
	s_and_saveexec_b64 s[0:1], s[4:5]
	s_cbranch_execz .LBB915_132
; %bb.131:
	v_bcnt_u32_b32 v1, v2, 0
	v_bcnt_u32_b32 v1, v3, v1
	s_waitcnt lgkmcnt(0)
	v_add_u32_e32 v1, v29, v1
	ds_write_b32 v36, v1 offset:32
.LBB915_132:
	s_or_b64 exec, exec, s[0:1]
	s_waitcnt vmcnt(10)
	v_xor_b32_e32 v26, 0x80000000, v26
	v_lshrrev_b32_e32 v1, s52, v26
	v_and_b32_e32 v2, s16, v1
	v_lshl_add_u32 v1, v2, 3, v2
	v_add_lshl_u32 v41, v15, v1, 2
	v_and_b32_e32 v1, 1, v2
	v_add_co_u32_e32 v3, vcc, -1, v1
	v_addc_co_u32_e64 v38, s[0:1], 0, -1, vcc
	v_cmp_ne_u32_e32 vcc, 0, v1
	v_xor_b32_e32 v1, vcc_hi, v38
	v_and_b32_e32 v38, exec_hi, v1
	v_lshlrev_b32_e32 v1, 30, v2
	v_xor_b32_e32 v3, vcc_lo, v3
	v_cmp_gt_i64_e32 vcc, 0, v[0:1]
	v_not_b32_e32 v1, v1
	v_ashrrev_i32_e32 v1, 31, v1
	v_and_b32_e32 v3, exec_lo, v3
	v_xor_b32_e32 v39, vcc_hi, v1
	v_xor_b32_e32 v1, vcc_lo, v1
	v_and_b32_e32 v3, v3, v1
	v_lshlrev_b32_e32 v1, 29, v2
	v_cmp_gt_i64_e32 vcc, 0, v[0:1]
	v_not_b32_e32 v1, v1
	v_ashrrev_i32_e32 v1, 31, v1
	v_and_b32_e32 v38, v38, v39
	v_xor_b32_e32 v39, vcc_hi, v1
	v_xor_b32_e32 v1, vcc_lo, v1
	v_and_b32_e32 v3, v3, v1
	v_lshlrev_b32_e32 v1, 28, v2
	v_cmp_gt_i64_e32 vcc, 0, v[0:1]
	v_not_b32_e32 v1, v1
	v_ashrrev_i32_e32 v1, 31, v1
	v_and_b32_e32 v38, v38, v39
	;; [unrolled: 8-line block ×5, first 2 shown]
	v_xor_b32_e32 v39, vcc_hi, v1
	v_xor_b32_e32 v1, vcc_lo, v1
	v_and_b32_e32 v3, v3, v1
	v_lshlrev_b32_e32 v1, 24, v2
	v_cmp_gt_i64_e32 vcc, 0, v[0:1]
	v_not_b32_e32 v0, v1
	v_ashrrev_i32_e32 v0, 31, v0
	v_xor_b32_e32 v1, vcc_hi, v0
	v_xor_b32_e32 v0, vcc_lo, v0
	; wave barrier
	ds_read_b32 v34, v41 offset:32
	v_and_b32_e32 v38, v38, v39
	v_and_b32_e32 v0, v3, v0
	v_and_b32_e32 v1, v38, v1
	v_mbcnt_lo_u32_b32 v2, v0, 0
	v_mbcnt_hi_u32_b32 v38, v1, v2
	v_cmp_eq_u32_e32 vcc, 0, v38
	v_cmp_ne_u64_e64 s[0:1], 0, v[0:1]
	s_and_b64 s[4:5], s[0:1], vcc
	; wave barrier
	s_and_saveexec_b64 s[0:1], s[4:5]
	s_cbranch_execz .LBB915_134
; %bb.133:
	v_bcnt_u32_b32 v0, v0, 0
	v_bcnt_u32_b32 v0, v1, v0
	s_waitcnt lgkmcnt(0)
	v_add_u32_e32 v0, v34, v0
	ds_write_b32 v41, v0 offset:32
.LBB915_134:
	s_or_b64 exec, exec, s[0:1]
	s_waitcnt vmcnt(9)
	v_xor_b32_e32 v27, 0x80000000, v27
	v_lshrrev_b32_e32 v0, s52, v27
	v_and_b32_e32 v2, s16, v0
	v_and_b32_e32 v1, 1, v2
	v_add_co_u32_e32 v3, vcc, -1, v1
	v_addc_co_u32_e64 v43, s[0:1], 0, -1, vcc
	v_cmp_ne_u32_e32 vcc, 0, v1
	v_lshl_add_u32 v0, v2, 3, v2
	v_xor_b32_e32 v1, vcc_hi, v43
	v_add_lshl_u32 v46, v15, v0, 2
	v_mov_b32_e32 v0, 0
	v_and_b32_e32 v43, exec_hi, v1
	v_lshlrev_b32_e32 v1, 30, v2
	v_xor_b32_e32 v3, vcc_lo, v3
	v_cmp_gt_i64_e32 vcc, 0, v[0:1]
	v_not_b32_e32 v1, v1
	v_ashrrev_i32_e32 v1, 31, v1
	v_and_b32_e32 v3, exec_lo, v3
	v_xor_b32_e32 v44, vcc_hi, v1
	v_xor_b32_e32 v1, vcc_lo, v1
	v_and_b32_e32 v3, v3, v1
	v_lshlrev_b32_e32 v1, 29, v2
	v_cmp_gt_i64_e32 vcc, 0, v[0:1]
	v_not_b32_e32 v1, v1
	v_ashrrev_i32_e32 v1, 31, v1
	v_and_b32_e32 v43, v43, v44
	v_xor_b32_e32 v44, vcc_hi, v1
	v_xor_b32_e32 v1, vcc_lo, v1
	v_and_b32_e32 v3, v3, v1
	v_lshlrev_b32_e32 v1, 28, v2
	v_cmp_gt_i64_e32 vcc, 0, v[0:1]
	v_not_b32_e32 v1, v1
	v_ashrrev_i32_e32 v1, 31, v1
	v_and_b32_e32 v43, v43, v44
	;; [unrolled: 8-line block ×5, first 2 shown]
	v_xor_b32_e32 v44, vcc_hi, v1
	v_xor_b32_e32 v1, vcc_lo, v1
	v_and_b32_e32 v43, v43, v44
	v_and_b32_e32 v44, v3, v1
	v_lshlrev_b32_e32 v1, 24, v2
	v_cmp_gt_i64_e32 vcc, 0, v[0:1]
	v_not_b32_e32 v1, v1
	v_ashrrev_i32_e32 v1, 31, v1
	v_xor_b32_e32 v2, vcc_hi, v1
	v_xor_b32_e32 v1, vcc_lo, v1
	; wave barrier
	ds_read_b32 v39, v46 offset:32
	v_and_b32_e32 v3, v43, v2
	v_and_b32_e32 v2, v44, v1
	v_mbcnt_lo_u32_b32 v1, v2, 0
	v_mbcnt_hi_u32_b32 v43, v3, v1
	v_cmp_eq_u32_e32 vcc, 0, v43
	v_cmp_ne_u64_e64 s[0:1], 0, v[2:3]
	s_and_b64 s[4:5], s[0:1], vcc
	; wave barrier
	s_and_saveexec_b64 s[0:1], s[4:5]
	s_cbranch_execz .LBB915_136
; %bb.135:
	v_bcnt_u32_b32 v1, v2, 0
	v_bcnt_u32_b32 v1, v3, v1
	s_waitcnt lgkmcnt(0)
	v_add_u32_e32 v1, v39, v1
	ds_write_b32 v46, v1 offset:32
.LBB915_136:
	s_or_b64 exec, exec, s[0:1]
	s_waitcnt vmcnt(8)
	v_xor_b32_e32 v28, 0x80000000, v28
	v_lshrrev_b32_e32 v1, s52, v28
	v_and_b32_e32 v2, s16, v1
	v_lshl_add_u32 v1, v2, 3, v2
	v_add_lshl_u32 v49, v15, v1, 2
	v_and_b32_e32 v1, 1, v2
	v_add_co_u32_e32 v3, vcc, -1, v1
	v_addc_co_u32_e64 v47, s[0:1], 0, -1, vcc
	v_cmp_ne_u32_e32 vcc, 0, v1
	v_xor_b32_e32 v1, vcc_hi, v47
	v_and_b32_e32 v47, exec_hi, v1
	v_lshlrev_b32_e32 v1, 30, v2
	v_xor_b32_e32 v3, vcc_lo, v3
	v_cmp_gt_i64_e32 vcc, 0, v[0:1]
	v_not_b32_e32 v1, v1
	v_ashrrev_i32_e32 v1, 31, v1
	v_and_b32_e32 v3, exec_lo, v3
	v_xor_b32_e32 v48, vcc_hi, v1
	v_xor_b32_e32 v1, vcc_lo, v1
	v_and_b32_e32 v3, v3, v1
	v_lshlrev_b32_e32 v1, 29, v2
	v_cmp_gt_i64_e32 vcc, 0, v[0:1]
	v_not_b32_e32 v1, v1
	v_ashrrev_i32_e32 v1, 31, v1
	v_and_b32_e32 v47, v47, v48
	v_xor_b32_e32 v48, vcc_hi, v1
	v_xor_b32_e32 v1, vcc_lo, v1
	v_and_b32_e32 v3, v3, v1
	v_lshlrev_b32_e32 v1, 28, v2
	v_cmp_gt_i64_e32 vcc, 0, v[0:1]
	v_not_b32_e32 v1, v1
	v_ashrrev_i32_e32 v1, 31, v1
	v_and_b32_e32 v47, v47, v48
	;; [unrolled: 8-line block ×5, first 2 shown]
	v_xor_b32_e32 v48, vcc_hi, v1
	v_xor_b32_e32 v1, vcc_lo, v1
	v_and_b32_e32 v3, v3, v1
	v_lshlrev_b32_e32 v1, 24, v2
	v_cmp_gt_i64_e32 vcc, 0, v[0:1]
	v_not_b32_e32 v0, v1
	v_ashrrev_i32_e32 v0, 31, v0
	v_xor_b32_e32 v1, vcc_hi, v0
	v_xor_b32_e32 v0, vcc_lo, v0
	; wave barrier
	ds_read_b32 v44, v49 offset:32
	v_and_b32_e32 v47, v47, v48
	v_and_b32_e32 v0, v3, v0
	;; [unrolled: 1-line block ×3, first 2 shown]
	v_mbcnt_lo_u32_b32 v2, v0, 0
	v_mbcnt_hi_u32_b32 v47, v1, v2
	v_cmp_eq_u32_e32 vcc, 0, v47
	v_cmp_ne_u64_e64 s[0:1], 0, v[0:1]
	s_and_b64 s[4:5], s[0:1], vcc
	; wave barrier
	s_and_saveexec_b64 s[0:1], s[4:5]
	s_cbranch_execz .LBB915_138
; %bb.137:
	v_bcnt_u32_b32 v0, v0, 0
	v_bcnt_u32_b32 v0, v1, v0
	s_waitcnt lgkmcnt(0)
	v_add_u32_e32 v0, v44, v0
	ds_write_b32 v49, v0 offset:32
.LBB915_138:
	s_or_b64 exec, exec, s[0:1]
	s_waitcnt vmcnt(7)
	v_xor_b32_e32 v32, 0x80000000, v32
	v_lshrrev_b32_e32 v0, s52, v32
	v_and_b32_e32 v2, s16, v0
	v_and_b32_e32 v1, 1, v2
	v_add_co_u32_e32 v3, vcc, -1, v1
	v_addc_co_u32_e64 v50, s[0:1], 0, -1, vcc
	v_cmp_ne_u32_e32 vcc, 0, v1
	v_lshl_add_u32 v0, v2, 3, v2
	v_xor_b32_e32 v1, vcc_hi, v50
	v_add_lshl_u32 v52, v15, v0, 2
	v_mov_b32_e32 v0, 0
	v_and_b32_e32 v50, exec_hi, v1
	v_lshlrev_b32_e32 v1, 30, v2
	v_xor_b32_e32 v3, vcc_lo, v3
	v_cmp_gt_i64_e32 vcc, 0, v[0:1]
	v_not_b32_e32 v1, v1
	v_ashrrev_i32_e32 v1, 31, v1
	v_and_b32_e32 v3, exec_lo, v3
	v_xor_b32_e32 v51, vcc_hi, v1
	v_xor_b32_e32 v1, vcc_lo, v1
	v_and_b32_e32 v3, v3, v1
	v_lshlrev_b32_e32 v1, 29, v2
	v_cmp_gt_i64_e32 vcc, 0, v[0:1]
	v_not_b32_e32 v1, v1
	v_ashrrev_i32_e32 v1, 31, v1
	v_and_b32_e32 v50, v50, v51
	v_xor_b32_e32 v51, vcc_hi, v1
	v_xor_b32_e32 v1, vcc_lo, v1
	v_and_b32_e32 v3, v3, v1
	v_lshlrev_b32_e32 v1, 28, v2
	v_cmp_gt_i64_e32 vcc, 0, v[0:1]
	v_not_b32_e32 v1, v1
	v_ashrrev_i32_e32 v1, 31, v1
	v_and_b32_e32 v50, v50, v51
	;; [unrolled: 8-line block ×5, first 2 shown]
	v_xor_b32_e32 v51, vcc_hi, v1
	v_xor_b32_e32 v1, vcc_lo, v1
	v_and_b32_e32 v50, v50, v51
	v_and_b32_e32 v51, v3, v1
	v_lshlrev_b32_e32 v1, 24, v2
	v_cmp_gt_i64_e32 vcc, 0, v[0:1]
	v_not_b32_e32 v1, v1
	v_ashrrev_i32_e32 v1, 31, v1
	v_xor_b32_e32 v2, vcc_hi, v1
	v_xor_b32_e32 v1, vcc_lo, v1
	; wave barrier
	ds_read_b32 v48, v52 offset:32
	v_and_b32_e32 v3, v50, v2
	v_and_b32_e32 v2, v51, v1
	v_mbcnt_lo_u32_b32 v1, v2, 0
	v_mbcnt_hi_u32_b32 v50, v3, v1
	v_cmp_eq_u32_e32 vcc, 0, v50
	v_cmp_ne_u64_e64 s[0:1], 0, v[2:3]
	s_and_b64 s[4:5], s[0:1], vcc
	; wave barrier
	s_and_saveexec_b64 s[0:1], s[4:5]
	s_cbranch_execz .LBB915_140
; %bb.139:
	v_bcnt_u32_b32 v1, v2, 0
	v_bcnt_u32_b32 v1, v3, v1
	s_waitcnt lgkmcnt(0)
	v_add_u32_e32 v1, v48, v1
	ds_write_b32 v52, v1 offset:32
.LBB915_140:
	s_or_b64 exec, exec, s[0:1]
	s_waitcnt vmcnt(6)
	v_xor_b32_e32 v37, 0x80000000, v37
	v_lshrrev_b32_e32 v1, s52, v37
	v_and_b32_e32 v2, s16, v1
	v_lshl_add_u32 v1, v2, 3, v2
	v_add_lshl_u32 v55, v15, v1, 2
	v_and_b32_e32 v1, 1, v2
	v_add_co_u32_e32 v3, vcc, -1, v1
	v_addc_co_u32_e64 v53, s[0:1], 0, -1, vcc
	v_cmp_ne_u32_e32 vcc, 0, v1
	v_xor_b32_e32 v1, vcc_hi, v53
	v_and_b32_e32 v53, exec_hi, v1
	v_lshlrev_b32_e32 v1, 30, v2
	v_xor_b32_e32 v3, vcc_lo, v3
	v_cmp_gt_i64_e32 vcc, 0, v[0:1]
	v_not_b32_e32 v1, v1
	v_ashrrev_i32_e32 v1, 31, v1
	v_and_b32_e32 v3, exec_lo, v3
	v_xor_b32_e32 v54, vcc_hi, v1
	v_xor_b32_e32 v1, vcc_lo, v1
	v_and_b32_e32 v3, v3, v1
	v_lshlrev_b32_e32 v1, 29, v2
	v_cmp_gt_i64_e32 vcc, 0, v[0:1]
	v_not_b32_e32 v1, v1
	v_ashrrev_i32_e32 v1, 31, v1
	v_and_b32_e32 v53, v53, v54
	v_xor_b32_e32 v54, vcc_hi, v1
	v_xor_b32_e32 v1, vcc_lo, v1
	v_and_b32_e32 v3, v3, v1
	v_lshlrev_b32_e32 v1, 28, v2
	v_cmp_gt_i64_e32 vcc, 0, v[0:1]
	v_not_b32_e32 v1, v1
	v_ashrrev_i32_e32 v1, 31, v1
	v_and_b32_e32 v53, v53, v54
	;; [unrolled: 8-line block ×5, first 2 shown]
	v_xor_b32_e32 v54, vcc_hi, v1
	v_xor_b32_e32 v1, vcc_lo, v1
	v_and_b32_e32 v3, v3, v1
	v_lshlrev_b32_e32 v1, 24, v2
	v_cmp_gt_i64_e32 vcc, 0, v[0:1]
	v_not_b32_e32 v0, v1
	v_ashrrev_i32_e32 v0, 31, v0
	v_xor_b32_e32 v1, vcc_hi, v0
	v_xor_b32_e32 v0, vcc_lo, v0
	; wave barrier
	ds_read_b32 v51, v55 offset:32
	v_and_b32_e32 v53, v53, v54
	v_and_b32_e32 v0, v3, v0
	;; [unrolled: 1-line block ×3, first 2 shown]
	v_mbcnt_lo_u32_b32 v2, v0, 0
	v_mbcnt_hi_u32_b32 v53, v1, v2
	v_cmp_eq_u32_e32 vcc, 0, v53
	v_cmp_ne_u64_e64 s[0:1], 0, v[0:1]
	s_and_b64 s[4:5], s[0:1], vcc
	; wave barrier
	s_and_saveexec_b64 s[0:1], s[4:5]
	s_cbranch_execz .LBB915_142
; %bb.141:
	v_bcnt_u32_b32 v0, v0, 0
	v_bcnt_u32_b32 v0, v1, v0
	s_waitcnt lgkmcnt(0)
	v_add_u32_e32 v0, v51, v0
	ds_write_b32 v55, v0 offset:32
.LBB915_142:
	s_or_b64 exec, exec, s[0:1]
	s_waitcnt vmcnt(5)
	v_xor_b32_e32 v42, 0x80000000, v42
	v_lshrrev_b32_e32 v0, s52, v42
	v_and_b32_e32 v2, s16, v0
	v_and_b32_e32 v1, 1, v2
	v_add_co_u32_e32 v3, vcc, -1, v1
	v_addc_co_u32_e64 v56, s[0:1], 0, -1, vcc
	v_cmp_ne_u32_e32 vcc, 0, v1
	v_lshl_add_u32 v0, v2, 3, v2
	v_xor_b32_e32 v1, vcc_hi, v56
	v_add_lshl_u32 v58, v15, v0, 2
	v_mov_b32_e32 v0, 0
	v_and_b32_e32 v56, exec_hi, v1
	v_lshlrev_b32_e32 v1, 30, v2
	v_xor_b32_e32 v3, vcc_lo, v3
	v_cmp_gt_i64_e32 vcc, 0, v[0:1]
	v_not_b32_e32 v1, v1
	v_ashrrev_i32_e32 v1, 31, v1
	v_and_b32_e32 v3, exec_lo, v3
	v_xor_b32_e32 v57, vcc_hi, v1
	v_xor_b32_e32 v1, vcc_lo, v1
	v_and_b32_e32 v3, v3, v1
	v_lshlrev_b32_e32 v1, 29, v2
	v_cmp_gt_i64_e32 vcc, 0, v[0:1]
	v_not_b32_e32 v1, v1
	v_ashrrev_i32_e32 v1, 31, v1
	v_and_b32_e32 v56, v56, v57
	v_xor_b32_e32 v57, vcc_hi, v1
	v_xor_b32_e32 v1, vcc_lo, v1
	v_and_b32_e32 v3, v3, v1
	v_lshlrev_b32_e32 v1, 28, v2
	v_cmp_gt_i64_e32 vcc, 0, v[0:1]
	v_not_b32_e32 v1, v1
	v_ashrrev_i32_e32 v1, 31, v1
	v_and_b32_e32 v56, v56, v57
	;; [unrolled: 8-line block ×5, first 2 shown]
	v_xor_b32_e32 v57, vcc_hi, v1
	v_xor_b32_e32 v1, vcc_lo, v1
	v_and_b32_e32 v56, v56, v57
	v_and_b32_e32 v57, v3, v1
	v_lshlrev_b32_e32 v1, 24, v2
	v_cmp_gt_i64_e32 vcc, 0, v[0:1]
	v_not_b32_e32 v1, v1
	v_ashrrev_i32_e32 v1, 31, v1
	v_xor_b32_e32 v2, vcc_hi, v1
	v_xor_b32_e32 v1, vcc_lo, v1
	; wave barrier
	ds_read_b32 v54, v58 offset:32
	v_and_b32_e32 v3, v56, v2
	v_and_b32_e32 v2, v57, v1
	v_mbcnt_lo_u32_b32 v1, v2, 0
	v_mbcnt_hi_u32_b32 v56, v3, v1
	v_cmp_eq_u32_e32 vcc, 0, v56
	v_cmp_ne_u64_e64 s[0:1], 0, v[2:3]
	s_and_b64 s[4:5], s[0:1], vcc
	; wave barrier
	s_and_saveexec_b64 s[0:1], s[4:5]
	s_cbranch_execz .LBB915_144
; %bb.143:
	v_bcnt_u32_b32 v1, v2, 0
	v_bcnt_u32_b32 v1, v3, v1
	s_waitcnt lgkmcnt(0)
	v_add_u32_e32 v1, v54, v1
	ds_write_b32 v58, v1 offset:32
.LBB915_144:
	s_or_b64 exec, exec, s[0:1]
	s_waitcnt vmcnt(4)
	v_xor_b32_e32 v45, 0x80000000, v45
	v_lshrrev_b32_e32 v1, s52, v45
	v_and_b32_e32 v2, s16, v1
	v_lshl_add_u32 v1, v2, 3, v2
	v_add_lshl_u32 v62, v15, v1, 2
	v_and_b32_e32 v1, 1, v2
	v_add_co_u32_e32 v3, vcc, -1, v1
	v_addc_co_u32_e64 v59, s[0:1], 0, -1, vcc
	v_cmp_ne_u32_e32 vcc, 0, v1
	v_xor_b32_e32 v1, vcc_hi, v59
	v_and_b32_e32 v59, exec_hi, v1
	v_lshlrev_b32_e32 v1, 30, v2
	v_xor_b32_e32 v3, vcc_lo, v3
	v_cmp_gt_i64_e32 vcc, 0, v[0:1]
	v_not_b32_e32 v1, v1
	v_ashrrev_i32_e32 v1, 31, v1
	v_and_b32_e32 v3, exec_lo, v3
	v_xor_b32_e32 v60, vcc_hi, v1
	v_xor_b32_e32 v1, vcc_lo, v1
	v_and_b32_e32 v3, v3, v1
	v_lshlrev_b32_e32 v1, 29, v2
	v_cmp_gt_i64_e32 vcc, 0, v[0:1]
	v_not_b32_e32 v1, v1
	v_ashrrev_i32_e32 v1, 31, v1
	v_and_b32_e32 v59, v59, v60
	v_xor_b32_e32 v60, vcc_hi, v1
	v_xor_b32_e32 v1, vcc_lo, v1
	v_and_b32_e32 v3, v3, v1
	v_lshlrev_b32_e32 v1, 28, v2
	v_cmp_gt_i64_e32 vcc, 0, v[0:1]
	v_not_b32_e32 v1, v1
	v_ashrrev_i32_e32 v1, 31, v1
	v_and_b32_e32 v59, v59, v60
	v_xor_b32_e32 v60, vcc_hi, v1
	v_xor_b32_e32 v1, vcc_lo, v1
	v_and_b32_e32 v3, v3, v1
	v_lshlrev_b32_e32 v1, 27, v2
	v_cmp_gt_i64_e32 vcc, 0, v[0:1]
	v_not_b32_e32 v1, v1
	v_ashrrev_i32_e32 v1, 31, v1
	v_and_b32_e32 v59, v59, v60
	v_xor_b32_e32 v60, vcc_hi, v1
	v_xor_b32_e32 v1, vcc_lo, v1
	v_and_b32_e32 v3, v3, v1
	v_lshlrev_b32_e32 v1, 26, v2
	v_cmp_gt_i64_e32 vcc, 0, v[0:1]
	v_not_b32_e32 v1, v1
	v_ashrrev_i32_e32 v1, 31, v1
	v_and_b32_e32 v59, v59, v60
	v_xor_b32_e32 v60, vcc_hi, v1
	v_xor_b32_e32 v1, vcc_lo, v1
	v_and_b32_e32 v3, v3, v1
	v_lshlrev_b32_e32 v1, 25, v2
	v_cmp_gt_i64_e32 vcc, 0, v[0:1]
	v_not_b32_e32 v1, v1
	v_ashrrev_i32_e32 v1, 31, v1
	v_and_b32_e32 v59, v59, v60
	v_xor_b32_e32 v60, vcc_hi, v1
	v_xor_b32_e32 v1, vcc_lo, v1
	v_and_b32_e32 v3, v3, v1
	v_lshlrev_b32_e32 v1, 24, v2
	v_cmp_gt_i64_e32 vcc, 0, v[0:1]
	v_not_b32_e32 v0, v1
	v_ashrrev_i32_e32 v0, 31, v0
	v_xor_b32_e32 v1, vcc_hi, v0
	v_xor_b32_e32 v0, vcc_lo, v0
	; wave barrier
	ds_read_b32 v57, v62 offset:32
	v_and_b32_e32 v59, v59, v60
	v_and_b32_e32 v0, v3, v0
	;; [unrolled: 1-line block ×3, first 2 shown]
	v_mbcnt_lo_u32_b32 v2, v0, 0
	v_mbcnt_hi_u32_b32 v60, v1, v2
	v_cmp_eq_u32_e32 vcc, 0, v60
	v_cmp_ne_u64_e64 s[0:1], 0, v[0:1]
	s_and_b64 s[4:5], s[0:1], vcc
	; wave barrier
	s_and_saveexec_b64 s[0:1], s[4:5]
	s_cbranch_execz .LBB915_146
; %bb.145:
	v_bcnt_u32_b32 v0, v0, 0
	v_bcnt_u32_b32 v0, v1, v0
	s_waitcnt lgkmcnt(0)
	v_add_u32_e32 v0, v57, v0
	ds_write_b32 v62, v0 offset:32
.LBB915_146:
	s_or_b64 exec, exec, s[0:1]
	s_waitcnt vmcnt(3)
	v_xor_b32_e32 v40, 0x80000000, v40
	v_lshrrev_b32_e32 v0, s52, v40
	v_and_b32_e32 v2, s16, v0
	v_and_b32_e32 v1, 1, v2
	v_add_co_u32_e32 v3, vcc, -1, v1
	v_addc_co_u32_e64 v59, s[0:1], 0, -1, vcc
	v_cmp_ne_u32_e32 vcc, 0, v1
	v_lshl_add_u32 v0, v2, 3, v2
	v_xor_b32_e32 v1, vcc_hi, v59
	v_add_lshl_u32 v64, v15, v0, 2
	v_mov_b32_e32 v0, 0
	v_and_b32_e32 v59, exec_hi, v1
	v_lshlrev_b32_e32 v1, 30, v2
	v_xor_b32_e32 v3, vcc_lo, v3
	v_cmp_gt_i64_e32 vcc, 0, v[0:1]
	v_not_b32_e32 v1, v1
	v_ashrrev_i32_e32 v1, 31, v1
	v_and_b32_e32 v3, exec_lo, v3
	v_xor_b32_e32 v63, vcc_hi, v1
	v_xor_b32_e32 v1, vcc_lo, v1
	v_and_b32_e32 v3, v3, v1
	v_lshlrev_b32_e32 v1, 29, v2
	v_cmp_gt_i64_e32 vcc, 0, v[0:1]
	v_not_b32_e32 v1, v1
	v_ashrrev_i32_e32 v1, 31, v1
	v_and_b32_e32 v59, v59, v63
	v_xor_b32_e32 v63, vcc_hi, v1
	v_xor_b32_e32 v1, vcc_lo, v1
	v_and_b32_e32 v3, v3, v1
	v_lshlrev_b32_e32 v1, 28, v2
	v_cmp_gt_i64_e32 vcc, 0, v[0:1]
	v_not_b32_e32 v1, v1
	v_ashrrev_i32_e32 v1, 31, v1
	v_and_b32_e32 v59, v59, v63
	;; [unrolled: 8-line block ×5, first 2 shown]
	v_xor_b32_e32 v63, vcc_hi, v1
	v_xor_b32_e32 v1, vcc_lo, v1
	v_and_b32_e32 v59, v59, v63
	v_and_b32_e32 v63, v3, v1
	v_lshlrev_b32_e32 v1, 24, v2
	v_cmp_gt_i64_e32 vcc, 0, v[0:1]
	v_not_b32_e32 v1, v1
	v_ashrrev_i32_e32 v1, 31, v1
	v_xor_b32_e32 v2, vcc_hi, v1
	v_xor_b32_e32 v1, vcc_lo, v1
	; wave barrier
	ds_read_b32 v61, v64 offset:32
	v_and_b32_e32 v3, v59, v2
	v_and_b32_e32 v2, v63, v1
	v_mbcnt_lo_u32_b32 v1, v2, 0
	v_mbcnt_hi_u32_b32 v63, v3, v1
	v_cmp_eq_u32_e32 vcc, 0, v63
	v_cmp_ne_u64_e64 s[0:1], 0, v[2:3]
	s_and_b64 s[4:5], s[0:1], vcc
	; wave barrier
	s_and_saveexec_b64 s[0:1], s[4:5]
	s_cbranch_execz .LBB915_148
; %bb.147:
	v_bcnt_u32_b32 v1, v2, 0
	v_bcnt_u32_b32 v1, v3, v1
	s_waitcnt lgkmcnt(0)
	v_add_u32_e32 v1, v61, v1
	ds_write_b32 v64, v1 offset:32
.LBB915_148:
	s_or_b64 exec, exec, s[0:1]
	s_waitcnt vmcnt(2)
	v_xor_b32_e32 v35, 0x80000000, v35
	v_lshrrev_b32_e32 v1, s52, v35
	v_and_b32_e32 v2, s16, v1
	v_lshl_add_u32 v1, v2, 3, v2
	v_add_lshl_u32 v68, v15, v1, 2
	v_and_b32_e32 v1, 1, v2
	v_add_co_u32_e32 v3, vcc, -1, v1
	v_addc_co_u32_e64 v59, s[0:1], 0, -1, vcc
	v_cmp_ne_u32_e32 vcc, 0, v1
	v_xor_b32_e32 v1, vcc_hi, v59
	v_and_b32_e32 v59, exec_hi, v1
	v_lshlrev_b32_e32 v1, 30, v2
	v_xor_b32_e32 v3, vcc_lo, v3
	v_cmp_gt_i64_e32 vcc, 0, v[0:1]
	v_not_b32_e32 v1, v1
	v_ashrrev_i32_e32 v1, 31, v1
	v_and_b32_e32 v3, exec_lo, v3
	v_xor_b32_e32 v66, vcc_hi, v1
	v_xor_b32_e32 v1, vcc_lo, v1
	v_and_b32_e32 v3, v3, v1
	v_lshlrev_b32_e32 v1, 29, v2
	v_cmp_gt_i64_e32 vcc, 0, v[0:1]
	v_not_b32_e32 v1, v1
	v_ashrrev_i32_e32 v1, 31, v1
	v_and_b32_e32 v59, v59, v66
	v_xor_b32_e32 v66, vcc_hi, v1
	v_xor_b32_e32 v1, vcc_lo, v1
	v_and_b32_e32 v3, v3, v1
	v_lshlrev_b32_e32 v1, 28, v2
	v_cmp_gt_i64_e32 vcc, 0, v[0:1]
	v_not_b32_e32 v1, v1
	v_ashrrev_i32_e32 v1, 31, v1
	v_and_b32_e32 v59, v59, v66
	;; [unrolled: 8-line block ×5, first 2 shown]
	v_xor_b32_e32 v66, vcc_hi, v1
	v_xor_b32_e32 v1, vcc_lo, v1
	v_and_b32_e32 v3, v3, v1
	v_lshlrev_b32_e32 v1, 24, v2
	v_cmp_gt_i64_e32 vcc, 0, v[0:1]
	v_not_b32_e32 v0, v1
	v_ashrrev_i32_e32 v0, 31, v0
	v_xor_b32_e32 v1, vcc_hi, v0
	v_xor_b32_e32 v0, vcc_lo, v0
	; wave barrier
	ds_read_b32 v65, v68 offset:32
	v_and_b32_e32 v59, v59, v66
	v_and_b32_e32 v0, v3, v0
	;; [unrolled: 1-line block ×3, first 2 shown]
	v_mbcnt_lo_u32_b32 v2, v0, 0
	v_mbcnt_hi_u32_b32 v66, v1, v2
	v_cmp_eq_u32_e32 vcc, 0, v66
	v_cmp_ne_u64_e64 s[0:1], 0, v[0:1]
	s_and_b64 s[4:5], s[0:1], vcc
	; wave barrier
	s_and_saveexec_b64 s[0:1], s[4:5]
	s_cbranch_execz .LBB915_150
; %bb.149:
	v_bcnt_u32_b32 v0, v0, 0
	v_bcnt_u32_b32 v0, v1, v0
	s_waitcnt lgkmcnt(0)
	v_add_u32_e32 v0, v65, v0
	ds_write_b32 v68, v0 offset:32
.LBB915_150:
	s_or_b64 exec, exec, s[0:1]
	s_waitcnt vmcnt(1)
	v_xor_b32_e32 v30, 0x80000000, v30
	v_lshrrev_b32_e32 v0, s52, v30
	v_and_b32_e32 v2, s16, v0
	v_and_b32_e32 v1, 1, v2
	v_add_co_u32_e32 v3, vcc, -1, v1
	v_addc_co_u32_e64 v59, s[0:1], 0, -1, vcc
	v_cmp_ne_u32_e32 vcc, 0, v1
	v_lshl_add_u32 v0, v2, 3, v2
	v_xor_b32_e32 v1, vcc_hi, v59
	v_add_lshl_u32 v70, v15, v0, 2
	v_mov_b32_e32 v0, 0
	v_and_b32_e32 v59, exec_hi, v1
	v_lshlrev_b32_e32 v1, 30, v2
	v_xor_b32_e32 v3, vcc_lo, v3
	v_cmp_gt_i64_e32 vcc, 0, v[0:1]
	v_not_b32_e32 v1, v1
	v_ashrrev_i32_e32 v1, 31, v1
	v_and_b32_e32 v3, exec_lo, v3
	v_xor_b32_e32 v69, vcc_hi, v1
	v_xor_b32_e32 v1, vcc_lo, v1
	v_and_b32_e32 v3, v3, v1
	v_lshlrev_b32_e32 v1, 29, v2
	v_cmp_gt_i64_e32 vcc, 0, v[0:1]
	v_not_b32_e32 v1, v1
	v_ashrrev_i32_e32 v1, 31, v1
	v_and_b32_e32 v59, v59, v69
	v_xor_b32_e32 v69, vcc_hi, v1
	v_xor_b32_e32 v1, vcc_lo, v1
	v_and_b32_e32 v3, v3, v1
	v_lshlrev_b32_e32 v1, 28, v2
	v_cmp_gt_i64_e32 vcc, 0, v[0:1]
	v_not_b32_e32 v1, v1
	v_ashrrev_i32_e32 v1, 31, v1
	v_and_b32_e32 v59, v59, v69
	;; [unrolled: 8-line block ×5, first 2 shown]
	v_xor_b32_e32 v69, vcc_hi, v1
	v_xor_b32_e32 v1, vcc_lo, v1
	v_and_b32_e32 v59, v59, v69
	v_and_b32_e32 v69, v3, v1
	v_lshlrev_b32_e32 v1, 24, v2
	v_cmp_gt_i64_e32 vcc, 0, v[0:1]
	v_not_b32_e32 v1, v1
	v_ashrrev_i32_e32 v1, 31, v1
	v_xor_b32_e32 v2, vcc_hi, v1
	v_xor_b32_e32 v1, vcc_lo, v1
	; wave barrier
	ds_read_b32 v67, v70 offset:32
	v_and_b32_e32 v3, v59, v2
	v_and_b32_e32 v2, v69, v1
	v_mbcnt_lo_u32_b32 v1, v2, 0
	v_mbcnt_hi_u32_b32 v69, v3, v1
	v_cmp_eq_u32_e32 vcc, 0, v69
	v_cmp_ne_u64_e64 s[0:1], 0, v[2:3]
	s_and_b64 s[4:5], s[0:1], vcc
	; wave barrier
	s_and_saveexec_b64 s[0:1], s[4:5]
	s_cbranch_execz .LBB915_152
; %bb.151:
	v_bcnt_u32_b32 v1, v2, 0
	v_bcnt_u32_b32 v1, v3, v1
	s_waitcnt lgkmcnt(0)
	v_add_u32_e32 v1, v67, v1
	ds_write_b32 v70, v1 offset:32
.LBB915_152:
	s_or_b64 exec, exec, s[0:1]
	s_waitcnt vmcnt(0)
	v_xor_b32_e32 v59, 0x80000000, v14
	v_lshrrev_b32_e32 v1, s52, v59
	v_and_b32_e32 v2, s16, v1
	v_lshl_add_u32 v1, v2, 3, v2
	v_add_lshl_u32 v72, v15, v1, 2
	v_and_b32_e32 v1, 1, v2
	v_add_co_u32_e32 v3, vcc, -1, v1
	v_addc_co_u32_e64 v15, s[0:1], 0, -1, vcc
	v_cmp_ne_u32_e32 vcc, 0, v1
	v_xor_b32_e32 v1, vcc_hi, v15
	v_and_b32_e32 v15, exec_hi, v1
	v_lshlrev_b32_e32 v1, 30, v2
	v_xor_b32_e32 v3, vcc_lo, v3
	v_cmp_gt_i64_e32 vcc, 0, v[0:1]
	v_not_b32_e32 v1, v1
	v_ashrrev_i32_e32 v1, 31, v1
	v_and_b32_e32 v3, exec_lo, v3
	v_xor_b32_e32 v71, vcc_hi, v1
	v_xor_b32_e32 v1, vcc_lo, v1
	v_and_b32_e32 v3, v3, v1
	v_lshlrev_b32_e32 v1, 29, v2
	v_cmp_gt_i64_e32 vcc, 0, v[0:1]
	v_not_b32_e32 v1, v1
	v_ashrrev_i32_e32 v1, 31, v1
	v_and_b32_e32 v15, v15, v71
	v_xor_b32_e32 v71, vcc_hi, v1
	v_xor_b32_e32 v1, vcc_lo, v1
	v_and_b32_e32 v3, v3, v1
	v_lshlrev_b32_e32 v1, 28, v2
	v_cmp_gt_i64_e32 vcc, 0, v[0:1]
	v_not_b32_e32 v1, v1
	v_ashrrev_i32_e32 v1, 31, v1
	v_and_b32_e32 v15, v15, v71
	;; [unrolled: 8-line block ×5, first 2 shown]
	v_xor_b32_e32 v71, vcc_hi, v1
	v_xor_b32_e32 v1, vcc_lo, v1
	v_and_b32_e32 v3, v3, v1
	v_lshlrev_b32_e32 v1, 24, v2
	v_cmp_gt_i64_e32 vcc, 0, v[0:1]
	v_not_b32_e32 v0, v1
	v_ashrrev_i32_e32 v0, 31, v0
	v_xor_b32_e32 v1, vcc_hi, v0
	v_xor_b32_e32 v0, vcc_lo, v0
	; wave barrier
	ds_read_b32 v14, v72 offset:32
	v_and_b32_e32 v15, v15, v71
	v_and_b32_e32 v0, v3, v0
	;; [unrolled: 1-line block ×3, first 2 shown]
	v_mbcnt_lo_u32_b32 v2, v0, 0
	v_mbcnt_hi_u32_b32 v15, v1, v2
	v_cmp_eq_u32_e32 vcc, 0, v15
	v_cmp_ne_u64_e64 s[0:1], 0, v[0:1]
	v_add_u32_e32 v73, 32, v5
	s_and_b64 s[4:5], s[0:1], vcc
	; wave barrier
	s_and_saveexec_b64 s[0:1], s[4:5]
	s_cbranch_execz .LBB915_154
; %bb.153:
	v_bcnt_u32_b32 v0, v0, 0
	v_bcnt_u32_b32 v0, v1, v0
	s_waitcnt lgkmcnt(0)
	v_add_u32_e32 v0, v14, v0
	ds_write_b32 v72, v0 offset:32
.LBB915_154:
	s_or_b64 exec, exec, s[0:1]
	; wave barrier
	s_waitcnt lgkmcnt(0)
	s_barrier
	ds_read2_b32 v[2:3], v5 offset0:8 offset1:9
	ds_read2_b32 v[0:1], v73 offset0:2 offset1:3
	ds_read_b32 v71, v73 offset:16
	s_waitcnt lgkmcnt(1)
	v_add3_u32 v74, v3, v2, v0
	s_waitcnt lgkmcnt(0)
	v_add3_u32 v71, v74, v1, v71
	v_and_b32_e32 v74, 15, v4
	v_cmp_ne_u32_e32 vcc, 0, v74
	v_mov_b32_dpp v75, v71 row_shr:1 row_mask:0xf bank_mask:0xf
	v_cndmask_b32_e32 v75, 0, v75, vcc
	v_add_u32_e32 v71, v75, v71
	v_cmp_lt_u32_e32 vcc, 1, v74
	s_nop 0
	v_mov_b32_dpp v75, v71 row_shr:2 row_mask:0xf bank_mask:0xf
	v_cndmask_b32_e32 v75, 0, v75, vcc
	v_add_u32_e32 v71, v71, v75
	v_cmp_lt_u32_e32 vcc, 3, v74
	s_nop 0
	;; [unrolled: 5-line block ×3, first 2 shown]
	v_mov_b32_dpp v75, v71 row_shr:8 row_mask:0xf bank_mask:0xf
	v_cndmask_b32_e32 v74, 0, v75, vcc
	v_add_u32_e32 v71, v71, v74
	v_bfe_i32 v75, v4, 4, 1
	v_cmp_lt_u32_e32 vcc, 31, v4
	v_mov_b32_dpp v74, v71 row_bcast:15 row_mask:0xf bank_mask:0xf
	v_and_b32_e32 v74, v75, v74
	v_add_u32_e32 v71, v71, v74
	v_lshrrev_b32_e32 v75, 6, v18
	s_nop 0
	v_mov_b32_dpp v74, v71 row_bcast:31 row_mask:0xf bank_mask:0xf
	v_cndmask_b32_e32 v74, 0, v74, vcc
	v_add_u32_e32 v74, v71, v74
	v_and_b32_e32 v71, 0x3c0, v18
	v_min_u32_e32 v71, 0x1c0, v71
	v_or_b32_e32 v71, 63, v71
	v_cmp_eq_u32_e32 vcc, v71, v18
	s_and_saveexec_b64 s[0:1], vcc
	s_cbranch_execz .LBB915_156
; %bb.155:
	v_lshlrev_b32_e32 v71, 2, v75
	ds_write_b32 v71, v74
.LBB915_156:
	s_or_b64 exec, exec, s[0:1]
	v_cmp_gt_u32_e32 vcc, 8, v18
	v_lshlrev_b32_e32 v71, 2, v18
	s_waitcnt lgkmcnt(0)
	s_barrier
	s_and_saveexec_b64 s[0:1], vcc
	s_cbranch_execz .LBB915_158
; %bb.157:
	ds_read_b32 v76, v71
	v_and_b32_e32 v77, 7, v4
	v_cmp_ne_u32_e32 vcc, 0, v77
	s_waitcnt lgkmcnt(0)
	v_mov_b32_dpp v78, v76 row_shr:1 row_mask:0xf bank_mask:0xf
	v_cndmask_b32_e32 v78, 0, v78, vcc
	v_add_u32_e32 v76, v78, v76
	v_cmp_lt_u32_e32 vcc, 1, v77
	s_nop 0
	v_mov_b32_dpp v78, v76 row_shr:2 row_mask:0xf bank_mask:0xf
	v_cndmask_b32_e32 v78, 0, v78, vcc
	v_add_u32_e32 v76, v76, v78
	v_cmp_lt_u32_e32 vcc, 3, v77
	s_nop 0
	v_mov_b32_dpp v78, v76 row_shr:4 row_mask:0xf bank_mask:0xf
	v_cndmask_b32_e32 v77, 0, v78, vcc
	v_add_u32_e32 v76, v76, v77
	ds_write_b32 v71, v76
.LBB915_158:
	s_or_b64 exec, exec, s[0:1]
	v_cmp_lt_u32_e32 vcc, 63, v18
	v_mov_b32_e32 v76, 0
	s_waitcnt lgkmcnt(0)
	s_barrier
	s_and_saveexec_b64 s[0:1], vcc
	s_cbranch_execz .LBB915_160
; %bb.159:
	v_lshl_add_u32 v75, v75, 2, -4
	ds_read_b32 v76, v75
.LBB915_160:
	s_or_b64 exec, exec, s[0:1]
	v_add_u32_e32 v75, -1, v4
	v_and_b32_e32 v77, 64, v4
	v_cmp_lt_i32_e32 vcc, v75, v77
	v_cndmask_b32_e32 v75, v75, v4, vcc
	s_waitcnt lgkmcnt(0)
	v_add_u32_e32 v74, v76, v74
	v_lshlrev_b32_e32 v75, 2, v75
	ds_bpermute_b32 v74, v75, v74
	v_cmp_eq_u32_e32 vcc, 0, v4
	s_movk_i32 s0, 0x100
	s_waitcnt lgkmcnt(0)
	v_cndmask_b32_e32 v4, v74, v76, vcc
	v_cmp_ne_u32_e32 vcc, 0, v18
	v_cndmask_b32_e32 v4, 0, v4, vcc
	v_add_u32_e32 v2, v4, v2
	v_add_u32_e32 v3, v2, v3
	;; [unrolled: 1-line block ×4, first 2 shown]
	ds_write2_b32 v5, v4, v2 offset0:8 offset1:9
	ds_write2_b32 v73, v3, v0 offset0:2 offset1:3
	ds_write_b32 v73, v1 offset:16
	s_waitcnt lgkmcnt(0)
	s_barrier
	ds_read_b32 v74, v9 offset:32
	ds_read_b32 v9, v11 offset:32
	ds_read_b32 v11, v16 offset:32
	ds_read_b32 v16, v31 offset:32
	ds_read_b32 v36, v36 offset:32
	ds_read_b32 v41, v41 offset:32
	ds_read_b32 v46, v46 offset:32
	ds_read_b32 v49, v49 offset:32
	ds_read_b32 v73, v52 offset:32
	ds_read_b32 v75, v55 offset:32
	ds_read_b32 v76, v58 offset:32
	ds_read_b32 v77, v62 offset:32
	ds_read_b32 v78, v64 offset:32
	ds_read_b32 v68, v68 offset:32
	ds_read_b32 v64, v70 offset:32
	ds_read_b32 v62, v72 offset:32
	v_cmp_gt_u32_e32 vcc, s0, v18
                                        ; implicit-def: $vgpr52
                                        ; implicit-def: $vgpr55
	s_and_saveexec_b64 s[4:5], vcc
	s_cbranch_execz .LBB915_164
; %bb.161:
	v_mul_u32_u24_e32 v0, 9, v18
	v_lshlrev_b32_e32 v1, 2, v0
	ds_read_b32 v52, v1 offset:32
	s_movk_i32 s0, 0xff
	v_cmp_ne_u32_e64 s[0:1], s0, v18
	v_mov_b32_e32 v0, 0x2000
	s_and_saveexec_b64 s[10:11], s[0:1]
	s_cbranch_execz .LBB915_163
; %bb.162:
	ds_read_b32 v0, v1 offset:68
.LBB915_163:
	s_or_b64 exec, exec, s[10:11]
	s_waitcnt lgkmcnt(0)
	v_sub_u32_e32 v55, v0, v52
.LBB915_164:
	s_or_b64 exec, exec, s[4:5]
	s_waitcnt lgkmcnt(0)
	s_barrier
	s_and_saveexec_b64 s[4:5], vcc
	s_cbranch_execz .LBB915_174
; %bb.165:
	v_lshl_or_b32 v0, s6, 8, v18
	v_mov_b32_e32 v1, 0
	v_lshlrev_b64 v[2:3], 2, v[0:1]
	v_mov_b32_e32 v31, s57
	v_add_co_u32_e64 v2, s[0:1], s56, v2
	v_addc_co_u32_e64 v3, s[0:1], v31, v3, s[0:1]
	v_or_b32_e32 v0, 2.0, v55
	s_mov_b64 s[10:11], 0
	s_brev_b32 s17, 1
	s_mov_b32 s18, s6
	v_mov_b32_e32 v58, 0
	global_store_dword v[2:3], v0, off
                                        ; implicit-def: $sgpr0_sgpr1
	s_branch .LBB915_168
.LBB915_166:                            ;   in Loop: Header=BB915_168 Depth=1
	s_or_b64 exec, exec, s[14:15]
.LBB915_167:                            ;   in Loop: Header=BB915_168 Depth=1
	s_or_b64 exec, exec, s[12:13]
	v_and_b32_e32 v4, 0x3fffffff, v70
	v_add_u32_e32 v58, v4, v58
	v_cmp_eq_u32_e64 s[0:1], s17, v0
	s_and_b64 s[12:13], exec, s[0:1]
	s_or_b64 s[10:11], s[12:13], s[10:11]
	s_andn2_b64 exec, exec, s[10:11]
	s_cbranch_execz .LBB915_173
.LBB915_168:                            ; =>This Loop Header: Depth=1
                                        ;     Child Loop BB915_171 Depth 2
	s_or_b64 s[0:1], s[0:1], exec
	s_cmp_eq_u32 s18, 0
	s_cbranch_scc1 .LBB915_172
; %bb.169:                              ;   in Loop: Header=BB915_168 Depth=1
	s_add_i32 s18, s18, -1
	v_lshl_or_b32 v0, s18, 8, v18
	v_lshlrev_b64 v[4:5], 2, v[0:1]
	v_add_co_u32_e64 v4, s[0:1], s56, v4
	v_addc_co_u32_e64 v5, s[0:1], v31, v5, s[0:1]
	global_load_dword v70, v[4:5], off glc
	s_waitcnt vmcnt(0)
	v_and_b32_e32 v0, -2.0, v70
	v_cmp_eq_u32_e64 s[0:1], 0, v0
	s_and_saveexec_b64 s[12:13], s[0:1]
	s_cbranch_execz .LBB915_167
; %bb.170:                              ;   in Loop: Header=BB915_168 Depth=1
	s_mov_b64 s[14:15], 0
.LBB915_171:                            ;   Parent Loop BB915_168 Depth=1
                                        ; =>  This Inner Loop Header: Depth=2
	global_load_dword v70, v[4:5], off glc
	s_waitcnt vmcnt(0)
	v_and_b32_e32 v0, -2.0, v70
	v_cmp_ne_u32_e64 s[0:1], 0, v0
	s_or_b64 s[14:15], s[0:1], s[14:15]
	s_andn2_b64 exec, exec, s[14:15]
	s_cbranch_execnz .LBB915_171
	s_branch .LBB915_166
.LBB915_172:                            ;   in Loop: Header=BB915_168 Depth=1
                                        ; implicit-def: $sgpr18
	s_and_b64 s[12:13], exec, s[0:1]
	s_or_b64 s[10:11], s[12:13], s[10:11]
	s_andn2_b64 exec, exec, s[10:11]
	s_cbranch_execnz .LBB915_168
.LBB915_173:
	s_or_b64 exec, exec, s[10:11]
	v_add_u32_e32 v0, v58, v55
	v_or_b32_e32 v0, 0x80000000, v0
	global_store_dword v[2:3], v0, off
	global_load_dword v0, v71, s[48:49]
	v_sub_u32_e32 v1, v58, v52
	s_waitcnt vmcnt(0)
	v_add_u32_e32 v0, v1, v0
	ds_write_b32 v71, v0
.LBB915_174:
	s_or_b64 exec, exec, s[4:5]
	v_add_u32_e32 v58, v74, v6
	s_movk_i32 s4, 0x400
	v_add_u32_e32 v31, 0x400, v71
	v_add3_u32 v62, v15, v62, v14
	v_add3_u32 v64, v69, v64, v67
	;; [unrolled: 1-line block ×15, first 2 shown]
	s_mov_b32 s5, 0
	s_mov_b32 s10, 3
	s_movk_i32 s11, 0x200
	s_movk_i32 s12, 0x600
	v_mov_b32_e32 v17, 0
	v_mov_b32_e32 v29, s43
	s_mov_b32 s13, 0
                                        ; implicit-def: $vgpr0
.LBB915_175:                            ; =>This Inner Loop Header: Depth=1
	v_add_u32_e32 v16, s5, v58
	v_add_u32_e32 v33, s5, v70
	v_add_u32_e32 v34, s5, v69
	v_add_u32_e32 v36, s5, v68
	v_add_u32_e32 v38, s5, v67
	v_add_u32_e32 v39, s5, v66
	v_add_u32_e32 v41, s5, v63
	v_add_u32_e32 v43, s5, v60
	v_add_u32_e32 v44, s5, v56
	v_add_u32_e32 v46, s5, v53
	v_add_u32_e32 v47, s5, v54
	v_add_u32_e32 v48, s5, v57
	v_add_u32_e32 v49, s5, v61
	v_add_u32_e32 v50, s5, v65
	v_add_u32_e32 v51, s5, v64
	v_add_u32_e32 v72, s5, v62
	v_min_u32_e32 v16, 0x800, v16
	v_min_u32_e32 v33, 0x800, v33
	;; [unrolled: 1-line block ×16, first 2 shown]
	v_lshlrev_b32_e32 v16, 2, v16
	v_lshlrev_b32_e32 v33, 2, v33
	;; [unrolled: 1-line block ×16, first 2 shown]
	ds_write_b32 v16, v21 offset:1024
	ds_write_b32 v33, v22 offset:1024
	;; [unrolled: 1-line block ×16, first 2 shown]
	s_waitcnt lgkmcnt(0)
	s_barrier
	ds_read_b32 v16, v71 offset:1024
	v_add_u32_e32 v73, s13, v18
	s_add_i32 s14, s10, -3
	s_add_i32 s15, s10, -2
	;; [unrolled: 1-line block ×3, first 2 shown]
	s_waitcnt lgkmcnt(0)
	v_lshrrev_b32_e32 v33, s52, v16
	v_and_b32_e32 v33, s16, v33
	v_xor_b32_e32 v34, 0x80000000, v16
	v_lshlrev_b32_e32 v16, 2, v33
	ds_read_b32 v16, v16
	s_addk_i32 s13, 0x800
	s_addk_i32 s5, 0xf800
	s_waitcnt lgkmcnt(0)
	v_add_u32_e32 v16, v73, v16
	v_lshlrev_b64 v[38:39], 2, v[16:17]
	v_add_co_u32_e64 v38, s[0:1], s42, v38
	v_addc_co_u32_e64 v39, s[0:1], v29, v39, s[0:1]
	global_store_dword v[38:39], v34, off
	s_set_gpr_idx_on s14, gpr_idx(DST)
	v_mov_b32_e32 v0, v33
	s_set_gpr_idx_off
	ds_read_b32 v16, v31 offset:2048
	s_waitcnt lgkmcnt(0)
	v_lshrrev_b32_e32 v33, s52, v16
	v_and_b32_e32 v33, s16, v33
	v_xor_b32_e32 v34, 0x80000000, v16
	v_lshlrev_b32_e32 v16, 2, v33
	ds_read_b32 v16, v16
	s_waitcnt lgkmcnt(0)
	v_add3_u32 v16, v73, v16, s11
	v_lshlrev_b64 v[38:39], 2, v[16:17]
	v_add_co_u32_e64 v38, s[0:1], s42, v38
	v_addc_co_u32_e64 v39, s[0:1], v29, v39, s[0:1]
	global_store_dword v[38:39], v34, off
	s_set_gpr_idx_on s15, gpr_idx(DST)
	v_mov_b32_e32 v0, v33
	s_set_gpr_idx_off
	ds_read_b32 v16, v31 offset:4096
	s_waitcnt lgkmcnt(0)
	v_lshrrev_b32_e32 v33, s52, v16
	v_and_b32_e32 v33, s16, v33
	v_xor_b32_e32 v34, 0x80000000, v16
	v_lshlrev_b32_e32 v16, 2, v33
	ds_read_b32 v16, v16
	s_waitcnt lgkmcnt(0)
	v_add3_u32 v16, v73, v16, s4
	;; [unrolled: 16-line block ×3, first 2 shown]
	v_lshlrev_b64 v[38:39], 2, v[16:17]
	v_add_co_u32_e64 v38, s[0:1], s42, v38
	v_addc_co_u32_e64 v39, s[0:1], v29, v39, s[0:1]
	global_store_dword v[38:39], v34, off
	s_set_gpr_idx_on s10, gpr_idx(DST)
	v_mov_b32_e32 v0, v33
	s_set_gpr_idx_off
	s_add_i32 s10, s10, 4
	s_cmpk_lg_i32 s5, 0xe000
	s_barrier
	s_cbranch_scc1 .LBB915_175
; %bb.176:
	s_lshl_b64 s[0:1], s[8:9], 3
	s_add_u32 s0, s44, s0
	s_addc_u32 s1, s45, s1
	v_lshlrev_b32_e32 v16, 3, v20
	v_mov_b32_e32 v17, s1
	v_add_co_u32_e64 v16, s[0:1], s0, v16
	v_addc_co_u32_e64 v17, s[0:1], 0, v17, s[0:1]
	v_lshlrev_b32_e32 v19, 3, v19
	v_add_co_u32_e64 v34, s[0:1], v16, v19
	v_addc_co_u32_e64 v35, s[0:1], 0, v17, s[0:1]
	s_movk_i32 s0, 0x1000
	v_add_co_u32_e64 v50, s[0:1], s0, v34
	v_addc_co_u32_e64 v51, s[0:1], 0, v35, s[0:1]
	global_load_dwordx2 v[16:17], v[34:35], off
	global_load_dwordx2 v[20:21], v[34:35], off offset:512
	global_load_dwordx2 v[22:23], v[34:35], off offset:1024
	;; [unrolled: 1-line block ×7, first 2 shown]
	s_nop 0
	global_load_dwordx2 v[34:35], v[50:51], off
	global_load_dwordx2 v[36:37], v[50:51], off offset:512
	global_load_dwordx2 v[38:39], v[50:51], off offset:1024
	;; [unrolled: 1-line block ×7, first 2 shown]
	v_lshlrev_b32_e32 v19, 3, v18
	s_mov_b32 s4, 0
	v_add_u32_e32 v59, 0x400, v19
	s_mov_b32 s5, 1
	s_movk_i32 s8, 0x200
	v_mov_b32_e32 v51, 0
	v_mov_b32_e32 v71, v18
	s_waitcnt vmcnt(0)
.LBB915_177:                            ; =>This Inner Loop Header: Depth=1
	v_add_u32_e32 v50, s4, v58
	v_add_u32_e32 v72, s4, v70
	;; [unrolled: 1-line block ×16, first 2 shown]
	v_min_u32_e32 v50, 0x400, v50
	v_min_u32_e32 v72, 0x400, v72
	;; [unrolled: 1-line block ×3, first 2 shown]
	s_add_i32 s0, s5, -1
	v_min_u32_e32 v74, 0x400, v74
	v_min_u32_e32 v75, 0x400, v75
	;; [unrolled: 1-line block ×13, first 2 shown]
	v_lshlrev_b32_e32 v50, 3, v50
	v_lshlrev_b32_e32 v72, 3, v72
	;; [unrolled: 1-line block ×16, first 2 shown]
	ds_write_b64 v50, v[16:17] offset:1024
	ds_write_b64 v72, v[20:21] offset:1024
	ds_write_b64 v73, v[22:23] offset:1024
	ds_write_b64 v74, v[24:25] offset:1024
	ds_write_b64 v75, v[26:27] offset:1024
	ds_write_b64 v76, v[28:29] offset:1024
	ds_write_b64 v77, v[30:31] offset:1024
	ds_write_b64 v78, v[32:33] offset:1024
	ds_write_b64 v79, v[34:35] offset:1024
	ds_write_b64 v80, v[36:37] offset:1024
	ds_write_b64 v81, v[38:39] offset:1024
	ds_write_b64 v82, v[40:41] offset:1024
	ds_write_b64 v83, v[42:43] offset:1024
	ds_write_b64 v84, v[44:45] offset:1024
	ds_write_b64 v85, v[46:47] offset:1024
	ds_write_b64 v86, v[48:49] offset:1024
	s_waitcnt lgkmcnt(0)
	s_barrier
	ds_read_b64 v[72:73], v19 offset:1024
	s_set_gpr_idx_on s0, gpr_idx(SRC0)
	v_mov_b32_e32 v50, v0
	s_set_gpr_idx_off
	v_lshlrev_b32_e32 v50, 2, v50
	ds_read_b32 v50, v50
	ds_read_b64 v[74:75], v59 offset:4096
	v_mov_b32_e32 v87, s47
	s_addk_i32 s4, 0xfc00
	s_waitcnt lgkmcnt(1)
	v_add_u32_e32 v50, v71, v50
	v_lshlrev_b64 v[76:77], 3, v[50:51]
	v_add_co_u32_e64 v76, s[0:1], s46, v76
	v_addc_co_u32_e64 v77, s[0:1], v87, v77, s[0:1]
	global_store_dwordx2 v[76:77], v[72:73], off
	s_set_gpr_idx_on s5, gpr_idx(SRC0)
	v_mov_b32_e32 v50, v0
	s_set_gpr_idx_off
	v_lshlrev_b32_e32 v50, 2, v50
	ds_read_b32 v50, v50
	s_add_i32 s5, s5, 2
	s_cmpk_lg_i32 s4, 0xe000
	s_waitcnt lgkmcnt(0)
	v_add3_u32 v50, v71, v50, s8
	v_lshlrev_b64 v[72:73], 3, v[50:51]
	v_add_co_u32_e64 v72, s[0:1], s46, v72
	v_add_u32_e32 v71, 0x400, v71
	v_addc_co_u32_e64 v73, s[0:1], v87, v73, s[0:1]
	global_store_dwordx2 v[72:73], v[74:75], off
	s_barrier
	s_cbranch_scc1 .LBB915_177
; %bb.178:
	s_add_i32 s7, s7, -1
	s_cmp_eq_u32 s7, s6
	s_cselect_b64 s[0:1], -1, 0
	s_and_b64 s[4:5], vcc, s[0:1]
                                        ; implicit-def: $vgpr2
	s_and_saveexec_b64 s[0:1], s[4:5]
; %bb.179:
	v_add_u32_e32 v2, v52, v55
	s_or_b64 s[2:3], s[2:3], exec
; %bb.180:
	s_or_b64 exec, exec, s[0:1]
.LBB915_181:
	s_and_saveexec_b64 s[0:1], s[2:3]
	s_cbranch_execnz .LBB915_183
; %bb.182:
	s_endpgm
.LBB915_183:
	v_lshlrev_b32_e32 v3, 2, v18
	ds_read_b32 v3, v3
	v_mov_b32_e32 v19, 0
	v_lshlrev_b64 v[0:1], 2, v[18:19]
	v_mov_b32_e32 v4, s51
	v_add_co_u32_e32 v0, vcc, s50, v0
	v_addc_co_u32_e32 v1, vcc, v4, v1, vcc
	s_waitcnt lgkmcnt(0)
	v_add_u32_e32 v2, v3, v2
	global_store_dword v[0:1], v2, off
	s_endpgm
.LBB915_184:
	global_load_dwordx2 v[20:21], v[42:43], off
	s_or_b64 exec, exec, s[38:39]
                                        ; implicit-def: $vgpr22_vgpr23
	s_and_saveexec_b64 s[38:39], s[36:37]
	s_cbranch_execz .LBB915_98
.LBB915_185:
	global_load_dwordx2 v[22:23], v[42:43], off offset:512
	s_or_b64 exec, exec, s[38:39]
                                        ; implicit-def: $vgpr24_vgpr25
	s_and_saveexec_b64 s[36:37], s[10:11]
	s_cbranch_execz .LBB915_99
.LBB915_186:
	global_load_dwordx2 v[24:25], v[42:43], off offset:1024
	s_or_b64 exec, exec, s[36:37]
                                        ; implicit-def: $vgpr26_vgpr27
	s_and_saveexec_b64 s[10:11], s[14:15]
	s_cbranch_execz .LBB915_100
.LBB915_187:
	global_load_dwordx2 v[26:27], v[42:43], off offset:1536
	s_or_b64 exec, exec, s[10:11]
                                        ; implicit-def: $vgpr28_vgpr29
	s_and_saveexec_b64 s[10:11], s[16:17]
	s_cbranch_execz .LBB915_101
.LBB915_188:
	global_load_dwordx2 v[28:29], v[42:43], off offset:2048
	s_or_b64 exec, exec, s[10:11]
                                        ; implicit-def: $vgpr30_vgpr31
	s_and_saveexec_b64 s[10:11], s[20:21]
	s_cbranch_execz .LBB915_102
.LBB915_189:
	global_load_dwordx2 v[30:31], v[42:43], off offset:2560
	s_or_b64 exec, exec, s[10:11]
                                        ; implicit-def: $vgpr32_vgpr33
	s_and_saveexec_b64 s[10:11], s[24:25]
	s_cbranch_execz .LBB915_103
.LBB915_190:
	global_load_dwordx2 v[32:33], v[42:43], off offset:3072
	s_or_b64 exec, exec, s[10:11]
                                        ; implicit-def: $vgpr34_vgpr35
	s_and_saveexec_b64 s[10:11], s[28:29]
	s_cbranch_execz .LBB915_104
.LBB915_191:
	global_load_dwordx2 v[34:35], v[42:43], off offset:3584
	s_or_b64 exec, exec, s[10:11]
                                        ; implicit-def: $vgpr36_vgpr37
	s_and_saveexec_b64 s[10:11], s[30:31]
	s_cbranch_execz .LBB915_105
.LBB915_192:
	v_add_co_u32_e32 v36, vcc, 0x1000, v42
	v_addc_co_u32_e32 v37, vcc, 0, v43, vcc
	global_load_dwordx2 v[36:37], v[36:37], off
	s_or_b64 exec, exec, s[10:11]
                                        ; implicit-def: $vgpr38_vgpr39
	s_and_saveexec_b64 s[10:11], s[26:27]
	s_cbranch_execz .LBB915_106
.LBB915_193:
	v_add_co_u32_e32 v38, vcc, 0x1000, v42
	v_addc_co_u32_e32 v39, vcc, 0, v43, vcc
	global_load_dwordx2 v[38:39], v[38:39], off offset:512
	s_or_b64 exec, exec, s[10:11]
                                        ; implicit-def: $vgpr40_vgpr41
	s_and_saveexec_b64 s[10:11], s[22:23]
	s_cbranch_execz .LBB915_107
.LBB915_194:
	v_add_co_u32_e32 v40, vcc, 0x1000, v42
	v_addc_co_u32_e32 v41, vcc, 0, v43, vcc
	global_load_dwordx2 v[40:41], v[40:41], off offset:1024
	s_or_b64 exec, exec, s[10:11]
                                        ; implicit-def: $vgpr44_vgpr45
	s_and_saveexec_b64 s[10:11], s[18:19]
	s_cbranch_execz .LBB915_108
.LBB915_195:
	v_add_co_u32_e32 v44, vcc, 0x1000, v42
	v_addc_co_u32_e32 v45, vcc, 0, v43, vcc
	global_load_dwordx2 v[44:45], v[44:45], off offset:1536
	s_or_b64 exec, exec, s[10:11]
                                        ; implicit-def: $vgpr46_vgpr47
	s_and_saveexec_b64 s[10:11], s[12:13]
	s_cbranch_execz .LBB915_109
.LBB915_196:
	v_add_co_u32_e32 v46, vcc, 0x1000, v42
	v_addc_co_u32_e32 v47, vcc, 0, v43, vcc
	global_load_dwordx2 v[46:47], v[46:47], off offset:2048
	s_or_b64 exec, exec, s[10:11]
                                        ; implicit-def: $vgpr48_vgpr49
	s_and_saveexec_b64 s[10:11], s[8:9]
	s_cbranch_execz .LBB915_110
.LBB915_197:
	v_add_co_u32_e32 v48, vcc, 0x1000, v42
	v_addc_co_u32_e32 v49, vcc, 0, v43, vcc
	global_load_dwordx2 v[48:49], v[48:49], off offset:2560
	s_or_b64 exec, exec, s[10:11]
                                        ; implicit-def: $vgpr50_vgpr51
	s_and_saveexec_b64 s[8:9], s[2:3]
	s_cbranch_execz .LBB915_111
.LBB915_198:
	v_add_co_u32_e32 v50, vcc, 0x1000, v42
	v_addc_co_u32_e32 v51, vcc, 0, v43, vcc
	global_load_dwordx2 v[50:51], v[50:51], off offset:3072
	s_or_b64 exec, exec, s[8:9]
                                        ; implicit-def: $vgpr52_vgpr53
	s_and_saveexec_b64 s[2:3], s[0:1]
	s_cbranch_execnz .LBB915_112
	s_branch .LBB915_113
	.section	.rodata,"a",@progbits
	.p2align	6, 0x0
	.amdhsa_kernel _ZN7rocprim17ROCPRIM_400000_NS6detail17trampoline_kernelINS0_14default_configENS1_35radix_sort_onesweep_config_selectorIilEEZZNS1_29radix_sort_onesweep_iterationIS3_Lb0EPiS7_N6thrust23THRUST_200600_302600_NS10device_ptrIlEESB_jNS0_19identity_decomposerENS1_16block_id_wrapperIjLb0EEEEE10hipError_tT1_PNSt15iterator_traitsISG_E10value_typeET2_T3_PNSH_ISM_E10value_typeET4_T5_PSR_SS_PNS1_23onesweep_lookback_stateEbbT6_jjT7_P12ihipStream_tbENKUlT_T0_SG_SL_E_clIS7_S7_PlSB_EEDaSZ_S10_SG_SL_EUlSZ_E_NS1_11comp_targetILNS1_3genE4ELNS1_11target_archE910ELNS1_3gpuE8ELNS1_3repE0EEENS1_47radix_sort_onesweep_sort_config_static_selectorELNS0_4arch9wavefront6targetE1EEEvSG_
		.amdhsa_group_segment_fixed_size 10280
		.amdhsa_private_segment_fixed_size 0
		.amdhsa_kernarg_size 344
		.amdhsa_user_sgpr_count 6
		.amdhsa_user_sgpr_private_segment_buffer 1
		.amdhsa_user_sgpr_dispatch_ptr 0
		.amdhsa_user_sgpr_queue_ptr 0
		.amdhsa_user_sgpr_kernarg_segment_ptr 1
		.amdhsa_user_sgpr_dispatch_id 0
		.amdhsa_user_sgpr_flat_scratch_init 0
		.amdhsa_user_sgpr_kernarg_preload_length 0
		.amdhsa_user_sgpr_kernarg_preload_offset 0
		.amdhsa_user_sgpr_private_segment_size 0
		.amdhsa_uses_dynamic_stack 0
		.amdhsa_system_sgpr_private_segment_wavefront_offset 0
		.amdhsa_system_sgpr_workgroup_id_x 1
		.amdhsa_system_sgpr_workgroup_id_y 0
		.amdhsa_system_sgpr_workgroup_id_z 0
		.amdhsa_system_sgpr_workgroup_info 0
		.amdhsa_system_vgpr_workitem_id 2
		.amdhsa_next_free_vgpr 88
		.amdhsa_next_free_sgpr 69
		.amdhsa_accum_offset 88
		.amdhsa_reserve_vcc 1
		.amdhsa_reserve_flat_scratch 0
		.amdhsa_float_round_mode_32 0
		.amdhsa_float_round_mode_16_64 0
		.amdhsa_float_denorm_mode_32 3
		.amdhsa_float_denorm_mode_16_64 3
		.amdhsa_dx10_clamp 1
		.amdhsa_ieee_mode 1
		.amdhsa_fp16_overflow 0
		.amdhsa_tg_split 0
		.amdhsa_exception_fp_ieee_invalid_op 0
		.amdhsa_exception_fp_denorm_src 0
		.amdhsa_exception_fp_ieee_div_zero 0
		.amdhsa_exception_fp_ieee_overflow 0
		.amdhsa_exception_fp_ieee_underflow 0
		.amdhsa_exception_fp_ieee_inexact 0
		.amdhsa_exception_int_div_zero 0
	.end_amdhsa_kernel
	.section	.text._ZN7rocprim17ROCPRIM_400000_NS6detail17trampoline_kernelINS0_14default_configENS1_35radix_sort_onesweep_config_selectorIilEEZZNS1_29radix_sort_onesweep_iterationIS3_Lb0EPiS7_N6thrust23THRUST_200600_302600_NS10device_ptrIlEESB_jNS0_19identity_decomposerENS1_16block_id_wrapperIjLb0EEEEE10hipError_tT1_PNSt15iterator_traitsISG_E10value_typeET2_T3_PNSH_ISM_E10value_typeET4_T5_PSR_SS_PNS1_23onesweep_lookback_stateEbbT6_jjT7_P12ihipStream_tbENKUlT_T0_SG_SL_E_clIS7_S7_PlSB_EEDaSZ_S10_SG_SL_EUlSZ_E_NS1_11comp_targetILNS1_3genE4ELNS1_11target_archE910ELNS1_3gpuE8ELNS1_3repE0EEENS1_47radix_sort_onesweep_sort_config_static_selectorELNS0_4arch9wavefront6targetE1EEEvSG_,"axG",@progbits,_ZN7rocprim17ROCPRIM_400000_NS6detail17trampoline_kernelINS0_14default_configENS1_35radix_sort_onesweep_config_selectorIilEEZZNS1_29radix_sort_onesweep_iterationIS3_Lb0EPiS7_N6thrust23THRUST_200600_302600_NS10device_ptrIlEESB_jNS0_19identity_decomposerENS1_16block_id_wrapperIjLb0EEEEE10hipError_tT1_PNSt15iterator_traitsISG_E10value_typeET2_T3_PNSH_ISM_E10value_typeET4_T5_PSR_SS_PNS1_23onesweep_lookback_stateEbbT6_jjT7_P12ihipStream_tbENKUlT_T0_SG_SL_E_clIS7_S7_PlSB_EEDaSZ_S10_SG_SL_EUlSZ_E_NS1_11comp_targetILNS1_3genE4ELNS1_11target_archE910ELNS1_3gpuE8ELNS1_3repE0EEENS1_47radix_sort_onesweep_sort_config_static_selectorELNS0_4arch9wavefront6targetE1EEEvSG_,comdat
.Lfunc_end915:
	.size	_ZN7rocprim17ROCPRIM_400000_NS6detail17trampoline_kernelINS0_14default_configENS1_35radix_sort_onesweep_config_selectorIilEEZZNS1_29radix_sort_onesweep_iterationIS3_Lb0EPiS7_N6thrust23THRUST_200600_302600_NS10device_ptrIlEESB_jNS0_19identity_decomposerENS1_16block_id_wrapperIjLb0EEEEE10hipError_tT1_PNSt15iterator_traitsISG_E10value_typeET2_T3_PNSH_ISM_E10value_typeET4_T5_PSR_SS_PNS1_23onesweep_lookback_stateEbbT6_jjT7_P12ihipStream_tbENKUlT_T0_SG_SL_E_clIS7_S7_PlSB_EEDaSZ_S10_SG_SL_EUlSZ_E_NS1_11comp_targetILNS1_3genE4ELNS1_11target_archE910ELNS1_3gpuE8ELNS1_3repE0EEENS1_47radix_sort_onesweep_sort_config_static_selectorELNS0_4arch9wavefront6targetE1EEEvSG_, .Lfunc_end915-_ZN7rocprim17ROCPRIM_400000_NS6detail17trampoline_kernelINS0_14default_configENS1_35radix_sort_onesweep_config_selectorIilEEZZNS1_29radix_sort_onesweep_iterationIS3_Lb0EPiS7_N6thrust23THRUST_200600_302600_NS10device_ptrIlEESB_jNS0_19identity_decomposerENS1_16block_id_wrapperIjLb0EEEEE10hipError_tT1_PNSt15iterator_traitsISG_E10value_typeET2_T3_PNSH_ISM_E10value_typeET4_T5_PSR_SS_PNS1_23onesweep_lookback_stateEbbT6_jjT7_P12ihipStream_tbENKUlT_T0_SG_SL_E_clIS7_S7_PlSB_EEDaSZ_S10_SG_SL_EUlSZ_E_NS1_11comp_targetILNS1_3genE4ELNS1_11target_archE910ELNS1_3gpuE8ELNS1_3repE0EEENS1_47radix_sort_onesweep_sort_config_static_selectorELNS0_4arch9wavefront6targetE1EEEvSG_
                                        ; -- End function
	.section	.AMDGPU.csdata,"",@progbits
; Kernel info:
; codeLenInByte = 20664
; NumSgprs: 73
; NumVgprs: 88
; NumAgprs: 0
; TotalNumVgprs: 88
; ScratchSize: 0
; MemoryBound: 0
; FloatMode: 240
; IeeeMode: 1
; LDSByteSize: 10280 bytes/workgroup (compile time only)
; SGPRBlocks: 9
; VGPRBlocks: 10
; NumSGPRsForWavesPerEU: 73
; NumVGPRsForWavesPerEU: 88
; AccumOffset: 88
; Occupancy: 5
; WaveLimiterHint : 1
; COMPUTE_PGM_RSRC2:SCRATCH_EN: 0
; COMPUTE_PGM_RSRC2:USER_SGPR: 6
; COMPUTE_PGM_RSRC2:TRAP_HANDLER: 0
; COMPUTE_PGM_RSRC2:TGID_X_EN: 1
; COMPUTE_PGM_RSRC2:TGID_Y_EN: 0
; COMPUTE_PGM_RSRC2:TGID_Z_EN: 0
; COMPUTE_PGM_RSRC2:TIDIG_COMP_CNT: 2
; COMPUTE_PGM_RSRC3_GFX90A:ACCUM_OFFSET: 21
; COMPUTE_PGM_RSRC3_GFX90A:TG_SPLIT: 0
	.section	.text._ZN7rocprim17ROCPRIM_400000_NS6detail17trampoline_kernelINS0_14default_configENS1_35radix_sort_onesweep_config_selectorIilEEZZNS1_29radix_sort_onesweep_iterationIS3_Lb0EPiS7_N6thrust23THRUST_200600_302600_NS10device_ptrIlEESB_jNS0_19identity_decomposerENS1_16block_id_wrapperIjLb0EEEEE10hipError_tT1_PNSt15iterator_traitsISG_E10value_typeET2_T3_PNSH_ISM_E10value_typeET4_T5_PSR_SS_PNS1_23onesweep_lookback_stateEbbT6_jjT7_P12ihipStream_tbENKUlT_T0_SG_SL_E_clIS7_S7_PlSB_EEDaSZ_S10_SG_SL_EUlSZ_E_NS1_11comp_targetILNS1_3genE3ELNS1_11target_archE908ELNS1_3gpuE7ELNS1_3repE0EEENS1_47radix_sort_onesweep_sort_config_static_selectorELNS0_4arch9wavefront6targetE1EEEvSG_,"axG",@progbits,_ZN7rocprim17ROCPRIM_400000_NS6detail17trampoline_kernelINS0_14default_configENS1_35radix_sort_onesweep_config_selectorIilEEZZNS1_29radix_sort_onesweep_iterationIS3_Lb0EPiS7_N6thrust23THRUST_200600_302600_NS10device_ptrIlEESB_jNS0_19identity_decomposerENS1_16block_id_wrapperIjLb0EEEEE10hipError_tT1_PNSt15iterator_traitsISG_E10value_typeET2_T3_PNSH_ISM_E10value_typeET4_T5_PSR_SS_PNS1_23onesweep_lookback_stateEbbT6_jjT7_P12ihipStream_tbENKUlT_T0_SG_SL_E_clIS7_S7_PlSB_EEDaSZ_S10_SG_SL_EUlSZ_E_NS1_11comp_targetILNS1_3genE3ELNS1_11target_archE908ELNS1_3gpuE7ELNS1_3repE0EEENS1_47radix_sort_onesweep_sort_config_static_selectorELNS0_4arch9wavefront6targetE1EEEvSG_,comdat
	.protected	_ZN7rocprim17ROCPRIM_400000_NS6detail17trampoline_kernelINS0_14default_configENS1_35radix_sort_onesweep_config_selectorIilEEZZNS1_29radix_sort_onesweep_iterationIS3_Lb0EPiS7_N6thrust23THRUST_200600_302600_NS10device_ptrIlEESB_jNS0_19identity_decomposerENS1_16block_id_wrapperIjLb0EEEEE10hipError_tT1_PNSt15iterator_traitsISG_E10value_typeET2_T3_PNSH_ISM_E10value_typeET4_T5_PSR_SS_PNS1_23onesweep_lookback_stateEbbT6_jjT7_P12ihipStream_tbENKUlT_T0_SG_SL_E_clIS7_S7_PlSB_EEDaSZ_S10_SG_SL_EUlSZ_E_NS1_11comp_targetILNS1_3genE3ELNS1_11target_archE908ELNS1_3gpuE7ELNS1_3repE0EEENS1_47radix_sort_onesweep_sort_config_static_selectorELNS0_4arch9wavefront6targetE1EEEvSG_ ; -- Begin function _ZN7rocprim17ROCPRIM_400000_NS6detail17trampoline_kernelINS0_14default_configENS1_35radix_sort_onesweep_config_selectorIilEEZZNS1_29radix_sort_onesweep_iterationIS3_Lb0EPiS7_N6thrust23THRUST_200600_302600_NS10device_ptrIlEESB_jNS0_19identity_decomposerENS1_16block_id_wrapperIjLb0EEEEE10hipError_tT1_PNSt15iterator_traitsISG_E10value_typeET2_T3_PNSH_ISM_E10value_typeET4_T5_PSR_SS_PNS1_23onesweep_lookback_stateEbbT6_jjT7_P12ihipStream_tbENKUlT_T0_SG_SL_E_clIS7_S7_PlSB_EEDaSZ_S10_SG_SL_EUlSZ_E_NS1_11comp_targetILNS1_3genE3ELNS1_11target_archE908ELNS1_3gpuE7ELNS1_3repE0EEENS1_47radix_sort_onesweep_sort_config_static_selectorELNS0_4arch9wavefront6targetE1EEEvSG_
	.globl	_ZN7rocprim17ROCPRIM_400000_NS6detail17trampoline_kernelINS0_14default_configENS1_35radix_sort_onesweep_config_selectorIilEEZZNS1_29radix_sort_onesweep_iterationIS3_Lb0EPiS7_N6thrust23THRUST_200600_302600_NS10device_ptrIlEESB_jNS0_19identity_decomposerENS1_16block_id_wrapperIjLb0EEEEE10hipError_tT1_PNSt15iterator_traitsISG_E10value_typeET2_T3_PNSH_ISM_E10value_typeET4_T5_PSR_SS_PNS1_23onesweep_lookback_stateEbbT6_jjT7_P12ihipStream_tbENKUlT_T0_SG_SL_E_clIS7_S7_PlSB_EEDaSZ_S10_SG_SL_EUlSZ_E_NS1_11comp_targetILNS1_3genE3ELNS1_11target_archE908ELNS1_3gpuE7ELNS1_3repE0EEENS1_47radix_sort_onesweep_sort_config_static_selectorELNS0_4arch9wavefront6targetE1EEEvSG_
	.p2align	8
	.type	_ZN7rocprim17ROCPRIM_400000_NS6detail17trampoline_kernelINS0_14default_configENS1_35radix_sort_onesweep_config_selectorIilEEZZNS1_29radix_sort_onesweep_iterationIS3_Lb0EPiS7_N6thrust23THRUST_200600_302600_NS10device_ptrIlEESB_jNS0_19identity_decomposerENS1_16block_id_wrapperIjLb0EEEEE10hipError_tT1_PNSt15iterator_traitsISG_E10value_typeET2_T3_PNSH_ISM_E10value_typeET4_T5_PSR_SS_PNS1_23onesweep_lookback_stateEbbT6_jjT7_P12ihipStream_tbENKUlT_T0_SG_SL_E_clIS7_S7_PlSB_EEDaSZ_S10_SG_SL_EUlSZ_E_NS1_11comp_targetILNS1_3genE3ELNS1_11target_archE908ELNS1_3gpuE7ELNS1_3repE0EEENS1_47radix_sort_onesweep_sort_config_static_selectorELNS0_4arch9wavefront6targetE1EEEvSG_,@function
_ZN7rocprim17ROCPRIM_400000_NS6detail17trampoline_kernelINS0_14default_configENS1_35radix_sort_onesweep_config_selectorIilEEZZNS1_29radix_sort_onesweep_iterationIS3_Lb0EPiS7_N6thrust23THRUST_200600_302600_NS10device_ptrIlEESB_jNS0_19identity_decomposerENS1_16block_id_wrapperIjLb0EEEEE10hipError_tT1_PNSt15iterator_traitsISG_E10value_typeET2_T3_PNSH_ISM_E10value_typeET4_T5_PSR_SS_PNS1_23onesweep_lookback_stateEbbT6_jjT7_P12ihipStream_tbENKUlT_T0_SG_SL_E_clIS7_S7_PlSB_EEDaSZ_S10_SG_SL_EUlSZ_E_NS1_11comp_targetILNS1_3genE3ELNS1_11target_archE908ELNS1_3gpuE7ELNS1_3repE0EEENS1_47radix_sort_onesweep_sort_config_static_selectorELNS0_4arch9wavefront6targetE1EEEvSG_: ; @_ZN7rocprim17ROCPRIM_400000_NS6detail17trampoline_kernelINS0_14default_configENS1_35radix_sort_onesweep_config_selectorIilEEZZNS1_29radix_sort_onesweep_iterationIS3_Lb0EPiS7_N6thrust23THRUST_200600_302600_NS10device_ptrIlEESB_jNS0_19identity_decomposerENS1_16block_id_wrapperIjLb0EEEEE10hipError_tT1_PNSt15iterator_traitsISG_E10value_typeET2_T3_PNSH_ISM_E10value_typeET4_T5_PSR_SS_PNS1_23onesweep_lookback_stateEbbT6_jjT7_P12ihipStream_tbENKUlT_T0_SG_SL_E_clIS7_S7_PlSB_EEDaSZ_S10_SG_SL_EUlSZ_E_NS1_11comp_targetILNS1_3genE3ELNS1_11target_archE908ELNS1_3gpuE7ELNS1_3repE0EEENS1_47radix_sort_onesweep_sort_config_static_selectorELNS0_4arch9wavefront6targetE1EEEvSG_
; %bb.0:
	.section	.rodata,"a",@progbits
	.p2align	6, 0x0
	.amdhsa_kernel _ZN7rocprim17ROCPRIM_400000_NS6detail17trampoline_kernelINS0_14default_configENS1_35radix_sort_onesweep_config_selectorIilEEZZNS1_29radix_sort_onesweep_iterationIS3_Lb0EPiS7_N6thrust23THRUST_200600_302600_NS10device_ptrIlEESB_jNS0_19identity_decomposerENS1_16block_id_wrapperIjLb0EEEEE10hipError_tT1_PNSt15iterator_traitsISG_E10value_typeET2_T3_PNSH_ISM_E10value_typeET4_T5_PSR_SS_PNS1_23onesweep_lookback_stateEbbT6_jjT7_P12ihipStream_tbENKUlT_T0_SG_SL_E_clIS7_S7_PlSB_EEDaSZ_S10_SG_SL_EUlSZ_E_NS1_11comp_targetILNS1_3genE3ELNS1_11target_archE908ELNS1_3gpuE7ELNS1_3repE0EEENS1_47radix_sort_onesweep_sort_config_static_selectorELNS0_4arch9wavefront6targetE1EEEvSG_
		.amdhsa_group_segment_fixed_size 0
		.amdhsa_private_segment_fixed_size 0
		.amdhsa_kernarg_size 88
		.amdhsa_user_sgpr_count 6
		.amdhsa_user_sgpr_private_segment_buffer 1
		.amdhsa_user_sgpr_dispatch_ptr 0
		.amdhsa_user_sgpr_queue_ptr 0
		.amdhsa_user_sgpr_kernarg_segment_ptr 1
		.amdhsa_user_sgpr_dispatch_id 0
		.amdhsa_user_sgpr_flat_scratch_init 0
		.amdhsa_user_sgpr_kernarg_preload_length 0
		.amdhsa_user_sgpr_kernarg_preload_offset 0
		.amdhsa_user_sgpr_private_segment_size 0
		.amdhsa_uses_dynamic_stack 0
		.amdhsa_system_sgpr_private_segment_wavefront_offset 0
		.amdhsa_system_sgpr_workgroup_id_x 1
		.amdhsa_system_sgpr_workgroup_id_y 0
		.amdhsa_system_sgpr_workgroup_id_z 0
		.amdhsa_system_sgpr_workgroup_info 0
		.amdhsa_system_vgpr_workitem_id 0
		.amdhsa_next_free_vgpr 1
		.amdhsa_next_free_sgpr 0
		.amdhsa_accum_offset 4
		.amdhsa_reserve_vcc 0
		.amdhsa_reserve_flat_scratch 0
		.amdhsa_float_round_mode_32 0
		.amdhsa_float_round_mode_16_64 0
		.amdhsa_float_denorm_mode_32 3
		.amdhsa_float_denorm_mode_16_64 3
		.amdhsa_dx10_clamp 1
		.amdhsa_ieee_mode 1
		.amdhsa_fp16_overflow 0
		.amdhsa_tg_split 0
		.amdhsa_exception_fp_ieee_invalid_op 0
		.amdhsa_exception_fp_denorm_src 0
		.amdhsa_exception_fp_ieee_div_zero 0
		.amdhsa_exception_fp_ieee_overflow 0
		.amdhsa_exception_fp_ieee_underflow 0
		.amdhsa_exception_fp_ieee_inexact 0
		.amdhsa_exception_int_div_zero 0
	.end_amdhsa_kernel
	.section	.text._ZN7rocprim17ROCPRIM_400000_NS6detail17trampoline_kernelINS0_14default_configENS1_35radix_sort_onesweep_config_selectorIilEEZZNS1_29radix_sort_onesweep_iterationIS3_Lb0EPiS7_N6thrust23THRUST_200600_302600_NS10device_ptrIlEESB_jNS0_19identity_decomposerENS1_16block_id_wrapperIjLb0EEEEE10hipError_tT1_PNSt15iterator_traitsISG_E10value_typeET2_T3_PNSH_ISM_E10value_typeET4_T5_PSR_SS_PNS1_23onesweep_lookback_stateEbbT6_jjT7_P12ihipStream_tbENKUlT_T0_SG_SL_E_clIS7_S7_PlSB_EEDaSZ_S10_SG_SL_EUlSZ_E_NS1_11comp_targetILNS1_3genE3ELNS1_11target_archE908ELNS1_3gpuE7ELNS1_3repE0EEENS1_47radix_sort_onesweep_sort_config_static_selectorELNS0_4arch9wavefront6targetE1EEEvSG_,"axG",@progbits,_ZN7rocprim17ROCPRIM_400000_NS6detail17trampoline_kernelINS0_14default_configENS1_35radix_sort_onesweep_config_selectorIilEEZZNS1_29radix_sort_onesweep_iterationIS3_Lb0EPiS7_N6thrust23THRUST_200600_302600_NS10device_ptrIlEESB_jNS0_19identity_decomposerENS1_16block_id_wrapperIjLb0EEEEE10hipError_tT1_PNSt15iterator_traitsISG_E10value_typeET2_T3_PNSH_ISM_E10value_typeET4_T5_PSR_SS_PNS1_23onesweep_lookback_stateEbbT6_jjT7_P12ihipStream_tbENKUlT_T0_SG_SL_E_clIS7_S7_PlSB_EEDaSZ_S10_SG_SL_EUlSZ_E_NS1_11comp_targetILNS1_3genE3ELNS1_11target_archE908ELNS1_3gpuE7ELNS1_3repE0EEENS1_47radix_sort_onesweep_sort_config_static_selectorELNS0_4arch9wavefront6targetE1EEEvSG_,comdat
.Lfunc_end916:
	.size	_ZN7rocprim17ROCPRIM_400000_NS6detail17trampoline_kernelINS0_14default_configENS1_35radix_sort_onesweep_config_selectorIilEEZZNS1_29radix_sort_onesweep_iterationIS3_Lb0EPiS7_N6thrust23THRUST_200600_302600_NS10device_ptrIlEESB_jNS0_19identity_decomposerENS1_16block_id_wrapperIjLb0EEEEE10hipError_tT1_PNSt15iterator_traitsISG_E10value_typeET2_T3_PNSH_ISM_E10value_typeET4_T5_PSR_SS_PNS1_23onesweep_lookback_stateEbbT6_jjT7_P12ihipStream_tbENKUlT_T0_SG_SL_E_clIS7_S7_PlSB_EEDaSZ_S10_SG_SL_EUlSZ_E_NS1_11comp_targetILNS1_3genE3ELNS1_11target_archE908ELNS1_3gpuE7ELNS1_3repE0EEENS1_47radix_sort_onesweep_sort_config_static_selectorELNS0_4arch9wavefront6targetE1EEEvSG_, .Lfunc_end916-_ZN7rocprim17ROCPRIM_400000_NS6detail17trampoline_kernelINS0_14default_configENS1_35radix_sort_onesweep_config_selectorIilEEZZNS1_29radix_sort_onesweep_iterationIS3_Lb0EPiS7_N6thrust23THRUST_200600_302600_NS10device_ptrIlEESB_jNS0_19identity_decomposerENS1_16block_id_wrapperIjLb0EEEEE10hipError_tT1_PNSt15iterator_traitsISG_E10value_typeET2_T3_PNSH_ISM_E10value_typeET4_T5_PSR_SS_PNS1_23onesweep_lookback_stateEbbT6_jjT7_P12ihipStream_tbENKUlT_T0_SG_SL_E_clIS7_S7_PlSB_EEDaSZ_S10_SG_SL_EUlSZ_E_NS1_11comp_targetILNS1_3genE3ELNS1_11target_archE908ELNS1_3gpuE7ELNS1_3repE0EEENS1_47radix_sort_onesweep_sort_config_static_selectorELNS0_4arch9wavefront6targetE1EEEvSG_
                                        ; -- End function
	.section	.AMDGPU.csdata,"",@progbits
; Kernel info:
; codeLenInByte = 0
; NumSgprs: 4
; NumVgprs: 0
; NumAgprs: 0
; TotalNumVgprs: 0
; ScratchSize: 0
; MemoryBound: 0
; FloatMode: 240
; IeeeMode: 1
; LDSByteSize: 0 bytes/workgroup (compile time only)
; SGPRBlocks: 0
; VGPRBlocks: 0
; NumSGPRsForWavesPerEU: 4
; NumVGPRsForWavesPerEU: 1
; AccumOffset: 4
; Occupancy: 8
; WaveLimiterHint : 0
; COMPUTE_PGM_RSRC2:SCRATCH_EN: 0
; COMPUTE_PGM_RSRC2:USER_SGPR: 6
; COMPUTE_PGM_RSRC2:TRAP_HANDLER: 0
; COMPUTE_PGM_RSRC2:TGID_X_EN: 1
; COMPUTE_PGM_RSRC2:TGID_Y_EN: 0
; COMPUTE_PGM_RSRC2:TGID_Z_EN: 0
; COMPUTE_PGM_RSRC2:TIDIG_COMP_CNT: 0
; COMPUTE_PGM_RSRC3_GFX90A:ACCUM_OFFSET: 0
; COMPUTE_PGM_RSRC3_GFX90A:TG_SPLIT: 0
	.section	.text._ZN7rocprim17ROCPRIM_400000_NS6detail17trampoline_kernelINS0_14default_configENS1_35radix_sort_onesweep_config_selectorIilEEZZNS1_29radix_sort_onesweep_iterationIS3_Lb0EPiS7_N6thrust23THRUST_200600_302600_NS10device_ptrIlEESB_jNS0_19identity_decomposerENS1_16block_id_wrapperIjLb0EEEEE10hipError_tT1_PNSt15iterator_traitsISG_E10value_typeET2_T3_PNSH_ISM_E10value_typeET4_T5_PSR_SS_PNS1_23onesweep_lookback_stateEbbT6_jjT7_P12ihipStream_tbENKUlT_T0_SG_SL_E_clIS7_S7_PlSB_EEDaSZ_S10_SG_SL_EUlSZ_E_NS1_11comp_targetILNS1_3genE10ELNS1_11target_archE1201ELNS1_3gpuE5ELNS1_3repE0EEENS1_47radix_sort_onesweep_sort_config_static_selectorELNS0_4arch9wavefront6targetE1EEEvSG_,"axG",@progbits,_ZN7rocprim17ROCPRIM_400000_NS6detail17trampoline_kernelINS0_14default_configENS1_35radix_sort_onesweep_config_selectorIilEEZZNS1_29radix_sort_onesweep_iterationIS3_Lb0EPiS7_N6thrust23THRUST_200600_302600_NS10device_ptrIlEESB_jNS0_19identity_decomposerENS1_16block_id_wrapperIjLb0EEEEE10hipError_tT1_PNSt15iterator_traitsISG_E10value_typeET2_T3_PNSH_ISM_E10value_typeET4_T5_PSR_SS_PNS1_23onesweep_lookback_stateEbbT6_jjT7_P12ihipStream_tbENKUlT_T0_SG_SL_E_clIS7_S7_PlSB_EEDaSZ_S10_SG_SL_EUlSZ_E_NS1_11comp_targetILNS1_3genE10ELNS1_11target_archE1201ELNS1_3gpuE5ELNS1_3repE0EEENS1_47radix_sort_onesweep_sort_config_static_selectorELNS0_4arch9wavefront6targetE1EEEvSG_,comdat
	.protected	_ZN7rocprim17ROCPRIM_400000_NS6detail17trampoline_kernelINS0_14default_configENS1_35radix_sort_onesweep_config_selectorIilEEZZNS1_29radix_sort_onesweep_iterationIS3_Lb0EPiS7_N6thrust23THRUST_200600_302600_NS10device_ptrIlEESB_jNS0_19identity_decomposerENS1_16block_id_wrapperIjLb0EEEEE10hipError_tT1_PNSt15iterator_traitsISG_E10value_typeET2_T3_PNSH_ISM_E10value_typeET4_T5_PSR_SS_PNS1_23onesweep_lookback_stateEbbT6_jjT7_P12ihipStream_tbENKUlT_T0_SG_SL_E_clIS7_S7_PlSB_EEDaSZ_S10_SG_SL_EUlSZ_E_NS1_11comp_targetILNS1_3genE10ELNS1_11target_archE1201ELNS1_3gpuE5ELNS1_3repE0EEENS1_47radix_sort_onesweep_sort_config_static_selectorELNS0_4arch9wavefront6targetE1EEEvSG_ ; -- Begin function _ZN7rocprim17ROCPRIM_400000_NS6detail17trampoline_kernelINS0_14default_configENS1_35radix_sort_onesweep_config_selectorIilEEZZNS1_29radix_sort_onesweep_iterationIS3_Lb0EPiS7_N6thrust23THRUST_200600_302600_NS10device_ptrIlEESB_jNS0_19identity_decomposerENS1_16block_id_wrapperIjLb0EEEEE10hipError_tT1_PNSt15iterator_traitsISG_E10value_typeET2_T3_PNSH_ISM_E10value_typeET4_T5_PSR_SS_PNS1_23onesweep_lookback_stateEbbT6_jjT7_P12ihipStream_tbENKUlT_T0_SG_SL_E_clIS7_S7_PlSB_EEDaSZ_S10_SG_SL_EUlSZ_E_NS1_11comp_targetILNS1_3genE10ELNS1_11target_archE1201ELNS1_3gpuE5ELNS1_3repE0EEENS1_47radix_sort_onesweep_sort_config_static_selectorELNS0_4arch9wavefront6targetE1EEEvSG_
	.globl	_ZN7rocprim17ROCPRIM_400000_NS6detail17trampoline_kernelINS0_14default_configENS1_35radix_sort_onesweep_config_selectorIilEEZZNS1_29radix_sort_onesweep_iterationIS3_Lb0EPiS7_N6thrust23THRUST_200600_302600_NS10device_ptrIlEESB_jNS0_19identity_decomposerENS1_16block_id_wrapperIjLb0EEEEE10hipError_tT1_PNSt15iterator_traitsISG_E10value_typeET2_T3_PNSH_ISM_E10value_typeET4_T5_PSR_SS_PNS1_23onesweep_lookback_stateEbbT6_jjT7_P12ihipStream_tbENKUlT_T0_SG_SL_E_clIS7_S7_PlSB_EEDaSZ_S10_SG_SL_EUlSZ_E_NS1_11comp_targetILNS1_3genE10ELNS1_11target_archE1201ELNS1_3gpuE5ELNS1_3repE0EEENS1_47radix_sort_onesweep_sort_config_static_selectorELNS0_4arch9wavefront6targetE1EEEvSG_
	.p2align	8
	.type	_ZN7rocprim17ROCPRIM_400000_NS6detail17trampoline_kernelINS0_14default_configENS1_35radix_sort_onesweep_config_selectorIilEEZZNS1_29radix_sort_onesweep_iterationIS3_Lb0EPiS7_N6thrust23THRUST_200600_302600_NS10device_ptrIlEESB_jNS0_19identity_decomposerENS1_16block_id_wrapperIjLb0EEEEE10hipError_tT1_PNSt15iterator_traitsISG_E10value_typeET2_T3_PNSH_ISM_E10value_typeET4_T5_PSR_SS_PNS1_23onesweep_lookback_stateEbbT6_jjT7_P12ihipStream_tbENKUlT_T0_SG_SL_E_clIS7_S7_PlSB_EEDaSZ_S10_SG_SL_EUlSZ_E_NS1_11comp_targetILNS1_3genE10ELNS1_11target_archE1201ELNS1_3gpuE5ELNS1_3repE0EEENS1_47radix_sort_onesweep_sort_config_static_selectorELNS0_4arch9wavefront6targetE1EEEvSG_,@function
_ZN7rocprim17ROCPRIM_400000_NS6detail17trampoline_kernelINS0_14default_configENS1_35radix_sort_onesweep_config_selectorIilEEZZNS1_29radix_sort_onesweep_iterationIS3_Lb0EPiS7_N6thrust23THRUST_200600_302600_NS10device_ptrIlEESB_jNS0_19identity_decomposerENS1_16block_id_wrapperIjLb0EEEEE10hipError_tT1_PNSt15iterator_traitsISG_E10value_typeET2_T3_PNSH_ISM_E10value_typeET4_T5_PSR_SS_PNS1_23onesweep_lookback_stateEbbT6_jjT7_P12ihipStream_tbENKUlT_T0_SG_SL_E_clIS7_S7_PlSB_EEDaSZ_S10_SG_SL_EUlSZ_E_NS1_11comp_targetILNS1_3genE10ELNS1_11target_archE1201ELNS1_3gpuE5ELNS1_3repE0EEENS1_47radix_sort_onesweep_sort_config_static_selectorELNS0_4arch9wavefront6targetE1EEEvSG_: ; @_ZN7rocprim17ROCPRIM_400000_NS6detail17trampoline_kernelINS0_14default_configENS1_35radix_sort_onesweep_config_selectorIilEEZZNS1_29radix_sort_onesweep_iterationIS3_Lb0EPiS7_N6thrust23THRUST_200600_302600_NS10device_ptrIlEESB_jNS0_19identity_decomposerENS1_16block_id_wrapperIjLb0EEEEE10hipError_tT1_PNSt15iterator_traitsISG_E10value_typeET2_T3_PNSH_ISM_E10value_typeET4_T5_PSR_SS_PNS1_23onesweep_lookback_stateEbbT6_jjT7_P12ihipStream_tbENKUlT_T0_SG_SL_E_clIS7_S7_PlSB_EEDaSZ_S10_SG_SL_EUlSZ_E_NS1_11comp_targetILNS1_3genE10ELNS1_11target_archE1201ELNS1_3gpuE5ELNS1_3repE0EEENS1_47radix_sort_onesweep_sort_config_static_selectorELNS0_4arch9wavefront6targetE1EEEvSG_
; %bb.0:
	.section	.rodata,"a",@progbits
	.p2align	6, 0x0
	.amdhsa_kernel _ZN7rocprim17ROCPRIM_400000_NS6detail17trampoline_kernelINS0_14default_configENS1_35radix_sort_onesweep_config_selectorIilEEZZNS1_29radix_sort_onesweep_iterationIS3_Lb0EPiS7_N6thrust23THRUST_200600_302600_NS10device_ptrIlEESB_jNS0_19identity_decomposerENS1_16block_id_wrapperIjLb0EEEEE10hipError_tT1_PNSt15iterator_traitsISG_E10value_typeET2_T3_PNSH_ISM_E10value_typeET4_T5_PSR_SS_PNS1_23onesweep_lookback_stateEbbT6_jjT7_P12ihipStream_tbENKUlT_T0_SG_SL_E_clIS7_S7_PlSB_EEDaSZ_S10_SG_SL_EUlSZ_E_NS1_11comp_targetILNS1_3genE10ELNS1_11target_archE1201ELNS1_3gpuE5ELNS1_3repE0EEENS1_47radix_sort_onesweep_sort_config_static_selectorELNS0_4arch9wavefront6targetE1EEEvSG_
		.amdhsa_group_segment_fixed_size 0
		.amdhsa_private_segment_fixed_size 0
		.amdhsa_kernarg_size 88
		.amdhsa_user_sgpr_count 6
		.amdhsa_user_sgpr_private_segment_buffer 1
		.amdhsa_user_sgpr_dispatch_ptr 0
		.amdhsa_user_sgpr_queue_ptr 0
		.amdhsa_user_sgpr_kernarg_segment_ptr 1
		.amdhsa_user_sgpr_dispatch_id 0
		.amdhsa_user_sgpr_flat_scratch_init 0
		.amdhsa_user_sgpr_kernarg_preload_length 0
		.amdhsa_user_sgpr_kernarg_preload_offset 0
		.amdhsa_user_sgpr_private_segment_size 0
		.amdhsa_uses_dynamic_stack 0
		.amdhsa_system_sgpr_private_segment_wavefront_offset 0
		.amdhsa_system_sgpr_workgroup_id_x 1
		.amdhsa_system_sgpr_workgroup_id_y 0
		.amdhsa_system_sgpr_workgroup_id_z 0
		.amdhsa_system_sgpr_workgroup_info 0
		.amdhsa_system_vgpr_workitem_id 0
		.amdhsa_next_free_vgpr 1
		.amdhsa_next_free_sgpr 0
		.amdhsa_accum_offset 4
		.amdhsa_reserve_vcc 0
		.amdhsa_reserve_flat_scratch 0
		.amdhsa_float_round_mode_32 0
		.amdhsa_float_round_mode_16_64 0
		.amdhsa_float_denorm_mode_32 3
		.amdhsa_float_denorm_mode_16_64 3
		.amdhsa_dx10_clamp 1
		.amdhsa_ieee_mode 1
		.amdhsa_fp16_overflow 0
		.amdhsa_tg_split 0
		.amdhsa_exception_fp_ieee_invalid_op 0
		.amdhsa_exception_fp_denorm_src 0
		.amdhsa_exception_fp_ieee_div_zero 0
		.amdhsa_exception_fp_ieee_overflow 0
		.amdhsa_exception_fp_ieee_underflow 0
		.amdhsa_exception_fp_ieee_inexact 0
		.amdhsa_exception_int_div_zero 0
	.end_amdhsa_kernel
	.section	.text._ZN7rocprim17ROCPRIM_400000_NS6detail17trampoline_kernelINS0_14default_configENS1_35radix_sort_onesweep_config_selectorIilEEZZNS1_29radix_sort_onesweep_iterationIS3_Lb0EPiS7_N6thrust23THRUST_200600_302600_NS10device_ptrIlEESB_jNS0_19identity_decomposerENS1_16block_id_wrapperIjLb0EEEEE10hipError_tT1_PNSt15iterator_traitsISG_E10value_typeET2_T3_PNSH_ISM_E10value_typeET4_T5_PSR_SS_PNS1_23onesweep_lookback_stateEbbT6_jjT7_P12ihipStream_tbENKUlT_T0_SG_SL_E_clIS7_S7_PlSB_EEDaSZ_S10_SG_SL_EUlSZ_E_NS1_11comp_targetILNS1_3genE10ELNS1_11target_archE1201ELNS1_3gpuE5ELNS1_3repE0EEENS1_47radix_sort_onesweep_sort_config_static_selectorELNS0_4arch9wavefront6targetE1EEEvSG_,"axG",@progbits,_ZN7rocprim17ROCPRIM_400000_NS6detail17trampoline_kernelINS0_14default_configENS1_35radix_sort_onesweep_config_selectorIilEEZZNS1_29radix_sort_onesweep_iterationIS3_Lb0EPiS7_N6thrust23THRUST_200600_302600_NS10device_ptrIlEESB_jNS0_19identity_decomposerENS1_16block_id_wrapperIjLb0EEEEE10hipError_tT1_PNSt15iterator_traitsISG_E10value_typeET2_T3_PNSH_ISM_E10value_typeET4_T5_PSR_SS_PNS1_23onesweep_lookback_stateEbbT6_jjT7_P12ihipStream_tbENKUlT_T0_SG_SL_E_clIS7_S7_PlSB_EEDaSZ_S10_SG_SL_EUlSZ_E_NS1_11comp_targetILNS1_3genE10ELNS1_11target_archE1201ELNS1_3gpuE5ELNS1_3repE0EEENS1_47radix_sort_onesweep_sort_config_static_selectorELNS0_4arch9wavefront6targetE1EEEvSG_,comdat
.Lfunc_end917:
	.size	_ZN7rocprim17ROCPRIM_400000_NS6detail17trampoline_kernelINS0_14default_configENS1_35radix_sort_onesweep_config_selectorIilEEZZNS1_29radix_sort_onesweep_iterationIS3_Lb0EPiS7_N6thrust23THRUST_200600_302600_NS10device_ptrIlEESB_jNS0_19identity_decomposerENS1_16block_id_wrapperIjLb0EEEEE10hipError_tT1_PNSt15iterator_traitsISG_E10value_typeET2_T3_PNSH_ISM_E10value_typeET4_T5_PSR_SS_PNS1_23onesweep_lookback_stateEbbT6_jjT7_P12ihipStream_tbENKUlT_T0_SG_SL_E_clIS7_S7_PlSB_EEDaSZ_S10_SG_SL_EUlSZ_E_NS1_11comp_targetILNS1_3genE10ELNS1_11target_archE1201ELNS1_3gpuE5ELNS1_3repE0EEENS1_47radix_sort_onesweep_sort_config_static_selectorELNS0_4arch9wavefront6targetE1EEEvSG_, .Lfunc_end917-_ZN7rocprim17ROCPRIM_400000_NS6detail17trampoline_kernelINS0_14default_configENS1_35radix_sort_onesweep_config_selectorIilEEZZNS1_29radix_sort_onesweep_iterationIS3_Lb0EPiS7_N6thrust23THRUST_200600_302600_NS10device_ptrIlEESB_jNS0_19identity_decomposerENS1_16block_id_wrapperIjLb0EEEEE10hipError_tT1_PNSt15iterator_traitsISG_E10value_typeET2_T3_PNSH_ISM_E10value_typeET4_T5_PSR_SS_PNS1_23onesweep_lookback_stateEbbT6_jjT7_P12ihipStream_tbENKUlT_T0_SG_SL_E_clIS7_S7_PlSB_EEDaSZ_S10_SG_SL_EUlSZ_E_NS1_11comp_targetILNS1_3genE10ELNS1_11target_archE1201ELNS1_3gpuE5ELNS1_3repE0EEENS1_47radix_sort_onesweep_sort_config_static_selectorELNS0_4arch9wavefront6targetE1EEEvSG_
                                        ; -- End function
	.section	.AMDGPU.csdata,"",@progbits
; Kernel info:
; codeLenInByte = 0
; NumSgprs: 4
; NumVgprs: 0
; NumAgprs: 0
; TotalNumVgprs: 0
; ScratchSize: 0
; MemoryBound: 0
; FloatMode: 240
; IeeeMode: 1
; LDSByteSize: 0 bytes/workgroup (compile time only)
; SGPRBlocks: 0
; VGPRBlocks: 0
; NumSGPRsForWavesPerEU: 4
; NumVGPRsForWavesPerEU: 1
; AccumOffset: 4
; Occupancy: 8
; WaveLimiterHint : 0
; COMPUTE_PGM_RSRC2:SCRATCH_EN: 0
; COMPUTE_PGM_RSRC2:USER_SGPR: 6
; COMPUTE_PGM_RSRC2:TRAP_HANDLER: 0
; COMPUTE_PGM_RSRC2:TGID_X_EN: 1
; COMPUTE_PGM_RSRC2:TGID_Y_EN: 0
; COMPUTE_PGM_RSRC2:TGID_Z_EN: 0
; COMPUTE_PGM_RSRC2:TIDIG_COMP_CNT: 0
; COMPUTE_PGM_RSRC3_GFX90A:ACCUM_OFFSET: 0
; COMPUTE_PGM_RSRC3_GFX90A:TG_SPLIT: 0
	.section	.text._ZN7rocprim17ROCPRIM_400000_NS6detail17trampoline_kernelINS0_14default_configENS1_35radix_sort_onesweep_config_selectorIilEEZZNS1_29radix_sort_onesweep_iterationIS3_Lb0EPiS7_N6thrust23THRUST_200600_302600_NS10device_ptrIlEESB_jNS0_19identity_decomposerENS1_16block_id_wrapperIjLb0EEEEE10hipError_tT1_PNSt15iterator_traitsISG_E10value_typeET2_T3_PNSH_ISM_E10value_typeET4_T5_PSR_SS_PNS1_23onesweep_lookback_stateEbbT6_jjT7_P12ihipStream_tbENKUlT_T0_SG_SL_E_clIS7_S7_PlSB_EEDaSZ_S10_SG_SL_EUlSZ_E_NS1_11comp_targetILNS1_3genE9ELNS1_11target_archE1100ELNS1_3gpuE3ELNS1_3repE0EEENS1_47radix_sort_onesweep_sort_config_static_selectorELNS0_4arch9wavefront6targetE1EEEvSG_,"axG",@progbits,_ZN7rocprim17ROCPRIM_400000_NS6detail17trampoline_kernelINS0_14default_configENS1_35radix_sort_onesweep_config_selectorIilEEZZNS1_29radix_sort_onesweep_iterationIS3_Lb0EPiS7_N6thrust23THRUST_200600_302600_NS10device_ptrIlEESB_jNS0_19identity_decomposerENS1_16block_id_wrapperIjLb0EEEEE10hipError_tT1_PNSt15iterator_traitsISG_E10value_typeET2_T3_PNSH_ISM_E10value_typeET4_T5_PSR_SS_PNS1_23onesweep_lookback_stateEbbT6_jjT7_P12ihipStream_tbENKUlT_T0_SG_SL_E_clIS7_S7_PlSB_EEDaSZ_S10_SG_SL_EUlSZ_E_NS1_11comp_targetILNS1_3genE9ELNS1_11target_archE1100ELNS1_3gpuE3ELNS1_3repE0EEENS1_47radix_sort_onesweep_sort_config_static_selectorELNS0_4arch9wavefront6targetE1EEEvSG_,comdat
	.protected	_ZN7rocprim17ROCPRIM_400000_NS6detail17trampoline_kernelINS0_14default_configENS1_35radix_sort_onesweep_config_selectorIilEEZZNS1_29radix_sort_onesweep_iterationIS3_Lb0EPiS7_N6thrust23THRUST_200600_302600_NS10device_ptrIlEESB_jNS0_19identity_decomposerENS1_16block_id_wrapperIjLb0EEEEE10hipError_tT1_PNSt15iterator_traitsISG_E10value_typeET2_T3_PNSH_ISM_E10value_typeET4_T5_PSR_SS_PNS1_23onesweep_lookback_stateEbbT6_jjT7_P12ihipStream_tbENKUlT_T0_SG_SL_E_clIS7_S7_PlSB_EEDaSZ_S10_SG_SL_EUlSZ_E_NS1_11comp_targetILNS1_3genE9ELNS1_11target_archE1100ELNS1_3gpuE3ELNS1_3repE0EEENS1_47radix_sort_onesweep_sort_config_static_selectorELNS0_4arch9wavefront6targetE1EEEvSG_ ; -- Begin function _ZN7rocprim17ROCPRIM_400000_NS6detail17trampoline_kernelINS0_14default_configENS1_35radix_sort_onesweep_config_selectorIilEEZZNS1_29radix_sort_onesweep_iterationIS3_Lb0EPiS7_N6thrust23THRUST_200600_302600_NS10device_ptrIlEESB_jNS0_19identity_decomposerENS1_16block_id_wrapperIjLb0EEEEE10hipError_tT1_PNSt15iterator_traitsISG_E10value_typeET2_T3_PNSH_ISM_E10value_typeET4_T5_PSR_SS_PNS1_23onesweep_lookback_stateEbbT6_jjT7_P12ihipStream_tbENKUlT_T0_SG_SL_E_clIS7_S7_PlSB_EEDaSZ_S10_SG_SL_EUlSZ_E_NS1_11comp_targetILNS1_3genE9ELNS1_11target_archE1100ELNS1_3gpuE3ELNS1_3repE0EEENS1_47radix_sort_onesweep_sort_config_static_selectorELNS0_4arch9wavefront6targetE1EEEvSG_
	.globl	_ZN7rocprim17ROCPRIM_400000_NS6detail17trampoline_kernelINS0_14default_configENS1_35radix_sort_onesweep_config_selectorIilEEZZNS1_29radix_sort_onesweep_iterationIS3_Lb0EPiS7_N6thrust23THRUST_200600_302600_NS10device_ptrIlEESB_jNS0_19identity_decomposerENS1_16block_id_wrapperIjLb0EEEEE10hipError_tT1_PNSt15iterator_traitsISG_E10value_typeET2_T3_PNSH_ISM_E10value_typeET4_T5_PSR_SS_PNS1_23onesweep_lookback_stateEbbT6_jjT7_P12ihipStream_tbENKUlT_T0_SG_SL_E_clIS7_S7_PlSB_EEDaSZ_S10_SG_SL_EUlSZ_E_NS1_11comp_targetILNS1_3genE9ELNS1_11target_archE1100ELNS1_3gpuE3ELNS1_3repE0EEENS1_47radix_sort_onesweep_sort_config_static_selectorELNS0_4arch9wavefront6targetE1EEEvSG_
	.p2align	8
	.type	_ZN7rocprim17ROCPRIM_400000_NS6detail17trampoline_kernelINS0_14default_configENS1_35radix_sort_onesweep_config_selectorIilEEZZNS1_29radix_sort_onesweep_iterationIS3_Lb0EPiS7_N6thrust23THRUST_200600_302600_NS10device_ptrIlEESB_jNS0_19identity_decomposerENS1_16block_id_wrapperIjLb0EEEEE10hipError_tT1_PNSt15iterator_traitsISG_E10value_typeET2_T3_PNSH_ISM_E10value_typeET4_T5_PSR_SS_PNS1_23onesweep_lookback_stateEbbT6_jjT7_P12ihipStream_tbENKUlT_T0_SG_SL_E_clIS7_S7_PlSB_EEDaSZ_S10_SG_SL_EUlSZ_E_NS1_11comp_targetILNS1_3genE9ELNS1_11target_archE1100ELNS1_3gpuE3ELNS1_3repE0EEENS1_47radix_sort_onesweep_sort_config_static_selectorELNS0_4arch9wavefront6targetE1EEEvSG_,@function
_ZN7rocprim17ROCPRIM_400000_NS6detail17trampoline_kernelINS0_14default_configENS1_35radix_sort_onesweep_config_selectorIilEEZZNS1_29radix_sort_onesweep_iterationIS3_Lb0EPiS7_N6thrust23THRUST_200600_302600_NS10device_ptrIlEESB_jNS0_19identity_decomposerENS1_16block_id_wrapperIjLb0EEEEE10hipError_tT1_PNSt15iterator_traitsISG_E10value_typeET2_T3_PNSH_ISM_E10value_typeET4_T5_PSR_SS_PNS1_23onesweep_lookback_stateEbbT6_jjT7_P12ihipStream_tbENKUlT_T0_SG_SL_E_clIS7_S7_PlSB_EEDaSZ_S10_SG_SL_EUlSZ_E_NS1_11comp_targetILNS1_3genE9ELNS1_11target_archE1100ELNS1_3gpuE3ELNS1_3repE0EEENS1_47radix_sort_onesweep_sort_config_static_selectorELNS0_4arch9wavefront6targetE1EEEvSG_: ; @_ZN7rocprim17ROCPRIM_400000_NS6detail17trampoline_kernelINS0_14default_configENS1_35radix_sort_onesweep_config_selectorIilEEZZNS1_29radix_sort_onesweep_iterationIS3_Lb0EPiS7_N6thrust23THRUST_200600_302600_NS10device_ptrIlEESB_jNS0_19identity_decomposerENS1_16block_id_wrapperIjLb0EEEEE10hipError_tT1_PNSt15iterator_traitsISG_E10value_typeET2_T3_PNSH_ISM_E10value_typeET4_T5_PSR_SS_PNS1_23onesweep_lookback_stateEbbT6_jjT7_P12ihipStream_tbENKUlT_T0_SG_SL_E_clIS7_S7_PlSB_EEDaSZ_S10_SG_SL_EUlSZ_E_NS1_11comp_targetILNS1_3genE9ELNS1_11target_archE1100ELNS1_3gpuE3ELNS1_3repE0EEENS1_47radix_sort_onesweep_sort_config_static_selectorELNS0_4arch9wavefront6targetE1EEEvSG_
; %bb.0:
	.section	.rodata,"a",@progbits
	.p2align	6, 0x0
	.amdhsa_kernel _ZN7rocprim17ROCPRIM_400000_NS6detail17trampoline_kernelINS0_14default_configENS1_35radix_sort_onesweep_config_selectorIilEEZZNS1_29radix_sort_onesweep_iterationIS3_Lb0EPiS7_N6thrust23THRUST_200600_302600_NS10device_ptrIlEESB_jNS0_19identity_decomposerENS1_16block_id_wrapperIjLb0EEEEE10hipError_tT1_PNSt15iterator_traitsISG_E10value_typeET2_T3_PNSH_ISM_E10value_typeET4_T5_PSR_SS_PNS1_23onesweep_lookback_stateEbbT6_jjT7_P12ihipStream_tbENKUlT_T0_SG_SL_E_clIS7_S7_PlSB_EEDaSZ_S10_SG_SL_EUlSZ_E_NS1_11comp_targetILNS1_3genE9ELNS1_11target_archE1100ELNS1_3gpuE3ELNS1_3repE0EEENS1_47radix_sort_onesweep_sort_config_static_selectorELNS0_4arch9wavefront6targetE1EEEvSG_
		.amdhsa_group_segment_fixed_size 0
		.amdhsa_private_segment_fixed_size 0
		.amdhsa_kernarg_size 88
		.amdhsa_user_sgpr_count 6
		.amdhsa_user_sgpr_private_segment_buffer 1
		.amdhsa_user_sgpr_dispatch_ptr 0
		.amdhsa_user_sgpr_queue_ptr 0
		.amdhsa_user_sgpr_kernarg_segment_ptr 1
		.amdhsa_user_sgpr_dispatch_id 0
		.amdhsa_user_sgpr_flat_scratch_init 0
		.amdhsa_user_sgpr_kernarg_preload_length 0
		.amdhsa_user_sgpr_kernarg_preload_offset 0
		.amdhsa_user_sgpr_private_segment_size 0
		.amdhsa_uses_dynamic_stack 0
		.amdhsa_system_sgpr_private_segment_wavefront_offset 0
		.amdhsa_system_sgpr_workgroup_id_x 1
		.amdhsa_system_sgpr_workgroup_id_y 0
		.amdhsa_system_sgpr_workgroup_id_z 0
		.amdhsa_system_sgpr_workgroup_info 0
		.amdhsa_system_vgpr_workitem_id 0
		.amdhsa_next_free_vgpr 1
		.amdhsa_next_free_sgpr 0
		.amdhsa_accum_offset 4
		.amdhsa_reserve_vcc 0
		.amdhsa_reserve_flat_scratch 0
		.amdhsa_float_round_mode_32 0
		.amdhsa_float_round_mode_16_64 0
		.amdhsa_float_denorm_mode_32 3
		.amdhsa_float_denorm_mode_16_64 3
		.amdhsa_dx10_clamp 1
		.amdhsa_ieee_mode 1
		.amdhsa_fp16_overflow 0
		.amdhsa_tg_split 0
		.amdhsa_exception_fp_ieee_invalid_op 0
		.amdhsa_exception_fp_denorm_src 0
		.amdhsa_exception_fp_ieee_div_zero 0
		.amdhsa_exception_fp_ieee_overflow 0
		.amdhsa_exception_fp_ieee_underflow 0
		.amdhsa_exception_fp_ieee_inexact 0
		.amdhsa_exception_int_div_zero 0
	.end_amdhsa_kernel
	.section	.text._ZN7rocprim17ROCPRIM_400000_NS6detail17trampoline_kernelINS0_14default_configENS1_35radix_sort_onesweep_config_selectorIilEEZZNS1_29radix_sort_onesweep_iterationIS3_Lb0EPiS7_N6thrust23THRUST_200600_302600_NS10device_ptrIlEESB_jNS0_19identity_decomposerENS1_16block_id_wrapperIjLb0EEEEE10hipError_tT1_PNSt15iterator_traitsISG_E10value_typeET2_T3_PNSH_ISM_E10value_typeET4_T5_PSR_SS_PNS1_23onesweep_lookback_stateEbbT6_jjT7_P12ihipStream_tbENKUlT_T0_SG_SL_E_clIS7_S7_PlSB_EEDaSZ_S10_SG_SL_EUlSZ_E_NS1_11comp_targetILNS1_3genE9ELNS1_11target_archE1100ELNS1_3gpuE3ELNS1_3repE0EEENS1_47radix_sort_onesweep_sort_config_static_selectorELNS0_4arch9wavefront6targetE1EEEvSG_,"axG",@progbits,_ZN7rocprim17ROCPRIM_400000_NS6detail17trampoline_kernelINS0_14default_configENS1_35radix_sort_onesweep_config_selectorIilEEZZNS1_29radix_sort_onesweep_iterationIS3_Lb0EPiS7_N6thrust23THRUST_200600_302600_NS10device_ptrIlEESB_jNS0_19identity_decomposerENS1_16block_id_wrapperIjLb0EEEEE10hipError_tT1_PNSt15iterator_traitsISG_E10value_typeET2_T3_PNSH_ISM_E10value_typeET4_T5_PSR_SS_PNS1_23onesweep_lookback_stateEbbT6_jjT7_P12ihipStream_tbENKUlT_T0_SG_SL_E_clIS7_S7_PlSB_EEDaSZ_S10_SG_SL_EUlSZ_E_NS1_11comp_targetILNS1_3genE9ELNS1_11target_archE1100ELNS1_3gpuE3ELNS1_3repE0EEENS1_47radix_sort_onesweep_sort_config_static_selectorELNS0_4arch9wavefront6targetE1EEEvSG_,comdat
.Lfunc_end918:
	.size	_ZN7rocprim17ROCPRIM_400000_NS6detail17trampoline_kernelINS0_14default_configENS1_35radix_sort_onesweep_config_selectorIilEEZZNS1_29radix_sort_onesweep_iterationIS3_Lb0EPiS7_N6thrust23THRUST_200600_302600_NS10device_ptrIlEESB_jNS0_19identity_decomposerENS1_16block_id_wrapperIjLb0EEEEE10hipError_tT1_PNSt15iterator_traitsISG_E10value_typeET2_T3_PNSH_ISM_E10value_typeET4_T5_PSR_SS_PNS1_23onesweep_lookback_stateEbbT6_jjT7_P12ihipStream_tbENKUlT_T0_SG_SL_E_clIS7_S7_PlSB_EEDaSZ_S10_SG_SL_EUlSZ_E_NS1_11comp_targetILNS1_3genE9ELNS1_11target_archE1100ELNS1_3gpuE3ELNS1_3repE0EEENS1_47radix_sort_onesweep_sort_config_static_selectorELNS0_4arch9wavefront6targetE1EEEvSG_, .Lfunc_end918-_ZN7rocprim17ROCPRIM_400000_NS6detail17trampoline_kernelINS0_14default_configENS1_35radix_sort_onesweep_config_selectorIilEEZZNS1_29radix_sort_onesweep_iterationIS3_Lb0EPiS7_N6thrust23THRUST_200600_302600_NS10device_ptrIlEESB_jNS0_19identity_decomposerENS1_16block_id_wrapperIjLb0EEEEE10hipError_tT1_PNSt15iterator_traitsISG_E10value_typeET2_T3_PNSH_ISM_E10value_typeET4_T5_PSR_SS_PNS1_23onesweep_lookback_stateEbbT6_jjT7_P12ihipStream_tbENKUlT_T0_SG_SL_E_clIS7_S7_PlSB_EEDaSZ_S10_SG_SL_EUlSZ_E_NS1_11comp_targetILNS1_3genE9ELNS1_11target_archE1100ELNS1_3gpuE3ELNS1_3repE0EEENS1_47radix_sort_onesweep_sort_config_static_selectorELNS0_4arch9wavefront6targetE1EEEvSG_
                                        ; -- End function
	.section	.AMDGPU.csdata,"",@progbits
; Kernel info:
; codeLenInByte = 0
; NumSgprs: 4
; NumVgprs: 0
; NumAgprs: 0
; TotalNumVgprs: 0
; ScratchSize: 0
; MemoryBound: 0
; FloatMode: 240
; IeeeMode: 1
; LDSByteSize: 0 bytes/workgroup (compile time only)
; SGPRBlocks: 0
; VGPRBlocks: 0
; NumSGPRsForWavesPerEU: 4
; NumVGPRsForWavesPerEU: 1
; AccumOffset: 4
; Occupancy: 8
; WaveLimiterHint : 0
; COMPUTE_PGM_RSRC2:SCRATCH_EN: 0
; COMPUTE_PGM_RSRC2:USER_SGPR: 6
; COMPUTE_PGM_RSRC2:TRAP_HANDLER: 0
; COMPUTE_PGM_RSRC2:TGID_X_EN: 1
; COMPUTE_PGM_RSRC2:TGID_Y_EN: 0
; COMPUTE_PGM_RSRC2:TGID_Z_EN: 0
; COMPUTE_PGM_RSRC2:TIDIG_COMP_CNT: 0
; COMPUTE_PGM_RSRC3_GFX90A:ACCUM_OFFSET: 0
; COMPUTE_PGM_RSRC3_GFX90A:TG_SPLIT: 0
	.section	.text._ZN7rocprim17ROCPRIM_400000_NS6detail17trampoline_kernelINS0_14default_configENS1_35radix_sort_onesweep_config_selectorIilEEZZNS1_29radix_sort_onesweep_iterationIS3_Lb0EPiS7_N6thrust23THRUST_200600_302600_NS10device_ptrIlEESB_jNS0_19identity_decomposerENS1_16block_id_wrapperIjLb0EEEEE10hipError_tT1_PNSt15iterator_traitsISG_E10value_typeET2_T3_PNSH_ISM_E10value_typeET4_T5_PSR_SS_PNS1_23onesweep_lookback_stateEbbT6_jjT7_P12ihipStream_tbENKUlT_T0_SG_SL_E_clIS7_S7_PlSB_EEDaSZ_S10_SG_SL_EUlSZ_E_NS1_11comp_targetILNS1_3genE8ELNS1_11target_archE1030ELNS1_3gpuE2ELNS1_3repE0EEENS1_47radix_sort_onesweep_sort_config_static_selectorELNS0_4arch9wavefront6targetE1EEEvSG_,"axG",@progbits,_ZN7rocprim17ROCPRIM_400000_NS6detail17trampoline_kernelINS0_14default_configENS1_35radix_sort_onesweep_config_selectorIilEEZZNS1_29radix_sort_onesweep_iterationIS3_Lb0EPiS7_N6thrust23THRUST_200600_302600_NS10device_ptrIlEESB_jNS0_19identity_decomposerENS1_16block_id_wrapperIjLb0EEEEE10hipError_tT1_PNSt15iterator_traitsISG_E10value_typeET2_T3_PNSH_ISM_E10value_typeET4_T5_PSR_SS_PNS1_23onesweep_lookback_stateEbbT6_jjT7_P12ihipStream_tbENKUlT_T0_SG_SL_E_clIS7_S7_PlSB_EEDaSZ_S10_SG_SL_EUlSZ_E_NS1_11comp_targetILNS1_3genE8ELNS1_11target_archE1030ELNS1_3gpuE2ELNS1_3repE0EEENS1_47radix_sort_onesweep_sort_config_static_selectorELNS0_4arch9wavefront6targetE1EEEvSG_,comdat
	.protected	_ZN7rocprim17ROCPRIM_400000_NS6detail17trampoline_kernelINS0_14default_configENS1_35radix_sort_onesweep_config_selectorIilEEZZNS1_29radix_sort_onesweep_iterationIS3_Lb0EPiS7_N6thrust23THRUST_200600_302600_NS10device_ptrIlEESB_jNS0_19identity_decomposerENS1_16block_id_wrapperIjLb0EEEEE10hipError_tT1_PNSt15iterator_traitsISG_E10value_typeET2_T3_PNSH_ISM_E10value_typeET4_T5_PSR_SS_PNS1_23onesweep_lookback_stateEbbT6_jjT7_P12ihipStream_tbENKUlT_T0_SG_SL_E_clIS7_S7_PlSB_EEDaSZ_S10_SG_SL_EUlSZ_E_NS1_11comp_targetILNS1_3genE8ELNS1_11target_archE1030ELNS1_3gpuE2ELNS1_3repE0EEENS1_47radix_sort_onesweep_sort_config_static_selectorELNS0_4arch9wavefront6targetE1EEEvSG_ ; -- Begin function _ZN7rocprim17ROCPRIM_400000_NS6detail17trampoline_kernelINS0_14default_configENS1_35radix_sort_onesweep_config_selectorIilEEZZNS1_29radix_sort_onesweep_iterationIS3_Lb0EPiS7_N6thrust23THRUST_200600_302600_NS10device_ptrIlEESB_jNS0_19identity_decomposerENS1_16block_id_wrapperIjLb0EEEEE10hipError_tT1_PNSt15iterator_traitsISG_E10value_typeET2_T3_PNSH_ISM_E10value_typeET4_T5_PSR_SS_PNS1_23onesweep_lookback_stateEbbT6_jjT7_P12ihipStream_tbENKUlT_T0_SG_SL_E_clIS7_S7_PlSB_EEDaSZ_S10_SG_SL_EUlSZ_E_NS1_11comp_targetILNS1_3genE8ELNS1_11target_archE1030ELNS1_3gpuE2ELNS1_3repE0EEENS1_47radix_sort_onesweep_sort_config_static_selectorELNS0_4arch9wavefront6targetE1EEEvSG_
	.globl	_ZN7rocprim17ROCPRIM_400000_NS6detail17trampoline_kernelINS0_14default_configENS1_35radix_sort_onesweep_config_selectorIilEEZZNS1_29radix_sort_onesweep_iterationIS3_Lb0EPiS7_N6thrust23THRUST_200600_302600_NS10device_ptrIlEESB_jNS0_19identity_decomposerENS1_16block_id_wrapperIjLb0EEEEE10hipError_tT1_PNSt15iterator_traitsISG_E10value_typeET2_T3_PNSH_ISM_E10value_typeET4_T5_PSR_SS_PNS1_23onesweep_lookback_stateEbbT6_jjT7_P12ihipStream_tbENKUlT_T0_SG_SL_E_clIS7_S7_PlSB_EEDaSZ_S10_SG_SL_EUlSZ_E_NS1_11comp_targetILNS1_3genE8ELNS1_11target_archE1030ELNS1_3gpuE2ELNS1_3repE0EEENS1_47radix_sort_onesweep_sort_config_static_selectorELNS0_4arch9wavefront6targetE1EEEvSG_
	.p2align	8
	.type	_ZN7rocprim17ROCPRIM_400000_NS6detail17trampoline_kernelINS0_14default_configENS1_35radix_sort_onesweep_config_selectorIilEEZZNS1_29radix_sort_onesweep_iterationIS3_Lb0EPiS7_N6thrust23THRUST_200600_302600_NS10device_ptrIlEESB_jNS0_19identity_decomposerENS1_16block_id_wrapperIjLb0EEEEE10hipError_tT1_PNSt15iterator_traitsISG_E10value_typeET2_T3_PNSH_ISM_E10value_typeET4_T5_PSR_SS_PNS1_23onesweep_lookback_stateEbbT6_jjT7_P12ihipStream_tbENKUlT_T0_SG_SL_E_clIS7_S7_PlSB_EEDaSZ_S10_SG_SL_EUlSZ_E_NS1_11comp_targetILNS1_3genE8ELNS1_11target_archE1030ELNS1_3gpuE2ELNS1_3repE0EEENS1_47radix_sort_onesweep_sort_config_static_selectorELNS0_4arch9wavefront6targetE1EEEvSG_,@function
_ZN7rocprim17ROCPRIM_400000_NS6detail17trampoline_kernelINS0_14default_configENS1_35radix_sort_onesweep_config_selectorIilEEZZNS1_29radix_sort_onesweep_iterationIS3_Lb0EPiS7_N6thrust23THRUST_200600_302600_NS10device_ptrIlEESB_jNS0_19identity_decomposerENS1_16block_id_wrapperIjLb0EEEEE10hipError_tT1_PNSt15iterator_traitsISG_E10value_typeET2_T3_PNSH_ISM_E10value_typeET4_T5_PSR_SS_PNS1_23onesweep_lookback_stateEbbT6_jjT7_P12ihipStream_tbENKUlT_T0_SG_SL_E_clIS7_S7_PlSB_EEDaSZ_S10_SG_SL_EUlSZ_E_NS1_11comp_targetILNS1_3genE8ELNS1_11target_archE1030ELNS1_3gpuE2ELNS1_3repE0EEENS1_47radix_sort_onesweep_sort_config_static_selectorELNS0_4arch9wavefront6targetE1EEEvSG_: ; @_ZN7rocprim17ROCPRIM_400000_NS6detail17trampoline_kernelINS0_14default_configENS1_35radix_sort_onesweep_config_selectorIilEEZZNS1_29radix_sort_onesweep_iterationIS3_Lb0EPiS7_N6thrust23THRUST_200600_302600_NS10device_ptrIlEESB_jNS0_19identity_decomposerENS1_16block_id_wrapperIjLb0EEEEE10hipError_tT1_PNSt15iterator_traitsISG_E10value_typeET2_T3_PNSH_ISM_E10value_typeET4_T5_PSR_SS_PNS1_23onesweep_lookback_stateEbbT6_jjT7_P12ihipStream_tbENKUlT_T0_SG_SL_E_clIS7_S7_PlSB_EEDaSZ_S10_SG_SL_EUlSZ_E_NS1_11comp_targetILNS1_3genE8ELNS1_11target_archE1030ELNS1_3gpuE2ELNS1_3repE0EEENS1_47radix_sort_onesweep_sort_config_static_selectorELNS0_4arch9wavefront6targetE1EEEvSG_
; %bb.0:
	.section	.rodata,"a",@progbits
	.p2align	6, 0x0
	.amdhsa_kernel _ZN7rocprim17ROCPRIM_400000_NS6detail17trampoline_kernelINS0_14default_configENS1_35radix_sort_onesweep_config_selectorIilEEZZNS1_29radix_sort_onesweep_iterationIS3_Lb0EPiS7_N6thrust23THRUST_200600_302600_NS10device_ptrIlEESB_jNS0_19identity_decomposerENS1_16block_id_wrapperIjLb0EEEEE10hipError_tT1_PNSt15iterator_traitsISG_E10value_typeET2_T3_PNSH_ISM_E10value_typeET4_T5_PSR_SS_PNS1_23onesweep_lookback_stateEbbT6_jjT7_P12ihipStream_tbENKUlT_T0_SG_SL_E_clIS7_S7_PlSB_EEDaSZ_S10_SG_SL_EUlSZ_E_NS1_11comp_targetILNS1_3genE8ELNS1_11target_archE1030ELNS1_3gpuE2ELNS1_3repE0EEENS1_47radix_sort_onesweep_sort_config_static_selectorELNS0_4arch9wavefront6targetE1EEEvSG_
		.amdhsa_group_segment_fixed_size 0
		.amdhsa_private_segment_fixed_size 0
		.amdhsa_kernarg_size 88
		.amdhsa_user_sgpr_count 6
		.amdhsa_user_sgpr_private_segment_buffer 1
		.amdhsa_user_sgpr_dispatch_ptr 0
		.amdhsa_user_sgpr_queue_ptr 0
		.amdhsa_user_sgpr_kernarg_segment_ptr 1
		.amdhsa_user_sgpr_dispatch_id 0
		.amdhsa_user_sgpr_flat_scratch_init 0
		.amdhsa_user_sgpr_kernarg_preload_length 0
		.amdhsa_user_sgpr_kernarg_preload_offset 0
		.amdhsa_user_sgpr_private_segment_size 0
		.amdhsa_uses_dynamic_stack 0
		.amdhsa_system_sgpr_private_segment_wavefront_offset 0
		.amdhsa_system_sgpr_workgroup_id_x 1
		.amdhsa_system_sgpr_workgroup_id_y 0
		.amdhsa_system_sgpr_workgroup_id_z 0
		.amdhsa_system_sgpr_workgroup_info 0
		.amdhsa_system_vgpr_workitem_id 0
		.amdhsa_next_free_vgpr 1
		.amdhsa_next_free_sgpr 0
		.amdhsa_accum_offset 4
		.amdhsa_reserve_vcc 0
		.amdhsa_reserve_flat_scratch 0
		.amdhsa_float_round_mode_32 0
		.amdhsa_float_round_mode_16_64 0
		.amdhsa_float_denorm_mode_32 3
		.amdhsa_float_denorm_mode_16_64 3
		.amdhsa_dx10_clamp 1
		.amdhsa_ieee_mode 1
		.amdhsa_fp16_overflow 0
		.amdhsa_tg_split 0
		.amdhsa_exception_fp_ieee_invalid_op 0
		.amdhsa_exception_fp_denorm_src 0
		.amdhsa_exception_fp_ieee_div_zero 0
		.amdhsa_exception_fp_ieee_overflow 0
		.amdhsa_exception_fp_ieee_underflow 0
		.amdhsa_exception_fp_ieee_inexact 0
		.amdhsa_exception_int_div_zero 0
	.end_amdhsa_kernel
	.section	.text._ZN7rocprim17ROCPRIM_400000_NS6detail17trampoline_kernelINS0_14default_configENS1_35radix_sort_onesweep_config_selectorIilEEZZNS1_29radix_sort_onesweep_iterationIS3_Lb0EPiS7_N6thrust23THRUST_200600_302600_NS10device_ptrIlEESB_jNS0_19identity_decomposerENS1_16block_id_wrapperIjLb0EEEEE10hipError_tT1_PNSt15iterator_traitsISG_E10value_typeET2_T3_PNSH_ISM_E10value_typeET4_T5_PSR_SS_PNS1_23onesweep_lookback_stateEbbT6_jjT7_P12ihipStream_tbENKUlT_T0_SG_SL_E_clIS7_S7_PlSB_EEDaSZ_S10_SG_SL_EUlSZ_E_NS1_11comp_targetILNS1_3genE8ELNS1_11target_archE1030ELNS1_3gpuE2ELNS1_3repE0EEENS1_47radix_sort_onesweep_sort_config_static_selectorELNS0_4arch9wavefront6targetE1EEEvSG_,"axG",@progbits,_ZN7rocprim17ROCPRIM_400000_NS6detail17trampoline_kernelINS0_14default_configENS1_35radix_sort_onesweep_config_selectorIilEEZZNS1_29radix_sort_onesweep_iterationIS3_Lb0EPiS7_N6thrust23THRUST_200600_302600_NS10device_ptrIlEESB_jNS0_19identity_decomposerENS1_16block_id_wrapperIjLb0EEEEE10hipError_tT1_PNSt15iterator_traitsISG_E10value_typeET2_T3_PNSH_ISM_E10value_typeET4_T5_PSR_SS_PNS1_23onesweep_lookback_stateEbbT6_jjT7_P12ihipStream_tbENKUlT_T0_SG_SL_E_clIS7_S7_PlSB_EEDaSZ_S10_SG_SL_EUlSZ_E_NS1_11comp_targetILNS1_3genE8ELNS1_11target_archE1030ELNS1_3gpuE2ELNS1_3repE0EEENS1_47radix_sort_onesweep_sort_config_static_selectorELNS0_4arch9wavefront6targetE1EEEvSG_,comdat
.Lfunc_end919:
	.size	_ZN7rocprim17ROCPRIM_400000_NS6detail17trampoline_kernelINS0_14default_configENS1_35radix_sort_onesweep_config_selectorIilEEZZNS1_29radix_sort_onesweep_iterationIS3_Lb0EPiS7_N6thrust23THRUST_200600_302600_NS10device_ptrIlEESB_jNS0_19identity_decomposerENS1_16block_id_wrapperIjLb0EEEEE10hipError_tT1_PNSt15iterator_traitsISG_E10value_typeET2_T3_PNSH_ISM_E10value_typeET4_T5_PSR_SS_PNS1_23onesweep_lookback_stateEbbT6_jjT7_P12ihipStream_tbENKUlT_T0_SG_SL_E_clIS7_S7_PlSB_EEDaSZ_S10_SG_SL_EUlSZ_E_NS1_11comp_targetILNS1_3genE8ELNS1_11target_archE1030ELNS1_3gpuE2ELNS1_3repE0EEENS1_47radix_sort_onesweep_sort_config_static_selectorELNS0_4arch9wavefront6targetE1EEEvSG_, .Lfunc_end919-_ZN7rocprim17ROCPRIM_400000_NS6detail17trampoline_kernelINS0_14default_configENS1_35radix_sort_onesweep_config_selectorIilEEZZNS1_29radix_sort_onesweep_iterationIS3_Lb0EPiS7_N6thrust23THRUST_200600_302600_NS10device_ptrIlEESB_jNS0_19identity_decomposerENS1_16block_id_wrapperIjLb0EEEEE10hipError_tT1_PNSt15iterator_traitsISG_E10value_typeET2_T3_PNSH_ISM_E10value_typeET4_T5_PSR_SS_PNS1_23onesweep_lookback_stateEbbT6_jjT7_P12ihipStream_tbENKUlT_T0_SG_SL_E_clIS7_S7_PlSB_EEDaSZ_S10_SG_SL_EUlSZ_E_NS1_11comp_targetILNS1_3genE8ELNS1_11target_archE1030ELNS1_3gpuE2ELNS1_3repE0EEENS1_47radix_sort_onesweep_sort_config_static_selectorELNS0_4arch9wavefront6targetE1EEEvSG_
                                        ; -- End function
	.section	.AMDGPU.csdata,"",@progbits
; Kernel info:
; codeLenInByte = 0
; NumSgprs: 4
; NumVgprs: 0
; NumAgprs: 0
; TotalNumVgprs: 0
; ScratchSize: 0
; MemoryBound: 0
; FloatMode: 240
; IeeeMode: 1
; LDSByteSize: 0 bytes/workgroup (compile time only)
; SGPRBlocks: 0
; VGPRBlocks: 0
; NumSGPRsForWavesPerEU: 4
; NumVGPRsForWavesPerEU: 1
; AccumOffset: 4
; Occupancy: 8
; WaveLimiterHint : 0
; COMPUTE_PGM_RSRC2:SCRATCH_EN: 0
; COMPUTE_PGM_RSRC2:USER_SGPR: 6
; COMPUTE_PGM_RSRC2:TRAP_HANDLER: 0
; COMPUTE_PGM_RSRC2:TGID_X_EN: 1
; COMPUTE_PGM_RSRC2:TGID_Y_EN: 0
; COMPUTE_PGM_RSRC2:TGID_Z_EN: 0
; COMPUTE_PGM_RSRC2:TIDIG_COMP_CNT: 0
; COMPUTE_PGM_RSRC3_GFX90A:ACCUM_OFFSET: 0
; COMPUTE_PGM_RSRC3_GFX90A:TG_SPLIT: 0
	.section	.text._ZN7rocprim17ROCPRIM_400000_NS6detail17trampoline_kernelINS0_14default_configENS1_22reduce_config_selectorIiEEZNS1_11reduce_implILb1ES3_N6thrust23THRUST_200600_302600_NS11hip_rocprim35transform_pair_of_input_iterators_tIiPiSB_NS8_12not_equal_toIiEEEESB_iNS8_4plusIiEEEE10hipError_tPvRmT1_T2_T3_mT4_P12ihipStream_tbEUlT_E0_NS1_11comp_targetILNS1_3genE0ELNS1_11target_archE4294967295ELNS1_3gpuE0ELNS1_3repE0EEENS1_30default_config_static_selectorELNS0_4arch9wavefront6targetE1EEEvSK_,"axG",@progbits,_ZN7rocprim17ROCPRIM_400000_NS6detail17trampoline_kernelINS0_14default_configENS1_22reduce_config_selectorIiEEZNS1_11reduce_implILb1ES3_N6thrust23THRUST_200600_302600_NS11hip_rocprim35transform_pair_of_input_iterators_tIiPiSB_NS8_12not_equal_toIiEEEESB_iNS8_4plusIiEEEE10hipError_tPvRmT1_T2_T3_mT4_P12ihipStream_tbEUlT_E0_NS1_11comp_targetILNS1_3genE0ELNS1_11target_archE4294967295ELNS1_3gpuE0ELNS1_3repE0EEENS1_30default_config_static_selectorELNS0_4arch9wavefront6targetE1EEEvSK_,comdat
	.protected	_ZN7rocprim17ROCPRIM_400000_NS6detail17trampoline_kernelINS0_14default_configENS1_22reduce_config_selectorIiEEZNS1_11reduce_implILb1ES3_N6thrust23THRUST_200600_302600_NS11hip_rocprim35transform_pair_of_input_iterators_tIiPiSB_NS8_12not_equal_toIiEEEESB_iNS8_4plusIiEEEE10hipError_tPvRmT1_T2_T3_mT4_P12ihipStream_tbEUlT_E0_NS1_11comp_targetILNS1_3genE0ELNS1_11target_archE4294967295ELNS1_3gpuE0ELNS1_3repE0EEENS1_30default_config_static_selectorELNS0_4arch9wavefront6targetE1EEEvSK_ ; -- Begin function _ZN7rocprim17ROCPRIM_400000_NS6detail17trampoline_kernelINS0_14default_configENS1_22reduce_config_selectorIiEEZNS1_11reduce_implILb1ES3_N6thrust23THRUST_200600_302600_NS11hip_rocprim35transform_pair_of_input_iterators_tIiPiSB_NS8_12not_equal_toIiEEEESB_iNS8_4plusIiEEEE10hipError_tPvRmT1_T2_T3_mT4_P12ihipStream_tbEUlT_E0_NS1_11comp_targetILNS1_3genE0ELNS1_11target_archE4294967295ELNS1_3gpuE0ELNS1_3repE0EEENS1_30default_config_static_selectorELNS0_4arch9wavefront6targetE1EEEvSK_
	.globl	_ZN7rocprim17ROCPRIM_400000_NS6detail17trampoline_kernelINS0_14default_configENS1_22reduce_config_selectorIiEEZNS1_11reduce_implILb1ES3_N6thrust23THRUST_200600_302600_NS11hip_rocprim35transform_pair_of_input_iterators_tIiPiSB_NS8_12not_equal_toIiEEEESB_iNS8_4plusIiEEEE10hipError_tPvRmT1_T2_T3_mT4_P12ihipStream_tbEUlT_E0_NS1_11comp_targetILNS1_3genE0ELNS1_11target_archE4294967295ELNS1_3gpuE0ELNS1_3repE0EEENS1_30default_config_static_selectorELNS0_4arch9wavefront6targetE1EEEvSK_
	.p2align	8
	.type	_ZN7rocprim17ROCPRIM_400000_NS6detail17trampoline_kernelINS0_14default_configENS1_22reduce_config_selectorIiEEZNS1_11reduce_implILb1ES3_N6thrust23THRUST_200600_302600_NS11hip_rocprim35transform_pair_of_input_iterators_tIiPiSB_NS8_12not_equal_toIiEEEESB_iNS8_4plusIiEEEE10hipError_tPvRmT1_T2_T3_mT4_P12ihipStream_tbEUlT_E0_NS1_11comp_targetILNS1_3genE0ELNS1_11target_archE4294967295ELNS1_3gpuE0ELNS1_3repE0EEENS1_30default_config_static_selectorELNS0_4arch9wavefront6targetE1EEEvSK_,@function
_ZN7rocprim17ROCPRIM_400000_NS6detail17trampoline_kernelINS0_14default_configENS1_22reduce_config_selectorIiEEZNS1_11reduce_implILb1ES3_N6thrust23THRUST_200600_302600_NS11hip_rocprim35transform_pair_of_input_iterators_tIiPiSB_NS8_12not_equal_toIiEEEESB_iNS8_4plusIiEEEE10hipError_tPvRmT1_T2_T3_mT4_P12ihipStream_tbEUlT_E0_NS1_11comp_targetILNS1_3genE0ELNS1_11target_archE4294967295ELNS1_3gpuE0ELNS1_3repE0EEENS1_30default_config_static_selectorELNS0_4arch9wavefront6targetE1EEEvSK_: ; @_ZN7rocprim17ROCPRIM_400000_NS6detail17trampoline_kernelINS0_14default_configENS1_22reduce_config_selectorIiEEZNS1_11reduce_implILb1ES3_N6thrust23THRUST_200600_302600_NS11hip_rocprim35transform_pair_of_input_iterators_tIiPiSB_NS8_12not_equal_toIiEEEESB_iNS8_4plusIiEEEE10hipError_tPvRmT1_T2_T3_mT4_P12ihipStream_tbEUlT_E0_NS1_11comp_targetILNS1_3genE0ELNS1_11target_archE4294967295ELNS1_3gpuE0ELNS1_3repE0EEENS1_30default_config_static_selectorELNS0_4arch9wavefront6targetE1EEEvSK_
; %bb.0:
	.section	.rodata,"a",@progbits
	.p2align	6, 0x0
	.amdhsa_kernel _ZN7rocprim17ROCPRIM_400000_NS6detail17trampoline_kernelINS0_14default_configENS1_22reduce_config_selectorIiEEZNS1_11reduce_implILb1ES3_N6thrust23THRUST_200600_302600_NS11hip_rocprim35transform_pair_of_input_iterators_tIiPiSB_NS8_12not_equal_toIiEEEESB_iNS8_4plusIiEEEE10hipError_tPvRmT1_T2_T3_mT4_P12ihipStream_tbEUlT_E0_NS1_11comp_targetILNS1_3genE0ELNS1_11target_archE4294967295ELNS1_3gpuE0ELNS1_3repE0EEENS1_30default_config_static_selectorELNS0_4arch9wavefront6targetE1EEEvSK_
		.amdhsa_group_segment_fixed_size 0
		.amdhsa_private_segment_fixed_size 0
		.amdhsa_kernarg_size 72
		.amdhsa_user_sgpr_count 6
		.amdhsa_user_sgpr_private_segment_buffer 1
		.amdhsa_user_sgpr_dispatch_ptr 0
		.amdhsa_user_sgpr_queue_ptr 0
		.amdhsa_user_sgpr_kernarg_segment_ptr 1
		.amdhsa_user_sgpr_dispatch_id 0
		.amdhsa_user_sgpr_flat_scratch_init 0
		.amdhsa_user_sgpr_kernarg_preload_length 0
		.amdhsa_user_sgpr_kernarg_preload_offset 0
		.amdhsa_user_sgpr_private_segment_size 0
		.amdhsa_uses_dynamic_stack 0
		.amdhsa_system_sgpr_private_segment_wavefront_offset 0
		.amdhsa_system_sgpr_workgroup_id_x 1
		.amdhsa_system_sgpr_workgroup_id_y 0
		.amdhsa_system_sgpr_workgroup_id_z 0
		.amdhsa_system_sgpr_workgroup_info 0
		.amdhsa_system_vgpr_workitem_id 0
		.amdhsa_next_free_vgpr 1
		.amdhsa_next_free_sgpr 0
		.amdhsa_accum_offset 4
		.amdhsa_reserve_vcc 0
		.amdhsa_reserve_flat_scratch 0
		.amdhsa_float_round_mode_32 0
		.amdhsa_float_round_mode_16_64 0
		.amdhsa_float_denorm_mode_32 3
		.amdhsa_float_denorm_mode_16_64 3
		.amdhsa_dx10_clamp 1
		.amdhsa_ieee_mode 1
		.amdhsa_fp16_overflow 0
		.amdhsa_tg_split 0
		.amdhsa_exception_fp_ieee_invalid_op 0
		.amdhsa_exception_fp_denorm_src 0
		.amdhsa_exception_fp_ieee_div_zero 0
		.amdhsa_exception_fp_ieee_overflow 0
		.amdhsa_exception_fp_ieee_underflow 0
		.amdhsa_exception_fp_ieee_inexact 0
		.amdhsa_exception_int_div_zero 0
	.end_amdhsa_kernel
	.section	.text._ZN7rocprim17ROCPRIM_400000_NS6detail17trampoline_kernelINS0_14default_configENS1_22reduce_config_selectorIiEEZNS1_11reduce_implILb1ES3_N6thrust23THRUST_200600_302600_NS11hip_rocprim35transform_pair_of_input_iterators_tIiPiSB_NS8_12not_equal_toIiEEEESB_iNS8_4plusIiEEEE10hipError_tPvRmT1_T2_T3_mT4_P12ihipStream_tbEUlT_E0_NS1_11comp_targetILNS1_3genE0ELNS1_11target_archE4294967295ELNS1_3gpuE0ELNS1_3repE0EEENS1_30default_config_static_selectorELNS0_4arch9wavefront6targetE1EEEvSK_,"axG",@progbits,_ZN7rocprim17ROCPRIM_400000_NS6detail17trampoline_kernelINS0_14default_configENS1_22reduce_config_selectorIiEEZNS1_11reduce_implILb1ES3_N6thrust23THRUST_200600_302600_NS11hip_rocprim35transform_pair_of_input_iterators_tIiPiSB_NS8_12not_equal_toIiEEEESB_iNS8_4plusIiEEEE10hipError_tPvRmT1_T2_T3_mT4_P12ihipStream_tbEUlT_E0_NS1_11comp_targetILNS1_3genE0ELNS1_11target_archE4294967295ELNS1_3gpuE0ELNS1_3repE0EEENS1_30default_config_static_selectorELNS0_4arch9wavefront6targetE1EEEvSK_,comdat
.Lfunc_end920:
	.size	_ZN7rocprim17ROCPRIM_400000_NS6detail17trampoline_kernelINS0_14default_configENS1_22reduce_config_selectorIiEEZNS1_11reduce_implILb1ES3_N6thrust23THRUST_200600_302600_NS11hip_rocprim35transform_pair_of_input_iterators_tIiPiSB_NS8_12not_equal_toIiEEEESB_iNS8_4plusIiEEEE10hipError_tPvRmT1_T2_T3_mT4_P12ihipStream_tbEUlT_E0_NS1_11comp_targetILNS1_3genE0ELNS1_11target_archE4294967295ELNS1_3gpuE0ELNS1_3repE0EEENS1_30default_config_static_selectorELNS0_4arch9wavefront6targetE1EEEvSK_, .Lfunc_end920-_ZN7rocprim17ROCPRIM_400000_NS6detail17trampoline_kernelINS0_14default_configENS1_22reduce_config_selectorIiEEZNS1_11reduce_implILb1ES3_N6thrust23THRUST_200600_302600_NS11hip_rocprim35transform_pair_of_input_iterators_tIiPiSB_NS8_12not_equal_toIiEEEESB_iNS8_4plusIiEEEE10hipError_tPvRmT1_T2_T3_mT4_P12ihipStream_tbEUlT_E0_NS1_11comp_targetILNS1_3genE0ELNS1_11target_archE4294967295ELNS1_3gpuE0ELNS1_3repE0EEENS1_30default_config_static_selectorELNS0_4arch9wavefront6targetE1EEEvSK_
                                        ; -- End function
	.section	.AMDGPU.csdata,"",@progbits
; Kernel info:
; codeLenInByte = 0
; NumSgprs: 4
; NumVgprs: 0
; NumAgprs: 0
; TotalNumVgprs: 0
; ScratchSize: 0
; MemoryBound: 0
; FloatMode: 240
; IeeeMode: 1
; LDSByteSize: 0 bytes/workgroup (compile time only)
; SGPRBlocks: 0
; VGPRBlocks: 0
; NumSGPRsForWavesPerEU: 4
; NumVGPRsForWavesPerEU: 1
; AccumOffset: 4
; Occupancy: 8
; WaveLimiterHint : 0
; COMPUTE_PGM_RSRC2:SCRATCH_EN: 0
; COMPUTE_PGM_RSRC2:USER_SGPR: 6
; COMPUTE_PGM_RSRC2:TRAP_HANDLER: 0
; COMPUTE_PGM_RSRC2:TGID_X_EN: 1
; COMPUTE_PGM_RSRC2:TGID_Y_EN: 0
; COMPUTE_PGM_RSRC2:TGID_Z_EN: 0
; COMPUTE_PGM_RSRC2:TIDIG_COMP_CNT: 0
; COMPUTE_PGM_RSRC3_GFX90A:ACCUM_OFFSET: 0
; COMPUTE_PGM_RSRC3_GFX90A:TG_SPLIT: 0
	.section	.text._ZN7rocprim17ROCPRIM_400000_NS6detail17trampoline_kernelINS0_14default_configENS1_22reduce_config_selectorIiEEZNS1_11reduce_implILb1ES3_N6thrust23THRUST_200600_302600_NS11hip_rocprim35transform_pair_of_input_iterators_tIiPiSB_NS8_12not_equal_toIiEEEESB_iNS8_4plusIiEEEE10hipError_tPvRmT1_T2_T3_mT4_P12ihipStream_tbEUlT_E0_NS1_11comp_targetILNS1_3genE5ELNS1_11target_archE942ELNS1_3gpuE9ELNS1_3repE0EEENS1_30default_config_static_selectorELNS0_4arch9wavefront6targetE1EEEvSK_,"axG",@progbits,_ZN7rocprim17ROCPRIM_400000_NS6detail17trampoline_kernelINS0_14default_configENS1_22reduce_config_selectorIiEEZNS1_11reduce_implILb1ES3_N6thrust23THRUST_200600_302600_NS11hip_rocprim35transform_pair_of_input_iterators_tIiPiSB_NS8_12not_equal_toIiEEEESB_iNS8_4plusIiEEEE10hipError_tPvRmT1_T2_T3_mT4_P12ihipStream_tbEUlT_E0_NS1_11comp_targetILNS1_3genE5ELNS1_11target_archE942ELNS1_3gpuE9ELNS1_3repE0EEENS1_30default_config_static_selectorELNS0_4arch9wavefront6targetE1EEEvSK_,comdat
	.protected	_ZN7rocprim17ROCPRIM_400000_NS6detail17trampoline_kernelINS0_14default_configENS1_22reduce_config_selectorIiEEZNS1_11reduce_implILb1ES3_N6thrust23THRUST_200600_302600_NS11hip_rocprim35transform_pair_of_input_iterators_tIiPiSB_NS8_12not_equal_toIiEEEESB_iNS8_4plusIiEEEE10hipError_tPvRmT1_T2_T3_mT4_P12ihipStream_tbEUlT_E0_NS1_11comp_targetILNS1_3genE5ELNS1_11target_archE942ELNS1_3gpuE9ELNS1_3repE0EEENS1_30default_config_static_selectorELNS0_4arch9wavefront6targetE1EEEvSK_ ; -- Begin function _ZN7rocprim17ROCPRIM_400000_NS6detail17trampoline_kernelINS0_14default_configENS1_22reduce_config_selectorIiEEZNS1_11reduce_implILb1ES3_N6thrust23THRUST_200600_302600_NS11hip_rocprim35transform_pair_of_input_iterators_tIiPiSB_NS8_12not_equal_toIiEEEESB_iNS8_4plusIiEEEE10hipError_tPvRmT1_T2_T3_mT4_P12ihipStream_tbEUlT_E0_NS1_11comp_targetILNS1_3genE5ELNS1_11target_archE942ELNS1_3gpuE9ELNS1_3repE0EEENS1_30default_config_static_selectorELNS0_4arch9wavefront6targetE1EEEvSK_
	.globl	_ZN7rocprim17ROCPRIM_400000_NS6detail17trampoline_kernelINS0_14default_configENS1_22reduce_config_selectorIiEEZNS1_11reduce_implILb1ES3_N6thrust23THRUST_200600_302600_NS11hip_rocprim35transform_pair_of_input_iterators_tIiPiSB_NS8_12not_equal_toIiEEEESB_iNS8_4plusIiEEEE10hipError_tPvRmT1_T2_T3_mT4_P12ihipStream_tbEUlT_E0_NS1_11comp_targetILNS1_3genE5ELNS1_11target_archE942ELNS1_3gpuE9ELNS1_3repE0EEENS1_30default_config_static_selectorELNS0_4arch9wavefront6targetE1EEEvSK_
	.p2align	8
	.type	_ZN7rocprim17ROCPRIM_400000_NS6detail17trampoline_kernelINS0_14default_configENS1_22reduce_config_selectorIiEEZNS1_11reduce_implILb1ES3_N6thrust23THRUST_200600_302600_NS11hip_rocprim35transform_pair_of_input_iterators_tIiPiSB_NS8_12not_equal_toIiEEEESB_iNS8_4plusIiEEEE10hipError_tPvRmT1_T2_T3_mT4_P12ihipStream_tbEUlT_E0_NS1_11comp_targetILNS1_3genE5ELNS1_11target_archE942ELNS1_3gpuE9ELNS1_3repE0EEENS1_30default_config_static_selectorELNS0_4arch9wavefront6targetE1EEEvSK_,@function
_ZN7rocprim17ROCPRIM_400000_NS6detail17trampoline_kernelINS0_14default_configENS1_22reduce_config_selectorIiEEZNS1_11reduce_implILb1ES3_N6thrust23THRUST_200600_302600_NS11hip_rocprim35transform_pair_of_input_iterators_tIiPiSB_NS8_12not_equal_toIiEEEESB_iNS8_4plusIiEEEE10hipError_tPvRmT1_T2_T3_mT4_P12ihipStream_tbEUlT_E0_NS1_11comp_targetILNS1_3genE5ELNS1_11target_archE942ELNS1_3gpuE9ELNS1_3repE0EEENS1_30default_config_static_selectorELNS0_4arch9wavefront6targetE1EEEvSK_: ; @_ZN7rocprim17ROCPRIM_400000_NS6detail17trampoline_kernelINS0_14default_configENS1_22reduce_config_selectorIiEEZNS1_11reduce_implILb1ES3_N6thrust23THRUST_200600_302600_NS11hip_rocprim35transform_pair_of_input_iterators_tIiPiSB_NS8_12not_equal_toIiEEEESB_iNS8_4plusIiEEEE10hipError_tPvRmT1_T2_T3_mT4_P12ihipStream_tbEUlT_E0_NS1_11comp_targetILNS1_3genE5ELNS1_11target_archE942ELNS1_3gpuE9ELNS1_3repE0EEENS1_30default_config_static_selectorELNS0_4arch9wavefront6targetE1EEEvSK_
; %bb.0:
	.section	.rodata,"a",@progbits
	.p2align	6, 0x0
	.amdhsa_kernel _ZN7rocprim17ROCPRIM_400000_NS6detail17trampoline_kernelINS0_14default_configENS1_22reduce_config_selectorIiEEZNS1_11reduce_implILb1ES3_N6thrust23THRUST_200600_302600_NS11hip_rocprim35transform_pair_of_input_iterators_tIiPiSB_NS8_12not_equal_toIiEEEESB_iNS8_4plusIiEEEE10hipError_tPvRmT1_T2_T3_mT4_P12ihipStream_tbEUlT_E0_NS1_11comp_targetILNS1_3genE5ELNS1_11target_archE942ELNS1_3gpuE9ELNS1_3repE0EEENS1_30default_config_static_selectorELNS0_4arch9wavefront6targetE1EEEvSK_
		.amdhsa_group_segment_fixed_size 0
		.amdhsa_private_segment_fixed_size 0
		.amdhsa_kernarg_size 72
		.amdhsa_user_sgpr_count 6
		.amdhsa_user_sgpr_private_segment_buffer 1
		.amdhsa_user_sgpr_dispatch_ptr 0
		.amdhsa_user_sgpr_queue_ptr 0
		.amdhsa_user_sgpr_kernarg_segment_ptr 1
		.amdhsa_user_sgpr_dispatch_id 0
		.amdhsa_user_sgpr_flat_scratch_init 0
		.amdhsa_user_sgpr_kernarg_preload_length 0
		.amdhsa_user_sgpr_kernarg_preload_offset 0
		.amdhsa_user_sgpr_private_segment_size 0
		.amdhsa_uses_dynamic_stack 0
		.amdhsa_system_sgpr_private_segment_wavefront_offset 0
		.amdhsa_system_sgpr_workgroup_id_x 1
		.amdhsa_system_sgpr_workgroup_id_y 0
		.amdhsa_system_sgpr_workgroup_id_z 0
		.amdhsa_system_sgpr_workgroup_info 0
		.amdhsa_system_vgpr_workitem_id 0
		.amdhsa_next_free_vgpr 1
		.amdhsa_next_free_sgpr 0
		.amdhsa_accum_offset 4
		.amdhsa_reserve_vcc 0
		.amdhsa_reserve_flat_scratch 0
		.amdhsa_float_round_mode_32 0
		.amdhsa_float_round_mode_16_64 0
		.amdhsa_float_denorm_mode_32 3
		.amdhsa_float_denorm_mode_16_64 3
		.amdhsa_dx10_clamp 1
		.amdhsa_ieee_mode 1
		.amdhsa_fp16_overflow 0
		.amdhsa_tg_split 0
		.amdhsa_exception_fp_ieee_invalid_op 0
		.amdhsa_exception_fp_denorm_src 0
		.amdhsa_exception_fp_ieee_div_zero 0
		.amdhsa_exception_fp_ieee_overflow 0
		.amdhsa_exception_fp_ieee_underflow 0
		.amdhsa_exception_fp_ieee_inexact 0
		.amdhsa_exception_int_div_zero 0
	.end_amdhsa_kernel
	.section	.text._ZN7rocprim17ROCPRIM_400000_NS6detail17trampoline_kernelINS0_14default_configENS1_22reduce_config_selectorIiEEZNS1_11reduce_implILb1ES3_N6thrust23THRUST_200600_302600_NS11hip_rocprim35transform_pair_of_input_iterators_tIiPiSB_NS8_12not_equal_toIiEEEESB_iNS8_4plusIiEEEE10hipError_tPvRmT1_T2_T3_mT4_P12ihipStream_tbEUlT_E0_NS1_11comp_targetILNS1_3genE5ELNS1_11target_archE942ELNS1_3gpuE9ELNS1_3repE0EEENS1_30default_config_static_selectorELNS0_4arch9wavefront6targetE1EEEvSK_,"axG",@progbits,_ZN7rocprim17ROCPRIM_400000_NS6detail17trampoline_kernelINS0_14default_configENS1_22reduce_config_selectorIiEEZNS1_11reduce_implILb1ES3_N6thrust23THRUST_200600_302600_NS11hip_rocprim35transform_pair_of_input_iterators_tIiPiSB_NS8_12not_equal_toIiEEEESB_iNS8_4plusIiEEEE10hipError_tPvRmT1_T2_T3_mT4_P12ihipStream_tbEUlT_E0_NS1_11comp_targetILNS1_3genE5ELNS1_11target_archE942ELNS1_3gpuE9ELNS1_3repE0EEENS1_30default_config_static_selectorELNS0_4arch9wavefront6targetE1EEEvSK_,comdat
.Lfunc_end921:
	.size	_ZN7rocprim17ROCPRIM_400000_NS6detail17trampoline_kernelINS0_14default_configENS1_22reduce_config_selectorIiEEZNS1_11reduce_implILb1ES3_N6thrust23THRUST_200600_302600_NS11hip_rocprim35transform_pair_of_input_iterators_tIiPiSB_NS8_12not_equal_toIiEEEESB_iNS8_4plusIiEEEE10hipError_tPvRmT1_T2_T3_mT4_P12ihipStream_tbEUlT_E0_NS1_11comp_targetILNS1_3genE5ELNS1_11target_archE942ELNS1_3gpuE9ELNS1_3repE0EEENS1_30default_config_static_selectorELNS0_4arch9wavefront6targetE1EEEvSK_, .Lfunc_end921-_ZN7rocprim17ROCPRIM_400000_NS6detail17trampoline_kernelINS0_14default_configENS1_22reduce_config_selectorIiEEZNS1_11reduce_implILb1ES3_N6thrust23THRUST_200600_302600_NS11hip_rocprim35transform_pair_of_input_iterators_tIiPiSB_NS8_12not_equal_toIiEEEESB_iNS8_4plusIiEEEE10hipError_tPvRmT1_T2_T3_mT4_P12ihipStream_tbEUlT_E0_NS1_11comp_targetILNS1_3genE5ELNS1_11target_archE942ELNS1_3gpuE9ELNS1_3repE0EEENS1_30default_config_static_selectorELNS0_4arch9wavefront6targetE1EEEvSK_
                                        ; -- End function
	.section	.AMDGPU.csdata,"",@progbits
; Kernel info:
; codeLenInByte = 0
; NumSgprs: 4
; NumVgprs: 0
; NumAgprs: 0
; TotalNumVgprs: 0
; ScratchSize: 0
; MemoryBound: 0
; FloatMode: 240
; IeeeMode: 1
; LDSByteSize: 0 bytes/workgroup (compile time only)
; SGPRBlocks: 0
; VGPRBlocks: 0
; NumSGPRsForWavesPerEU: 4
; NumVGPRsForWavesPerEU: 1
; AccumOffset: 4
; Occupancy: 8
; WaveLimiterHint : 0
; COMPUTE_PGM_RSRC2:SCRATCH_EN: 0
; COMPUTE_PGM_RSRC2:USER_SGPR: 6
; COMPUTE_PGM_RSRC2:TRAP_HANDLER: 0
; COMPUTE_PGM_RSRC2:TGID_X_EN: 1
; COMPUTE_PGM_RSRC2:TGID_Y_EN: 0
; COMPUTE_PGM_RSRC2:TGID_Z_EN: 0
; COMPUTE_PGM_RSRC2:TIDIG_COMP_CNT: 0
; COMPUTE_PGM_RSRC3_GFX90A:ACCUM_OFFSET: 0
; COMPUTE_PGM_RSRC3_GFX90A:TG_SPLIT: 0
	.section	.text._ZN7rocprim17ROCPRIM_400000_NS6detail17trampoline_kernelINS0_14default_configENS1_22reduce_config_selectorIiEEZNS1_11reduce_implILb1ES3_N6thrust23THRUST_200600_302600_NS11hip_rocprim35transform_pair_of_input_iterators_tIiPiSB_NS8_12not_equal_toIiEEEESB_iNS8_4plusIiEEEE10hipError_tPvRmT1_T2_T3_mT4_P12ihipStream_tbEUlT_E0_NS1_11comp_targetILNS1_3genE4ELNS1_11target_archE910ELNS1_3gpuE8ELNS1_3repE0EEENS1_30default_config_static_selectorELNS0_4arch9wavefront6targetE1EEEvSK_,"axG",@progbits,_ZN7rocprim17ROCPRIM_400000_NS6detail17trampoline_kernelINS0_14default_configENS1_22reduce_config_selectorIiEEZNS1_11reduce_implILb1ES3_N6thrust23THRUST_200600_302600_NS11hip_rocprim35transform_pair_of_input_iterators_tIiPiSB_NS8_12not_equal_toIiEEEESB_iNS8_4plusIiEEEE10hipError_tPvRmT1_T2_T3_mT4_P12ihipStream_tbEUlT_E0_NS1_11comp_targetILNS1_3genE4ELNS1_11target_archE910ELNS1_3gpuE8ELNS1_3repE0EEENS1_30default_config_static_selectorELNS0_4arch9wavefront6targetE1EEEvSK_,comdat
	.protected	_ZN7rocprim17ROCPRIM_400000_NS6detail17trampoline_kernelINS0_14default_configENS1_22reduce_config_selectorIiEEZNS1_11reduce_implILb1ES3_N6thrust23THRUST_200600_302600_NS11hip_rocprim35transform_pair_of_input_iterators_tIiPiSB_NS8_12not_equal_toIiEEEESB_iNS8_4plusIiEEEE10hipError_tPvRmT1_T2_T3_mT4_P12ihipStream_tbEUlT_E0_NS1_11comp_targetILNS1_3genE4ELNS1_11target_archE910ELNS1_3gpuE8ELNS1_3repE0EEENS1_30default_config_static_selectorELNS0_4arch9wavefront6targetE1EEEvSK_ ; -- Begin function _ZN7rocprim17ROCPRIM_400000_NS6detail17trampoline_kernelINS0_14default_configENS1_22reduce_config_selectorIiEEZNS1_11reduce_implILb1ES3_N6thrust23THRUST_200600_302600_NS11hip_rocprim35transform_pair_of_input_iterators_tIiPiSB_NS8_12not_equal_toIiEEEESB_iNS8_4plusIiEEEE10hipError_tPvRmT1_T2_T3_mT4_P12ihipStream_tbEUlT_E0_NS1_11comp_targetILNS1_3genE4ELNS1_11target_archE910ELNS1_3gpuE8ELNS1_3repE0EEENS1_30default_config_static_selectorELNS0_4arch9wavefront6targetE1EEEvSK_
	.globl	_ZN7rocprim17ROCPRIM_400000_NS6detail17trampoline_kernelINS0_14default_configENS1_22reduce_config_selectorIiEEZNS1_11reduce_implILb1ES3_N6thrust23THRUST_200600_302600_NS11hip_rocprim35transform_pair_of_input_iterators_tIiPiSB_NS8_12not_equal_toIiEEEESB_iNS8_4plusIiEEEE10hipError_tPvRmT1_T2_T3_mT4_P12ihipStream_tbEUlT_E0_NS1_11comp_targetILNS1_3genE4ELNS1_11target_archE910ELNS1_3gpuE8ELNS1_3repE0EEENS1_30default_config_static_selectorELNS0_4arch9wavefront6targetE1EEEvSK_
	.p2align	8
	.type	_ZN7rocprim17ROCPRIM_400000_NS6detail17trampoline_kernelINS0_14default_configENS1_22reduce_config_selectorIiEEZNS1_11reduce_implILb1ES3_N6thrust23THRUST_200600_302600_NS11hip_rocprim35transform_pair_of_input_iterators_tIiPiSB_NS8_12not_equal_toIiEEEESB_iNS8_4plusIiEEEE10hipError_tPvRmT1_T2_T3_mT4_P12ihipStream_tbEUlT_E0_NS1_11comp_targetILNS1_3genE4ELNS1_11target_archE910ELNS1_3gpuE8ELNS1_3repE0EEENS1_30default_config_static_selectorELNS0_4arch9wavefront6targetE1EEEvSK_,@function
_ZN7rocprim17ROCPRIM_400000_NS6detail17trampoline_kernelINS0_14default_configENS1_22reduce_config_selectorIiEEZNS1_11reduce_implILb1ES3_N6thrust23THRUST_200600_302600_NS11hip_rocprim35transform_pair_of_input_iterators_tIiPiSB_NS8_12not_equal_toIiEEEESB_iNS8_4plusIiEEEE10hipError_tPvRmT1_T2_T3_mT4_P12ihipStream_tbEUlT_E0_NS1_11comp_targetILNS1_3genE4ELNS1_11target_archE910ELNS1_3gpuE8ELNS1_3repE0EEENS1_30default_config_static_selectorELNS0_4arch9wavefront6targetE1EEEvSK_: ; @_ZN7rocprim17ROCPRIM_400000_NS6detail17trampoline_kernelINS0_14default_configENS1_22reduce_config_selectorIiEEZNS1_11reduce_implILb1ES3_N6thrust23THRUST_200600_302600_NS11hip_rocprim35transform_pair_of_input_iterators_tIiPiSB_NS8_12not_equal_toIiEEEESB_iNS8_4plusIiEEEE10hipError_tPvRmT1_T2_T3_mT4_P12ihipStream_tbEUlT_E0_NS1_11comp_targetILNS1_3genE4ELNS1_11target_archE910ELNS1_3gpuE8ELNS1_3repE0EEENS1_30default_config_static_selectorELNS0_4arch9wavefront6targetE1EEEvSK_
; %bb.0:
	s_load_dwordx8 s[16:23], s[4:5], 0x18
	s_load_dwordx4 s[0:3], s[4:5], 0x0
	s_load_dwordx2 s[24:25], s[4:5], 0x38
	v_lshlrev_b32_e32 v10, 2, v0
	v_mbcnt_lo_u32_b32 v1, -1, 0
	s_waitcnt lgkmcnt(0)
	s_lshl_b64 s[8:9], s[16:17], 2
	s_add_u32 s10, s0, s8
	s_addc_u32 s11, s1, s9
	s_add_u32 s12, s2, s8
	s_addc_u32 s13, s3, s9
	s_lshl_b32 s0, s6, 10
	s_mov_b32 s1, 0
	s_lshr_b64 s[2:3], s[18:19], 10
	s_lshl_b64 s[8:9], s[0:1], 2
	s_add_u32 s14, s10, s8
	s_addc_u32 s15, s11, s9
	s_add_u32 s16, s12, s8
	s_mov_b32 s7, s1
	s_addc_u32 s17, s13, s9
	s_cmp_lg_u64 s[2:3], s[6:7]
	s_cbranch_scc0 .LBB922_6
; %bb.1:
	global_load_dword v2, v10, s[14:15]
	global_load_dword v5, v10, s[16:17]
	global_load_dword v6, v10, s[14:15] offset:1024
	global_load_dword v7, v10, s[16:17] offset:1024
	;; [unrolled: 1-line block ×14, first 2 shown]
	v_mbcnt_hi_u32_b32 v3, -1, v1
	v_lshlrev_b32_e32 v4, 2, v3
	s_waitcnt vmcnt(14)
	v_cmp_ne_u32_e32 vcc, v2, v5
	v_cndmask_b32_e64 v2, 0, 1, vcc
	s_waitcnt vmcnt(12)
	v_cmp_ne_u32_e32 vcc, v6, v7
	v_cndmask_b32_e64 v5, 0, 1, vcc
	s_waitcnt vmcnt(10)
	v_cmp_ne_u32_e32 vcc, v8, v9
	v_cndmask_b32_e64 v6, 0, 1, vcc
	s_waitcnt vmcnt(8)
	v_cmp_ne_u32_e32 vcc, v11, v12
	v_cndmask_b32_e64 v7, 0, 1, vcc
	s_waitcnt vmcnt(6)
	v_cmp_ne_u32_e32 vcc, v13, v14
	v_addc_co_u32_e32 v2, vcc, 0, v2, vcc
	s_waitcnt vmcnt(4)
	v_cmp_ne_u32_e32 vcc, v15, v16
	v_addc_co_u32_e32 v2, vcc, v2, v5, vcc
	;; [unrolled: 3-line block ×4, first 2 shown]
	v_or_b32_e32 v5, 0xfc, v4
	s_nop 0
	v_add_u32_dpp v2, v2, v2 quad_perm:[1,0,3,2] row_mask:0xf bank_mask:0xf bound_ctrl:1
	v_cmp_eq_u32_e32 vcc, 0, v3
	s_nop 0
	v_add_u32_dpp v2, v2, v2 quad_perm:[2,3,0,1] row_mask:0xf bank_mask:0xf bound_ctrl:1
	s_nop 1
	v_add_u32_dpp v2, v2, v2 row_ror:4 row_mask:0xf bank_mask:0xf bound_ctrl:1
	s_nop 1
	v_add_u32_dpp v2, v2, v2 row_ror:8 row_mask:0xf bank_mask:0xf bound_ctrl:1
	s_nop 1
	v_add_u32_dpp v2, v2, v2 row_bcast:15 row_mask:0xf bank_mask:0xf bound_ctrl:1
	s_nop 1
	v_add_u32_dpp v2, v2, v2 row_bcast:31 row_mask:0xf bank_mask:0xf bound_ctrl:1
	ds_bpermute_b32 v2, v5, v2
	s_and_saveexec_b64 s[2:3], vcc
	s_cbranch_execz .LBB922_3
; %bb.2:
	v_lshrrev_b32_e32 v5, 4, v0
	v_and_b32_e32 v5, 4, v5
	s_waitcnt lgkmcnt(0)
	ds_write_b32 v5, v2
.LBB922_3:
	s_or_b64 exec, exec, s[2:3]
	v_cmp_gt_u32_e32 vcc, 64, v0
	s_waitcnt lgkmcnt(0)
	s_barrier
	s_and_saveexec_b64 s[2:3], vcc
	s_cbranch_execz .LBB922_5
; %bb.4:
	v_and_b32_e32 v2, 1, v3
	v_lshlrev_b32_e32 v2, 2, v2
	ds_read_b32 v2, v2
	v_or_b32_e32 v3, 4, v4
	s_waitcnt lgkmcnt(0)
	ds_bpermute_b32 v3, v3, v2
	s_waitcnt lgkmcnt(0)
	v_add_u32_e32 v2, v3, v2
.LBB922_5:
	s_or_b64 exec, exec, s[2:3]
	s_load_dword s28, s[4:5], 0x40
	s_branch .LBB922_28
.LBB922_6:
                                        ; implicit-def: $vgpr2
	s_load_dword s28, s[4:5], 0x40
	s_cbranch_execz .LBB922_28
; %bb.7:
	s_sub_i32 s29, s18, s0
	v_cmp_gt_u32_e32 vcc, s29, v0
                                        ; implicit-def: $vgpr2_vgpr3_vgpr4_vgpr5_vgpr6_vgpr7_vgpr8_vgpr9
	s_and_saveexec_b64 s[0:1], vcc
	s_cbranch_execz .LBB922_9
; %bb.8:
	global_load_dword v2, v10, s[14:15]
	global_load_dword v3, v10, s[16:17]
	s_waitcnt vmcnt(0)
	v_cmp_ne_u32_e32 vcc, v2, v3
	v_cndmask_b32_e64 v2, 0, 1, vcc
.LBB922_9:
	s_or_b64 exec, exec, s[0:1]
	v_or_b32_e32 v11, 0x80, v0
	v_cmp_gt_u32_e32 vcc, s29, v11
	s_and_saveexec_b64 s[2:3], vcc
	s_cbranch_execz .LBB922_11
; %bb.10:
	global_load_dword v3, v10, s[14:15] offset:512
	global_load_dword v11, v10, s[16:17] offset:512
	s_waitcnt vmcnt(0)
	v_cmp_ne_u32_e64 s[0:1], v3, v11
	v_cndmask_b32_e64 v3, 0, 1, s[0:1]
.LBB922_11:
	s_or_b64 exec, exec, s[2:3]
	v_or_b32_e32 v11, 0x100, v0
	v_cmp_gt_u32_e64 s[0:1], s29, v11
	s_and_saveexec_b64 s[4:5], s[0:1]
	s_cbranch_execz .LBB922_13
; %bb.12:
	global_load_dword v4, v10, s[14:15] offset:1024
	global_load_dword v11, v10, s[16:17] offset:1024
	s_waitcnt vmcnt(0)
	v_cmp_ne_u32_e64 s[2:3], v4, v11
	v_cndmask_b32_e64 v4, 0, 1, s[2:3]
.LBB922_13:
	s_or_b64 exec, exec, s[4:5]
	v_or_b32_e32 v11, 0x180, v0
	v_cmp_gt_u32_e64 s[2:3], s29, v11
	s_and_saveexec_b64 s[8:9], s[2:3]
	;; [unrolled: 12-line block ×6, first 2 shown]
	s_cbranch_execz .LBB922_23
; %bb.22:
	global_load_dword v9, v10, s[14:15] offset:3584
	global_load_dword v11, v10, s[16:17] offset:3584
	s_waitcnt vmcnt(0)
	v_cmp_ne_u32_e64 s[14:15], v9, v11
	v_cndmask_b32_e64 v9, 0, 1, s[14:15]
.LBB922_23:
	s_or_b64 exec, exec, s[26:27]
	v_cndmask_b32_e32 v3, 0, v3, vcc
	v_add_u32_e32 v2, v3, v2
	v_cndmask_b32_e64 v3, 0, v4, s[0:1]
	v_cndmask_b32_e64 v4, 0, v5, s[2:3]
	v_add3_u32 v2, v2, v3, v4
	v_cndmask_b32_e64 v3, 0, v6, s[4:5]
	v_cndmask_b32_e64 v4, 0, v7, s[8:9]
	v_add3_u32 v2, v2, v3, v4
	v_cndmask_b32_e64 v3, 0, v8, s[10:11]
	v_cndmask_b32_e64 v4, 0, v9, s[12:13]
	v_mbcnt_hi_u32_b32 v1, -1, v1
	v_add3_u32 v2, v2, v3, v4
	v_and_b32_e32 v3, 63, v1
	v_cmp_ne_u32_e32 vcc, 63, v3
	v_addc_co_u32_e32 v4, vcc, 0, v1, vcc
	v_lshlrev_b32_e32 v4, 2, v4
	ds_bpermute_b32 v4, v4, v2
	s_min_u32 s2, s29, 0x80
	v_and_b32_e32 v5, 64, v0
	v_sub_u32_e64 v5, s2, v5 clamp
	v_add_u32_e32 v6, 1, v3
	v_cmp_lt_u32_e32 vcc, v6, v5
	s_waitcnt lgkmcnt(0)
	v_cndmask_b32_e32 v4, 0, v4, vcc
	v_cmp_gt_u32_e32 vcc, 62, v3
	v_add_u32_e32 v2, v2, v4
	v_cndmask_b32_e64 v4, 0, 1, vcc
	v_lshlrev_b32_e32 v4, 1, v4
	v_add_lshl_u32 v4, v4, v1, 2
	ds_bpermute_b32 v4, v4, v2
	v_add_u32_e32 v6, 2, v3
	v_cmp_lt_u32_e32 vcc, v6, v5
	v_add_u32_e32 v6, 4, v3
	s_waitcnt lgkmcnt(0)
	v_cndmask_b32_e32 v4, 0, v4, vcc
	v_cmp_gt_u32_e32 vcc, 60, v3
	v_add_u32_e32 v2, v2, v4
	v_cndmask_b32_e64 v4, 0, 1, vcc
	v_lshlrev_b32_e32 v4, 2, v4
	v_add_lshl_u32 v4, v4, v1, 2
	ds_bpermute_b32 v4, v4, v2
	v_cmp_lt_u32_e32 vcc, v6, v5
	v_add_u32_e32 v6, 8, v3
	s_waitcnt lgkmcnt(0)
	v_cndmask_b32_e32 v4, 0, v4, vcc
	v_cmp_gt_u32_e32 vcc, 56, v3
	v_add_u32_e32 v2, v2, v4
	v_cndmask_b32_e64 v4, 0, 1, vcc
	v_lshlrev_b32_e32 v4, 3, v4
	v_add_lshl_u32 v4, v4, v1, 2
	ds_bpermute_b32 v4, v4, v2
	;; [unrolled: 10-line block ×3, first 2 shown]
	v_cmp_lt_u32_e32 vcc, v6, v5
	s_waitcnt lgkmcnt(0)
	v_cndmask_b32_e32 v4, 0, v4, vcc
	v_cmp_gt_u32_e32 vcc, 32, v3
	v_add_u32_e32 v2, v2, v4
	v_cndmask_b32_e64 v4, 0, 1, vcc
	v_lshlrev_b32_e32 v4, 5, v4
	v_add_lshl_u32 v4, v4, v1, 2
	ds_bpermute_b32 v4, v4, v2
	v_add_u32_e32 v3, 32, v3
	v_cmp_lt_u32_e32 vcc, v3, v5
	s_waitcnt lgkmcnt(0)
	v_cndmask_b32_e32 v3, 0, v4, vcc
	v_add_u32_e32 v2, v2, v3
	v_cmp_eq_u32_e32 vcc, 0, v1
	s_and_saveexec_b64 s[0:1], vcc
	s_cbranch_execz .LBB922_25
; %bb.24:
	v_lshrrev_b32_e32 v3, 4, v0
	v_and_b32_e32 v3, 4, v3
	ds_write_b32 v3, v2 offset:8
.LBB922_25:
	s_or_b64 exec, exec, s[0:1]
	v_cmp_gt_u32_e32 vcc, 2, v0
	s_waitcnt lgkmcnt(0)
	s_barrier
	s_and_saveexec_b64 s[0:1], vcc
	s_cbranch_execz .LBB922_27
; %bb.26:
	v_lshlrev_b32_e32 v2, 2, v1
	ds_read_b32 v3, v2 offset:8
	v_or_b32_e32 v2, 4, v2
	s_add_i32 s2, s2, 63
	v_and_b32_e32 v1, 1, v1
	s_lshr_b32 s2, s2, 6
	s_waitcnt lgkmcnt(0)
	ds_bpermute_b32 v2, v2, v3
	v_add_u32_e32 v1, 1, v1
	v_cmp_gt_u32_e32 vcc, s2, v1
	s_waitcnt lgkmcnt(0)
	v_cndmask_b32_e32 v1, 0, v2, vcc
	v_add_u32_e32 v2, v1, v3
.LBB922_27:
	s_or_b64 exec, exec, s[0:1]
.LBB922_28:
	v_cmp_eq_u32_e32 vcc, 0, v0
	s_and_saveexec_b64 s[0:1], vcc
	s_cbranch_execnz .LBB922_30
; %bb.29:
	s_endpgm
.LBB922_30:
	s_mul_i32 s0, s24, s23
	s_mul_hi_u32 s1, s24, s22
	s_add_i32 s0, s1, s0
	s_mul_i32 s1, s25, s22
	s_add_i32 s1, s0, s1
	s_mul_i32 s0, s24, s22
	s_lshl_b64 s[0:1], s[0:1], 2
	s_add_u32 s2, s20, s0
	s_addc_u32 s3, s21, s1
	s_cmp_eq_u64 s[18:19], 0
	s_cselect_b64 vcc, -1, 0
	s_lshl_b64 s[0:1], s[6:7], 2
	s_waitcnt lgkmcnt(0)
	v_mov_b32_e32 v0, s28
	s_add_u32 s0, s2, s0
	v_cndmask_b32_e32 v0, v2, v0, vcc
	s_addc_u32 s1, s3, s1
	v_mov_b32_e32 v1, 0
	global_store_dword v1, v0, s[0:1]
	s_endpgm
	.section	.rodata,"a",@progbits
	.p2align	6, 0x0
	.amdhsa_kernel _ZN7rocprim17ROCPRIM_400000_NS6detail17trampoline_kernelINS0_14default_configENS1_22reduce_config_selectorIiEEZNS1_11reduce_implILb1ES3_N6thrust23THRUST_200600_302600_NS11hip_rocprim35transform_pair_of_input_iterators_tIiPiSB_NS8_12not_equal_toIiEEEESB_iNS8_4plusIiEEEE10hipError_tPvRmT1_T2_T3_mT4_P12ihipStream_tbEUlT_E0_NS1_11comp_targetILNS1_3genE4ELNS1_11target_archE910ELNS1_3gpuE8ELNS1_3repE0EEENS1_30default_config_static_selectorELNS0_4arch9wavefront6targetE1EEEvSK_
		.amdhsa_group_segment_fixed_size 16
		.amdhsa_private_segment_fixed_size 0
		.amdhsa_kernarg_size 72
		.amdhsa_user_sgpr_count 6
		.amdhsa_user_sgpr_private_segment_buffer 1
		.amdhsa_user_sgpr_dispatch_ptr 0
		.amdhsa_user_sgpr_queue_ptr 0
		.amdhsa_user_sgpr_kernarg_segment_ptr 1
		.amdhsa_user_sgpr_dispatch_id 0
		.amdhsa_user_sgpr_flat_scratch_init 0
		.amdhsa_user_sgpr_kernarg_preload_length 0
		.amdhsa_user_sgpr_kernarg_preload_offset 0
		.amdhsa_user_sgpr_private_segment_size 0
		.amdhsa_uses_dynamic_stack 0
		.amdhsa_system_sgpr_private_segment_wavefront_offset 0
		.amdhsa_system_sgpr_workgroup_id_x 1
		.amdhsa_system_sgpr_workgroup_id_y 0
		.amdhsa_system_sgpr_workgroup_id_z 0
		.amdhsa_system_sgpr_workgroup_info 0
		.amdhsa_system_vgpr_workitem_id 0
		.amdhsa_next_free_vgpr 21
		.amdhsa_next_free_sgpr 30
		.amdhsa_accum_offset 24
		.amdhsa_reserve_vcc 1
		.amdhsa_reserve_flat_scratch 0
		.amdhsa_float_round_mode_32 0
		.amdhsa_float_round_mode_16_64 0
		.amdhsa_float_denorm_mode_32 3
		.amdhsa_float_denorm_mode_16_64 3
		.amdhsa_dx10_clamp 1
		.amdhsa_ieee_mode 1
		.amdhsa_fp16_overflow 0
		.amdhsa_tg_split 0
		.amdhsa_exception_fp_ieee_invalid_op 0
		.amdhsa_exception_fp_denorm_src 0
		.amdhsa_exception_fp_ieee_div_zero 0
		.amdhsa_exception_fp_ieee_overflow 0
		.amdhsa_exception_fp_ieee_underflow 0
		.amdhsa_exception_fp_ieee_inexact 0
		.amdhsa_exception_int_div_zero 0
	.end_amdhsa_kernel
	.section	.text._ZN7rocprim17ROCPRIM_400000_NS6detail17trampoline_kernelINS0_14default_configENS1_22reduce_config_selectorIiEEZNS1_11reduce_implILb1ES3_N6thrust23THRUST_200600_302600_NS11hip_rocprim35transform_pair_of_input_iterators_tIiPiSB_NS8_12not_equal_toIiEEEESB_iNS8_4plusIiEEEE10hipError_tPvRmT1_T2_T3_mT4_P12ihipStream_tbEUlT_E0_NS1_11comp_targetILNS1_3genE4ELNS1_11target_archE910ELNS1_3gpuE8ELNS1_3repE0EEENS1_30default_config_static_selectorELNS0_4arch9wavefront6targetE1EEEvSK_,"axG",@progbits,_ZN7rocprim17ROCPRIM_400000_NS6detail17trampoline_kernelINS0_14default_configENS1_22reduce_config_selectorIiEEZNS1_11reduce_implILb1ES3_N6thrust23THRUST_200600_302600_NS11hip_rocprim35transform_pair_of_input_iterators_tIiPiSB_NS8_12not_equal_toIiEEEESB_iNS8_4plusIiEEEE10hipError_tPvRmT1_T2_T3_mT4_P12ihipStream_tbEUlT_E0_NS1_11comp_targetILNS1_3genE4ELNS1_11target_archE910ELNS1_3gpuE8ELNS1_3repE0EEENS1_30default_config_static_selectorELNS0_4arch9wavefront6targetE1EEEvSK_,comdat
.Lfunc_end922:
	.size	_ZN7rocprim17ROCPRIM_400000_NS6detail17trampoline_kernelINS0_14default_configENS1_22reduce_config_selectorIiEEZNS1_11reduce_implILb1ES3_N6thrust23THRUST_200600_302600_NS11hip_rocprim35transform_pair_of_input_iterators_tIiPiSB_NS8_12not_equal_toIiEEEESB_iNS8_4plusIiEEEE10hipError_tPvRmT1_T2_T3_mT4_P12ihipStream_tbEUlT_E0_NS1_11comp_targetILNS1_3genE4ELNS1_11target_archE910ELNS1_3gpuE8ELNS1_3repE0EEENS1_30default_config_static_selectorELNS0_4arch9wavefront6targetE1EEEvSK_, .Lfunc_end922-_ZN7rocprim17ROCPRIM_400000_NS6detail17trampoline_kernelINS0_14default_configENS1_22reduce_config_selectorIiEEZNS1_11reduce_implILb1ES3_N6thrust23THRUST_200600_302600_NS11hip_rocprim35transform_pair_of_input_iterators_tIiPiSB_NS8_12not_equal_toIiEEEESB_iNS8_4plusIiEEEE10hipError_tPvRmT1_T2_T3_mT4_P12ihipStream_tbEUlT_E0_NS1_11comp_targetILNS1_3genE4ELNS1_11target_archE910ELNS1_3gpuE8ELNS1_3repE0EEENS1_30default_config_static_selectorELNS0_4arch9wavefront6targetE1EEEvSK_
                                        ; -- End function
	.section	.AMDGPU.csdata,"",@progbits
; Kernel info:
; codeLenInByte = 1692
; NumSgprs: 34
; NumVgprs: 21
; NumAgprs: 0
; TotalNumVgprs: 21
; ScratchSize: 0
; MemoryBound: 0
; FloatMode: 240
; IeeeMode: 1
; LDSByteSize: 16 bytes/workgroup (compile time only)
; SGPRBlocks: 4
; VGPRBlocks: 2
; NumSGPRsForWavesPerEU: 34
; NumVGPRsForWavesPerEU: 21
; AccumOffset: 24
; Occupancy: 8
; WaveLimiterHint : 0
; COMPUTE_PGM_RSRC2:SCRATCH_EN: 0
; COMPUTE_PGM_RSRC2:USER_SGPR: 6
; COMPUTE_PGM_RSRC2:TRAP_HANDLER: 0
; COMPUTE_PGM_RSRC2:TGID_X_EN: 1
; COMPUTE_PGM_RSRC2:TGID_Y_EN: 0
; COMPUTE_PGM_RSRC2:TGID_Z_EN: 0
; COMPUTE_PGM_RSRC2:TIDIG_COMP_CNT: 0
; COMPUTE_PGM_RSRC3_GFX90A:ACCUM_OFFSET: 5
; COMPUTE_PGM_RSRC3_GFX90A:TG_SPLIT: 0
	.section	.text._ZN7rocprim17ROCPRIM_400000_NS6detail17trampoline_kernelINS0_14default_configENS1_22reduce_config_selectorIiEEZNS1_11reduce_implILb1ES3_N6thrust23THRUST_200600_302600_NS11hip_rocprim35transform_pair_of_input_iterators_tIiPiSB_NS8_12not_equal_toIiEEEESB_iNS8_4plusIiEEEE10hipError_tPvRmT1_T2_T3_mT4_P12ihipStream_tbEUlT_E0_NS1_11comp_targetILNS1_3genE3ELNS1_11target_archE908ELNS1_3gpuE7ELNS1_3repE0EEENS1_30default_config_static_selectorELNS0_4arch9wavefront6targetE1EEEvSK_,"axG",@progbits,_ZN7rocprim17ROCPRIM_400000_NS6detail17trampoline_kernelINS0_14default_configENS1_22reduce_config_selectorIiEEZNS1_11reduce_implILb1ES3_N6thrust23THRUST_200600_302600_NS11hip_rocprim35transform_pair_of_input_iterators_tIiPiSB_NS8_12not_equal_toIiEEEESB_iNS8_4plusIiEEEE10hipError_tPvRmT1_T2_T3_mT4_P12ihipStream_tbEUlT_E0_NS1_11comp_targetILNS1_3genE3ELNS1_11target_archE908ELNS1_3gpuE7ELNS1_3repE0EEENS1_30default_config_static_selectorELNS0_4arch9wavefront6targetE1EEEvSK_,comdat
	.protected	_ZN7rocprim17ROCPRIM_400000_NS6detail17trampoline_kernelINS0_14default_configENS1_22reduce_config_selectorIiEEZNS1_11reduce_implILb1ES3_N6thrust23THRUST_200600_302600_NS11hip_rocprim35transform_pair_of_input_iterators_tIiPiSB_NS8_12not_equal_toIiEEEESB_iNS8_4plusIiEEEE10hipError_tPvRmT1_T2_T3_mT4_P12ihipStream_tbEUlT_E0_NS1_11comp_targetILNS1_3genE3ELNS1_11target_archE908ELNS1_3gpuE7ELNS1_3repE0EEENS1_30default_config_static_selectorELNS0_4arch9wavefront6targetE1EEEvSK_ ; -- Begin function _ZN7rocprim17ROCPRIM_400000_NS6detail17trampoline_kernelINS0_14default_configENS1_22reduce_config_selectorIiEEZNS1_11reduce_implILb1ES3_N6thrust23THRUST_200600_302600_NS11hip_rocprim35transform_pair_of_input_iterators_tIiPiSB_NS8_12not_equal_toIiEEEESB_iNS8_4plusIiEEEE10hipError_tPvRmT1_T2_T3_mT4_P12ihipStream_tbEUlT_E0_NS1_11comp_targetILNS1_3genE3ELNS1_11target_archE908ELNS1_3gpuE7ELNS1_3repE0EEENS1_30default_config_static_selectorELNS0_4arch9wavefront6targetE1EEEvSK_
	.globl	_ZN7rocprim17ROCPRIM_400000_NS6detail17trampoline_kernelINS0_14default_configENS1_22reduce_config_selectorIiEEZNS1_11reduce_implILb1ES3_N6thrust23THRUST_200600_302600_NS11hip_rocprim35transform_pair_of_input_iterators_tIiPiSB_NS8_12not_equal_toIiEEEESB_iNS8_4plusIiEEEE10hipError_tPvRmT1_T2_T3_mT4_P12ihipStream_tbEUlT_E0_NS1_11comp_targetILNS1_3genE3ELNS1_11target_archE908ELNS1_3gpuE7ELNS1_3repE0EEENS1_30default_config_static_selectorELNS0_4arch9wavefront6targetE1EEEvSK_
	.p2align	8
	.type	_ZN7rocprim17ROCPRIM_400000_NS6detail17trampoline_kernelINS0_14default_configENS1_22reduce_config_selectorIiEEZNS1_11reduce_implILb1ES3_N6thrust23THRUST_200600_302600_NS11hip_rocprim35transform_pair_of_input_iterators_tIiPiSB_NS8_12not_equal_toIiEEEESB_iNS8_4plusIiEEEE10hipError_tPvRmT1_T2_T3_mT4_P12ihipStream_tbEUlT_E0_NS1_11comp_targetILNS1_3genE3ELNS1_11target_archE908ELNS1_3gpuE7ELNS1_3repE0EEENS1_30default_config_static_selectorELNS0_4arch9wavefront6targetE1EEEvSK_,@function
_ZN7rocprim17ROCPRIM_400000_NS6detail17trampoline_kernelINS0_14default_configENS1_22reduce_config_selectorIiEEZNS1_11reduce_implILb1ES3_N6thrust23THRUST_200600_302600_NS11hip_rocprim35transform_pair_of_input_iterators_tIiPiSB_NS8_12not_equal_toIiEEEESB_iNS8_4plusIiEEEE10hipError_tPvRmT1_T2_T3_mT4_P12ihipStream_tbEUlT_E0_NS1_11comp_targetILNS1_3genE3ELNS1_11target_archE908ELNS1_3gpuE7ELNS1_3repE0EEENS1_30default_config_static_selectorELNS0_4arch9wavefront6targetE1EEEvSK_: ; @_ZN7rocprim17ROCPRIM_400000_NS6detail17trampoline_kernelINS0_14default_configENS1_22reduce_config_selectorIiEEZNS1_11reduce_implILb1ES3_N6thrust23THRUST_200600_302600_NS11hip_rocprim35transform_pair_of_input_iterators_tIiPiSB_NS8_12not_equal_toIiEEEESB_iNS8_4plusIiEEEE10hipError_tPvRmT1_T2_T3_mT4_P12ihipStream_tbEUlT_E0_NS1_11comp_targetILNS1_3genE3ELNS1_11target_archE908ELNS1_3gpuE7ELNS1_3repE0EEENS1_30default_config_static_selectorELNS0_4arch9wavefront6targetE1EEEvSK_
; %bb.0:
	.section	.rodata,"a",@progbits
	.p2align	6, 0x0
	.amdhsa_kernel _ZN7rocprim17ROCPRIM_400000_NS6detail17trampoline_kernelINS0_14default_configENS1_22reduce_config_selectorIiEEZNS1_11reduce_implILb1ES3_N6thrust23THRUST_200600_302600_NS11hip_rocprim35transform_pair_of_input_iterators_tIiPiSB_NS8_12not_equal_toIiEEEESB_iNS8_4plusIiEEEE10hipError_tPvRmT1_T2_T3_mT4_P12ihipStream_tbEUlT_E0_NS1_11comp_targetILNS1_3genE3ELNS1_11target_archE908ELNS1_3gpuE7ELNS1_3repE0EEENS1_30default_config_static_selectorELNS0_4arch9wavefront6targetE1EEEvSK_
		.amdhsa_group_segment_fixed_size 0
		.amdhsa_private_segment_fixed_size 0
		.amdhsa_kernarg_size 72
		.amdhsa_user_sgpr_count 6
		.amdhsa_user_sgpr_private_segment_buffer 1
		.amdhsa_user_sgpr_dispatch_ptr 0
		.amdhsa_user_sgpr_queue_ptr 0
		.amdhsa_user_sgpr_kernarg_segment_ptr 1
		.amdhsa_user_sgpr_dispatch_id 0
		.amdhsa_user_sgpr_flat_scratch_init 0
		.amdhsa_user_sgpr_kernarg_preload_length 0
		.amdhsa_user_sgpr_kernarg_preload_offset 0
		.amdhsa_user_sgpr_private_segment_size 0
		.amdhsa_uses_dynamic_stack 0
		.amdhsa_system_sgpr_private_segment_wavefront_offset 0
		.amdhsa_system_sgpr_workgroup_id_x 1
		.amdhsa_system_sgpr_workgroup_id_y 0
		.amdhsa_system_sgpr_workgroup_id_z 0
		.amdhsa_system_sgpr_workgroup_info 0
		.amdhsa_system_vgpr_workitem_id 0
		.amdhsa_next_free_vgpr 1
		.amdhsa_next_free_sgpr 0
		.amdhsa_accum_offset 4
		.amdhsa_reserve_vcc 0
		.amdhsa_reserve_flat_scratch 0
		.amdhsa_float_round_mode_32 0
		.amdhsa_float_round_mode_16_64 0
		.amdhsa_float_denorm_mode_32 3
		.amdhsa_float_denorm_mode_16_64 3
		.amdhsa_dx10_clamp 1
		.amdhsa_ieee_mode 1
		.amdhsa_fp16_overflow 0
		.amdhsa_tg_split 0
		.amdhsa_exception_fp_ieee_invalid_op 0
		.amdhsa_exception_fp_denorm_src 0
		.amdhsa_exception_fp_ieee_div_zero 0
		.amdhsa_exception_fp_ieee_overflow 0
		.amdhsa_exception_fp_ieee_underflow 0
		.amdhsa_exception_fp_ieee_inexact 0
		.amdhsa_exception_int_div_zero 0
	.end_amdhsa_kernel
	.section	.text._ZN7rocprim17ROCPRIM_400000_NS6detail17trampoline_kernelINS0_14default_configENS1_22reduce_config_selectorIiEEZNS1_11reduce_implILb1ES3_N6thrust23THRUST_200600_302600_NS11hip_rocprim35transform_pair_of_input_iterators_tIiPiSB_NS8_12not_equal_toIiEEEESB_iNS8_4plusIiEEEE10hipError_tPvRmT1_T2_T3_mT4_P12ihipStream_tbEUlT_E0_NS1_11comp_targetILNS1_3genE3ELNS1_11target_archE908ELNS1_3gpuE7ELNS1_3repE0EEENS1_30default_config_static_selectorELNS0_4arch9wavefront6targetE1EEEvSK_,"axG",@progbits,_ZN7rocprim17ROCPRIM_400000_NS6detail17trampoline_kernelINS0_14default_configENS1_22reduce_config_selectorIiEEZNS1_11reduce_implILb1ES3_N6thrust23THRUST_200600_302600_NS11hip_rocprim35transform_pair_of_input_iterators_tIiPiSB_NS8_12not_equal_toIiEEEESB_iNS8_4plusIiEEEE10hipError_tPvRmT1_T2_T3_mT4_P12ihipStream_tbEUlT_E0_NS1_11comp_targetILNS1_3genE3ELNS1_11target_archE908ELNS1_3gpuE7ELNS1_3repE0EEENS1_30default_config_static_selectorELNS0_4arch9wavefront6targetE1EEEvSK_,comdat
.Lfunc_end923:
	.size	_ZN7rocprim17ROCPRIM_400000_NS6detail17trampoline_kernelINS0_14default_configENS1_22reduce_config_selectorIiEEZNS1_11reduce_implILb1ES3_N6thrust23THRUST_200600_302600_NS11hip_rocprim35transform_pair_of_input_iterators_tIiPiSB_NS8_12not_equal_toIiEEEESB_iNS8_4plusIiEEEE10hipError_tPvRmT1_T2_T3_mT4_P12ihipStream_tbEUlT_E0_NS1_11comp_targetILNS1_3genE3ELNS1_11target_archE908ELNS1_3gpuE7ELNS1_3repE0EEENS1_30default_config_static_selectorELNS0_4arch9wavefront6targetE1EEEvSK_, .Lfunc_end923-_ZN7rocprim17ROCPRIM_400000_NS6detail17trampoline_kernelINS0_14default_configENS1_22reduce_config_selectorIiEEZNS1_11reduce_implILb1ES3_N6thrust23THRUST_200600_302600_NS11hip_rocprim35transform_pair_of_input_iterators_tIiPiSB_NS8_12not_equal_toIiEEEESB_iNS8_4plusIiEEEE10hipError_tPvRmT1_T2_T3_mT4_P12ihipStream_tbEUlT_E0_NS1_11comp_targetILNS1_3genE3ELNS1_11target_archE908ELNS1_3gpuE7ELNS1_3repE0EEENS1_30default_config_static_selectorELNS0_4arch9wavefront6targetE1EEEvSK_
                                        ; -- End function
	.section	.AMDGPU.csdata,"",@progbits
; Kernel info:
; codeLenInByte = 0
; NumSgprs: 4
; NumVgprs: 0
; NumAgprs: 0
; TotalNumVgprs: 0
; ScratchSize: 0
; MemoryBound: 0
; FloatMode: 240
; IeeeMode: 1
; LDSByteSize: 0 bytes/workgroup (compile time only)
; SGPRBlocks: 0
; VGPRBlocks: 0
; NumSGPRsForWavesPerEU: 4
; NumVGPRsForWavesPerEU: 1
; AccumOffset: 4
; Occupancy: 8
; WaveLimiterHint : 0
; COMPUTE_PGM_RSRC2:SCRATCH_EN: 0
; COMPUTE_PGM_RSRC2:USER_SGPR: 6
; COMPUTE_PGM_RSRC2:TRAP_HANDLER: 0
; COMPUTE_PGM_RSRC2:TGID_X_EN: 1
; COMPUTE_PGM_RSRC2:TGID_Y_EN: 0
; COMPUTE_PGM_RSRC2:TGID_Z_EN: 0
; COMPUTE_PGM_RSRC2:TIDIG_COMP_CNT: 0
; COMPUTE_PGM_RSRC3_GFX90A:ACCUM_OFFSET: 0
; COMPUTE_PGM_RSRC3_GFX90A:TG_SPLIT: 0
	.section	.text._ZN7rocprim17ROCPRIM_400000_NS6detail17trampoline_kernelINS0_14default_configENS1_22reduce_config_selectorIiEEZNS1_11reduce_implILb1ES3_N6thrust23THRUST_200600_302600_NS11hip_rocprim35transform_pair_of_input_iterators_tIiPiSB_NS8_12not_equal_toIiEEEESB_iNS8_4plusIiEEEE10hipError_tPvRmT1_T2_T3_mT4_P12ihipStream_tbEUlT_E0_NS1_11comp_targetILNS1_3genE2ELNS1_11target_archE906ELNS1_3gpuE6ELNS1_3repE0EEENS1_30default_config_static_selectorELNS0_4arch9wavefront6targetE1EEEvSK_,"axG",@progbits,_ZN7rocprim17ROCPRIM_400000_NS6detail17trampoline_kernelINS0_14default_configENS1_22reduce_config_selectorIiEEZNS1_11reduce_implILb1ES3_N6thrust23THRUST_200600_302600_NS11hip_rocprim35transform_pair_of_input_iterators_tIiPiSB_NS8_12not_equal_toIiEEEESB_iNS8_4plusIiEEEE10hipError_tPvRmT1_T2_T3_mT4_P12ihipStream_tbEUlT_E0_NS1_11comp_targetILNS1_3genE2ELNS1_11target_archE906ELNS1_3gpuE6ELNS1_3repE0EEENS1_30default_config_static_selectorELNS0_4arch9wavefront6targetE1EEEvSK_,comdat
	.protected	_ZN7rocprim17ROCPRIM_400000_NS6detail17trampoline_kernelINS0_14default_configENS1_22reduce_config_selectorIiEEZNS1_11reduce_implILb1ES3_N6thrust23THRUST_200600_302600_NS11hip_rocprim35transform_pair_of_input_iterators_tIiPiSB_NS8_12not_equal_toIiEEEESB_iNS8_4plusIiEEEE10hipError_tPvRmT1_T2_T3_mT4_P12ihipStream_tbEUlT_E0_NS1_11comp_targetILNS1_3genE2ELNS1_11target_archE906ELNS1_3gpuE6ELNS1_3repE0EEENS1_30default_config_static_selectorELNS0_4arch9wavefront6targetE1EEEvSK_ ; -- Begin function _ZN7rocprim17ROCPRIM_400000_NS6detail17trampoline_kernelINS0_14default_configENS1_22reduce_config_selectorIiEEZNS1_11reduce_implILb1ES3_N6thrust23THRUST_200600_302600_NS11hip_rocprim35transform_pair_of_input_iterators_tIiPiSB_NS8_12not_equal_toIiEEEESB_iNS8_4plusIiEEEE10hipError_tPvRmT1_T2_T3_mT4_P12ihipStream_tbEUlT_E0_NS1_11comp_targetILNS1_3genE2ELNS1_11target_archE906ELNS1_3gpuE6ELNS1_3repE0EEENS1_30default_config_static_selectorELNS0_4arch9wavefront6targetE1EEEvSK_
	.globl	_ZN7rocprim17ROCPRIM_400000_NS6detail17trampoline_kernelINS0_14default_configENS1_22reduce_config_selectorIiEEZNS1_11reduce_implILb1ES3_N6thrust23THRUST_200600_302600_NS11hip_rocprim35transform_pair_of_input_iterators_tIiPiSB_NS8_12not_equal_toIiEEEESB_iNS8_4plusIiEEEE10hipError_tPvRmT1_T2_T3_mT4_P12ihipStream_tbEUlT_E0_NS1_11comp_targetILNS1_3genE2ELNS1_11target_archE906ELNS1_3gpuE6ELNS1_3repE0EEENS1_30default_config_static_selectorELNS0_4arch9wavefront6targetE1EEEvSK_
	.p2align	8
	.type	_ZN7rocprim17ROCPRIM_400000_NS6detail17trampoline_kernelINS0_14default_configENS1_22reduce_config_selectorIiEEZNS1_11reduce_implILb1ES3_N6thrust23THRUST_200600_302600_NS11hip_rocprim35transform_pair_of_input_iterators_tIiPiSB_NS8_12not_equal_toIiEEEESB_iNS8_4plusIiEEEE10hipError_tPvRmT1_T2_T3_mT4_P12ihipStream_tbEUlT_E0_NS1_11comp_targetILNS1_3genE2ELNS1_11target_archE906ELNS1_3gpuE6ELNS1_3repE0EEENS1_30default_config_static_selectorELNS0_4arch9wavefront6targetE1EEEvSK_,@function
_ZN7rocprim17ROCPRIM_400000_NS6detail17trampoline_kernelINS0_14default_configENS1_22reduce_config_selectorIiEEZNS1_11reduce_implILb1ES3_N6thrust23THRUST_200600_302600_NS11hip_rocprim35transform_pair_of_input_iterators_tIiPiSB_NS8_12not_equal_toIiEEEESB_iNS8_4plusIiEEEE10hipError_tPvRmT1_T2_T3_mT4_P12ihipStream_tbEUlT_E0_NS1_11comp_targetILNS1_3genE2ELNS1_11target_archE906ELNS1_3gpuE6ELNS1_3repE0EEENS1_30default_config_static_selectorELNS0_4arch9wavefront6targetE1EEEvSK_: ; @_ZN7rocprim17ROCPRIM_400000_NS6detail17trampoline_kernelINS0_14default_configENS1_22reduce_config_selectorIiEEZNS1_11reduce_implILb1ES3_N6thrust23THRUST_200600_302600_NS11hip_rocprim35transform_pair_of_input_iterators_tIiPiSB_NS8_12not_equal_toIiEEEESB_iNS8_4plusIiEEEE10hipError_tPvRmT1_T2_T3_mT4_P12ihipStream_tbEUlT_E0_NS1_11comp_targetILNS1_3genE2ELNS1_11target_archE906ELNS1_3gpuE6ELNS1_3repE0EEENS1_30default_config_static_selectorELNS0_4arch9wavefront6targetE1EEEvSK_
; %bb.0:
	.section	.rodata,"a",@progbits
	.p2align	6, 0x0
	.amdhsa_kernel _ZN7rocprim17ROCPRIM_400000_NS6detail17trampoline_kernelINS0_14default_configENS1_22reduce_config_selectorIiEEZNS1_11reduce_implILb1ES3_N6thrust23THRUST_200600_302600_NS11hip_rocprim35transform_pair_of_input_iterators_tIiPiSB_NS8_12not_equal_toIiEEEESB_iNS8_4plusIiEEEE10hipError_tPvRmT1_T2_T3_mT4_P12ihipStream_tbEUlT_E0_NS1_11comp_targetILNS1_3genE2ELNS1_11target_archE906ELNS1_3gpuE6ELNS1_3repE0EEENS1_30default_config_static_selectorELNS0_4arch9wavefront6targetE1EEEvSK_
		.amdhsa_group_segment_fixed_size 0
		.amdhsa_private_segment_fixed_size 0
		.amdhsa_kernarg_size 72
		.amdhsa_user_sgpr_count 6
		.amdhsa_user_sgpr_private_segment_buffer 1
		.amdhsa_user_sgpr_dispatch_ptr 0
		.amdhsa_user_sgpr_queue_ptr 0
		.amdhsa_user_sgpr_kernarg_segment_ptr 1
		.amdhsa_user_sgpr_dispatch_id 0
		.amdhsa_user_sgpr_flat_scratch_init 0
		.amdhsa_user_sgpr_kernarg_preload_length 0
		.amdhsa_user_sgpr_kernarg_preload_offset 0
		.amdhsa_user_sgpr_private_segment_size 0
		.amdhsa_uses_dynamic_stack 0
		.amdhsa_system_sgpr_private_segment_wavefront_offset 0
		.amdhsa_system_sgpr_workgroup_id_x 1
		.amdhsa_system_sgpr_workgroup_id_y 0
		.amdhsa_system_sgpr_workgroup_id_z 0
		.amdhsa_system_sgpr_workgroup_info 0
		.amdhsa_system_vgpr_workitem_id 0
		.amdhsa_next_free_vgpr 1
		.amdhsa_next_free_sgpr 0
		.amdhsa_accum_offset 4
		.amdhsa_reserve_vcc 0
		.amdhsa_reserve_flat_scratch 0
		.amdhsa_float_round_mode_32 0
		.amdhsa_float_round_mode_16_64 0
		.amdhsa_float_denorm_mode_32 3
		.amdhsa_float_denorm_mode_16_64 3
		.amdhsa_dx10_clamp 1
		.amdhsa_ieee_mode 1
		.amdhsa_fp16_overflow 0
		.amdhsa_tg_split 0
		.amdhsa_exception_fp_ieee_invalid_op 0
		.amdhsa_exception_fp_denorm_src 0
		.amdhsa_exception_fp_ieee_div_zero 0
		.amdhsa_exception_fp_ieee_overflow 0
		.amdhsa_exception_fp_ieee_underflow 0
		.amdhsa_exception_fp_ieee_inexact 0
		.amdhsa_exception_int_div_zero 0
	.end_amdhsa_kernel
	.section	.text._ZN7rocprim17ROCPRIM_400000_NS6detail17trampoline_kernelINS0_14default_configENS1_22reduce_config_selectorIiEEZNS1_11reduce_implILb1ES3_N6thrust23THRUST_200600_302600_NS11hip_rocprim35transform_pair_of_input_iterators_tIiPiSB_NS8_12not_equal_toIiEEEESB_iNS8_4plusIiEEEE10hipError_tPvRmT1_T2_T3_mT4_P12ihipStream_tbEUlT_E0_NS1_11comp_targetILNS1_3genE2ELNS1_11target_archE906ELNS1_3gpuE6ELNS1_3repE0EEENS1_30default_config_static_selectorELNS0_4arch9wavefront6targetE1EEEvSK_,"axG",@progbits,_ZN7rocprim17ROCPRIM_400000_NS6detail17trampoline_kernelINS0_14default_configENS1_22reduce_config_selectorIiEEZNS1_11reduce_implILb1ES3_N6thrust23THRUST_200600_302600_NS11hip_rocprim35transform_pair_of_input_iterators_tIiPiSB_NS8_12not_equal_toIiEEEESB_iNS8_4plusIiEEEE10hipError_tPvRmT1_T2_T3_mT4_P12ihipStream_tbEUlT_E0_NS1_11comp_targetILNS1_3genE2ELNS1_11target_archE906ELNS1_3gpuE6ELNS1_3repE0EEENS1_30default_config_static_selectorELNS0_4arch9wavefront6targetE1EEEvSK_,comdat
.Lfunc_end924:
	.size	_ZN7rocprim17ROCPRIM_400000_NS6detail17trampoline_kernelINS0_14default_configENS1_22reduce_config_selectorIiEEZNS1_11reduce_implILb1ES3_N6thrust23THRUST_200600_302600_NS11hip_rocprim35transform_pair_of_input_iterators_tIiPiSB_NS8_12not_equal_toIiEEEESB_iNS8_4plusIiEEEE10hipError_tPvRmT1_T2_T3_mT4_P12ihipStream_tbEUlT_E0_NS1_11comp_targetILNS1_3genE2ELNS1_11target_archE906ELNS1_3gpuE6ELNS1_3repE0EEENS1_30default_config_static_selectorELNS0_4arch9wavefront6targetE1EEEvSK_, .Lfunc_end924-_ZN7rocprim17ROCPRIM_400000_NS6detail17trampoline_kernelINS0_14default_configENS1_22reduce_config_selectorIiEEZNS1_11reduce_implILb1ES3_N6thrust23THRUST_200600_302600_NS11hip_rocprim35transform_pair_of_input_iterators_tIiPiSB_NS8_12not_equal_toIiEEEESB_iNS8_4plusIiEEEE10hipError_tPvRmT1_T2_T3_mT4_P12ihipStream_tbEUlT_E0_NS1_11comp_targetILNS1_3genE2ELNS1_11target_archE906ELNS1_3gpuE6ELNS1_3repE0EEENS1_30default_config_static_selectorELNS0_4arch9wavefront6targetE1EEEvSK_
                                        ; -- End function
	.section	.AMDGPU.csdata,"",@progbits
; Kernel info:
; codeLenInByte = 0
; NumSgprs: 4
; NumVgprs: 0
; NumAgprs: 0
; TotalNumVgprs: 0
; ScratchSize: 0
; MemoryBound: 0
; FloatMode: 240
; IeeeMode: 1
; LDSByteSize: 0 bytes/workgroup (compile time only)
; SGPRBlocks: 0
; VGPRBlocks: 0
; NumSGPRsForWavesPerEU: 4
; NumVGPRsForWavesPerEU: 1
; AccumOffset: 4
; Occupancy: 8
; WaveLimiterHint : 0
; COMPUTE_PGM_RSRC2:SCRATCH_EN: 0
; COMPUTE_PGM_RSRC2:USER_SGPR: 6
; COMPUTE_PGM_RSRC2:TRAP_HANDLER: 0
; COMPUTE_PGM_RSRC2:TGID_X_EN: 1
; COMPUTE_PGM_RSRC2:TGID_Y_EN: 0
; COMPUTE_PGM_RSRC2:TGID_Z_EN: 0
; COMPUTE_PGM_RSRC2:TIDIG_COMP_CNT: 0
; COMPUTE_PGM_RSRC3_GFX90A:ACCUM_OFFSET: 0
; COMPUTE_PGM_RSRC3_GFX90A:TG_SPLIT: 0
	.section	.text._ZN7rocprim17ROCPRIM_400000_NS6detail17trampoline_kernelINS0_14default_configENS1_22reduce_config_selectorIiEEZNS1_11reduce_implILb1ES3_N6thrust23THRUST_200600_302600_NS11hip_rocprim35transform_pair_of_input_iterators_tIiPiSB_NS8_12not_equal_toIiEEEESB_iNS8_4plusIiEEEE10hipError_tPvRmT1_T2_T3_mT4_P12ihipStream_tbEUlT_E0_NS1_11comp_targetILNS1_3genE10ELNS1_11target_archE1201ELNS1_3gpuE5ELNS1_3repE0EEENS1_30default_config_static_selectorELNS0_4arch9wavefront6targetE1EEEvSK_,"axG",@progbits,_ZN7rocprim17ROCPRIM_400000_NS6detail17trampoline_kernelINS0_14default_configENS1_22reduce_config_selectorIiEEZNS1_11reduce_implILb1ES3_N6thrust23THRUST_200600_302600_NS11hip_rocprim35transform_pair_of_input_iterators_tIiPiSB_NS8_12not_equal_toIiEEEESB_iNS8_4plusIiEEEE10hipError_tPvRmT1_T2_T3_mT4_P12ihipStream_tbEUlT_E0_NS1_11comp_targetILNS1_3genE10ELNS1_11target_archE1201ELNS1_3gpuE5ELNS1_3repE0EEENS1_30default_config_static_selectorELNS0_4arch9wavefront6targetE1EEEvSK_,comdat
	.protected	_ZN7rocprim17ROCPRIM_400000_NS6detail17trampoline_kernelINS0_14default_configENS1_22reduce_config_selectorIiEEZNS1_11reduce_implILb1ES3_N6thrust23THRUST_200600_302600_NS11hip_rocprim35transform_pair_of_input_iterators_tIiPiSB_NS8_12not_equal_toIiEEEESB_iNS8_4plusIiEEEE10hipError_tPvRmT1_T2_T3_mT4_P12ihipStream_tbEUlT_E0_NS1_11comp_targetILNS1_3genE10ELNS1_11target_archE1201ELNS1_3gpuE5ELNS1_3repE0EEENS1_30default_config_static_selectorELNS0_4arch9wavefront6targetE1EEEvSK_ ; -- Begin function _ZN7rocprim17ROCPRIM_400000_NS6detail17trampoline_kernelINS0_14default_configENS1_22reduce_config_selectorIiEEZNS1_11reduce_implILb1ES3_N6thrust23THRUST_200600_302600_NS11hip_rocprim35transform_pair_of_input_iterators_tIiPiSB_NS8_12not_equal_toIiEEEESB_iNS8_4plusIiEEEE10hipError_tPvRmT1_T2_T3_mT4_P12ihipStream_tbEUlT_E0_NS1_11comp_targetILNS1_3genE10ELNS1_11target_archE1201ELNS1_3gpuE5ELNS1_3repE0EEENS1_30default_config_static_selectorELNS0_4arch9wavefront6targetE1EEEvSK_
	.globl	_ZN7rocprim17ROCPRIM_400000_NS6detail17trampoline_kernelINS0_14default_configENS1_22reduce_config_selectorIiEEZNS1_11reduce_implILb1ES3_N6thrust23THRUST_200600_302600_NS11hip_rocprim35transform_pair_of_input_iterators_tIiPiSB_NS8_12not_equal_toIiEEEESB_iNS8_4plusIiEEEE10hipError_tPvRmT1_T2_T3_mT4_P12ihipStream_tbEUlT_E0_NS1_11comp_targetILNS1_3genE10ELNS1_11target_archE1201ELNS1_3gpuE5ELNS1_3repE0EEENS1_30default_config_static_selectorELNS0_4arch9wavefront6targetE1EEEvSK_
	.p2align	8
	.type	_ZN7rocprim17ROCPRIM_400000_NS6detail17trampoline_kernelINS0_14default_configENS1_22reduce_config_selectorIiEEZNS1_11reduce_implILb1ES3_N6thrust23THRUST_200600_302600_NS11hip_rocprim35transform_pair_of_input_iterators_tIiPiSB_NS8_12not_equal_toIiEEEESB_iNS8_4plusIiEEEE10hipError_tPvRmT1_T2_T3_mT4_P12ihipStream_tbEUlT_E0_NS1_11comp_targetILNS1_3genE10ELNS1_11target_archE1201ELNS1_3gpuE5ELNS1_3repE0EEENS1_30default_config_static_selectorELNS0_4arch9wavefront6targetE1EEEvSK_,@function
_ZN7rocprim17ROCPRIM_400000_NS6detail17trampoline_kernelINS0_14default_configENS1_22reduce_config_selectorIiEEZNS1_11reduce_implILb1ES3_N6thrust23THRUST_200600_302600_NS11hip_rocprim35transform_pair_of_input_iterators_tIiPiSB_NS8_12not_equal_toIiEEEESB_iNS8_4plusIiEEEE10hipError_tPvRmT1_T2_T3_mT4_P12ihipStream_tbEUlT_E0_NS1_11comp_targetILNS1_3genE10ELNS1_11target_archE1201ELNS1_3gpuE5ELNS1_3repE0EEENS1_30default_config_static_selectorELNS0_4arch9wavefront6targetE1EEEvSK_: ; @_ZN7rocprim17ROCPRIM_400000_NS6detail17trampoline_kernelINS0_14default_configENS1_22reduce_config_selectorIiEEZNS1_11reduce_implILb1ES3_N6thrust23THRUST_200600_302600_NS11hip_rocprim35transform_pair_of_input_iterators_tIiPiSB_NS8_12not_equal_toIiEEEESB_iNS8_4plusIiEEEE10hipError_tPvRmT1_T2_T3_mT4_P12ihipStream_tbEUlT_E0_NS1_11comp_targetILNS1_3genE10ELNS1_11target_archE1201ELNS1_3gpuE5ELNS1_3repE0EEENS1_30default_config_static_selectorELNS0_4arch9wavefront6targetE1EEEvSK_
; %bb.0:
	.section	.rodata,"a",@progbits
	.p2align	6, 0x0
	.amdhsa_kernel _ZN7rocprim17ROCPRIM_400000_NS6detail17trampoline_kernelINS0_14default_configENS1_22reduce_config_selectorIiEEZNS1_11reduce_implILb1ES3_N6thrust23THRUST_200600_302600_NS11hip_rocprim35transform_pair_of_input_iterators_tIiPiSB_NS8_12not_equal_toIiEEEESB_iNS8_4plusIiEEEE10hipError_tPvRmT1_T2_T3_mT4_P12ihipStream_tbEUlT_E0_NS1_11comp_targetILNS1_3genE10ELNS1_11target_archE1201ELNS1_3gpuE5ELNS1_3repE0EEENS1_30default_config_static_selectorELNS0_4arch9wavefront6targetE1EEEvSK_
		.amdhsa_group_segment_fixed_size 0
		.amdhsa_private_segment_fixed_size 0
		.amdhsa_kernarg_size 72
		.amdhsa_user_sgpr_count 6
		.amdhsa_user_sgpr_private_segment_buffer 1
		.amdhsa_user_sgpr_dispatch_ptr 0
		.amdhsa_user_sgpr_queue_ptr 0
		.amdhsa_user_sgpr_kernarg_segment_ptr 1
		.amdhsa_user_sgpr_dispatch_id 0
		.amdhsa_user_sgpr_flat_scratch_init 0
		.amdhsa_user_sgpr_kernarg_preload_length 0
		.amdhsa_user_sgpr_kernarg_preload_offset 0
		.amdhsa_user_sgpr_private_segment_size 0
		.amdhsa_uses_dynamic_stack 0
		.amdhsa_system_sgpr_private_segment_wavefront_offset 0
		.amdhsa_system_sgpr_workgroup_id_x 1
		.amdhsa_system_sgpr_workgroup_id_y 0
		.amdhsa_system_sgpr_workgroup_id_z 0
		.amdhsa_system_sgpr_workgroup_info 0
		.amdhsa_system_vgpr_workitem_id 0
		.amdhsa_next_free_vgpr 1
		.amdhsa_next_free_sgpr 0
		.amdhsa_accum_offset 4
		.amdhsa_reserve_vcc 0
		.amdhsa_reserve_flat_scratch 0
		.amdhsa_float_round_mode_32 0
		.amdhsa_float_round_mode_16_64 0
		.amdhsa_float_denorm_mode_32 3
		.amdhsa_float_denorm_mode_16_64 3
		.amdhsa_dx10_clamp 1
		.amdhsa_ieee_mode 1
		.amdhsa_fp16_overflow 0
		.amdhsa_tg_split 0
		.amdhsa_exception_fp_ieee_invalid_op 0
		.amdhsa_exception_fp_denorm_src 0
		.amdhsa_exception_fp_ieee_div_zero 0
		.amdhsa_exception_fp_ieee_overflow 0
		.amdhsa_exception_fp_ieee_underflow 0
		.amdhsa_exception_fp_ieee_inexact 0
		.amdhsa_exception_int_div_zero 0
	.end_amdhsa_kernel
	.section	.text._ZN7rocprim17ROCPRIM_400000_NS6detail17trampoline_kernelINS0_14default_configENS1_22reduce_config_selectorIiEEZNS1_11reduce_implILb1ES3_N6thrust23THRUST_200600_302600_NS11hip_rocprim35transform_pair_of_input_iterators_tIiPiSB_NS8_12not_equal_toIiEEEESB_iNS8_4plusIiEEEE10hipError_tPvRmT1_T2_T3_mT4_P12ihipStream_tbEUlT_E0_NS1_11comp_targetILNS1_3genE10ELNS1_11target_archE1201ELNS1_3gpuE5ELNS1_3repE0EEENS1_30default_config_static_selectorELNS0_4arch9wavefront6targetE1EEEvSK_,"axG",@progbits,_ZN7rocprim17ROCPRIM_400000_NS6detail17trampoline_kernelINS0_14default_configENS1_22reduce_config_selectorIiEEZNS1_11reduce_implILb1ES3_N6thrust23THRUST_200600_302600_NS11hip_rocprim35transform_pair_of_input_iterators_tIiPiSB_NS8_12not_equal_toIiEEEESB_iNS8_4plusIiEEEE10hipError_tPvRmT1_T2_T3_mT4_P12ihipStream_tbEUlT_E0_NS1_11comp_targetILNS1_3genE10ELNS1_11target_archE1201ELNS1_3gpuE5ELNS1_3repE0EEENS1_30default_config_static_selectorELNS0_4arch9wavefront6targetE1EEEvSK_,comdat
.Lfunc_end925:
	.size	_ZN7rocprim17ROCPRIM_400000_NS6detail17trampoline_kernelINS0_14default_configENS1_22reduce_config_selectorIiEEZNS1_11reduce_implILb1ES3_N6thrust23THRUST_200600_302600_NS11hip_rocprim35transform_pair_of_input_iterators_tIiPiSB_NS8_12not_equal_toIiEEEESB_iNS8_4plusIiEEEE10hipError_tPvRmT1_T2_T3_mT4_P12ihipStream_tbEUlT_E0_NS1_11comp_targetILNS1_3genE10ELNS1_11target_archE1201ELNS1_3gpuE5ELNS1_3repE0EEENS1_30default_config_static_selectorELNS0_4arch9wavefront6targetE1EEEvSK_, .Lfunc_end925-_ZN7rocprim17ROCPRIM_400000_NS6detail17trampoline_kernelINS0_14default_configENS1_22reduce_config_selectorIiEEZNS1_11reduce_implILb1ES3_N6thrust23THRUST_200600_302600_NS11hip_rocprim35transform_pair_of_input_iterators_tIiPiSB_NS8_12not_equal_toIiEEEESB_iNS8_4plusIiEEEE10hipError_tPvRmT1_T2_T3_mT4_P12ihipStream_tbEUlT_E0_NS1_11comp_targetILNS1_3genE10ELNS1_11target_archE1201ELNS1_3gpuE5ELNS1_3repE0EEENS1_30default_config_static_selectorELNS0_4arch9wavefront6targetE1EEEvSK_
                                        ; -- End function
	.section	.AMDGPU.csdata,"",@progbits
; Kernel info:
; codeLenInByte = 0
; NumSgprs: 4
; NumVgprs: 0
; NumAgprs: 0
; TotalNumVgprs: 0
; ScratchSize: 0
; MemoryBound: 0
; FloatMode: 240
; IeeeMode: 1
; LDSByteSize: 0 bytes/workgroup (compile time only)
; SGPRBlocks: 0
; VGPRBlocks: 0
; NumSGPRsForWavesPerEU: 4
; NumVGPRsForWavesPerEU: 1
; AccumOffset: 4
; Occupancy: 8
; WaveLimiterHint : 0
; COMPUTE_PGM_RSRC2:SCRATCH_EN: 0
; COMPUTE_PGM_RSRC2:USER_SGPR: 6
; COMPUTE_PGM_RSRC2:TRAP_HANDLER: 0
; COMPUTE_PGM_RSRC2:TGID_X_EN: 1
; COMPUTE_PGM_RSRC2:TGID_Y_EN: 0
; COMPUTE_PGM_RSRC2:TGID_Z_EN: 0
; COMPUTE_PGM_RSRC2:TIDIG_COMP_CNT: 0
; COMPUTE_PGM_RSRC3_GFX90A:ACCUM_OFFSET: 0
; COMPUTE_PGM_RSRC3_GFX90A:TG_SPLIT: 0
	.section	.text._ZN7rocprim17ROCPRIM_400000_NS6detail17trampoline_kernelINS0_14default_configENS1_22reduce_config_selectorIiEEZNS1_11reduce_implILb1ES3_N6thrust23THRUST_200600_302600_NS11hip_rocprim35transform_pair_of_input_iterators_tIiPiSB_NS8_12not_equal_toIiEEEESB_iNS8_4plusIiEEEE10hipError_tPvRmT1_T2_T3_mT4_P12ihipStream_tbEUlT_E0_NS1_11comp_targetILNS1_3genE10ELNS1_11target_archE1200ELNS1_3gpuE4ELNS1_3repE0EEENS1_30default_config_static_selectorELNS0_4arch9wavefront6targetE1EEEvSK_,"axG",@progbits,_ZN7rocprim17ROCPRIM_400000_NS6detail17trampoline_kernelINS0_14default_configENS1_22reduce_config_selectorIiEEZNS1_11reduce_implILb1ES3_N6thrust23THRUST_200600_302600_NS11hip_rocprim35transform_pair_of_input_iterators_tIiPiSB_NS8_12not_equal_toIiEEEESB_iNS8_4plusIiEEEE10hipError_tPvRmT1_T2_T3_mT4_P12ihipStream_tbEUlT_E0_NS1_11comp_targetILNS1_3genE10ELNS1_11target_archE1200ELNS1_3gpuE4ELNS1_3repE0EEENS1_30default_config_static_selectorELNS0_4arch9wavefront6targetE1EEEvSK_,comdat
	.protected	_ZN7rocprim17ROCPRIM_400000_NS6detail17trampoline_kernelINS0_14default_configENS1_22reduce_config_selectorIiEEZNS1_11reduce_implILb1ES3_N6thrust23THRUST_200600_302600_NS11hip_rocprim35transform_pair_of_input_iterators_tIiPiSB_NS8_12not_equal_toIiEEEESB_iNS8_4plusIiEEEE10hipError_tPvRmT1_T2_T3_mT4_P12ihipStream_tbEUlT_E0_NS1_11comp_targetILNS1_3genE10ELNS1_11target_archE1200ELNS1_3gpuE4ELNS1_3repE0EEENS1_30default_config_static_selectorELNS0_4arch9wavefront6targetE1EEEvSK_ ; -- Begin function _ZN7rocprim17ROCPRIM_400000_NS6detail17trampoline_kernelINS0_14default_configENS1_22reduce_config_selectorIiEEZNS1_11reduce_implILb1ES3_N6thrust23THRUST_200600_302600_NS11hip_rocprim35transform_pair_of_input_iterators_tIiPiSB_NS8_12not_equal_toIiEEEESB_iNS8_4plusIiEEEE10hipError_tPvRmT1_T2_T3_mT4_P12ihipStream_tbEUlT_E0_NS1_11comp_targetILNS1_3genE10ELNS1_11target_archE1200ELNS1_3gpuE4ELNS1_3repE0EEENS1_30default_config_static_selectorELNS0_4arch9wavefront6targetE1EEEvSK_
	.globl	_ZN7rocprim17ROCPRIM_400000_NS6detail17trampoline_kernelINS0_14default_configENS1_22reduce_config_selectorIiEEZNS1_11reduce_implILb1ES3_N6thrust23THRUST_200600_302600_NS11hip_rocprim35transform_pair_of_input_iterators_tIiPiSB_NS8_12not_equal_toIiEEEESB_iNS8_4plusIiEEEE10hipError_tPvRmT1_T2_T3_mT4_P12ihipStream_tbEUlT_E0_NS1_11comp_targetILNS1_3genE10ELNS1_11target_archE1200ELNS1_3gpuE4ELNS1_3repE0EEENS1_30default_config_static_selectorELNS0_4arch9wavefront6targetE1EEEvSK_
	.p2align	8
	.type	_ZN7rocprim17ROCPRIM_400000_NS6detail17trampoline_kernelINS0_14default_configENS1_22reduce_config_selectorIiEEZNS1_11reduce_implILb1ES3_N6thrust23THRUST_200600_302600_NS11hip_rocprim35transform_pair_of_input_iterators_tIiPiSB_NS8_12not_equal_toIiEEEESB_iNS8_4plusIiEEEE10hipError_tPvRmT1_T2_T3_mT4_P12ihipStream_tbEUlT_E0_NS1_11comp_targetILNS1_3genE10ELNS1_11target_archE1200ELNS1_3gpuE4ELNS1_3repE0EEENS1_30default_config_static_selectorELNS0_4arch9wavefront6targetE1EEEvSK_,@function
_ZN7rocprim17ROCPRIM_400000_NS6detail17trampoline_kernelINS0_14default_configENS1_22reduce_config_selectorIiEEZNS1_11reduce_implILb1ES3_N6thrust23THRUST_200600_302600_NS11hip_rocprim35transform_pair_of_input_iterators_tIiPiSB_NS8_12not_equal_toIiEEEESB_iNS8_4plusIiEEEE10hipError_tPvRmT1_T2_T3_mT4_P12ihipStream_tbEUlT_E0_NS1_11comp_targetILNS1_3genE10ELNS1_11target_archE1200ELNS1_3gpuE4ELNS1_3repE0EEENS1_30default_config_static_selectorELNS0_4arch9wavefront6targetE1EEEvSK_: ; @_ZN7rocprim17ROCPRIM_400000_NS6detail17trampoline_kernelINS0_14default_configENS1_22reduce_config_selectorIiEEZNS1_11reduce_implILb1ES3_N6thrust23THRUST_200600_302600_NS11hip_rocprim35transform_pair_of_input_iterators_tIiPiSB_NS8_12not_equal_toIiEEEESB_iNS8_4plusIiEEEE10hipError_tPvRmT1_T2_T3_mT4_P12ihipStream_tbEUlT_E0_NS1_11comp_targetILNS1_3genE10ELNS1_11target_archE1200ELNS1_3gpuE4ELNS1_3repE0EEENS1_30default_config_static_selectorELNS0_4arch9wavefront6targetE1EEEvSK_
; %bb.0:
	.section	.rodata,"a",@progbits
	.p2align	6, 0x0
	.amdhsa_kernel _ZN7rocprim17ROCPRIM_400000_NS6detail17trampoline_kernelINS0_14default_configENS1_22reduce_config_selectorIiEEZNS1_11reduce_implILb1ES3_N6thrust23THRUST_200600_302600_NS11hip_rocprim35transform_pair_of_input_iterators_tIiPiSB_NS8_12not_equal_toIiEEEESB_iNS8_4plusIiEEEE10hipError_tPvRmT1_T2_T3_mT4_P12ihipStream_tbEUlT_E0_NS1_11comp_targetILNS1_3genE10ELNS1_11target_archE1200ELNS1_3gpuE4ELNS1_3repE0EEENS1_30default_config_static_selectorELNS0_4arch9wavefront6targetE1EEEvSK_
		.amdhsa_group_segment_fixed_size 0
		.amdhsa_private_segment_fixed_size 0
		.amdhsa_kernarg_size 72
		.amdhsa_user_sgpr_count 6
		.amdhsa_user_sgpr_private_segment_buffer 1
		.amdhsa_user_sgpr_dispatch_ptr 0
		.amdhsa_user_sgpr_queue_ptr 0
		.amdhsa_user_sgpr_kernarg_segment_ptr 1
		.amdhsa_user_sgpr_dispatch_id 0
		.amdhsa_user_sgpr_flat_scratch_init 0
		.amdhsa_user_sgpr_kernarg_preload_length 0
		.amdhsa_user_sgpr_kernarg_preload_offset 0
		.amdhsa_user_sgpr_private_segment_size 0
		.amdhsa_uses_dynamic_stack 0
		.amdhsa_system_sgpr_private_segment_wavefront_offset 0
		.amdhsa_system_sgpr_workgroup_id_x 1
		.amdhsa_system_sgpr_workgroup_id_y 0
		.amdhsa_system_sgpr_workgroup_id_z 0
		.amdhsa_system_sgpr_workgroup_info 0
		.amdhsa_system_vgpr_workitem_id 0
		.amdhsa_next_free_vgpr 1
		.amdhsa_next_free_sgpr 0
		.amdhsa_accum_offset 4
		.amdhsa_reserve_vcc 0
		.amdhsa_reserve_flat_scratch 0
		.amdhsa_float_round_mode_32 0
		.amdhsa_float_round_mode_16_64 0
		.amdhsa_float_denorm_mode_32 3
		.amdhsa_float_denorm_mode_16_64 3
		.amdhsa_dx10_clamp 1
		.amdhsa_ieee_mode 1
		.amdhsa_fp16_overflow 0
		.amdhsa_tg_split 0
		.amdhsa_exception_fp_ieee_invalid_op 0
		.amdhsa_exception_fp_denorm_src 0
		.amdhsa_exception_fp_ieee_div_zero 0
		.amdhsa_exception_fp_ieee_overflow 0
		.amdhsa_exception_fp_ieee_underflow 0
		.amdhsa_exception_fp_ieee_inexact 0
		.amdhsa_exception_int_div_zero 0
	.end_amdhsa_kernel
	.section	.text._ZN7rocprim17ROCPRIM_400000_NS6detail17trampoline_kernelINS0_14default_configENS1_22reduce_config_selectorIiEEZNS1_11reduce_implILb1ES3_N6thrust23THRUST_200600_302600_NS11hip_rocprim35transform_pair_of_input_iterators_tIiPiSB_NS8_12not_equal_toIiEEEESB_iNS8_4plusIiEEEE10hipError_tPvRmT1_T2_T3_mT4_P12ihipStream_tbEUlT_E0_NS1_11comp_targetILNS1_3genE10ELNS1_11target_archE1200ELNS1_3gpuE4ELNS1_3repE0EEENS1_30default_config_static_selectorELNS0_4arch9wavefront6targetE1EEEvSK_,"axG",@progbits,_ZN7rocprim17ROCPRIM_400000_NS6detail17trampoline_kernelINS0_14default_configENS1_22reduce_config_selectorIiEEZNS1_11reduce_implILb1ES3_N6thrust23THRUST_200600_302600_NS11hip_rocprim35transform_pair_of_input_iterators_tIiPiSB_NS8_12not_equal_toIiEEEESB_iNS8_4plusIiEEEE10hipError_tPvRmT1_T2_T3_mT4_P12ihipStream_tbEUlT_E0_NS1_11comp_targetILNS1_3genE10ELNS1_11target_archE1200ELNS1_3gpuE4ELNS1_3repE0EEENS1_30default_config_static_selectorELNS0_4arch9wavefront6targetE1EEEvSK_,comdat
.Lfunc_end926:
	.size	_ZN7rocprim17ROCPRIM_400000_NS6detail17trampoline_kernelINS0_14default_configENS1_22reduce_config_selectorIiEEZNS1_11reduce_implILb1ES3_N6thrust23THRUST_200600_302600_NS11hip_rocprim35transform_pair_of_input_iterators_tIiPiSB_NS8_12not_equal_toIiEEEESB_iNS8_4plusIiEEEE10hipError_tPvRmT1_T2_T3_mT4_P12ihipStream_tbEUlT_E0_NS1_11comp_targetILNS1_3genE10ELNS1_11target_archE1200ELNS1_3gpuE4ELNS1_3repE0EEENS1_30default_config_static_selectorELNS0_4arch9wavefront6targetE1EEEvSK_, .Lfunc_end926-_ZN7rocprim17ROCPRIM_400000_NS6detail17trampoline_kernelINS0_14default_configENS1_22reduce_config_selectorIiEEZNS1_11reduce_implILb1ES3_N6thrust23THRUST_200600_302600_NS11hip_rocprim35transform_pair_of_input_iterators_tIiPiSB_NS8_12not_equal_toIiEEEESB_iNS8_4plusIiEEEE10hipError_tPvRmT1_T2_T3_mT4_P12ihipStream_tbEUlT_E0_NS1_11comp_targetILNS1_3genE10ELNS1_11target_archE1200ELNS1_3gpuE4ELNS1_3repE0EEENS1_30default_config_static_selectorELNS0_4arch9wavefront6targetE1EEEvSK_
                                        ; -- End function
	.section	.AMDGPU.csdata,"",@progbits
; Kernel info:
; codeLenInByte = 0
; NumSgprs: 4
; NumVgprs: 0
; NumAgprs: 0
; TotalNumVgprs: 0
; ScratchSize: 0
; MemoryBound: 0
; FloatMode: 240
; IeeeMode: 1
; LDSByteSize: 0 bytes/workgroup (compile time only)
; SGPRBlocks: 0
; VGPRBlocks: 0
; NumSGPRsForWavesPerEU: 4
; NumVGPRsForWavesPerEU: 1
; AccumOffset: 4
; Occupancy: 8
; WaveLimiterHint : 0
; COMPUTE_PGM_RSRC2:SCRATCH_EN: 0
; COMPUTE_PGM_RSRC2:USER_SGPR: 6
; COMPUTE_PGM_RSRC2:TRAP_HANDLER: 0
; COMPUTE_PGM_RSRC2:TGID_X_EN: 1
; COMPUTE_PGM_RSRC2:TGID_Y_EN: 0
; COMPUTE_PGM_RSRC2:TGID_Z_EN: 0
; COMPUTE_PGM_RSRC2:TIDIG_COMP_CNT: 0
; COMPUTE_PGM_RSRC3_GFX90A:ACCUM_OFFSET: 0
; COMPUTE_PGM_RSRC3_GFX90A:TG_SPLIT: 0
	.section	.text._ZN7rocprim17ROCPRIM_400000_NS6detail17trampoline_kernelINS0_14default_configENS1_22reduce_config_selectorIiEEZNS1_11reduce_implILb1ES3_N6thrust23THRUST_200600_302600_NS11hip_rocprim35transform_pair_of_input_iterators_tIiPiSB_NS8_12not_equal_toIiEEEESB_iNS8_4plusIiEEEE10hipError_tPvRmT1_T2_T3_mT4_P12ihipStream_tbEUlT_E0_NS1_11comp_targetILNS1_3genE9ELNS1_11target_archE1100ELNS1_3gpuE3ELNS1_3repE0EEENS1_30default_config_static_selectorELNS0_4arch9wavefront6targetE1EEEvSK_,"axG",@progbits,_ZN7rocprim17ROCPRIM_400000_NS6detail17trampoline_kernelINS0_14default_configENS1_22reduce_config_selectorIiEEZNS1_11reduce_implILb1ES3_N6thrust23THRUST_200600_302600_NS11hip_rocprim35transform_pair_of_input_iterators_tIiPiSB_NS8_12not_equal_toIiEEEESB_iNS8_4plusIiEEEE10hipError_tPvRmT1_T2_T3_mT4_P12ihipStream_tbEUlT_E0_NS1_11comp_targetILNS1_3genE9ELNS1_11target_archE1100ELNS1_3gpuE3ELNS1_3repE0EEENS1_30default_config_static_selectorELNS0_4arch9wavefront6targetE1EEEvSK_,comdat
	.protected	_ZN7rocprim17ROCPRIM_400000_NS6detail17trampoline_kernelINS0_14default_configENS1_22reduce_config_selectorIiEEZNS1_11reduce_implILb1ES3_N6thrust23THRUST_200600_302600_NS11hip_rocprim35transform_pair_of_input_iterators_tIiPiSB_NS8_12not_equal_toIiEEEESB_iNS8_4plusIiEEEE10hipError_tPvRmT1_T2_T3_mT4_P12ihipStream_tbEUlT_E0_NS1_11comp_targetILNS1_3genE9ELNS1_11target_archE1100ELNS1_3gpuE3ELNS1_3repE0EEENS1_30default_config_static_selectorELNS0_4arch9wavefront6targetE1EEEvSK_ ; -- Begin function _ZN7rocprim17ROCPRIM_400000_NS6detail17trampoline_kernelINS0_14default_configENS1_22reduce_config_selectorIiEEZNS1_11reduce_implILb1ES3_N6thrust23THRUST_200600_302600_NS11hip_rocprim35transform_pair_of_input_iterators_tIiPiSB_NS8_12not_equal_toIiEEEESB_iNS8_4plusIiEEEE10hipError_tPvRmT1_T2_T3_mT4_P12ihipStream_tbEUlT_E0_NS1_11comp_targetILNS1_3genE9ELNS1_11target_archE1100ELNS1_3gpuE3ELNS1_3repE0EEENS1_30default_config_static_selectorELNS0_4arch9wavefront6targetE1EEEvSK_
	.globl	_ZN7rocprim17ROCPRIM_400000_NS6detail17trampoline_kernelINS0_14default_configENS1_22reduce_config_selectorIiEEZNS1_11reduce_implILb1ES3_N6thrust23THRUST_200600_302600_NS11hip_rocprim35transform_pair_of_input_iterators_tIiPiSB_NS8_12not_equal_toIiEEEESB_iNS8_4plusIiEEEE10hipError_tPvRmT1_T2_T3_mT4_P12ihipStream_tbEUlT_E0_NS1_11comp_targetILNS1_3genE9ELNS1_11target_archE1100ELNS1_3gpuE3ELNS1_3repE0EEENS1_30default_config_static_selectorELNS0_4arch9wavefront6targetE1EEEvSK_
	.p2align	8
	.type	_ZN7rocprim17ROCPRIM_400000_NS6detail17trampoline_kernelINS0_14default_configENS1_22reduce_config_selectorIiEEZNS1_11reduce_implILb1ES3_N6thrust23THRUST_200600_302600_NS11hip_rocprim35transform_pair_of_input_iterators_tIiPiSB_NS8_12not_equal_toIiEEEESB_iNS8_4plusIiEEEE10hipError_tPvRmT1_T2_T3_mT4_P12ihipStream_tbEUlT_E0_NS1_11comp_targetILNS1_3genE9ELNS1_11target_archE1100ELNS1_3gpuE3ELNS1_3repE0EEENS1_30default_config_static_selectorELNS0_4arch9wavefront6targetE1EEEvSK_,@function
_ZN7rocprim17ROCPRIM_400000_NS6detail17trampoline_kernelINS0_14default_configENS1_22reduce_config_selectorIiEEZNS1_11reduce_implILb1ES3_N6thrust23THRUST_200600_302600_NS11hip_rocprim35transform_pair_of_input_iterators_tIiPiSB_NS8_12not_equal_toIiEEEESB_iNS8_4plusIiEEEE10hipError_tPvRmT1_T2_T3_mT4_P12ihipStream_tbEUlT_E0_NS1_11comp_targetILNS1_3genE9ELNS1_11target_archE1100ELNS1_3gpuE3ELNS1_3repE0EEENS1_30default_config_static_selectorELNS0_4arch9wavefront6targetE1EEEvSK_: ; @_ZN7rocprim17ROCPRIM_400000_NS6detail17trampoline_kernelINS0_14default_configENS1_22reduce_config_selectorIiEEZNS1_11reduce_implILb1ES3_N6thrust23THRUST_200600_302600_NS11hip_rocprim35transform_pair_of_input_iterators_tIiPiSB_NS8_12not_equal_toIiEEEESB_iNS8_4plusIiEEEE10hipError_tPvRmT1_T2_T3_mT4_P12ihipStream_tbEUlT_E0_NS1_11comp_targetILNS1_3genE9ELNS1_11target_archE1100ELNS1_3gpuE3ELNS1_3repE0EEENS1_30default_config_static_selectorELNS0_4arch9wavefront6targetE1EEEvSK_
; %bb.0:
	.section	.rodata,"a",@progbits
	.p2align	6, 0x0
	.amdhsa_kernel _ZN7rocprim17ROCPRIM_400000_NS6detail17trampoline_kernelINS0_14default_configENS1_22reduce_config_selectorIiEEZNS1_11reduce_implILb1ES3_N6thrust23THRUST_200600_302600_NS11hip_rocprim35transform_pair_of_input_iterators_tIiPiSB_NS8_12not_equal_toIiEEEESB_iNS8_4plusIiEEEE10hipError_tPvRmT1_T2_T3_mT4_P12ihipStream_tbEUlT_E0_NS1_11comp_targetILNS1_3genE9ELNS1_11target_archE1100ELNS1_3gpuE3ELNS1_3repE0EEENS1_30default_config_static_selectorELNS0_4arch9wavefront6targetE1EEEvSK_
		.amdhsa_group_segment_fixed_size 0
		.amdhsa_private_segment_fixed_size 0
		.amdhsa_kernarg_size 72
		.amdhsa_user_sgpr_count 6
		.amdhsa_user_sgpr_private_segment_buffer 1
		.amdhsa_user_sgpr_dispatch_ptr 0
		.amdhsa_user_sgpr_queue_ptr 0
		.amdhsa_user_sgpr_kernarg_segment_ptr 1
		.amdhsa_user_sgpr_dispatch_id 0
		.amdhsa_user_sgpr_flat_scratch_init 0
		.amdhsa_user_sgpr_kernarg_preload_length 0
		.amdhsa_user_sgpr_kernarg_preload_offset 0
		.amdhsa_user_sgpr_private_segment_size 0
		.amdhsa_uses_dynamic_stack 0
		.amdhsa_system_sgpr_private_segment_wavefront_offset 0
		.amdhsa_system_sgpr_workgroup_id_x 1
		.amdhsa_system_sgpr_workgroup_id_y 0
		.amdhsa_system_sgpr_workgroup_id_z 0
		.amdhsa_system_sgpr_workgroup_info 0
		.amdhsa_system_vgpr_workitem_id 0
		.amdhsa_next_free_vgpr 1
		.amdhsa_next_free_sgpr 0
		.amdhsa_accum_offset 4
		.amdhsa_reserve_vcc 0
		.amdhsa_reserve_flat_scratch 0
		.amdhsa_float_round_mode_32 0
		.amdhsa_float_round_mode_16_64 0
		.amdhsa_float_denorm_mode_32 3
		.amdhsa_float_denorm_mode_16_64 3
		.amdhsa_dx10_clamp 1
		.amdhsa_ieee_mode 1
		.amdhsa_fp16_overflow 0
		.amdhsa_tg_split 0
		.amdhsa_exception_fp_ieee_invalid_op 0
		.amdhsa_exception_fp_denorm_src 0
		.amdhsa_exception_fp_ieee_div_zero 0
		.amdhsa_exception_fp_ieee_overflow 0
		.amdhsa_exception_fp_ieee_underflow 0
		.amdhsa_exception_fp_ieee_inexact 0
		.amdhsa_exception_int_div_zero 0
	.end_amdhsa_kernel
	.section	.text._ZN7rocprim17ROCPRIM_400000_NS6detail17trampoline_kernelINS0_14default_configENS1_22reduce_config_selectorIiEEZNS1_11reduce_implILb1ES3_N6thrust23THRUST_200600_302600_NS11hip_rocprim35transform_pair_of_input_iterators_tIiPiSB_NS8_12not_equal_toIiEEEESB_iNS8_4plusIiEEEE10hipError_tPvRmT1_T2_T3_mT4_P12ihipStream_tbEUlT_E0_NS1_11comp_targetILNS1_3genE9ELNS1_11target_archE1100ELNS1_3gpuE3ELNS1_3repE0EEENS1_30default_config_static_selectorELNS0_4arch9wavefront6targetE1EEEvSK_,"axG",@progbits,_ZN7rocprim17ROCPRIM_400000_NS6detail17trampoline_kernelINS0_14default_configENS1_22reduce_config_selectorIiEEZNS1_11reduce_implILb1ES3_N6thrust23THRUST_200600_302600_NS11hip_rocprim35transform_pair_of_input_iterators_tIiPiSB_NS8_12not_equal_toIiEEEESB_iNS8_4plusIiEEEE10hipError_tPvRmT1_T2_T3_mT4_P12ihipStream_tbEUlT_E0_NS1_11comp_targetILNS1_3genE9ELNS1_11target_archE1100ELNS1_3gpuE3ELNS1_3repE0EEENS1_30default_config_static_selectorELNS0_4arch9wavefront6targetE1EEEvSK_,comdat
.Lfunc_end927:
	.size	_ZN7rocprim17ROCPRIM_400000_NS6detail17trampoline_kernelINS0_14default_configENS1_22reduce_config_selectorIiEEZNS1_11reduce_implILb1ES3_N6thrust23THRUST_200600_302600_NS11hip_rocprim35transform_pair_of_input_iterators_tIiPiSB_NS8_12not_equal_toIiEEEESB_iNS8_4plusIiEEEE10hipError_tPvRmT1_T2_T3_mT4_P12ihipStream_tbEUlT_E0_NS1_11comp_targetILNS1_3genE9ELNS1_11target_archE1100ELNS1_3gpuE3ELNS1_3repE0EEENS1_30default_config_static_selectorELNS0_4arch9wavefront6targetE1EEEvSK_, .Lfunc_end927-_ZN7rocprim17ROCPRIM_400000_NS6detail17trampoline_kernelINS0_14default_configENS1_22reduce_config_selectorIiEEZNS1_11reduce_implILb1ES3_N6thrust23THRUST_200600_302600_NS11hip_rocprim35transform_pair_of_input_iterators_tIiPiSB_NS8_12not_equal_toIiEEEESB_iNS8_4plusIiEEEE10hipError_tPvRmT1_T2_T3_mT4_P12ihipStream_tbEUlT_E0_NS1_11comp_targetILNS1_3genE9ELNS1_11target_archE1100ELNS1_3gpuE3ELNS1_3repE0EEENS1_30default_config_static_selectorELNS0_4arch9wavefront6targetE1EEEvSK_
                                        ; -- End function
	.section	.AMDGPU.csdata,"",@progbits
; Kernel info:
; codeLenInByte = 0
; NumSgprs: 4
; NumVgprs: 0
; NumAgprs: 0
; TotalNumVgprs: 0
; ScratchSize: 0
; MemoryBound: 0
; FloatMode: 240
; IeeeMode: 1
; LDSByteSize: 0 bytes/workgroup (compile time only)
; SGPRBlocks: 0
; VGPRBlocks: 0
; NumSGPRsForWavesPerEU: 4
; NumVGPRsForWavesPerEU: 1
; AccumOffset: 4
; Occupancy: 8
; WaveLimiterHint : 0
; COMPUTE_PGM_RSRC2:SCRATCH_EN: 0
; COMPUTE_PGM_RSRC2:USER_SGPR: 6
; COMPUTE_PGM_RSRC2:TRAP_HANDLER: 0
; COMPUTE_PGM_RSRC2:TGID_X_EN: 1
; COMPUTE_PGM_RSRC2:TGID_Y_EN: 0
; COMPUTE_PGM_RSRC2:TGID_Z_EN: 0
; COMPUTE_PGM_RSRC2:TIDIG_COMP_CNT: 0
; COMPUTE_PGM_RSRC3_GFX90A:ACCUM_OFFSET: 0
; COMPUTE_PGM_RSRC3_GFX90A:TG_SPLIT: 0
	.section	.text._ZN7rocprim17ROCPRIM_400000_NS6detail17trampoline_kernelINS0_14default_configENS1_22reduce_config_selectorIiEEZNS1_11reduce_implILb1ES3_N6thrust23THRUST_200600_302600_NS11hip_rocprim35transform_pair_of_input_iterators_tIiPiSB_NS8_12not_equal_toIiEEEESB_iNS8_4plusIiEEEE10hipError_tPvRmT1_T2_T3_mT4_P12ihipStream_tbEUlT_E0_NS1_11comp_targetILNS1_3genE8ELNS1_11target_archE1030ELNS1_3gpuE2ELNS1_3repE0EEENS1_30default_config_static_selectorELNS0_4arch9wavefront6targetE1EEEvSK_,"axG",@progbits,_ZN7rocprim17ROCPRIM_400000_NS6detail17trampoline_kernelINS0_14default_configENS1_22reduce_config_selectorIiEEZNS1_11reduce_implILb1ES3_N6thrust23THRUST_200600_302600_NS11hip_rocprim35transform_pair_of_input_iterators_tIiPiSB_NS8_12not_equal_toIiEEEESB_iNS8_4plusIiEEEE10hipError_tPvRmT1_T2_T3_mT4_P12ihipStream_tbEUlT_E0_NS1_11comp_targetILNS1_3genE8ELNS1_11target_archE1030ELNS1_3gpuE2ELNS1_3repE0EEENS1_30default_config_static_selectorELNS0_4arch9wavefront6targetE1EEEvSK_,comdat
	.protected	_ZN7rocprim17ROCPRIM_400000_NS6detail17trampoline_kernelINS0_14default_configENS1_22reduce_config_selectorIiEEZNS1_11reduce_implILb1ES3_N6thrust23THRUST_200600_302600_NS11hip_rocprim35transform_pair_of_input_iterators_tIiPiSB_NS8_12not_equal_toIiEEEESB_iNS8_4plusIiEEEE10hipError_tPvRmT1_T2_T3_mT4_P12ihipStream_tbEUlT_E0_NS1_11comp_targetILNS1_3genE8ELNS1_11target_archE1030ELNS1_3gpuE2ELNS1_3repE0EEENS1_30default_config_static_selectorELNS0_4arch9wavefront6targetE1EEEvSK_ ; -- Begin function _ZN7rocprim17ROCPRIM_400000_NS6detail17trampoline_kernelINS0_14default_configENS1_22reduce_config_selectorIiEEZNS1_11reduce_implILb1ES3_N6thrust23THRUST_200600_302600_NS11hip_rocprim35transform_pair_of_input_iterators_tIiPiSB_NS8_12not_equal_toIiEEEESB_iNS8_4plusIiEEEE10hipError_tPvRmT1_T2_T3_mT4_P12ihipStream_tbEUlT_E0_NS1_11comp_targetILNS1_3genE8ELNS1_11target_archE1030ELNS1_3gpuE2ELNS1_3repE0EEENS1_30default_config_static_selectorELNS0_4arch9wavefront6targetE1EEEvSK_
	.globl	_ZN7rocprim17ROCPRIM_400000_NS6detail17trampoline_kernelINS0_14default_configENS1_22reduce_config_selectorIiEEZNS1_11reduce_implILb1ES3_N6thrust23THRUST_200600_302600_NS11hip_rocprim35transform_pair_of_input_iterators_tIiPiSB_NS8_12not_equal_toIiEEEESB_iNS8_4plusIiEEEE10hipError_tPvRmT1_T2_T3_mT4_P12ihipStream_tbEUlT_E0_NS1_11comp_targetILNS1_3genE8ELNS1_11target_archE1030ELNS1_3gpuE2ELNS1_3repE0EEENS1_30default_config_static_selectorELNS0_4arch9wavefront6targetE1EEEvSK_
	.p2align	8
	.type	_ZN7rocprim17ROCPRIM_400000_NS6detail17trampoline_kernelINS0_14default_configENS1_22reduce_config_selectorIiEEZNS1_11reduce_implILb1ES3_N6thrust23THRUST_200600_302600_NS11hip_rocprim35transform_pair_of_input_iterators_tIiPiSB_NS8_12not_equal_toIiEEEESB_iNS8_4plusIiEEEE10hipError_tPvRmT1_T2_T3_mT4_P12ihipStream_tbEUlT_E0_NS1_11comp_targetILNS1_3genE8ELNS1_11target_archE1030ELNS1_3gpuE2ELNS1_3repE0EEENS1_30default_config_static_selectorELNS0_4arch9wavefront6targetE1EEEvSK_,@function
_ZN7rocprim17ROCPRIM_400000_NS6detail17trampoline_kernelINS0_14default_configENS1_22reduce_config_selectorIiEEZNS1_11reduce_implILb1ES3_N6thrust23THRUST_200600_302600_NS11hip_rocprim35transform_pair_of_input_iterators_tIiPiSB_NS8_12not_equal_toIiEEEESB_iNS8_4plusIiEEEE10hipError_tPvRmT1_T2_T3_mT4_P12ihipStream_tbEUlT_E0_NS1_11comp_targetILNS1_3genE8ELNS1_11target_archE1030ELNS1_3gpuE2ELNS1_3repE0EEENS1_30default_config_static_selectorELNS0_4arch9wavefront6targetE1EEEvSK_: ; @_ZN7rocprim17ROCPRIM_400000_NS6detail17trampoline_kernelINS0_14default_configENS1_22reduce_config_selectorIiEEZNS1_11reduce_implILb1ES3_N6thrust23THRUST_200600_302600_NS11hip_rocprim35transform_pair_of_input_iterators_tIiPiSB_NS8_12not_equal_toIiEEEESB_iNS8_4plusIiEEEE10hipError_tPvRmT1_T2_T3_mT4_P12ihipStream_tbEUlT_E0_NS1_11comp_targetILNS1_3genE8ELNS1_11target_archE1030ELNS1_3gpuE2ELNS1_3repE0EEENS1_30default_config_static_selectorELNS0_4arch9wavefront6targetE1EEEvSK_
; %bb.0:
	.section	.rodata,"a",@progbits
	.p2align	6, 0x0
	.amdhsa_kernel _ZN7rocprim17ROCPRIM_400000_NS6detail17trampoline_kernelINS0_14default_configENS1_22reduce_config_selectorIiEEZNS1_11reduce_implILb1ES3_N6thrust23THRUST_200600_302600_NS11hip_rocprim35transform_pair_of_input_iterators_tIiPiSB_NS8_12not_equal_toIiEEEESB_iNS8_4plusIiEEEE10hipError_tPvRmT1_T2_T3_mT4_P12ihipStream_tbEUlT_E0_NS1_11comp_targetILNS1_3genE8ELNS1_11target_archE1030ELNS1_3gpuE2ELNS1_3repE0EEENS1_30default_config_static_selectorELNS0_4arch9wavefront6targetE1EEEvSK_
		.amdhsa_group_segment_fixed_size 0
		.amdhsa_private_segment_fixed_size 0
		.amdhsa_kernarg_size 72
		.amdhsa_user_sgpr_count 6
		.amdhsa_user_sgpr_private_segment_buffer 1
		.amdhsa_user_sgpr_dispatch_ptr 0
		.amdhsa_user_sgpr_queue_ptr 0
		.amdhsa_user_sgpr_kernarg_segment_ptr 1
		.amdhsa_user_sgpr_dispatch_id 0
		.amdhsa_user_sgpr_flat_scratch_init 0
		.amdhsa_user_sgpr_kernarg_preload_length 0
		.amdhsa_user_sgpr_kernarg_preload_offset 0
		.amdhsa_user_sgpr_private_segment_size 0
		.amdhsa_uses_dynamic_stack 0
		.amdhsa_system_sgpr_private_segment_wavefront_offset 0
		.amdhsa_system_sgpr_workgroup_id_x 1
		.amdhsa_system_sgpr_workgroup_id_y 0
		.amdhsa_system_sgpr_workgroup_id_z 0
		.amdhsa_system_sgpr_workgroup_info 0
		.amdhsa_system_vgpr_workitem_id 0
		.amdhsa_next_free_vgpr 1
		.amdhsa_next_free_sgpr 0
		.amdhsa_accum_offset 4
		.amdhsa_reserve_vcc 0
		.amdhsa_reserve_flat_scratch 0
		.amdhsa_float_round_mode_32 0
		.amdhsa_float_round_mode_16_64 0
		.amdhsa_float_denorm_mode_32 3
		.amdhsa_float_denorm_mode_16_64 3
		.amdhsa_dx10_clamp 1
		.amdhsa_ieee_mode 1
		.amdhsa_fp16_overflow 0
		.amdhsa_tg_split 0
		.amdhsa_exception_fp_ieee_invalid_op 0
		.amdhsa_exception_fp_denorm_src 0
		.amdhsa_exception_fp_ieee_div_zero 0
		.amdhsa_exception_fp_ieee_overflow 0
		.amdhsa_exception_fp_ieee_underflow 0
		.amdhsa_exception_fp_ieee_inexact 0
		.amdhsa_exception_int_div_zero 0
	.end_amdhsa_kernel
	.section	.text._ZN7rocprim17ROCPRIM_400000_NS6detail17trampoline_kernelINS0_14default_configENS1_22reduce_config_selectorIiEEZNS1_11reduce_implILb1ES3_N6thrust23THRUST_200600_302600_NS11hip_rocprim35transform_pair_of_input_iterators_tIiPiSB_NS8_12not_equal_toIiEEEESB_iNS8_4plusIiEEEE10hipError_tPvRmT1_T2_T3_mT4_P12ihipStream_tbEUlT_E0_NS1_11comp_targetILNS1_3genE8ELNS1_11target_archE1030ELNS1_3gpuE2ELNS1_3repE0EEENS1_30default_config_static_selectorELNS0_4arch9wavefront6targetE1EEEvSK_,"axG",@progbits,_ZN7rocprim17ROCPRIM_400000_NS6detail17trampoline_kernelINS0_14default_configENS1_22reduce_config_selectorIiEEZNS1_11reduce_implILb1ES3_N6thrust23THRUST_200600_302600_NS11hip_rocprim35transform_pair_of_input_iterators_tIiPiSB_NS8_12not_equal_toIiEEEESB_iNS8_4plusIiEEEE10hipError_tPvRmT1_T2_T3_mT4_P12ihipStream_tbEUlT_E0_NS1_11comp_targetILNS1_3genE8ELNS1_11target_archE1030ELNS1_3gpuE2ELNS1_3repE0EEENS1_30default_config_static_selectorELNS0_4arch9wavefront6targetE1EEEvSK_,comdat
.Lfunc_end928:
	.size	_ZN7rocprim17ROCPRIM_400000_NS6detail17trampoline_kernelINS0_14default_configENS1_22reduce_config_selectorIiEEZNS1_11reduce_implILb1ES3_N6thrust23THRUST_200600_302600_NS11hip_rocprim35transform_pair_of_input_iterators_tIiPiSB_NS8_12not_equal_toIiEEEESB_iNS8_4plusIiEEEE10hipError_tPvRmT1_T2_T3_mT4_P12ihipStream_tbEUlT_E0_NS1_11comp_targetILNS1_3genE8ELNS1_11target_archE1030ELNS1_3gpuE2ELNS1_3repE0EEENS1_30default_config_static_selectorELNS0_4arch9wavefront6targetE1EEEvSK_, .Lfunc_end928-_ZN7rocprim17ROCPRIM_400000_NS6detail17trampoline_kernelINS0_14default_configENS1_22reduce_config_selectorIiEEZNS1_11reduce_implILb1ES3_N6thrust23THRUST_200600_302600_NS11hip_rocprim35transform_pair_of_input_iterators_tIiPiSB_NS8_12not_equal_toIiEEEESB_iNS8_4plusIiEEEE10hipError_tPvRmT1_T2_T3_mT4_P12ihipStream_tbEUlT_E0_NS1_11comp_targetILNS1_3genE8ELNS1_11target_archE1030ELNS1_3gpuE2ELNS1_3repE0EEENS1_30default_config_static_selectorELNS0_4arch9wavefront6targetE1EEEvSK_
                                        ; -- End function
	.section	.AMDGPU.csdata,"",@progbits
; Kernel info:
; codeLenInByte = 0
; NumSgprs: 4
; NumVgprs: 0
; NumAgprs: 0
; TotalNumVgprs: 0
; ScratchSize: 0
; MemoryBound: 0
; FloatMode: 240
; IeeeMode: 1
; LDSByteSize: 0 bytes/workgroup (compile time only)
; SGPRBlocks: 0
; VGPRBlocks: 0
; NumSGPRsForWavesPerEU: 4
; NumVGPRsForWavesPerEU: 1
; AccumOffset: 4
; Occupancy: 8
; WaveLimiterHint : 0
; COMPUTE_PGM_RSRC2:SCRATCH_EN: 0
; COMPUTE_PGM_RSRC2:USER_SGPR: 6
; COMPUTE_PGM_RSRC2:TRAP_HANDLER: 0
; COMPUTE_PGM_RSRC2:TGID_X_EN: 1
; COMPUTE_PGM_RSRC2:TGID_Y_EN: 0
; COMPUTE_PGM_RSRC2:TGID_Z_EN: 0
; COMPUTE_PGM_RSRC2:TIDIG_COMP_CNT: 0
; COMPUTE_PGM_RSRC3_GFX90A:ACCUM_OFFSET: 0
; COMPUTE_PGM_RSRC3_GFX90A:TG_SPLIT: 0
	.section	.text._ZN7rocprim17ROCPRIM_400000_NS6detail17trampoline_kernelINS0_14default_configENS1_22reduce_config_selectorIiEEZNS1_11reduce_implILb1ES3_N6thrust23THRUST_200600_302600_NS11hip_rocprim35transform_pair_of_input_iterators_tIiPiSB_NS8_12not_equal_toIiEEEESB_iNS8_4plusIiEEEE10hipError_tPvRmT1_T2_T3_mT4_P12ihipStream_tbEUlT_E1_NS1_11comp_targetILNS1_3genE0ELNS1_11target_archE4294967295ELNS1_3gpuE0ELNS1_3repE0EEENS1_30default_config_static_selectorELNS0_4arch9wavefront6targetE1EEEvSK_,"axG",@progbits,_ZN7rocprim17ROCPRIM_400000_NS6detail17trampoline_kernelINS0_14default_configENS1_22reduce_config_selectorIiEEZNS1_11reduce_implILb1ES3_N6thrust23THRUST_200600_302600_NS11hip_rocprim35transform_pair_of_input_iterators_tIiPiSB_NS8_12not_equal_toIiEEEESB_iNS8_4plusIiEEEE10hipError_tPvRmT1_T2_T3_mT4_P12ihipStream_tbEUlT_E1_NS1_11comp_targetILNS1_3genE0ELNS1_11target_archE4294967295ELNS1_3gpuE0ELNS1_3repE0EEENS1_30default_config_static_selectorELNS0_4arch9wavefront6targetE1EEEvSK_,comdat
	.protected	_ZN7rocprim17ROCPRIM_400000_NS6detail17trampoline_kernelINS0_14default_configENS1_22reduce_config_selectorIiEEZNS1_11reduce_implILb1ES3_N6thrust23THRUST_200600_302600_NS11hip_rocprim35transform_pair_of_input_iterators_tIiPiSB_NS8_12not_equal_toIiEEEESB_iNS8_4plusIiEEEE10hipError_tPvRmT1_T2_T3_mT4_P12ihipStream_tbEUlT_E1_NS1_11comp_targetILNS1_3genE0ELNS1_11target_archE4294967295ELNS1_3gpuE0ELNS1_3repE0EEENS1_30default_config_static_selectorELNS0_4arch9wavefront6targetE1EEEvSK_ ; -- Begin function _ZN7rocprim17ROCPRIM_400000_NS6detail17trampoline_kernelINS0_14default_configENS1_22reduce_config_selectorIiEEZNS1_11reduce_implILb1ES3_N6thrust23THRUST_200600_302600_NS11hip_rocprim35transform_pair_of_input_iterators_tIiPiSB_NS8_12not_equal_toIiEEEESB_iNS8_4plusIiEEEE10hipError_tPvRmT1_T2_T3_mT4_P12ihipStream_tbEUlT_E1_NS1_11comp_targetILNS1_3genE0ELNS1_11target_archE4294967295ELNS1_3gpuE0ELNS1_3repE0EEENS1_30default_config_static_selectorELNS0_4arch9wavefront6targetE1EEEvSK_
	.globl	_ZN7rocprim17ROCPRIM_400000_NS6detail17trampoline_kernelINS0_14default_configENS1_22reduce_config_selectorIiEEZNS1_11reduce_implILb1ES3_N6thrust23THRUST_200600_302600_NS11hip_rocprim35transform_pair_of_input_iterators_tIiPiSB_NS8_12not_equal_toIiEEEESB_iNS8_4plusIiEEEE10hipError_tPvRmT1_T2_T3_mT4_P12ihipStream_tbEUlT_E1_NS1_11comp_targetILNS1_3genE0ELNS1_11target_archE4294967295ELNS1_3gpuE0ELNS1_3repE0EEENS1_30default_config_static_selectorELNS0_4arch9wavefront6targetE1EEEvSK_
	.p2align	8
	.type	_ZN7rocprim17ROCPRIM_400000_NS6detail17trampoline_kernelINS0_14default_configENS1_22reduce_config_selectorIiEEZNS1_11reduce_implILb1ES3_N6thrust23THRUST_200600_302600_NS11hip_rocprim35transform_pair_of_input_iterators_tIiPiSB_NS8_12not_equal_toIiEEEESB_iNS8_4plusIiEEEE10hipError_tPvRmT1_T2_T3_mT4_P12ihipStream_tbEUlT_E1_NS1_11comp_targetILNS1_3genE0ELNS1_11target_archE4294967295ELNS1_3gpuE0ELNS1_3repE0EEENS1_30default_config_static_selectorELNS0_4arch9wavefront6targetE1EEEvSK_,@function
_ZN7rocprim17ROCPRIM_400000_NS6detail17trampoline_kernelINS0_14default_configENS1_22reduce_config_selectorIiEEZNS1_11reduce_implILb1ES3_N6thrust23THRUST_200600_302600_NS11hip_rocprim35transform_pair_of_input_iterators_tIiPiSB_NS8_12not_equal_toIiEEEESB_iNS8_4plusIiEEEE10hipError_tPvRmT1_T2_T3_mT4_P12ihipStream_tbEUlT_E1_NS1_11comp_targetILNS1_3genE0ELNS1_11target_archE4294967295ELNS1_3gpuE0ELNS1_3repE0EEENS1_30default_config_static_selectorELNS0_4arch9wavefront6targetE1EEEvSK_: ; @_ZN7rocprim17ROCPRIM_400000_NS6detail17trampoline_kernelINS0_14default_configENS1_22reduce_config_selectorIiEEZNS1_11reduce_implILb1ES3_N6thrust23THRUST_200600_302600_NS11hip_rocprim35transform_pair_of_input_iterators_tIiPiSB_NS8_12not_equal_toIiEEEESB_iNS8_4plusIiEEEE10hipError_tPvRmT1_T2_T3_mT4_P12ihipStream_tbEUlT_E1_NS1_11comp_targetILNS1_3genE0ELNS1_11target_archE4294967295ELNS1_3gpuE0ELNS1_3repE0EEENS1_30default_config_static_selectorELNS0_4arch9wavefront6targetE1EEEvSK_
; %bb.0:
	.section	.rodata,"a",@progbits
	.p2align	6, 0x0
	.amdhsa_kernel _ZN7rocprim17ROCPRIM_400000_NS6detail17trampoline_kernelINS0_14default_configENS1_22reduce_config_selectorIiEEZNS1_11reduce_implILb1ES3_N6thrust23THRUST_200600_302600_NS11hip_rocprim35transform_pair_of_input_iterators_tIiPiSB_NS8_12not_equal_toIiEEEESB_iNS8_4plusIiEEEE10hipError_tPvRmT1_T2_T3_mT4_P12ihipStream_tbEUlT_E1_NS1_11comp_targetILNS1_3genE0ELNS1_11target_archE4294967295ELNS1_3gpuE0ELNS1_3repE0EEENS1_30default_config_static_selectorELNS0_4arch9wavefront6targetE1EEEvSK_
		.amdhsa_group_segment_fixed_size 0
		.amdhsa_private_segment_fixed_size 0
		.amdhsa_kernarg_size 56
		.amdhsa_user_sgpr_count 6
		.amdhsa_user_sgpr_private_segment_buffer 1
		.amdhsa_user_sgpr_dispatch_ptr 0
		.amdhsa_user_sgpr_queue_ptr 0
		.amdhsa_user_sgpr_kernarg_segment_ptr 1
		.amdhsa_user_sgpr_dispatch_id 0
		.amdhsa_user_sgpr_flat_scratch_init 0
		.amdhsa_user_sgpr_kernarg_preload_length 0
		.amdhsa_user_sgpr_kernarg_preload_offset 0
		.amdhsa_user_sgpr_private_segment_size 0
		.amdhsa_uses_dynamic_stack 0
		.amdhsa_system_sgpr_private_segment_wavefront_offset 0
		.amdhsa_system_sgpr_workgroup_id_x 1
		.amdhsa_system_sgpr_workgroup_id_y 0
		.amdhsa_system_sgpr_workgroup_id_z 0
		.amdhsa_system_sgpr_workgroup_info 0
		.amdhsa_system_vgpr_workitem_id 0
		.amdhsa_next_free_vgpr 1
		.amdhsa_next_free_sgpr 0
		.amdhsa_accum_offset 4
		.amdhsa_reserve_vcc 0
		.amdhsa_reserve_flat_scratch 0
		.amdhsa_float_round_mode_32 0
		.amdhsa_float_round_mode_16_64 0
		.amdhsa_float_denorm_mode_32 3
		.amdhsa_float_denorm_mode_16_64 3
		.amdhsa_dx10_clamp 1
		.amdhsa_ieee_mode 1
		.amdhsa_fp16_overflow 0
		.amdhsa_tg_split 0
		.amdhsa_exception_fp_ieee_invalid_op 0
		.amdhsa_exception_fp_denorm_src 0
		.amdhsa_exception_fp_ieee_div_zero 0
		.amdhsa_exception_fp_ieee_overflow 0
		.amdhsa_exception_fp_ieee_underflow 0
		.amdhsa_exception_fp_ieee_inexact 0
		.amdhsa_exception_int_div_zero 0
	.end_amdhsa_kernel
	.section	.text._ZN7rocprim17ROCPRIM_400000_NS6detail17trampoline_kernelINS0_14default_configENS1_22reduce_config_selectorIiEEZNS1_11reduce_implILb1ES3_N6thrust23THRUST_200600_302600_NS11hip_rocprim35transform_pair_of_input_iterators_tIiPiSB_NS8_12not_equal_toIiEEEESB_iNS8_4plusIiEEEE10hipError_tPvRmT1_T2_T3_mT4_P12ihipStream_tbEUlT_E1_NS1_11comp_targetILNS1_3genE0ELNS1_11target_archE4294967295ELNS1_3gpuE0ELNS1_3repE0EEENS1_30default_config_static_selectorELNS0_4arch9wavefront6targetE1EEEvSK_,"axG",@progbits,_ZN7rocprim17ROCPRIM_400000_NS6detail17trampoline_kernelINS0_14default_configENS1_22reduce_config_selectorIiEEZNS1_11reduce_implILb1ES3_N6thrust23THRUST_200600_302600_NS11hip_rocprim35transform_pair_of_input_iterators_tIiPiSB_NS8_12not_equal_toIiEEEESB_iNS8_4plusIiEEEE10hipError_tPvRmT1_T2_T3_mT4_P12ihipStream_tbEUlT_E1_NS1_11comp_targetILNS1_3genE0ELNS1_11target_archE4294967295ELNS1_3gpuE0ELNS1_3repE0EEENS1_30default_config_static_selectorELNS0_4arch9wavefront6targetE1EEEvSK_,comdat
.Lfunc_end929:
	.size	_ZN7rocprim17ROCPRIM_400000_NS6detail17trampoline_kernelINS0_14default_configENS1_22reduce_config_selectorIiEEZNS1_11reduce_implILb1ES3_N6thrust23THRUST_200600_302600_NS11hip_rocprim35transform_pair_of_input_iterators_tIiPiSB_NS8_12not_equal_toIiEEEESB_iNS8_4plusIiEEEE10hipError_tPvRmT1_T2_T3_mT4_P12ihipStream_tbEUlT_E1_NS1_11comp_targetILNS1_3genE0ELNS1_11target_archE4294967295ELNS1_3gpuE0ELNS1_3repE0EEENS1_30default_config_static_selectorELNS0_4arch9wavefront6targetE1EEEvSK_, .Lfunc_end929-_ZN7rocprim17ROCPRIM_400000_NS6detail17trampoline_kernelINS0_14default_configENS1_22reduce_config_selectorIiEEZNS1_11reduce_implILb1ES3_N6thrust23THRUST_200600_302600_NS11hip_rocprim35transform_pair_of_input_iterators_tIiPiSB_NS8_12not_equal_toIiEEEESB_iNS8_4plusIiEEEE10hipError_tPvRmT1_T2_T3_mT4_P12ihipStream_tbEUlT_E1_NS1_11comp_targetILNS1_3genE0ELNS1_11target_archE4294967295ELNS1_3gpuE0ELNS1_3repE0EEENS1_30default_config_static_selectorELNS0_4arch9wavefront6targetE1EEEvSK_
                                        ; -- End function
	.section	.AMDGPU.csdata,"",@progbits
; Kernel info:
; codeLenInByte = 0
; NumSgprs: 4
; NumVgprs: 0
; NumAgprs: 0
; TotalNumVgprs: 0
; ScratchSize: 0
; MemoryBound: 0
; FloatMode: 240
; IeeeMode: 1
; LDSByteSize: 0 bytes/workgroup (compile time only)
; SGPRBlocks: 0
; VGPRBlocks: 0
; NumSGPRsForWavesPerEU: 4
; NumVGPRsForWavesPerEU: 1
; AccumOffset: 4
; Occupancy: 8
; WaveLimiterHint : 0
; COMPUTE_PGM_RSRC2:SCRATCH_EN: 0
; COMPUTE_PGM_RSRC2:USER_SGPR: 6
; COMPUTE_PGM_RSRC2:TRAP_HANDLER: 0
; COMPUTE_PGM_RSRC2:TGID_X_EN: 1
; COMPUTE_PGM_RSRC2:TGID_Y_EN: 0
; COMPUTE_PGM_RSRC2:TGID_Z_EN: 0
; COMPUTE_PGM_RSRC2:TIDIG_COMP_CNT: 0
; COMPUTE_PGM_RSRC3_GFX90A:ACCUM_OFFSET: 0
; COMPUTE_PGM_RSRC3_GFX90A:TG_SPLIT: 0
	.section	.text._ZN7rocprim17ROCPRIM_400000_NS6detail17trampoline_kernelINS0_14default_configENS1_22reduce_config_selectorIiEEZNS1_11reduce_implILb1ES3_N6thrust23THRUST_200600_302600_NS11hip_rocprim35transform_pair_of_input_iterators_tIiPiSB_NS8_12not_equal_toIiEEEESB_iNS8_4plusIiEEEE10hipError_tPvRmT1_T2_T3_mT4_P12ihipStream_tbEUlT_E1_NS1_11comp_targetILNS1_3genE5ELNS1_11target_archE942ELNS1_3gpuE9ELNS1_3repE0EEENS1_30default_config_static_selectorELNS0_4arch9wavefront6targetE1EEEvSK_,"axG",@progbits,_ZN7rocprim17ROCPRIM_400000_NS6detail17trampoline_kernelINS0_14default_configENS1_22reduce_config_selectorIiEEZNS1_11reduce_implILb1ES3_N6thrust23THRUST_200600_302600_NS11hip_rocprim35transform_pair_of_input_iterators_tIiPiSB_NS8_12not_equal_toIiEEEESB_iNS8_4plusIiEEEE10hipError_tPvRmT1_T2_T3_mT4_P12ihipStream_tbEUlT_E1_NS1_11comp_targetILNS1_3genE5ELNS1_11target_archE942ELNS1_3gpuE9ELNS1_3repE0EEENS1_30default_config_static_selectorELNS0_4arch9wavefront6targetE1EEEvSK_,comdat
	.protected	_ZN7rocprim17ROCPRIM_400000_NS6detail17trampoline_kernelINS0_14default_configENS1_22reduce_config_selectorIiEEZNS1_11reduce_implILb1ES3_N6thrust23THRUST_200600_302600_NS11hip_rocprim35transform_pair_of_input_iterators_tIiPiSB_NS8_12not_equal_toIiEEEESB_iNS8_4plusIiEEEE10hipError_tPvRmT1_T2_T3_mT4_P12ihipStream_tbEUlT_E1_NS1_11comp_targetILNS1_3genE5ELNS1_11target_archE942ELNS1_3gpuE9ELNS1_3repE0EEENS1_30default_config_static_selectorELNS0_4arch9wavefront6targetE1EEEvSK_ ; -- Begin function _ZN7rocprim17ROCPRIM_400000_NS6detail17trampoline_kernelINS0_14default_configENS1_22reduce_config_selectorIiEEZNS1_11reduce_implILb1ES3_N6thrust23THRUST_200600_302600_NS11hip_rocprim35transform_pair_of_input_iterators_tIiPiSB_NS8_12not_equal_toIiEEEESB_iNS8_4plusIiEEEE10hipError_tPvRmT1_T2_T3_mT4_P12ihipStream_tbEUlT_E1_NS1_11comp_targetILNS1_3genE5ELNS1_11target_archE942ELNS1_3gpuE9ELNS1_3repE0EEENS1_30default_config_static_selectorELNS0_4arch9wavefront6targetE1EEEvSK_
	.globl	_ZN7rocprim17ROCPRIM_400000_NS6detail17trampoline_kernelINS0_14default_configENS1_22reduce_config_selectorIiEEZNS1_11reduce_implILb1ES3_N6thrust23THRUST_200600_302600_NS11hip_rocprim35transform_pair_of_input_iterators_tIiPiSB_NS8_12not_equal_toIiEEEESB_iNS8_4plusIiEEEE10hipError_tPvRmT1_T2_T3_mT4_P12ihipStream_tbEUlT_E1_NS1_11comp_targetILNS1_3genE5ELNS1_11target_archE942ELNS1_3gpuE9ELNS1_3repE0EEENS1_30default_config_static_selectorELNS0_4arch9wavefront6targetE1EEEvSK_
	.p2align	8
	.type	_ZN7rocprim17ROCPRIM_400000_NS6detail17trampoline_kernelINS0_14default_configENS1_22reduce_config_selectorIiEEZNS1_11reduce_implILb1ES3_N6thrust23THRUST_200600_302600_NS11hip_rocprim35transform_pair_of_input_iterators_tIiPiSB_NS8_12not_equal_toIiEEEESB_iNS8_4plusIiEEEE10hipError_tPvRmT1_T2_T3_mT4_P12ihipStream_tbEUlT_E1_NS1_11comp_targetILNS1_3genE5ELNS1_11target_archE942ELNS1_3gpuE9ELNS1_3repE0EEENS1_30default_config_static_selectorELNS0_4arch9wavefront6targetE1EEEvSK_,@function
_ZN7rocprim17ROCPRIM_400000_NS6detail17trampoline_kernelINS0_14default_configENS1_22reduce_config_selectorIiEEZNS1_11reduce_implILb1ES3_N6thrust23THRUST_200600_302600_NS11hip_rocprim35transform_pair_of_input_iterators_tIiPiSB_NS8_12not_equal_toIiEEEESB_iNS8_4plusIiEEEE10hipError_tPvRmT1_T2_T3_mT4_P12ihipStream_tbEUlT_E1_NS1_11comp_targetILNS1_3genE5ELNS1_11target_archE942ELNS1_3gpuE9ELNS1_3repE0EEENS1_30default_config_static_selectorELNS0_4arch9wavefront6targetE1EEEvSK_: ; @_ZN7rocprim17ROCPRIM_400000_NS6detail17trampoline_kernelINS0_14default_configENS1_22reduce_config_selectorIiEEZNS1_11reduce_implILb1ES3_N6thrust23THRUST_200600_302600_NS11hip_rocprim35transform_pair_of_input_iterators_tIiPiSB_NS8_12not_equal_toIiEEEESB_iNS8_4plusIiEEEE10hipError_tPvRmT1_T2_T3_mT4_P12ihipStream_tbEUlT_E1_NS1_11comp_targetILNS1_3genE5ELNS1_11target_archE942ELNS1_3gpuE9ELNS1_3repE0EEENS1_30default_config_static_selectorELNS0_4arch9wavefront6targetE1EEEvSK_
; %bb.0:
	.section	.rodata,"a",@progbits
	.p2align	6, 0x0
	.amdhsa_kernel _ZN7rocprim17ROCPRIM_400000_NS6detail17trampoline_kernelINS0_14default_configENS1_22reduce_config_selectorIiEEZNS1_11reduce_implILb1ES3_N6thrust23THRUST_200600_302600_NS11hip_rocprim35transform_pair_of_input_iterators_tIiPiSB_NS8_12not_equal_toIiEEEESB_iNS8_4plusIiEEEE10hipError_tPvRmT1_T2_T3_mT4_P12ihipStream_tbEUlT_E1_NS1_11comp_targetILNS1_3genE5ELNS1_11target_archE942ELNS1_3gpuE9ELNS1_3repE0EEENS1_30default_config_static_selectorELNS0_4arch9wavefront6targetE1EEEvSK_
		.amdhsa_group_segment_fixed_size 0
		.amdhsa_private_segment_fixed_size 0
		.amdhsa_kernarg_size 56
		.amdhsa_user_sgpr_count 6
		.amdhsa_user_sgpr_private_segment_buffer 1
		.amdhsa_user_sgpr_dispatch_ptr 0
		.amdhsa_user_sgpr_queue_ptr 0
		.amdhsa_user_sgpr_kernarg_segment_ptr 1
		.amdhsa_user_sgpr_dispatch_id 0
		.amdhsa_user_sgpr_flat_scratch_init 0
		.amdhsa_user_sgpr_kernarg_preload_length 0
		.amdhsa_user_sgpr_kernarg_preload_offset 0
		.amdhsa_user_sgpr_private_segment_size 0
		.amdhsa_uses_dynamic_stack 0
		.amdhsa_system_sgpr_private_segment_wavefront_offset 0
		.amdhsa_system_sgpr_workgroup_id_x 1
		.amdhsa_system_sgpr_workgroup_id_y 0
		.amdhsa_system_sgpr_workgroup_id_z 0
		.amdhsa_system_sgpr_workgroup_info 0
		.amdhsa_system_vgpr_workitem_id 0
		.amdhsa_next_free_vgpr 1
		.amdhsa_next_free_sgpr 0
		.amdhsa_accum_offset 4
		.amdhsa_reserve_vcc 0
		.amdhsa_reserve_flat_scratch 0
		.amdhsa_float_round_mode_32 0
		.amdhsa_float_round_mode_16_64 0
		.amdhsa_float_denorm_mode_32 3
		.amdhsa_float_denorm_mode_16_64 3
		.amdhsa_dx10_clamp 1
		.amdhsa_ieee_mode 1
		.amdhsa_fp16_overflow 0
		.amdhsa_tg_split 0
		.amdhsa_exception_fp_ieee_invalid_op 0
		.amdhsa_exception_fp_denorm_src 0
		.amdhsa_exception_fp_ieee_div_zero 0
		.amdhsa_exception_fp_ieee_overflow 0
		.amdhsa_exception_fp_ieee_underflow 0
		.amdhsa_exception_fp_ieee_inexact 0
		.amdhsa_exception_int_div_zero 0
	.end_amdhsa_kernel
	.section	.text._ZN7rocprim17ROCPRIM_400000_NS6detail17trampoline_kernelINS0_14default_configENS1_22reduce_config_selectorIiEEZNS1_11reduce_implILb1ES3_N6thrust23THRUST_200600_302600_NS11hip_rocprim35transform_pair_of_input_iterators_tIiPiSB_NS8_12not_equal_toIiEEEESB_iNS8_4plusIiEEEE10hipError_tPvRmT1_T2_T3_mT4_P12ihipStream_tbEUlT_E1_NS1_11comp_targetILNS1_3genE5ELNS1_11target_archE942ELNS1_3gpuE9ELNS1_3repE0EEENS1_30default_config_static_selectorELNS0_4arch9wavefront6targetE1EEEvSK_,"axG",@progbits,_ZN7rocprim17ROCPRIM_400000_NS6detail17trampoline_kernelINS0_14default_configENS1_22reduce_config_selectorIiEEZNS1_11reduce_implILb1ES3_N6thrust23THRUST_200600_302600_NS11hip_rocprim35transform_pair_of_input_iterators_tIiPiSB_NS8_12not_equal_toIiEEEESB_iNS8_4plusIiEEEE10hipError_tPvRmT1_T2_T3_mT4_P12ihipStream_tbEUlT_E1_NS1_11comp_targetILNS1_3genE5ELNS1_11target_archE942ELNS1_3gpuE9ELNS1_3repE0EEENS1_30default_config_static_selectorELNS0_4arch9wavefront6targetE1EEEvSK_,comdat
.Lfunc_end930:
	.size	_ZN7rocprim17ROCPRIM_400000_NS6detail17trampoline_kernelINS0_14default_configENS1_22reduce_config_selectorIiEEZNS1_11reduce_implILb1ES3_N6thrust23THRUST_200600_302600_NS11hip_rocprim35transform_pair_of_input_iterators_tIiPiSB_NS8_12not_equal_toIiEEEESB_iNS8_4plusIiEEEE10hipError_tPvRmT1_T2_T3_mT4_P12ihipStream_tbEUlT_E1_NS1_11comp_targetILNS1_3genE5ELNS1_11target_archE942ELNS1_3gpuE9ELNS1_3repE0EEENS1_30default_config_static_selectorELNS0_4arch9wavefront6targetE1EEEvSK_, .Lfunc_end930-_ZN7rocprim17ROCPRIM_400000_NS6detail17trampoline_kernelINS0_14default_configENS1_22reduce_config_selectorIiEEZNS1_11reduce_implILb1ES3_N6thrust23THRUST_200600_302600_NS11hip_rocprim35transform_pair_of_input_iterators_tIiPiSB_NS8_12not_equal_toIiEEEESB_iNS8_4plusIiEEEE10hipError_tPvRmT1_T2_T3_mT4_P12ihipStream_tbEUlT_E1_NS1_11comp_targetILNS1_3genE5ELNS1_11target_archE942ELNS1_3gpuE9ELNS1_3repE0EEENS1_30default_config_static_selectorELNS0_4arch9wavefront6targetE1EEEvSK_
                                        ; -- End function
	.section	.AMDGPU.csdata,"",@progbits
; Kernel info:
; codeLenInByte = 0
; NumSgprs: 4
; NumVgprs: 0
; NumAgprs: 0
; TotalNumVgprs: 0
; ScratchSize: 0
; MemoryBound: 0
; FloatMode: 240
; IeeeMode: 1
; LDSByteSize: 0 bytes/workgroup (compile time only)
; SGPRBlocks: 0
; VGPRBlocks: 0
; NumSGPRsForWavesPerEU: 4
; NumVGPRsForWavesPerEU: 1
; AccumOffset: 4
; Occupancy: 8
; WaveLimiterHint : 0
; COMPUTE_PGM_RSRC2:SCRATCH_EN: 0
; COMPUTE_PGM_RSRC2:USER_SGPR: 6
; COMPUTE_PGM_RSRC2:TRAP_HANDLER: 0
; COMPUTE_PGM_RSRC2:TGID_X_EN: 1
; COMPUTE_PGM_RSRC2:TGID_Y_EN: 0
; COMPUTE_PGM_RSRC2:TGID_Z_EN: 0
; COMPUTE_PGM_RSRC2:TIDIG_COMP_CNT: 0
; COMPUTE_PGM_RSRC3_GFX90A:ACCUM_OFFSET: 0
; COMPUTE_PGM_RSRC3_GFX90A:TG_SPLIT: 0
	.section	.text._ZN7rocprim17ROCPRIM_400000_NS6detail17trampoline_kernelINS0_14default_configENS1_22reduce_config_selectorIiEEZNS1_11reduce_implILb1ES3_N6thrust23THRUST_200600_302600_NS11hip_rocprim35transform_pair_of_input_iterators_tIiPiSB_NS8_12not_equal_toIiEEEESB_iNS8_4plusIiEEEE10hipError_tPvRmT1_T2_T3_mT4_P12ihipStream_tbEUlT_E1_NS1_11comp_targetILNS1_3genE4ELNS1_11target_archE910ELNS1_3gpuE8ELNS1_3repE0EEENS1_30default_config_static_selectorELNS0_4arch9wavefront6targetE1EEEvSK_,"axG",@progbits,_ZN7rocprim17ROCPRIM_400000_NS6detail17trampoline_kernelINS0_14default_configENS1_22reduce_config_selectorIiEEZNS1_11reduce_implILb1ES3_N6thrust23THRUST_200600_302600_NS11hip_rocprim35transform_pair_of_input_iterators_tIiPiSB_NS8_12not_equal_toIiEEEESB_iNS8_4plusIiEEEE10hipError_tPvRmT1_T2_T3_mT4_P12ihipStream_tbEUlT_E1_NS1_11comp_targetILNS1_3genE4ELNS1_11target_archE910ELNS1_3gpuE8ELNS1_3repE0EEENS1_30default_config_static_selectorELNS0_4arch9wavefront6targetE1EEEvSK_,comdat
	.protected	_ZN7rocprim17ROCPRIM_400000_NS6detail17trampoline_kernelINS0_14default_configENS1_22reduce_config_selectorIiEEZNS1_11reduce_implILb1ES3_N6thrust23THRUST_200600_302600_NS11hip_rocprim35transform_pair_of_input_iterators_tIiPiSB_NS8_12not_equal_toIiEEEESB_iNS8_4plusIiEEEE10hipError_tPvRmT1_T2_T3_mT4_P12ihipStream_tbEUlT_E1_NS1_11comp_targetILNS1_3genE4ELNS1_11target_archE910ELNS1_3gpuE8ELNS1_3repE0EEENS1_30default_config_static_selectorELNS0_4arch9wavefront6targetE1EEEvSK_ ; -- Begin function _ZN7rocprim17ROCPRIM_400000_NS6detail17trampoline_kernelINS0_14default_configENS1_22reduce_config_selectorIiEEZNS1_11reduce_implILb1ES3_N6thrust23THRUST_200600_302600_NS11hip_rocprim35transform_pair_of_input_iterators_tIiPiSB_NS8_12not_equal_toIiEEEESB_iNS8_4plusIiEEEE10hipError_tPvRmT1_T2_T3_mT4_P12ihipStream_tbEUlT_E1_NS1_11comp_targetILNS1_3genE4ELNS1_11target_archE910ELNS1_3gpuE8ELNS1_3repE0EEENS1_30default_config_static_selectorELNS0_4arch9wavefront6targetE1EEEvSK_
	.globl	_ZN7rocprim17ROCPRIM_400000_NS6detail17trampoline_kernelINS0_14default_configENS1_22reduce_config_selectorIiEEZNS1_11reduce_implILb1ES3_N6thrust23THRUST_200600_302600_NS11hip_rocprim35transform_pair_of_input_iterators_tIiPiSB_NS8_12not_equal_toIiEEEESB_iNS8_4plusIiEEEE10hipError_tPvRmT1_T2_T3_mT4_P12ihipStream_tbEUlT_E1_NS1_11comp_targetILNS1_3genE4ELNS1_11target_archE910ELNS1_3gpuE8ELNS1_3repE0EEENS1_30default_config_static_selectorELNS0_4arch9wavefront6targetE1EEEvSK_
	.p2align	8
	.type	_ZN7rocprim17ROCPRIM_400000_NS6detail17trampoline_kernelINS0_14default_configENS1_22reduce_config_selectorIiEEZNS1_11reduce_implILb1ES3_N6thrust23THRUST_200600_302600_NS11hip_rocprim35transform_pair_of_input_iterators_tIiPiSB_NS8_12not_equal_toIiEEEESB_iNS8_4plusIiEEEE10hipError_tPvRmT1_T2_T3_mT4_P12ihipStream_tbEUlT_E1_NS1_11comp_targetILNS1_3genE4ELNS1_11target_archE910ELNS1_3gpuE8ELNS1_3repE0EEENS1_30default_config_static_selectorELNS0_4arch9wavefront6targetE1EEEvSK_,@function
_ZN7rocprim17ROCPRIM_400000_NS6detail17trampoline_kernelINS0_14default_configENS1_22reduce_config_selectorIiEEZNS1_11reduce_implILb1ES3_N6thrust23THRUST_200600_302600_NS11hip_rocprim35transform_pair_of_input_iterators_tIiPiSB_NS8_12not_equal_toIiEEEESB_iNS8_4plusIiEEEE10hipError_tPvRmT1_T2_T3_mT4_P12ihipStream_tbEUlT_E1_NS1_11comp_targetILNS1_3genE4ELNS1_11target_archE910ELNS1_3gpuE8ELNS1_3repE0EEENS1_30default_config_static_selectorELNS0_4arch9wavefront6targetE1EEEvSK_: ; @_ZN7rocprim17ROCPRIM_400000_NS6detail17trampoline_kernelINS0_14default_configENS1_22reduce_config_selectorIiEEZNS1_11reduce_implILb1ES3_N6thrust23THRUST_200600_302600_NS11hip_rocprim35transform_pair_of_input_iterators_tIiPiSB_NS8_12not_equal_toIiEEEESB_iNS8_4plusIiEEEE10hipError_tPvRmT1_T2_T3_mT4_P12ihipStream_tbEUlT_E1_NS1_11comp_targetILNS1_3genE4ELNS1_11target_archE910ELNS1_3gpuE8ELNS1_3repE0EEENS1_30default_config_static_selectorELNS0_4arch9wavefront6targetE1EEEvSK_
; %bb.0:
	s_load_dword s33, s[4:5], 0x4
	s_load_dwordx4 s[40:43], s[4:5], 0x8
	s_load_dwordx4 s[36:39], s[4:5], 0x20
	s_waitcnt lgkmcnt(0)
	s_cmp_lt_i32 s33, 8
	s_cbranch_scc1 .LBB931_11
; %bb.1:
	s_cmp_gt_i32 s33, 15
	s_cbranch_scc0 .LBB931_12
; %bb.2:
	s_cmp_gt_i32 s33, 31
	s_cbranch_scc0 .LBB931_13
; %bb.3:
	s_cmp_eq_u32 s33, 32
	s_mov_b64 s[8:9], 0
	s_cbranch_scc0 .LBB931_14
; %bb.4:
	s_mov_b32 s7, 0
	s_lshl_b32 s14, s6, 12
	s_mov_b32 s15, s7
	s_lshr_b64 s[0:1], s[36:37], 12
	s_lshl_b64 s[2:3], s[14:15], 2
	s_add_u32 s10, s40, s2
	s_addc_u32 s11, s41, s3
	s_add_u32 s12, s42, s2
	s_addc_u32 s13, s43, s3
	s_cmp_lg_u64 s[0:1], s[6:7]
	s_cbranch_scc0 .LBB931_23
; %bb.5:
	v_lshlrev_b32_e32 v1, 2, v0
	v_mov_b32_e32 v2, s11
	v_add_co_u32_e32 v10, vcc, s10, v1
	v_addc_co_u32_e32 v11, vcc, 0, v2, vcc
	v_mov_b32_e32 v2, s13
	v_add_co_u32_e32 v12, vcc, s12, v1
	v_addc_co_u32_e32 v13, vcc, 0, v2, vcc
	s_movk_i32 s0, 0x2000
	v_add_co_u32_e32 v2, vcc, s0, v10
	v_addc_co_u32_e32 v3, vcc, 0, v11, vcc
	v_add_co_u32_e32 v4, vcc, s0, v12
	global_load_dword v14, v1, s[10:11]
	global_load_dword v15, v1, s[12:13]
	global_load_dword v16, v1, s[10:11] offset:1024
	global_load_dword v17, v1, s[12:13] offset:1024
	;; [unrolled: 1-line block ×6, first 2 shown]
	v_addc_co_u32_e32 v5, vcc, 0, v13, vcc
	global_load_dword v22, v[2:3], off offset:-4096
	global_load_dword v23, v[4:5], off offset:-4096
	s_movk_i32 s0, 0x1000
	v_add_co_u32_e32 v6, vcc, s0, v10
	v_addc_co_u32_e32 v7, vcc, 0, v11, vcc
	v_add_co_u32_e32 v8, vcc, s0, v12
	v_addc_co_u32_e32 v9, vcc, 0, v13, vcc
	s_movk_i32 s0, 0x3000
	v_add_co_u32_e32 v10, vcc, s0, v10
	global_load_dword v24, v[6:7], off offset:1024
	global_load_dword v25, v[8:9], off offset:1024
	;; [unrolled: 1-line block ×6, first 2 shown]
	global_load_dword v30, v[2:3], off
	global_load_dword v31, v[4:5], off
	global_load_dword v32, v[2:3], off offset:1024
	global_load_dword v33, v[4:5], off offset:1024
	;; [unrolled: 1-line block ×6, first 2 shown]
	v_addc_co_u32_e32 v11, vcc, 0, v11, vcc
	global_load_dword v38, v[10:11], off
	v_add_co_u32_e32 v12, vcc, s0, v12
	v_addc_co_u32_e32 v13, vcc, 0, v13, vcc
	global_load_dword v39, v[12:13], off
	global_load_dword v40, v[10:11], off offset:1024
	global_load_dword v41, v[12:13], off offset:1024
	;; [unrolled: 1-line block ×6, first 2 shown]
	global_load_dword v46, v1, s[10:11] offset:512
	global_load_dword v47, v1, s[12:13] offset:512
	;; [unrolled: 1-line block ×8, first 2 shown]
                                        ; kill: killed $vgpr1
	s_nop 0
	global_load_dword v1, v[6:7], off offset:512
	global_load_dword v54, v[8:9], off offset:512
	;; [unrolled: 1-line block ×11, first 2 shown]
	s_waitcnt vmcnt(49)
	v_cmp_ne_u32_e32 vcc, v14, v15
	global_load_dword v6, v[4:5], off offset:1536
	global_load_dword v7, v[2:3], off offset:2560
	;; [unrolled: 1-line block ×6, first 2 shown]
	s_nop 0
	global_load_dword v2, v[12:13], off offset:512
	global_load_dword v3, v[10:11], off offset:1536
	s_waitcnt vmcnt(53)
	v_cmp_ne_u32_e64 s[0:1], v18, v19
	s_waitcnt vmcnt(49)
	v_cmp_ne_u32_e64 s[2:3], v22, v23
	global_load_dword v4, v[12:13], off offset:1536
	global_load_dword v5, v[10:11], off offset:2560
	;; [unrolled: 1-line block ×5, first 2 shown]
	v_cndmask_b32_e64 v10, 0, 1, vcc
	v_cmp_ne_u32_e32 vcc, v16, v17
	v_cndmask_b32_e64 v11, 0, 1, vcc
	v_cmp_ne_u32_e32 vcc, v20, v21
	v_cndmask_b32_e64 v13, 0, 1, vcc
	s_waitcnt vmcnt(52)
	v_cmp_ne_u32_e32 vcc, v24, v25
	v_cndmask_b32_e64 v17, 0, 1, vcc
	s_waitcnt vmcnt(50)
	;; [unrolled: 3-line block ×12, first 2 shown]
	v_cmp_ne_u32_e32 vcc, v46, v47
	v_addc_co_u32_e32 v10, vcc, 0, v10, vcc
	s_waitcnt vmcnt(28)
	v_cmp_ne_u32_e32 vcc, v48, v49
	v_addc_co_u32_e32 v10, vcc, v10, v11, vcc
	v_cndmask_b32_e64 v12, 0, 1, s[0:1]
	s_waitcnt vmcnt(26)
	v_cmp_ne_u32_e32 vcc, v50, v51
	v_addc_co_u32_e32 v10, vcc, v10, v12, vcc
	s_waitcnt vmcnt(24)
	v_cmp_ne_u32_e32 vcc, v52, v53
	v_addc_co_u32_e32 v10, vcc, v10, v13, vcc
	v_cndmask_b32_e64 v16, 0, 1, s[2:3]
	s_waitcnt vmcnt(22)
	v_cmp_ne_u32_e32 vcc, v1, v54
	v_addc_co_u32_e32 v1, vcc, v10, v16, vcc
	s_waitcnt vmcnt(20)
	v_cmp_ne_u32_e32 vcc, v55, v56
	v_addc_co_u32_e32 v1, vcc, v1, v17, vcc
	;; [unrolled: 3-line block ×12, first 2 shown]
	v_mbcnt_lo_u32_b32 v2, -1, 0
	s_nop 0
	v_add_u32_dpp v1, v1, v1 quad_perm:[1,0,3,2] row_mask:0xf bank_mask:0xf bound_ctrl:1
	v_mbcnt_hi_u32_b32 v2, -1, v2
	v_lshlrev_b32_e32 v3, 2, v2
	v_add_u32_dpp v1, v1, v1 quad_perm:[2,3,0,1] row_mask:0xf bank_mask:0xf bound_ctrl:1
	v_or_b32_e32 v4, 0xfc, v3
	v_cmp_eq_u32_e32 vcc, 0, v2
	v_add_u32_dpp v1, v1, v1 row_ror:4 row_mask:0xf bank_mask:0xf bound_ctrl:1
	s_nop 1
	v_add_u32_dpp v1, v1, v1 row_ror:8 row_mask:0xf bank_mask:0xf bound_ctrl:1
	s_nop 1
	v_add_u32_dpp v1, v1, v1 row_bcast:15 row_mask:0xf bank_mask:0xf bound_ctrl:1
	s_nop 1
	v_add_u32_dpp v1, v1, v1 row_bcast:31 row_mask:0xf bank_mask:0xf bound_ctrl:1
	ds_bpermute_b32 v1, v4, v1
	s_and_saveexec_b64 s[0:1], vcc
	s_cbranch_execz .LBB931_7
; %bb.6:
	v_lshrrev_b32_e32 v4, 4, v0
	v_and_b32_e32 v4, 4, v4
	s_waitcnt lgkmcnt(0)
	ds_write_b32 v4, v1 offset:24
.LBB931_7:
	s_or_b64 exec, exec, s[0:1]
	v_cmp_gt_u32_e32 vcc, 64, v0
	s_waitcnt lgkmcnt(0)
	s_barrier
	s_and_saveexec_b64 s[0:1], vcc
	s_cbranch_execz .LBB931_9
; %bb.8:
	v_and_b32_e32 v1, 1, v2
	v_lshlrev_b32_e32 v1, 2, v1
	ds_read_b32 v1, v1 offset:24
	v_or_b32_e32 v2, 4, v3
	s_waitcnt lgkmcnt(0)
	ds_bpermute_b32 v2, v2, v1
	s_waitcnt lgkmcnt(0)
	v_add_u32_e32 v1, v2, v1
.LBB931_9:
	s_or_b64 exec, exec, s[0:1]
.LBB931_10:
	v_cmp_eq_u32_e64 s[0:1], 0, v0
	s_and_b64 vcc, exec, s[8:9]
	s_cbranch_vccnz .LBB931_15
	s_branch .LBB931_93
.LBB931_11:
	s_mov_b64 s[0:1], 0
                                        ; implicit-def: $vgpr1
	s_cbranch_execnz .LBB931_166
	s_branch .LBB931_224
.LBB931_12:
	s_mov_b64 s[0:1], 0
                                        ; implicit-def: $vgpr1
	s_cbranch_execnz .LBB931_134
	s_branch .LBB931_142
.LBB931_13:
	s_mov_b64 s[8:9], -1
.LBB931_14:
	s_mov_b64 s[0:1], 0
                                        ; implicit-def: $vgpr1
	s_and_b64 vcc, exec, s[8:9]
	s_cbranch_vccz .LBB931_93
.LBB931_15:
	s_cmp_eq_u32 s33, 16
	s_cbranch_scc0 .LBB931_22
; %bb.16:
	s_mov_b32 s7, 0
	s_lshl_b32 s0, s6, 11
	s_mov_b32 s1, s7
	s_lshr_b64 s[2:3], s[36:37], 11
	s_lshl_b64 s[8:9], s[0:1], 2
	s_add_u32 s34, s40, s8
	s_addc_u32 s35, s41, s9
	s_add_u32 s44, s42, s8
	s_addc_u32 s45, s43, s9
	s_cmp_lg_u64 s[2:3], s[6:7]
	s_cbranch_scc0 .LBB931_94
; %bb.17:
	v_lshlrev_b32_e32 v1, 2, v0
	v_mov_b32_e32 v2, s35
	v_add_co_u32_e32 v3, vcc, s34, v1
	v_addc_co_u32_e32 v4, vcc, 0, v2, vcc
	v_mov_b32_e32 v2, s45
	v_add_co_u32_e32 v5, vcc, s44, v1
	v_addc_co_u32_e32 v6, vcc, 0, v2, vcc
	global_load_dword v7, v1, s[34:35]
	global_load_dword v8, v1, s[34:35] offset:512
	global_load_dword v9, v1, s[34:35] offset:1024
	global_load_dword v10, v1, s[44:45]
	global_load_dword v11, v1, s[44:45] offset:512
	global_load_dword v12, v1, s[44:45] offset:1024
	;; [unrolled: 1-line block ×6, first 2 shown]
	s_movk_i32 s1, 0x1000
	v_add_co_u32_e32 v2, vcc, s1, v3
	v_addc_co_u32_e32 v3, vcc, 0, v4, vcc
	global_load_dword v17, v[2:3], off
	v_add_co_u32_e32 v4, vcc, s1, v5
	v_addc_co_u32_e32 v5, vcc, 0, v6, vcc
	global_load_dword v6, v[4:5], off
	global_load_dword v18, v[2:3], off offset:1024
	global_load_dword v19, v[4:5], off offset:1024
	;; [unrolled: 1-line block ×6, first 2 shown]
	global_load_dword v24, v1, s[34:35] offset:1536
	global_load_dword v25, v1, s[44:45] offset:1536
	;; [unrolled: 1-line block ×6, first 2 shown]
	global_load_dword v30, v[2:3], off offset:512
	global_load_dword v31, v[4:5], off offset:512
                                        ; kill: killed $vgpr1
	s_nop 0
	global_load_dword v1, v[2:3], off offset:1536
	global_load_dword v32, v[4:5], off offset:1536
	;; [unrolled: 1-line block ×6, first 2 shown]
	s_waitcnt vmcnt(28)
	v_cmp_ne_u32_e32 vcc, v7, v10
	v_cndmask_b32_e64 v2, 0, 1, vcc
	s_waitcnt vmcnt(26)
	v_cmp_ne_u32_e32 vcc, v9, v12
	v_cndmask_b32_e64 v3, 0, 1, vcc
	s_waitcnt vmcnt(24)
	v_cmp_ne_u32_e32 vcc, v13, v14
	v_cndmask_b32_e64 v4, 0, 1, vcc
	s_waitcnt vmcnt(22)
	v_cmp_ne_u32_e32 vcc, v15, v16
	v_cndmask_b32_e64 v5, 0, 1, vcc
	v_cmp_ne_u32_e32 vcc, v8, v11
	v_addc_co_u32_e32 v2, vcc, 0, v2, vcc
	s_waitcnt vmcnt(20)
	v_cmp_ne_u32_e32 vcc, v17, v6
	v_cndmask_b32_e64 v6, 0, 1, vcc
	s_waitcnt vmcnt(18)
	v_cmp_ne_u32_e32 vcc, v18, v19
	v_cndmask_b32_e64 v7, 0, 1, vcc
	;; [unrolled: 3-line block ×4, first 2 shown]
	s_waitcnt vmcnt(12)
	v_cmp_ne_u32_e32 vcc, v24, v25
	v_addc_co_u32_e32 v2, vcc, v2, v3, vcc
	s_waitcnt vmcnt(10)
	v_cmp_ne_u32_e32 vcc, v26, v27
	v_addc_co_u32_e32 v2, vcc, v2, v4, vcc
	;; [unrolled: 3-line block ×7, first 2 shown]
	v_mbcnt_lo_u32_b32 v2, -1, 0
	s_nop 0
	v_add_u32_dpp v1, v1, v1 quad_perm:[1,0,3,2] row_mask:0xf bank_mask:0xf bound_ctrl:1
	v_mbcnt_hi_u32_b32 v2, -1, v2
	v_lshlrev_b32_e32 v3, 2, v2
	v_add_u32_dpp v1, v1, v1 quad_perm:[2,3,0,1] row_mask:0xf bank_mask:0xf bound_ctrl:1
	v_or_b32_e32 v4, 0xfc, v3
	v_cmp_eq_u32_e32 vcc, 0, v2
	v_add_u32_dpp v1, v1, v1 row_ror:4 row_mask:0xf bank_mask:0xf bound_ctrl:1
	s_nop 1
	v_add_u32_dpp v1, v1, v1 row_ror:8 row_mask:0xf bank_mask:0xf bound_ctrl:1
	s_nop 1
	v_add_u32_dpp v1, v1, v1 row_bcast:15 row_mask:0xf bank_mask:0xf bound_ctrl:1
	s_nop 1
	v_add_u32_dpp v1, v1, v1 row_bcast:31 row_mask:0xf bank_mask:0xf bound_ctrl:1
	ds_bpermute_b32 v1, v4, v1
	s_and_saveexec_b64 s[2:3], vcc
	s_cbranch_execz .LBB931_19
; %bb.18:
	v_lshrrev_b32_e32 v4, 4, v0
	v_and_b32_e32 v4, 4, v4
	s_waitcnt lgkmcnt(0)
	ds_write_b32 v4, v1
.LBB931_19:
	s_or_b64 exec, exec, s[2:3]
	v_cmp_gt_u32_e32 vcc, 64, v0
	s_waitcnt lgkmcnt(0)
	s_barrier
	s_and_saveexec_b64 s[2:3], vcc
	s_cbranch_execz .LBB931_21
; %bb.20:
	v_and_b32_e32 v1, 1, v2
	v_lshlrev_b32_e32 v1, 2, v1
	ds_read_b32 v1, v1
	v_or_b32_e32 v2, 4, v3
	s_waitcnt lgkmcnt(0)
	ds_bpermute_b32 v2, v2, v1
	s_waitcnt lgkmcnt(0)
	v_add_u32_e32 v1, v2, v1
.LBB931_21:
	s_or_b64 exec, exec, s[2:3]
	s_mov_b64 s[2:3], 0
	s_branch .LBB931_95
.LBB931_22:
                                        ; implicit-def: $vgpr1
	s_branch .LBB931_142
.LBB931_23:
                                        ; implicit-def: $vgpr1
	s_cbranch_execz .LBB931_10
; %bb.24:
	s_sub_i32 s2, s36, s14
	v_cmp_gt_u32_e32 vcc, s2, v0
                                        ; implicit-def: $vgpr1
	s_and_saveexec_b64 s[0:1], vcc
	s_cbranch_execz .LBB931_26
; %bb.25:
	v_lshlrev_b32_e32 v1, 2, v0
	global_load_dword v2, v1, s[10:11]
	global_load_dword v3, v1, s[12:13]
	s_waitcnt vmcnt(0)
	v_cmp_ne_u32_e32 vcc, v2, v3
	v_cndmask_b32_e64 v1, 0, 1, vcc
.LBB931_26:
	s_or_b64 exec, exec, s[0:1]
	v_or_b32_e32 v2, 0x80, v0
	v_cmp_gt_u32_e32 vcc, s2, v2
	v_mov_b32_e32 v2, 0
	v_mov_b32_e32 v3, 0
	s_and_saveexec_b64 s[0:1], vcc
	s_cbranch_execz .LBB931_28
; %bb.27:
	v_lshlrev_b32_e32 v3, 2, v0
	global_load_dword v4, v3, s[10:11] offset:512
	global_load_dword v5, v3, s[12:13] offset:512
	s_waitcnt vmcnt(0)
	v_cmp_ne_u32_e32 vcc, v4, v5
	v_cndmask_b32_e64 v3, 0, 1, vcc
.LBB931_28:
	s_or_b64 exec, exec, s[0:1]
	v_or_b32_e32 v4, 0x100, v0
	v_cmp_gt_u32_e32 vcc, s2, v4
	s_and_saveexec_b64 s[0:1], vcc
	s_cbranch_execz .LBB931_30
; %bb.29:
	v_lshlrev_b32_e32 v2, 2, v0
	global_load_dword v4, v2, s[10:11] offset:1024
	global_load_dword v5, v2, s[12:13] offset:1024
	s_waitcnt vmcnt(0)
	v_cmp_ne_u32_e32 vcc, v4, v5
	v_cndmask_b32_e64 v2, 0, 1, vcc
.LBB931_30:
	s_or_b64 exec, exec, s[0:1]
	v_or_b32_e32 v4, 0x180, v0
	v_cmp_gt_u32_e32 vcc, s2, v4
	v_mov_b32_e32 v4, 0
	v_mov_b32_e32 v5, 0
	s_and_saveexec_b64 s[0:1], vcc
	s_cbranch_execz .LBB931_32
; %bb.31:
	v_lshlrev_b32_e32 v5, 2, v0
	global_load_dword v6, v5, s[10:11] offset:1536
	global_load_dword v7, v5, s[12:13] offset:1536
	s_waitcnt vmcnt(0)
	v_cmp_ne_u32_e32 vcc, v6, v7
	v_cndmask_b32_e64 v5, 0, 1, vcc
.LBB931_32:
	s_or_b64 exec, exec, s[0:1]
	v_or_b32_e32 v6, 0x200, v0
	v_cmp_gt_u32_e32 vcc, s2, v6
	s_and_saveexec_b64 s[0:1], vcc
	s_cbranch_execz .LBB931_34
; %bb.33:
	v_lshlrev_b32_e32 v4, 2, v0
	global_load_dword v6, v4, s[10:11] offset:2048
	global_load_dword v7, v4, s[12:13] offset:2048
	s_waitcnt vmcnt(0)
	v_cmp_ne_u32_e32 vcc, v6, v7
	v_cndmask_b32_e64 v4, 0, 1, vcc
.LBB931_34:
	;; [unrolled: 28-line block ×3, first 2 shown]
	s_or_b64 exec, exec, s[0:1]
	v_or_b32_e32 v8, 0x380, v0
	v_cmp_gt_u32_e32 vcc, s2, v8
	v_mov_b32_e32 v8, 0
	v_mov_b32_e32 v9, 0
	s_and_saveexec_b64 s[0:1], vcc
	s_cbranch_execz .LBB931_40
; %bb.39:
	v_lshlrev_b32_e32 v9, 2, v0
	global_load_dword v10, v9, s[10:11] offset:3584
	global_load_dword v11, v9, s[12:13] offset:3584
	s_waitcnt vmcnt(0)
	v_cmp_ne_u32_e32 vcc, v10, v11
	v_cndmask_b32_e64 v9, 0, 1, vcc
.LBB931_40:
	s_or_b64 exec, exec, s[0:1]
	v_or_b32_e32 v10, 0x400, v0
	v_cmp_gt_u32_e32 vcc, s2, v10
	s_and_saveexec_b64 s[0:1], vcc
	s_cbranch_execz .LBB931_42
; %bb.41:
	v_lshlrev_b32_e32 v8, 2, v10
	global_load_dword v10, v8, s[10:11]
	global_load_dword v11, v8, s[12:13]
	s_waitcnt vmcnt(0)
	v_cmp_ne_u32_e32 vcc, v10, v11
	v_cndmask_b32_e64 v8, 0, 1, vcc
.LBB931_42:
	s_or_b64 exec, exec, s[0:1]
	v_or_b32_e32 v12, 0x480, v0
	v_cmp_gt_u32_e32 vcc, s2, v12
	v_mov_b32_e32 v10, 0
	v_mov_b32_e32 v11, 0
	s_and_saveexec_b64 s[0:1], vcc
	s_cbranch_execz .LBB931_44
; %bb.43:
	v_lshlrev_b32_e32 v11, 2, v12
	global_load_dword v12, v11, s[10:11]
	global_load_dword v13, v11, s[12:13]
	s_waitcnt vmcnt(0)
	v_cmp_ne_u32_e32 vcc, v12, v13
	v_cndmask_b32_e64 v11, 0, 1, vcc
.LBB931_44:
	s_or_b64 exec, exec, s[0:1]
	v_or_b32_e32 v12, 0x500, v0
	v_cmp_gt_u32_e32 vcc, s2, v12
	s_and_saveexec_b64 s[0:1], vcc
	s_cbranch_execz .LBB931_46
; %bb.45:
	v_lshlrev_b32_e32 v10, 2, v12
	global_load_dword v12, v10, s[10:11]
	global_load_dword v13, v10, s[12:13]
	s_waitcnt vmcnt(0)
	v_cmp_ne_u32_e32 vcc, v12, v13
	v_cndmask_b32_e64 v10, 0, 1, vcc
.LBB931_46:
	s_or_b64 exec, exec, s[0:1]
	v_or_b32_e32 v14, 0x580, v0
	v_cmp_gt_u32_e32 vcc, s2, v14
	v_mov_b32_e32 v12, 0
	v_mov_b32_e32 v13, 0
	s_and_saveexec_b64 s[0:1], vcc
	s_cbranch_execz .LBB931_48
; %bb.47:
	v_lshlrev_b32_e32 v13, 2, v14
	global_load_dword v14, v13, s[10:11]
	global_load_dword v15, v13, s[12:13]
	s_waitcnt vmcnt(0)
	v_cmp_ne_u32_e32 vcc, v14, v15
	v_cndmask_b32_e64 v13, 0, 1, vcc
.LBB931_48:
	;; [unrolled: 28-line block ×11, first 2 shown]
	s_or_b64 exec, exec, s[0:1]
	v_or_b32_e32 v32, 0xf00, v0
	v_cmp_gt_u32_e32 vcc, s2, v32
	s_and_saveexec_b64 s[0:1], vcc
	s_cbranch_execz .LBB931_86
; %bb.85:
	v_lshlrev_b32_e32 v30, 2, v32
	global_load_dword v32, v30, s[10:11]
	global_load_dword v33, v30, s[12:13]
	s_waitcnt vmcnt(0)
	v_cmp_ne_u32_e32 vcc, v32, v33
	v_cndmask_b32_e64 v30, 0, 1, vcc
.LBB931_86:
	s_or_b64 exec, exec, s[0:1]
	v_or_b32_e32 v33, 0xf80, v0
	v_cmp_gt_u32_e32 vcc, s2, v33
	v_mov_b32_e32 v32, 0
	s_and_saveexec_b64 s[0:1], vcc
	s_cbranch_execz .LBB931_88
; %bb.87:
	v_lshlrev_b32_e32 v32, 2, v33
	global_load_dword v33, v32, s[10:11]
	global_load_dword v34, v32, s[12:13]
	s_waitcnt vmcnt(0)
	v_cmp_ne_u32_e32 vcc, v33, v34
	v_cndmask_b32_e64 v32, 0, 1, vcc
.LBB931_88:
	s_or_b64 exec, exec, s[0:1]
	v_add_u32_e32 v1, v3, v1
	v_add3_u32 v1, v1, v2, v5
	v_add3_u32 v1, v1, v4, v7
	;; [unrolled: 1-line block ×10, first 2 shown]
	v_mbcnt_lo_u32_b32 v2, -1, 0
	v_add3_u32 v1, v1, v22, v25
	v_mbcnt_hi_u32_b32 v2, -1, v2
	v_add3_u32 v1, v1, v24, v27
	v_and_b32_e32 v3, 63, v2
	v_add3_u32 v1, v1, v26, v29
	v_cmp_ne_u32_e32 vcc, 63, v3
	v_add3_u32 v1, v1, v28, v31
	v_addc_co_u32_e32 v4, vcc, 0, v2, vcc
	v_add3_u32 v1, v1, v30, v32
	v_lshlrev_b32_e32 v4, 2, v4
	ds_bpermute_b32 v4, v4, v1
	s_min_u32 s2, s2, 0x80
	v_and_b32_e32 v5, 64, v0
	v_sub_u32_e64 v5, s2, v5 clamp
	v_add_u32_e32 v6, 1, v3
	v_cmp_lt_u32_e32 vcc, v6, v5
	s_waitcnt lgkmcnt(0)
	v_cndmask_b32_e32 v4, 0, v4, vcc
	v_cmp_gt_u32_e32 vcc, 62, v3
	v_add_u32_e32 v1, v4, v1
	v_cndmask_b32_e64 v4, 0, 1, vcc
	v_lshlrev_b32_e32 v4, 1, v4
	v_add_lshl_u32 v4, v4, v2, 2
	ds_bpermute_b32 v4, v4, v1
	v_add_u32_e32 v6, 2, v3
	v_cmp_lt_u32_e32 vcc, v6, v5
	v_add_u32_e32 v6, 4, v3
	s_waitcnt lgkmcnt(0)
	v_cndmask_b32_e32 v4, 0, v4, vcc
	v_cmp_gt_u32_e32 vcc, 60, v3
	v_add_u32_e32 v1, v1, v4
	v_cndmask_b32_e64 v4, 0, 1, vcc
	v_lshlrev_b32_e32 v4, 2, v4
	v_add_lshl_u32 v4, v4, v2, 2
	ds_bpermute_b32 v4, v4, v1
	v_cmp_lt_u32_e32 vcc, v6, v5
	v_add_u32_e32 v6, 8, v3
	s_waitcnt lgkmcnt(0)
	v_cndmask_b32_e32 v4, 0, v4, vcc
	v_cmp_gt_u32_e32 vcc, 56, v3
	v_add_u32_e32 v1, v1, v4
	v_cndmask_b32_e64 v4, 0, 1, vcc
	v_lshlrev_b32_e32 v4, 3, v4
	v_add_lshl_u32 v4, v4, v2, 2
	ds_bpermute_b32 v4, v4, v1
	;; [unrolled: 10-line block ×3, first 2 shown]
	v_cmp_lt_u32_e32 vcc, v6, v5
	s_waitcnt lgkmcnt(0)
	v_cndmask_b32_e32 v4, 0, v4, vcc
	v_cmp_gt_u32_e32 vcc, 32, v3
	v_add_u32_e32 v1, v1, v4
	v_cndmask_b32_e64 v4, 0, 1, vcc
	v_lshlrev_b32_e32 v4, 5, v4
	v_add_lshl_u32 v4, v4, v2, 2
	ds_bpermute_b32 v4, v4, v1
	v_add_u32_e32 v3, 32, v3
	v_cmp_lt_u32_e32 vcc, v3, v5
	s_waitcnt lgkmcnt(0)
	v_cndmask_b32_e32 v3, 0, v4, vcc
	v_add_u32_e32 v1, v1, v3
	v_cmp_eq_u32_e32 vcc, 0, v2
	s_and_saveexec_b64 s[0:1], vcc
	s_cbranch_execz .LBB931_90
; %bb.89:
	v_lshrrev_b32_e32 v3, 4, v0
	v_and_b32_e32 v3, 4, v3
	ds_write_b32 v3, v1 offset:48
.LBB931_90:
	s_or_b64 exec, exec, s[0:1]
	v_cmp_gt_u32_e32 vcc, 2, v0
	s_waitcnt lgkmcnt(0)
	s_barrier
	s_and_saveexec_b64 s[0:1], vcc
	s_cbranch_execz .LBB931_92
; %bb.91:
	v_lshlrev_b32_e32 v1, 2, v2
	ds_read_b32 v3, v1 offset:48
	v_or_b32_e32 v1, 4, v1
	s_add_i32 s2, s2, 63
	v_and_b32_e32 v2, 1, v2
	s_lshr_b32 s2, s2, 6
	s_waitcnt lgkmcnt(0)
	ds_bpermute_b32 v1, v1, v3
	v_add_u32_e32 v2, 1, v2
	v_cmp_gt_u32_e32 vcc, s2, v2
	s_waitcnt lgkmcnt(0)
	v_cndmask_b32_e32 v1, 0, v1, vcc
	v_add_u32_e32 v1, v1, v3
.LBB931_92:
	s_or_b64 exec, exec, s[0:1]
	v_cmp_eq_u32_e64 s[0:1], 0, v0
	s_and_b64 vcc, exec, s[8:9]
	s_cbranch_vccnz .LBB931_15
.LBB931_93:
	s_branch .LBB931_142
.LBB931_94:
	s_mov_b64 s[2:3], -1
                                        ; implicit-def: $vgpr1
.LBB931_95:
	s_and_b64 vcc, exec, s[2:3]
	s_cbranch_vccz .LBB931_133
; %bb.96:
	s_sub_i32 s48, s36, s0
	v_cmp_gt_u32_e32 vcc, s48, v0
                                        ; implicit-def: $vgpr2_vgpr3_vgpr4_vgpr5_vgpr6_vgpr7_vgpr8_vgpr9_vgpr10_vgpr11_vgpr12_vgpr13_vgpr14_vgpr15_vgpr16_vgpr17
	s_and_saveexec_b64 s[0:1], vcc
	s_cbranch_execz .LBB931_98
; %bb.97:
	v_lshlrev_b32_e32 v1, 2, v0
	global_load_dword v2, v1, s[34:35]
	global_load_dword v3, v1, s[44:45]
	s_waitcnt vmcnt(0)
	v_cmp_ne_u32_e32 vcc, v2, v3
	v_cndmask_b32_e64 v2, 0, 1, vcc
.LBB931_98:
	s_or_b64 exec, exec, s[0:1]
	v_or_b32_e32 v1, 0x80, v0
	v_cmp_gt_u32_e32 vcc, s48, v1
	s_and_saveexec_b64 s[2:3], vcc
	s_cbranch_execz .LBB931_100
; %bb.99:
	v_lshlrev_b32_e32 v1, 2, v0
	global_load_dword v3, v1, s[34:35] offset:512
	global_load_dword v18, v1, s[44:45] offset:512
	s_waitcnt vmcnt(0)
	v_cmp_ne_u32_e64 s[0:1], v3, v18
	v_cndmask_b32_e64 v3, 0, 1, s[0:1]
.LBB931_100:
	s_or_b64 exec, exec, s[2:3]
	v_or_b32_e32 v1, 0x100, v0
	v_cmp_gt_u32_e64 s[0:1], s48, v1
	s_and_saveexec_b64 s[8:9], s[0:1]
	s_cbranch_execz .LBB931_102
; %bb.101:
	v_lshlrev_b32_e32 v1, 2, v0
	global_load_dword v4, v1, s[34:35] offset:1024
	global_load_dword v18, v1, s[44:45] offset:1024
	s_waitcnt vmcnt(0)
	v_cmp_ne_u32_e64 s[2:3], v4, v18
	v_cndmask_b32_e64 v4, 0, 1, s[2:3]
.LBB931_102:
	s_or_b64 exec, exec, s[8:9]
	v_or_b32_e32 v1, 0x180, v0
	v_cmp_gt_u32_e64 s[2:3], s48, v1
	s_and_saveexec_b64 s[10:11], s[2:3]
	;; [unrolled: 13-line block ×7, first 2 shown]
	s_cbranch_execz .LBB931_114
; %bb.113:
	v_lshlrev_b32_e32 v1, 2, v1
	global_load_dword v10, v1, s[34:35]
	global_load_dword v18, v1, s[44:45]
	s_waitcnt vmcnt(0)
	v_cmp_ne_u32_e64 s[18:19], v10, v18
	v_cndmask_b32_e64 v10, 0, 1, s[18:19]
.LBB931_114:
	s_or_b64 exec, exec, s[20:21]
	v_or_b32_e32 v1, 0x480, v0
	v_cmp_gt_u32_e64 s[18:19], s48, v1
	s_and_saveexec_b64 s[22:23], s[18:19]
	s_cbranch_execz .LBB931_116
; %bb.115:
	v_lshlrev_b32_e32 v1, 2, v1
	global_load_dword v11, v1, s[34:35]
	global_load_dword v18, v1, s[44:45]
	s_waitcnt vmcnt(0)
	v_cmp_ne_u32_e64 s[20:21], v11, v18
	v_cndmask_b32_e64 v11, 0, 1, s[20:21]
.LBB931_116:
	s_or_b64 exec, exec, s[22:23]
	v_or_b32_e32 v1, 0x500, v0
	v_cmp_gt_u32_e64 s[20:21], s48, v1
	s_and_saveexec_b64 s[24:25], s[20:21]
	;; [unrolled: 13-line block ×6, first 2 shown]
	s_cbranch_execz .LBB931_126
; %bb.125:
	v_lshlrev_b32_e32 v1, 2, v1
	global_load_dword v16, v1, s[34:35]
	s_nop 0
	global_load_dword v1, v1, s[44:45]
	s_waitcnt vmcnt(0)
	v_cmp_ne_u32_e64 s[30:31], v16, v1
	v_cndmask_b32_e64 v16, 0, 1, s[30:31]
.LBB931_126:
	s_or_b64 exec, exec, s[46:47]
	v_or_b32_e32 v1, 0x780, v0
	v_cmp_gt_u32_e64 s[30:31], s48, v1
	s_and_saveexec_b64 s[46:47], s[30:31]
	s_cbranch_execz .LBB931_128
; %bb.127:
	v_lshlrev_b32_e32 v1, 2, v1
	global_load_dword v17, v1, s[34:35]
	s_nop 0
	global_load_dword v1, v1, s[44:45]
	s_waitcnt vmcnt(0)
	v_cmp_ne_u32_e64 s[34:35], v17, v1
	v_cndmask_b32_e64 v17, 0, 1, s[34:35]
.LBB931_128:
	s_or_b64 exec, exec, s[46:47]
	v_cndmask_b32_e32 v1, 0, v3, vcc
	v_add_u32_e32 v1, v1, v2
	v_cndmask_b32_e64 v2, 0, v4, s[0:1]
	v_cndmask_b32_e64 v3, 0, v5, s[2:3]
	v_add3_u32 v1, v1, v2, v3
	v_cndmask_b32_e64 v2, 0, v6, s[8:9]
	v_cndmask_b32_e64 v3, 0, v7, s[10:11]
	v_add3_u32 v1, v1, v2, v3
	;; [unrolled: 3-line block ×7, first 2 shown]
	v_mbcnt_lo_u32_b32 v2, -1, 0
	v_mbcnt_hi_u32_b32 v2, -1, v2
	v_and_b32_e32 v3, 63, v2
	v_cmp_ne_u32_e32 vcc, 63, v3
	v_addc_co_u32_e32 v4, vcc, 0, v2, vcc
	v_lshlrev_b32_e32 v4, 2, v4
	ds_bpermute_b32 v4, v4, v1
	s_min_u32 s2, s48, 0x80
	v_and_b32_e32 v5, 64, v0
	v_sub_u32_e64 v5, s2, v5 clamp
	v_add_u32_e32 v6, 1, v3
	v_cmp_lt_u32_e32 vcc, v6, v5
	s_waitcnt lgkmcnt(0)
	v_cndmask_b32_e32 v4, 0, v4, vcc
	v_cmp_gt_u32_e32 vcc, 62, v3
	v_add_u32_e32 v1, v1, v4
	v_cndmask_b32_e64 v4, 0, 1, vcc
	v_lshlrev_b32_e32 v4, 1, v4
	v_add_lshl_u32 v4, v4, v2, 2
	ds_bpermute_b32 v4, v4, v1
	v_add_u32_e32 v6, 2, v3
	v_cmp_lt_u32_e32 vcc, v6, v5
	v_add_u32_e32 v6, 4, v3
	s_waitcnt lgkmcnt(0)
	v_cndmask_b32_e32 v4, 0, v4, vcc
	v_cmp_gt_u32_e32 vcc, 60, v3
	v_add_u32_e32 v1, v1, v4
	v_cndmask_b32_e64 v4, 0, 1, vcc
	v_lshlrev_b32_e32 v4, 2, v4
	v_add_lshl_u32 v4, v4, v2, 2
	ds_bpermute_b32 v4, v4, v1
	v_cmp_lt_u32_e32 vcc, v6, v5
	v_add_u32_e32 v6, 8, v3
	s_waitcnt lgkmcnt(0)
	v_cndmask_b32_e32 v4, 0, v4, vcc
	v_cmp_gt_u32_e32 vcc, 56, v3
	v_add_u32_e32 v1, v1, v4
	v_cndmask_b32_e64 v4, 0, 1, vcc
	v_lshlrev_b32_e32 v4, 3, v4
	v_add_lshl_u32 v4, v4, v2, 2
	ds_bpermute_b32 v4, v4, v1
	;; [unrolled: 10-line block ×3, first 2 shown]
	v_cmp_lt_u32_e32 vcc, v6, v5
	s_waitcnt lgkmcnt(0)
	v_cndmask_b32_e32 v4, 0, v4, vcc
	v_cmp_gt_u32_e32 vcc, 32, v3
	v_add_u32_e32 v1, v1, v4
	v_cndmask_b32_e64 v4, 0, 1, vcc
	v_lshlrev_b32_e32 v4, 5, v4
	v_add_lshl_u32 v4, v4, v2, 2
	ds_bpermute_b32 v4, v4, v1
	v_add_u32_e32 v3, 32, v3
	v_cmp_lt_u32_e32 vcc, v3, v5
	s_waitcnt lgkmcnt(0)
	v_cndmask_b32_e32 v3, 0, v4, vcc
	v_add_u32_e32 v1, v1, v3
	v_cmp_eq_u32_e32 vcc, 0, v2
	s_and_saveexec_b64 s[0:1], vcc
	s_cbranch_execz .LBB931_130
; %bb.129:
	v_lshrrev_b32_e32 v3, 4, v0
	v_and_b32_e32 v3, 4, v3
	ds_write_b32 v3, v1 offset:48
.LBB931_130:
	s_or_b64 exec, exec, s[0:1]
	v_cmp_gt_u32_e32 vcc, 2, v0
	s_waitcnt lgkmcnt(0)
	s_barrier
	s_and_saveexec_b64 s[0:1], vcc
	s_cbranch_execz .LBB931_132
; %bb.131:
	v_lshlrev_b32_e32 v1, 2, v2
	ds_read_b32 v3, v1 offset:48
	v_or_b32_e32 v1, 4, v1
	s_add_i32 s2, s2, 63
	v_and_b32_e32 v2, 1, v2
	s_lshr_b32 s2, s2, 6
	s_waitcnt lgkmcnt(0)
	ds_bpermute_b32 v1, v1, v3
	v_add_u32_e32 v2, 1, v2
	v_cmp_gt_u32_e32 vcc, s2, v2
	s_waitcnt lgkmcnt(0)
	v_cndmask_b32_e32 v1, 0, v1, vcc
	v_add_u32_e32 v1, v1, v3
.LBB931_132:
	s_or_b64 exec, exec, s[0:1]
.LBB931_133:
	v_cmp_eq_u32_e64 s[0:1], 0, v0
	s_branch .LBB931_142
.LBB931_134:
	s_cmp_eq_u32 s33, 8
	s_cbranch_scc0 .LBB931_141
; %bb.135:
	s_mov_b32 s7, 0
	s_lshl_b32 s0, s6, 10
	s_mov_b32 s1, s7
	s_lshr_b64 s[2:3], s[36:37], 10
	s_lshl_b64 s[8:9], s[0:1], 2
	s_add_u32 s16, s40, s8
	s_addc_u32 s17, s41, s9
	s_add_u32 s18, s42, s8
	s_addc_u32 s19, s43, s9
	s_cmp_lg_u64 s[2:3], s[6:7]
	s_cbranch_scc0 .LBB931_143
; %bb.136:
	v_lshlrev_b32_e32 v1, 2, v0
	global_load_dword v4, v1, s[16:17]
	global_load_dword v5, v1, s[18:19]
	global_load_dword v6, v1, s[16:17] offset:1024
	global_load_dword v7, v1, s[18:19] offset:1024
	;; [unrolled: 1-line block ×13, first 2 shown]
	s_nop 0
	global_load_dword v1, v1, s[18:19] offset:3584
	v_mbcnt_lo_u32_b32 v2, -1, 0
	v_mbcnt_hi_u32_b32 v2, -1, v2
	v_lshlrev_b32_e32 v3, 2, v2
	s_waitcnt vmcnt(14)
	v_cmp_ne_u32_e32 vcc, v4, v5
	v_cndmask_b32_e64 v4, 0, 1, vcc
	s_waitcnt vmcnt(12)
	v_cmp_ne_u32_e32 vcc, v6, v7
	v_cndmask_b32_e64 v5, 0, 1, vcc
	s_waitcnt vmcnt(10)
	v_cmp_ne_u32_e32 vcc, v8, v9
	v_cndmask_b32_e64 v6, 0, 1, vcc
	s_waitcnt vmcnt(8)
	v_cmp_ne_u32_e32 vcc, v10, v11
	v_cndmask_b32_e64 v7, 0, 1, vcc
	s_waitcnt vmcnt(6)
	v_cmp_ne_u32_e32 vcc, v12, v13
	v_addc_co_u32_e32 v4, vcc, 0, v4, vcc
	s_waitcnt vmcnt(4)
	v_cmp_ne_u32_e32 vcc, v14, v15
	v_addc_co_u32_e32 v4, vcc, v4, v5, vcc
	;; [unrolled: 3-line block ×4, first 2 shown]
	v_or_b32_e32 v4, 0xfc, v3
	s_nop 0
	v_add_u32_dpp v1, v1, v1 quad_perm:[1,0,3,2] row_mask:0xf bank_mask:0xf bound_ctrl:1
	v_cmp_eq_u32_e32 vcc, 0, v2
	s_nop 0
	v_add_u32_dpp v1, v1, v1 quad_perm:[2,3,0,1] row_mask:0xf bank_mask:0xf bound_ctrl:1
	s_nop 1
	v_add_u32_dpp v1, v1, v1 row_ror:4 row_mask:0xf bank_mask:0xf bound_ctrl:1
	s_nop 1
	v_add_u32_dpp v1, v1, v1 row_ror:8 row_mask:0xf bank_mask:0xf bound_ctrl:1
	s_nop 1
	v_add_u32_dpp v1, v1, v1 row_bcast:15 row_mask:0xf bank_mask:0xf bound_ctrl:1
	s_nop 1
	v_add_u32_dpp v1, v1, v1 row_bcast:31 row_mask:0xf bank_mask:0xf bound_ctrl:1
	ds_bpermute_b32 v1, v4, v1
	s_and_saveexec_b64 s[2:3], vcc
	s_cbranch_execz .LBB931_138
; %bb.137:
	v_lshrrev_b32_e32 v4, 4, v0
	v_and_b32_e32 v4, 4, v4
	s_waitcnt lgkmcnt(0)
	ds_write_b32 v4, v1 offset:40
.LBB931_138:
	s_or_b64 exec, exec, s[2:3]
	v_cmp_gt_u32_e32 vcc, 64, v0
	s_waitcnt lgkmcnt(0)
	s_barrier
	s_and_saveexec_b64 s[2:3], vcc
	s_cbranch_execz .LBB931_140
; %bb.139:
	v_and_b32_e32 v1, 1, v2
	v_lshlrev_b32_e32 v1, 2, v1
	ds_read_b32 v1, v1 offset:40
	v_or_b32_e32 v2, 4, v3
	s_waitcnt lgkmcnt(0)
	ds_bpermute_b32 v2, v2, v1
	s_waitcnt lgkmcnt(0)
	v_add_u32_e32 v1, v2, v1
.LBB931_140:
	s_or_b64 exec, exec, s[2:3]
	s_branch .LBB931_165
.LBB931_141:
                                        ; implicit-def: $vgpr1
.LBB931_142:
	s_branch .LBB931_224
.LBB931_143:
                                        ; implicit-def: $vgpr1
	s_cbranch_execz .LBB931_165
; %bb.144:
	s_sub_i32 s22, s36, s0
	v_cmp_gt_u32_e32 vcc, s22, v0
                                        ; implicit-def: $vgpr2_vgpr3_vgpr4_vgpr5_vgpr6_vgpr7_vgpr8_vgpr9
	s_and_saveexec_b64 s[0:1], vcc
	s_cbranch_execz .LBB931_146
; %bb.145:
	v_lshlrev_b32_e32 v1, 2, v0
	global_load_dword v2, v1, s[16:17]
	global_load_dword v3, v1, s[18:19]
	s_waitcnt vmcnt(0)
	v_cmp_ne_u32_e32 vcc, v2, v3
	v_cndmask_b32_e64 v2, 0, 1, vcc
.LBB931_146:
	s_or_b64 exec, exec, s[0:1]
	v_or_b32_e32 v1, 0x80, v0
	v_cmp_gt_u32_e32 vcc, s22, v1
	s_and_saveexec_b64 s[2:3], vcc
	s_cbranch_execz .LBB931_148
; %bb.147:
	v_lshlrev_b32_e32 v1, 2, v0
	global_load_dword v3, v1, s[16:17] offset:512
	global_load_dword v10, v1, s[18:19] offset:512
	s_waitcnt vmcnt(0)
	v_cmp_ne_u32_e64 s[0:1], v3, v10
	v_cndmask_b32_e64 v3, 0, 1, s[0:1]
.LBB931_148:
	s_or_b64 exec, exec, s[2:3]
	v_or_b32_e32 v1, 0x100, v0
	v_cmp_gt_u32_e64 s[0:1], s22, v1
	s_and_saveexec_b64 s[8:9], s[0:1]
	s_cbranch_execz .LBB931_150
; %bb.149:
	v_lshlrev_b32_e32 v1, 2, v0
	global_load_dword v4, v1, s[16:17] offset:1024
	global_load_dword v10, v1, s[18:19] offset:1024
	s_waitcnt vmcnt(0)
	v_cmp_ne_u32_e64 s[2:3], v4, v10
	v_cndmask_b32_e64 v4, 0, 1, s[2:3]
.LBB931_150:
	s_or_b64 exec, exec, s[8:9]
	v_or_b32_e32 v1, 0x180, v0
	v_cmp_gt_u32_e64 s[2:3], s22, v1
	s_and_saveexec_b64 s[10:11], s[2:3]
	;; [unrolled: 13-line block ×6, first 2 shown]
	s_cbranch_execz .LBB931_160
; %bb.159:
	v_lshlrev_b32_e32 v1, 2, v0
	global_load_dword v9, v1, s[16:17] offset:3584
	global_load_dword v10, v1, s[18:19] offset:3584
	s_waitcnt vmcnt(0)
	v_cmp_ne_u32_e64 s[16:17], v9, v10
	v_cndmask_b32_e64 v9, 0, 1, s[16:17]
.LBB931_160:
	s_or_b64 exec, exec, s[20:21]
	v_cndmask_b32_e32 v1, 0, v3, vcc
	v_add_u32_e32 v1, v1, v2
	v_cndmask_b32_e64 v2, 0, v4, s[0:1]
	v_cndmask_b32_e64 v3, 0, v5, s[2:3]
	v_add3_u32 v1, v1, v2, v3
	v_cndmask_b32_e64 v2, 0, v6, s[8:9]
	v_cndmask_b32_e64 v3, 0, v7, s[10:11]
	v_add3_u32 v1, v1, v2, v3
	;; [unrolled: 3-line block ×3, first 2 shown]
	v_mbcnt_lo_u32_b32 v2, -1, 0
	v_mbcnt_hi_u32_b32 v2, -1, v2
	v_and_b32_e32 v3, 63, v2
	v_cmp_ne_u32_e32 vcc, 63, v3
	v_addc_co_u32_e32 v4, vcc, 0, v2, vcc
	v_lshlrev_b32_e32 v4, 2, v4
	ds_bpermute_b32 v4, v4, v1
	s_min_u32 s2, s22, 0x80
	v_and_b32_e32 v5, 64, v0
	v_sub_u32_e64 v5, s2, v5 clamp
	v_add_u32_e32 v6, 1, v3
	v_cmp_lt_u32_e32 vcc, v6, v5
	s_waitcnt lgkmcnt(0)
	v_cndmask_b32_e32 v4, 0, v4, vcc
	v_cmp_gt_u32_e32 vcc, 62, v3
	v_add_u32_e32 v1, v1, v4
	v_cndmask_b32_e64 v4, 0, 1, vcc
	v_lshlrev_b32_e32 v4, 1, v4
	v_add_lshl_u32 v4, v4, v2, 2
	ds_bpermute_b32 v4, v4, v1
	v_add_u32_e32 v6, 2, v3
	v_cmp_lt_u32_e32 vcc, v6, v5
	v_add_u32_e32 v6, 4, v3
	s_waitcnt lgkmcnt(0)
	v_cndmask_b32_e32 v4, 0, v4, vcc
	v_cmp_gt_u32_e32 vcc, 60, v3
	v_add_u32_e32 v1, v1, v4
	v_cndmask_b32_e64 v4, 0, 1, vcc
	v_lshlrev_b32_e32 v4, 2, v4
	v_add_lshl_u32 v4, v4, v2, 2
	ds_bpermute_b32 v4, v4, v1
	v_cmp_lt_u32_e32 vcc, v6, v5
	v_add_u32_e32 v6, 8, v3
	s_waitcnt lgkmcnt(0)
	v_cndmask_b32_e32 v4, 0, v4, vcc
	v_cmp_gt_u32_e32 vcc, 56, v3
	v_add_u32_e32 v1, v1, v4
	v_cndmask_b32_e64 v4, 0, 1, vcc
	v_lshlrev_b32_e32 v4, 3, v4
	v_add_lshl_u32 v4, v4, v2, 2
	ds_bpermute_b32 v4, v4, v1
	;; [unrolled: 10-line block ×3, first 2 shown]
	v_cmp_lt_u32_e32 vcc, v6, v5
	s_waitcnt lgkmcnt(0)
	v_cndmask_b32_e32 v4, 0, v4, vcc
	v_cmp_gt_u32_e32 vcc, 32, v3
	v_add_u32_e32 v1, v1, v4
	v_cndmask_b32_e64 v4, 0, 1, vcc
	v_lshlrev_b32_e32 v4, 5, v4
	v_add_lshl_u32 v4, v4, v2, 2
	ds_bpermute_b32 v4, v4, v1
	v_add_u32_e32 v3, 32, v3
	v_cmp_lt_u32_e32 vcc, v3, v5
	s_waitcnt lgkmcnt(0)
	v_cndmask_b32_e32 v3, 0, v4, vcc
	v_add_u32_e32 v1, v1, v3
	v_cmp_eq_u32_e32 vcc, 0, v2
	s_and_saveexec_b64 s[0:1], vcc
	s_cbranch_execz .LBB931_162
; %bb.161:
	v_lshrrev_b32_e32 v3, 4, v0
	v_and_b32_e32 v3, 4, v3
	ds_write_b32 v3, v1 offset:48
.LBB931_162:
	s_or_b64 exec, exec, s[0:1]
	v_cmp_gt_u32_e32 vcc, 2, v0
	s_waitcnt lgkmcnt(0)
	s_barrier
	s_and_saveexec_b64 s[0:1], vcc
	s_cbranch_execz .LBB931_164
; %bb.163:
	v_lshlrev_b32_e32 v1, 2, v2
	ds_read_b32 v3, v1 offset:48
	v_or_b32_e32 v1, 4, v1
	s_add_i32 s2, s2, 63
	v_and_b32_e32 v2, 1, v2
	s_lshr_b32 s2, s2, 6
	s_waitcnt lgkmcnt(0)
	ds_bpermute_b32 v1, v1, v3
	v_add_u32_e32 v2, 1, v2
	v_cmp_gt_u32_e32 vcc, s2, v2
	s_waitcnt lgkmcnt(0)
	v_cndmask_b32_e32 v1, 0, v1, vcc
	v_add_u32_e32 v1, v1, v3
.LBB931_164:
	s_or_b64 exec, exec, s[0:1]
.LBB931_165:
	v_cmp_eq_u32_e64 s[0:1], 0, v0
	s_branch .LBB931_224
.LBB931_166:
	s_cmp_gt_i32 s33, 1
	s_cbranch_scc0 .LBB931_175
; %bb.167:
	s_cmp_gt_i32 s33, 3
	s_cbranch_scc0 .LBB931_176
; %bb.168:
	s_cmp_eq_u32 s33, 4
	s_cbranch_scc0 .LBB931_177
; %bb.169:
	s_mov_b32 s7, 0
	s_lshl_b32 s0, s6, 9
	s_mov_b32 s1, s7
	s_lshr_b64 s[2:3], s[36:37], 9
	s_lshl_b64 s[10:11], s[0:1], 2
	s_add_u32 s8, s40, s10
	s_addc_u32 s9, s41, s11
	s_add_u32 s10, s42, s10
	s_addc_u32 s11, s43, s11
	s_cmp_lg_u64 s[2:3], s[6:7]
	s_cbranch_scc0 .LBB931_179
; %bb.170:
	v_lshlrev_b32_e32 v1, 2, v0
	global_load_dword v4, v1, s[8:9]
	global_load_dword v5, v1, s[10:11]
	global_load_dword v6, v1, s[8:9] offset:1024
	global_load_dword v7, v1, s[10:11] offset:1024
	;; [unrolled: 1-line block ×6, first 2 shown]
	v_mbcnt_lo_u32_b32 v1, -1, 0
	v_mbcnt_hi_u32_b32 v2, -1, v1
	v_lshlrev_b32_e32 v3, 2, v2
	s_waitcnt vmcnt(6)
	v_cmp_ne_u32_e32 vcc, v4, v5
	v_cndmask_b32_e64 v1, 0, 1, vcc
	s_waitcnt vmcnt(4)
	v_cmp_ne_u32_e32 vcc, v6, v7
	v_cndmask_b32_e64 v4, 0, 1, vcc
	s_waitcnt vmcnt(2)
	v_cmp_ne_u32_e32 vcc, v8, v9
	v_addc_co_u32_e32 v1, vcc, 0, v1, vcc
	s_waitcnt vmcnt(0)
	v_cmp_ne_u32_e32 vcc, v11, v10
	v_addc_co_u32_e32 v1, vcc, v1, v4, vcc
	v_or_b32_e32 v4, 0xfc, v3
	s_nop 0
	v_add_u32_dpp v1, v1, v1 quad_perm:[1,0,3,2] row_mask:0xf bank_mask:0xf bound_ctrl:1
	v_cmp_eq_u32_e32 vcc, 0, v2
	s_nop 0
	v_add_u32_dpp v1, v1, v1 quad_perm:[2,3,0,1] row_mask:0xf bank_mask:0xf bound_ctrl:1
	s_nop 1
	v_add_u32_dpp v1, v1, v1 row_ror:4 row_mask:0xf bank_mask:0xf bound_ctrl:1
	s_nop 1
	v_add_u32_dpp v1, v1, v1 row_ror:8 row_mask:0xf bank_mask:0xf bound_ctrl:1
	s_nop 1
	v_add_u32_dpp v1, v1, v1 row_bcast:15 row_mask:0xf bank_mask:0xf bound_ctrl:1
	s_nop 1
	v_add_u32_dpp v1, v1, v1 row_bcast:31 row_mask:0xf bank_mask:0xf bound_ctrl:1
	ds_bpermute_b32 v1, v4, v1
	s_and_saveexec_b64 s[2:3], vcc
	s_cbranch_execz .LBB931_172
; %bb.171:
	v_lshrrev_b32_e32 v4, 4, v0
	v_and_b32_e32 v4, 4, v4
	s_waitcnt lgkmcnt(0)
	ds_write_b32 v4, v1 offset:32
.LBB931_172:
	s_or_b64 exec, exec, s[2:3]
	v_cmp_gt_u32_e32 vcc, 64, v0
	s_waitcnt lgkmcnt(0)
	s_barrier
	s_and_saveexec_b64 s[2:3], vcc
	s_cbranch_execz .LBB931_174
; %bb.173:
	v_and_b32_e32 v1, 1, v2
	v_lshlrev_b32_e32 v1, 2, v1
	ds_read_b32 v1, v1 offset:32
	v_or_b32_e32 v2, 4, v3
	s_waitcnt lgkmcnt(0)
	ds_bpermute_b32 v2, v2, v1
	s_waitcnt lgkmcnt(0)
	v_add_u32_e32 v1, v2, v1
.LBB931_174:
	s_or_b64 exec, exec, s[2:3]
	s_mov_b64 s[2:3], 0
	s_branch .LBB931_180
.LBB931_175:
                                        ; implicit-def: $vgpr1
	s_cbranch_execnz .LBB931_215
	s_branch .LBB931_224
.LBB931_176:
                                        ; implicit-def: $vgpr1
	s_cbranch_execz .LBB931_178
	s_branch .LBB931_195
.LBB931_177:
                                        ; implicit-def: $vgpr1
.LBB931_178:
	s_branch .LBB931_224
.LBB931_179:
	s_mov_b64 s[2:3], -1
                                        ; implicit-def: $vgpr1
.LBB931_180:
	s_and_b64 vcc, exec, s[2:3]
	s_cbranch_vccz .LBB931_194
; %bb.181:
	s_sub_i32 s14, s36, s0
	v_cmp_gt_u32_e32 vcc, s14, v0
                                        ; implicit-def: $vgpr2_vgpr3_vgpr4_vgpr5
	s_and_saveexec_b64 s[0:1], vcc
	s_cbranch_execz .LBB931_183
; %bb.182:
	v_lshlrev_b32_e32 v1, 2, v0
	global_load_dword v2, v1, s[8:9]
	global_load_dword v3, v1, s[10:11]
	s_waitcnt vmcnt(0)
	v_cmp_ne_u32_e32 vcc, v2, v3
	v_cndmask_b32_e64 v2, 0, 1, vcc
.LBB931_183:
	s_or_b64 exec, exec, s[0:1]
	v_or_b32_e32 v1, 0x80, v0
	v_cmp_gt_u32_e32 vcc, s14, v1
	s_and_saveexec_b64 s[2:3], vcc
	s_cbranch_execz .LBB931_185
; %bb.184:
	v_lshlrev_b32_e32 v1, 2, v0
	global_load_dword v3, v1, s[8:9] offset:512
	global_load_dword v6, v1, s[10:11] offset:512
	s_waitcnt vmcnt(0)
	v_cmp_ne_u32_e64 s[0:1], v3, v6
	v_cndmask_b32_e64 v3, 0, 1, s[0:1]
.LBB931_185:
	s_or_b64 exec, exec, s[2:3]
	v_or_b32_e32 v1, 0x100, v0
	v_cmp_gt_u32_e64 s[0:1], s14, v1
	s_and_saveexec_b64 s[12:13], s[0:1]
	s_cbranch_execz .LBB931_187
; %bb.186:
	v_lshlrev_b32_e32 v1, 2, v0
	global_load_dword v4, v1, s[8:9] offset:1024
	global_load_dword v6, v1, s[10:11] offset:1024
	s_waitcnt vmcnt(0)
	v_cmp_ne_u32_e64 s[2:3], v4, v6
	v_cndmask_b32_e64 v4, 0, 1, s[2:3]
.LBB931_187:
	s_or_b64 exec, exec, s[12:13]
	v_or_b32_e32 v1, 0x180, v0
	v_cmp_gt_u32_e64 s[2:3], s14, v1
	s_and_saveexec_b64 s[12:13], s[2:3]
	s_cbranch_execz .LBB931_189
; %bb.188:
	v_lshlrev_b32_e32 v1, 2, v0
	global_load_dword v5, v1, s[8:9] offset:1536
	global_load_dword v6, v1, s[10:11] offset:1536
	s_waitcnt vmcnt(0)
	v_cmp_ne_u32_e64 s[8:9], v5, v6
	v_cndmask_b32_e64 v5, 0, 1, s[8:9]
.LBB931_189:
	s_or_b64 exec, exec, s[12:13]
	v_cndmask_b32_e32 v1, 0, v3, vcc
	v_add_u32_e32 v1, v1, v2
	v_cndmask_b32_e64 v2, 0, v4, s[0:1]
	v_cndmask_b32_e64 v3, 0, v5, s[2:3]
	v_add3_u32 v1, v1, v2, v3
	v_mbcnt_lo_u32_b32 v2, -1, 0
	v_mbcnt_hi_u32_b32 v2, -1, v2
	v_and_b32_e32 v3, 63, v2
	v_cmp_ne_u32_e32 vcc, 63, v3
	v_addc_co_u32_e32 v4, vcc, 0, v2, vcc
	v_lshlrev_b32_e32 v4, 2, v4
	ds_bpermute_b32 v4, v4, v1
	s_min_u32 s2, s14, 0x80
	v_and_b32_e32 v5, 64, v0
	v_sub_u32_e64 v5, s2, v5 clamp
	v_add_u32_e32 v6, 1, v3
	v_cmp_lt_u32_e32 vcc, v6, v5
	s_waitcnt lgkmcnt(0)
	v_cndmask_b32_e32 v4, 0, v4, vcc
	v_cmp_gt_u32_e32 vcc, 62, v3
	v_add_u32_e32 v1, v4, v1
	v_cndmask_b32_e64 v4, 0, 1, vcc
	v_lshlrev_b32_e32 v4, 1, v4
	v_add_lshl_u32 v4, v4, v2, 2
	ds_bpermute_b32 v4, v4, v1
	v_add_u32_e32 v6, 2, v3
	v_cmp_lt_u32_e32 vcc, v6, v5
	v_add_u32_e32 v6, 4, v3
	s_waitcnt lgkmcnt(0)
	v_cndmask_b32_e32 v4, 0, v4, vcc
	v_cmp_gt_u32_e32 vcc, 60, v3
	v_add_u32_e32 v1, v1, v4
	v_cndmask_b32_e64 v4, 0, 1, vcc
	v_lshlrev_b32_e32 v4, 2, v4
	v_add_lshl_u32 v4, v4, v2, 2
	ds_bpermute_b32 v4, v4, v1
	v_cmp_lt_u32_e32 vcc, v6, v5
	v_add_u32_e32 v6, 8, v3
	s_waitcnt lgkmcnt(0)
	v_cndmask_b32_e32 v4, 0, v4, vcc
	v_cmp_gt_u32_e32 vcc, 56, v3
	v_add_u32_e32 v1, v1, v4
	v_cndmask_b32_e64 v4, 0, 1, vcc
	v_lshlrev_b32_e32 v4, 3, v4
	v_add_lshl_u32 v4, v4, v2, 2
	ds_bpermute_b32 v4, v4, v1
	;; [unrolled: 10-line block ×3, first 2 shown]
	v_cmp_lt_u32_e32 vcc, v6, v5
	s_waitcnt lgkmcnt(0)
	v_cndmask_b32_e32 v4, 0, v4, vcc
	v_cmp_gt_u32_e32 vcc, 32, v3
	v_add_u32_e32 v1, v1, v4
	v_cndmask_b32_e64 v4, 0, 1, vcc
	v_lshlrev_b32_e32 v4, 5, v4
	v_add_lshl_u32 v4, v4, v2, 2
	ds_bpermute_b32 v4, v4, v1
	v_add_u32_e32 v3, 32, v3
	v_cmp_lt_u32_e32 vcc, v3, v5
	s_waitcnt lgkmcnt(0)
	v_cndmask_b32_e32 v3, 0, v4, vcc
	v_add_u32_e32 v1, v1, v3
	v_cmp_eq_u32_e32 vcc, 0, v2
	s_and_saveexec_b64 s[0:1], vcc
	s_cbranch_execz .LBB931_191
; %bb.190:
	v_lshrrev_b32_e32 v3, 4, v0
	v_and_b32_e32 v3, 4, v3
	ds_write_b32 v3, v1 offset:48
.LBB931_191:
	s_or_b64 exec, exec, s[0:1]
	v_cmp_gt_u32_e32 vcc, 2, v0
	s_waitcnt lgkmcnt(0)
	s_barrier
	s_and_saveexec_b64 s[0:1], vcc
	s_cbranch_execz .LBB931_193
; %bb.192:
	v_lshlrev_b32_e32 v1, 2, v2
	ds_read_b32 v3, v1 offset:48
	v_or_b32_e32 v1, 4, v1
	s_add_i32 s2, s2, 63
	v_and_b32_e32 v2, 1, v2
	s_lshr_b32 s2, s2, 6
	s_waitcnt lgkmcnt(0)
	ds_bpermute_b32 v1, v1, v3
	v_add_u32_e32 v2, 1, v2
	v_cmp_gt_u32_e32 vcc, s2, v2
	s_waitcnt lgkmcnt(0)
	v_cndmask_b32_e32 v1, 0, v1, vcc
	v_add_u32_e32 v1, v1, v3
.LBB931_193:
	s_or_b64 exec, exec, s[0:1]
.LBB931_194:
	v_cmp_eq_u32_e64 s[0:1], 0, v0
	s_branch .LBB931_178
.LBB931_195:
	s_cmp_eq_u32 s33, 2
	s_cbranch_scc0 .LBB931_202
; %bb.196:
	s_mov_b32 s7, 0
	s_lshl_b32 s10, s6, 8
	s_mov_b32 s11, s7
	s_lshr_b64 s[0:1], s[36:37], 8
	s_lshl_b64 s[8:9], s[10:11], 2
	s_add_u32 s2, s40, s8
	s_addc_u32 s3, s41, s9
	s_add_u32 s8, s42, s8
	s_addc_u32 s9, s43, s9
	s_cmp_lg_u64 s[0:1], s[6:7]
	s_cbranch_scc0 .LBB931_203
; %bb.197:
	v_lshlrev_b32_e32 v1, 2, v0
	global_load_dword v4, v1, s[2:3]
	global_load_dword v5, v1, s[8:9]
	global_load_dword v6, v1, s[8:9] offset:512
	global_load_dword v7, v1, s[2:3] offset:512
	v_mbcnt_lo_u32_b32 v1, -1, 0
	v_mbcnt_hi_u32_b32 v2, -1, v1
	v_lshlrev_b32_e32 v3, 2, v2
	s_waitcnt vmcnt(2)
	v_cmp_ne_u32_e32 vcc, v4, v5
	v_cndmask_b32_e64 v1, 0, 1, vcc
	s_waitcnt vmcnt(0)
	v_cmp_ne_u32_e32 vcc, v7, v6
	v_addc_co_u32_e64 v4, s[0:1], 0, v1, vcc
	s_nop 1
	v_mov_b32_dpp v4, v4 quad_perm:[1,0,3,2] row_mask:0xf bank_mask:0xf bound_ctrl:1
	v_addc_co_u32_e32 v1, vcc, v4, v1, vcc
	v_or_b32_e32 v4, 0xfc, v3
	s_nop 0
	v_add_u32_dpp v1, v1, v1 quad_perm:[2,3,0,1] row_mask:0xf bank_mask:0xf bound_ctrl:1
	v_cmp_eq_u32_e32 vcc, 0, v2
	s_nop 0
	v_add_u32_dpp v1, v1, v1 row_ror:4 row_mask:0xf bank_mask:0xf bound_ctrl:1
	s_nop 1
	v_add_u32_dpp v1, v1, v1 row_ror:8 row_mask:0xf bank_mask:0xf bound_ctrl:1
	s_nop 1
	v_add_u32_dpp v1, v1, v1 row_bcast:15 row_mask:0xf bank_mask:0xf bound_ctrl:1
	s_nop 1
	v_add_u32_dpp v1, v1, v1 row_bcast:31 row_mask:0xf bank_mask:0xf bound_ctrl:1
	ds_bpermute_b32 v1, v4, v1
	s_and_saveexec_b64 s[0:1], vcc
	s_cbranch_execz .LBB931_199
; %bb.198:
	v_lshrrev_b32_e32 v4, 4, v0
	v_and_b32_e32 v4, 4, v4
	s_waitcnt lgkmcnt(0)
	ds_write_b32 v4, v1 offset:16
.LBB931_199:
	s_or_b64 exec, exec, s[0:1]
	v_cmp_gt_u32_e32 vcc, 64, v0
	s_waitcnt lgkmcnt(0)
	s_barrier
	s_and_saveexec_b64 s[0:1], vcc
	s_cbranch_execz .LBB931_201
; %bb.200:
	v_and_b32_e32 v1, 1, v2
	v_lshlrev_b32_e32 v1, 2, v1
	ds_read_b32 v1, v1 offset:16
	v_or_b32_e32 v2, 4, v3
	s_waitcnt lgkmcnt(0)
	ds_bpermute_b32 v2, v2, v1
	s_waitcnt lgkmcnt(0)
	v_add_u32_e32 v1, v2, v1
.LBB931_201:
	s_or_b64 exec, exec, s[0:1]
	s_mov_b64 s[0:1], 0
	s_branch .LBB931_204
.LBB931_202:
                                        ; implicit-def: $vgpr1
	s_branch .LBB931_224
.LBB931_203:
	s_mov_b64 s[0:1], -1
                                        ; implicit-def: $vgpr1
.LBB931_204:
	s_and_b64 vcc, exec, s[0:1]
	s_cbranch_vccz .LBB931_214
; %bb.205:
	s_sub_i32 s12, s36, s10
	v_cmp_gt_u32_e32 vcc, s12, v0
                                        ; implicit-def: $vgpr2_vgpr3
	s_and_saveexec_b64 s[0:1], vcc
	s_cbranch_execz .LBB931_207
; %bb.206:
	v_lshlrev_b32_e32 v1, 2, v0
	global_load_dword v2, v1, s[2:3]
	global_load_dword v3, v1, s[8:9]
	s_waitcnt vmcnt(0)
	v_cmp_ne_u32_e32 vcc, v2, v3
	v_cndmask_b32_e64 v2, 0, 1, vcc
.LBB931_207:
	s_or_b64 exec, exec, s[0:1]
	v_or_b32_e32 v1, 0x80, v0
	v_cmp_gt_u32_e32 vcc, s12, v1
	s_and_saveexec_b64 s[10:11], vcc
	s_cbranch_execz .LBB931_209
; %bb.208:
	v_lshlrev_b32_e32 v1, 2, v0
	global_load_dword v3, v1, s[2:3] offset:512
	global_load_dword v4, v1, s[8:9] offset:512
	s_waitcnt vmcnt(0)
	v_cmp_ne_u32_e64 s[0:1], v3, v4
	v_cndmask_b32_e64 v3, 0, 1, s[0:1]
.LBB931_209:
	s_or_b64 exec, exec, s[10:11]
	v_cndmask_b32_e32 v1, 0, v3, vcc
	v_add_u32_e32 v1, v1, v2
	v_mbcnt_lo_u32_b32 v2, -1, 0
	v_mbcnt_hi_u32_b32 v2, -1, v2
	v_and_b32_e32 v3, 63, v2
	v_cmp_ne_u32_e32 vcc, 63, v3
	v_addc_co_u32_e32 v4, vcc, 0, v2, vcc
	v_lshlrev_b32_e32 v4, 2, v4
	ds_bpermute_b32 v4, v4, v1
	s_min_u32 s2, s12, 0x80
	v_and_b32_e32 v5, 64, v0
	v_sub_u32_e64 v5, s2, v5 clamp
	v_add_u32_e32 v6, 1, v3
	v_cmp_lt_u32_e32 vcc, v6, v5
	s_waitcnt lgkmcnt(0)
	v_cndmask_b32_e32 v4, 0, v4, vcc
	v_cmp_gt_u32_e32 vcc, 62, v3
	v_add_u32_e32 v1, v4, v1
	v_cndmask_b32_e64 v4, 0, 1, vcc
	v_lshlrev_b32_e32 v4, 1, v4
	v_add_lshl_u32 v4, v4, v2, 2
	ds_bpermute_b32 v4, v4, v1
	v_add_u32_e32 v6, 2, v3
	v_cmp_lt_u32_e32 vcc, v6, v5
	v_add_u32_e32 v6, 4, v3
	s_waitcnt lgkmcnt(0)
	v_cndmask_b32_e32 v4, 0, v4, vcc
	v_cmp_gt_u32_e32 vcc, 60, v3
	v_add_u32_e32 v1, v1, v4
	v_cndmask_b32_e64 v4, 0, 1, vcc
	v_lshlrev_b32_e32 v4, 2, v4
	v_add_lshl_u32 v4, v4, v2, 2
	ds_bpermute_b32 v4, v4, v1
	v_cmp_lt_u32_e32 vcc, v6, v5
	v_add_u32_e32 v6, 8, v3
	s_waitcnt lgkmcnt(0)
	v_cndmask_b32_e32 v4, 0, v4, vcc
	v_cmp_gt_u32_e32 vcc, 56, v3
	v_add_u32_e32 v1, v1, v4
	v_cndmask_b32_e64 v4, 0, 1, vcc
	v_lshlrev_b32_e32 v4, 3, v4
	v_add_lshl_u32 v4, v4, v2, 2
	ds_bpermute_b32 v4, v4, v1
	;; [unrolled: 10-line block ×3, first 2 shown]
	v_cmp_lt_u32_e32 vcc, v6, v5
	s_waitcnt lgkmcnt(0)
	v_cndmask_b32_e32 v4, 0, v4, vcc
	v_cmp_gt_u32_e32 vcc, 32, v3
	v_add_u32_e32 v1, v1, v4
	v_cndmask_b32_e64 v4, 0, 1, vcc
	v_lshlrev_b32_e32 v4, 5, v4
	v_add_lshl_u32 v4, v4, v2, 2
	ds_bpermute_b32 v4, v4, v1
	v_add_u32_e32 v3, 32, v3
	v_cmp_lt_u32_e32 vcc, v3, v5
	s_waitcnt lgkmcnt(0)
	v_cndmask_b32_e32 v3, 0, v4, vcc
	v_add_u32_e32 v1, v1, v3
	v_cmp_eq_u32_e32 vcc, 0, v2
	s_and_saveexec_b64 s[0:1], vcc
	s_cbranch_execz .LBB931_211
; %bb.210:
	v_lshrrev_b32_e32 v3, 4, v0
	v_and_b32_e32 v3, 4, v3
	ds_write_b32 v3, v1 offset:48
.LBB931_211:
	s_or_b64 exec, exec, s[0:1]
	v_cmp_gt_u32_e32 vcc, 2, v0
	s_waitcnt lgkmcnt(0)
	s_barrier
	s_and_saveexec_b64 s[0:1], vcc
	s_cbranch_execz .LBB931_213
; %bb.212:
	v_lshlrev_b32_e32 v1, 2, v2
	ds_read_b32 v3, v1 offset:48
	v_or_b32_e32 v1, 4, v1
	s_add_i32 s2, s2, 63
	v_and_b32_e32 v2, 1, v2
	s_lshr_b32 s2, s2, 6
	s_waitcnt lgkmcnt(0)
	ds_bpermute_b32 v1, v1, v3
	v_add_u32_e32 v2, 1, v2
	v_cmp_gt_u32_e32 vcc, s2, v2
	s_waitcnt lgkmcnt(0)
	v_cndmask_b32_e32 v1, 0, v1, vcc
	v_add_u32_e32 v1, v1, v3
.LBB931_213:
	s_or_b64 exec, exec, s[0:1]
.LBB931_214:
	v_cmp_eq_u32_e64 s[0:1], 0, v0
	s_branch .LBB931_224
.LBB931_215:
	s_cmp_eq_u32 s33, 1
	s_cbranch_scc0 .LBB931_223
; %bb.216:
	s_mov_b32 s3, 0
	s_lshl_b32 s2, s6, 7
	s_mov_b32 s7, s3
	s_lshr_b64 s[0:1], s[36:37], 7
	s_cmp_lg_u64 s[0:1], s[6:7]
	v_mbcnt_lo_u32_b32 v2, -1, 0
	s_cbranch_scc0 .LBB931_227
; %bb.217:
	s_lshl_b64 s[0:1], s[2:3], 2
	s_add_u32 s8, s40, s0
	s_addc_u32 s9, s41, s1
	s_add_u32 s0, s42, s0
	v_lshlrev_b32_e32 v1, 2, v0
	s_addc_u32 s1, s43, s1
	global_load_dword v5, v1, s[8:9]
	global_load_dword v6, v1, s[0:1]
	v_mbcnt_hi_u32_b32 v3, -1, v2
	v_lshlrev_b32_e32 v4, 2, v3
	s_waitcnt vmcnt(0)
	v_cmp_ne_u32_e32 vcc, v5, v6
	v_cndmask_b32_e64 v1, 0, 1, vcc
	s_nop 1
	v_mov_b32_dpp v1, v1 quad_perm:[1,0,3,2] row_mask:0xf bank_mask:0xf bound_ctrl:1
	v_addc_co_u32_e64 v5, s[0:1], 0, v1, vcc
	s_nop 1
	v_mov_b32_dpp v5, v5 quad_perm:[2,3,0,1] row_mask:0xf bank_mask:0xf bound_ctrl:1
	v_addc_co_u32_e32 v1, vcc, v5, v1, vcc
	v_or_b32_e32 v5, 0xfc, v4
	s_nop 0
	v_add_u32_dpp v1, v1, v1 row_ror:4 row_mask:0xf bank_mask:0xf bound_ctrl:1
	v_cmp_eq_u32_e32 vcc, 0, v3
	s_nop 0
	v_add_u32_dpp v1, v1, v1 row_ror:8 row_mask:0xf bank_mask:0xf bound_ctrl:1
	s_nop 1
	v_add_u32_dpp v1, v1, v1 row_bcast:15 row_mask:0xf bank_mask:0xf bound_ctrl:1
	s_nop 1
	v_add_u32_dpp v1, v1, v1 row_bcast:31 row_mask:0xf bank_mask:0xf bound_ctrl:1
	ds_bpermute_b32 v1, v5, v1
	s_and_saveexec_b64 s[0:1], vcc
	s_cbranch_execz .LBB931_219
; %bb.218:
	v_lshrrev_b32_e32 v5, 4, v0
	v_and_b32_e32 v5, 4, v5
	s_waitcnt lgkmcnt(0)
	ds_write_b32 v5, v1 offset:8
.LBB931_219:
	s_or_b64 exec, exec, s[0:1]
	v_cmp_gt_u32_e32 vcc, 64, v0
	s_waitcnt lgkmcnt(0)
	s_barrier
	s_and_saveexec_b64 s[0:1], vcc
	s_cbranch_execz .LBB931_221
; %bb.220:
	v_and_b32_e32 v1, 1, v3
	v_lshlrev_b32_e32 v1, 2, v1
	ds_read_b32 v1, v1 offset:8
	v_or_b32_e32 v3, 4, v4
	s_waitcnt lgkmcnt(0)
	ds_bpermute_b32 v3, v3, v1
	s_waitcnt lgkmcnt(0)
	v_add_u32_e32 v1, v3, v1
.LBB931_221:
	s_or_b64 exec, exec, s[0:1]
.LBB931_222:
	v_cmp_eq_u32_e64 s[0:1], 0, v0
	s_and_saveexec_b64 s[2:3], s[0:1]
	s_cbranch_execnz .LBB931_225
	s_branch .LBB931_226
.LBB931_223:
                                        ; implicit-def: $vgpr1
                                        ; implicit-def: $sgpr6_sgpr7
.LBB931_224:
	s_and_saveexec_b64 s[2:3], s[0:1]
	s_cbranch_execz .LBB931_226
.LBB931_225:
	s_lshl_b64 s[0:1], s[6:7], 2
	s_load_dword s2, s[4:5], 0x30
	s_add_u32 s0, s38, s0
	s_addc_u32 s1, s39, s1
	s_cmp_lg_u64 s[36:37], 0
	s_cselect_b64 vcc, -1, 0
	v_cndmask_b32_e32 v1, 0, v1, vcc
	v_mov_b32_e32 v0, 0
	s_waitcnt lgkmcnt(0)
	v_add_u32_e32 v1, s2, v1
	global_store_dword v0, v1, s[0:1]
.LBB931_226:
	s_endpgm
.LBB931_227:
                                        ; implicit-def: $vgpr1
	s_cbranch_execz .LBB931_222
; %bb.228:
	s_sub_i32 s8, s36, s2
	v_cmp_gt_u32_e32 vcc, s8, v0
                                        ; implicit-def: $vgpr1
	s_and_saveexec_b64 s[0:1], vcc
	s_cbranch_execz .LBB931_230
; %bb.229:
	s_lshl_b64 s[2:3], s[2:3], 2
	s_add_u32 s10, s40, s2
	s_addc_u32 s11, s41, s3
	v_lshlrev_b32_e32 v1, 2, v0
	s_add_u32 s2, s42, s2
	s_addc_u32 s3, s43, s3
	global_load_dword v3, v1, s[10:11]
	global_load_dword v4, v1, s[2:3]
	s_waitcnt vmcnt(0)
	v_cmp_ne_u32_e32 vcc, v3, v4
	v_cndmask_b32_e64 v1, 0, 1, vcc
.LBB931_230:
	s_or_b64 exec, exec, s[0:1]
	v_mbcnt_hi_u32_b32 v2, -1, v2
	v_and_b32_e32 v3, 63, v2
	v_cmp_ne_u32_e32 vcc, 63, v3
	v_addc_co_u32_e32 v4, vcc, 0, v2, vcc
	v_lshlrev_b32_e32 v4, 2, v4
	ds_bpermute_b32 v4, v4, v1
	s_min_u32 s2, s8, 0x80
	v_and_b32_e32 v5, 64, v0
	v_sub_u32_e64 v5, s2, v5 clamp
	v_add_u32_e32 v6, 1, v3
	v_cmp_lt_u32_e32 vcc, v6, v5
	s_waitcnt lgkmcnt(0)
	v_cndmask_b32_e32 v4, 0, v4, vcc
	v_cmp_gt_u32_e32 vcc, 62, v3
	v_add_u32_e32 v1, v4, v1
	v_cndmask_b32_e64 v4, 0, 1, vcc
	v_lshlrev_b32_e32 v4, 1, v4
	v_add_lshl_u32 v4, v4, v2, 2
	ds_bpermute_b32 v4, v4, v1
	v_add_u32_e32 v6, 2, v3
	v_cmp_lt_u32_e32 vcc, v6, v5
	v_add_u32_e32 v6, 4, v3
	s_waitcnt lgkmcnt(0)
	v_cndmask_b32_e32 v4, 0, v4, vcc
	v_cmp_gt_u32_e32 vcc, 60, v3
	v_add_u32_e32 v1, v1, v4
	v_cndmask_b32_e64 v4, 0, 1, vcc
	v_lshlrev_b32_e32 v4, 2, v4
	v_add_lshl_u32 v4, v4, v2, 2
	ds_bpermute_b32 v4, v4, v1
	v_cmp_lt_u32_e32 vcc, v6, v5
	v_add_u32_e32 v6, 8, v3
	s_waitcnt lgkmcnt(0)
	v_cndmask_b32_e32 v4, 0, v4, vcc
	v_cmp_gt_u32_e32 vcc, 56, v3
	v_add_u32_e32 v1, v1, v4
	v_cndmask_b32_e64 v4, 0, 1, vcc
	v_lshlrev_b32_e32 v4, 3, v4
	v_add_lshl_u32 v4, v4, v2, 2
	ds_bpermute_b32 v4, v4, v1
	;; [unrolled: 10-line block ×3, first 2 shown]
	v_cmp_lt_u32_e32 vcc, v6, v5
	s_waitcnt lgkmcnt(0)
	v_cndmask_b32_e32 v4, 0, v4, vcc
	v_cmp_gt_u32_e32 vcc, 32, v3
	v_add_u32_e32 v1, v1, v4
	v_cndmask_b32_e64 v4, 0, 1, vcc
	v_lshlrev_b32_e32 v4, 5, v4
	v_add_lshl_u32 v4, v4, v2, 2
	ds_bpermute_b32 v4, v4, v1
	v_add_u32_e32 v3, 32, v3
	v_cmp_lt_u32_e32 vcc, v3, v5
	s_waitcnt lgkmcnt(0)
	v_cndmask_b32_e32 v3, 0, v4, vcc
	v_add_u32_e32 v1, v1, v3
	v_cmp_eq_u32_e32 vcc, 0, v2
	s_and_saveexec_b64 s[0:1], vcc
	s_cbranch_execz .LBB931_232
; %bb.231:
	v_lshrrev_b32_e32 v3, 4, v0
	v_and_b32_e32 v3, 4, v3
	ds_write_b32 v3, v1 offset:48
.LBB931_232:
	s_or_b64 exec, exec, s[0:1]
	v_cmp_gt_u32_e32 vcc, 2, v0
	s_waitcnt lgkmcnt(0)
	s_barrier
	s_and_saveexec_b64 s[0:1], vcc
	s_cbranch_execz .LBB931_234
; %bb.233:
	v_lshlrev_b32_e32 v1, 2, v2
	ds_read_b32 v3, v1 offset:48
	v_or_b32_e32 v1, 4, v1
	s_add_i32 s2, s2, 63
	v_and_b32_e32 v2, 1, v2
	s_lshr_b32 s2, s2, 6
	s_waitcnt lgkmcnt(0)
	ds_bpermute_b32 v1, v1, v3
	v_add_u32_e32 v2, 1, v2
	v_cmp_gt_u32_e32 vcc, s2, v2
	s_waitcnt lgkmcnt(0)
	v_cndmask_b32_e32 v1, 0, v1, vcc
	v_add_u32_e32 v1, v1, v3
.LBB931_234:
	s_or_b64 exec, exec, s[0:1]
	v_cmp_eq_u32_e64 s[0:1], 0, v0
	s_and_saveexec_b64 s[2:3], s[0:1]
	s_cbranch_execnz .LBB931_225
	s_branch .LBB931_226
	.section	.rodata,"a",@progbits
	.p2align	6, 0x0
	.amdhsa_kernel _ZN7rocprim17ROCPRIM_400000_NS6detail17trampoline_kernelINS0_14default_configENS1_22reduce_config_selectorIiEEZNS1_11reduce_implILb1ES3_N6thrust23THRUST_200600_302600_NS11hip_rocprim35transform_pair_of_input_iterators_tIiPiSB_NS8_12not_equal_toIiEEEESB_iNS8_4plusIiEEEE10hipError_tPvRmT1_T2_T3_mT4_P12ihipStream_tbEUlT_E1_NS1_11comp_targetILNS1_3genE4ELNS1_11target_archE910ELNS1_3gpuE8ELNS1_3repE0EEENS1_30default_config_static_selectorELNS0_4arch9wavefront6targetE1EEEvSK_
		.amdhsa_group_segment_fixed_size 56
		.amdhsa_private_segment_fixed_size 0
		.amdhsa_kernarg_size 56
		.amdhsa_user_sgpr_count 6
		.amdhsa_user_sgpr_private_segment_buffer 1
		.amdhsa_user_sgpr_dispatch_ptr 0
		.amdhsa_user_sgpr_queue_ptr 0
		.amdhsa_user_sgpr_kernarg_segment_ptr 1
		.amdhsa_user_sgpr_dispatch_id 0
		.amdhsa_user_sgpr_flat_scratch_init 0
		.amdhsa_user_sgpr_kernarg_preload_length 0
		.amdhsa_user_sgpr_kernarg_preload_offset 0
		.amdhsa_user_sgpr_private_segment_size 0
		.amdhsa_uses_dynamic_stack 0
		.amdhsa_system_sgpr_private_segment_wavefront_offset 0
		.amdhsa_system_sgpr_workgroup_id_x 1
		.amdhsa_system_sgpr_workgroup_id_y 0
		.amdhsa_system_sgpr_workgroup_id_z 0
		.amdhsa_system_sgpr_workgroup_info 0
		.amdhsa_system_vgpr_workitem_id 0
		.amdhsa_next_free_vgpr 64
		.amdhsa_next_free_sgpr 49
		.amdhsa_accum_offset 64
		.amdhsa_reserve_vcc 1
		.amdhsa_reserve_flat_scratch 0
		.amdhsa_float_round_mode_32 0
		.amdhsa_float_round_mode_16_64 0
		.amdhsa_float_denorm_mode_32 3
		.amdhsa_float_denorm_mode_16_64 3
		.amdhsa_dx10_clamp 1
		.amdhsa_ieee_mode 1
		.amdhsa_fp16_overflow 0
		.amdhsa_tg_split 0
		.amdhsa_exception_fp_ieee_invalid_op 0
		.amdhsa_exception_fp_denorm_src 0
		.amdhsa_exception_fp_ieee_div_zero 0
		.amdhsa_exception_fp_ieee_overflow 0
		.amdhsa_exception_fp_ieee_underflow 0
		.amdhsa_exception_fp_ieee_inexact 0
		.amdhsa_exception_int_div_zero 0
	.end_amdhsa_kernel
	.section	.text._ZN7rocprim17ROCPRIM_400000_NS6detail17trampoline_kernelINS0_14default_configENS1_22reduce_config_selectorIiEEZNS1_11reduce_implILb1ES3_N6thrust23THRUST_200600_302600_NS11hip_rocprim35transform_pair_of_input_iterators_tIiPiSB_NS8_12not_equal_toIiEEEESB_iNS8_4plusIiEEEE10hipError_tPvRmT1_T2_T3_mT4_P12ihipStream_tbEUlT_E1_NS1_11comp_targetILNS1_3genE4ELNS1_11target_archE910ELNS1_3gpuE8ELNS1_3repE0EEENS1_30default_config_static_selectorELNS0_4arch9wavefront6targetE1EEEvSK_,"axG",@progbits,_ZN7rocprim17ROCPRIM_400000_NS6detail17trampoline_kernelINS0_14default_configENS1_22reduce_config_selectorIiEEZNS1_11reduce_implILb1ES3_N6thrust23THRUST_200600_302600_NS11hip_rocprim35transform_pair_of_input_iterators_tIiPiSB_NS8_12not_equal_toIiEEEESB_iNS8_4plusIiEEEE10hipError_tPvRmT1_T2_T3_mT4_P12ihipStream_tbEUlT_E1_NS1_11comp_targetILNS1_3genE4ELNS1_11target_archE910ELNS1_3gpuE8ELNS1_3repE0EEENS1_30default_config_static_selectorELNS0_4arch9wavefront6targetE1EEEvSK_,comdat
.Lfunc_end931:
	.size	_ZN7rocprim17ROCPRIM_400000_NS6detail17trampoline_kernelINS0_14default_configENS1_22reduce_config_selectorIiEEZNS1_11reduce_implILb1ES3_N6thrust23THRUST_200600_302600_NS11hip_rocprim35transform_pair_of_input_iterators_tIiPiSB_NS8_12not_equal_toIiEEEESB_iNS8_4plusIiEEEE10hipError_tPvRmT1_T2_T3_mT4_P12ihipStream_tbEUlT_E1_NS1_11comp_targetILNS1_3genE4ELNS1_11target_archE910ELNS1_3gpuE8ELNS1_3repE0EEENS1_30default_config_static_selectorELNS0_4arch9wavefront6targetE1EEEvSK_, .Lfunc_end931-_ZN7rocprim17ROCPRIM_400000_NS6detail17trampoline_kernelINS0_14default_configENS1_22reduce_config_selectorIiEEZNS1_11reduce_implILb1ES3_N6thrust23THRUST_200600_302600_NS11hip_rocprim35transform_pair_of_input_iterators_tIiPiSB_NS8_12not_equal_toIiEEEESB_iNS8_4plusIiEEEE10hipError_tPvRmT1_T2_T3_mT4_P12ihipStream_tbEUlT_E1_NS1_11comp_targetILNS1_3genE4ELNS1_11target_archE910ELNS1_3gpuE8ELNS1_3repE0EEENS1_30default_config_static_selectorELNS0_4arch9wavefront6targetE1EEEvSK_
                                        ; -- End function
	.section	.AMDGPU.csdata,"",@progbits
; Kernel info:
; codeLenInByte = 11280
; NumSgprs: 53
; NumVgprs: 64
; NumAgprs: 0
; TotalNumVgprs: 64
; ScratchSize: 0
; MemoryBound: 0
; FloatMode: 240
; IeeeMode: 1
; LDSByteSize: 56 bytes/workgroup (compile time only)
; SGPRBlocks: 6
; VGPRBlocks: 7
; NumSGPRsForWavesPerEU: 53
; NumVGPRsForWavesPerEU: 64
; AccumOffset: 64
; Occupancy: 8
; WaveLimiterHint : 0
; COMPUTE_PGM_RSRC2:SCRATCH_EN: 0
; COMPUTE_PGM_RSRC2:USER_SGPR: 6
; COMPUTE_PGM_RSRC2:TRAP_HANDLER: 0
; COMPUTE_PGM_RSRC2:TGID_X_EN: 1
; COMPUTE_PGM_RSRC2:TGID_Y_EN: 0
; COMPUTE_PGM_RSRC2:TGID_Z_EN: 0
; COMPUTE_PGM_RSRC2:TIDIG_COMP_CNT: 0
; COMPUTE_PGM_RSRC3_GFX90A:ACCUM_OFFSET: 15
; COMPUTE_PGM_RSRC3_GFX90A:TG_SPLIT: 0
	.section	.text._ZN7rocprim17ROCPRIM_400000_NS6detail17trampoline_kernelINS0_14default_configENS1_22reduce_config_selectorIiEEZNS1_11reduce_implILb1ES3_N6thrust23THRUST_200600_302600_NS11hip_rocprim35transform_pair_of_input_iterators_tIiPiSB_NS8_12not_equal_toIiEEEESB_iNS8_4plusIiEEEE10hipError_tPvRmT1_T2_T3_mT4_P12ihipStream_tbEUlT_E1_NS1_11comp_targetILNS1_3genE3ELNS1_11target_archE908ELNS1_3gpuE7ELNS1_3repE0EEENS1_30default_config_static_selectorELNS0_4arch9wavefront6targetE1EEEvSK_,"axG",@progbits,_ZN7rocprim17ROCPRIM_400000_NS6detail17trampoline_kernelINS0_14default_configENS1_22reduce_config_selectorIiEEZNS1_11reduce_implILb1ES3_N6thrust23THRUST_200600_302600_NS11hip_rocprim35transform_pair_of_input_iterators_tIiPiSB_NS8_12not_equal_toIiEEEESB_iNS8_4plusIiEEEE10hipError_tPvRmT1_T2_T3_mT4_P12ihipStream_tbEUlT_E1_NS1_11comp_targetILNS1_3genE3ELNS1_11target_archE908ELNS1_3gpuE7ELNS1_3repE0EEENS1_30default_config_static_selectorELNS0_4arch9wavefront6targetE1EEEvSK_,comdat
	.protected	_ZN7rocprim17ROCPRIM_400000_NS6detail17trampoline_kernelINS0_14default_configENS1_22reduce_config_selectorIiEEZNS1_11reduce_implILb1ES3_N6thrust23THRUST_200600_302600_NS11hip_rocprim35transform_pair_of_input_iterators_tIiPiSB_NS8_12not_equal_toIiEEEESB_iNS8_4plusIiEEEE10hipError_tPvRmT1_T2_T3_mT4_P12ihipStream_tbEUlT_E1_NS1_11comp_targetILNS1_3genE3ELNS1_11target_archE908ELNS1_3gpuE7ELNS1_3repE0EEENS1_30default_config_static_selectorELNS0_4arch9wavefront6targetE1EEEvSK_ ; -- Begin function _ZN7rocprim17ROCPRIM_400000_NS6detail17trampoline_kernelINS0_14default_configENS1_22reduce_config_selectorIiEEZNS1_11reduce_implILb1ES3_N6thrust23THRUST_200600_302600_NS11hip_rocprim35transform_pair_of_input_iterators_tIiPiSB_NS8_12not_equal_toIiEEEESB_iNS8_4plusIiEEEE10hipError_tPvRmT1_T2_T3_mT4_P12ihipStream_tbEUlT_E1_NS1_11comp_targetILNS1_3genE3ELNS1_11target_archE908ELNS1_3gpuE7ELNS1_3repE0EEENS1_30default_config_static_selectorELNS0_4arch9wavefront6targetE1EEEvSK_
	.globl	_ZN7rocprim17ROCPRIM_400000_NS6detail17trampoline_kernelINS0_14default_configENS1_22reduce_config_selectorIiEEZNS1_11reduce_implILb1ES3_N6thrust23THRUST_200600_302600_NS11hip_rocprim35transform_pair_of_input_iterators_tIiPiSB_NS8_12not_equal_toIiEEEESB_iNS8_4plusIiEEEE10hipError_tPvRmT1_T2_T3_mT4_P12ihipStream_tbEUlT_E1_NS1_11comp_targetILNS1_3genE3ELNS1_11target_archE908ELNS1_3gpuE7ELNS1_3repE0EEENS1_30default_config_static_selectorELNS0_4arch9wavefront6targetE1EEEvSK_
	.p2align	8
	.type	_ZN7rocprim17ROCPRIM_400000_NS6detail17trampoline_kernelINS0_14default_configENS1_22reduce_config_selectorIiEEZNS1_11reduce_implILb1ES3_N6thrust23THRUST_200600_302600_NS11hip_rocprim35transform_pair_of_input_iterators_tIiPiSB_NS8_12not_equal_toIiEEEESB_iNS8_4plusIiEEEE10hipError_tPvRmT1_T2_T3_mT4_P12ihipStream_tbEUlT_E1_NS1_11comp_targetILNS1_3genE3ELNS1_11target_archE908ELNS1_3gpuE7ELNS1_3repE0EEENS1_30default_config_static_selectorELNS0_4arch9wavefront6targetE1EEEvSK_,@function
_ZN7rocprim17ROCPRIM_400000_NS6detail17trampoline_kernelINS0_14default_configENS1_22reduce_config_selectorIiEEZNS1_11reduce_implILb1ES3_N6thrust23THRUST_200600_302600_NS11hip_rocprim35transform_pair_of_input_iterators_tIiPiSB_NS8_12not_equal_toIiEEEESB_iNS8_4plusIiEEEE10hipError_tPvRmT1_T2_T3_mT4_P12ihipStream_tbEUlT_E1_NS1_11comp_targetILNS1_3genE3ELNS1_11target_archE908ELNS1_3gpuE7ELNS1_3repE0EEENS1_30default_config_static_selectorELNS0_4arch9wavefront6targetE1EEEvSK_: ; @_ZN7rocprim17ROCPRIM_400000_NS6detail17trampoline_kernelINS0_14default_configENS1_22reduce_config_selectorIiEEZNS1_11reduce_implILb1ES3_N6thrust23THRUST_200600_302600_NS11hip_rocprim35transform_pair_of_input_iterators_tIiPiSB_NS8_12not_equal_toIiEEEESB_iNS8_4plusIiEEEE10hipError_tPvRmT1_T2_T3_mT4_P12ihipStream_tbEUlT_E1_NS1_11comp_targetILNS1_3genE3ELNS1_11target_archE908ELNS1_3gpuE7ELNS1_3repE0EEENS1_30default_config_static_selectorELNS0_4arch9wavefront6targetE1EEEvSK_
; %bb.0:
	.section	.rodata,"a",@progbits
	.p2align	6, 0x0
	.amdhsa_kernel _ZN7rocprim17ROCPRIM_400000_NS6detail17trampoline_kernelINS0_14default_configENS1_22reduce_config_selectorIiEEZNS1_11reduce_implILb1ES3_N6thrust23THRUST_200600_302600_NS11hip_rocprim35transform_pair_of_input_iterators_tIiPiSB_NS8_12not_equal_toIiEEEESB_iNS8_4plusIiEEEE10hipError_tPvRmT1_T2_T3_mT4_P12ihipStream_tbEUlT_E1_NS1_11comp_targetILNS1_3genE3ELNS1_11target_archE908ELNS1_3gpuE7ELNS1_3repE0EEENS1_30default_config_static_selectorELNS0_4arch9wavefront6targetE1EEEvSK_
		.amdhsa_group_segment_fixed_size 0
		.amdhsa_private_segment_fixed_size 0
		.amdhsa_kernarg_size 56
		.amdhsa_user_sgpr_count 6
		.amdhsa_user_sgpr_private_segment_buffer 1
		.amdhsa_user_sgpr_dispatch_ptr 0
		.amdhsa_user_sgpr_queue_ptr 0
		.amdhsa_user_sgpr_kernarg_segment_ptr 1
		.amdhsa_user_sgpr_dispatch_id 0
		.amdhsa_user_sgpr_flat_scratch_init 0
		.amdhsa_user_sgpr_kernarg_preload_length 0
		.amdhsa_user_sgpr_kernarg_preload_offset 0
		.amdhsa_user_sgpr_private_segment_size 0
		.amdhsa_uses_dynamic_stack 0
		.amdhsa_system_sgpr_private_segment_wavefront_offset 0
		.amdhsa_system_sgpr_workgroup_id_x 1
		.amdhsa_system_sgpr_workgroup_id_y 0
		.amdhsa_system_sgpr_workgroup_id_z 0
		.amdhsa_system_sgpr_workgroup_info 0
		.amdhsa_system_vgpr_workitem_id 0
		.amdhsa_next_free_vgpr 1
		.amdhsa_next_free_sgpr 0
		.amdhsa_accum_offset 4
		.amdhsa_reserve_vcc 0
		.amdhsa_reserve_flat_scratch 0
		.amdhsa_float_round_mode_32 0
		.amdhsa_float_round_mode_16_64 0
		.amdhsa_float_denorm_mode_32 3
		.amdhsa_float_denorm_mode_16_64 3
		.amdhsa_dx10_clamp 1
		.amdhsa_ieee_mode 1
		.amdhsa_fp16_overflow 0
		.amdhsa_tg_split 0
		.amdhsa_exception_fp_ieee_invalid_op 0
		.amdhsa_exception_fp_denorm_src 0
		.amdhsa_exception_fp_ieee_div_zero 0
		.amdhsa_exception_fp_ieee_overflow 0
		.amdhsa_exception_fp_ieee_underflow 0
		.amdhsa_exception_fp_ieee_inexact 0
		.amdhsa_exception_int_div_zero 0
	.end_amdhsa_kernel
	.section	.text._ZN7rocprim17ROCPRIM_400000_NS6detail17trampoline_kernelINS0_14default_configENS1_22reduce_config_selectorIiEEZNS1_11reduce_implILb1ES3_N6thrust23THRUST_200600_302600_NS11hip_rocprim35transform_pair_of_input_iterators_tIiPiSB_NS8_12not_equal_toIiEEEESB_iNS8_4plusIiEEEE10hipError_tPvRmT1_T2_T3_mT4_P12ihipStream_tbEUlT_E1_NS1_11comp_targetILNS1_3genE3ELNS1_11target_archE908ELNS1_3gpuE7ELNS1_3repE0EEENS1_30default_config_static_selectorELNS0_4arch9wavefront6targetE1EEEvSK_,"axG",@progbits,_ZN7rocprim17ROCPRIM_400000_NS6detail17trampoline_kernelINS0_14default_configENS1_22reduce_config_selectorIiEEZNS1_11reduce_implILb1ES3_N6thrust23THRUST_200600_302600_NS11hip_rocprim35transform_pair_of_input_iterators_tIiPiSB_NS8_12not_equal_toIiEEEESB_iNS8_4plusIiEEEE10hipError_tPvRmT1_T2_T3_mT4_P12ihipStream_tbEUlT_E1_NS1_11comp_targetILNS1_3genE3ELNS1_11target_archE908ELNS1_3gpuE7ELNS1_3repE0EEENS1_30default_config_static_selectorELNS0_4arch9wavefront6targetE1EEEvSK_,comdat
.Lfunc_end932:
	.size	_ZN7rocprim17ROCPRIM_400000_NS6detail17trampoline_kernelINS0_14default_configENS1_22reduce_config_selectorIiEEZNS1_11reduce_implILb1ES3_N6thrust23THRUST_200600_302600_NS11hip_rocprim35transform_pair_of_input_iterators_tIiPiSB_NS8_12not_equal_toIiEEEESB_iNS8_4plusIiEEEE10hipError_tPvRmT1_T2_T3_mT4_P12ihipStream_tbEUlT_E1_NS1_11comp_targetILNS1_3genE3ELNS1_11target_archE908ELNS1_3gpuE7ELNS1_3repE0EEENS1_30default_config_static_selectorELNS0_4arch9wavefront6targetE1EEEvSK_, .Lfunc_end932-_ZN7rocprim17ROCPRIM_400000_NS6detail17trampoline_kernelINS0_14default_configENS1_22reduce_config_selectorIiEEZNS1_11reduce_implILb1ES3_N6thrust23THRUST_200600_302600_NS11hip_rocprim35transform_pair_of_input_iterators_tIiPiSB_NS8_12not_equal_toIiEEEESB_iNS8_4plusIiEEEE10hipError_tPvRmT1_T2_T3_mT4_P12ihipStream_tbEUlT_E1_NS1_11comp_targetILNS1_3genE3ELNS1_11target_archE908ELNS1_3gpuE7ELNS1_3repE0EEENS1_30default_config_static_selectorELNS0_4arch9wavefront6targetE1EEEvSK_
                                        ; -- End function
	.section	.AMDGPU.csdata,"",@progbits
; Kernel info:
; codeLenInByte = 0
; NumSgprs: 4
; NumVgprs: 0
; NumAgprs: 0
; TotalNumVgprs: 0
; ScratchSize: 0
; MemoryBound: 0
; FloatMode: 240
; IeeeMode: 1
; LDSByteSize: 0 bytes/workgroup (compile time only)
; SGPRBlocks: 0
; VGPRBlocks: 0
; NumSGPRsForWavesPerEU: 4
; NumVGPRsForWavesPerEU: 1
; AccumOffset: 4
; Occupancy: 8
; WaveLimiterHint : 0
; COMPUTE_PGM_RSRC2:SCRATCH_EN: 0
; COMPUTE_PGM_RSRC2:USER_SGPR: 6
; COMPUTE_PGM_RSRC2:TRAP_HANDLER: 0
; COMPUTE_PGM_RSRC2:TGID_X_EN: 1
; COMPUTE_PGM_RSRC2:TGID_Y_EN: 0
; COMPUTE_PGM_RSRC2:TGID_Z_EN: 0
; COMPUTE_PGM_RSRC2:TIDIG_COMP_CNT: 0
; COMPUTE_PGM_RSRC3_GFX90A:ACCUM_OFFSET: 0
; COMPUTE_PGM_RSRC3_GFX90A:TG_SPLIT: 0
	.section	.text._ZN7rocprim17ROCPRIM_400000_NS6detail17trampoline_kernelINS0_14default_configENS1_22reduce_config_selectorIiEEZNS1_11reduce_implILb1ES3_N6thrust23THRUST_200600_302600_NS11hip_rocprim35transform_pair_of_input_iterators_tIiPiSB_NS8_12not_equal_toIiEEEESB_iNS8_4plusIiEEEE10hipError_tPvRmT1_T2_T3_mT4_P12ihipStream_tbEUlT_E1_NS1_11comp_targetILNS1_3genE2ELNS1_11target_archE906ELNS1_3gpuE6ELNS1_3repE0EEENS1_30default_config_static_selectorELNS0_4arch9wavefront6targetE1EEEvSK_,"axG",@progbits,_ZN7rocprim17ROCPRIM_400000_NS6detail17trampoline_kernelINS0_14default_configENS1_22reduce_config_selectorIiEEZNS1_11reduce_implILb1ES3_N6thrust23THRUST_200600_302600_NS11hip_rocprim35transform_pair_of_input_iterators_tIiPiSB_NS8_12not_equal_toIiEEEESB_iNS8_4plusIiEEEE10hipError_tPvRmT1_T2_T3_mT4_P12ihipStream_tbEUlT_E1_NS1_11comp_targetILNS1_3genE2ELNS1_11target_archE906ELNS1_3gpuE6ELNS1_3repE0EEENS1_30default_config_static_selectorELNS0_4arch9wavefront6targetE1EEEvSK_,comdat
	.protected	_ZN7rocprim17ROCPRIM_400000_NS6detail17trampoline_kernelINS0_14default_configENS1_22reduce_config_selectorIiEEZNS1_11reduce_implILb1ES3_N6thrust23THRUST_200600_302600_NS11hip_rocprim35transform_pair_of_input_iterators_tIiPiSB_NS8_12not_equal_toIiEEEESB_iNS8_4plusIiEEEE10hipError_tPvRmT1_T2_T3_mT4_P12ihipStream_tbEUlT_E1_NS1_11comp_targetILNS1_3genE2ELNS1_11target_archE906ELNS1_3gpuE6ELNS1_3repE0EEENS1_30default_config_static_selectorELNS0_4arch9wavefront6targetE1EEEvSK_ ; -- Begin function _ZN7rocprim17ROCPRIM_400000_NS6detail17trampoline_kernelINS0_14default_configENS1_22reduce_config_selectorIiEEZNS1_11reduce_implILb1ES3_N6thrust23THRUST_200600_302600_NS11hip_rocprim35transform_pair_of_input_iterators_tIiPiSB_NS8_12not_equal_toIiEEEESB_iNS8_4plusIiEEEE10hipError_tPvRmT1_T2_T3_mT4_P12ihipStream_tbEUlT_E1_NS1_11comp_targetILNS1_3genE2ELNS1_11target_archE906ELNS1_3gpuE6ELNS1_3repE0EEENS1_30default_config_static_selectorELNS0_4arch9wavefront6targetE1EEEvSK_
	.globl	_ZN7rocprim17ROCPRIM_400000_NS6detail17trampoline_kernelINS0_14default_configENS1_22reduce_config_selectorIiEEZNS1_11reduce_implILb1ES3_N6thrust23THRUST_200600_302600_NS11hip_rocprim35transform_pair_of_input_iterators_tIiPiSB_NS8_12not_equal_toIiEEEESB_iNS8_4plusIiEEEE10hipError_tPvRmT1_T2_T3_mT4_P12ihipStream_tbEUlT_E1_NS1_11comp_targetILNS1_3genE2ELNS1_11target_archE906ELNS1_3gpuE6ELNS1_3repE0EEENS1_30default_config_static_selectorELNS0_4arch9wavefront6targetE1EEEvSK_
	.p2align	8
	.type	_ZN7rocprim17ROCPRIM_400000_NS6detail17trampoline_kernelINS0_14default_configENS1_22reduce_config_selectorIiEEZNS1_11reduce_implILb1ES3_N6thrust23THRUST_200600_302600_NS11hip_rocprim35transform_pair_of_input_iterators_tIiPiSB_NS8_12not_equal_toIiEEEESB_iNS8_4plusIiEEEE10hipError_tPvRmT1_T2_T3_mT4_P12ihipStream_tbEUlT_E1_NS1_11comp_targetILNS1_3genE2ELNS1_11target_archE906ELNS1_3gpuE6ELNS1_3repE0EEENS1_30default_config_static_selectorELNS0_4arch9wavefront6targetE1EEEvSK_,@function
_ZN7rocprim17ROCPRIM_400000_NS6detail17trampoline_kernelINS0_14default_configENS1_22reduce_config_selectorIiEEZNS1_11reduce_implILb1ES3_N6thrust23THRUST_200600_302600_NS11hip_rocprim35transform_pair_of_input_iterators_tIiPiSB_NS8_12not_equal_toIiEEEESB_iNS8_4plusIiEEEE10hipError_tPvRmT1_T2_T3_mT4_P12ihipStream_tbEUlT_E1_NS1_11comp_targetILNS1_3genE2ELNS1_11target_archE906ELNS1_3gpuE6ELNS1_3repE0EEENS1_30default_config_static_selectorELNS0_4arch9wavefront6targetE1EEEvSK_: ; @_ZN7rocprim17ROCPRIM_400000_NS6detail17trampoline_kernelINS0_14default_configENS1_22reduce_config_selectorIiEEZNS1_11reduce_implILb1ES3_N6thrust23THRUST_200600_302600_NS11hip_rocprim35transform_pair_of_input_iterators_tIiPiSB_NS8_12not_equal_toIiEEEESB_iNS8_4plusIiEEEE10hipError_tPvRmT1_T2_T3_mT4_P12ihipStream_tbEUlT_E1_NS1_11comp_targetILNS1_3genE2ELNS1_11target_archE906ELNS1_3gpuE6ELNS1_3repE0EEENS1_30default_config_static_selectorELNS0_4arch9wavefront6targetE1EEEvSK_
; %bb.0:
	.section	.rodata,"a",@progbits
	.p2align	6, 0x0
	.amdhsa_kernel _ZN7rocprim17ROCPRIM_400000_NS6detail17trampoline_kernelINS0_14default_configENS1_22reduce_config_selectorIiEEZNS1_11reduce_implILb1ES3_N6thrust23THRUST_200600_302600_NS11hip_rocprim35transform_pair_of_input_iterators_tIiPiSB_NS8_12not_equal_toIiEEEESB_iNS8_4plusIiEEEE10hipError_tPvRmT1_T2_T3_mT4_P12ihipStream_tbEUlT_E1_NS1_11comp_targetILNS1_3genE2ELNS1_11target_archE906ELNS1_3gpuE6ELNS1_3repE0EEENS1_30default_config_static_selectorELNS0_4arch9wavefront6targetE1EEEvSK_
		.amdhsa_group_segment_fixed_size 0
		.amdhsa_private_segment_fixed_size 0
		.amdhsa_kernarg_size 56
		.amdhsa_user_sgpr_count 6
		.amdhsa_user_sgpr_private_segment_buffer 1
		.amdhsa_user_sgpr_dispatch_ptr 0
		.amdhsa_user_sgpr_queue_ptr 0
		.amdhsa_user_sgpr_kernarg_segment_ptr 1
		.amdhsa_user_sgpr_dispatch_id 0
		.amdhsa_user_sgpr_flat_scratch_init 0
		.amdhsa_user_sgpr_kernarg_preload_length 0
		.amdhsa_user_sgpr_kernarg_preload_offset 0
		.amdhsa_user_sgpr_private_segment_size 0
		.amdhsa_uses_dynamic_stack 0
		.amdhsa_system_sgpr_private_segment_wavefront_offset 0
		.amdhsa_system_sgpr_workgroup_id_x 1
		.amdhsa_system_sgpr_workgroup_id_y 0
		.amdhsa_system_sgpr_workgroup_id_z 0
		.amdhsa_system_sgpr_workgroup_info 0
		.amdhsa_system_vgpr_workitem_id 0
		.amdhsa_next_free_vgpr 1
		.amdhsa_next_free_sgpr 0
		.amdhsa_accum_offset 4
		.amdhsa_reserve_vcc 0
		.amdhsa_reserve_flat_scratch 0
		.amdhsa_float_round_mode_32 0
		.amdhsa_float_round_mode_16_64 0
		.amdhsa_float_denorm_mode_32 3
		.amdhsa_float_denorm_mode_16_64 3
		.amdhsa_dx10_clamp 1
		.amdhsa_ieee_mode 1
		.amdhsa_fp16_overflow 0
		.amdhsa_tg_split 0
		.amdhsa_exception_fp_ieee_invalid_op 0
		.amdhsa_exception_fp_denorm_src 0
		.amdhsa_exception_fp_ieee_div_zero 0
		.amdhsa_exception_fp_ieee_overflow 0
		.amdhsa_exception_fp_ieee_underflow 0
		.amdhsa_exception_fp_ieee_inexact 0
		.amdhsa_exception_int_div_zero 0
	.end_amdhsa_kernel
	.section	.text._ZN7rocprim17ROCPRIM_400000_NS6detail17trampoline_kernelINS0_14default_configENS1_22reduce_config_selectorIiEEZNS1_11reduce_implILb1ES3_N6thrust23THRUST_200600_302600_NS11hip_rocprim35transform_pair_of_input_iterators_tIiPiSB_NS8_12not_equal_toIiEEEESB_iNS8_4plusIiEEEE10hipError_tPvRmT1_T2_T3_mT4_P12ihipStream_tbEUlT_E1_NS1_11comp_targetILNS1_3genE2ELNS1_11target_archE906ELNS1_3gpuE6ELNS1_3repE0EEENS1_30default_config_static_selectorELNS0_4arch9wavefront6targetE1EEEvSK_,"axG",@progbits,_ZN7rocprim17ROCPRIM_400000_NS6detail17trampoline_kernelINS0_14default_configENS1_22reduce_config_selectorIiEEZNS1_11reduce_implILb1ES3_N6thrust23THRUST_200600_302600_NS11hip_rocprim35transform_pair_of_input_iterators_tIiPiSB_NS8_12not_equal_toIiEEEESB_iNS8_4plusIiEEEE10hipError_tPvRmT1_T2_T3_mT4_P12ihipStream_tbEUlT_E1_NS1_11comp_targetILNS1_3genE2ELNS1_11target_archE906ELNS1_3gpuE6ELNS1_3repE0EEENS1_30default_config_static_selectorELNS0_4arch9wavefront6targetE1EEEvSK_,comdat
.Lfunc_end933:
	.size	_ZN7rocprim17ROCPRIM_400000_NS6detail17trampoline_kernelINS0_14default_configENS1_22reduce_config_selectorIiEEZNS1_11reduce_implILb1ES3_N6thrust23THRUST_200600_302600_NS11hip_rocprim35transform_pair_of_input_iterators_tIiPiSB_NS8_12not_equal_toIiEEEESB_iNS8_4plusIiEEEE10hipError_tPvRmT1_T2_T3_mT4_P12ihipStream_tbEUlT_E1_NS1_11comp_targetILNS1_3genE2ELNS1_11target_archE906ELNS1_3gpuE6ELNS1_3repE0EEENS1_30default_config_static_selectorELNS0_4arch9wavefront6targetE1EEEvSK_, .Lfunc_end933-_ZN7rocprim17ROCPRIM_400000_NS6detail17trampoline_kernelINS0_14default_configENS1_22reduce_config_selectorIiEEZNS1_11reduce_implILb1ES3_N6thrust23THRUST_200600_302600_NS11hip_rocprim35transform_pair_of_input_iterators_tIiPiSB_NS8_12not_equal_toIiEEEESB_iNS8_4plusIiEEEE10hipError_tPvRmT1_T2_T3_mT4_P12ihipStream_tbEUlT_E1_NS1_11comp_targetILNS1_3genE2ELNS1_11target_archE906ELNS1_3gpuE6ELNS1_3repE0EEENS1_30default_config_static_selectorELNS0_4arch9wavefront6targetE1EEEvSK_
                                        ; -- End function
	.section	.AMDGPU.csdata,"",@progbits
; Kernel info:
; codeLenInByte = 0
; NumSgprs: 4
; NumVgprs: 0
; NumAgprs: 0
; TotalNumVgprs: 0
; ScratchSize: 0
; MemoryBound: 0
; FloatMode: 240
; IeeeMode: 1
; LDSByteSize: 0 bytes/workgroup (compile time only)
; SGPRBlocks: 0
; VGPRBlocks: 0
; NumSGPRsForWavesPerEU: 4
; NumVGPRsForWavesPerEU: 1
; AccumOffset: 4
; Occupancy: 8
; WaveLimiterHint : 0
; COMPUTE_PGM_RSRC2:SCRATCH_EN: 0
; COMPUTE_PGM_RSRC2:USER_SGPR: 6
; COMPUTE_PGM_RSRC2:TRAP_HANDLER: 0
; COMPUTE_PGM_RSRC2:TGID_X_EN: 1
; COMPUTE_PGM_RSRC2:TGID_Y_EN: 0
; COMPUTE_PGM_RSRC2:TGID_Z_EN: 0
; COMPUTE_PGM_RSRC2:TIDIG_COMP_CNT: 0
; COMPUTE_PGM_RSRC3_GFX90A:ACCUM_OFFSET: 0
; COMPUTE_PGM_RSRC3_GFX90A:TG_SPLIT: 0
	.section	.text._ZN7rocprim17ROCPRIM_400000_NS6detail17trampoline_kernelINS0_14default_configENS1_22reduce_config_selectorIiEEZNS1_11reduce_implILb1ES3_N6thrust23THRUST_200600_302600_NS11hip_rocprim35transform_pair_of_input_iterators_tIiPiSB_NS8_12not_equal_toIiEEEESB_iNS8_4plusIiEEEE10hipError_tPvRmT1_T2_T3_mT4_P12ihipStream_tbEUlT_E1_NS1_11comp_targetILNS1_3genE10ELNS1_11target_archE1201ELNS1_3gpuE5ELNS1_3repE0EEENS1_30default_config_static_selectorELNS0_4arch9wavefront6targetE1EEEvSK_,"axG",@progbits,_ZN7rocprim17ROCPRIM_400000_NS6detail17trampoline_kernelINS0_14default_configENS1_22reduce_config_selectorIiEEZNS1_11reduce_implILb1ES3_N6thrust23THRUST_200600_302600_NS11hip_rocprim35transform_pair_of_input_iterators_tIiPiSB_NS8_12not_equal_toIiEEEESB_iNS8_4plusIiEEEE10hipError_tPvRmT1_T2_T3_mT4_P12ihipStream_tbEUlT_E1_NS1_11comp_targetILNS1_3genE10ELNS1_11target_archE1201ELNS1_3gpuE5ELNS1_3repE0EEENS1_30default_config_static_selectorELNS0_4arch9wavefront6targetE1EEEvSK_,comdat
	.protected	_ZN7rocprim17ROCPRIM_400000_NS6detail17trampoline_kernelINS0_14default_configENS1_22reduce_config_selectorIiEEZNS1_11reduce_implILb1ES3_N6thrust23THRUST_200600_302600_NS11hip_rocprim35transform_pair_of_input_iterators_tIiPiSB_NS8_12not_equal_toIiEEEESB_iNS8_4plusIiEEEE10hipError_tPvRmT1_T2_T3_mT4_P12ihipStream_tbEUlT_E1_NS1_11comp_targetILNS1_3genE10ELNS1_11target_archE1201ELNS1_3gpuE5ELNS1_3repE0EEENS1_30default_config_static_selectorELNS0_4arch9wavefront6targetE1EEEvSK_ ; -- Begin function _ZN7rocprim17ROCPRIM_400000_NS6detail17trampoline_kernelINS0_14default_configENS1_22reduce_config_selectorIiEEZNS1_11reduce_implILb1ES3_N6thrust23THRUST_200600_302600_NS11hip_rocprim35transform_pair_of_input_iterators_tIiPiSB_NS8_12not_equal_toIiEEEESB_iNS8_4plusIiEEEE10hipError_tPvRmT1_T2_T3_mT4_P12ihipStream_tbEUlT_E1_NS1_11comp_targetILNS1_3genE10ELNS1_11target_archE1201ELNS1_3gpuE5ELNS1_3repE0EEENS1_30default_config_static_selectorELNS0_4arch9wavefront6targetE1EEEvSK_
	.globl	_ZN7rocprim17ROCPRIM_400000_NS6detail17trampoline_kernelINS0_14default_configENS1_22reduce_config_selectorIiEEZNS1_11reduce_implILb1ES3_N6thrust23THRUST_200600_302600_NS11hip_rocprim35transform_pair_of_input_iterators_tIiPiSB_NS8_12not_equal_toIiEEEESB_iNS8_4plusIiEEEE10hipError_tPvRmT1_T2_T3_mT4_P12ihipStream_tbEUlT_E1_NS1_11comp_targetILNS1_3genE10ELNS1_11target_archE1201ELNS1_3gpuE5ELNS1_3repE0EEENS1_30default_config_static_selectorELNS0_4arch9wavefront6targetE1EEEvSK_
	.p2align	8
	.type	_ZN7rocprim17ROCPRIM_400000_NS6detail17trampoline_kernelINS0_14default_configENS1_22reduce_config_selectorIiEEZNS1_11reduce_implILb1ES3_N6thrust23THRUST_200600_302600_NS11hip_rocprim35transform_pair_of_input_iterators_tIiPiSB_NS8_12not_equal_toIiEEEESB_iNS8_4plusIiEEEE10hipError_tPvRmT1_T2_T3_mT4_P12ihipStream_tbEUlT_E1_NS1_11comp_targetILNS1_3genE10ELNS1_11target_archE1201ELNS1_3gpuE5ELNS1_3repE0EEENS1_30default_config_static_selectorELNS0_4arch9wavefront6targetE1EEEvSK_,@function
_ZN7rocprim17ROCPRIM_400000_NS6detail17trampoline_kernelINS0_14default_configENS1_22reduce_config_selectorIiEEZNS1_11reduce_implILb1ES3_N6thrust23THRUST_200600_302600_NS11hip_rocprim35transform_pair_of_input_iterators_tIiPiSB_NS8_12not_equal_toIiEEEESB_iNS8_4plusIiEEEE10hipError_tPvRmT1_T2_T3_mT4_P12ihipStream_tbEUlT_E1_NS1_11comp_targetILNS1_3genE10ELNS1_11target_archE1201ELNS1_3gpuE5ELNS1_3repE0EEENS1_30default_config_static_selectorELNS0_4arch9wavefront6targetE1EEEvSK_: ; @_ZN7rocprim17ROCPRIM_400000_NS6detail17trampoline_kernelINS0_14default_configENS1_22reduce_config_selectorIiEEZNS1_11reduce_implILb1ES3_N6thrust23THRUST_200600_302600_NS11hip_rocprim35transform_pair_of_input_iterators_tIiPiSB_NS8_12not_equal_toIiEEEESB_iNS8_4plusIiEEEE10hipError_tPvRmT1_T2_T3_mT4_P12ihipStream_tbEUlT_E1_NS1_11comp_targetILNS1_3genE10ELNS1_11target_archE1201ELNS1_3gpuE5ELNS1_3repE0EEENS1_30default_config_static_selectorELNS0_4arch9wavefront6targetE1EEEvSK_
; %bb.0:
	.section	.rodata,"a",@progbits
	.p2align	6, 0x0
	.amdhsa_kernel _ZN7rocprim17ROCPRIM_400000_NS6detail17trampoline_kernelINS0_14default_configENS1_22reduce_config_selectorIiEEZNS1_11reduce_implILb1ES3_N6thrust23THRUST_200600_302600_NS11hip_rocprim35transform_pair_of_input_iterators_tIiPiSB_NS8_12not_equal_toIiEEEESB_iNS8_4plusIiEEEE10hipError_tPvRmT1_T2_T3_mT4_P12ihipStream_tbEUlT_E1_NS1_11comp_targetILNS1_3genE10ELNS1_11target_archE1201ELNS1_3gpuE5ELNS1_3repE0EEENS1_30default_config_static_selectorELNS0_4arch9wavefront6targetE1EEEvSK_
		.amdhsa_group_segment_fixed_size 0
		.amdhsa_private_segment_fixed_size 0
		.amdhsa_kernarg_size 56
		.amdhsa_user_sgpr_count 6
		.amdhsa_user_sgpr_private_segment_buffer 1
		.amdhsa_user_sgpr_dispatch_ptr 0
		.amdhsa_user_sgpr_queue_ptr 0
		.amdhsa_user_sgpr_kernarg_segment_ptr 1
		.amdhsa_user_sgpr_dispatch_id 0
		.amdhsa_user_sgpr_flat_scratch_init 0
		.amdhsa_user_sgpr_kernarg_preload_length 0
		.amdhsa_user_sgpr_kernarg_preload_offset 0
		.amdhsa_user_sgpr_private_segment_size 0
		.amdhsa_uses_dynamic_stack 0
		.amdhsa_system_sgpr_private_segment_wavefront_offset 0
		.amdhsa_system_sgpr_workgroup_id_x 1
		.amdhsa_system_sgpr_workgroup_id_y 0
		.amdhsa_system_sgpr_workgroup_id_z 0
		.amdhsa_system_sgpr_workgroup_info 0
		.amdhsa_system_vgpr_workitem_id 0
		.amdhsa_next_free_vgpr 1
		.amdhsa_next_free_sgpr 0
		.amdhsa_accum_offset 4
		.amdhsa_reserve_vcc 0
		.amdhsa_reserve_flat_scratch 0
		.amdhsa_float_round_mode_32 0
		.amdhsa_float_round_mode_16_64 0
		.amdhsa_float_denorm_mode_32 3
		.amdhsa_float_denorm_mode_16_64 3
		.amdhsa_dx10_clamp 1
		.amdhsa_ieee_mode 1
		.amdhsa_fp16_overflow 0
		.amdhsa_tg_split 0
		.amdhsa_exception_fp_ieee_invalid_op 0
		.amdhsa_exception_fp_denorm_src 0
		.amdhsa_exception_fp_ieee_div_zero 0
		.amdhsa_exception_fp_ieee_overflow 0
		.amdhsa_exception_fp_ieee_underflow 0
		.amdhsa_exception_fp_ieee_inexact 0
		.amdhsa_exception_int_div_zero 0
	.end_amdhsa_kernel
	.section	.text._ZN7rocprim17ROCPRIM_400000_NS6detail17trampoline_kernelINS0_14default_configENS1_22reduce_config_selectorIiEEZNS1_11reduce_implILb1ES3_N6thrust23THRUST_200600_302600_NS11hip_rocprim35transform_pair_of_input_iterators_tIiPiSB_NS8_12not_equal_toIiEEEESB_iNS8_4plusIiEEEE10hipError_tPvRmT1_T2_T3_mT4_P12ihipStream_tbEUlT_E1_NS1_11comp_targetILNS1_3genE10ELNS1_11target_archE1201ELNS1_3gpuE5ELNS1_3repE0EEENS1_30default_config_static_selectorELNS0_4arch9wavefront6targetE1EEEvSK_,"axG",@progbits,_ZN7rocprim17ROCPRIM_400000_NS6detail17trampoline_kernelINS0_14default_configENS1_22reduce_config_selectorIiEEZNS1_11reduce_implILb1ES3_N6thrust23THRUST_200600_302600_NS11hip_rocprim35transform_pair_of_input_iterators_tIiPiSB_NS8_12not_equal_toIiEEEESB_iNS8_4plusIiEEEE10hipError_tPvRmT1_T2_T3_mT4_P12ihipStream_tbEUlT_E1_NS1_11comp_targetILNS1_3genE10ELNS1_11target_archE1201ELNS1_3gpuE5ELNS1_3repE0EEENS1_30default_config_static_selectorELNS0_4arch9wavefront6targetE1EEEvSK_,comdat
.Lfunc_end934:
	.size	_ZN7rocprim17ROCPRIM_400000_NS6detail17trampoline_kernelINS0_14default_configENS1_22reduce_config_selectorIiEEZNS1_11reduce_implILb1ES3_N6thrust23THRUST_200600_302600_NS11hip_rocprim35transform_pair_of_input_iterators_tIiPiSB_NS8_12not_equal_toIiEEEESB_iNS8_4plusIiEEEE10hipError_tPvRmT1_T2_T3_mT4_P12ihipStream_tbEUlT_E1_NS1_11comp_targetILNS1_3genE10ELNS1_11target_archE1201ELNS1_3gpuE5ELNS1_3repE0EEENS1_30default_config_static_selectorELNS0_4arch9wavefront6targetE1EEEvSK_, .Lfunc_end934-_ZN7rocprim17ROCPRIM_400000_NS6detail17trampoline_kernelINS0_14default_configENS1_22reduce_config_selectorIiEEZNS1_11reduce_implILb1ES3_N6thrust23THRUST_200600_302600_NS11hip_rocprim35transform_pair_of_input_iterators_tIiPiSB_NS8_12not_equal_toIiEEEESB_iNS8_4plusIiEEEE10hipError_tPvRmT1_T2_T3_mT4_P12ihipStream_tbEUlT_E1_NS1_11comp_targetILNS1_3genE10ELNS1_11target_archE1201ELNS1_3gpuE5ELNS1_3repE0EEENS1_30default_config_static_selectorELNS0_4arch9wavefront6targetE1EEEvSK_
                                        ; -- End function
	.section	.AMDGPU.csdata,"",@progbits
; Kernel info:
; codeLenInByte = 0
; NumSgprs: 4
; NumVgprs: 0
; NumAgprs: 0
; TotalNumVgprs: 0
; ScratchSize: 0
; MemoryBound: 0
; FloatMode: 240
; IeeeMode: 1
; LDSByteSize: 0 bytes/workgroup (compile time only)
; SGPRBlocks: 0
; VGPRBlocks: 0
; NumSGPRsForWavesPerEU: 4
; NumVGPRsForWavesPerEU: 1
; AccumOffset: 4
; Occupancy: 8
; WaveLimiterHint : 0
; COMPUTE_PGM_RSRC2:SCRATCH_EN: 0
; COMPUTE_PGM_RSRC2:USER_SGPR: 6
; COMPUTE_PGM_RSRC2:TRAP_HANDLER: 0
; COMPUTE_PGM_RSRC2:TGID_X_EN: 1
; COMPUTE_PGM_RSRC2:TGID_Y_EN: 0
; COMPUTE_PGM_RSRC2:TGID_Z_EN: 0
; COMPUTE_PGM_RSRC2:TIDIG_COMP_CNT: 0
; COMPUTE_PGM_RSRC3_GFX90A:ACCUM_OFFSET: 0
; COMPUTE_PGM_RSRC3_GFX90A:TG_SPLIT: 0
	.section	.text._ZN7rocprim17ROCPRIM_400000_NS6detail17trampoline_kernelINS0_14default_configENS1_22reduce_config_selectorIiEEZNS1_11reduce_implILb1ES3_N6thrust23THRUST_200600_302600_NS11hip_rocprim35transform_pair_of_input_iterators_tIiPiSB_NS8_12not_equal_toIiEEEESB_iNS8_4plusIiEEEE10hipError_tPvRmT1_T2_T3_mT4_P12ihipStream_tbEUlT_E1_NS1_11comp_targetILNS1_3genE10ELNS1_11target_archE1200ELNS1_3gpuE4ELNS1_3repE0EEENS1_30default_config_static_selectorELNS0_4arch9wavefront6targetE1EEEvSK_,"axG",@progbits,_ZN7rocprim17ROCPRIM_400000_NS6detail17trampoline_kernelINS0_14default_configENS1_22reduce_config_selectorIiEEZNS1_11reduce_implILb1ES3_N6thrust23THRUST_200600_302600_NS11hip_rocprim35transform_pair_of_input_iterators_tIiPiSB_NS8_12not_equal_toIiEEEESB_iNS8_4plusIiEEEE10hipError_tPvRmT1_T2_T3_mT4_P12ihipStream_tbEUlT_E1_NS1_11comp_targetILNS1_3genE10ELNS1_11target_archE1200ELNS1_3gpuE4ELNS1_3repE0EEENS1_30default_config_static_selectorELNS0_4arch9wavefront6targetE1EEEvSK_,comdat
	.protected	_ZN7rocprim17ROCPRIM_400000_NS6detail17trampoline_kernelINS0_14default_configENS1_22reduce_config_selectorIiEEZNS1_11reduce_implILb1ES3_N6thrust23THRUST_200600_302600_NS11hip_rocprim35transform_pair_of_input_iterators_tIiPiSB_NS8_12not_equal_toIiEEEESB_iNS8_4plusIiEEEE10hipError_tPvRmT1_T2_T3_mT4_P12ihipStream_tbEUlT_E1_NS1_11comp_targetILNS1_3genE10ELNS1_11target_archE1200ELNS1_3gpuE4ELNS1_3repE0EEENS1_30default_config_static_selectorELNS0_4arch9wavefront6targetE1EEEvSK_ ; -- Begin function _ZN7rocprim17ROCPRIM_400000_NS6detail17trampoline_kernelINS0_14default_configENS1_22reduce_config_selectorIiEEZNS1_11reduce_implILb1ES3_N6thrust23THRUST_200600_302600_NS11hip_rocprim35transform_pair_of_input_iterators_tIiPiSB_NS8_12not_equal_toIiEEEESB_iNS8_4plusIiEEEE10hipError_tPvRmT1_T2_T3_mT4_P12ihipStream_tbEUlT_E1_NS1_11comp_targetILNS1_3genE10ELNS1_11target_archE1200ELNS1_3gpuE4ELNS1_3repE0EEENS1_30default_config_static_selectorELNS0_4arch9wavefront6targetE1EEEvSK_
	.globl	_ZN7rocprim17ROCPRIM_400000_NS6detail17trampoline_kernelINS0_14default_configENS1_22reduce_config_selectorIiEEZNS1_11reduce_implILb1ES3_N6thrust23THRUST_200600_302600_NS11hip_rocprim35transform_pair_of_input_iterators_tIiPiSB_NS8_12not_equal_toIiEEEESB_iNS8_4plusIiEEEE10hipError_tPvRmT1_T2_T3_mT4_P12ihipStream_tbEUlT_E1_NS1_11comp_targetILNS1_3genE10ELNS1_11target_archE1200ELNS1_3gpuE4ELNS1_3repE0EEENS1_30default_config_static_selectorELNS0_4arch9wavefront6targetE1EEEvSK_
	.p2align	8
	.type	_ZN7rocprim17ROCPRIM_400000_NS6detail17trampoline_kernelINS0_14default_configENS1_22reduce_config_selectorIiEEZNS1_11reduce_implILb1ES3_N6thrust23THRUST_200600_302600_NS11hip_rocprim35transform_pair_of_input_iterators_tIiPiSB_NS8_12not_equal_toIiEEEESB_iNS8_4plusIiEEEE10hipError_tPvRmT1_T2_T3_mT4_P12ihipStream_tbEUlT_E1_NS1_11comp_targetILNS1_3genE10ELNS1_11target_archE1200ELNS1_3gpuE4ELNS1_3repE0EEENS1_30default_config_static_selectorELNS0_4arch9wavefront6targetE1EEEvSK_,@function
_ZN7rocprim17ROCPRIM_400000_NS6detail17trampoline_kernelINS0_14default_configENS1_22reduce_config_selectorIiEEZNS1_11reduce_implILb1ES3_N6thrust23THRUST_200600_302600_NS11hip_rocprim35transform_pair_of_input_iterators_tIiPiSB_NS8_12not_equal_toIiEEEESB_iNS8_4plusIiEEEE10hipError_tPvRmT1_T2_T3_mT4_P12ihipStream_tbEUlT_E1_NS1_11comp_targetILNS1_3genE10ELNS1_11target_archE1200ELNS1_3gpuE4ELNS1_3repE0EEENS1_30default_config_static_selectorELNS0_4arch9wavefront6targetE1EEEvSK_: ; @_ZN7rocprim17ROCPRIM_400000_NS6detail17trampoline_kernelINS0_14default_configENS1_22reduce_config_selectorIiEEZNS1_11reduce_implILb1ES3_N6thrust23THRUST_200600_302600_NS11hip_rocprim35transform_pair_of_input_iterators_tIiPiSB_NS8_12not_equal_toIiEEEESB_iNS8_4plusIiEEEE10hipError_tPvRmT1_T2_T3_mT4_P12ihipStream_tbEUlT_E1_NS1_11comp_targetILNS1_3genE10ELNS1_11target_archE1200ELNS1_3gpuE4ELNS1_3repE0EEENS1_30default_config_static_selectorELNS0_4arch9wavefront6targetE1EEEvSK_
; %bb.0:
	.section	.rodata,"a",@progbits
	.p2align	6, 0x0
	.amdhsa_kernel _ZN7rocprim17ROCPRIM_400000_NS6detail17trampoline_kernelINS0_14default_configENS1_22reduce_config_selectorIiEEZNS1_11reduce_implILb1ES3_N6thrust23THRUST_200600_302600_NS11hip_rocprim35transform_pair_of_input_iterators_tIiPiSB_NS8_12not_equal_toIiEEEESB_iNS8_4plusIiEEEE10hipError_tPvRmT1_T2_T3_mT4_P12ihipStream_tbEUlT_E1_NS1_11comp_targetILNS1_3genE10ELNS1_11target_archE1200ELNS1_3gpuE4ELNS1_3repE0EEENS1_30default_config_static_selectorELNS0_4arch9wavefront6targetE1EEEvSK_
		.amdhsa_group_segment_fixed_size 0
		.amdhsa_private_segment_fixed_size 0
		.amdhsa_kernarg_size 56
		.amdhsa_user_sgpr_count 6
		.amdhsa_user_sgpr_private_segment_buffer 1
		.amdhsa_user_sgpr_dispatch_ptr 0
		.amdhsa_user_sgpr_queue_ptr 0
		.amdhsa_user_sgpr_kernarg_segment_ptr 1
		.amdhsa_user_sgpr_dispatch_id 0
		.amdhsa_user_sgpr_flat_scratch_init 0
		.amdhsa_user_sgpr_kernarg_preload_length 0
		.amdhsa_user_sgpr_kernarg_preload_offset 0
		.amdhsa_user_sgpr_private_segment_size 0
		.amdhsa_uses_dynamic_stack 0
		.amdhsa_system_sgpr_private_segment_wavefront_offset 0
		.amdhsa_system_sgpr_workgroup_id_x 1
		.amdhsa_system_sgpr_workgroup_id_y 0
		.amdhsa_system_sgpr_workgroup_id_z 0
		.amdhsa_system_sgpr_workgroup_info 0
		.amdhsa_system_vgpr_workitem_id 0
		.amdhsa_next_free_vgpr 1
		.amdhsa_next_free_sgpr 0
		.amdhsa_accum_offset 4
		.amdhsa_reserve_vcc 0
		.amdhsa_reserve_flat_scratch 0
		.amdhsa_float_round_mode_32 0
		.amdhsa_float_round_mode_16_64 0
		.amdhsa_float_denorm_mode_32 3
		.amdhsa_float_denorm_mode_16_64 3
		.amdhsa_dx10_clamp 1
		.amdhsa_ieee_mode 1
		.amdhsa_fp16_overflow 0
		.amdhsa_tg_split 0
		.amdhsa_exception_fp_ieee_invalid_op 0
		.amdhsa_exception_fp_denorm_src 0
		.amdhsa_exception_fp_ieee_div_zero 0
		.amdhsa_exception_fp_ieee_overflow 0
		.amdhsa_exception_fp_ieee_underflow 0
		.amdhsa_exception_fp_ieee_inexact 0
		.amdhsa_exception_int_div_zero 0
	.end_amdhsa_kernel
	.section	.text._ZN7rocprim17ROCPRIM_400000_NS6detail17trampoline_kernelINS0_14default_configENS1_22reduce_config_selectorIiEEZNS1_11reduce_implILb1ES3_N6thrust23THRUST_200600_302600_NS11hip_rocprim35transform_pair_of_input_iterators_tIiPiSB_NS8_12not_equal_toIiEEEESB_iNS8_4plusIiEEEE10hipError_tPvRmT1_T2_T3_mT4_P12ihipStream_tbEUlT_E1_NS1_11comp_targetILNS1_3genE10ELNS1_11target_archE1200ELNS1_3gpuE4ELNS1_3repE0EEENS1_30default_config_static_selectorELNS0_4arch9wavefront6targetE1EEEvSK_,"axG",@progbits,_ZN7rocprim17ROCPRIM_400000_NS6detail17trampoline_kernelINS0_14default_configENS1_22reduce_config_selectorIiEEZNS1_11reduce_implILb1ES3_N6thrust23THRUST_200600_302600_NS11hip_rocprim35transform_pair_of_input_iterators_tIiPiSB_NS8_12not_equal_toIiEEEESB_iNS8_4plusIiEEEE10hipError_tPvRmT1_T2_T3_mT4_P12ihipStream_tbEUlT_E1_NS1_11comp_targetILNS1_3genE10ELNS1_11target_archE1200ELNS1_3gpuE4ELNS1_3repE0EEENS1_30default_config_static_selectorELNS0_4arch9wavefront6targetE1EEEvSK_,comdat
.Lfunc_end935:
	.size	_ZN7rocprim17ROCPRIM_400000_NS6detail17trampoline_kernelINS0_14default_configENS1_22reduce_config_selectorIiEEZNS1_11reduce_implILb1ES3_N6thrust23THRUST_200600_302600_NS11hip_rocprim35transform_pair_of_input_iterators_tIiPiSB_NS8_12not_equal_toIiEEEESB_iNS8_4plusIiEEEE10hipError_tPvRmT1_T2_T3_mT4_P12ihipStream_tbEUlT_E1_NS1_11comp_targetILNS1_3genE10ELNS1_11target_archE1200ELNS1_3gpuE4ELNS1_3repE0EEENS1_30default_config_static_selectorELNS0_4arch9wavefront6targetE1EEEvSK_, .Lfunc_end935-_ZN7rocprim17ROCPRIM_400000_NS6detail17trampoline_kernelINS0_14default_configENS1_22reduce_config_selectorIiEEZNS1_11reduce_implILb1ES3_N6thrust23THRUST_200600_302600_NS11hip_rocprim35transform_pair_of_input_iterators_tIiPiSB_NS8_12not_equal_toIiEEEESB_iNS8_4plusIiEEEE10hipError_tPvRmT1_T2_T3_mT4_P12ihipStream_tbEUlT_E1_NS1_11comp_targetILNS1_3genE10ELNS1_11target_archE1200ELNS1_3gpuE4ELNS1_3repE0EEENS1_30default_config_static_selectorELNS0_4arch9wavefront6targetE1EEEvSK_
                                        ; -- End function
	.section	.AMDGPU.csdata,"",@progbits
; Kernel info:
; codeLenInByte = 0
; NumSgprs: 4
; NumVgprs: 0
; NumAgprs: 0
; TotalNumVgprs: 0
; ScratchSize: 0
; MemoryBound: 0
; FloatMode: 240
; IeeeMode: 1
; LDSByteSize: 0 bytes/workgroup (compile time only)
; SGPRBlocks: 0
; VGPRBlocks: 0
; NumSGPRsForWavesPerEU: 4
; NumVGPRsForWavesPerEU: 1
; AccumOffset: 4
; Occupancy: 8
; WaveLimiterHint : 0
; COMPUTE_PGM_RSRC2:SCRATCH_EN: 0
; COMPUTE_PGM_RSRC2:USER_SGPR: 6
; COMPUTE_PGM_RSRC2:TRAP_HANDLER: 0
; COMPUTE_PGM_RSRC2:TGID_X_EN: 1
; COMPUTE_PGM_RSRC2:TGID_Y_EN: 0
; COMPUTE_PGM_RSRC2:TGID_Z_EN: 0
; COMPUTE_PGM_RSRC2:TIDIG_COMP_CNT: 0
; COMPUTE_PGM_RSRC3_GFX90A:ACCUM_OFFSET: 0
; COMPUTE_PGM_RSRC3_GFX90A:TG_SPLIT: 0
	.section	.text._ZN7rocprim17ROCPRIM_400000_NS6detail17trampoline_kernelINS0_14default_configENS1_22reduce_config_selectorIiEEZNS1_11reduce_implILb1ES3_N6thrust23THRUST_200600_302600_NS11hip_rocprim35transform_pair_of_input_iterators_tIiPiSB_NS8_12not_equal_toIiEEEESB_iNS8_4plusIiEEEE10hipError_tPvRmT1_T2_T3_mT4_P12ihipStream_tbEUlT_E1_NS1_11comp_targetILNS1_3genE9ELNS1_11target_archE1100ELNS1_3gpuE3ELNS1_3repE0EEENS1_30default_config_static_selectorELNS0_4arch9wavefront6targetE1EEEvSK_,"axG",@progbits,_ZN7rocprim17ROCPRIM_400000_NS6detail17trampoline_kernelINS0_14default_configENS1_22reduce_config_selectorIiEEZNS1_11reduce_implILb1ES3_N6thrust23THRUST_200600_302600_NS11hip_rocprim35transform_pair_of_input_iterators_tIiPiSB_NS8_12not_equal_toIiEEEESB_iNS8_4plusIiEEEE10hipError_tPvRmT1_T2_T3_mT4_P12ihipStream_tbEUlT_E1_NS1_11comp_targetILNS1_3genE9ELNS1_11target_archE1100ELNS1_3gpuE3ELNS1_3repE0EEENS1_30default_config_static_selectorELNS0_4arch9wavefront6targetE1EEEvSK_,comdat
	.protected	_ZN7rocprim17ROCPRIM_400000_NS6detail17trampoline_kernelINS0_14default_configENS1_22reduce_config_selectorIiEEZNS1_11reduce_implILb1ES3_N6thrust23THRUST_200600_302600_NS11hip_rocprim35transform_pair_of_input_iterators_tIiPiSB_NS8_12not_equal_toIiEEEESB_iNS8_4plusIiEEEE10hipError_tPvRmT1_T2_T3_mT4_P12ihipStream_tbEUlT_E1_NS1_11comp_targetILNS1_3genE9ELNS1_11target_archE1100ELNS1_3gpuE3ELNS1_3repE0EEENS1_30default_config_static_selectorELNS0_4arch9wavefront6targetE1EEEvSK_ ; -- Begin function _ZN7rocprim17ROCPRIM_400000_NS6detail17trampoline_kernelINS0_14default_configENS1_22reduce_config_selectorIiEEZNS1_11reduce_implILb1ES3_N6thrust23THRUST_200600_302600_NS11hip_rocprim35transform_pair_of_input_iterators_tIiPiSB_NS8_12not_equal_toIiEEEESB_iNS8_4plusIiEEEE10hipError_tPvRmT1_T2_T3_mT4_P12ihipStream_tbEUlT_E1_NS1_11comp_targetILNS1_3genE9ELNS1_11target_archE1100ELNS1_3gpuE3ELNS1_3repE0EEENS1_30default_config_static_selectorELNS0_4arch9wavefront6targetE1EEEvSK_
	.globl	_ZN7rocprim17ROCPRIM_400000_NS6detail17trampoline_kernelINS0_14default_configENS1_22reduce_config_selectorIiEEZNS1_11reduce_implILb1ES3_N6thrust23THRUST_200600_302600_NS11hip_rocprim35transform_pair_of_input_iterators_tIiPiSB_NS8_12not_equal_toIiEEEESB_iNS8_4plusIiEEEE10hipError_tPvRmT1_T2_T3_mT4_P12ihipStream_tbEUlT_E1_NS1_11comp_targetILNS1_3genE9ELNS1_11target_archE1100ELNS1_3gpuE3ELNS1_3repE0EEENS1_30default_config_static_selectorELNS0_4arch9wavefront6targetE1EEEvSK_
	.p2align	8
	.type	_ZN7rocprim17ROCPRIM_400000_NS6detail17trampoline_kernelINS0_14default_configENS1_22reduce_config_selectorIiEEZNS1_11reduce_implILb1ES3_N6thrust23THRUST_200600_302600_NS11hip_rocprim35transform_pair_of_input_iterators_tIiPiSB_NS8_12not_equal_toIiEEEESB_iNS8_4plusIiEEEE10hipError_tPvRmT1_T2_T3_mT4_P12ihipStream_tbEUlT_E1_NS1_11comp_targetILNS1_3genE9ELNS1_11target_archE1100ELNS1_3gpuE3ELNS1_3repE0EEENS1_30default_config_static_selectorELNS0_4arch9wavefront6targetE1EEEvSK_,@function
_ZN7rocprim17ROCPRIM_400000_NS6detail17trampoline_kernelINS0_14default_configENS1_22reduce_config_selectorIiEEZNS1_11reduce_implILb1ES3_N6thrust23THRUST_200600_302600_NS11hip_rocprim35transform_pair_of_input_iterators_tIiPiSB_NS8_12not_equal_toIiEEEESB_iNS8_4plusIiEEEE10hipError_tPvRmT1_T2_T3_mT4_P12ihipStream_tbEUlT_E1_NS1_11comp_targetILNS1_3genE9ELNS1_11target_archE1100ELNS1_3gpuE3ELNS1_3repE0EEENS1_30default_config_static_selectorELNS0_4arch9wavefront6targetE1EEEvSK_: ; @_ZN7rocprim17ROCPRIM_400000_NS6detail17trampoline_kernelINS0_14default_configENS1_22reduce_config_selectorIiEEZNS1_11reduce_implILb1ES3_N6thrust23THRUST_200600_302600_NS11hip_rocprim35transform_pair_of_input_iterators_tIiPiSB_NS8_12not_equal_toIiEEEESB_iNS8_4plusIiEEEE10hipError_tPvRmT1_T2_T3_mT4_P12ihipStream_tbEUlT_E1_NS1_11comp_targetILNS1_3genE9ELNS1_11target_archE1100ELNS1_3gpuE3ELNS1_3repE0EEENS1_30default_config_static_selectorELNS0_4arch9wavefront6targetE1EEEvSK_
; %bb.0:
	.section	.rodata,"a",@progbits
	.p2align	6, 0x0
	.amdhsa_kernel _ZN7rocprim17ROCPRIM_400000_NS6detail17trampoline_kernelINS0_14default_configENS1_22reduce_config_selectorIiEEZNS1_11reduce_implILb1ES3_N6thrust23THRUST_200600_302600_NS11hip_rocprim35transform_pair_of_input_iterators_tIiPiSB_NS8_12not_equal_toIiEEEESB_iNS8_4plusIiEEEE10hipError_tPvRmT1_T2_T3_mT4_P12ihipStream_tbEUlT_E1_NS1_11comp_targetILNS1_3genE9ELNS1_11target_archE1100ELNS1_3gpuE3ELNS1_3repE0EEENS1_30default_config_static_selectorELNS0_4arch9wavefront6targetE1EEEvSK_
		.amdhsa_group_segment_fixed_size 0
		.amdhsa_private_segment_fixed_size 0
		.amdhsa_kernarg_size 56
		.amdhsa_user_sgpr_count 6
		.amdhsa_user_sgpr_private_segment_buffer 1
		.amdhsa_user_sgpr_dispatch_ptr 0
		.amdhsa_user_sgpr_queue_ptr 0
		.amdhsa_user_sgpr_kernarg_segment_ptr 1
		.amdhsa_user_sgpr_dispatch_id 0
		.amdhsa_user_sgpr_flat_scratch_init 0
		.amdhsa_user_sgpr_kernarg_preload_length 0
		.amdhsa_user_sgpr_kernarg_preload_offset 0
		.amdhsa_user_sgpr_private_segment_size 0
		.amdhsa_uses_dynamic_stack 0
		.amdhsa_system_sgpr_private_segment_wavefront_offset 0
		.amdhsa_system_sgpr_workgroup_id_x 1
		.amdhsa_system_sgpr_workgroup_id_y 0
		.amdhsa_system_sgpr_workgroup_id_z 0
		.amdhsa_system_sgpr_workgroup_info 0
		.amdhsa_system_vgpr_workitem_id 0
		.amdhsa_next_free_vgpr 1
		.amdhsa_next_free_sgpr 0
		.amdhsa_accum_offset 4
		.amdhsa_reserve_vcc 0
		.amdhsa_reserve_flat_scratch 0
		.amdhsa_float_round_mode_32 0
		.amdhsa_float_round_mode_16_64 0
		.amdhsa_float_denorm_mode_32 3
		.amdhsa_float_denorm_mode_16_64 3
		.amdhsa_dx10_clamp 1
		.amdhsa_ieee_mode 1
		.amdhsa_fp16_overflow 0
		.amdhsa_tg_split 0
		.amdhsa_exception_fp_ieee_invalid_op 0
		.amdhsa_exception_fp_denorm_src 0
		.amdhsa_exception_fp_ieee_div_zero 0
		.amdhsa_exception_fp_ieee_overflow 0
		.amdhsa_exception_fp_ieee_underflow 0
		.amdhsa_exception_fp_ieee_inexact 0
		.amdhsa_exception_int_div_zero 0
	.end_amdhsa_kernel
	.section	.text._ZN7rocprim17ROCPRIM_400000_NS6detail17trampoline_kernelINS0_14default_configENS1_22reduce_config_selectorIiEEZNS1_11reduce_implILb1ES3_N6thrust23THRUST_200600_302600_NS11hip_rocprim35transform_pair_of_input_iterators_tIiPiSB_NS8_12not_equal_toIiEEEESB_iNS8_4plusIiEEEE10hipError_tPvRmT1_T2_T3_mT4_P12ihipStream_tbEUlT_E1_NS1_11comp_targetILNS1_3genE9ELNS1_11target_archE1100ELNS1_3gpuE3ELNS1_3repE0EEENS1_30default_config_static_selectorELNS0_4arch9wavefront6targetE1EEEvSK_,"axG",@progbits,_ZN7rocprim17ROCPRIM_400000_NS6detail17trampoline_kernelINS0_14default_configENS1_22reduce_config_selectorIiEEZNS1_11reduce_implILb1ES3_N6thrust23THRUST_200600_302600_NS11hip_rocprim35transform_pair_of_input_iterators_tIiPiSB_NS8_12not_equal_toIiEEEESB_iNS8_4plusIiEEEE10hipError_tPvRmT1_T2_T3_mT4_P12ihipStream_tbEUlT_E1_NS1_11comp_targetILNS1_3genE9ELNS1_11target_archE1100ELNS1_3gpuE3ELNS1_3repE0EEENS1_30default_config_static_selectorELNS0_4arch9wavefront6targetE1EEEvSK_,comdat
.Lfunc_end936:
	.size	_ZN7rocprim17ROCPRIM_400000_NS6detail17trampoline_kernelINS0_14default_configENS1_22reduce_config_selectorIiEEZNS1_11reduce_implILb1ES3_N6thrust23THRUST_200600_302600_NS11hip_rocprim35transform_pair_of_input_iterators_tIiPiSB_NS8_12not_equal_toIiEEEESB_iNS8_4plusIiEEEE10hipError_tPvRmT1_T2_T3_mT4_P12ihipStream_tbEUlT_E1_NS1_11comp_targetILNS1_3genE9ELNS1_11target_archE1100ELNS1_3gpuE3ELNS1_3repE0EEENS1_30default_config_static_selectorELNS0_4arch9wavefront6targetE1EEEvSK_, .Lfunc_end936-_ZN7rocprim17ROCPRIM_400000_NS6detail17trampoline_kernelINS0_14default_configENS1_22reduce_config_selectorIiEEZNS1_11reduce_implILb1ES3_N6thrust23THRUST_200600_302600_NS11hip_rocprim35transform_pair_of_input_iterators_tIiPiSB_NS8_12not_equal_toIiEEEESB_iNS8_4plusIiEEEE10hipError_tPvRmT1_T2_T3_mT4_P12ihipStream_tbEUlT_E1_NS1_11comp_targetILNS1_3genE9ELNS1_11target_archE1100ELNS1_3gpuE3ELNS1_3repE0EEENS1_30default_config_static_selectorELNS0_4arch9wavefront6targetE1EEEvSK_
                                        ; -- End function
	.section	.AMDGPU.csdata,"",@progbits
; Kernel info:
; codeLenInByte = 0
; NumSgprs: 4
; NumVgprs: 0
; NumAgprs: 0
; TotalNumVgprs: 0
; ScratchSize: 0
; MemoryBound: 0
; FloatMode: 240
; IeeeMode: 1
; LDSByteSize: 0 bytes/workgroup (compile time only)
; SGPRBlocks: 0
; VGPRBlocks: 0
; NumSGPRsForWavesPerEU: 4
; NumVGPRsForWavesPerEU: 1
; AccumOffset: 4
; Occupancy: 8
; WaveLimiterHint : 0
; COMPUTE_PGM_RSRC2:SCRATCH_EN: 0
; COMPUTE_PGM_RSRC2:USER_SGPR: 6
; COMPUTE_PGM_RSRC2:TRAP_HANDLER: 0
; COMPUTE_PGM_RSRC2:TGID_X_EN: 1
; COMPUTE_PGM_RSRC2:TGID_Y_EN: 0
; COMPUTE_PGM_RSRC2:TGID_Z_EN: 0
; COMPUTE_PGM_RSRC2:TIDIG_COMP_CNT: 0
; COMPUTE_PGM_RSRC3_GFX90A:ACCUM_OFFSET: 0
; COMPUTE_PGM_RSRC3_GFX90A:TG_SPLIT: 0
	.section	.text._ZN7rocprim17ROCPRIM_400000_NS6detail17trampoline_kernelINS0_14default_configENS1_22reduce_config_selectorIiEEZNS1_11reduce_implILb1ES3_N6thrust23THRUST_200600_302600_NS11hip_rocprim35transform_pair_of_input_iterators_tIiPiSB_NS8_12not_equal_toIiEEEESB_iNS8_4plusIiEEEE10hipError_tPvRmT1_T2_T3_mT4_P12ihipStream_tbEUlT_E1_NS1_11comp_targetILNS1_3genE8ELNS1_11target_archE1030ELNS1_3gpuE2ELNS1_3repE0EEENS1_30default_config_static_selectorELNS0_4arch9wavefront6targetE1EEEvSK_,"axG",@progbits,_ZN7rocprim17ROCPRIM_400000_NS6detail17trampoline_kernelINS0_14default_configENS1_22reduce_config_selectorIiEEZNS1_11reduce_implILb1ES3_N6thrust23THRUST_200600_302600_NS11hip_rocprim35transform_pair_of_input_iterators_tIiPiSB_NS8_12not_equal_toIiEEEESB_iNS8_4plusIiEEEE10hipError_tPvRmT1_T2_T3_mT4_P12ihipStream_tbEUlT_E1_NS1_11comp_targetILNS1_3genE8ELNS1_11target_archE1030ELNS1_3gpuE2ELNS1_3repE0EEENS1_30default_config_static_selectorELNS0_4arch9wavefront6targetE1EEEvSK_,comdat
	.protected	_ZN7rocprim17ROCPRIM_400000_NS6detail17trampoline_kernelINS0_14default_configENS1_22reduce_config_selectorIiEEZNS1_11reduce_implILb1ES3_N6thrust23THRUST_200600_302600_NS11hip_rocprim35transform_pair_of_input_iterators_tIiPiSB_NS8_12not_equal_toIiEEEESB_iNS8_4plusIiEEEE10hipError_tPvRmT1_T2_T3_mT4_P12ihipStream_tbEUlT_E1_NS1_11comp_targetILNS1_3genE8ELNS1_11target_archE1030ELNS1_3gpuE2ELNS1_3repE0EEENS1_30default_config_static_selectorELNS0_4arch9wavefront6targetE1EEEvSK_ ; -- Begin function _ZN7rocprim17ROCPRIM_400000_NS6detail17trampoline_kernelINS0_14default_configENS1_22reduce_config_selectorIiEEZNS1_11reduce_implILb1ES3_N6thrust23THRUST_200600_302600_NS11hip_rocprim35transform_pair_of_input_iterators_tIiPiSB_NS8_12not_equal_toIiEEEESB_iNS8_4plusIiEEEE10hipError_tPvRmT1_T2_T3_mT4_P12ihipStream_tbEUlT_E1_NS1_11comp_targetILNS1_3genE8ELNS1_11target_archE1030ELNS1_3gpuE2ELNS1_3repE0EEENS1_30default_config_static_selectorELNS0_4arch9wavefront6targetE1EEEvSK_
	.globl	_ZN7rocprim17ROCPRIM_400000_NS6detail17trampoline_kernelINS0_14default_configENS1_22reduce_config_selectorIiEEZNS1_11reduce_implILb1ES3_N6thrust23THRUST_200600_302600_NS11hip_rocprim35transform_pair_of_input_iterators_tIiPiSB_NS8_12not_equal_toIiEEEESB_iNS8_4plusIiEEEE10hipError_tPvRmT1_T2_T3_mT4_P12ihipStream_tbEUlT_E1_NS1_11comp_targetILNS1_3genE8ELNS1_11target_archE1030ELNS1_3gpuE2ELNS1_3repE0EEENS1_30default_config_static_selectorELNS0_4arch9wavefront6targetE1EEEvSK_
	.p2align	8
	.type	_ZN7rocprim17ROCPRIM_400000_NS6detail17trampoline_kernelINS0_14default_configENS1_22reduce_config_selectorIiEEZNS1_11reduce_implILb1ES3_N6thrust23THRUST_200600_302600_NS11hip_rocprim35transform_pair_of_input_iterators_tIiPiSB_NS8_12not_equal_toIiEEEESB_iNS8_4plusIiEEEE10hipError_tPvRmT1_T2_T3_mT4_P12ihipStream_tbEUlT_E1_NS1_11comp_targetILNS1_3genE8ELNS1_11target_archE1030ELNS1_3gpuE2ELNS1_3repE0EEENS1_30default_config_static_selectorELNS0_4arch9wavefront6targetE1EEEvSK_,@function
_ZN7rocprim17ROCPRIM_400000_NS6detail17trampoline_kernelINS0_14default_configENS1_22reduce_config_selectorIiEEZNS1_11reduce_implILb1ES3_N6thrust23THRUST_200600_302600_NS11hip_rocprim35transform_pair_of_input_iterators_tIiPiSB_NS8_12not_equal_toIiEEEESB_iNS8_4plusIiEEEE10hipError_tPvRmT1_T2_T3_mT4_P12ihipStream_tbEUlT_E1_NS1_11comp_targetILNS1_3genE8ELNS1_11target_archE1030ELNS1_3gpuE2ELNS1_3repE0EEENS1_30default_config_static_selectorELNS0_4arch9wavefront6targetE1EEEvSK_: ; @_ZN7rocprim17ROCPRIM_400000_NS6detail17trampoline_kernelINS0_14default_configENS1_22reduce_config_selectorIiEEZNS1_11reduce_implILb1ES3_N6thrust23THRUST_200600_302600_NS11hip_rocprim35transform_pair_of_input_iterators_tIiPiSB_NS8_12not_equal_toIiEEEESB_iNS8_4plusIiEEEE10hipError_tPvRmT1_T2_T3_mT4_P12ihipStream_tbEUlT_E1_NS1_11comp_targetILNS1_3genE8ELNS1_11target_archE1030ELNS1_3gpuE2ELNS1_3repE0EEENS1_30default_config_static_selectorELNS0_4arch9wavefront6targetE1EEEvSK_
; %bb.0:
	.section	.rodata,"a",@progbits
	.p2align	6, 0x0
	.amdhsa_kernel _ZN7rocprim17ROCPRIM_400000_NS6detail17trampoline_kernelINS0_14default_configENS1_22reduce_config_selectorIiEEZNS1_11reduce_implILb1ES3_N6thrust23THRUST_200600_302600_NS11hip_rocprim35transform_pair_of_input_iterators_tIiPiSB_NS8_12not_equal_toIiEEEESB_iNS8_4plusIiEEEE10hipError_tPvRmT1_T2_T3_mT4_P12ihipStream_tbEUlT_E1_NS1_11comp_targetILNS1_3genE8ELNS1_11target_archE1030ELNS1_3gpuE2ELNS1_3repE0EEENS1_30default_config_static_selectorELNS0_4arch9wavefront6targetE1EEEvSK_
		.amdhsa_group_segment_fixed_size 0
		.amdhsa_private_segment_fixed_size 0
		.amdhsa_kernarg_size 56
		.amdhsa_user_sgpr_count 6
		.amdhsa_user_sgpr_private_segment_buffer 1
		.amdhsa_user_sgpr_dispatch_ptr 0
		.amdhsa_user_sgpr_queue_ptr 0
		.amdhsa_user_sgpr_kernarg_segment_ptr 1
		.amdhsa_user_sgpr_dispatch_id 0
		.amdhsa_user_sgpr_flat_scratch_init 0
		.amdhsa_user_sgpr_kernarg_preload_length 0
		.amdhsa_user_sgpr_kernarg_preload_offset 0
		.amdhsa_user_sgpr_private_segment_size 0
		.amdhsa_uses_dynamic_stack 0
		.amdhsa_system_sgpr_private_segment_wavefront_offset 0
		.amdhsa_system_sgpr_workgroup_id_x 1
		.amdhsa_system_sgpr_workgroup_id_y 0
		.amdhsa_system_sgpr_workgroup_id_z 0
		.amdhsa_system_sgpr_workgroup_info 0
		.amdhsa_system_vgpr_workitem_id 0
		.amdhsa_next_free_vgpr 1
		.amdhsa_next_free_sgpr 0
		.amdhsa_accum_offset 4
		.amdhsa_reserve_vcc 0
		.amdhsa_reserve_flat_scratch 0
		.amdhsa_float_round_mode_32 0
		.amdhsa_float_round_mode_16_64 0
		.amdhsa_float_denorm_mode_32 3
		.amdhsa_float_denorm_mode_16_64 3
		.amdhsa_dx10_clamp 1
		.amdhsa_ieee_mode 1
		.amdhsa_fp16_overflow 0
		.amdhsa_tg_split 0
		.amdhsa_exception_fp_ieee_invalid_op 0
		.amdhsa_exception_fp_denorm_src 0
		.amdhsa_exception_fp_ieee_div_zero 0
		.amdhsa_exception_fp_ieee_overflow 0
		.amdhsa_exception_fp_ieee_underflow 0
		.amdhsa_exception_fp_ieee_inexact 0
		.amdhsa_exception_int_div_zero 0
	.end_amdhsa_kernel
	.section	.text._ZN7rocprim17ROCPRIM_400000_NS6detail17trampoline_kernelINS0_14default_configENS1_22reduce_config_selectorIiEEZNS1_11reduce_implILb1ES3_N6thrust23THRUST_200600_302600_NS11hip_rocprim35transform_pair_of_input_iterators_tIiPiSB_NS8_12not_equal_toIiEEEESB_iNS8_4plusIiEEEE10hipError_tPvRmT1_T2_T3_mT4_P12ihipStream_tbEUlT_E1_NS1_11comp_targetILNS1_3genE8ELNS1_11target_archE1030ELNS1_3gpuE2ELNS1_3repE0EEENS1_30default_config_static_selectorELNS0_4arch9wavefront6targetE1EEEvSK_,"axG",@progbits,_ZN7rocprim17ROCPRIM_400000_NS6detail17trampoline_kernelINS0_14default_configENS1_22reduce_config_selectorIiEEZNS1_11reduce_implILb1ES3_N6thrust23THRUST_200600_302600_NS11hip_rocprim35transform_pair_of_input_iterators_tIiPiSB_NS8_12not_equal_toIiEEEESB_iNS8_4plusIiEEEE10hipError_tPvRmT1_T2_T3_mT4_P12ihipStream_tbEUlT_E1_NS1_11comp_targetILNS1_3genE8ELNS1_11target_archE1030ELNS1_3gpuE2ELNS1_3repE0EEENS1_30default_config_static_selectorELNS0_4arch9wavefront6targetE1EEEvSK_,comdat
.Lfunc_end937:
	.size	_ZN7rocprim17ROCPRIM_400000_NS6detail17trampoline_kernelINS0_14default_configENS1_22reduce_config_selectorIiEEZNS1_11reduce_implILb1ES3_N6thrust23THRUST_200600_302600_NS11hip_rocprim35transform_pair_of_input_iterators_tIiPiSB_NS8_12not_equal_toIiEEEESB_iNS8_4plusIiEEEE10hipError_tPvRmT1_T2_T3_mT4_P12ihipStream_tbEUlT_E1_NS1_11comp_targetILNS1_3genE8ELNS1_11target_archE1030ELNS1_3gpuE2ELNS1_3repE0EEENS1_30default_config_static_selectorELNS0_4arch9wavefront6targetE1EEEvSK_, .Lfunc_end937-_ZN7rocprim17ROCPRIM_400000_NS6detail17trampoline_kernelINS0_14default_configENS1_22reduce_config_selectorIiEEZNS1_11reduce_implILb1ES3_N6thrust23THRUST_200600_302600_NS11hip_rocprim35transform_pair_of_input_iterators_tIiPiSB_NS8_12not_equal_toIiEEEESB_iNS8_4plusIiEEEE10hipError_tPvRmT1_T2_T3_mT4_P12ihipStream_tbEUlT_E1_NS1_11comp_targetILNS1_3genE8ELNS1_11target_archE1030ELNS1_3gpuE2ELNS1_3repE0EEENS1_30default_config_static_selectorELNS0_4arch9wavefront6targetE1EEEvSK_
                                        ; -- End function
	.section	.AMDGPU.csdata,"",@progbits
; Kernel info:
; codeLenInByte = 0
; NumSgprs: 4
; NumVgprs: 0
; NumAgprs: 0
; TotalNumVgprs: 0
; ScratchSize: 0
; MemoryBound: 0
; FloatMode: 240
; IeeeMode: 1
; LDSByteSize: 0 bytes/workgroup (compile time only)
; SGPRBlocks: 0
; VGPRBlocks: 0
; NumSGPRsForWavesPerEU: 4
; NumVGPRsForWavesPerEU: 1
; AccumOffset: 4
; Occupancy: 8
; WaveLimiterHint : 0
; COMPUTE_PGM_RSRC2:SCRATCH_EN: 0
; COMPUTE_PGM_RSRC2:USER_SGPR: 6
; COMPUTE_PGM_RSRC2:TRAP_HANDLER: 0
; COMPUTE_PGM_RSRC2:TGID_X_EN: 1
; COMPUTE_PGM_RSRC2:TGID_Y_EN: 0
; COMPUTE_PGM_RSRC2:TGID_Z_EN: 0
; COMPUTE_PGM_RSRC2:TIDIG_COMP_CNT: 0
; COMPUTE_PGM_RSRC3_GFX90A:ACCUM_OFFSET: 0
; COMPUTE_PGM_RSRC3_GFX90A:TG_SPLIT: 0
	.section	.text._ZN7rocprim17ROCPRIM_400000_NS6detail17trampoline_kernelINS0_14default_configENS1_29reduce_by_key_config_selectorIilN6thrust23THRUST_200600_302600_NS4plusIlEEEEZZNS1_33reduce_by_key_impl_wrapped_configILNS1_25lookback_scan_determinismE0ES3_S9_PiNS6_17constant_iteratorIiNS6_11use_defaultESE_EENS6_10device_ptrIiEENSG_IlEEPmS8_NS6_8equal_toIiEEEE10hipError_tPvRmT2_T3_mT4_T5_T6_T7_T8_P12ihipStream_tbENKUlT_T0_E_clISt17integral_constantIbLb0EES13_EEDaSY_SZ_EUlSY_E_NS1_11comp_targetILNS1_3genE0ELNS1_11target_archE4294967295ELNS1_3gpuE0ELNS1_3repE0EEENS1_30default_config_static_selectorELNS0_4arch9wavefront6targetE1EEEvT1_,"axG",@progbits,_ZN7rocprim17ROCPRIM_400000_NS6detail17trampoline_kernelINS0_14default_configENS1_29reduce_by_key_config_selectorIilN6thrust23THRUST_200600_302600_NS4plusIlEEEEZZNS1_33reduce_by_key_impl_wrapped_configILNS1_25lookback_scan_determinismE0ES3_S9_PiNS6_17constant_iteratorIiNS6_11use_defaultESE_EENS6_10device_ptrIiEENSG_IlEEPmS8_NS6_8equal_toIiEEEE10hipError_tPvRmT2_T3_mT4_T5_T6_T7_T8_P12ihipStream_tbENKUlT_T0_E_clISt17integral_constantIbLb0EES13_EEDaSY_SZ_EUlSY_E_NS1_11comp_targetILNS1_3genE0ELNS1_11target_archE4294967295ELNS1_3gpuE0ELNS1_3repE0EEENS1_30default_config_static_selectorELNS0_4arch9wavefront6targetE1EEEvT1_,comdat
	.protected	_ZN7rocprim17ROCPRIM_400000_NS6detail17trampoline_kernelINS0_14default_configENS1_29reduce_by_key_config_selectorIilN6thrust23THRUST_200600_302600_NS4plusIlEEEEZZNS1_33reduce_by_key_impl_wrapped_configILNS1_25lookback_scan_determinismE0ES3_S9_PiNS6_17constant_iteratorIiNS6_11use_defaultESE_EENS6_10device_ptrIiEENSG_IlEEPmS8_NS6_8equal_toIiEEEE10hipError_tPvRmT2_T3_mT4_T5_T6_T7_T8_P12ihipStream_tbENKUlT_T0_E_clISt17integral_constantIbLb0EES13_EEDaSY_SZ_EUlSY_E_NS1_11comp_targetILNS1_3genE0ELNS1_11target_archE4294967295ELNS1_3gpuE0ELNS1_3repE0EEENS1_30default_config_static_selectorELNS0_4arch9wavefront6targetE1EEEvT1_ ; -- Begin function _ZN7rocprim17ROCPRIM_400000_NS6detail17trampoline_kernelINS0_14default_configENS1_29reduce_by_key_config_selectorIilN6thrust23THRUST_200600_302600_NS4plusIlEEEEZZNS1_33reduce_by_key_impl_wrapped_configILNS1_25lookback_scan_determinismE0ES3_S9_PiNS6_17constant_iteratorIiNS6_11use_defaultESE_EENS6_10device_ptrIiEENSG_IlEEPmS8_NS6_8equal_toIiEEEE10hipError_tPvRmT2_T3_mT4_T5_T6_T7_T8_P12ihipStream_tbENKUlT_T0_E_clISt17integral_constantIbLb0EES13_EEDaSY_SZ_EUlSY_E_NS1_11comp_targetILNS1_3genE0ELNS1_11target_archE4294967295ELNS1_3gpuE0ELNS1_3repE0EEENS1_30default_config_static_selectorELNS0_4arch9wavefront6targetE1EEEvT1_
	.globl	_ZN7rocprim17ROCPRIM_400000_NS6detail17trampoline_kernelINS0_14default_configENS1_29reduce_by_key_config_selectorIilN6thrust23THRUST_200600_302600_NS4plusIlEEEEZZNS1_33reduce_by_key_impl_wrapped_configILNS1_25lookback_scan_determinismE0ES3_S9_PiNS6_17constant_iteratorIiNS6_11use_defaultESE_EENS6_10device_ptrIiEENSG_IlEEPmS8_NS6_8equal_toIiEEEE10hipError_tPvRmT2_T3_mT4_T5_T6_T7_T8_P12ihipStream_tbENKUlT_T0_E_clISt17integral_constantIbLb0EES13_EEDaSY_SZ_EUlSY_E_NS1_11comp_targetILNS1_3genE0ELNS1_11target_archE4294967295ELNS1_3gpuE0ELNS1_3repE0EEENS1_30default_config_static_selectorELNS0_4arch9wavefront6targetE1EEEvT1_
	.p2align	8
	.type	_ZN7rocprim17ROCPRIM_400000_NS6detail17trampoline_kernelINS0_14default_configENS1_29reduce_by_key_config_selectorIilN6thrust23THRUST_200600_302600_NS4plusIlEEEEZZNS1_33reduce_by_key_impl_wrapped_configILNS1_25lookback_scan_determinismE0ES3_S9_PiNS6_17constant_iteratorIiNS6_11use_defaultESE_EENS6_10device_ptrIiEENSG_IlEEPmS8_NS6_8equal_toIiEEEE10hipError_tPvRmT2_T3_mT4_T5_T6_T7_T8_P12ihipStream_tbENKUlT_T0_E_clISt17integral_constantIbLb0EES13_EEDaSY_SZ_EUlSY_E_NS1_11comp_targetILNS1_3genE0ELNS1_11target_archE4294967295ELNS1_3gpuE0ELNS1_3repE0EEENS1_30default_config_static_selectorELNS0_4arch9wavefront6targetE1EEEvT1_,@function
_ZN7rocprim17ROCPRIM_400000_NS6detail17trampoline_kernelINS0_14default_configENS1_29reduce_by_key_config_selectorIilN6thrust23THRUST_200600_302600_NS4plusIlEEEEZZNS1_33reduce_by_key_impl_wrapped_configILNS1_25lookback_scan_determinismE0ES3_S9_PiNS6_17constant_iteratorIiNS6_11use_defaultESE_EENS6_10device_ptrIiEENSG_IlEEPmS8_NS6_8equal_toIiEEEE10hipError_tPvRmT2_T3_mT4_T5_T6_T7_T8_P12ihipStream_tbENKUlT_T0_E_clISt17integral_constantIbLb0EES13_EEDaSY_SZ_EUlSY_E_NS1_11comp_targetILNS1_3genE0ELNS1_11target_archE4294967295ELNS1_3gpuE0ELNS1_3repE0EEENS1_30default_config_static_selectorELNS0_4arch9wavefront6targetE1EEEvT1_: ; @_ZN7rocprim17ROCPRIM_400000_NS6detail17trampoline_kernelINS0_14default_configENS1_29reduce_by_key_config_selectorIilN6thrust23THRUST_200600_302600_NS4plusIlEEEEZZNS1_33reduce_by_key_impl_wrapped_configILNS1_25lookback_scan_determinismE0ES3_S9_PiNS6_17constant_iteratorIiNS6_11use_defaultESE_EENS6_10device_ptrIiEENSG_IlEEPmS8_NS6_8equal_toIiEEEE10hipError_tPvRmT2_T3_mT4_T5_T6_T7_T8_P12ihipStream_tbENKUlT_T0_E_clISt17integral_constantIbLb0EES13_EEDaSY_SZ_EUlSY_E_NS1_11comp_targetILNS1_3genE0ELNS1_11target_archE4294967295ELNS1_3gpuE0ELNS1_3repE0EEENS1_30default_config_static_selectorELNS0_4arch9wavefront6targetE1EEEvT1_
; %bb.0:
	.section	.rodata,"a",@progbits
	.p2align	6, 0x0
	.amdhsa_kernel _ZN7rocprim17ROCPRIM_400000_NS6detail17trampoline_kernelINS0_14default_configENS1_29reduce_by_key_config_selectorIilN6thrust23THRUST_200600_302600_NS4plusIlEEEEZZNS1_33reduce_by_key_impl_wrapped_configILNS1_25lookback_scan_determinismE0ES3_S9_PiNS6_17constant_iteratorIiNS6_11use_defaultESE_EENS6_10device_ptrIiEENSG_IlEEPmS8_NS6_8equal_toIiEEEE10hipError_tPvRmT2_T3_mT4_T5_T6_T7_T8_P12ihipStream_tbENKUlT_T0_E_clISt17integral_constantIbLb0EES13_EEDaSY_SZ_EUlSY_E_NS1_11comp_targetILNS1_3genE0ELNS1_11target_archE4294967295ELNS1_3gpuE0ELNS1_3repE0EEENS1_30default_config_static_selectorELNS0_4arch9wavefront6targetE1EEEvT1_
		.amdhsa_group_segment_fixed_size 0
		.amdhsa_private_segment_fixed_size 0
		.amdhsa_kernarg_size 144
		.amdhsa_user_sgpr_count 6
		.amdhsa_user_sgpr_private_segment_buffer 1
		.amdhsa_user_sgpr_dispatch_ptr 0
		.amdhsa_user_sgpr_queue_ptr 0
		.amdhsa_user_sgpr_kernarg_segment_ptr 1
		.amdhsa_user_sgpr_dispatch_id 0
		.amdhsa_user_sgpr_flat_scratch_init 0
		.amdhsa_user_sgpr_kernarg_preload_length 0
		.amdhsa_user_sgpr_kernarg_preload_offset 0
		.amdhsa_user_sgpr_private_segment_size 0
		.amdhsa_uses_dynamic_stack 0
		.amdhsa_system_sgpr_private_segment_wavefront_offset 0
		.amdhsa_system_sgpr_workgroup_id_x 1
		.amdhsa_system_sgpr_workgroup_id_y 0
		.amdhsa_system_sgpr_workgroup_id_z 0
		.amdhsa_system_sgpr_workgroup_info 0
		.amdhsa_system_vgpr_workitem_id 0
		.amdhsa_next_free_vgpr 1
		.amdhsa_next_free_sgpr 0
		.amdhsa_accum_offset 4
		.amdhsa_reserve_vcc 0
		.amdhsa_reserve_flat_scratch 0
		.amdhsa_float_round_mode_32 0
		.amdhsa_float_round_mode_16_64 0
		.amdhsa_float_denorm_mode_32 3
		.amdhsa_float_denorm_mode_16_64 3
		.amdhsa_dx10_clamp 1
		.amdhsa_ieee_mode 1
		.amdhsa_fp16_overflow 0
		.amdhsa_tg_split 0
		.amdhsa_exception_fp_ieee_invalid_op 0
		.amdhsa_exception_fp_denorm_src 0
		.amdhsa_exception_fp_ieee_div_zero 0
		.amdhsa_exception_fp_ieee_overflow 0
		.amdhsa_exception_fp_ieee_underflow 0
		.amdhsa_exception_fp_ieee_inexact 0
		.amdhsa_exception_int_div_zero 0
	.end_amdhsa_kernel
	.section	.text._ZN7rocprim17ROCPRIM_400000_NS6detail17trampoline_kernelINS0_14default_configENS1_29reduce_by_key_config_selectorIilN6thrust23THRUST_200600_302600_NS4plusIlEEEEZZNS1_33reduce_by_key_impl_wrapped_configILNS1_25lookback_scan_determinismE0ES3_S9_PiNS6_17constant_iteratorIiNS6_11use_defaultESE_EENS6_10device_ptrIiEENSG_IlEEPmS8_NS6_8equal_toIiEEEE10hipError_tPvRmT2_T3_mT4_T5_T6_T7_T8_P12ihipStream_tbENKUlT_T0_E_clISt17integral_constantIbLb0EES13_EEDaSY_SZ_EUlSY_E_NS1_11comp_targetILNS1_3genE0ELNS1_11target_archE4294967295ELNS1_3gpuE0ELNS1_3repE0EEENS1_30default_config_static_selectorELNS0_4arch9wavefront6targetE1EEEvT1_,"axG",@progbits,_ZN7rocprim17ROCPRIM_400000_NS6detail17trampoline_kernelINS0_14default_configENS1_29reduce_by_key_config_selectorIilN6thrust23THRUST_200600_302600_NS4plusIlEEEEZZNS1_33reduce_by_key_impl_wrapped_configILNS1_25lookback_scan_determinismE0ES3_S9_PiNS6_17constant_iteratorIiNS6_11use_defaultESE_EENS6_10device_ptrIiEENSG_IlEEPmS8_NS6_8equal_toIiEEEE10hipError_tPvRmT2_T3_mT4_T5_T6_T7_T8_P12ihipStream_tbENKUlT_T0_E_clISt17integral_constantIbLb0EES13_EEDaSY_SZ_EUlSY_E_NS1_11comp_targetILNS1_3genE0ELNS1_11target_archE4294967295ELNS1_3gpuE0ELNS1_3repE0EEENS1_30default_config_static_selectorELNS0_4arch9wavefront6targetE1EEEvT1_,comdat
.Lfunc_end938:
	.size	_ZN7rocprim17ROCPRIM_400000_NS6detail17trampoline_kernelINS0_14default_configENS1_29reduce_by_key_config_selectorIilN6thrust23THRUST_200600_302600_NS4plusIlEEEEZZNS1_33reduce_by_key_impl_wrapped_configILNS1_25lookback_scan_determinismE0ES3_S9_PiNS6_17constant_iteratorIiNS6_11use_defaultESE_EENS6_10device_ptrIiEENSG_IlEEPmS8_NS6_8equal_toIiEEEE10hipError_tPvRmT2_T3_mT4_T5_T6_T7_T8_P12ihipStream_tbENKUlT_T0_E_clISt17integral_constantIbLb0EES13_EEDaSY_SZ_EUlSY_E_NS1_11comp_targetILNS1_3genE0ELNS1_11target_archE4294967295ELNS1_3gpuE0ELNS1_3repE0EEENS1_30default_config_static_selectorELNS0_4arch9wavefront6targetE1EEEvT1_, .Lfunc_end938-_ZN7rocprim17ROCPRIM_400000_NS6detail17trampoline_kernelINS0_14default_configENS1_29reduce_by_key_config_selectorIilN6thrust23THRUST_200600_302600_NS4plusIlEEEEZZNS1_33reduce_by_key_impl_wrapped_configILNS1_25lookback_scan_determinismE0ES3_S9_PiNS6_17constant_iteratorIiNS6_11use_defaultESE_EENS6_10device_ptrIiEENSG_IlEEPmS8_NS6_8equal_toIiEEEE10hipError_tPvRmT2_T3_mT4_T5_T6_T7_T8_P12ihipStream_tbENKUlT_T0_E_clISt17integral_constantIbLb0EES13_EEDaSY_SZ_EUlSY_E_NS1_11comp_targetILNS1_3genE0ELNS1_11target_archE4294967295ELNS1_3gpuE0ELNS1_3repE0EEENS1_30default_config_static_selectorELNS0_4arch9wavefront6targetE1EEEvT1_
                                        ; -- End function
	.section	.AMDGPU.csdata,"",@progbits
; Kernel info:
; codeLenInByte = 0
; NumSgprs: 4
; NumVgprs: 0
; NumAgprs: 0
; TotalNumVgprs: 0
; ScratchSize: 0
; MemoryBound: 0
; FloatMode: 240
; IeeeMode: 1
; LDSByteSize: 0 bytes/workgroup (compile time only)
; SGPRBlocks: 0
; VGPRBlocks: 0
; NumSGPRsForWavesPerEU: 4
; NumVGPRsForWavesPerEU: 1
; AccumOffset: 4
; Occupancy: 8
; WaveLimiterHint : 0
; COMPUTE_PGM_RSRC2:SCRATCH_EN: 0
; COMPUTE_PGM_RSRC2:USER_SGPR: 6
; COMPUTE_PGM_RSRC2:TRAP_HANDLER: 0
; COMPUTE_PGM_RSRC2:TGID_X_EN: 1
; COMPUTE_PGM_RSRC2:TGID_Y_EN: 0
; COMPUTE_PGM_RSRC2:TGID_Z_EN: 0
; COMPUTE_PGM_RSRC2:TIDIG_COMP_CNT: 0
; COMPUTE_PGM_RSRC3_GFX90A:ACCUM_OFFSET: 0
; COMPUTE_PGM_RSRC3_GFX90A:TG_SPLIT: 0
	.section	.text._ZN7rocprim17ROCPRIM_400000_NS6detail17trampoline_kernelINS0_14default_configENS1_29reduce_by_key_config_selectorIilN6thrust23THRUST_200600_302600_NS4plusIlEEEEZZNS1_33reduce_by_key_impl_wrapped_configILNS1_25lookback_scan_determinismE0ES3_S9_PiNS6_17constant_iteratorIiNS6_11use_defaultESE_EENS6_10device_ptrIiEENSG_IlEEPmS8_NS6_8equal_toIiEEEE10hipError_tPvRmT2_T3_mT4_T5_T6_T7_T8_P12ihipStream_tbENKUlT_T0_E_clISt17integral_constantIbLb0EES13_EEDaSY_SZ_EUlSY_E_NS1_11comp_targetILNS1_3genE5ELNS1_11target_archE942ELNS1_3gpuE9ELNS1_3repE0EEENS1_30default_config_static_selectorELNS0_4arch9wavefront6targetE1EEEvT1_,"axG",@progbits,_ZN7rocprim17ROCPRIM_400000_NS6detail17trampoline_kernelINS0_14default_configENS1_29reduce_by_key_config_selectorIilN6thrust23THRUST_200600_302600_NS4plusIlEEEEZZNS1_33reduce_by_key_impl_wrapped_configILNS1_25lookback_scan_determinismE0ES3_S9_PiNS6_17constant_iteratorIiNS6_11use_defaultESE_EENS6_10device_ptrIiEENSG_IlEEPmS8_NS6_8equal_toIiEEEE10hipError_tPvRmT2_T3_mT4_T5_T6_T7_T8_P12ihipStream_tbENKUlT_T0_E_clISt17integral_constantIbLb0EES13_EEDaSY_SZ_EUlSY_E_NS1_11comp_targetILNS1_3genE5ELNS1_11target_archE942ELNS1_3gpuE9ELNS1_3repE0EEENS1_30default_config_static_selectorELNS0_4arch9wavefront6targetE1EEEvT1_,comdat
	.protected	_ZN7rocprim17ROCPRIM_400000_NS6detail17trampoline_kernelINS0_14default_configENS1_29reduce_by_key_config_selectorIilN6thrust23THRUST_200600_302600_NS4plusIlEEEEZZNS1_33reduce_by_key_impl_wrapped_configILNS1_25lookback_scan_determinismE0ES3_S9_PiNS6_17constant_iteratorIiNS6_11use_defaultESE_EENS6_10device_ptrIiEENSG_IlEEPmS8_NS6_8equal_toIiEEEE10hipError_tPvRmT2_T3_mT4_T5_T6_T7_T8_P12ihipStream_tbENKUlT_T0_E_clISt17integral_constantIbLb0EES13_EEDaSY_SZ_EUlSY_E_NS1_11comp_targetILNS1_3genE5ELNS1_11target_archE942ELNS1_3gpuE9ELNS1_3repE0EEENS1_30default_config_static_selectorELNS0_4arch9wavefront6targetE1EEEvT1_ ; -- Begin function _ZN7rocprim17ROCPRIM_400000_NS6detail17trampoline_kernelINS0_14default_configENS1_29reduce_by_key_config_selectorIilN6thrust23THRUST_200600_302600_NS4plusIlEEEEZZNS1_33reduce_by_key_impl_wrapped_configILNS1_25lookback_scan_determinismE0ES3_S9_PiNS6_17constant_iteratorIiNS6_11use_defaultESE_EENS6_10device_ptrIiEENSG_IlEEPmS8_NS6_8equal_toIiEEEE10hipError_tPvRmT2_T3_mT4_T5_T6_T7_T8_P12ihipStream_tbENKUlT_T0_E_clISt17integral_constantIbLb0EES13_EEDaSY_SZ_EUlSY_E_NS1_11comp_targetILNS1_3genE5ELNS1_11target_archE942ELNS1_3gpuE9ELNS1_3repE0EEENS1_30default_config_static_selectorELNS0_4arch9wavefront6targetE1EEEvT1_
	.globl	_ZN7rocprim17ROCPRIM_400000_NS6detail17trampoline_kernelINS0_14default_configENS1_29reduce_by_key_config_selectorIilN6thrust23THRUST_200600_302600_NS4plusIlEEEEZZNS1_33reduce_by_key_impl_wrapped_configILNS1_25lookback_scan_determinismE0ES3_S9_PiNS6_17constant_iteratorIiNS6_11use_defaultESE_EENS6_10device_ptrIiEENSG_IlEEPmS8_NS6_8equal_toIiEEEE10hipError_tPvRmT2_T3_mT4_T5_T6_T7_T8_P12ihipStream_tbENKUlT_T0_E_clISt17integral_constantIbLb0EES13_EEDaSY_SZ_EUlSY_E_NS1_11comp_targetILNS1_3genE5ELNS1_11target_archE942ELNS1_3gpuE9ELNS1_3repE0EEENS1_30default_config_static_selectorELNS0_4arch9wavefront6targetE1EEEvT1_
	.p2align	8
	.type	_ZN7rocprim17ROCPRIM_400000_NS6detail17trampoline_kernelINS0_14default_configENS1_29reduce_by_key_config_selectorIilN6thrust23THRUST_200600_302600_NS4plusIlEEEEZZNS1_33reduce_by_key_impl_wrapped_configILNS1_25lookback_scan_determinismE0ES3_S9_PiNS6_17constant_iteratorIiNS6_11use_defaultESE_EENS6_10device_ptrIiEENSG_IlEEPmS8_NS6_8equal_toIiEEEE10hipError_tPvRmT2_T3_mT4_T5_T6_T7_T8_P12ihipStream_tbENKUlT_T0_E_clISt17integral_constantIbLb0EES13_EEDaSY_SZ_EUlSY_E_NS1_11comp_targetILNS1_3genE5ELNS1_11target_archE942ELNS1_3gpuE9ELNS1_3repE0EEENS1_30default_config_static_selectorELNS0_4arch9wavefront6targetE1EEEvT1_,@function
_ZN7rocprim17ROCPRIM_400000_NS6detail17trampoline_kernelINS0_14default_configENS1_29reduce_by_key_config_selectorIilN6thrust23THRUST_200600_302600_NS4plusIlEEEEZZNS1_33reduce_by_key_impl_wrapped_configILNS1_25lookback_scan_determinismE0ES3_S9_PiNS6_17constant_iteratorIiNS6_11use_defaultESE_EENS6_10device_ptrIiEENSG_IlEEPmS8_NS6_8equal_toIiEEEE10hipError_tPvRmT2_T3_mT4_T5_T6_T7_T8_P12ihipStream_tbENKUlT_T0_E_clISt17integral_constantIbLb0EES13_EEDaSY_SZ_EUlSY_E_NS1_11comp_targetILNS1_3genE5ELNS1_11target_archE942ELNS1_3gpuE9ELNS1_3repE0EEENS1_30default_config_static_selectorELNS0_4arch9wavefront6targetE1EEEvT1_: ; @_ZN7rocprim17ROCPRIM_400000_NS6detail17trampoline_kernelINS0_14default_configENS1_29reduce_by_key_config_selectorIilN6thrust23THRUST_200600_302600_NS4plusIlEEEEZZNS1_33reduce_by_key_impl_wrapped_configILNS1_25lookback_scan_determinismE0ES3_S9_PiNS6_17constant_iteratorIiNS6_11use_defaultESE_EENS6_10device_ptrIiEENSG_IlEEPmS8_NS6_8equal_toIiEEEE10hipError_tPvRmT2_T3_mT4_T5_T6_T7_T8_P12ihipStream_tbENKUlT_T0_E_clISt17integral_constantIbLb0EES13_EEDaSY_SZ_EUlSY_E_NS1_11comp_targetILNS1_3genE5ELNS1_11target_archE942ELNS1_3gpuE9ELNS1_3repE0EEENS1_30default_config_static_selectorELNS0_4arch9wavefront6targetE1EEEvT1_
; %bb.0:
	.section	.rodata,"a",@progbits
	.p2align	6, 0x0
	.amdhsa_kernel _ZN7rocprim17ROCPRIM_400000_NS6detail17trampoline_kernelINS0_14default_configENS1_29reduce_by_key_config_selectorIilN6thrust23THRUST_200600_302600_NS4plusIlEEEEZZNS1_33reduce_by_key_impl_wrapped_configILNS1_25lookback_scan_determinismE0ES3_S9_PiNS6_17constant_iteratorIiNS6_11use_defaultESE_EENS6_10device_ptrIiEENSG_IlEEPmS8_NS6_8equal_toIiEEEE10hipError_tPvRmT2_T3_mT4_T5_T6_T7_T8_P12ihipStream_tbENKUlT_T0_E_clISt17integral_constantIbLb0EES13_EEDaSY_SZ_EUlSY_E_NS1_11comp_targetILNS1_3genE5ELNS1_11target_archE942ELNS1_3gpuE9ELNS1_3repE0EEENS1_30default_config_static_selectorELNS0_4arch9wavefront6targetE1EEEvT1_
		.amdhsa_group_segment_fixed_size 0
		.amdhsa_private_segment_fixed_size 0
		.amdhsa_kernarg_size 144
		.amdhsa_user_sgpr_count 6
		.amdhsa_user_sgpr_private_segment_buffer 1
		.amdhsa_user_sgpr_dispatch_ptr 0
		.amdhsa_user_sgpr_queue_ptr 0
		.amdhsa_user_sgpr_kernarg_segment_ptr 1
		.amdhsa_user_sgpr_dispatch_id 0
		.amdhsa_user_sgpr_flat_scratch_init 0
		.amdhsa_user_sgpr_kernarg_preload_length 0
		.amdhsa_user_sgpr_kernarg_preload_offset 0
		.amdhsa_user_sgpr_private_segment_size 0
		.amdhsa_uses_dynamic_stack 0
		.amdhsa_system_sgpr_private_segment_wavefront_offset 0
		.amdhsa_system_sgpr_workgroup_id_x 1
		.amdhsa_system_sgpr_workgroup_id_y 0
		.amdhsa_system_sgpr_workgroup_id_z 0
		.amdhsa_system_sgpr_workgroup_info 0
		.amdhsa_system_vgpr_workitem_id 0
		.amdhsa_next_free_vgpr 1
		.amdhsa_next_free_sgpr 0
		.amdhsa_accum_offset 4
		.amdhsa_reserve_vcc 0
		.amdhsa_reserve_flat_scratch 0
		.amdhsa_float_round_mode_32 0
		.amdhsa_float_round_mode_16_64 0
		.amdhsa_float_denorm_mode_32 3
		.amdhsa_float_denorm_mode_16_64 3
		.amdhsa_dx10_clamp 1
		.amdhsa_ieee_mode 1
		.amdhsa_fp16_overflow 0
		.amdhsa_tg_split 0
		.amdhsa_exception_fp_ieee_invalid_op 0
		.amdhsa_exception_fp_denorm_src 0
		.amdhsa_exception_fp_ieee_div_zero 0
		.amdhsa_exception_fp_ieee_overflow 0
		.amdhsa_exception_fp_ieee_underflow 0
		.amdhsa_exception_fp_ieee_inexact 0
		.amdhsa_exception_int_div_zero 0
	.end_amdhsa_kernel
	.section	.text._ZN7rocprim17ROCPRIM_400000_NS6detail17trampoline_kernelINS0_14default_configENS1_29reduce_by_key_config_selectorIilN6thrust23THRUST_200600_302600_NS4plusIlEEEEZZNS1_33reduce_by_key_impl_wrapped_configILNS1_25lookback_scan_determinismE0ES3_S9_PiNS6_17constant_iteratorIiNS6_11use_defaultESE_EENS6_10device_ptrIiEENSG_IlEEPmS8_NS6_8equal_toIiEEEE10hipError_tPvRmT2_T3_mT4_T5_T6_T7_T8_P12ihipStream_tbENKUlT_T0_E_clISt17integral_constantIbLb0EES13_EEDaSY_SZ_EUlSY_E_NS1_11comp_targetILNS1_3genE5ELNS1_11target_archE942ELNS1_3gpuE9ELNS1_3repE0EEENS1_30default_config_static_selectorELNS0_4arch9wavefront6targetE1EEEvT1_,"axG",@progbits,_ZN7rocprim17ROCPRIM_400000_NS6detail17trampoline_kernelINS0_14default_configENS1_29reduce_by_key_config_selectorIilN6thrust23THRUST_200600_302600_NS4plusIlEEEEZZNS1_33reduce_by_key_impl_wrapped_configILNS1_25lookback_scan_determinismE0ES3_S9_PiNS6_17constant_iteratorIiNS6_11use_defaultESE_EENS6_10device_ptrIiEENSG_IlEEPmS8_NS6_8equal_toIiEEEE10hipError_tPvRmT2_T3_mT4_T5_T6_T7_T8_P12ihipStream_tbENKUlT_T0_E_clISt17integral_constantIbLb0EES13_EEDaSY_SZ_EUlSY_E_NS1_11comp_targetILNS1_3genE5ELNS1_11target_archE942ELNS1_3gpuE9ELNS1_3repE0EEENS1_30default_config_static_selectorELNS0_4arch9wavefront6targetE1EEEvT1_,comdat
.Lfunc_end939:
	.size	_ZN7rocprim17ROCPRIM_400000_NS6detail17trampoline_kernelINS0_14default_configENS1_29reduce_by_key_config_selectorIilN6thrust23THRUST_200600_302600_NS4plusIlEEEEZZNS1_33reduce_by_key_impl_wrapped_configILNS1_25lookback_scan_determinismE0ES3_S9_PiNS6_17constant_iteratorIiNS6_11use_defaultESE_EENS6_10device_ptrIiEENSG_IlEEPmS8_NS6_8equal_toIiEEEE10hipError_tPvRmT2_T3_mT4_T5_T6_T7_T8_P12ihipStream_tbENKUlT_T0_E_clISt17integral_constantIbLb0EES13_EEDaSY_SZ_EUlSY_E_NS1_11comp_targetILNS1_3genE5ELNS1_11target_archE942ELNS1_3gpuE9ELNS1_3repE0EEENS1_30default_config_static_selectorELNS0_4arch9wavefront6targetE1EEEvT1_, .Lfunc_end939-_ZN7rocprim17ROCPRIM_400000_NS6detail17trampoline_kernelINS0_14default_configENS1_29reduce_by_key_config_selectorIilN6thrust23THRUST_200600_302600_NS4plusIlEEEEZZNS1_33reduce_by_key_impl_wrapped_configILNS1_25lookback_scan_determinismE0ES3_S9_PiNS6_17constant_iteratorIiNS6_11use_defaultESE_EENS6_10device_ptrIiEENSG_IlEEPmS8_NS6_8equal_toIiEEEE10hipError_tPvRmT2_T3_mT4_T5_T6_T7_T8_P12ihipStream_tbENKUlT_T0_E_clISt17integral_constantIbLb0EES13_EEDaSY_SZ_EUlSY_E_NS1_11comp_targetILNS1_3genE5ELNS1_11target_archE942ELNS1_3gpuE9ELNS1_3repE0EEENS1_30default_config_static_selectorELNS0_4arch9wavefront6targetE1EEEvT1_
                                        ; -- End function
	.section	.AMDGPU.csdata,"",@progbits
; Kernel info:
; codeLenInByte = 0
; NumSgprs: 4
; NumVgprs: 0
; NumAgprs: 0
; TotalNumVgprs: 0
; ScratchSize: 0
; MemoryBound: 0
; FloatMode: 240
; IeeeMode: 1
; LDSByteSize: 0 bytes/workgroup (compile time only)
; SGPRBlocks: 0
; VGPRBlocks: 0
; NumSGPRsForWavesPerEU: 4
; NumVGPRsForWavesPerEU: 1
; AccumOffset: 4
; Occupancy: 8
; WaveLimiterHint : 0
; COMPUTE_PGM_RSRC2:SCRATCH_EN: 0
; COMPUTE_PGM_RSRC2:USER_SGPR: 6
; COMPUTE_PGM_RSRC2:TRAP_HANDLER: 0
; COMPUTE_PGM_RSRC2:TGID_X_EN: 1
; COMPUTE_PGM_RSRC2:TGID_Y_EN: 0
; COMPUTE_PGM_RSRC2:TGID_Z_EN: 0
; COMPUTE_PGM_RSRC2:TIDIG_COMP_CNT: 0
; COMPUTE_PGM_RSRC3_GFX90A:ACCUM_OFFSET: 0
; COMPUTE_PGM_RSRC3_GFX90A:TG_SPLIT: 0
	.section	.text._ZN7rocprim17ROCPRIM_400000_NS6detail17trampoline_kernelINS0_14default_configENS1_29reduce_by_key_config_selectorIilN6thrust23THRUST_200600_302600_NS4plusIlEEEEZZNS1_33reduce_by_key_impl_wrapped_configILNS1_25lookback_scan_determinismE0ES3_S9_PiNS6_17constant_iteratorIiNS6_11use_defaultESE_EENS6_10device_ptrIiEENSG_IlEEPmS8_NS6_8equal_toIiEEEE10hipError_tPvRmT2_T3_mT4_T5_T6_T7_T8_P12ihipStream_tbENKUlT_T0_E_clISt17integral_constantIbLb0EES13_EEDaSY_SZ_EUlSY_E_NS1_11comp_targetILNS1_3genE4ELNS1_11target_archE910ELNS1_3gpuE8ELNS1_3repE0EEENS1_30default_config_static_selectorELNS0_4arch9wavefront6targetE1EEEvT1_,"axG",@progbits,_ZN7rocprim17ROCPRIM_400000_NS6detail17trampoline_kernelINS0_14default_configENS1_29reduce_by_key_config_selectorIilN6thrust23THRUST_200600_302600_NS4plusIlEEEEZZNS1_33reduce_by_key_impl_wrapped_configILNS1_25lookback_scan_determinismE0ES3_S9_PiNS6_17constant_iteratorIiNS6_11use_defaultESE_EENS6_10device_ptrIiEENSG_IlEEPmS8_NS6_8equal_toIiEEEE10hipError_tPvRmT2_T3_mT4_T5_T6_T7_T8_P12ihipStream_tbENKUlT_T0_E_clISt17integral_constantIbLb0EES13_EEDaSY_SZ_EUlSY_E_NS1_11comp_targetILNS1_3genE4ELNS1_11target_archE910ELNS1_3gpuE8ELNS1_3repE0EEENS1_30default_config_static_selectorELNS0_4arch9wavefront6targetE1EEEvT1_,comdat
	.protected	_ZN7rocprim17ROCPRIM_400000_NS6detail17trampoline_kernelINS0_14default_configENS1_29reduce_by_key_config_selectorIilN6thrust23THRUST_200600_302600_NS4plusIlEEEEZZNS1_33reduce_by_key_impl_wrapped_configILNS1_25lookback_scan_determinismE0ES3_S9_PiNS6_17constant_iteratorIiNS6_11use_defaultESE_EENS6_10device_ptrIiEENSG_IlEEPmS8_NS6_8equal_toIiEEEE10hipError_tPvRmT2_T3_mT4_T5_T6_T7_T8_P12ihipStream_tbENKUlT_T0_E_clISt17integral_constantIbLb0EES13_EEDaSY_SZ_EUlSY_E_NS1_11comp_targetILNS1_3genE4ELNS1_11target_archE910ELNS1_3gpuE8ELNS1_3repE0EEENS1_30default_config_static_selectorELNS0_4arch9wavefront6targetE1EEEvT1_ ; -- Begin function _ZN7rocprim17ROCPRIM_400000_NS6detail17trampoline_kernelINS0_14default_configENS1_29reduce_by_key_config_selectorIilN6thrust23THRUST_200600_302600_NS4plusIlEEEEZZNS1_33reduce_by_key_impl_wrapped_configILNS1_25lookback_scan_determinismE0ES3_S9_PiNS6_17constant_iteratorIiNS6_11use_defaultESE_EENS6_10device_ptrIiEENSG_IlEEPmS8_NS6_8equal_toIiEEEE10hipError_tPvRmT2_T3_mT4_T5_T6_T7_T8_P12ihipStream_tbENKUlT_T0_E_clISt17integral_constantIbLb0EES13_EEDaSY_SZ_EUlSY_E_NS1_11comp_targetILNS1_3genE4ELNS1_11target_archE910ELNS1_3gpuE8ELNS1_3repE0EEENS1_30default_config_static_selectorELNS0_4arch9wavefront6targetE1EEEvT1_
	.globl	_ZN7rocprim17ROCPRIM_400000_NS6detail17trampoline_kernelINS0_14default_configENS1_29reduce_by_key_config_selectorIilN6thrust23THRUST_200600_302600_NS4plusIlEEEEZZNS1_33reduce_by_key_impl_wrapped_configILNS1_25lookback_scan_determinismE0ES3_S9_PiNS6_17constant_iteratorIiNS6_11use_defaultESE_EENS6_10device_ptrIiEENSG_IlEEPmS8_NS6_8equal_toIiEEEE10hipError_tPvRmT2_T3_mT4_T5_T6_T7_T8_P12ihipStream_tbENKUlT_T0_E_clISt17integral_constantIbLb0EES13_EEDaSY_SZ_EUlSY_E_NS1_11comp_targetILNS1_3genE4ELNS1_11target_archE910ELNS1_3gpuE8ELNS1_3repE0EEENS1_30default_config_static_selectorELNS0_4arch9wavefront6targetE1EEEvT1_
	.p2align	8
	.type	_ZN7rocprim17ROCPRIM_400000_NS6detail17trampoline_kernelINS0_14default_configENS1_29reduce_by_key_config_selectorIilN6thrust23THRUST_200600_302600_NS4plusIlEEEEZZNS1_33reduce_by_key_impl_wrapped_configILNS1_25lookback_scan_determinismE0ES3_S9_PiNS6_17constant_iteratorIiNS6_11use_defaultESE_EENS6_10device_ptrIiEENSG_IlEEPmS8_NS6_8equal_toIiEEEE10hipError_tPvRmT2_T3_mT4_T5_T6_T7_T8_P12ihipStream_tbENKUlT_T0_E_clISt17integral_constantIbLb0EES13_EEDaSY_SZ_EUlSY_E_NS1_11comp_targetILNS1_3genE4ELNS1_11target_archE910ELNS1_3gpuE8ELNS1_3repE0EEENS1_30default_config_static_selectorELNS0_4arch9wavefront6targetE1EEEvT1_,@function
_ZN7rocprim17ROCPRIM_400000_NS6detail17trampoline_kernelINS0_14default_configENS1_29reduce_by_key_config_selectorIilN6thrust23THRUST_200600_302600_NS4plusIlEEEEZZNS1_33reduce_by_key_impl_wrapped_configILNS1_25lookback_scan_determinismE0ES3_S9_PiNS6_17constant_iteratorIiNS6_11use_defaultESE_EENS6_10device_ptrIiEENSG_IlEEPmS8_NS6_8equal_toIiEEEE10hipError_tPvRmT2_T3_mT4_T5_T6_T7_T8_P12ihipStream_tbENKUlT_T0_E_clISt17integral_constantIbLb0EES13_EEDaSY_SZ_EUlSY_E_NS1_11comp_targetILNS1_3genE4ELNS1_11target_archE910ELNS1_3gpuE8ELNS1_3repE0EEENS1_30default_config_static_selectorELNS0_4arch9wavefront6targetE1EEEvT1_: ; @_ZN7rocprim17ROCPRIM_400000_NS6detail17trampoline_kernelINS0_14default_configENS1_29reduce_by_key_config_selectorIilN6thrust23THRUST_200600_302600_NS4plusIlEEEEZZNS1_33reduce_by_key_impl_wrapped_configILNS1_25lookback_scan_determinismE0ES3_S9_PiNS6_17constant_iteratorIiNS6_11use_defaultESE_EENS6_10device_ptrIiEENSG_IlEEPmS8_NS6_8equal_toIiEEEE10hipError_tPvRmT2_T3_mT4_T5_T6_T7_T8_P12ihipStream_tbENKUlT_T0_E_clISt17integral_constantIbLb0EES13_EEDaSY_SZ_EUlSY_E_NS1_11comp_targetILNS1_3genE4ELNS1_11target_archE910ELNS1_3gpuE8ELNS1_3repE0EEENS1_30default_config_static_selectorELNS0_4arch9wavefront6targetE1EEEvT1_
; %bb.0:
	s_load_dwordx16 s[36:51], s[4:5], 0x40
	s_load_dwordx4 s[0:3], s[4:5], 0x0
	s_load_dword s8, s[4:5], 0x18
	s_load_dwordx4 s[52:55], s[4:5], 0x20
	s_load_dwordx2 s[34:35], s[4:5], 0x30
	s_waitcnt lgkmcnt(0)
	s_mul_i32 s7, s44, s43
	s_mul_hi_u32 s9, s44, s42
	s_add_i32 s7, s9, s7
	s_mul_i32 s9, s45, s42
	s_add_i32 s7, s7, s9
	s_lshl_b64 s[2:3], s[2:3], 2
	s_add_u32 s2, s0, s2
	s_addc_u32 s3, s1, s3
	s_mul_i32 s0, s6, 0xf00
	s_mov_b32 s1, 0
	s_lshl_b64 s[0:1], s[0:1], 2
	s_add_u32 s58, s2, s0
	s_mul_i32 s9, s44, s42
	s_addc_u32 s59, s3, s1
	s_add_u32 s0, s9, s6
	s_addc_u32 s1, s7, 0
	s_add_u32 s12, s46, -1
	s_addc_u32 s13, s47, -1
	s_cmp_eq_u64 s[0:1], s[12:13]
	s_cselect_b64 s[44:45], -1, 0
	s_cmp_lg_u64 s[0:1], s[12:13]
	s_mov_b64 s[10:11], -1
	s_cselect_b64 s[2:3], -1, 0
	s_mul_i32 s33, s12, 0xfffff100
	s_and_b64 vcc, exec, s[44:45]
	v_mad_u32_u24 v48, v0, 15, 1
	v_mad_u32_u24 v50, v0, 15, 2
	;; [unrolled: 1-line block ×14, first 2 shown]
	s_cbranch_vccnz .LBB940_2
; %bb.1:
	v_lshlrev_b32_e32 v1, 2, v0
	v_mov_b32_e32 v2, s59
	v_add_co_u32_e32 v4, vcc, s58, v1
	v_addc_co_u32_e32 v5, vcc, 0, v2, vcc
	v_add_co_u32_e32 v2, vcc, 0x1000, v4
	v_addc_co_u32_e32 v3, vcc, 0, v5, vcc
	global_load_dword v6, v1, s[58:59]
	global_load_dword v7, v1, s[58:59] offset:1024
	global_load_dword v8, v1, s[58:59] offset:2048
	global_load_dword v9, v1, s[58:59] offset:3072
	global_load_dword v10, v[2:3], off
	global_load_dword v11, v[2:3], off offset:1024
	global_load_dword v12, v[2:3], off offset:2048
	;; [unrolled: 1-line block ×3, first 2 shown]
	v_add_co_u32_e32 v2, vcc, 0x2000, v4
	v_addc_co_u32_e32 v3, vcc, 0, v5, vcc
	v_add_co_u32_e32 v4, vcc, 0x3000, v4
	v_addc_co_u32_e32 v5, vcc, 0, v5, vcc
	global_load_dword v14, v[2:3], off
	global_load_dword v15, v[2:3], off offset:1024
	global_load_dword v16, v[2:3], off offset:2048
	;; [unrolled: 1-line block ×3, first 2 shown]
	global_load_dword v31, v[4:5], off
	global_load_dword v34, v[4:5], off offset:1024
	global_load_dword v35, v[4:5], off offset:2048
	v_mad_u32_u24 v36, v0, 56, v1
	s_ashr_i32 s9, s8, 31
	s_movk_i32 s7, 0xffcc
	v_mul_u32_u24_e32 v2, 15, v0
	v_mad_u32_u24 v30, v0, 15, 1
	v_mad_u32_u24 v29, v0, 15, 2
	;; [unrolled: 1-line block ×14, first 2 shown]
	v_pk_mov_b32 v[32:33], s[8:9], s[8:9] op_sel:[0,1]
	v_mad_i32_i24 v37, v0, s7, v36
	s_waitcnt vmcnt(13)
	ds_write2st64_b32 v1, v6, v7 offset1:4
	s_waitcnt vmcnt(11)
	ds_write2st64_b32 v1, v8, v9 offset0:8 offset1:12
	s_waitcnt vmcnt(9)
	ds_write2st64_b32 v1, v10, v11 offset0:16 offset1:20
	;; [unrolled: 2-line block ×6, first 2 shown]
	s_waitcnt vmcnt(0)
	ds_write_b32 v1, v35 offset:14336
	s_waitcnt lgkmcnt(0)
	s_barrier
	ds_read2_b32 v[16:17], v36 offset1:1
	ds_read2_b32 v[14:15], v36 offset0:2 offset1:3
	ds_read2_b32 v[12:13], v36 offset0:4 offset1:5
	ds_read2_b32 v[10:11], v36 offset0:6 offset1:7
	ds_read2_b32 v[8:9], v36 offset0:8 offset1:9
	ds_read2_b32 v[6:7], v36 offset0:10 offset1:11
	ds_read2_b32 v[4:5], v36 offset0:12 offset1:13
	ds_read_b32 v1, v36 offset:56
	s_waitcnt lgkmcnt(7)
	v_mov_b32_e32 v80, v16
	s_waitcnt lgkmcnt(6)
	v_mov_b32_e32 v81, v14
	;; [unrolled: 2-line block ×7, first 2 shown]
	s_waitcnt lgkmcnt(0)
	s_barrier
	ds_write2st64_b64 v37, v[32:33], v[32:33] offset1:4
	ds_write2st64_b64 v37, v[32:33], v[32:33] offset0:8 offset1:12
	ds_write2st64_b64 v37, v[32:33], v[32:33] offset0:16 offset1:20
	;; [unrolled: 1-line block ×6, first 2 shown]
	ds_write_b64 v37, v[32:33] offset:28672
	s_waitcnt lgkmcnt(0)
	s_barrier
	s_load_dwordx2 s[56:57], s[4:5], 0x80
	s_add_i32 s33, s33, s48
	s_cbranch_execz .LBB940_3
	s_branch .LBB940_34
.LBB940_2:
                                        ; implicit-def: $vgpr1
                                        ; implicit-def: $vgpr4
                                        ; implicit-def: $vgpr6
                                        ; implicit-def: $vgpr8
                                        ; implicit-def: $vgpr10
                                        ; implicit-def: $vgpr12
                                        ; implicit-def: $vgpr14
                                        ; implicit-def: $vgpr16
                                        ; implicit-def: $vgpr3
                                        ; implicit-def: $vgpr18
                                        ; implicit-def: $vgpr19
                                        ; implicit-def: $vgpr20
                                        ; implicit-def: $vgpr21
                                        ; implicit-def: $vgpr22
                                        ; implicit-def: $vgpr23
                                        ; implicit-def: $vgpr24
                                        ; implicit-def: $vgpr25
                                        ; implicit-def: $vgpr26
                                        ; implicit-def: $vgpr27
                                        ; implicit-def: $vgpr28
                                        ; implicit-def: $vgpr29
                                        ; implicit-def: $vgpr30
                                        ; implicit-def: $vgpr2
                                        ; implicit-def: $vgpr74_vgpr75
                                        ; implicit-def: $vgpr76_vgpr77
                                        ; implicit-def: $vgpr80_vgpr81
                                        ; implicit-def: $vgpr78_vgpr79
	s_load_dwordx2 s[56:57], s[4:5], 0x80
	s_andn2_b64 vcc, exec, s[10:11]
	s_add_i32 s33, s33, s48
	s_cbranch_vccnz .LBB940_34
.LBB940_3:
	v_cmp_gt_u32_e32 vcc, s33, v0
                                        ; implicit-def: $vgpr1
	s_and_saveexec_b64 s[4:5], vcc
	s_cbranch_execz .LBB940_5
; %bb.4:
	v_lshlrev_b32_e32 v1, 2, v0
	global_load_dword v1, v1, s[58:59]
.LBB940_5:
	s_or_b64 exec, exec, s[4:5]
	v_or_b32_e32 v2, 0x100, v0
	v_cmp_gt_u32_e32 vcc, s33, v2
                                        ; implicit-def: $vgpr2
	s_and_saveexec_b64 s[4:5], vcc
	s_cbranch_execz .LBB940_7
; %bb.6:
	v_lshlrev_b32_e32 v2, 2, v0
	global_load_dword v2, v2, s[58:59] offset:1024
.LBB940_7:
	s_or_b64 exec, exec, s[4:5]
	v_or_b32_e32 v3, 0x200, v0
	v_cmp_gt_u32_e32 vcc, s33, v3
                                        ; implicit-def: $vgpr3
	s_and_saveexec_b64 s[4:5], vcc
	s_cbranch_execz .LBB940_9
; %bb.8:
	v_lshlrev_b32_e32 v3, 2, v0
	global_load_dword v3, v3, s[58:59] offset:2048
.LBB940_9:
	s_or_b64 exec, exec, s[4:5]
	v_or_b32_e32 v4, 0x300, v0
	v_cmp_gt_u32_e32 vcc, s33, v4
                                        ; implicit-def: $vgpr4
	s_and_saveexec_b64 s[4:5], vcc
	s_cbranch_execz .LBB940_11
; %bb.10:
	v_lshlrev_b32_e32 v4, 2, v0
	global_load_dword v4, v4, s[58:59] offset:3072
.LBB940_11:
	s_or_b64 exec, exec, s[4:5]
	v_or_b32_e32 v6, 0x400, v0
	v_cmp_gt_u32_e32 vcc, s33, v6
                                        ; implicit-def: $vgpr5
	s_and_saveexec_b64 s[4:5], vcc
	s_cbranch_execz .LBB940_13
; %bb.12:
	v_lshlrev_b32_e32 v5, 2, v6
	global_load_dword v5, v5, s[58:59]
.LBB940_13:
	s_or_b64 exec, exec, s[4:5]
	v_or_b32_e32 v7, 0x500, v0
	v_cmp_gt_u32_e32 vcc, s33, v7
                                        ; implicit-def: $vgpr6
	s_and_saveexec_b64 s[4:5], vcc
	s_cbranch_execz .LBB940_15
; %bb.14:
	v_lshlrev_b32_e32 v6, 2, v7
	global_load_dword v6, v6, s[58:59]
.LBB940_15:
	s_or_b64 exec, exec, s[4:5]
	v_or_b32_e32 v8, 0x600, v0
	v_cmp_gt_u32_e32 vcc, s33, v8
                                        ; implicit-def: $vgpr7
	s_and_saveexec_b64 s[4:5], vcc
	s_cbranch_execz .LBB940_17
; %bb.16:
	v_lshlrev_b32_e32 v7, 2, v8
	global_load_dword v7, v7, s[58:59]
.LBB940_17:
	s_or_b64 exec, exec, s[4:5]
	v_or_b32_e32 v9, 0x700, v0
	v_cmp_gt_u32_e32 vcc, s33, v9
                                        ; implicit-def: $vgpr8
	s_and_saveexec_b64 s[4:5], vcc
	s_cbranch_execz .LBB940_19
; %bb.18:
	v_lshlrev_b32_e32 v8, 2, v9
	global_load_dword v8, v8, s[58:59]
.LBB940_19:
	s_or_b64 exec, exec, s[4:5]
	v_or_b32_e32 v10, 0x800, v0
	v_cmp_gt_u32_e32 vcc, s33, v10
                                        ; implicit-def: $vgpr9
	s_and_saveexec_b64 s[4:5], vcc
	s_cbranch_execz .LBB940_21
; %bb.20:
	v_lshlrev_b32_e32 v9, 2, v10
	global_load_dword v9, v9, s[58:59]
.LBB940_21:
	s_or_b64 exec, exec, s[4:5]
	v_or_b32_e32 v11, 0x900, v0
	v_cmp_gt_u32_e32 vcc, s33, v11
                                        ; implicit-def: $vgpr10
	s_and_saveexec_b64 s[4:5], vcc
	s_cbranch_execz .LBB940_23
; %bb.22:
	v_lshlrev_b32_e32 v10, 2, v11
	global_load_dword v10, v10, s[58:59]
.LBB940_23:
	s_or_b64 exec, exec, s[4:5]
	v_or_b32_e32 v12, 0xa00, v0
	v_cmp_gt_u32_e32 vcc, s33, v12
                                        ; implicit-def: $vgpr11
	s_and_saveexec_b64 s[4:5], vcc
	s_cbranch_execz .LBB940_25
; %bb.24:
	v_lshlrev_b32_e32 v11, 2, v12
	global_load_dword v11, v11, s[58:59]
.LBB940_25:
	s_or_b64 exec, exec, s[4:5]
	v_or_b32_e32 v13, 0xb00, v0
	v_cmp_gt_u32_e32 vcc, s33, v13
                                        ; implicit-def: $vgpr12
	s_and_saveexec_b64 s[4:5], vcc
	s_cbranch_execz .LBB940_27
; %bb.26:
	v_lshlrev_b32_e32 v12, 2, v13
	global_load_dword v12, v12, s[58:59]
.LBB940_27:
	s_or_b64 exec, exec, s[4:5]
	v_or_b32_e32 v14, 0xc00, v0
	v_cmp_gt_u32_e32 vcc, s33, v14
                                        ; implicit-def: $vgpr13
	s_and_saveexec_b64 s[4:5], vcc
	s_cbranch_execz .LBB940_29
; %bb.28:
	v_lshlrev_b32_e32 v13, 2, v14
	global_load_dword v13, v13, s[58:59]
.LBB940_29:
	s_or_b64 exec, exec, s[4:5]
	v_or_b32_e32 v15, 0xd00, v0
	v_cmp_gt_u32_e32 vcc, s33, v15
                                        ; implicit-def: $vgpr14
	s_and_saveexec_b64 s[4:5], vcc
	s_cbranch_execz .LBB940_31
; %bb.30:
	v_lshlrev_b32_e32 v14, 2, v15
	global_load_dword v14, v14, s[58:59]
.LBB940_31:
	s_or_b64 exec, exec, s[4:5]
	v_or_b32_e32 v16, 0xe00, v0
	v_cmp_gt_u32_e32 vcc, s33, v16
                                        ; implicit-def: $vgpr15
	s_and_saveexec_b64 s[4:5], vcc
	s_cbranch_execz .LBB940_33
; %bb.32:
	v_lshlrev_b32_e32 v15, 2, v16
	global_load_dword v15, v15, s[58:59]
.LBB940_33:
	s_or_b64 exec, exec, s[4:5]
	v_lshlrev_b32_e32 v16, 2, v0
	s_waitcnt vmcnt(0)
	ds_write2st64_b32 v16, v1, v2 offset1:4
	ds_write2st64_b32 v16, v3, v4 offset0:8 offset1:12
	ds_write2st64_b32 v16, v5, v6 offset0:16 offset1:20
	ds_write2st64_b32 v16, v7, v8 offset0:24 offset1:28
	ds_write2st64_b32 v16, v9, v10 offset0:32 offset1:36
	ds_write2st64_b32 v16, v11, v12 offset0:40 offset1:44
	ds_write2st64_b32 v16, v13, v14 offset0:48 offset1:52
	ds_write_b32 v16, v15 offset:14336
	v_mad_u32_u24 v3, v0, 56, v16
	s_waitcnt lgkmcnt(0)
	s_barrier
	ds_read2_b32 v[16:17], v3 offset1:1
	ds_read2_b32 v[14:15], v3 offset0:2 offset1:3
	ds_read2_b32 v[12:13], v3 offset0:4 offset1:5
	;; [unrolled: 1-line block ×6, first 2 shown]
	ds_read_b32 v1, v3 offset:56
	s_ashr_i32 s9, s8, 31
	s_movk_i32 s4, 0xffcc
	v_mad_i32_i24 v3, v0, s4, v3
	v_pk_mov_b32 v[18:19], s[8:9], s[8:9] op_sel:[0,1]
	v_mul_u32_u24_e32 v2, 15, v0
	s_waitcnt lgkmcnt(0)
	s_barrier
	ds_write2st64_b64 v3, v[18:19], v[18:19] offset1:4
	ds_write2st64_b64 v3, v[18:19], v[18:19] offset0:8 offset1:12
	ds_write2st64_b64 v3, v[18:19], v[18:19] offset0:16 offset1:20
	;; [unrolled: 1-line block ×6, first 2 shown]
	ds_write_b64 v3, v[18:19] offset:28672
	v_mov_b32_e32 v80, v16
	v_mov_b32_e32 v81, v14
	;; [unrolled: 1-line block ×21, first 2 shown]
	s_waitcnt lgkmcnt(0)
	s_barrier
.LBB940_34:
	v_lshlrev_b32_e32 v2, 3, v2
	s_waitcnt lgkmcnt(0)
	v_lshlrev_b32_e32 v30, 3, v30
	v_lshlrev_b32_e32 v29, 3, v29
	v_lshlrev_b32_e32 v28, 3, v28
	ds_read_b64 v[42:43], v2
	ds_read_b64 v[40:41], v30
	ds_read_b64 v[38:39], v29
	ds_read_b64 v[34:35], v28
	v_lshlrev_b32_e32 v2, 3, v27
	v_lshlrev_b32_e32 v26, 3, v26
	v_lshlrev_b32_e32 v25, 3, v25
	v_lshlrev_b32_e32 v24, 3, v24
	ds_read_b64 v[36:37], v2
	ds_read_b64 v[32:33], v26
	ds_read_b64 v[30:31], v25
	ds_read_b64 v[26:27], v24
	v_lshlrev_b32_e32 v2, 3, v23
	;; [unrolled: 8-line block ×3, first 2 shown]
	v_lshlrev_b32_e32 v44, 3, v18
	v_lshlrev_b32_e32 v45, 3, v3
	ds_read_b64 v[18:19], v2
	ds_read_b64 v[2:3], v44
	;; [unrolled: 1-line block ×3, first 2 shown]
	s_cmp_eq_u64 s[0:1], 0
	s_cselect_b64 s[46:47], -1, 0
	s_cmp_lg_u64 s[0:1], 0
	s_mov_b64 s[60:61], 0
	s_cselect_b64 s[4:5], -1, 0
	s_and_b64 vcc, exec, s[2:3]
	s_waitcnt lgkmcnt(0)
	s_barrier
	s_cbranch_vccz .LBB940_40
; %bb.35:
	s_and_b64 vcc, exec, s[4:5]
	s_cbranch_vccz .LBB940_41
; %bb.36:
	s_add_u32 s2, s58, -4
	s_addc_u32 s3, s59, -1
	s_load_dword s2, s[2:3], 0x0
	v_lshlrev_b32_e32 v49, 2, v0
	v_cmp_ne_u32_e32 vcc, 0, v0
	ds_write_b32 v49, v1
	s_waitcnt lgkmcnt(0)
	v_mov_b32_e32 v47, s2
	s_barrier
	s_and_saveexec_b64 s[2:3], vcc
	s_cbranch_execz .LBB940_38
; %bb.37:
	v_add_u32_e32 v47, -4, v49
	ds_read_b32 v47, v47
.LBB940_38:
	s_or_b64 exec, exec, s[2:3]
	v_cmp_ne_u32_e32 vcc, v80, v17
	v_cndmask_b32_e64 v95, 0, 1, vcc
	v_cmp_ne_u32_e32 vcc, v81, v17
	v_cndmask_b32_e64 v94, 0, 1, vcc
	;; [unrolled: 2-line block ×14, first 2 shown]
	s_waitcnt lgkmcnt(0)
	v_cmp_ne_u32_e64 s[2:3], v47, v16
	s_mov_b64 s[60:61], -1
.LBB940_39:
                                        ; implicit-def: $sgpr7
	s_branch .LBB940_53
.LBB940_40:
                                        ; implicit-def: $sgpr2_sgpr3
                                        ; implicit-def: $vgpr82
                                        ; implicit-def: $vgpr83
                                        ; implicit-def: $vgpr84
                                        ; implicit-def: $vgpr85
                                        ; implicit-def: $vgpr86
                                        ; implicit-def: $vgpr87
                                        ; implicit-def: $vgpr88
                                        ; implicit-def: $vgpr89
                                        ; implicit-def: $vgpr90
                                        ; implicit-def: $vgpr91
                                        ; implicit-def: $vgpr92
                                        ; implicit-def: $vgpr93
                                        ; implicit-def: $vgpr94
                                        ; implicit-def: $vgpr95
                                        ; implicit-def: $sgpr7
	s_cbranch_execnz .LBB940_45
	s_branch .LBB940_53
.LBB940_41:
                                        ; implicit-def: $sgpr2_sgpr3
                                        ; implicit-def: $vgpr82
                                        ; implicit-def: $vgpr83
                                        ; implicit-def: $vgpr84
                                        ; implicit-def: $vgpr85
                                        ; implicit-def: $vgpr86
                                        ; implicit-def: $vgpr87
                                        ; implicit-def: $vgpr88
                                        ; implicit-def: $vgpr89
                                        ; implicit-def: $vgpr90
                                        ; implicit-def: $vgpr91
                                        ; implicit-def: $vgpr92
                                        ; implicit-def: $vgpr93
                                        ; implicit-def: $vgpr94
                                        ; implicit-def: $vgpr95
	s_cbranch_execz .LBB940_39
; %bb.42:
	v_cmp_ne_u32_e32 vcc, v17, v80
	v_cndmask_b32_e64 v95, 0, 1, vcc
	v_cmp_ne_u32_e32 vcc, v17, v81
	v_cndmask_b32_e64 v94, 0, 1, vcc
	;; [unrolled: 2-line block ×13, first 2 shown]
	v_cmp_ne_u32_e32 vcc, v5, v1
	v_lshlrev_b32_e32 v47, 2, v0
	v_cndmask_b32_e64 v82, 0, 1, vcc
	v_cmp_ne_u32_e32 vcc, 0, v0
	ds_write_b32 v47, v1
	s_waitcnt lgkmcnt(0)
	s_barrier
	s_waitcnt lgkmcnt(0)
                                        ; implicit-def: $sgpr2_sgpr3
	s_and_saveexec_b64 s[8:9], vcc
	s_xor_b64 s[8:9], exec, s[8:9]
	s_cbranch_execz .LBB940_44
; %bb.43:
	v_add_u32_e32 v47, -4, v47
	ds_read_b32 v47, v47
	s_or_b64 s[60:61], s[60:61], exec
	s_waitcnt lgkmcnt(0)
	v_cmp_ne_u32_e32 vcc, v47, v16
	s_and_b64 s[2:3], vcc, exec
.LBB940_44:
	s_or_b64 exec, exec, s[8:9]
	s_mov_b32 s7, 1
	s_branch .LBB940_53
.LBB940_45:
	s_mul_hi_u32 s2, s0, 0xfffff100
	s_mulk_i32 s1, 0xf100
	s_sub_i32 s2, s2, s0
	s_add_i32 s2, s2, s1
	s_mulk_i32 s0, 0xf100
	s_add_u32 s48, s0, s48
	s_addc_u32 s49, s2, s49
	s_and_b64 vcc, exec, s[4:5]
	v_cmp_ne_u32_e64 s[28:29], v5, v1
	v_cmp_ne_u32_e64 s[26:27], v4, v5
	;; [unrolled: 1-line block ×15, first 2 shown]
	s_cbranch_vccz .LBB940_50
; %bb.46:
	v_mov_b32_e32 v47, 0
	s_add_u32 s58, s58, -4
	v_cmp_gt_u64_e32 vcc, s[48:49], v[46:47]
	v_mov_b32_e32 v73, v47
	s_addc_u32 s59, s59, -1
	s_and_b64 s[28:29], vcc, s[28:29]
	v_cmp_gt_u64_e32 vcc, s[48:49], v[72:73]
	v_mov_b32_e32 v71, v47
	s_and_b64 s[26:27], vcc, s[26:27]
	v_cmp_gt_u64_e32 vcc, s[48:49], v[70:71]
	v_mov_b32_e32 v69, v47
	;; [unrolled: 3-line block ×8, first 2 shown]
	s_load_dword s7, s[58:59], 0x0
	s_and_b64 s[12:13], vcc, s[12:13]
	v_cmp_gt_u64_e32 vcc, s[48:49], v[56:57]
	v_mov_b32_e32 v55, v47
	s_and_b64 s[10:11], vcc, s[10:11]
	v_cmp_gt_u64_e32 vcc, s[48:49], v[54:55]
	v_mov_b32_e32 v53, v47
	;; [unrolled: 3-line block ×4, first 2 shown]
	s_and_b64 s[4:5], vcc, s[4:5]
	v_cmp_gt_u64_e32 vcc, s[48:49], v[48:49]
	v_lshlrev_b32_e32 v75, 2, v0
	v_mul_u32_u24_e32 v74, 15, v0
	s_and_b64 s[2:3], vcc, s[2:3]
	s_waitcnt lgkmcnt(0)
	v_mov_b32_e32 v49, s7
	ds_write_b32 v75, v1
	s_waitcnt lgkmcnt(0)
	s_barrier
	s_and_saveexec_b64 s[58:59], s[0:1]
	s_cbranch_execz .LBB940_48
; %bb.47:
	v_add_u32_e32 v49, -4, v75
	ds_read_b32 v49, v49
.LBB940_48:
	s_or_b64 exec, exec, s[58:59]
	v_mov_b32_e32 v75, v47
	v_cmp_gt_u64_e32 vcc, s[48:49], v[74:75]
	s_waitcnt lgkmcnt(0)
	v_cmp_ne_u32_e64 s[0:1], v49, v16
	v_cndmask_b32_e64 v82, 0, 1, s[28:29]
	v_cndmask_b32_e64 v83, 0, 1, s[26:27]
	;; [unrolled: 1-line block ×14, first 2 shown]
	s_and_b64 s[2:3], vcc, s[0:1]
	s_mov_b64 s[60:61], -1
.LBB940_49:
                                        ; implicit-def: $sgpr7
	v_mov_b32_e32 v96, s7
	s_and_saveexec_b64 s[0:1], s[60:61]
	s_cbranch_execnz .LBB940_54
	s_branch .LBB940_55
.LBB940_50:
                                        ; implicit-def: $sgpr2_sgpr3
                                        ; implicit-def: $vgpr82
                                        ; implicit-def: $vgpr83
                                        ; implicit-def: $vgpr84
                                        ; implicit-def: $vgpr85
                                        ; implicit-def: $vgpr86
                                        ; implicit-def: $vgpr87
                                        ; implicit-def: $vgpr88
                                        ; implicit-def: $vgpr89
                                        ; implicit-def: $vgpr90
                                        ; implicit-def: $vgpr91
                                        ; implicit-def: $vgpr92
                                        ; implicit-def: $vgpr93
                                        ; implicit-def: $vgpr94
                                        ; implicit-def: $vgpr95
	s_cbranch_execz .LBB940_49
; %bb.51:
	v_mov_b32_e32 v47, 0
	v_cmp_gt_u64_e32 vcc, s[48:49], v[46:47]
	v_cmp_ne_u32_e64 s[0:1], v5, v1
	s_and_b64 s[0:1], vcc, s[0:1]
	v_mov_b32_e32 v73, v47
	v_cndmask_b32_e64 v82, 0, 1, s[0:1]
	v_cmp_gt_u64_e32 vcc, s[48:49], v[72:73]
	v_cmp_ne_u32_e64 s[0:1], v4, v5
	s_and_b64 s[0:1], vcc, s[0:1]
	v_mov_b32_e32 v71, v47
	v_cndmask_b32_e64 v83, 0, 1, s[0:1]
	v_cmp_gt_u64_e32 vcc, s[48:49], v[70:71]
	v_cmp_ne_u32_e64 s[0:1], v7, v4
	s_and_b64 s[0:1], vcc, s[0:1]
	v_mov_b32_e32 v69, v47
	v_cndmask_b32_e64 v84, 0, 1, s[0:1]
	v_cmp_gt_u64_e32 vcc, s[48:49], v[68:69]
	v_cmp_ne_u32_e64 s[0:1], v6, v7
	s_and_b64 s[0:1], vcc, s[0:1]
	v_mov_b32_e32 v67, v47
	v_cndmask_b32_e64 v85, 0, 1, s[0:1]
	v_cmp_gt_u64_e32 vcc, s[48:49], v[66:67]
	v_cmp_ne_u32_e64 s[0:1], v9, v6
	s_and_b64 s[0:1], vcc, s[0:1]
	v_mov_b32_e32 v65, v47
	v_cndmask_b32_e64 v86, 0, 1, s[0:1]
	v_cmp_gt_u64_e32 vcc, s[48:49], v[64:65]
	v_cmp_ne_u32_e64 s[0:1], v8, v9
	s_and_b64 s[0:1], vcc, s[0:1]
	v_mov_b32_e32 v63, v47
	v_cndmask_b32_e64 v87, 0, 1, s[0:1]
	v_cmp_gt_u64_e32 vcc, s[48:49], v[62:63]
	v_cmp_ne_u32_e64 s[0:1], v11, v8
	s_and_b64 s[0:1], vcc, s[0:1]
	v_mov_b32_e32 v61, v47
	v_cndmask_b32_e64 v88, 0, 1, s[0:1]
	v_cmp_gt_u64_e32 vcc, s[48:49], v[60:61]
	v_cmp_ne_u32_e64 s[0:1], v10, v11
	s_and_b64 s[0:1], vcc, s[0:1]
	v_mov_b32_e32 v59, v47
	v_cndmask_b32_e64 v89, 0, 1, s[0:1]
	v_cmp_gt_u64_e32 vcc, s[48:49], v[58:59]
	v_cmp_ne_u32_e64 s[0:1], v13, v10
	s_and_b64 s[0:1], vcc, s[0:1]
	v_mov_b32_e32 v57, v47
	v_cndmask_b32_e64 v90, 0, 1, s[0:1]
	v_cmp_gt_u64_e32 vcc, s[48:49], v[56:57]
	v_cmp_ne_u32_e64 s[0:1], v12, v13
	s_and_b64 s[0:1], vcc, s[0:1]
	v_mov_b32_e32 v55, v47
	v_cndmask_b32_e64 v91, 0, 1, s[0:1]
	v_cmp_gt_u64_e32 vcc, s[48:49], v[54:55]
	v_cmp_ne_u32_e64 s[0:1], v15, v12
	s_and_b64 s[0:1], vcc, s[0:1]
	v_mov_b32_e32 v53, v47
	v_cndmask_b32_e64 v92, 0, 1, s[0:1]
	v_cmp_gt_u64_e32 vcc, s[48:49], v[52:53]
	v_cmp_ne_u32_e64 s[0:1], v14, v15
	s_and_b64 s[0:1], vcc, s[0:1]
	v_mov_b32_e32 v51, v47
	v_cndmask_b32_e64 v93, 0, 1, s[0:1]
	v_cmp_gt_u64_e32 vcc, s[48:49], v[50:51]
	v_cmp_ne_u32_e64 s[0:1], v17, v14
	s_and_b64 s[0:1], vcc, s[0:1]
	v_mov_b32_e32 v49, v47
	v_cndmask_b32_e64 v94, 0, 1, s[0:1]
	v_cmp_gt_u64_e32 vcc, s[48:49], v[48:49]
	v_cmp_ne_u32_e64 s[0:1], v16, v17
	s_and_b64 s[0:1], vcc, s[0:1]
	v_lshlrev_b32_e32 v74, 2, v0
	s_mov_b32 s7, 1
	v_cndmask_b32_e64 v95, 0, 1, s[0:1]
	v_cmp_ne_u32_e32 vcc, 0, v0
	ds_write_b32 v74, v1
	s_waitcnt lgkmcnt(0)
	s_barrier
	s_waitcnt lgkmcnt(0)
                                        ; implicit-def: $sgpr2_sgpr3
	s_and_saveexec_b64 s[4:5], vcc
	s_cbranch_execz .LBB940_202
; %bb.52:
	v_add_u32_e32 v46, -4, v74
	ds_read_b32 v48, v46
	v_mul_u32_u24_e32 v46, 15, v0
	v_cmp_gt_u64_e32 vcc, s[48:49], v[46:47]
	s_or_b64 s[60:61], s[60:61], exec
	s_waitcnt lgkmcnt(0)
	v_cmp_ne_u32_e64 s[0:1], v48, v16
	s_and_b64 s[0:1], vcc, s[0:1]
	s_and_b64 s[2:3], s[0:1], exec
	s_or_b64 exec, exec, s[4:5]
.LBB940_53:
	v_mov_b32_e32 v96, s7
	s_and_saveexec_b64 s[0:1], s[60:61]
.LBB940_54:
	v_cndmask_b32_e64 v96, 0, 1, s[2:3]
.LBB940_55:
	s_or_b64 exec, exec, s[0:1]
	s_cmp_eq_u64 s[42:43], 0
	v_add3_u32 v46, v95, v96, v94
	s_cselect_b64 s[30:31], -1, 0
	s_cmp_lg_u32 s6, 0
	v_cmp_eq_u32_e64 s[24:25], 0, v95
	v_cmp_eq_u32_e64 s[22:23], 0, v94
	;; [unrolled: 1-line block ×3, first 2 shown]
	v_add3_u32 v99, v46, v93, v92
	v_cmp_eq_u32_e64 s[18:19], 0, v92
	v_cmp_eq_u32_e64 s[16:17], 0, v91
	;; [unrolled: 1-line block ×10, first 2 shown]
	v_cmp_eq_u32_e32 vcc, 0, v82
	v_mbcnt_lo_u32_b32 v98, -1, 0
	s_cbranch_scc0 .LBB940_122
; %bb.56:
	v_cndmask_b32_e64 v47, 0, v42, s[24:25]
	v_cndmask_b32_e64 v46, 0, v43, s[24:25]
	v_add_co_u32_e64 v47, s[26:27], v47, v40
	v_addc_co_u32_e64 v46, s[26:27], v46, v41, s[26:27]
	v_cndmask_b32_e64 v47, 0, v47, s[22:23]
	v_cndmask_b32_e64 v46, 0, v46, s[22:23]
	v_add_co_u32_e64 v47, s[26:27], v47, v38
	v_addc_co_u32_e64 v46, s[26:27], v46, v39, s[26:27]
	;; [unrolled: 4-line block ×11, first 2 shown]
	v_cndmask_b32_e64 v47, 0, v47, s[2:3]
	v_add3_u32 v48, v99, v91, v90
	v_cndmask_b32_e64 v46, 0, v46, s[2:3]
	v_add_co_u32_e64 v47, s[26:27], v47, v18
	v_add3_u32 v48, v48, v89, v88
	v_addc_co_u32_e64 v46, s[26:27], v46, v19, s[26:27]
	v_cndmask_b32_e64 v47, 0, v47, s[0:1]
	v_add3_u32 v48, v48, v87, v86
	v_cndmask_b32_e64 v46, 0, v46, s[0:1]
	v_add_co_u32_e64 v47, s[26:27], v47, v2
	v_add3_u32 v48, v48, v85, v84
	v_addc_co_u32_e64 v46, s[26:27], v46, v3, s[26:27]
	v_cndmask_b32_e32 v47, 0, v47, vcc
	v_add3_u32 v50, v48, v83, v82
	v_cndmask_b32_e32 v46, 0, v46, vcc
	v_add_co_u32_e32 v48, vcc, v47, v44
	v_mbcnt_hi_u32_b32 v51, -1, v98
	v_addc_co_u32_e32 v49, vcc, v46, v45, vcc
	v_and_b32_e32 v46, 15, v51
	v_mov_b32_dpp v52, v50 row_shr:1 row_mask:0xf bank_mask:0xf
	v_mov_b32_dpp v47, v48 row_shr:1 row_mask:0xf bank_mask:0xf
	;; [unrolled: 1-line block ×3, first 2 shown]
	v_cmp_ne_u32_e32 vcc, 0, v46
	s_and_saveexec_b64 s[26:27], vcc
; %bb.57:
	v_cmp_eq_u32_e32 vcc, 0, v50
	v_cndmask_b32_e32 v47, 0, v47, vcc
	v_add_u32_e32 v52, v52, v50
	v_cndmask_b32_e32 v50, 0, v53, vcc
	v_add_co_u32_e32 v48, vcc, v47, v48
	v_addc_co_u32_e32 v49, vcc, v50, v49, vcc
	v_mov_b32_e32 v50, v52
; %bb.58:
	s_or_b64 exec, exec, s[26:27]
	s_nop 0
	v_mov_b32_dpp v52, v50 row_shr:2 row_mask:0xf bank_mask:0xf
	v_mov_b32_dpp v47, v48 row_shr:2 row_mask:0xf bank_mask:0xf
	v_mov_b32_dpp v53, v49 row_shr:2 row_mask:0xf bank_mask:0xf
	v_cmp_lt_u32_e32 vcc, 1, v46
	s_and_saveexec_b64 s[26:27], vcc
; %bb.59:
	v_cmp_eq_u32_e32 vcc, 0, v50
	v_cndmask_b32_e32 v47, 0, v47, vcc
	v_add_u32_e32 v52, v52, v50
	v_cndmask_b32_e32 v50, 0, v53, vcc
	v_add_co_u32_e32 v48, vcc, v47, v48
	v_addc_co_u32_e32 v49, vcc, v50, v49, vcc
	v_mov_b32_e32 v50, v52
; %bb.60:
	s_or_b64 exec, exec, s[26:27]
	s_nop 0
	v_mov_b32_dpp v52, v50 row_shr:4 row_mask:0xf bank_mask:0xf
	v_mov_b32_dpp v47, v48 row_shr:4 row_mask:0xf bank_mask:0xf
	v_mov_b32_dpp v53, v49 row_shr:4 row_mask:0xf bank_mask:0xf
	v_cmp_lt_u32_e32 vcc, 3, v46
	s_and_saveexec_b64 s[26:27], vcc
; %bb.61:
	v_cmp_eq_u32_e32 vcc, 0, v50
	v_cndmask_b32_e32 v47, 0, v47, vcc
	v_add_u32_e32 v52, v52, v50
	v_cndmask_b32_e32 v50, 0, v53, vcc
	v_add_co_u32_e32 v48, vcc, v47, v48
	v_addc_co_u32_e32 v49, vcc, v50, v49, vcc
	v_mov_b32_e32 v50, v52
; %bb.62:
	s_or_b64 exec, exec, s[26:27]
	s_nop 0
	v_mov_b32_dpp v52, v50 row_shr:8 row_mask:0xf bank_mask:0xf
	v_mov_b32_dpp v47, v48 row_shr:8 row_mask:0xf bank_mask:0xf
	v_mov_b32_dpp v53, v49 row_shr:8 row_mask:0xf bank_mask:0xf
	v_cmp_lt_u32_e32 vcc, 7, v46
	s_and_saveexec_b64 s[26:27], vcc
; %bb.63:
	v_cmp_eq_u32_e32 vcc, 0, v50
	v_cndmask_b32_e32 v47, 0, v47, vcc
	v_add_u32_e32 v46, v52, v50
	v_cndmask_b32_e32 v50, 0, v53, vcc
	v_add_co_u32_e32 v48, vcc, v47, v48
	v_addc_co_u32_e32 v49, vcc, v50, v49, vcc
	v_mov_b32_e32 v50, v46
; %bb.64:
	s_or_b64 exec, exec, s[26:27]
	v_and_b32_e32 v53, 16, v51
	v_mov_b32_dpp v47, v50 row_bcast:15 row_mask:0xf bank_mask:0xf
	v_mov_b32_dpp v46, v48 row_bcast:15 row_mask:0xf bank_mask:0xf
	;; [unrolled: 1-line block ×3, first 2 shown]
	v_cmp_ne_u32_e32 vcc, 0, v53
	s_and_saveexec_b64 s[26:27], vcc
; %bb.65:
	v_cmp_eq_u32_e32 vcc, 0, v50
	v_cndmask_b32_e32 v46, 0, v46, vcc
	v_add_u32_e32 v47, v47, v50
	v_cndmask_b32_e32 v50, 0, v52, vcc
	v_add_co_u32_e32 v48, vcc, v46, v48
	v_addc_co_u32_e32 v49, vcc, v50, v49, vcc
	v_mov_b32_e32 v50, v47
; %bb.66:
	s_or_b64 exec, exec, s[26:27]
	s_nop 0
	v_mov_b32_dpp v47, v50 row_bcast:31 row_mask:0xf bank_mask:0xf
	v_mov_b32_dpp v46, v48 row_bcast:31 row_mask:0xf bank_mask:0xf
	;; [unrolled: 1-line block ×3, first 2 shown]
	v_cmp_lt_u32_e32 vcc, 31, v51
	s_and_saveexec_b64 s[26:27], vcc
; %bb.67:
	v_cmp_eq_u32_e32 vcc, 0, v50
	v_cndmask_b32_e32 v46, 0, v46, vcc
	v_add_u32_e32 v47, v47, v50
	v_cndmask_b32_e32 v50, 0, v52, vcc
	v_add_co_u32_e32 v48, vcc, v46, v48
	v_addc_co_u32_e32 v49, vcc, v50, v49, vcc
	v_mov_b32_e32 v50, v47
; %bb.68:
	s_or_b64 exec, exec, s[26:27]
	v_lshrrev_b32_e32 v46, 6, v0
	v_or_b32_e32 v47, 63, v0
	v_cmp_eq_u32_e32 vcc, v47, v0
	v_lshlrev_b32_e32 v52, 4, v46
	s_and_saveexec_b64 s[26:27], vcc
	s_cbranch_execz .LBB940_70
; %bb.69:
	ds_write_b32 v52, v50 offset:2080
	ds_write_b64 v52, v[48:49] offset:2088
.LBB940_70:
	s_or_b64 exec, exec, s[26:27]
	v_cmp_gt_u32_e32 vcc, 4, v0
	s_waitcnt lgkmcnt(0)
	s_barrier
	s_and_saveexec_b64 s[26:27], vcc
	s_cbranch_execz .LBB940_76
; %bb.71:
	v_lshlrev_b32_e32 v53, 4, v0
	ds_read_b32 v54, v53 offset:2080
	ds_read_b64 v[46:47], v53 offset:2088
	v_and_b32_e32 v55, 3, v51
	v_cmp_ne_u32_e32 vcc, 0, v55
	s_waitcnt lgkmcnt(1)
	v_mov_b32_dpp v57, v54 row_shr:1 row_mask:0xf bank_mask:0xf
	s_waitcnt lgkmcnt(0)
	v_mov_b32_dpp v56, v46 row_shr:1 row_mask:0xf bank_mask:0xf
	v_mov_b32_dpp v58, v47 row_shr:1 row_mask:0xf bank_mask:0xf
	s_and_saveexec_b64 s[42:43], vcc
; %bb.72:
	v_cmp_eq_u32_e32 vcc, 0, v54
	v_cndmask_b32_e32 v56, 0, v56, vcc
	v_add_u32_e32 v57, v57, v54
	v_cndmask_b32_e32 v54, 0, v58, vcc
	v_add_co_u32_e32 v46, vcc, v56, v46
	v_addc_co_u32_e32 v47, vcc, v54, v47, vcc
	v_mov_b32_e32 v54, v57
; %bb.73:
	s_or_b64 exec, exec, s[42:43]
	s_nop 0
	v_mov_b32_dpp v57, v54 row_shr:2 row_mask:0xf bank_mask:0xf
	v_mov_b32_dpp v56, v46 row_shr:2 row_mask:0xf bank_mask:0xf
	;; [unrolled: 1-line block ×3, first 2 shown]
	v_cmp_lt_u32_e32 vcc, 1, v55
	s_and_saveexec_b64 s[42:43], vcc
; %bb.74:
	v_cmp_eq_u32_e32 vcc, 0, v54
	v_cndmask_b32_e32 v56, 0, v56, vcc
	v_add_u32_e32 v55, v57, v54
	v_cndmask_b32_e32 v54, 0, v58, vcc
	v_add_co_u32_e32 v46, vcc, v56, v46
	v_addc_co_u32_e32 v47, vcc, v54, v47, vcc
	v_mov_b32_e32 v54, v55
; %bb.75:
	s_or_b64 exec, exec, s[42:43]
	ds_write_b32 v53, v54 offset:2080
	ds_write_b64 v53, v[46:47] offset:2088
.LBB940_76:
	s_or_b64 exec, exec, s[26:27]
	v_cmp_gt_u32_e32 vcc, 64, v0
	v_cmp_lt_u32_e64 s[26:27], 63, v0
	v_pk_mov_b32 v[46:47], 0, 0
	v_mov_b32_e32 v58, 0
	s_waitcnt lgkmcnt(0)
	s_barrier
	s_and_saveexec_b64 s[42:43], s[26:27]
	s_cbranch_execz .LBB940_78
; %bb.77:
	ds_read_b32 v58, v52 offset:2064
	ds_read_b64 v[46:47], v52 offset:2072
	v_cmp_eq_u32_e64 s[26:27], 0, v50
	s_waitcnt lgkmcnt(1)
	v_add_u32_e32 v52, v58, v50
	s_waitcnt lgkmcnt(0)
	v_cndmask_b32_e64 v53, 0, v46, s[26:27]
	v_cndmask_b32_e64 v50, 0, v47, s[26:27]
	v_add_co_u32_e64 v48, s[26:27], v53, v48
	v_addc_co_u32_e64 v49, s[26:27], v50, v49, s[26:27]
	v_mov_b32_e32 v50, v52
.LBB940_78:
	s_or_b64 exec, exec, s[42:43]
	v_add_u32_e32 v52, -1, v51
	v_and_b32_e32 v53, 64, v51
	v_cmp_lt_i32_e64 s[26:27], v52, v53
	v_cndmask_b32_e64 v52, v52, v51, s[26:27]
	v_lshlrev_b32_e32 v52, 2, v52
	ds_bpermute_b32 v59, v52, v50
	ds_bpermute_b32 v60, v52, v48
	;; [unrolled: 1-line block ×3, first 2 shown]
	v_cmp_eq_u32_e64 s[26:27], 0, v51
	s_and_saveexec_b64 s[42:43], vcc
	s_cbranch_execz .LBB940_121
; %bb.79:
	v_mov_b32_e32 v53, 0
	ds_read_b32 v62, v53 offset:2128
	ds_read_b64 v[48:49], v53 offset:2136
	s_and_saveexec_b64 s[48:49], s[26:27]
	s_cbranch_execz .LBB940_81
; %bb.80:
	s_add_i32 s58, s6, 64
	s_mov_b32 s59, 0
	s_lshl_b64 s[60:61], s[58:59], 4
	s_add_u32 s60, s36, s60
	s_addc_u32 s61, s37, s61
	v_mov_b32_e32 v50, s58
	v_mov_b32_e32 v52, 1
	s_waitcnt lgkmcnt(1)
	global_store_dword v53, v62, s[60:61]
	s_waitcnt lgkmcnt(0)
	global_store_dwordx2 v53, v[48:49], s[60:61] offset:8
	s_waitcnt vmcnt(0)
	buffer_wbinvl1_vol
	global_store_byte v50, v52, s[40:41]
.LBB940_81:
	s_or_b64 exec, exec, s[48:49]
	v_xad_u32 v50, v51, -1, s6
	v_add_u32_e32 v52, 64, v50
	global_load_ubyte v63, v52, s[40:41] glc
	s_waitcnt vmcnt(0)
	v_cmp_eq_u16_e32 vcc, 0, v63
	s_and_saveexec_b64 s[48:49], vcc
	s_cbranch_execz .LBB940_85
; %bb.82:
	v_mov_b32_e32 v55, s41
	v_add_co_u32_e32 v54, vcc, s40, v52
	v_addc_co_u32_e32 v55, vcc, 0, v55, vcc
	s_mov_b64 s[58:59], 0
.LBB940_83:                             ; =>This Inner Loop Header: Depth=1
	global_load_ubyte v63, v[54:55], off glc
	s_waitcnt vmcnt(0)
	v_cmp_ne_u16_e32 vcc, 0, v63
	s_or_b64 s[58:59], vcc, s[58:59]
	s_andn2_b64 exec, exec, s[58:59]
	s_cbranch_execnz .LBB940_83
; %bb.84:
	s_or_b64 exec, exec, s[58:59]
.LBB940_85:
	s_or_b64 exec, exec, s[48:49]
	v_mov_b32_e32 v54, s39
	v_mov_b32_e32 v55, s37
	v_cmp_eq_u16_e32 vcc, 1, v63
	v_cndmask_b32_e32 v54, v54, v55, vcc
	v_mov_b32_e32 v55, s38
	v_mov_b32_e32 v56, s36
	v_cndmask_b32_e32 v55, v55, v56, vcc
	v_lshlrev_b64 v[52:53], 4, v[52:53]
	v_add_co_u32_e32 v52, vcc, v55, v52
	v_addc_co_u32_e32 v53, vcc, v54, v53, vcc
	s_waitcnt lgkmcnt(0)
	buffer_wbinvl1_vol
	global_load_dword v78, v[52:53], off
	global_load_dwordx2 v[56:57], v[52:53], off offset:8
	v_cmp_eq_u16_e32 vcc, 2, v63
	v_lshlrev_b64 v[52:53], v51, -1
	v_and_b32_e32 v64, 63, v51
	v_and_b32_e32 v54, vcc_hi, v53
	v_and_b32_e32 v68, vcc_lo, v52
	v_cmp_ne_u32_e32 vcc, 63, v64
	v_addc_co_u32_e32 v55, vcc, 0, v51, vcc
	v_lshlrev_b32_e32 v65, 2, v55
	v_or_b32_e32 v54, 0x80000000, v54
	v_ffbl_b32_e32 v54, v54
	v_add_u32_e32 v54, 32, v54
	v_ffbl_b32_e32 v68, v68
	v_min_u32_e32 v54, v68, v54
	v_cmp_lt_u32_e32 vcc, v64, v54
	s_waitcnt vmcnt(1)
	ds_bpermute_b32 v66, v65, v78
	s_waitcnt vmcnt(0)
	ds_bpermute_b32 v55, v65, v56
	ds_bpermute_b32 v67, v65, v57
	s_and_saveexec_b64 s[48:49], vcc
	s_cbranch_execz .LBB940_87
; %bb.86:
	v_cmp_eq_u32_e32 vcc, 0, v78
	s_waitcnt lgkmcnt(1)
	v_cndmask_b32_e32 v55, 0, v55, vcc
	v_add_u32_e32 v66, v66, v78
	s_waitcnt lgkmcnt(0)
	v_cndmask_b32_e32 v67, 0, v67, vcc
	v_add_co_u32_e32 v56, vcc, v55, v56
	v_addc_co_u32_e32 v57, vcc, v67, v57, vcc
	v_mov_b32_e32 v78, v66
.LBB940_87:
	s_or_b64 exec, exec, s[48:49]
	v_cmp_gt_u32_e32 vcc, 62, v64
	s_waitcnt lgkmcnt(1)
	v_cndmask_b32_e64 v55, 0, 1, vcc
	v_lshlrev_b32_e32 v55, 1, v55
	v_add_lshl_u32 v66, v55, v51, 2
	ds_bpermute_b32 v68, v66, v78
	ds_bpermute_b32 v55, v66, v56
	ds_bpermute_b32 v69, v66, v57
	s_waitcnt lgkmcnt(3)
	v_add_u32_e32 v67, 2, v64
	v_cmp_le_u32_e32 vcc, v67, v54
	s_and_saveexec_b64 s[48:49], vcc
	s_cbranch_execz .LBB940_89
; %bb.88:
	v_cmp_eq_u32_e32 vcc, 0, v78
	s_waitcnt lgkmcnt(1)
	v_cndmask_b32_e32 v55, 0, v55, vcc
	v_add_u32_e32 v68, v68, v78
	s_waitcnt lgkmcnt(0)
	v_cndmask_b32_e32 v69, 0, v69, vcc
	v_add_co_u32_e32 v56, vcc, v55, v56
	v_addc_co_u32_e32 v57, vcc, v69, v57, vcc
	v_mov_b32_e32 v78, v68
.LBB940_89:
	s_or_b64 exec, exec, s[48:49]
	v_cmp_gt_u32_e32 vcc, 60, v64
	s_waitcnt lgkmcnt(1)
	v_cndmask_b32_e64 v55, 0, 1, vcc
	v_lshlrev_b32_e32 v55, 2, v55
	v_add_lshl_u32 v68, v55, v51, 2
	ds_bpermute_b32 v70, v68, v78
	ds_bpermute_b32 v55, v68, v56
	ds_bpermute_b32 v71, v68, v57
	s_waitcnt lgkmcnt(3)
	v_add_u32_e32 v69, 4, v64
	v_cmp_le_u32_e32 vcc, v69, v54
	;; [unrolled: 25-line block ×4, first 2 shown]
	s_and_saveexec_b64 s[48:49], vcc
	s_cbranch_execz .LBB940_95
; %bb.94:
	v_cmp_eq_u32_e32 vcc, 0, v78
	s_waitcnt lgkmcnt(1)
	v_cndmask_b32_e32 v55, 0, v55, vcc
	v_add_u32_e32 v74, v74, v78
	s_waitcnt lgkmcnt(0)
	v_cndmask_b32_e32 v75, 0, v75, vcc
	v_add_co_u32_e32 v56, vcc, v55, v56
	v_addc_co_u32_e32 v57, vcc, v75, v57, vcc
	v_mov_b32_e32 v78, v74
.LBB940_95:
	s_or_b64 exec, exec, s[48:49]
	v_cmp_gt_u32_e32 vcc, 32, v64
	s_waitcnt lgkmcnt(1)
	v_cndmask_b32_e64 v55, 0, 1, vcc
	v_lshlrev_b32_e32 v55, 5, v55
	v_add_lshl_u32 v74, v55, v51, 2
	ds_bpermute_b32 v55, v74, v78
	ds_bpermute_b32 v51, v74, v56
	s_waitcnt lgkmcnt(2)
	ds_bpermute_b32 v75, v74, v57
	v_add_u32_e32 v76, 32, v64
	v_cmp_le_u32_e32 vcc, v76, v54
	s_and_saveexec_b64 s[48:49], vcc
	s_cbranch_execz .LBB940_97
; %bb.96:
	v_cmp_eq_u32_e32 vcc, 0, v78
	s_waitcnt lgkmcnt(1)
	v_cndmask_b32_e32 v51, 0, v51, vcc
	v_add_u32_e32 v54, v55, v78
	s_waitcnt lgkmcnt(0)
	v_cndmask_b32_e32 v55, 0, v75, vcc
	v_add_co_u32_e32 v56, vcc, v51, v56
	v_addc_co_u32_e32 v57, vcc, v55, v57, vcc
	v_mov_b32_e32 v78, v54
.LBB940_97:
	s_or_b64 exec, exec, s[48:49]
	s_waitcnt lgkmcnt(1)
	v_mov_b32_e32 v51, 0
	v_mov_b32_e32 v77, 2
	s_branch .LBB940_99
.LBB940_98:                             ;   in Loop: Header=BB940_99 Depth=1
	s_or_b64 exec, exec, s[48:49]
	v_cmp_eq_u32_e32 vcc, 0, v75
	v_cndmask_b32_e32 v56, 0, v56, vcc
	v_cndmask_b32_e32 v57, 0, v57, vcc
	v_add_co_u32_e32 v56, vcc, v56, v54
	v_subrev_u32_e32 v50, 64, v50
	v_add_u32_e32 v78, v79, v75
	v_addc_co_u32_e32 v57, vcc, v57, v55, vcc
.LBB940_99:                             ; =>This Loop Header: Depth=1
                                        ;     Child Loop BB940_102 Depth 2
	v_cmp_ne_u16_sdwa s[48:49], v63, v77 src0_sel:BYTE_0 src1_sel:DWORD
	v_pk_mov_b32 v[54:55], v[56:57], v[56:57] op_sel:[0,1]
	v_cndmask_b32_e64 v56, 0, 1, s[48:49]
	;;#ASMSTART
	;;#ASMEND
	v_cmp_ne_u32_e32 vcc, 0, v56
	s_cmp_lg_u64 vcc, exec
	s_waitcnt lgkmcnt(0)
	v_mov_b32_e32 v75, v78
	s_cbranch_scc1 .LBB940_116
; %bb.100:                              ;   in Loop: Header=BB940_99 Depth=1
	global_load_ubyte v63, v50, s[40:41] glc
	s_waitcnt vmcnt(0)
	v_cmp_eq_u16_e32 vcc, 0, v63
	s_and_saveexec_b64 s[48:49], vcc
	s_cbranch_execz .LBB940_104
; %bb.101:                              ;   in Loop: Header=BB940_99 Depth=1
	v_mov_b32_e32 v57, s41
	v_add_co_u32_e32 v56, vcc, s40, v50
	v_addc_co_u32_e32 v57, vcc, 0, v57, vcc
	s_mov_b64 s[58:59], 0
.LBB940_102:                            ;   Parent Loop BB940_99 Depth=1
                                        ; =>  This Inner Loop Header: Depth=2
	global_load_ubyte v63, v[56:57], off glc
	s_waitcnt vmcnt(0)
	v_cmp_ne_u16_e32 vcc, 0, v63
	s_or_b64 s[58:59], vcc, s[58:59]
	s_andn2_b64 exec, exec, s[58:59]
	s_cbranch_execnz .LBB940_102
; %bb.103:                              ;   in Loop: Header=BB940_99 Depth=1
	s_or_b64 exec, exec, s[58:59]
.LBB940_104:                            ;   in Loop: Header=BB940_99 Depth=1
	s_or_b64 exec, exec, s[48:49]
	v_mov_b32_e32 v56, s39
	v_mov_b32_e32 v57, s37
	v_cmp_eq_u16_e32 vcc, 1, v63
	v_cndmask_b32_e32 v78, v56, v57, vcc
	v_mov_b32_e32 v56, s38
	v_mov_b32_e32 v57, s36
	v_cndmask_b32_e32 v79, v56, v57, vcc
	v_lshlrev_b64 v[56:57], 4, v[50:51]
	v_add_co_u32_e32 v56, vcc, v79, v56
	v_addc_co_u32_e32 v57, vcc, v78, v57, vcc
	buffer_wbinvl1_vol
	global_load_dword v79, v[56:57], off
	s_nop 0
	global_load_dwordx2 v[56:57], v[56:57], off offset:8
	v_cmp_eq_u16_e32 vcc, 2, v63
	v_and_b32_e32 v78, vcc_hi, v53
	v_or_b32_e32 v78, 0x80000000, v78
	v_and_b32_e32 v100, vcc_lo, v52
	v_ffbl_b32_e32 v78, v78
	v_add_u32_e32 v78, 32, v78
	v_ffbl_b32_e32 v100, v100
	v_min_u32_e32 v78, v100, v78
	v_cmp_lt_u32_e32 vcc, v64, v78
	s_waitcnt vmcnt(1)
	ds_bpermute_b32 v81, v65, v79
	s_waitcnt vmcnt(0)
	ds_bpermute_b32 v80, v65, v56
	ds_bpermute_b32 v97, v65, v57
	s_and_saveexec_b64 s[48:49], vcc
	s_cbranch_execz .LBB940_106
; %bb.105:                              ;   in Loop: Header=BB940_99 Depth=1
	v_cmp_eq_u32_e32 vcc, 0, v79
	s_waitcnt lgkmcnt(1)
	v_cndmask_b32_e32 v80, 0, v80, vcc
	v_add_u32_e32 v81, v81, v79
	s_waitcnt lgkmcnt(0)
	v_cndmask_b32_e32 v79, 0, v97, vcc
	v_add_co_u32_e32 v56, vcc, v80, v56
	v_addc_co_u32_e32 v57, vcc, v79, v57, vcc
	v_mov_b32_e32 v79, v81
.LBB940_106:                            ;   in Loop: Header=BB940_99 Depth=1
	s_or_b64 exec, exec, s[48:49]
	s_waitcnt lgkmcnt(2)
	ds_bpermute_b32 v81, v66, v79
	s_waitcnt lgkmcnt(2)
	ds_bpermute_b32 v80, v66, v56
	s_waitcnt lgkmcnt(2)
	ds_bpermute_b32 v97, v66, v57
	v_cmp_le_u32_e32 vcc, v67, v78
	s_and_saveexec_b64 s[48:49], vcc
	s_cbranch_execz .LBB940_108
; %bb.107:                              ;   in Loop: Header=BB940_99 Depth=1
	v_cmp_eq_u32_e32 vcc, 0, v79
	s_waitcnt lgkmcnt(1)
	v_cndmask_b32_e32 v80, 0, v80, vcc
	v_add_u32_e32 v81, v81, v79
	s_waitcnt lgkmcnt(0)
	v_cndmask_b32_e32 v79, 0, v97, vcc
	v_add_co_u32_e32 v56, vcc, v80, v56
	v_addc_co_u32_e32 v57, vcc, v79, v57, vcc
	v_mov_b32_e32 v79, v81
.LBB940_108:                            ;   in Loop: Header=BB940_99 Depth=1
	s_or_b64 exec, exec, s[48:49]
	s_waitcnt lgkmcnt(2)
	ds_bpermute_b32 v81, v68, v79
	s_waitcnt lgkmcnt(2)
	ds_bpermute_b32 v80, v68, v56
	s_waitcnt lgkmcnt(2)
	ds_bpermute_b32 v97, v68, v57
	v_cmp_le_u32_e32 vcc, v69, v78
	s_and_saveexec_b64 s[48:49], vcc
	s_cbranch_execz .LBB940_110
; %bb.109:                              ;   in Loop: Header=BB940_99 Depth=1
	v_cmp_eq_u32_e32 vcc, 0, v79
	s_waitcnt lgkmcnt(1)
	v_cndmask_b32_e32 v80, 0, v80, vcc
	v_add_u32_e32 v81, v81, v79
	s_waitcnt lgkmcnt(0)
	v_cndmask_b32_e32 v79, 0, v97, vcc
	v_add_co_u32_e32 v56, vcc, v80, v56
	v_addc_co_u32_e32 v57, vcc, v79, v57, vcc
	v_mov_b32_e32 v79, v81
.LBB940_110:                            ;   in Loop: Header=BB940_99 Depth=1
	s_or_b64 exec, exec, s[48:49]
	s_waitcnt lgkmcnt(2)
	ds_bpermute_b32 v81, v70, v79
	s_waitcnt lgkmcnt(2)
	ds_bpermute_b32 v80, v70, v56
	s_waitcnt lgkmcnt(2)
	ds_bpermute_b32 v97, v70, v57
	v_cmp_le_u32_e32 vcc, v71, v78
	s_and_saveexec_b64 s[48:49], vcc
	s_cbranch_execz .LBB940_112
; %bb.111:                              ;   in Loop: Header=BB940_99 Depth=1
	v_cmp_eq_u32_e32 vcc, 0, v79
	s_waitcnt lgkmcnt(1)
	v_cndmask_b32_e32 v80, 0, v80, vcc
	v_add_u32_e32 v81, v81, v79
	s_waitcnt lgkmcnt(0)
	v_cndmask_b32_e32 v79, 0, v97, vcc
	v_add_co_u32_e32 v56, vcc, v80, v56
	v_addc_co_u32_e32 v57, vcc, v79, v57, vcc
	v_mov_b32_e32 v79, v81
.LBB940_112:                            ;   in Loop: Header=BB940_99 Depth=1
	s_or_b64 exec, exec, s[48:49]
	s_waitcnt lgkmcnt(2)
	ds_bpermute_b32 v81, v72, v79
	s_waitcnt lgkmcnt(2)
	ds_bpermute_b32 v80, v72, v56
	s_waitcnt lgkmcnt(2)
	ds_bpermute_b32 v97, v72, v57
	v_cmp_le_u32_e32 vcc, v73, v78
	s_and_saveexec_b64 s[48:49], vcc
	s_cbranch_execz .LBB940_114
; %bb.113:                              ;   in Loop: Header=BB940_99 Depth=1
	v_cmp_eq_u32_e32 vcc, 0, v79
	s_waitcnt lgkmcnt(1)
	v_cndmask_b32_e32 v80, 0, v80, vcc
	v_add_u32_e32 v81, v81, v79
	s_waitcnt lgkmcnt(0)
	v_cndmask_b32_e32 v79, 0, v97, vcc
	v_add_co_u32_e32 v56, vcc, v80, v56
	v_addc_co_u32_e32 v57, vcc, v79, v57, vcc
	v_mov_b32_e32 v79, v81
.LBB940_114:                            ;   in Loop: Header=BB940_99 Depth=1
	s_or_b64 exec, exec, s[48:49]
	s_waitcnt lgkmcnt(2)
	ds_bpermute_b32 v81, v74, v79
	s_waitcnt lgkmcnt(2)
	ds_bpermute_b32 v80, v74, v56
	s_waitcnt lgkmcnt(2)
	ds_bpermute_b32 v97, v74, v57
	v_cmp_le_u32_e32 vcc, v76, v78
	s_and_saveexec_b64 s[48:49], vcc
	s_cbranch_execz .LBB940_98
; %bb.115:                              ;   in Loop: Header=BB940_99 Depth=1
	v_cmp_eq_u32_e32 vcc, 0, v79
	s_waitcnt lgkmcnt(1)
	v_cndmask_b32_e32 v80, 0, v80, vcc
	v_add_u32_e32 v78, v81, v79
	s_waitcnt lgkmcnt(0)
	v_cndmask_b32_e32 v79, 0, v97, vcc
	v_add_co_u32_e32 v56, vcc, v80, v56
	v_addc_co_u32_e32 v57, vcc, v79, v57, vcc
	v_mov_b32_e32 v79, v78
	s_branch .LBB940_98
.LBB940_116:                            ;   in Loop: Header=BB940_99 Depth=1
                                        ; implicit-def: $vgpr56_vgpr57
                                        ; implicit-def: $vgpr78
                                        ; implicit-def: $vgpr63
	s_cbranch_execz .LBB940_99
; %bb.117:
	s_and_saveexec_b64 s[36:37], s[26:27]
	s_cbranch_execz .LBB940_119
; %bb.118:
	s_mov_b32 s7, 0
	v_cmp_eq_u32_e32 vcc, 0, v62
	s_add_i32 s6, s6, 64
	v_cndmask_b32_e32 v50, 0, v54, vcc
	s_lshl_b64 s[48:49], s[6:7], 4
	v_cndmask_b32_e32 v51, 0, v55, vcc
	v_add_co_u32_e32 v50, vcc, v50, v48
	s_add_u32 s48, s38, s48
	v_add_u32_e32 v52, v75, v62
	v_addc_co_u32_e32 v51, vcc, v51, v49, vcc
	s_addc_u32 s49, s39, s49
	v_mov_b32_e32 v53, 0
	global_store_dword v53, v52, s[48:49]
	global_store_dwordx2 v53, v[50:51], s[48:49] offset:8
	v_mov_b32_e32 v50, s6
	v_mov_b32_e32 v51, 2
	s_waitcnt vmcnt(0) lgkmcnt(0)
	buffer_wbinvl1_vol
	global_store_byte v50, v51, s[40:41]
	ds_write_b32 v53, v62 offset:2048
	ds_write_b64 v53, v[48:49] offset:2056
	ds_write_b32 v53, v75 offset:2064
	ds_write_b64 v53, v[54:55] offset:2072
.LBB940_119:
	s_or_b64 exec, exec, s[36:37]
	v_cmp_eq_u32_e32 vcc, 0, v0
	s_and_b64 exec, exec, vcc
	s_cbranch_execz .LBB940_121
; %bb.120:
	v_mov_b32_e32 v48, 0
	ds_write_b32 v48, v75 offset:2128
	ds_write_b64 v48, v[54:55] offset:2136
.LBB940_121:
	s_or_b64 exec, exec, s[42:43]
	v_mov_b32_e32 v51, 0
	s_waitcnt lgkmcnt(0)
	s_barrier
	ds_read_b32 v50, v51 offset:2128
	ds_read_b64 v[48:49], v51 offset:2136
	v_cndmask_b32_e64 v52, v59, v58, s[26:27]
	v_cmp_eq_u32_e32 vcc, 0, v52
	v_cndmask_b32_e64 v46, v60, v46, s[26:27]
	v_cndmask_b32_e64 v47, v61, v47, s[26:27]
	s_waitcnt lgkmcnt(0)
	v_cndmask_b32_e32 v54, 0, v48, vcc
	v_cndmask_b32_e32 v53, 0, v49, vcc
	v_add_co_u32_e32 v46, vcc, v54, v46
	v_addc_co_u32_e32 v47, vcc, v53, v47, vcc
	v_cmp_eq_u32_e32 vcc, 0, v0
	v_cndmask_b32_e64 v52, v52, 0, vcc
	v_cndmask_b32_e32 v77, v47, v49, vcc
	v_cndmask_b32_e32 v76, v46, v48, vcc
	v_cmp_eq_u32_e32 vcc, 0, v96
	v_cndmask_b32_e32 v47, 0, v76, vcc
	v_add_u32_e32 v97, v50, v52
	v_cndmask_b32_e32 v46, 0, v77, vcc
	v_add_co_u32_e32 v52, vcc, v47, v42
	v_addc_co_u32_e32 v53, vcc, v46, v43, vcc
	v_cndmask_b32_e64 v47, 0, v52, s[24:25]
	v_cndmask_b32_e64 v46, 0, v53, s[24:25]
	v_add_co_u32_e32 v54, vcc, v47, v40
	v_addc_co_u32_e32 v55, vcc, v46, v41, vcc
	v_cndmask_b32_e64 v47, 0, v54, s[22:23]
	v_cndmask_b32_e64 v46, 0, v55, s[22:23]
	;; [unrolled: 4-line block ×11, first 2 shown]
	v_add_co_u32_e32 v74, vcc, v47, v20
	v_addc_co_u32_e32 v75, vcc, v46, v21, vcc
	s_barrier
	ds_read_b32 v46, v51 offset:2048
	ds_read_b64 v[48:49], v51 offset:2056
	ds_read_b32 v50, v51 offset:2064
	ds_read_b64 v[100:101], v51 offset:2072
	v_cndmask_b32_e64 v78, 0, v74, s[2:3]
	v_cndmask_b32_e64 v47, 0, v75, s[2:3]
	v_add_co_u32_e32 v78, vcc, v78, v18
	v_addc_co_u32_e32 v79, vcc, v47, v19, vcc
	s_waitcnt lgkmcnt(3)
	v_cmp_eq_u32_e32 vcc, 0, v46
	s_waitcnt lgkmcnt(0)
	v_cndmask_b32_e32 v51, 0, v100, vcc
	v_cndmask_b32_e32 v47, 0, v101, vcc
	v_add_co_u32_e32 v48, vcc, v51, v48
	v_cndmask_b32_e64 v81, 0, v79, s[0:1]
	v_cndmask_b32_e64 v80, 0, v78, s[0:1]
	v_addc_co_u32_e32 v49, vcc, v47, v49, vcc
	s_branch .LBB940_150
.LBB940_122:
                                        ; implicit-def: $vgpr46
                                        ; implicit-def: $vgpr48_vgpr49
                                        ; implicit-def: $vgpr50
                                        ; implicit-def: $vgpr76_vgpr77
                                        ; implicit-def: $vgpr52_vgpr53
                                        ; implicit-def: $vgpr54_vgpr55
                                        ; implicit-def: $vgpr56_vgpr57
                                        ; implicit-def: $vgpr58_vgpr59
                                        ; implicit-def: $vgpr60_vgpr61
                                        ; implicit-def: $vgpr62_vgpr63
                                        ; implicit-def: $vgpr64_vgpr65
                                        ; implicit-def: $vgpr66_vgpr67
                                        ; implicit-def: $vgpr68_vgpr69
                                        ; implicit-def: $vgpr70_vgpr71
                                        ; implicit-def: $vgpr72_vgpr73
                                        ; implicit-def: $vgpr74_vgpr75
                                        ; implicit-def: $vgpr78_vgpr79
                                        ; implicit-def: $vgpr80_vgpr81
                                        ; implicit-def: $vgpr97
	s_cbranch_execz .LBB940_150
; %bb.123:
	s_and_b64 s[0:1], s[30:31], exec
	s_cselect_b32 s1, 0, s57
	s_cselect_b32 s0, 0, s56
	s_cmp_eq_u64 s[0:1], 0
	v_pk_mov_b32 v[50:51], v[42:43], v[42:43] op_sel:[0,1]
	s_cbranch_scc1 .LBB940_125
; %bb.124:
	v_mov_b32_e32 v46, 0
	global_load_dwordx2 v[50:51], v46, s[0:1]
.LBB940_125:
	v_cmp_eq_u32_e64 s[22:23], 0, v95
	v_cndmask_b32_e64 v47, 0, v42, s[22:23]
	v_cndmask_b32_e64 v46, 0, v43, s[22:23]
	v_add_co_u32_e32 v47, vcc, v47, v40
	v_cmp_eq_u32_e64 s[20:21], 0, v94
	v_addc_co_u32_e32 v46, vcc, v46, v41, vcc
	v_cndmask_b32_e64 v47, 0, v47, s[20:21]
	v_cndmask_b32_e64 v46, 0, v46, s[20:21]
	v_add_co_u32_e32 v47, vcc, v47, v38
	v_cmp_eq_u32_e64 s[18:19], 0, v93
	v_addc_co_u32_e32 v46, vcc, v46, v39, vcc
	;; [unrolled: 5-line block ×11, first 2 shown]
	v_cndmask_b32_e64 v47, 0, v47, s[2:3]
	v_cndmask_b32_e64 v46, 0, v46, s[2:3]
	v_add_co_u32_e32 v47, vcc, v47, v18
	v_addc_co_u32_e32 v46, vcc, v46, v19, vcc
	v_cmp_eq_u32_e32 vcc, 0, v83
	v_cndmask_b32_e32 v47, 0, v47, vcc
	v_add3_u32 v48, v99, v91, v90
	v_cndmask_b32_e32 v46, 0, v46, vcc
	v_add_co_u32_e64 v47, s[24:25], v47, v2
	v_add3_u32 v48, v48, v89, v88
	v_addc_co_u32_e64 v46, s[24:25], v46, v3, s[24:25]
	v_add3_u32 v48, v48, v87, v86
	v_cmp_eq_u32_e64 s[24:25], 0, v82
	v_add3_u32 v48, v48, v85, v84
	v_cndmask_b32_e64 v47, 0, v47, s[24:25]
	v_add3_u32 v49, v48, v83, v82
	v_cndmask_b32_e64 v46, 0, v46, s[24:25]
	v_add_co_u32_e64 v44, s[24:25], v47, v44
	v_mbcnt_hi_u32_b32 v48, -1, v98
	v_addc_co_u32_e64 v45, s[24:25], v46, v45, s[24:25]
	v_and_b32_e32 v46, 15, v48
	v_mov_b32_dpp v52, v49 row_shr:1 row_mask:0xf bank_mask:0xf
	v_mov_b32_dpp v47, v44 row_shr:1 row_mask:0xf bank_mask:0xf
	;; [unrolled: 1-line block ×3, first 2 shown]
	v_cmp_ne_u32_e64 s[24:25], 0, v46
	s_and_saveexec_b64 s[26:27], s[24:25]
; %bb.126:
	v_cmp_eq_u32_e64 s[24:25], 0, v49
	v_cndmask_b32_e64 v47, 0, v47, s[24:25]
	v_add_u32_e32 v52, v52, v49
	v_cndmask_b32_e64 v49, 0, v53, s[24:25]
	v_add_co_u32_e64 v44, s[24:25], v47, v44
	v_addc_co_u32_e64 v45, s[24:25], v49, v45, s[24:25]
	v_mov_b32_e32 v49, v52
; %bb.127:
	s_or_b64 exec, exec, s[26:27]
	s_nop 0
	v_mov_b32_dpp v52, v49 row_shr:2 row_mask:0xf bank_mask:0xf
	v_mov_b32_dpp v47, v44 row_shr:2 row_mask:0xf bank_mask:0xf
	v_mov_b32_dpp v53, v45 row_shr:2 row_mask:0xf bank_mask:0xf
	v_cmp_lt_u32_e64 s[24:25], 1, v46
	s_and_saveexec_b64 s[26:27], s[24:25]
; %bb.128:
	v_cmp_eq_u32_e64 s[24:25], 0, v49
	v_cndmask_b32_e64 v47, 0, v47, s[24:25]
	v_add_u32_e32 v52, v52, v49
	v_cndmask_b32_e64 v49, 0, v53, s[24:25]
	v_add_co_u32_e64 v44, s[24:25], v47, v44
	v_addc_co_u32_e64 v45, s[24:25], v49, v45, s[24:25]
	v_mov_b32_e32 v49, v52
; %bb.129:
	s_or_b64 exec, exec, s[26:27]
	s_nop 0
	v_mov_b32_dpp v52, v49 row_shr:4 row_mask:0xf bank_mask:0xf
	v_mov_b32_dpp v47, v44 row_shr:4 row_mask:0xf bank_mask:0xf
	v_mov_b32_dpp v53, v45 row_shr:4 row_mask:0xf bank_mask:0xf
	v_cmp_lt_u32_e64 s[24:25], 3, v46
	s_and_saveexec_b64 s[26:27], s[24:25]
; %bb.130:
	v_cmp_eq_u32_e64 s[24:25], 0, v49
	v_cndmask_b32_e64 v47, 0, v47, s[24:25]
	v_add_u32_e32 v52, v52, v49
	v_cndmask_b32_e64 v49, 0, v53, s[24:25]
	v_add_co_u32_e64 v44, s[24:25], v47, v44
	v_addc_co_u32_e64 v45, s[24:25], v49, v45, s[24:25]
	v_mov_b32_e32 v49, v52
; %bb.131:
	s_or_b64 exec, exec, s[26:27]
	s_nop 0
	v_mov_b32_dpp v52, v49 row_shr:8 row_mask:0xf bank_mask:0xf
	v_mov_b32_dpp v47, v44 row_shr:8 row_mask:0xf bank_mask:0xf
	v_mov_b32_dpp v53, v45 row_shr:8 row_mask:0xf bank_mask:0xf
	v_cmp_lt_u32_e64 s[24:25], 7, v46
	s_and_saveexec_b64 s[26:27], s[24:25]
; %bb.132:
	v_cmp_eq_u32_e64 s[24:25], 0, v49
	v_cndmask_b32_e64 v47, 0, v47, s[24:25]
	v_add_u32_e32 v46, v52, v49
	v_cndmask_b32_e64 v49, 0, v53, s[24:25]
	v_add_co_u32_e64 v44, s[24:25], v47, v44
	v_addc_co_u32_e64 v45, s[24:25], v49, v45, s[24:25]
	v_mov_b32_e32 v49, v46
; %bb.133:
	s_or_b64 exec, exec, s[26:27]
	v_and_b32_e32 v53, 16, v48
	v_mov_b32_dpp v47, v49 row_bcast:15 row_mask:0xf bank_mask:0xf
	v_mov_b32_dpp v46, v44 row_bcast:15 row_mask:0xf bank_mask:0xf
	;; [unrolled: 1-line block ×3, first 2 shown]
	v_cmp_ne_u32_e64 s[24:25], 0, v53
	s_and_saveexec_b64 s[26:27], s[24:25]
; %bb.134:
	v_cmp_eq_u32_e64 s[24:25], 0, v49
	v_cndmask_b32_e64 v46, 0, v46, s[24:25]
	v_add_u32_e32 v47, v47, v49
	v_cndmask_b32_e64 v49, 0, v52, s[24:25]
	v_add_co_u32_e64 v44, s[24:25], v46, v44
	v_addc_co_u32_e64 v45, s[24:25], v49, v45, s[24:25]
	v_mov_b32_e32 v49, v47
; %bb.135:
	s_or_b64 exec, exec, s[26:27]
	s_nop 0
	v_mov_b32_dpp v47, v49 row_bcast:31 row_mask:0xf bank_mask:0xf
	v_mov_b32_dpp v46, v44 row_bcast:31 row_mask:0xf bank_mask:0xf
	;; [unrolled: 1-line block ×3, first 2 shown]
	v_cmp_lt_u32_e64 s[24:25], 31, v48
	s_and_saveexec_b64 s[26:27], s[24:25]
; %bb.136:
	v_cmp_eq_u32_e64 s[24:25], 0, v49
	v_cndmask_b32_e64 v46, 0, v46, s[24:25]
	v_add_u32_e32 v47, v47, v49
	v_cndmask_b32_e64 v49, 0, v52, s[24:25]
	v_add_co_u32_e64 v44, s[24:25], v46, v44
	v_addc_co_u32_e64 v45, s[24:25], v49, v45, s[24:25]
	v_mov_b32_e32 v49, v47
; %bb.137:
	s_or_b64 exec, exec, s[26:27]
	v_lshrrev_b32_e32 v46, 6, v0
	v_or_b32_e32 v47, 63, v0
	v_cmp_eq_u32_e64 s[24:25], v47, v0
	v_lshlrev_b32_e32 v52, 4, v46
	s_and_saveexec_b64 s[26:27], s[24:25]
	s_cbranch_execz .LBB940_139
; %bb.138:
	ds_write_b32 v52, v49 offset:2080
	ds_write_b64 v52, v[44:45] offset:2088
.LBB940_139:
	s_or_b64 exec, exec, s[26:27]
	v_cmp_gt_u32_e64 s[24:25], 4, v0
	s_waitcnt lgkmcnt(0)
	s_barrier
	s_and_saveexec_b64 s[26:27], s[24:25]
	s_cbranch_execz .LBB940_145
; %bb.140:
	v_lshlrev_b32_e32 v53, 4, v0
	ds_read_b32 v54, v53 offset:2080
	ds_read_b64 v[46:47], v53 offset:2088
	v_and_b32_e32 v55, 3, v48
	v_cmp_ne_u32_e64 s[24:25], 0, v55
	s_waitcnt lgkmcnt(1)
	v_mov_b32_dpp v57, v54 row_shr:1 row_mask:0xf bank_mask:0xf
	s_waitcnt lgkmcnt(0)
	v_mov_b32_dpp v56, v46 row_shr:1 row_mask:0xf bank_mask:0xf
	v_mov_b32_dpp v58, v47 row_shr:1 row_mask:0xf bank_mask:0xf
	s_and_saveexec_b64 s[28:29], s[24:25]
; %bb.141:
	v_cmp_eq_u32_e64 s[24:25], 0, v54
	v_cndmask_b32_e64 v56, 0, v56, s[24:25]
	v_add_u32_e32 v57, v57, v54
	v_cndmask_b32_e64 v54, 0, v58, s[24:25]
	v_add_co_u32_e64 v46, s[24:25], v56, v46
	v_addc_co_u32_e64 v47, s[24:25], v54, v47, s[24:25]
	v_mov_b32_e32 v54, v57
; %bb.142:
	s_or_b64 exec, exec, s[28:29]
	s_nop 0
	v_mov_b32_dpp v57, v54 row_shr:2 row_mask:0xf bank_mask:0xf
	v_mov_b32_dpp v56, v46 row_shr:2 row_mask:0xf bank_mask:0xf
	;; [unrolled: 1-line block ×3, first 2 shown]
	v_cmp_lt_u32_e64 s[24:25], 1, v55
	s_and_saveexec_b64 s[28:29], s[24:25]
; %bb.143:
	v_cmp_eq_u32_e64 s[24:25], 0, v54
	v_cndmask_b32_e64 v56, 0, v56, s[24:25]
	v_add_u32_e32 v55, v57, v54
	v_cndmask_b32_e64 v54, 0, v58, s[24:25]
	v_add_co_u32_e64 v46, s[24:25], v56, v46
	v_addc_co_u32_e64 v47, s[24:25], v54, v47, s[24:25]
	v_mov_b32_e32 v54, v55
; %bb.144:
	s_or_b64 exec, exec, s[28:29]
	ds_write_b32 v53, v54 offset:2080
	ds_write_b64 v53, v[46:47] offset:2088
.LBB940_145:
	s_or_b64 exec, exec, s[26:27]
	v_cmp_lt_u32_e64 s[24:25], 63, v0
	v_mov_b32_e32 v98, 0
	v_mov_b32_e32 v53, 0
	s_waitcnt vmcnt(0)
	v_pk_mov_b32 v[46:47], v[50:51], v[50:51] op_sel:[0,1]
	s_waitcnt lgkmcnt(0)
	s_barrier
	s_and_saveexec_b64 s[26:27], s[24:25]
	s_cbranch_execz .LBB940_147
; %bb.146:
	ds_read_b32 v53, v52 offset:2064
	ds_read_b64 v[46:47], v52 offset:2072
	s_waitcnt lgkmcnt(1)
	v_cmp_eq_u32_e64 s[24:25], 0, v53
	v_cndmask_b32_e64 v54, 0, v50, s[24:25]
	v_cndmask_b32_e64 v52, 0, v51, s[24:25]
	s_waitcnt lgkmcnt(0)
	v_add_co_u32_e64 v46, s[24:25], v54, v46
	v_addc_co_u32_e64 v47, s[24:25], v52, v47, s[24:25]
.LBB940_147:
	s_or_b64 exec, exec, s[26:27]
	v_cmp_eq_u32_e64 s[24:25], 0, v49
	v_cndmask_b32_e64 v54, 0, v46, s[24:25]
	v_add_u32_e32 v52, v53, v49
	v_cndmask_b32_e64 v49, 0, v47, s[24:25]
	v_add_co_u32_e64 v44, s[24:25], v54, v44
	v_addc_co_u32_e64 v45, s[24:25], v49, v45, s[24:25]
	v_add_u32_e32 v49, -1, v48
	v_and_b32_e32 v54, 64, v48
	v_cmp_lt_i32_e64 s[24:25], v49, v54
	v_cndmask_b32_e64 v49, v49, v48, s[24:25]
	v_lshlrev_b32_e32 v49, 2, v49
	ds_bpermute_b32 v52, v49, v52
	ds_bpermute_b32 v45, v49, v45
	;; [unrolled: 1-line block ×3, first 2 shown]
	v_cmp_eq_u32_e64 s[24:25], 0, v48
	v_cmp_eq_u32_e64 s[26:27], 0, v96
	s_waitcnt lgkmcnt(2)
	v_cndmask_b32_e64 v97, v52, v53, s[24:25]
	s_waitcnt lgkmcnt(1)
	v_cndmask_b32_e64 v77, v45, v47, s[24:25]
	;; [unrolled: 2-line block ×3, first 2 shown]
	v_cmp_eq_u32_e64 s[24:25], 0, v0
	v_cndmask_b32_e64 v44, v76, v50, s[24:25]
	v_cndmask_b32_e64 v45, v77, v51, s[24:25]
	;; [unrolled: 1-line block ×4, first 2 shown]
	v_add_co_u32_e64 v52, s[26:27], v44, v42
	v_addc_co_u32_e64 v53, s[26:27], v45, v43, s[26:27]
	v_cndmask_b32_e64 v43, 0, v52, s[22:23]
	v_cndmask_b32_e64 v42, 0, v53, s[22:23]
	v_add_co_u32_e64 v54, s[22:23], v43, v40
	v_addc_co_u32_e64 v55, s[22:23], v42, v41, s[22:23]
	v_cndmask_b32_e64 v41, 0, v54, s[20:21]
	v_cndmask_b32_e64 v40, 0, v55, s[20:21]
	v_add_co_u32_e64 v56, s[20:21], v41, v38
	v_addc_co_u32_e64 v57, s[20:21], v40, v39, s[20:21]
	v_cndmask_b32_e64 v39, 0, v56, s[18:19]
	v_cndmask_b32_e64 v38, 0, v57, s[18:19]
	v_add_co_u32_e64 v58, s[18:19], v39, v34
	v_addc_co_u32_e64 v59, s[18:19], v38, v35, s[18:19]
	v_cndmask_b32_e64 v35, 0, v58, s[16:17]
	v_cndmask_b32_e64 v34, 0, v59, s[16:17]
	v_add_co_u32_e64 v60, s[16:17], v35, v36
	v_addc_co_u32_e64 v61, s[16:17], v34, v37, s[16:17]
	v_cndmask_b32_e64 v35, 0, v60, s[12:13]
	v_cndmask_b32_e64 v34, 0, v61, s[12:13]
	v_add_co_u32_e64 v62, s[12:13], v35, v32
	v_addc_co_u32_e64 v63, s[12:13], v34, v33, s[12:13]
	v_cndmask_b32_e64 v33, 0, v62, s[14:15]
	v_cndmask_b32_e64 v32, 0, v63, s[14:15]
	v_add_co_u32_e64 v64, s[12:13], v33, v30
	v_addc_co_u32_e64 v65, s[12:13], v32, v31, s[12:13]
	v_cndmask_b32_e64 v31, 0, v64, s[8:9]
	v_cndmask_b32_e64 v30, 0, v65, s[8:9]
	v_add_co_u32_e64 v66, s[8:9], v31, v26
	v_addc_co_u32_e64 v67, s[8:9], v30, v27, s[8:9]
	v_cndmask_b32_e64 v27, 0, v66, s[10:11]
	v_cndmask_b32_e64 v26, 0, v67, s[10:11]
	v_add_co_u32_e64 v68, s[8:9], v27, v28
	v_addc_co_u32_e64 v69, s[8:9], v26, v29, s[8:9]
	v_cndmask_b32_e64 v27, 0, v68, s[4:5]
	v_cndmask_b32_e64 v26, 0, v69, s[4:5]
	v_add_co_u32_e64 v70, s[4:5], v27, v24
	v_addc_co_u32_e64 v71, s[4:5], v26, v25, s[4:5]
	v_cndmask_b32_e64 v25, 0, v70, s[6:7]
	v_cndmask_b32_e64 v24, 0, v71, s[6:7]
	v_add_co_u32_e64 v72, s[4:5], v25, v22
	v_addc_co_u32_e64 v73, s[4:5], v24, v23, s[4:5]
	v_cndmask_b32_e64 v23, 0, v72, s[0:1]
	v_cndmask_b32_e64 v22, 0, v73, s[0:1]
	v_add_co_u32_e64 v74, s[0:1], v23, v20
	v_addc_co_u32_e64 v75, s[0:1], v22, v21, s[0:1]
	v_cndmask_b32_e64 v21, 0, v74, s[2:3]
	ds_read_b32 v46, v98 offset:2128
	v_cndmask_b32_e64 v20, 0, v75, s[2:3]
	v_add_co_u32_e64 v78, s[0:1], v21, v18
	v_addc_co_u32_e64 v79, s[0:1], v20, v19, s[0:1]
	ds_read_b64 v[18:19], v98 offset:2136
	v_cndmask_b32_e32 v81, 0, v79, vcc
	v_cndmask_b32_e32 v80, 0, v78, vcc
	s_waitcnt lgkmcnt(1)
	v_cmp_eq_u32_e32 vcc, 0, v46
	v_cndmask_b32_e32 v21, 0, v50, vcc
	v_cndmask_b32_e32 v20, 0, v51, vcc
	s_waitcnt lgkmcnt(0)
	v_add_co_u32_e32 v48, vcc, v21, v18
	v_addc_co_u32_e32 v49, vcc, v20, v19, vcc
	s_and_saveexec_b64 s[0:1], s[24:25]
	s_cbranch_execz .LBB940_149
; %bb.148:
	v_mov_b32_e32 v97, 0
	v_mov_b32_e32 v18, 2
	v_pk_mov_b32 v[76:77], v[50:51], v[50:51] op_sel:[0,1]
	global_store_dword v97, v46, s[38:39] offset:1024
	global_store_dwordx2 v97, v[48:49], s[38:39] offset:1032
	s_waitcnt vmcnt(0)
	buffer_wbinvl1_vol
	global_store_byte v97, v18, s[40:41] offset:64
.LBB940_149:
	s_or_b64 exec, exec, s[0:1]
	v_mov_b32_e32 v50, 0
.LBB940_150:
	s_and_b64 s[0:1], s[30:31], exec
	s_cselect_b32 s1, 0, s51
	s_cselect_b32 s0, 0, s50
	s_cmp_eq_u64 s[0:1], 0
	v_pk_mov_b32 v[18:19], 0, 0
	s_barrier
	s_cbranch_scc1 .LBB940_152
; %bb.151:
	v_mov_b32_e32 v18, 0
	global_load_dwordx2 v[18:19], v18, s[0:1]
.LBB940_152:
	s_waitcnt vmcnt(0)
	v_lshlrev_b64 v[34:35], 2, v[18:19]
	v_mov_b32_e32 v36, s53
	v_add_co_u32_e32 v37, vcc, s52, v34
	v_mov_b32_e32 v51, 0
	v_addc_co_u32_e32 v36, vcc, v36, v35, vcc
	v_lshlrev_b64 v[34:35], 2, v[50:51]
	v_add_co_u32_e32 v34, vcc, v37, v34
	v_addc_co_u32_e32 v35, vcc, v36, v35, vcc
	v_cmp_eq_u32_e32 vcc, 0, v96
	v_cndmask_b32_e64 v36, 1, 2, vcc
	v_cmp_eq_u32_e32 vcc, 0, v95
	v_cndmask_b32_e64 v37, 1, 2, vcc
	v_cmp_eq_u32_e32 vcc, 0, v94
	v_and_b32_e32 v36, v37, v36
	v_cndmask_b32_e64 v37, 1, 2, vcc
	v_cmp_eq_u32_e32 vcc, 0, v93
	v_add_u32_e32 v33, v97, v96
	v_and_b32_e32 v36, v36, v37
	v_cndmask_b32_e64 v37, 1, 2, vcc
	v_cmp_eq_u32_e32 vcc, 0, v92
	v_add_u32_e32 v32, v33, v95
	;; [unrolled: 4-line block ×12, first 2 shown]
	v_and_b32_e32 v36, v36, v37
	v_cndmask_b32_e64 v37, 1, 2, vcc
	s_movk_i32 s30, 0x100
	v_add_u32_e32 v21, v22, v84
	v_and_b32_e32 v36, v36, v37
	v_cmp_gt_u32_e32 vcc, s30, v46
	v_add_u32_e32 v20, v21, v83
	v_cmp_ne_u32_e64 s[28:29], 0, v96
	v_cmp_ne_u32_e64 s[26:27], 0, v95
	;; [unrolled: 1-line block ×15, first 2 shown]
	s_mov_b64 s[36:37], -1
	v_cmp_gt_i16_e64 s[30:31], 2, v36
	s_cbranch_vccz .LBB940_159
; %bb.153:
	s_and_saveexec_b64 s[36:37], s[30:31]
	s_cbranch_execz .LBB940_158
; %bb.154:
	v_cmp_ne_u16_e32 vcc, 1, v36
	s_mov_b64 s[38:39], 0
	s_and_saveexec_b64 s[30:31], vcc
	s_xor_b64 s[30:31], exec, s[30:31]
	s_cbranch_execnz .LBB940_203
; %bb.155:
	s_andn2_saveexec_b64 s[30:31], s[30:31]
	s_cbranch_execnz .LBB940_219
.LBB940_156:
	s_or_b64 exec, exec, s[30:31]
	s_and_b64 exec, exec, s[38:39]
	s_cbranch_execz .LBB940_158
.LBB940_157:
	v_sub_u32_e32 v38, v20, v50
	v_mov_b32_e32 v39, 0
	v_lshlrev_b64 v[38:39], 2, v[38:39]
	v_add_co_u32_e32 v38, vcc, v34, v38
	v_addc_co_u32_e32 v39, vcc, v35, v39, vcc
	global_store_dword v[38:39], v1, off
.LBB940_158:
	s_or_b64 exec, exec, s[36:37]
	s_mov_b64 s[36:37], 0
.LBB940_159:
	s_and_b64 vcc, exec, s[36:37]
	s_cbranch_vccz .LBB940_181
; %bb.160:
	v_cmp_gt_i16_e32 vcc, 2, v36
	s_and_saveexec_b64 s[30:31], vcc
	s_cbranch_execz .LBB940_165
; %bb.161:
	v_cmp_ne_u16_e32 vcc, 1, v36
	s_mov_b64 s[38:39], 0
	s_and_saveexec_b64 s[36:37], vcc
	s_xor_b64 s[36:37], exec, s[36:37]
	s_cbranch_execnz .LBB940_220
; %bb.162:
	s_andn2_saveexec_b64 s[0:1], s[36:37]
	s_cbranch_execnz .LBB940_236
.LBB940_163:
	s_or_b64 exec, exec, s[0:1]
	s_and_b64 exec, exec, s[38:39]
	s_cbranch_execz .LBB940_165
.LBB940_164:
	v_sub_u32_e32 v4, v20, v50
	v_lshlrev_b32_e32 v4, 2, v4
	ds_write_b32 v4, v1
.LBB940_165:
	s_or_b64 exec, exec, s[30:31]
	v_cmp_lt_u32_e32 vcc, v0, v46
	s_waitcnt lgkmcnt(0)
	s_barrier
	s_and_saveexec_b64 s[2:3], vcc
	s_cbranch_execz .LBB940_180
; %bb.166:
	v_xad_u32 v1, v0, -1, v46
	s_movk_i32 s0, 0x1700
	v_cmp_gt_u32_e64 s[4:5], s0, v1
	s_movk_i32 s0, 0x16ff
	v_cmp_lt_u32_e32 vcc, s0, v1
	v_mov_b32_e32 v4, v0
	s_and_saveexec_b64 s[6:7], vcc
	s_cbranch_execz .LBB940_177
; %bb.167:
	v_sub_u32_e32 v4, v0, v46
	v_or_b32_e32 v4, 0xff, v4
	v_cmp_ge_u32_e32 vcc, v4, v0
	s_mov_b64 s[0:1], -1
	v_mov_b32_e32 v4, v0
	s_and_saveexec_b64 s[8:9], vcc
	s_cbranch_execz .LBB940_176
; %bb.168:
	v_lshrrev_b32_e32 v8, 8, v1
	v_add_u32_e32 v4, -1, v8
	v_or_b32_e32 v1, 0x100, v0
	v_lshrrev_b32_e32 v5, 1, v4
	v_add_u32_e32 v10, 1, v5
	v_cmp_lt_u32_e32 vcc, 13, v4
	v_mov_b32_e32 v13, 0
	v_lshlrev_b32_e32 v9, 2, v0
	v_pk_mov_b32 v[4:5], v[0:1], v[0:1] op_sel:[0,1]
	s_and_saveexec_b64 s[10:11], vcc
	s_cbranch_execz .LBB940_172
; %bb.169:
	v_and_b32_e32 v11, -8, v10
	s_mov_b32 s14, 0
	s_mov_b64 s[12:13], 0
	v_mov_b32_e32 v7, 0
	v_mov_b32_e32 v12, v9
	v_pk_mov_b32 v[4:5], v[0:1], v[0:1] op_sel:[0,1]
.LBB940_170:                            ; =>This Inner Loop Header: Depth=1
	v_mov_b32_e32 v6, v4
	v_add_u32_e32 v11, -8, v11
	v_lshlrev_b64 v[114:115], 2, v[6:7]
	v_mov_b32_e32 v6, v5
	ds_read2st64_b32 v[14:15], v12 offset1:4
	s_add_i32 s14, s14, 16
	v_cmp_eq_u32_e32 vcc, 0, v11
	v_lshlrev_b64 v[116:117], 2, v[6:7]
	v_add_u32_e32 v6, 0x200, v4
	s_or_b64 s[12:13], vcc, s[12:13]
	v_add_co_u32_e32 v116, vcc, v34, v116
	v_add_u32_e32 v16, 0x200, v5
	v_mov_b32_e32 v17, v7
	ds_read2st64_b32 v[36:37], v12 offset0:8 offset1:12
	ds_read2st64_b32 v[40:41], v12 offset0:16 offset1:20
	v_add_co_u32_e64 v114, s[0:1], v34, v114
	v_addc_co_u32_e32 v117, vcc, v35, v117, vcc
	v_lshlrev_b64 v[118:119], 2, v[6:7]
	v_lshlrev_b64 v[16:17], 2, v[16:17]
	v_addc_co_u32_e64 v115, s[0:1], v35, v115, s[0:1]
	v_add_u32_e32 v6, 0x400, v4
	v_add_co_u32_e32 v118, vcc, v34, v118
	v_add_u32_e32 v38, 0x400, v5
	v_mov_b32_e32 v39, v7
	ds_read2st64_b32 v[44:45], v12 offset0:24 offset1:28
	v_add_co_u32_e64 v16, s[0:1], v34, v16
	v_addc_co_u32_e32 v119, vcc, v35, v119, vcc
	v_lshlrev_b64 v[120:121], 2, v[6:7]
	ds_read2st64_b32 v[100:101], v12 offset0:32 offset1:36
	ds_read2st64_b32 v[104:105], v12 offset0:40 offset1:44
	;; [unrolled: 1-line block ×4, first 2 shown]
	v_lshlrev_b64 v[38:39], 2, v[38:39]
	v_addc_co_u32_e64 v17, s[0:1], v35, v17, s[0:1]
	v_add_u32_e32 v6, 0x600, v4
	s_waitcnt lgkmcnt(7)
	global_store_dword v[114:115], v14, off
	global_store_dword v[116:117], v15, off
	s_waitcnt lgkmcnt(6)
	global_store_dword v[118:119], v36, off
	global_store_dword v[16:17], v37, off
	v_add_co_u32_e32 v14, vcc, v34, v120
	v_add_u32_e32 v42, 0x600, v5
	v_mov_b32_e32 v43, v7
	v_add_co_u32_e64 v38, s[0:1], v34, v38
	v_addc_co_u32_e32 v15, vcc, v35, v121, vcc
	v_lshlrev_b64 v[16:17], 2, v[6:7]
	v_lshlrev_b64 v[42:43], 2, v[42:43]
	v_addc_co_u32_e64 v39, s[0:1], v35, v39, s[0:1]
	v_add_u32_e32 v6, 0x800, v4
	s_waitcnt lgkmcnt(5)
	global_store_dword v[14:15], v40, off
	global_store_dword v[38:39], v41, off
	v_add_co_u32_e32 v14, vcc, v34, v16
	v_add_u32_e32 v98, 0x800, v5
	v_mov_b32_e32 v99, v7
	v_add_co_u32_e64 v42, s[0:1], v34, v42
	v_addc_co_u32_e32 v15, vcc, v35, v17, vcc
	v_lshlrev_b64 v[16:17], 2, v[6:7]
	v_lshlrev_b64 v[98:99], 2, v[98:99]
	v_addc_co_u32_e64 v43, s[0:1], v35, v43, s[0:1]
	v_add_u32_e32 v6, 0xa00, v4
	;; [unrolled: 12-line block ×4, first 2 shown]
	s_waitcnt lgkmcnt(2)
	global_store_dword v[14:15], v104, off
	global_store_dword v[102:103], v105, off
	v_add_co_u32_e32 v14, vcc, v34, v16
	v_add_u32_e32 v110, 0xe00, v5
	v_mov_b32_e32 v111, v7
	v_add_co_u32_e64 v106, s[0:1], v34, v106
	v_addc_co_u32_e32 v15, vcc, v35, v17, vcc
	v_lshlrev_b64 v[16:17], 2, v[6:7]
	v_lshlrev_b64 v[110:111], 2, v[110:111]
	v_addc_co_u32_e64 v107, s[0:1], v35, v107, s[0:1]
	s_waitcnt lgkmcnt(1)
	global_store_dword v[14:15], v108, off
	global_store_dword v[106:107], v109, off
	v_add_co_u32_e32 v14, vcc, v34, v16
	v_add_u32_e32 v12, 0x4000, v12
	v_add_u32_e32 v5, 0x1000, v5
	v_mov_b32_e32 v13, s14
	v_add_co_u32_e64 v110, s[0:1], v34, v110
	v_add_u32_e32 v4, 0x1000, v4
	v_addc_co_u32_e32 v15, vcc, v35, v17, vcc
	v_addc_co_u32_e64 v111, s[0:1], v35, v111, s[0:1]
	s_waitcnt lgkmcnt(0)
	global_store_dword v[14:15], v112, off
	global_store_dword v[110:111], v113, off
	s_andn2_b64 exec, exec, s[12:13]
	s_cbranch_execnz .LBB940_170
; %bb.171:
	s_or_b64 exec, exec, s[12:13]
.LBB940_172:
	s_or_b64 exec, exec, s[10:11]
	v_and_b32_e32 v1, 7, v10
	v_cmp_ne_u32_e32 vcc, 0, v1
	s_and_saveexec_b64 s[10:11], vcc
	s_cbranch_execz .LBB940_175
; %bb.173:
	v_lshl_or_b32 v9, v13, 10, v9
	s_mov_b64 s[12:13], 0
	v_mov_b32_e32 v7, 0
.LBB940_174:                            ; =>This Inner Loop Header: Depth=1
	ds_read2st64_b32 v[10:11], v9 offset1:4
	v_mov_b32_e32 v6, v4
	v_add_u32_e32 v1, -1, v1
	v_lshlrev_b64 v[12:13], 2, v[6:7]
	v_mov_b32_e32 v6, v5
	v_cmp_eq_u32_e32 vcc, 0, v1
	v_add_co_u32_e64 v12, s[0:1], v34, v12
	v_lshlrev_b64 v[14:15], 2, v[6:7]
	v_add_u32_e32 v4, 0x200, v4
	v_add_u32_e32 v9, 0x800, v9
	;; [unrolled: 1-line block ×3, first 2 shown]
	v_addc_co_u32_e64 v13, s[0:1], v35, v13, s[0:1]
	s_or_b64 s[12:13], vcc, s[12:13]
	v_add_co_u32_e32 v14, vcc, v34, v14
	v_addc_co_u32_e32 v15, vcc, v35, v15, vcc
	s_waitcnt lgkmcnt(0)
	global_store_dword v[12:13], v10, off
	global_store_dword v[14:15], v11, off
	s_andn2_b64 exec, exec, s[12:13]
	s_cbranch_execnz .LBB940_174
.LBB940_175:
	s_or_b64 exec, exec, s[10:11]
	v_add_u32_e32 v1, 1, v8
	v_and_b32_e32 v5, 0x1fffffe, v1
	v_cmp_ne_u32_e32 vcc, v1, v5
	v_lshl_or_b32 v4, v5, 8, v0
	s_orn2_b64 s[0:1], vcc, exec
.LBB940_176:
	s_or_b64 exec, exec, s[8:9]
	s_andn2_b64 s[4:5], s[4:5], exec
	s_and_b64 s[0:1], s[0:1], exec
	s_or_b64 s[4:5], s[4:5], s[0:1]
.LBB940_177:
	s_or_b64 exec, exec, s[6:7]
	s_and_b64 exec, exec, s[4:5]
	s_cbranch_execz .LBB940_180
; %bb.178:
	v_lshlrev_b32_e32 v1, 2, v4
	s_mov_b64 s[0:1], 0
	v_mov_b32_e32 v5, 0
.LBB940_179:                            ; =>This Inner Loop Header: Depth=1
	v_lshlrev_b64 v[6:7], 2, v[4:5]
	ds_read_b32 v8, v1
	v_add_co_u32_e32 v6, vcc, v34, v6
	v_add_u32_e32 v4, 0x100, v4
	v_addc_co_u32_e32 v7, vcc, v35, v7, vcc
	v_cmp_ge_u32_e32 vcc, v4, v46
	v_add_u32_e32 v1, 0x400, v1
	s_or_b64 s[0:1], vcc, s[0:1]
	s_waitcnt lgkmcnt(0)
	global_store_dword v[6:7], v8, off
	s_andn2_b64 exec, exec, s[0:1]
	s_cbranch_execnz .LBB940_179
.LBB940_180:
	s_or_b64 exec, exec, s[2:3]
.LBB940_181:
	v_add_co_u32_e32 v2, vcc, v80, v2
	s_cmpk_lg_i32 s33, 0xf00
	v_addc_co_u32_e32 v3, vcc, v81, v3, vcc
	s_cselect_b64 s[0:1], -1, 0
	v_cndmask_b32_e64 v8, 0, 1, s[46:47]
	s_and_b64 s[0:1], s[44:45], s[0:1]
	v_cmp_eq_u32_e32 vcc, 0, v0
	v_sub_u32_e32 v1, v46, v8
	v_cndmask_b32_e64 v4, 0, 1, s[0:1]
	s_and_b64 s[0:1], vcc, s[46:47]
	v_add_u32_e32 v1, v1, v4
	v_cndmask_b32_e64 v4, v96, 0, s[0:1]
	s_mul_hi_u32 s0, s33, 0x88888889
	s_lshr_b32 s0, s0, 3
	v_mad_i32_i24 v5, v0, -15, s33
	v_cmp_eq_u32_e32 vcc, s0, v0
	v_cmp_ne_u32_e64 s[0:1], 0, v5
	v_cndmask_b32_e64 v6, 1, v4, s[0:1]
	v_cmp_ne_u32_e64 s[0:1], 1, v5
	v_cndmask_b32_e64 v7, 1, v95, s[0:1]
	;; [unrolled: 2-line block ×15, first 2 shown]
	s_and_b64 vcc, s[44:45], vcc
	v_cndmask_b32_e32 v37, v82, v5, vcc
	v_cndmask_b32_e32 v39, v4, v6, vcc
	v_lshlrev_b64 v[4:5], 3, v[18:19]
	v_cndmask_b32_e32 v36, v83, v36, vcc
	v_cndmask_b32_e32 v35, v84, v35, vcc
	;; [unrolled: 1-line block ×13, first 2 shown]
	v_mov_b32_e32 v6, s55
	v_add_co_u32_e32 v7, vcc, s54, v4
	v_addc_co_u32_e32 v6, vcc, v6, v5, vcc
	v_lshlrev_b64 v[4:5], 3, v[50:51]
	v_add_co_u32_e32 v4, vcc, v7, v4
	v_addc_co_u32_e32 v5, vcc, v6, v5, vcc
	v_lshlrev_b32_e32 v6, 3, v8
	v_add_co_u32_e32 v6, vcc, v6, v4
	v_addc_co_u32_e32 v7, vcc, 0, v5, vcc
	v_add_co_u32_e32 v6, vcc, -8, v6
	v_addc_co_u32_e32 v7, vcc, -1, v7, vcc
	v_cmp_eq_u32_e32 vcc, 0, v39
	v_cmp_ne_u32_e64 s[28:29], 0, v39
	v_cndmask_b32_e64 v39, 1, 2, vcc
	v_cmp_eq_u32_e32 vcc, 0, v38
	v_cmp_ne_u32_e64 s[26:27], 0, v38
	v_cndmask_b32_e64 v38, 1, 2, vcc
	v_cmp_eq_u32_e32 vcc, 0, v9
	v_and_b32_e32 v38, v38, v39
	v_cmp_ne_u32_e64 s[24:25], 0, v9
	v_cndmask_b32_e64 v9, 1, 2, vcc
	v_cmp_eq_u32_e32 vcc, 0, v10
	v_and_b32_e32 v9, v38, v9
	;; [unrolled: 4-line block ×3, first 2 shown]
	v_cndmask_b32_e64 v10, 1, 2, vcc
	v_cmp_eq_u32_e32 vcc, 0, v12
	v_and_b32_e32 v9, v9, v10
	v_cndmask_b32_e64 v10, 1, 2, vcc
	v_cmp_eq_u32_e32 vcc, 0, v13
	v_and_b32_e32 v9, v9, v10
	v_cndmask_b32_e64 v10, 1, 2, vcc
	v_cmp_eq_u32_e32 vcc, 0, v14
	v_and_b32_e32 v9, v9, v10
	v_cndmask_b32_e64 v10, 1, 2, vcc
	v_cmp_eq_u32_e32 vcc, 0, v15
	v_and_b32_e32 v9, v9, v10
	v_cndmask_b32_e64 v10, 1, 2, vcc
	v_cmp_eq_u32_e32 vcc, 0, v16
	v_and_b32_e32 v9, v9, v10
	v_cndmask_b32_e64 v10, 1, 2, vcc
	v_cmp_eq_u32_e32 vcc, 0, v17
	v_and_b32_e32 v9, v9, v10
	v_cndmask_b32_e64 v10, 1, 2, vcc
	v_cmp_eq_u32_e32 vcc, 0, v34
	v_and_b32_e32 v9, v9, v10
	v_cndmask_b32_e64 v10, 1, 2, vcc
	v_cmp_eq_u32_e32 vcc, 0, v35
	v_and_b32_e32 v9, v9, v10
	v_cndmask_b32_e64 v10, 1, 2, vcc
	v_cmp_eq_u32_e32 vcc, 0, v36
	v_and_b32_e32 v9, v9, v10
	v_cndmask_b32_e64 v10, 1, 2, vcc
	v_cmp_eq_u32_e32 vcc, 0, v37
	v_and_b32_e32 v9, v9, v10
	v_cndmask_b32_e64 v10, 1, 2, vcc
	s_movk_i32 s30, 0x100
	v_and_b32_e32 v9, v9, v10
	v_cmp_gt_u32_e32 vcc, s30, v1
	v_add_u32_e32 v8, v50, v8
	v_cmp_ne_u32_e64 s[20:21], 0, v11
	v_cmp_ne_u32_e64 s[18:19], 0, v12
	;; [unrolled: 1-line block ×11, first 2 shown]
	s_mov_b64 s[36:37], -1
	v_cmp_gt_i16_e64 s[30:31], 2, v9
	s_barrier
	s_cbranch_vccz .LBB940_188
; %bb.182:
	s_and_saveexec_b64 s[36:37], s[30:31]
	s_cbranch_execz .LBB940_187
; %bb.183:
	v_cmp_ne_u16_e32 vcc, 1, v9
	s_mov_b64 s[38:39], 0
	s_and_saveexec_b64 s[30:31], vcc
	s_xor_b64 s[30:31], exec, s[30:31]
	s_cbranch_execnz .LBB940_237
; %bb.184:
	s_andn2_saveexec_b64 s[30:31], s[30:31]
	s_cbranch_execnz .LBB940_253
.LBB940_185:
	s_or_b64 exec, exec, s[30:31]
	s_and_b64 exec, exec, s[38:39]
	s_cbranch_execz .LBB940_187
.LBB940_186:
	v_sub_u32_e32 v10, v20, v8
	v_mov_b32_e32 v11, 0
	v_lshlrev_b64 v[10:11], 3, v[10:11]
	v_add_co_u32_e32 v10, vcc, v6, v10
	v_addc_co_u32_e32 v11, vcc, v7, v11, vcc
	global_store_dwordx2 v[10:11], v[2:3], off
.LBB940_187:
	s_or_b64 exec, exec, s[36:37]
	s_mov_b64 s[36:37], 0
.LBB940_188:
	s_and_b64 vcc, exec, s[36:37]
	s_cbranch_vccz .LBB940_198
; %bb.189:
	v_cmp_gt_i16_e32 vcc, 2, v9
	s_and_saveexec_b64 s[30:31], vcc
	s_cbranch_execz .LBB940_194
; %bb.190:
	v_cmp_ne_u16_e32 vcc, 1, v9
	s_mov_b64 s[38:39], 0
	s_and_saveexec_b64 s[36:37], vcc
	s_xor_b64 s[36:37], exec, s[36:37]
	s_cbranch_execnz .LBB940_254
; %bb.191:
	s_andn2_saveexec_b64 s[0:1], s[36:37]
	s_cbranch_execnz .LBB940_270
.LBB940_192:
	s_or_b64 exec, exec, s[0:1]
	s_and_b64 exec, exec, s[38:39]
	s_cbranch_execz .LBB940_194
.LBB940_193:
	v_sub_u32_e32 v8, v20, v8
	v_lshlrev_b32_e32 v8, 3, v8
	ds_write_b64 v8, v[2:3]
.LBB940_194:
	s_or_b64 exec, exec, s[30:31]
	v_cmp_lt_u32_e32 vcc, v0, v1
	s_waitcnt lgkmcnt(0)
	s_barrier
	s_and_saveexec_b64 s[0:1], vcc
	s_cbranch_execz .LBB940_197
; %bb.195:
	v_lshlrev_b32_e32 v8, 3, v0
	s_mov_b64 s[2:3], 0
	v_mov_b32_e32 v3, 0
	v_mov_b32_e32 v2, v0
.LBB940_196:                            ; =>This Inner Loop Header: Depth=1
	v_lshlrev_b64 v[10:11], 3, v[2:3]
	ds_read_b64 v[12:13], v8
	v_add_co_u32_e32 v10, vcc, v6, v10
	v_add_u32_e32 v2, 0x100, v2
	v_addc_co_u32_e32 v11, vcc, v7, v11, vcc
	v_cmp_ge_u32_e32 vcc, v2, v1
	v_add_u32_e32 v8, 0x800, v8
	s_or_b64 s[2:3], vcc, s[2:3]
	s_waitcnt lgkmcnt(0)
	global_store_dwordx2 v[10:11], v[12:13], off
	s_andn2_b64 exec, exec, s[2:3]
	s_cbranch_execnz .LBB940_196
.LBB940_197:
	s_or_b64 exec, exec, s[0:1]
.LBB940_198:
	s_movk_i32 s0, 0xff
	v_cmp_eq_u32_e32 vcc, s0, v0
	s_and_b64 s[0:1], vcc, s[44:45]
	s_and_saveexec_b64 s[2:3], s[0:1]
	s_cbranch_execz .LBB940_201
; %bb.199:
	v_add_co_u32_e32 v0, vcc, v46, v50
	v_addc_co_u32_e64 v1, s[0:1], 0, 0, vcc
	v_add_co_u32_e32 v0, vcc, v0, v18
	v_mov_b32_e32 v47, 0
	v_addc_co_u32_e32 v1, vcc, v1, v19, vcc
	s_cmpk_lg_i32 s33, 0xf00
	global_store_dwordx2 v47, v[0:1], s[34:35]
	s_cbranch_scc1 .LBB940_201
; %bb.200:
	v_lshlrev_b64 v[0:1], 3, v[46:47]
	v_add_co_u32_e32 v0, vcc, v4, v0
	v_addc_co_u32_e32 v1, vcc, v5, v1, vcc
	global_store_dwordx2 v[0:1], v[48:49], off offset:-8
.LBB940_201:
	s_endpgm
.LBB940_202:
	s_or_b64 exec, exec, s[4:5]
	v_mov_b32_e32 v96, s7
	s_and_saveexec_b64 s[0:1], s[60:61]
	s_cbranch_execnz .LBB940_54
	s_branch .LBB940_55
.LBB940_203:
	s_and_saveexec_b64 s[38:39], s[28:29]
	s_cbranch_execnz .LBB940_271
; %bb.204:
	s_or_b64 exec, exec, s[38:39]
	s_and_saveexec_b64 s[38:39], s[26:27]
	s_cbranch_execnz .LBB940_272
.LBB940_205:
	s_or_b64 exec, exec, s[38:39]
	s_and_saveexec_b64 s[38:39], s[24:25]
	s_cbranch_execnz .LBB940_273
.LBB940_206:
	s_or_b64 exec, exec, s[38:39]
	s_and_saveexec_b64 s[38:39], s[22:23]
	s_cbranch_execnz .LBB940_274
.LBB940_207:
	s_or_b64 exec, exec, s[38:39]
	s_and_saveexec_b64 s[38:39], s[20:21]
	s_cbranch_execnz .LBB940_275
.LBB940_208:
	s_or_b64 exec, exec, s[38:39]
	s_and_saveexec_b64 s[38:39], s[18:19]
	s_cbranch_execnz .LBB940_276
.LBB940_209:
	s_or_b64 exec, exec, s[38:39]
	s_and_saveexec_b64 s[38:39], s[16:17]
	s_cbranch_execnz .LBB940_277
.LBB940_210:
	s_or_b64 exec, exec, s[38:39]
	s_and_saveexec_b64 s[38:39], s[14:15]
	s_cbranch_execnz .LBB940_278
.LBB940_211:
	s_or_b64 exec, exec, s[38:39]
	s_and_saveexec_b64 s[38:39], s[12:13]
	s_cbranch_execnz .LBB940_279
.LBB940_212:
	s_or_b64 exec, exec, s[38:39]
	s_and_saveexec_b64 s[38:39], s[10:11]
	s_cbranch_execnz .LBB940_280
.LBB940_213:
	s_or_b64 exec, exec, s[38:39]
	s_and_saveexec_b64 s[38:39], s[8:9]
	s_cbranch_execnz .LBB940_281
.LBB940_214:
	s_or_b64 exec, exec, s[38:39]
	s_and_saveexec_b64 s[38:39], s[6:7]
	s_cbranch_execnz .LBB940_282
.LBB940_215:
	s_or_b64 exec, exec, s[38:39]
	s_and_saveexec_b64 s[38:39], s[4:5]
	s_cbranch_execnz .LBB940_283
.LBB940_216:
	s_or_b64 exec, exec, s[38:39]
	s_and_saveexec_b64 s[38:39], s[2:3]
	s_cbranch_execz .LBB940_218
.LBB940_217:
	v_sub_u32_e32 v38, v21, v50
	v_mov_b32_e32 v39, 0
	v_lshlrev_b64 v[38:39], 2, v[38:39]
	v_add_co_u32_e32 v38, vcc, v34, v38
	v_addc_co_u32_e32 v39, vcc, v35, v39, vcc
	global_store_dword v[38:39], v5, off
.LBB940_218:
	s_or_b64 exec, exec, s[38:39]
	s_and_b64 s[38:39], s[0:1], exec
	s_andn2_saveexec_b64 s[30:31], s[30:31]
	s_cbranch_execz .LBB940_156
.LBB940_219:
	v_sub_u32_e32 v38, v97, v50
	v_mov_b32_e32 v39, 0
	v_lshlrev_b64 v[40:41], 2, v[38:39]
	v_add_co_u32_e32 v40, vcc, v34, v40
	v_addc_co_u32_e32 v41, vcc, v35, v41, vcc
	v_sub_u32_e32 v38, v33, v50
	global_store_dword v[40:41], v16, off
	v_lshlrev_b64 v[40:41], 2, v[38:39]
	v_add_co_u32_e32 v40, vcc, v34, v40
	v_addc_co_u32_e32 v41, vcc, v35, v41, vcc
	v_sub_u32_e32 v38, v32, v50
	global_store_dword v[40:41], v17, off
	;; [unrolled: 5-line block ×12, first 2 shown]
	v_lshlrev_b64 v[40:41], 2, v[38:39]
	v_add_co_u32_e32 v40, vcc, v34, v40
	v_sub_u32_e32 v38, v21, v50
	v_addc_co_u32_e32 v41, vcc, v35, v41, vcc
	v_lshlrev_b64 v[38:39], 2, v[38:39]
	v_add_co_u32_e32 v38, vcc, v34, v38
	v_addc_co_u32_e32 v39, vcc, v35, v39, vcc
	s_or_b64 s[38:39], s[38:39], exec
	global_store_dword v[40:41], v4, off
	global_store_dword v[38:39], v5, off
	s_or_b64 exec, exec, s[30:31]
	s_and_b64 exec, exec, s[38:39]
	s_cbranch_execnz .LBB940_157
	s_branch .LBB940_158
.LBB940_220:
	s_and_saveexec_b64 s[38:39], s[28:29]
	s_cbranch_execnz .LBB940_284
; %bb.221:
	s_or_b64 exec, exec, s[38:39]
	s_and_saveexec_b64 s[28:29], s[26:27]
	s_cbranch_execnz .LBB940_285
.LBB940_222:
	s_or_b64 exec, exec, s[28:29]
	s_and_saveexec_b64 s[26:27], s[24:25]
	s_cbranch_execnz .LBB940_286
.LBB940_223:
	s_or_b64 exec, exec, s[26:27]
	s_and_saveexec_b64 s[24:25], s[22:23]
	s_cbranch_execnz .LBB940_287
.LBB940_224:
	s_or_b64 exec, exec, s[24:25]
	s_and_saveexec_b64 s[22:23], s[20:21]
	s_cbranch_execnz .LBB940_288
.LBB940_225:
	s_or_b64 exec, exec, s[22:23]
	s_and_saveexec_b64 s[20:21], s[18:19]
	s_cbranch_execnz .LBB940_289
.LBB940_226:
	s_or_b64 exec, exec, s[20:21]
	s_and_saveexec_b64 s[18:19], s[16:17]
	s_cbranch_execnz .LBB940_290
.LBB940_227:
	s_or_b64 exec, exec, s[18:19]
	s_and_saveexec_b64 s[16:17], s[14:15]
	s_cbranch_execnz .LBB940_291
.LBB940_228:
	s_or_b64 exec, exec, s[16:17]
	s_and_saveexec_b64 s[14:15], s[12:13]
	s_cbranch_execnz .LBB940_292
.LBB940_229:
	s_or_b64 exec, exec, s[14:15]
	s_and_saveexec_b64 s[12:13], s[10:11]
	s_cbranch_execnz .LBB940_293
.LBB940_230:
	s_or_b64 exec, exec, s[12:13]
	s_and_saveexec_b64 s[10:11], s[8:9]
	s_cbranch_execnz .LBB940_294
.LBB940_231:
	s_or_b64 exec, exec, s[10:11]
	s_and_saveexec_b64 s[8:9], s[6:7]
	s_cbranch_execnz .LBB940_295
.LBB940_232:
	s_or_b64 exec, exec, s[8:9]
	s_and_saveexec_b64 s[6:7], s[4:5]
	s_cbranch_execnz .LBB940_296
.LBB940_233:
	s_or_b64 exec, exec, s[6:7]
	s_and_saveexec_b64 s[4:5], s[2:3]
	s_cbranch_execz .LBB940_235
.LBB940_234:
	v_sub_u32_e32 v4, v21, v50
	v_lshlrev_b32_e32 v4, 2, v4
	ds_write_b32 v4, v5
.LBB940_235:
	s_or_b64 exec, exec, s[4:5]
	s_and_b64 s[38:39], s[0:1], exec
                                        ; implicit-def: $vgpr4
                                        ; implicit-def: $vgpr6
                                        ; implicit-def: $vgpr8
                                        ; implicit-def: $vgpr10
                                        ; implicit-def: $vgpr12
                                        ; implicit-def: $vgpr14
                                        ; implicit-def: $vgpr16
	s_andn2_saveexec_b64 s[0:1], s[36:37]
	s_cbranch_execz .LBB940_163
.LBB940_236:
	v_sub_u32_e32 v36, v97, v50
	v_lshlrev_b32_e32 v36, 2, v36
	ds_write_b32 v36, v16
	v_sub_u32_e32 v16, v33, v50
	v_lshlrev_b32_e32 v16, 2, v16
	ds_write_b32 v16, v17
	;; [unrolled: 3-line block ×13, first 2 shown]
	v_sub_u32_e32 v4, v21, v50
	v_lshlrev_b32_e32 v4, 2, v4
	s_or_b64 s[38:39], s[38:39], exec
	ds_write_b32 v4, v5
	s_or_b64 exec, exec, s[0:1]
	s_and_b64 exec, exec, s[38:39]
	s_cbranch_execnz .LBB940_164
	s_branch .LBB940_165
.LBB940_237:
	s_and_saveexec_b64 s[38:39], s[28:29]
	s_cbranch_execnz .LBB940_297
; %bb.238:
	s_or_b64 exec, exec, s[38:39]
	s_and_saveexec_b64 s[38:39], s[26:27]
	s_cbranch_execnz .LBB940_298
.LBB940_239:
	s_or_b64 exec, exec, s[38:39]
	s_and_saveexec_b64 s[38:39], s[24:25]
	s_cbranch_execnz .LBB940_299
.LBB940_240:
	s_or_b64 exec, exec, s[38:39]
	s_and_saveexec_b64 s[38:39], s[22:23]
	s_cbranch_execnz .LBB940_300
.LBB940_241:
	s_or_b64 exec, exec, s[38:39]
	s_and_saveexec_b64 s[38:39], s[20:21]
	s_cbranch_execnz .LBB940_301
.LBB940_242:
	s_or_b64 exec, exec, s[38:39]
	s_and_saveexec_b64 s[38:39], s[18:19]
	s_cbranch_execnz .LBB940_302
.LBB940_243:
	s_or_b64 exec, exec, s[38:39]
	s_and_saveexec_b64 s[38:39], s[16:17]
	s_cbranch_execnz .LBB940_303
.LBB940_244:
	s_or_b64 exec, exec, s[38:39]
	s_and_saveexec_b64 s[38:39], s[14:15]
	s_cbranch_execnz .LBB940_304
.LBB940_245:
	s_or_b64 exec, exec, s[38:39]
	s_and_saveexec_b64 s[38:39], s[12:13]
	s_cbranch_execnz .LBB940_305
.LBB940_246:
	s_or_b64 exec, exec, s[38:39]
	s_and_saveexec_b64 s[38:39], s[10:11]
	s_cbranch_execnz .LBB940_306
.LBB940_247:
	s_or_b64 exec, exec, s[38:39]
	s_and_saveexec_b64 s[38:39], s[8:9]
	s_cbranch_execnz .LBB940_307
.LBB940_248:
	s_or_b64 exec, exec, s[38:39]
	s_and_saveexec_b64 s[38:39], s[6:7]
	s_cbranch_execnz .LBB940_308
.LBB940_249:
	s_or_b64 exec, exec, s[38:39]
	s_and_saveexec_b64 s[38:39], s[4:5]
	s_cbranch_execnz .LBB940_309
.LBB940_250:
	s_or_b64 exec, exec, s[38:39]
	s_and_saveexec_b64 s[38:39], s[2:3]
	s_cbranch_execz .LBB940_252
.LBB940_251:
	v_sub_u32_e32 v10, v21, v8
	v_mov_b32_e32 v11, 0
	v_lshlrev_b64 v[10:11], 3, v[10:11]
	v_add_co_u32_e32 v10, vcc, v6, v10
	v_addc_co_u32_e32 v11, vcc, v7, v11, vcc
	global_store_dwordx2 v[10:11], v[78:79], off
.LBB940_252:
	s_or_b64 exec, exec, s[38:39]
	s_and_b64 s[38:39], s[0:1], exec
	s_andn2_saveexec_b64 s[30:31], s[30:31]
	s_cbranch_execz .LBB940_185
.LBB940_253:
	v_sub_u32_e32 v10, v97, v8
	v_mov_b32_e32 v11, 0
	v_lshlrev_b64 v[12:13], 3, v[10:11]
	v_add_co_u32_e32 v12, vcc, v6, v12
	v_addc_co_u32_e32 v13, vcc, v7, v13, vcc
	v_sub_u32_e32 v10, v33, v8
	global_store_dwordx2 v[12:13], v[76:77], off
	v_lshlrev_b64 v[12:13], 3, v[10:11]
	v_add_co_u32_e32 v12, vcc, v6, v12
	v_addc_co_u32_e32 v13, vcc, v7, v13, vcc
	v_sub_u32_e32 v10, v32, v8
	global_store_dwordx2 v[12:13], v[52:53], off
	;; [unrolled: 5-line block ×12, first 2 shown]
	v_lshlrev_b64 v[12:13], 3, v[10:11]
	v_add_co_u32_e32 v12, vcc, v6, v12
	v_sub_u32_e32 v10, v21, v8
	v_addc_co_u32_e32 v13, vcc, v7, v13, vcc
	v_lshlrev_b64 v[10:11], 3, v[10:11]
	v_add_co_u32_e32 v10, vcc, v6, v10
	v_addc_co_u32_e32 v11, vcc, v7, v11, vcc
	s_or_b64 s[38:39], s[38:39], exec
	global_store_dwordx2 v[12:13], v[74:75], off
	global_store_dwordx2 v[10:11], v[78:79], off
	s_or_b64 exec, exec, s[30:31]
	s_and_b64 exec, exec, s[38:39]
	s_cbranch_execnz .LBB940_186
	s_branch .LBB940_187
.LBB940_254:
	s_and_saveexec_b64 s[38:39], s[28:29]
	s_cbranch_execnz .LBB940_310
; %bb.255:
	s_or_b64 exec, exec, s[38:39]
	s_and_saveexec_b64 s[28:29], s[26:27]
	s_cbranch_execnz .LBB940_311
.LBB940_256:
	s_or_b64 exec, exec, s[28:29]
	s_and_saveexec_b64 s[26:27], s[24:25]
	s_cbranch_execnz .LBB940_312
.LBB940_257:
	s_or_b64 exec, exec, s[26:27]
	s_and_saveexec_b64 s[24:25], s[22:23]
	s_cbranch_execnz .LBB940_313
.LBB940_258:
	s_or_b64 exec, exec, s[24:25]
	s_and_saveexec_b64 s[22:23], s[20:21]
	s_cbranch_execnz .LBB940_314
.LBB940_259:
	s_or_b64 exec, exec, s[22:23]
	s_and_saveexec_b64 s[20:21], s[18:19]
	s_cbranch_execnz .LBB940_315
.LBB940_260:
	s_or_b64 exec, exec, s[20:21]
	s_and_saveexec_b64 s[18:19], s[16:17]
	s_cbranch_execnz .LBB940_316
.LBB940_261:
	s_or_b64 exec, exec, s[18:19]
	s_and_saveexec_b64 s[16:17], s[14:15]
	s_cbranch_execnz .LBB940_317
.LBB940_262:
	s_or_b64 exec, exec, s[16:17]
	s_and_saveexec_b64 s[14:15], s[12:13]
	s_cbranch_execnz .LBB940_318
.LBB940_263:
	s_or_b64 exec, exec, s[14:15]
	s_and_saveexec_b64 s[12:13], s[10:11]
	s_cbranch_execnz .LBB940_319
.LBB940_264:
	s_or_b64 exec, exec, s[12:13]
	s_and_saveexec_b64 s[10:11], s[8:9]
	s_cbranch_execnz .LBB940_320
.LBB940_265:
	s_or_b64 exec, exec, s[10:11]
	s_and_saveexec_b64 s[8:9], s[6:7]
	s_cbranch_execnz .LBB940_321
.LBB940_266:
	s_or_b64 exec, exec, s[8:9]
	s_and_saveexec_b64 s[6:7], s[4:5]
	s_cbranch_execnz .LBB940_322
.LBB940_267:
	s_or_b64 exec, exec, s[6:7]
	s_and_saveexec_b64 s[4:5], s[2:3]
	s_cbranch_execz .LBB940_269
.LBB940_268:
	v_sub_u32_e32 v9, v21, v8
	v_lshlrev_b32_e32 v9, 3, v9
	ds_write_b64 v9, v[78:79]
.LBB940_269:
	s_or_b64 exec, exec, s[4:5]
	s_and_b64 s[38:39], s[0:1], exec
                                        ; implicit-def: $vgpr76_vgpr77
                                        ; implicit-def: $vgpr52_vgpr53
                                        ; implicit-def: $vgpr54_vgpr55
                                        ; implicit-def: $vgpr56_vgpr57
                                        ; implicit-def: $vgpr58_vgpr59
                                        ; implicit-def: $vgpr60_vgpr61
                                        ; implicit-def: $vgpr62_vgpr63
                                        ; implicit-def: $vgpr64_vgpr65
                                        ; implicit-def: $vgpr66_vgpr67
                                        ; implicit-def: $vgpr68_vgpr69
                                        ; implicit-def: $vgpr70_vgpr71
                                        ; implicit-def: $vgpr72_vgpr73
                                        ; implicit-def: $vgpr74_vgpr75
                                        ; implicit-def: $vgpr78_vgpr79
                                        ; implicit-def: $vgpr97
                                        ; implicit-def: $vgpr33
                                        ; implicit-def: $vgpr32
                                        ; implicit-def: $vgpr31
                                        ; implicit-def: $vgpr30
                                        ; implicit-def: $vgpr29
                                        ; implicit-def: $vgpr28
                                        ; implicit-def: $vgpr27
                                        ; implicit-def: $vgpr26
                                        ; implicit-def: $vgpr25
                                        ; implicit-def: $vgpr24
                                        ; implicit-def: $vgpr23
                                        ; implicit-def: $vgpr22
                                        ; implicit-def: $vgpr21
	s_andn2_saveexec_b64 s[0:1], s[36:37]
	s_cbranch_execz .LBB940_192
.LBB940_270:
	v_sub_u32_e32 v9, v97, v8
	v_lshlrev_b32_e32 v9, 3, v9
	ds_write_b64 v9, v[76:77]
	v_sub_u32_e32 v9, v33, v8
	v_lshlrev_b32_e32 v9, 3, v9
	ds_write_b64 v9, v[52:53]
	;; [unrolled: 3-line block ×13, first 2 shown]
	v_sub_u32_e32 v9, v21, v8
	v_lshlrev_b32_e32 v9, 3, v9
	s_or_b64 s[38:39], s[38:39], exec
	ds_write_b64 v9, v[78:79]
	s_or_b64 exec, exec, s[0:1]
	s_and_b64 exec, exec, s[38:39]
	s_cbranch_execnz .LBB940_193
	s_branch .LBB940_194
.LBB940_271:
	v_sub_u32_e32 v38, v97, v50
	v_mov_b32_e32 v39, 0
	v_lshlrev_b64 v[38:39], 2, v[38:39]
	v_add_co_u32_e32 v38, vcc, v34, v38
	v_addc_co_u32_e32 v39, vcc, v35, v39, vcc
	global_store_dword v[38:39], v16, off
	s_or_b64 exec, exec, s[38:39]
	s_and_saveexec_b64 s[38:39], s[26:27]
	s_cbranch_execz .LBB940_205
.LBB940_272:
	v_sub_u32_e32 v38, v33, v50
	v_mov_b32_e32 v39, 0
	v_lshlrev_b64 v[38:39], 2, v[38:39]
	v_add_co_u32_e32 v38, vcc, v34, v38
	v_addc_co_u32_e32 v39, vcc, v35, v39, vcc
	global_store_dword v[38:39], v17, off
	s_or_b64 exec, exec, s[38:39]
	s_and_saveexec_b64 s[38:39], s[24:25]
	s_cbranch_execz .LBB940_206
.LBB940_273:
	v_sub_u32_e32 v38, v32, v50
	v_mov_b32_e32 v39, 0
	v_lshlrev_b64 v[38:39], 2, v[38:39]
	v_add_co_u32_e32 v38, vcc, v34, v38
	v_addc_co_u32_e32 v39, vcc, v35, v39, vcc
	global_store_dword v[38:39], v14, off
	s_or_b64 exec, exec, s[38:39]
	s_and_saveexec_b64 s[38:39], s[22:23]
	s_cbranch_execz .LBB940_207
.LBB940_274:
	v_sub_u32_e32 v38, v31, v50
	v_mov_b32_e32 v39, 0
	v_lshlrev_b64 v[38:39], 2, v[38:39]
	v_add_co_u32_e32 v38, vcc, v34, v38
	v_addc_co_u32_e32 v39, vcc, v35, v39, vcc
	global_store_dword v[38:39], v15, off
	s_or_b64 exec, exec, s[38:39]
	s_and_saveexec_b64 s[38:39], s[20:21]
	s_cbranch_execz .LBB940_208
.LBB940_275:
	v_sub_u32_e32 v38, v30, v50
	v_mov_b32_e32 v39, 0
	v_lshlrev_b64 v[38:39], 2, v[38:39]
	v_add_co_u32_e32 v38, vcc, v34, v38
	v_addc_co_u32_e32 v39, vcc, v35, v39, vcc
	global_store_dword v[38:39], v12, off
	s_or_b64 exec, exec, s[38:39]
	s_and_saveexec_b64 s[38:39], s[18:19]
	s_cbranch_execz .LBB940_209
.LBB940_276:
	v_sub_u32_e32 v38, v29, v50
	v_mov_b32_e32 v39, 0
	v_lshlrev_b64 v[38:39], 2, v[38:39]
	v_add_co_u32_e32 v38, vcc, v34, v38
	v_addc_co_u32_e32 v39, vcc, v35, v39, vcc
	global_store_dword v[38:39], v13, off
	s_or_b64 exec, exec, s[38:39]
	s_and_saveexec_b64 s[38:39], s[16:17]
	s_cbranch_execz .LBB940_210
.LBB940_277:
	v_sub_u32_e32 v38, v28, v50
	v_mov_b32_e32 v39, 0
	v_lshlrev_b64 v[38:39], 2, v[38:39]
	v_add_co_u32_e32 v38, vcc, v34, v38
	v_addc_co_u32_e32 v39, vcc, v35, v39, vcc
	global_store_dword v[38:39], v10, off
	s_or_b64 exec, exec, s[38:39]
	s_and_saveexec_b64 s[38:39], s[14:15]
	s_cbranch_execz .LBB940_211
.LBB940_278:
	v_sub_u32_e32 v38, v27, v50
	v_mov_b32_e32 v39, 0
	v_lshlrev_b64 v[38:39], 2, v[38:39]
	v_add_co_u32_e32 v38, vcc, v34, v38
	v_addc_co_u32_e32 v39, vcc, v35, v39, vcc
	global_store_dword v[38:39], v11, off
	s_or_b64 exec, exec, s[38:39]
	s_and_saveexec_b64 s[38:39], s[12:13]
	s_cbranch_execz .LBB940_212
.LBB940_279:
	v_sub_u32_e32 v38, v26, v50
	v_mov_b32_e32 v39, 0
	v_lshlrev_b64 v[38:39], 2, v[38:39]
	v_add_co_u32_e32 v38, vcc, v34, v38
	v_addc_co_u32_e32 v39, vcc, v35, v39, vcc
	global_store_dword v[38:39], v8, off
	s_or_b64 exec, exec, s[38:39]
	s_and_saveexec_b64 s[38:39], s[10:11]
	s_cbranch_execz .LBB940_213
.LBB940_280:
	v_sub_u32_e32 v38, v25, v50
	v_mov_b32_e32 v39, 0
	v_lshlrev_b64 v[38:39], 2, v[38:39]
	v_add_co_u32_e32 v38, vcc, v34, v38
	v_addc_co_u32_e32 v39, vcc, v35, v39, vcc
	global_store_dword v[38:39], v9, off
	s_or_b64 exec, exec, s[38:39]
	s_and_saveexec_b64 s[38:39], s[8:9]
	s_cbranch_execz .LBB940_214
.LBB940_281:
	v_sub_u32_e32 v38, v24, v50
	v_mov_b32_e32 v39, 0
	v_lshlrev_b64 v[38:39], 2, v[38:39]
	v_add_co_u32_e32 v38, vcc, v34, v38
	v_addc_co_u32_e32 v39, vcc, v35, v39, vcc
	global_store_dword v[38:39], v6, off
	s_or_b64 exec, exec, s[38:39]
	s_and_saveexec_b64 s[38:39], s[6:7]
	s_cbranch_execz .LBB940_215
.LBB940_282:
	v_sub_u32_e32 v38, v23, v50
	v_mov_b32_e32 v39, 0
	v_lshlrev_b64 v[38:39], 2, v[38:39]
	v_add_co_u32_e32 v38, vcc, v34, v38
	v_addc_co_u32_e32 v39, vcc, v35, v39, vcc
	global_store_dword v[38:39], v7, off
	s_or_b64 exec, exec, s[38:39]
	s_and_saveexec_b64 s[38:39], s[4:5]
	s_cbranch_execz .LBB940_216
.LBB940_283:
	v_sub_u32_e32 v38, v22, v50
	v_mov_b32_e32 v39, 0
	v_lshlrev_b64 v[38:39], 2, v[38:39]
	v_add_co_u32_e32 v38, vcc, v34, v38
	v_addc_co_u32_e32 v39, vcc, v35, v39, vcc
	global_store_dword v[38:39], v4, off
	s_or_b64 exec, exec, s[38:39]
	s_and_saveexec_b64 s[38:39], s[2:3]
	s_cbranch_execnz .LBB940_217
	s_branch .LBB940_218
.LBB940_284:
	v_sub_u32_e32 v36, v97, v50
	v_lshlrev_b32_e32 v36, 2, v36
	ds_write_b32 v36, v16
	s_or_b64 exec, exec, s[38:39]
	s_and_saveexec_b64 s[28:29], s[26:27]
	s_cbranch_execz .LBB940_222
.LBB940_285:
	v_sub_u32_e32 v16, v33, v50
	v_lshlrev_b32_e32 v16, 2, v16
	ds_write_b32 v16, v17
	s_or_b64 exec, exec, s[28:29]
	s_and_saveexec_b64 s[26:27], s[24:25]
	s_cbranch_execz .LBB940_223
.LBB940_286:
	v_sub_u32_e32 v16, v32, v50
	v_lshlrev_b32_e32 v16, 2, v16
	ds_write_b32 v16, v14
	s_or_b64 exec, exec, s[26:27]
	s_and_saveexec_b64 s[24:25], s[22:23]
	s_cbranch_execz .LBB940_224
.LBB940_287:
	v_sub_u32_e32 v14, v31, v50
	v_lshlrev_b32_e32 v14, 2, v14
	ds_write_b32 v14, v15
	s_or_b64 exec, exec, s[24:25]
	s_and_saveexec_b64 s[22:23], s[20:21]
	s_cbranch_execz .LBB940_225
.LBB940_288:
	v_sub_u32_e32 v14, v30, v50
	v_lshlrev_b32_e32 v14, 2, v14
	ds_write_b32 v14, v12
	s_or_b64 exec, exec, s[22:23]
	s_and_saveexec_b64 s[20:21], s[18:19]
	s_cbranch_execz .LBB940_226
.LBB940_289:
	v_sub_u32_e32 v12, v29, v50
	v_lshlrev_b32_e32 v12, 2, v12
	ds_write_b32 v12, v13
	s_or_b64 exec, exec, s[20:21]
	s_and_saveexec_b64 s[18:19], s[16:17]
	s_cbranch_execz .LBB940_227
.LBB940_290:
	v_sub_u32_e32 v12, v28, v50
	v_lshlrev_b32_e32 v12, 2, v12
	ds_write_b32 v12, v10
	s_or_b64 exec, exec, s[18:19]
	s_and_saveexec_b64 s[16:17], s[14:15]
	s_cbranch_execz .LBB940_228
.LBB940_291:
	v_sub_u32_e32 v10, v27, v50
	v_lshlrev_b32_e32 v10, 2, v10
	ds_write_b32 v10, v11
	s_or_b64 exec, exec, s[16:17]
	s_and_saveexec_b64 s[14:15], s[12:13]
	s_cbranch_execz .LBB940_229
.LBB940_292:
	v_sub_u32_e32 v10, v26, v50
	v_lshlrev_b32_e32 v10, 2, v10
	ds_write_b32 v10, v8
	s_or_b64 exec, exec, s[14:15]
	s_and_saveexec_b64 s[12:13], s[10:11]
	s_cbranch_execz .LBB940_230
.LBB940_293:
	v_sub_u32_e32 v8, v25, v50
	v_lshlrev_b32_e32 v8, 2, v8
	ds_write_b32 v8, v9
	s_or_b64 exec, exec, s[12:13]
	s_and_saveexec_b64 s[10:11], s[8:9]
	s_cbranch_execz .LBB940_231
.LBB940_294:
	v_sub_u32_e32 v8, v24, v50
	v_lshlrev_b32_e32 v8, 2, v8
	ds_write_b32 v8, v6
	s_or_b64 exec, exec, s[10:11]
	s_and_saveexec_b64 s[8:9], s[6:7]
	s_cbranch_execz .LBB940_232
.LBB940_295:
	v_sub_u32_e32 v6, v23, v50
	v_lshlrev_b32_e32 v6, 2, v6
	ds_write_b32 v6, v7
	s_or_b64 exec, exec, s[8:9]
	s_and_saveexec_b64 s[6:7], s[4:5]
	s_cbranch_execz .LBB940_233
.LBB940_296:
	v_sub_u32_e32 v6, v22, v50
	v_lshlrev_b32_e32 v6, 2, v6
	ds_write_b32 v6, v4
	s_or_b64 exec, exec, s[6:7]
	s_and_saveexec_b64 s[4:5], s[2:3]
	s_cbranch_execnz .LBB940_234
	s_branch .LBB940_235
.LBB940_297:
	v_sub_u32_e32 v10, v97, v8
	v_mov_b32_e32 v11, 0
	v_lshlrev_b64 v[10:11], 3, v[10:11]
	v_add_co_u32_e32 v10, vcc, v6, v10
	v_addc_co_u32_e32 v11, vcc, v7, v11, vcc
	global_store_dwordx2 v[10:11], v[76:77], off
	s_or_b64 exec, exec, s[38:39]
	s_and_saveexec_b64 s[38:39], s[26:27]
	s_cbranch_execz .LBB940_239
.LBB940_298:
	v_sub_u32_e32 v10, v33, v8
	v_mov_b32_e32 v11, 0
	v_lshlrev_b64 v[10:11], 3, v[10:11]
	v_add_co_u32_e32 v10, vcc, v6, v10
	v_addc_co_u32_e32 v11, vcc, v7, v11, vcc
	global_store_dwordx2 v[10:11], v[52:53], off
	s_or_b64 exec, exec, s[38:39]
	s_and_saveexec_b64 s[38:39], s[24:25]
	s_cbranch_execz .LBB940_240
.LBB940_299:
	v_sub_u32_e32 v10, v32, v8
	v_mov_b32_e32 v11, 0
	v_lshlrev_b64 v[10:11], 3, v[10:11]
	v_add_co_u32_e32 v10, vcc, v6, v10
	v_addc_co_u32_e32 v11, vcc, v7, v11, vcc
	global_store_dwordx2 v[10:11], v[54:55], off
	s_or_b64 exec, exec, s[38:39]
	s_and_saveexec_b64 s[38:39], s[22:23]
	s_cbranch_execz .LBB940_241
.LBB940_300:
	v_sub_u32_e32 v10, v31, v8
	v_mov_b32_e32 v11, 0
	v_lshlrev_b64 v[10:11], 3, v[10:11]
	v_add_co_u32_e32 v10, vcc, v6, v10
	v_addc_co_u32_e32 v11, vcc, v7, v11, vcc
	global_store_dwordx2 v[10:11], v[56:57], off
	s_or_b64 exec, exec, s[38:39]
	s_and_saveexec_b64 s[38:39], s[20:21]
	s_cbranch_execz .LBB940_242
.LBB940_301:
	v_sub_u32_e32 v10, v30, v8
	v_mov_b32_e32 v11, 0
	v_lshlrev_b64 v[10:11], 3, v[10:11]
	v_add_co_u32_e32 v10, vcc, v6, v10
	v_addc_co_u32_e32 v11, vcc, v7, v11, vcc
	global_store_dwordx2 v[10:11], v[58:59], off
	s_or_b64 exec, exec, s[38:39]
	s_and_saveexec_b64 s[38:39], s[18:19]
	s_cbranch_execz .LBB940_243
.LBB940_302:
	v_sub_u32_e32 v10, v29, v8
	v_mov_b32_e32 v11, 0
	v_lshlrev_b64 v[10:11], 3, v[10:11]
	v_add_co_u32_e32 v10, vcc, v6, v10
	v_addc_co_u32_e32 v11, vcc, v7, v11, vcc
	global_store_dwordx2 v[10:11], v[60:61], off
	s_or_b64 exec, exec, s[38:39]
	s_and_saveexec_b64 s[38:39], s[16:17]
	s_cbranch_execz .LBB940_244
.LBB940_303:
	v_sub_u32_e32 v10, v28, v8
	v_mov_b32_e32 v11, 0
	v_lshlrev_b64 v[10:11], 3, v[10:11]
	v_add_co_u32_e32 v10, vcc, v6, v10
	v_addc_co_u32_e32 v11, vcc, v7, v11, vcc
	global_store_dwordx2 v[10:11], v[62:63], off
	s_or_b64 exec, exec, s[38:39]
	s_and_saveexec_b64 s[38:39], s[14:15]
	s_cbranch_execz .LBB940_245
.LBB940_304:
	v_sub_u32_e32 v10, v27, v8
	v_mov_b32_e32 v11, 0
	v_lshlrev_b64 v[10:11], 3, v[10:11]
	v_add_co_u32_e32 v10, vcc, v6, v10
	v_addc_co_u32_e32 v11, vcc, v7, v11, vcc
	global_store_dwordx2 v[10:11], v[64:65], off
	s_or_b64 exec, exec, s[38:39]
	s_and_saveexec_b64 s[38:39], s[12:13]
	s_cbranch_execz .LBB940_246
.LBB940_305:
	v_sub_u32_e32 v10, v26, v8
	v_mov_b32_e32 v11, 0
	v_lshlrev_b64 v[10:11], 3, v[10:11]
	v_add_co_u32_e32 v10, vcc, v6, v10
	v_addc_co_u32_e32 v11, vcc, v7, v11, vcc
	global_store_dwordx2 v[10:11], v[66:67], off
	s_or_b64 exec, exec, s[38:39]
	s_and_saveexec_b64 s[38:39], s[10:11]
	s_cbranch_execz .LBB940_247
.LBB940_306:
	v_sub_u32_e32 v10, v25, v8
	v_mov_b32_e32 v11, 0
	v_lshlrev_b64 v[10:11], 3, v[10:11]
	v_add_co_u32_e32 v10, vcc, v6, v10
	v_addc_co_u32_e32 v11, vcc, v7, v11, vcc
	global_store_dwordx2 v[10:11], v[68:69], off
	s_or_b64 exec, exec, s[38:39]
	s_and_saveexec_b64 s[38:39], s[8:9]
	s_cbranch_execz .LBB940_248
.LBB940_307:
	v_sub_u32_e32 v10, v24, v8
	v_mov_b32_e32 v11, 0
	v_lshlrev_b64 v[10:11], 3, v[10:11]
	v_add_co_u32_e32 v10, vcc, v6, v10
	v_addc_co_u32_e32 v11, vcc, v7, v11, vcc
	global_store_dwordx2 v[10:11], v[70:71], off
	s_or_b64 exec, exec, s[38:39]
	s_and_saveexec_b64 s[38:39], s[6:7]
	s_cbranch_execz .LBB940_249
.LBB940_308:
	v_sub_u32_e32 v10, v23, v8
	v_mov_b32_e32 v11, 0
	v_lshlrev_b64 v[10:11], 3, v[10:11]
	v_add_co_u32_e32 v10, vcc, v6, v10
	v_addc_co_u32_e32 v11, vcc, v7, v11, vcc
	global_store_dwordx2 v[10:11], v[72:73], off
	s_or_b64 exec, exec, s[38:39]
	s_and_saveexec_b64 s[38:39], s[4:5]
	s_cbranch_execz .LBB940_250
.LBB940_309:
	v_sub_u32_e32 v10, v22, v8
	v_mov_b32_e32 v11, 0
	v_lshlrev_b64 v[10:11], 3, v[10:11]
	v_add_co_u32_e32 v10, vcc, v6, v10
	v_addc_co_u32_e32 v11, vcc, v7, v11, vcc
	global_store_dwordx2 v[10:11], v[74:75], off
	s_or_b64 exec, exec, s[38:39]
	s_and_saveexec_b64 s[38:39], s[2:3]
	s_cbranch_execnz .LBB940_251
	s_branch .LBB940_252
.LBB940_310:
	v_sub_u32_e32 v9, v97, v8
	v_lshlrev_b32_e32 v9, 3, v9
	ds_write_b64 v9, v[76:77]
	s_or_b64 exec, exec, s[38:39]
	s_and_saveexec_b64 s[28:29], s[26:27]
	s_cbranch_execz .LBB940_256
.LBB940_311:
	v_sub_u32_e32 v9, v33, v8
	v_lshlrev_b32_e32 v9, 3, v9
	ds_write_b64 v9, v[52:53]
	s_or_b64 exec, exec, s[28:29]
	s_and_saveexec_b64 s[26:27], s[24:25]
	s_cbranch_execz .LBB940_257
.LBB940_312:
	v_sub_u32_e32 v9, v32, v8
	v_lshlrev_b32_e32 v9, 3, v9
	ds_write_b64 v9, v[54:55]
	s_or_b64 exec, exec, s[26:27]
	s_and_saveexec_b64 s[24:25], s[22:23]
	s_cbranch_execz .LBB940_258
.LBB940_313:
	v_sub_u32_e32 v9, v31, v8
	v_lshlrev_b32_e32 v9, 3, v9
	ds_write_b64 v9, v[56:57]
	s_or_b64 exec, exec, s[24:25]
	s_and_saveexec_b64 s[22:23], s[20:21]
	s_cbranch_execz .LBB940_259
.LBB940_314:
	v_sub_u32_e32 v9, v30, v8
	v_lshlrev_b32_e32 v9, 3, v9
	ds_write_b64 v9, v[58:59]
	s_or_b64 exec, exec, s[22:23]
	s_and_saveexec_b64 s[20:21], s[18:19]
	s_cbranch_execz .LBB940_260
.LBB940_315:
	v_sub_u32_e32 v9, v29, v8
	v_lshlrev_b32_e32 v9, 3, v9
	ds_write_b64 v9, v[60:61]
	s_or_b64 exec, exec, s[20:21]
	s_and_saveexec_b64 s[18:19], s[16:17]
	s_cbranch_execz .LBB940_261
.LBB940_316:
	v_sub_u32_e32 v9, v28, v8
	v_lshlrev_b32_e32 v9, 3, v9
	ds_write_b64 v9, v[62:63]
	s_or_b64 exec, exec, s[18:19]
	s_and_saveexec_b64 s[16:17], s[14:15]
	s_cbranch_execz .LBB940_262
.LBB940_317:
	v_sub_u32_e32 v9, v27, v8
	v_lshlrev_b32_e32 v9, 3, v9
	ds_write_b64 v9, v[64:65]
	s_or_b64 exec, exec, s[16:17]
	s_and_saveexec_b64 s[14:15], s[12:13]
	s_cbranch_execz .LBB940_263
.LBB940_318:
	v_sub_u32_e32 v9, v26, v8
	v_lshlrev_b32_e32 v9, 3, v9
	ds_write_b64 v9, v[66:67]
	s_or_b64 exec, exec, s[14:15]
	s_and_saveexec_b64 s[12:13], s[10:11]
	s_cbranch_execz .LBB940_264
.LBB940_319:
	v_sub_u32_e32 v9, v25, v8
	v_lshlrev_b32_e32 v9, 3, v9
	ds_write_b64 v9, v[68:69]
	s_or_b64 exec, exec, s[12:13]
	s_and_saveexec_b64 s[10:11], s[8:9]
	s_cbranch_execz .LBB940_265
.LBB940_320:
	v_sub_u32_e32 v9, v24, v8
	v_lshlrev_b32_e32 v9, 3, v9
	ds_write_b64 v9, v[70:71]
	s_or_b64 exec, exec, s[10:11]
	s_and_saveexec_b64 s[8:9], s[6:7]
	s_cbranch_execz .LBB940_266
.LBB940_321:
	v_sub_u32_e32 v9, v23, v8
	v_lshlrev_b32_e32 v9, 3, v9
	ds_write_b64 v9, v[72:73]
	s_or_b64 exec, exec, s[8:9]
	s_and_saveexec_b64 s[6:7], s[4:5]
	s_cbranch_execz .LBB940_267
.LBB940_322:
	v_sub_u32_e32 v9, v22, v8
	v_lshlrev_b32_e32 v9, 3, v9
	ds_write_b64 v9, v[74:75]
	s_or_b64 exec, exec, s[6:7]
	s_and_saveexec_b64 s[4:5], s[2:3]
	s_cbranch_execnz .LBB940_268
	s_branch .LBB940_269
	.section	.rodata,"a",@progbits
	.p2align	6, 0x0
	.amdhsa_kernel _ZN7rocprim17ROCPRIM_400000_NS6detail17trampoline_kernelINS0_14default_configENS1_29reduce_by_key_config_selectorIilN6thrust23THRUST_200600_302600_NS4plusIlEEEEZZNS1_33reduce_by_key_impl_wrapped_configILNS1_25lookback_scan_determinismE0ES3_S9_PiNS6_17constant_iteratorIiNS6_11use_defaultESE_EENS6_10device_ptrIiEENSG_IlEEPmS8_NS6_8equal_toIiEEEE10hipError_tPvRmT2_T3_mT4_T5_T6_T7_T8_P12ihipStream_tbENKUlT_T0_E_clISt17integral_constantIbLb0EES13_EEDaSY_SZ_EUlSY_E_NS1_11comp_targetILNS1_3genE4ELNS1_11target_archE910ELNS1_3gpuE8ELNS1_3repE0EEENS1_30default_config_static_selectorELNS0_4arch9wavefront6targetE1EEEvT1_
		.amdhsa_group_segment_fixed_size 30720
		.amdhsa_private_segment_fixed_size 0
		.amdhsa_kernarg_size 144
		.amdhsa_user_sgpr_count 6
		.amdhsa_user_sgpr_private_segment_buffer 1
		.amdhsa_user_sgpr_dispatch_ptr 0
		.amdhsa_user_sgpr_queue_ptr 0
		.amdhsa_user_sgpr_kernarg_segment_ptr 1
		.amdhsa_user_sgpr_dispatch_id 0
		.amdhsa_user_sgpr_flat_scratch_init 0
		.amdhsa_user_sgpr_kernarg_preload_length 0
		.amdhsa_user_sgpr_kernarg_preload_offset 0
		.amdhsa_user_sgpr_private_segment_size 0
		.amdhsa_uses_dynamic_stack 0
		.amdhsa_system_sgpr_private_segment_wavefront_offset 0
		.amdhsa_system_sgpr_workgroup_id_x 1
		.amdhsa_system_sgpr_workgroup_id_y 0
		.amdhsa_system_sgpr_workgroup_id_z 0
		.amdhsa_system_sgpr_workgroup_info 0
		.amdhsa_system_vgpr_workitem_id 0
		.amdhsa_next_free_vgpr 122
		.amdhsa_next_free_sgpr 62
		.amdhsa_accum_offset 124
		.amdhsa_reserve_vcc 1
		.amdhsa_reserve_flat_scratch 0
		.amdhsa_float_round_mode_32 0
		.amdhsa_float_round_mode_16_64 0
		.amdhsa_float_denorm_mode_32 3
		.amdhsa_float_denorm_mode_16_64 3
		.amdhsa_dx10_clamp 1
		.amdhsa_ieee_mode 1
		.amdhsa_fp16_overflow 0
		.amdhsa_tg_split 0
		.amdhsa_exception_fp_ieee_invalid_op 0
		.amdhsa_exception_fp_denorm_src 0
		.amdhsa_exception_fp_ieee_div_zero 0
		.amdhsa_exception_fp_ieee_overflow 0
		.amdhsa_exception_fp_ieee_underflow 0
		.amdhsa_exception_fp_ieee_inexact 0
		.amdhsa_exception_int_div_zero 0
	.end_amdhsa_kernel
	.section	.text._ZN7rocprim17ROCPRIM_400000_NS6detail17trampoline_kernelINS0_14default_configENS1_29reduce_by_key_config_selectorIilN6thrust23THRUST_200600_302600_NS4plusIlEEEEZZNS1_33reduce_by_key_impl_wrapped_configILNS1_25lookback_scan_determinismE0ES3_S9_PiNS6_17constant_iteratorIiNS6_11use_defaultESE_EENS6_10device_ptrIiEENSG_IlEEPmS8_NS6_8equal_toIiEEEE10hipError_tPvRmT2_T3_mT4_T5_T6_T7_T8_P12ihipStream_tbENKUlT_T0_E_clISt17integral_constantIbLb0EES13_EEDaSY_SZ_EUlSY_E_NS1_11comp_targetILNS1_3genE4ELNS1_11target_archE910ELNS1_3gpuE8ELNS1_3repE0EEENS1_30default_config_static_selectorELNS0_4arch9wavefront6targetE1EEEvT1_,"axG",@progbits,_ZN7rocprim17ROCPRIM_400000_NS6detail17trampoline_kernelINS0_14default_configENS1_29reduce_by_key_config_selectorIilN6thrust23THRUST_200600_302600_NS4plusIlEEEEZZNS1_33reduce_by_key_impl_wrapped_configILNS1_25lookback_scan_determinismE0ES3_S9_PiNS6_17constant_iteratorIiNS6_11use_defaultESE_EENS6_10device_ptrIiEENSG_IlEEPmS8_NS6_8equal_toIiEEEE10hipError_tPvRmT2_T3_mT4_T5_T6_T7_T8_P12ihipStream_tbENKUlT_T0_E_clISt17integral_constantIbLb0EES13_EEDaSY_SZ_EUlSY_E_NS1_11comp_targetILNS1_3genE4ELNS1_11target_archE910ELNS1_3gpuE8ELNS1_3repE0EEENS1_30default_config_static_selectorELNS0_4arch9wavefront6targetE1EEEvT1_,comdat
.Lfunc_end940:
	.size	_ZN7rocprim17ROCPRIM_400000_NS6detail17trampoline_kernelINS0_14default_configENS1_29reduce_by_key_config_selectorIilN6thrust23THRUST_200600_302600_NS4plusIlEEEEZZNS1_33reduce_by_key_impl_wrapped_configILNS1_25lookback_scan_determinismE0ES3_S9_PiNS6_17constant_iteratorIiNS6_11use_defaultESE_EENS6_10device_ptrIiEENSG_IlEEPmS8_NS6_8equal_toIiEEEE10hipError_tPvRmT2_T3_mT4_T5_T6_T7_T8_P12ihipStream_tbENKUlT_T0_E_clISt17integral_constantIbLb0EES13_EEDaSY_SZ_EUlSY_E_NS1_11comp_targetILNS1_3genE4ELNS1_11target_archE910ELNS1_3gpuE8ELNS1_3repE0EEENS1_30default_config_static_selectorELNS0_4arch9wavefront6targetE1EEEvT1_, .Lfunc_end940-_ZN7rocprim17ROCPRIM_400000_NS6detail17trampoline_kernelINS0_14default_configENS1_29reduce_by_key_config_selectorIilN6thrust23THRUST_200600_302600_NS4plusIlEEEEZZNS1_33reduce_by_key_impl_wrapped_configILNS1_25lookback_scan_determinismE0ES3_S9_PiNS6_17constant_iteratorIiNS6_11use_defaultESE_EENS6_10device_ptrIiEENSG_IlEEPmS8_NS6_8equal_toIiEEEE10hipError_tPvRmT2_T3_mT4_T5_T6_T7_T8_P12ihipStream_tbENKUlT_T0_E_clISt17integral_constantIbLb0EES13_EEDaSY_SZ_EUlSY_E_NS1_11comp_targetILNS1_3genE4ELNS1_11target_archE910ELNS1_3gpuE8ELNS1_3repE0EEENS1_30default_config_static_selectorELNS0_4arch9wavefront6targetE1EEEvT1_
                                        ; -- End function
	.section	.AMDGPU.csdata,"",@progbits
; Kernel info:
; codeLenInByte = 16888
; NumSgprs: 66
; NumVgprs: 122
; NumAgprs: 0
; TotalNumVgprs: 122
; ScratchSize: 0
; MemoryBound: 0
; FloatMode: 240
; IeeeMode: 1
; LDSByteSize: 30720 bytes/workgroup (compile time only)
; SGPRBlocks: 8
; VGPRBlocks: 15
; NumSGPRsForWavesPerEU: 66
; NumVGPRsForWavesPerEU: 122
; AccumOffset: 124
; Occupancy: 2
; WaveLimiterHint : 1
; COMPUTE_PGM_RSRC2:SCRATCH_EN: 0
; COMPUTE_PGM_RSRC2:USER_SGPR: 6
; COMPUTE_PGM_RSRC2:TRAP_HANDLER: 0
; COMPUTE_PGM_RSRC2:TGID_X_EN: 1
; COMPUTE_PGM_RSRC2:TGID_Y_EN: 0
; COMPUTE_PGM_RSRC2:TGID_Z_EN: 0
; COMPUTE_PGM_RSRC2:TIDIG_COMP_CNT: 0
; COMPUTE_PGM_RSRC3_GFX90A:ACCUM_OFFSET: 30
; COMPUTE_PGM_RSRC3_GFX90A:TG_SPLIT: 0
	.section	.text._ZN7rocprim17ROCPRIM_400000_NS6detail17trampoline_kernelINS0_14default_configENS1_29reduce_by_key_config_selectorIilN6thrust23THRUST_200600_302600_NS4plusIlEEEEZZNS1_33reduce_by_key_impl_wrapped_configILNS1_25lookback_scan_determinismE0ES3_S9_PiNS6_17constant_iteratorIiNS6_11use_defaultESE_EENS6_10device_ptrIiEENSG_IlEEPmS8_NS6_8equal_toIiEEEE10hipError_tPvRmT2_T3_mT4_T5_T6_T7_T8_P12ihipStream_tbENKUlT_T0_E_clISt17integral_constantIbLb0EES13_EEDaSY_SZ_EUlSY_E_NS1_11comp_targetILNS1_3genE3ELNS1_11target_archE908ELNS1_3gpuE7ELNS1_3repE0EEENS1_30default_config_static_selectorELNS0_4arch9wavefront6targetE1EEEvT1_,"axG",@progbits,_ZN7rocprim17ROCPRIM_400000_NS6detail17trampoline_kernelINS0_14default_configENS1_29reduce_by_key_config_selectorIilN6thrust23THRUST_200600_302600_NS4plusIlEEEEZZNS1_33reduce_by_key_impl_wrapped_configILNS1_25lookback_scan_determinismE0ES3_S9_PiNS6_17constant_iteratorIiNS6_11use_defaultESE_EENS6_10device_ptrIiEENSG_IlEEPmS8_NS6_8equal_toIiEEEE10hipError_tPvRmT2_T3_mT4_T5_T6_T7_T8_P12ihipStream_tbENKUlT_T0_E_clISt17integral_constantIbLb0EES13_EEDaSY_SZ_EUlSY_E_NS1_11comp_targetILNS1_3genE3ELNS1_11target_archE908ELNS1_3gpuE7ELNS1_3repE0EEENS1_30default_config_static_selectorELNS0_4arch9wavefront6targetE1EEEvT1_,comdat
	.protected	_ZN7rocprim17ROCPRIM_400000_NS6detail17trampoline_kernelINS0_14default_configENS1_29reduce_by_key_config_selectorIilN6thrust23THRUST_200600_302600_NS4plusIlEEEEZZNS1_33reduce_by_key_impl_wrapped_configILNS1_25lookback_scan_determinismE0ES3_S9_PiNS6_17constant_iteratorIiNS6_11use_defaultESE_EENS6_10device_ptrIiEENSG_IlEEPmS8_NS6_8equal_toIiEEEE10hipError_tPvRmT2_T3_mT4_T5_T6_T7_T8_P12ihipStream_tbENKUlT_T0_E_clISt17integral_constantIbLb0EES13_EEDaSY_SZ_EUlSY_E_NS1_11comp_targetILNS1_3genE3ELNS1_11target_archE908ELNS1_3gpuE7ELNS1_3repE0EEENS1_30default_config_static_selectorELNS0_4arch9wavefront6targetE1EEEvT1_ ; -- Begin function _ZN7rocprim17ROCPRIM_400000_NS6detail17trampoline_kernelINS0_14default_configENS1_29reduce_by_key_config_selectorIilN6thrust23THRUST_200600_302600_NS4plusIlEEEEZZNS1_33reduce_by_key_impl_wrapped_configILNS1_25lookback_scan_determinismE0ES3_S9_PiNS6_17constant_iteratorIiNS6_11use_defaultESE_EENS6_10device_ptrIiEENSG_IlEEPmS8_NS6_8equal_toIiEEEE10hipError_tPvRmT2_T3_mT4_T5_T6_T7_T8_P12ihipStream_tbENKUlT_T0_E_clISt17integral_constantIbLb0EES13_EEDaSY_SZ_EUlSY_E_NS1_11comp_targetILNS1_3genE3ELNS1_11target_archE908ELNS1_3gpuE7ELNS1_3repE0EEENS1_30default_config_static_selectorELNS0_4arch9wavefront6targetE1EEEvT1_
	.globl	_ZN7rocprim17ROCPRIM_400000_NS6detail17trampoline_kernelINS0_14default_configENS1_29reduce_by_key_config_selectorIilN6thrust23THRUST_200600_302600_NS4plusIlEEEEZZNS1_33reduce_by_key_impl_wrapped_configILNS1_25lookback_scan_determinismE0ES3_S9_PiNS6_17constant_iteratorIiNS6_11use_defaultESE_EENS6_10device_ptrIiEENSG_IlEEPmS8_NS6_8equal_toIiEEEE10hipError_tPvRmT2_T3_mT4_T5_T6_T7_T8_P12ihipStream_tbENKUlT_T0_E_clISt17integral_constantIbLb0EES13_EEDaSY_SZ_EUlSY_E_NS1_11comp_targetILNS1_3genE3ELNS1_11target_archE908ELNS1_3gpuE7ELNS1_3repE0EEENS1_30default_config_static_selectorELNS0_4arch9wavefront6targetE1EEEvT1_
	.p2align	8
	.type	_ZN7rocprim17ROCPRIM_400000_NS6detail17trampoline_kernelINS0_14default_configENS1_29reduce_by_key_config_selectorIilN6thrust23THRUST_200600_302600_NS4plusIlEEEEZZNS1_33reduce_by_key_impl_wrapped_configILNS1_25lookback_scan_determinismE0ES3_S9_PiNS6_17constant_iteratorIiNS6_11use_defaultESE_EENS6_10device_ptrIiEENSG_IlEEPmS8_NS6_8equal_toIiEEEE10hipError_tPvRmT2_T3_mT4_T5_T6_T7_T8_P12ihipStream_tbENKUlT_T0_E_clISt17integral_constantIbLb0EES13_EEDaSY_SZ_EUlSY_E_NS1_11comp_targetILNS1_3genE3ELNS1_11target_archE908ELNS1_3gpuE7ELNS1_3repE0EEENS1_30default_config_static_selectorELNS0_4arch9wavefront6targetE1EEEvT1_,@function
_ZN7rocprim17ROCPRIM_400000_NS6detail17trampoline_kernelINS0_14default_configENS1_29reduce_by_key_config_selectorIilN6thrust23THRUST_200600_302600_NS4plusIlEEEEZZNS1_33reduce_by_key_impl_wrapped_configILNS1_25lookback_scan_determinismE0ES3_S9_PiNS6_17constant_iteratorIiNS6_11use_defaultESE_EENS6_10device_ptrIiEENSG_IlEEPmS8_NS6_8equal_toIiEEEE10hipError_tPvRmT2_T3_mT4_T5_T6_T7_T8_P12ihipStream_tbENKUlT_T0_E_clISt17integral_constantIbLb0EES13_EEDaSY_SZ_EUlSY_E_NS1_11comp_targetILNS1_3genE3ELNS1_11target_archE908ELNS1_3gpuE7ELNS1_3repE0EEENS1_30default_config_static_selectorELNS0_4arch9wavefront6targetE1EEEvT1_: ; @_ZN7rocprim17ROCPRIM_400000_NS6detail17trampoline_kernelINS0_14default_configENS1_29reduce_by_key_config_selectorIilN6thrust23THRUST_200600_302600_NS4plusIlEEEEZZNS1_33reduce_by_key_impl_wrapped_configILNS1_25lookback_scan_determinismE0ES3_S9_PiNS6_17constant_iteratorIiNS6_11use_defaultESE_EENS6_10device_ptrIiEENSG_IlEEPmS8_NS6_8equal_toIiEEEE10hipError_tPvRmT2_T3_mT4_T5_T6_T7_T8_P12ihipStream_tbENKUlT_T0_E_clISt17integral_constantIbLb0EES13_EEDaSY_SZ_EUlSY_E_NS1_11comp_targetILNS1_3genE3ELNS1_11target_archE908ELNS1_3gpuE7ELNS1_3repE0EEENS1_30default_config_static_selectorELNS0_4arch9wavefront6targetE1EEEvT1_
; %bb.0:
	.section	.rodata,"a",@progbits
	.p2align	6, 0x0
	.amdhsa_kernel _ZN7rocprim17ROCPRIM_400000_NS6detail17trampoline_kernelINS0_14default_configENS1_29reduce_by_key_config_selectorIilN6thrust23THRUST_200600_302600_NS4plusIlEEEEZZNS1_33reduce_by_key_impl_wrapped_configILNS1_25lookback_scan_determinismE0ES3_S9_PiNS6_17constant_iteratorIiNS6_11use_defaultESE_EENS6_10device_ptrIiEENSG_IlEEPmS8_NS6_8equal_toIiEEEE10hipError_tPvRmT2_T3_mT4_T5_T6_T7_T8_P12ihipStream_tbENKUlT_T0_E_clISt17integral_constantIbLb0EES13_EEDaSY_SZ_EUlSY_E_NS1_11comp_targetILNS1_3genE3ELNS1_11target_archE908ELNS1_3gpuE7ELNS1_3repE0EEENS1_30default_config_static_selectorELNS0_4arch9wavefront6targetE1EEEvT1_
		.amdhsa_group_segment_fixed_size 0
		.amdhsa_private_segment_fixed_size 0
		.amdhsa_kernarg_size 144
		.amdhsa_user_sgpr_count 6
		.amdhsa_user_sgpr_private_segment_buffer 1
		.amdhsa_user_sgpr_dispatch_ptr 0
		.amdhsa_user_sgpr_queue_ptr 0
		.amdhsa_user_sgpr_kernarg_segment_ptr 1
		.amdhsa_user_sgpr_dispatch_id 0
		.amdhsa_user_sgpr_flat_scratch_init 0
		.amdhsa_user_sgpr_kernarg_preload_length 0
		.amdhsa_user_sgpr_kernarg_preload_offset 0
		.amdhsa_user_sgpr_private_segment_size 0
		.amdhsa_uses_dynamic_stack 0
		.amdhsa_system_sgpr_private_segment_wavefront_offset 0
		.amdhsa_system_sgpr_workgroup_id_x 1
		.amdhsa_system_sgpr_workgroup_id_y 0
		.amdhsa_system_sgpr_workgroup_id_z 0
		.amdhsa_system_sgpr_workgroup_info 0
		.amdhsa_system_vgpr_workitem_id 0
		.amdhsa_next_free_vgpr 1
		.amdhsa_next_free_sgpr 0
		.amdhsa_accum_offset 4
		.amdhsa_reserve_vcc 0
		.amdhsa_reserve_flat_scratch 0
		.amdhsa_float_round_mode_32 0
		.amdhsa_float_round_mode_16_64 0
		.amdhsa_float_denorm_mode_32 3
		.amdhsa_float_denorm_mode_16_64 3
		.amdhsa_dx10_clamp 1
		.amdhsa_ieee_mode 1
		.amdhsa_fp16_overflow 0
		.amdhsa_tg_split 0
		.amdhsa_exception_fp_ieee_invalid_op 0
		.amdhsa_exception_fp_denorm_src 0
		.amdhsa_exception_fp_ieee_div_zero 0
		.amdhsa_exception_fp_ieee_overflow 0
		.amdhsa_exception_fp_ieee_underflow 0
		.amdhsa_exception_fp_ieee_inexact 0
		.amdhsa_exception_int_div_zero 0
	.end_amdhsa_kernel
	.section	.text._ZN7rocprim17ROCPRIM_400000_NS6detail17trampoline_kernelINS0_14default_configENS1_29reduce_by_key_config_selectorIilN6thrust23THRUST_200600_302600_NS4plusIlEEEEZZNS1_33reduce_by_key_impl_wrapped_configILNS1_25lookback_scan_determinismE0ES3_S9_PiNS6_17constant_iteratorIiNS6_11use_defaultESE_EENS6_10device_ptrIiEENSG_IlEEPmS8_NS6_8equal_toIiEEEE10hipError_tPvRmT2_T3_mT4_T5_T6_T7_T8_P12ihipStream_tbENKUlT_T0_E_clISt17integral_constantIbLb0EES13_EEDaSY_SZ_EUlSY_E_NS1_11comp_targetILNS1_3genE3ELNS1_11target_archE908ELNS1_3gpuE7ELNS1_3repE0EEENS1_30default_config_static_selectorELNS0_4arch9wavefront6targetE1EEEvT1_,"axG",@progbits,_ZN7rocprim17ROCPRIM_400000_NS6detail17trampoline_kernelINS0_14default_configENS1_29reduce_by_key_config_selectorIilN6thrust23THRUST_200600_302600_NS4plusIlEEEEZZNS1_33reduce_by_key_impl_wrapped_configILNS1_25lookback_scan_determinismE0ES3_S9_PiNS6_17constant_iteratorIiNS6_11use_defaultESE_EENS6_10device_ptrIiEENSG_IlEEPmS8_NS6_8equal_toIiEEEE10hipError_tPvRmT2_T3_mT4_T5_T6_T7_T8_P12ihipStream_tbENKUlT_T0_E_clISt17integral_constantIbLb0EES13_EEDaSY_SZ_EUlSY_E_NS1_11comp_targetILNS1_3genE3ELNS1_11target_archE908ELNS1_3gpuE7ELNS1_3repE0EEENS1_30default_config_static_selectorELNS0_4arch9wavefront6targetE1EEEvT1_,comdat
.Lfunc_end941:
	.size	_ZN7rocprim17ROCPRIM_400000_NS6detail17trampoline_kernelINS0_14default_configENS1_29reduce_by_key_config_selectorIilN6thrust23THRUST_200600_302600_NS4plusIlEEEEZZNS1_33reduce_by_key_impl_wrapped_configILNS1_25lookback_scan_determinismE0ES3_S9_PiNS6_17constant_iteratorIiNS6_11use_defaultESE_EENS6_10device_ptrIiEENSG_IlEEPmS8_NS6_8equal_toIiEEEE10hipError_tPvRmT2_T3_mT4_T5_T6_T7_T8_P12ihipStream_tbENKUlT_T0_E_clISt17integral_constantIbLb0EES13_EEDaSY_SZ_EUlSY_E_NS1_11comp_targetILNS1_3genE3ELNS1_11target_archE908ELNS1_3gpuE7ELNS1_3repE0EEENS1_30default_config_static_selectorELNS0_4arch9wavefront6targetE1EEEvT1_, .Lfunc_end941-_ZN7rocprim17ROCPRIM_400000_NS6detail17trampoline_kernelINS0_14default_configENS1_29reduce_by_key_config_selectorIilN6thrust23THRUST_200600_302600_NS4plusIlEEEEZZNS1_33reduce_by_key_impl_wrapped_configILNS1_25lookback_scan_determinismE0ES3_S9_PiNS6_17constant_iteratorIiNS6_11use_defaultESE_EENS6_10device_ptrIiEENSG_IlEEPmS8_NS6_8equal_toIiEEEE10hipError_tPvRmT2_T3_mT4_T5_T6_T7_T8_P12ihipStream_tbENKUlT_T0_E_clISt17integral_constantIbLb0EES13_EEDaSY_SZ_EUlSY_E_NS1_11comp_targetILNS1_3genE3ELNS1_11target_archE908ELNS1_3gpuE7ELNS1_3repE0EEENS1_30default_config_static_selectorELNS0_4arch9wavefront6targetE1EEEvT1_
                                        ; -- End function
	.section	.AMDGPU.csdata,"",@progbits
; Kernel info:
; codeLenInByte = 0
; NumSgprs: 4
; NumVgprs: 0
; NumAgprs: 0
; TotalNumVgprs: 0
; ScratchSize: 0
; MemoryBound: 0
; FloatMode: 240
; IeeeMode: 1
; LDSByteSize: 0 bytes/workgroup (compile time only)
; SGPRBlocks: 0
; VGPRBlocks: 0
; NumSGPRsForWavesPerEU: 4
; NumVGPRsForWavesPerEU: 1
; AccumOffset: 4
; Occupancy: 8
; WaveLimiterHint : 0
; COMPUTE_PGM_RSRC2:SCRATCH_EN: 0
; COMPUTE_PGM_RSRC2:USER_SGPR: 6
; COMPUTE_PGM_RSRC2:TRAP_HANDLER: 0
; COMPUTE_PGM_RSRC2:TGID_X_EN: 1
; COMPUTE_PGM_RSRC2:TGID_Y_EN: 0
; COMPUTE_PGM_RSRC2:TGID_Z_EN: 0
; COMPUTE_PGM_RSRC2:TIDIG_COMP_CNT: 0
; COMPUTE_PGM_RSRC3_GFX90A:ACCUM_OFFSET: 0
; COMPUTE_PGM_RSRC3_GFX90A:TG_SPLIT: 0
	.section	.text._ZN7rocprim17ROCPRIM_400000_NS6detail17trampoline_kernelINS0_14default_configENS1_29reduce_by_key_config_selectorIilN6thrust23THRUST_200600_302600_NS4plusIlEEEEZZNS1_33reduce_by_key_impl_wrapped_configILNS1_25lookback_scan_determinismE0ES3_S9_PiNS6_17constant_iteratorIiNS6_11use_defaultESE_EENS6_10device_ptrIiEENSG_IlEEPmS8_NS6_8equal_toIiEEEE10hipError_tPvRmT2_T3_mT4_T5_T6_T7_T8_P12ihipStream_tbENKUlT_T0_E_clISt17integral_constantIbLb0EES13_EEDaSY_SZ_EUlSY_E_NS1_11comp_targetILNS1_3genE2ELNS1_11target_archE906ELNS1_3gpuE6ELNS1_3repE0EEENS1_30default_config_static_selectorELNS0_4arch9wavefront6targetE1EEEvT1_,"axG",@progbits,_ZN7rocprim17ROCPRIM_400000_NS6detail17trampoline_kernelINS0_14default_configENS1_29reduce_by_key_config_selectorIilN6thrust23THRUST_200600_302600_NS4plusIlEEEEZZNS1_33reduce_by_key_impl_wrapped_configILNS1_25lookback_scan_determinismE0ES3_S9_PiNS6_17constant_iteratorIiNS6_11use_defaultESE_EENS6_10device_ptrIiEENSG_IlEEPmS8_NS6_8equal_toIiEEEE10hipError_tPvRmT2_T3_mT4_T5_T6_T7_T8_P12ihipStream_tbENKUlT_T0_E_clISt17integral_constantIbLb0EES13_EEDaSY_SZ_EUlSY_E_NS1_11comp_targetILNS1_3genE2ELNS1_11target_archE906ELNS1_3gpuE6ELNS1_3repE0EEENS1_30default_config_static_selectorELNS0_4arch9wavefront6targetE1EEEvT1_,comdat
	.protected	_ZN7rocprim17ROCPRIM_400000_NS6detail17trampoline_kernelINS0_14default_configENS1_29reduce_by_key_config_selectorIilN6thrust23THRUST_200600_302600_NS4plusIlEEEEZZNS1_33reduce_by_key_impl_wrapped_configILNS1_25lookback_scan_determinismE0ES3_S9_PiNS6_17constant_iteratorIiNS6_11use_defaultESE_EENS6_10device_ptrIiEENSG_IlEEPmS8_NS6_8equal_toIiEEEE10hipError_tPvRmT2_T3_mT4_T5_T6_T7_T8_P12ihipStream_tbENKUlT_T0_E_clISt17integral_constantIbLb0EES13_EEDaSY_SZ_EUlSY_E_NS1_11comp_targetILNS1_3genE2ELNS1_11target_archE906ELNS1_3gpuE6ELNS1_3repE0EEENS1_30default_config_static_selectorELNS0_4arch9wavefront6targetE1EEEvT1_ ; -- Begin function _ZN7rocprim17ROCPRIM_400000_NS6detail17trampoline_kernelINS0_14default_configENS1_29reduce_by_key_config_selectorIilN6thrust23THRUST_200600_302600_NS4plusIlEEEEZZNS1_33reduce_by_key_impl_wrapped_configILNS1_25lookback_scan_determinismE0ES3_S9_PiNS6_17constant_iteratorIiNS6_11use_defaultESE_EENS6_10device_ptrIiEENSG_IlEEPmS8_NS6_8equal_toIiEEEE10hipError_tPvRmT2_T3_mT4_T5_T6_T7_T8_P12ihipStream_tbENKUlT_T0_E_clISt17integral_constantIbLb0EES13_EEDaSY_SZ_EUlSY_E_NS1_11comp_targetILNS1_3genE2ELNS1_11target_archE906ELNS1_3gpuE6ELNS1_3repE0EEENS1_30default_config_static_selectorELNS0_4arch9wavefront6targetE1EEEvT1_
	.globl	_ZN7rocprim17ROCPRIM_400000_NS6detail17trampoline_kernelINS0_14default_configENS1_29reduce_by_key_config_selectorIilN6thrust23THRUST_200600_302600_NS4plusIlEEEEZZNS1_33reduce_by_key_impl_wrapped_configILNS1_25lookback_scan_determinismE0ES3_S9_PiNS6_17constant_iteratorIiNS6_11use_defaultESE_EENS6_10device_ptrIiEENSG_IlEEPmS8_NS6_8equal_toIiEEEE10hipError_tPvRmT2_T3_mT4_T5_T6_T7_T8_P12ihipStream_tbENKUlT_T0_E_clISt17integral_constantIbLb0EES13_EEDaSY_SZ_EUlSY_E_NS1_11comp_targetILNS1_3genE2ELNS1_11target_archE906ELNS1_3gpuE6ELNS1_3repE0EEENS1_30default_config_static_selectorELNS0_4arch9wavefront6targetE1EEEvT1_
	.p2align	8
	.type	_ZN7rocprim17ROCPRIM_400000_NS6detail17trampoline_kernelINS0_14default_configENS1_29reduce_by_key_config_selectorIilN6thrust23THRUST_200600_302600_NS4plusIlEEEEZZNS1_33reduce_by_key_impl_wrapped_configILNS1_25lookback_scan_determinismE0ES3_S9_PiNS6_17constant_iteratorIiNS6_11use_defaultESE_EENS6_10device_ptrIiEENSG_IlEEPmS8_NS6_8equal_toIiEEEE10hipError_tPvRmT2_T3_mT4_T5_T6_T7_T8_P12ihipStream_tbENKUlT_T0_E_clISt17integral_constantIbLb0EES13_EEDaSY_SZ_EUlSY_E_NS1_11comp_targetILNS1_3genE2ELNS1_11target_archE906ELNS1_3gpuE6ELNS1_3repE0EEENS1_30default_config_static_selectorELNS0_4arch9wavefront6targetE1EEEvT1_,@function
_ZN7rocprim17ROCPRIM_400000_NS6detail17trampoline_kernelINS0_14default_configENS1_29reduce_by_key_config_selectorIilN6thrust23THRUST_200600_302600_NS4plusIlEEEEZZNS1_33reduce_by_key_impl_wrapped_configILNS1_25lookback_scan_determinismE0ES3_S9_PiNS6_17constant_iteratorIiNS6_11use_defaultESE_EENS6_10device_ptrIiEENSG_IlEEPmS8_NS6_8equal_toIiEEEE10hipError_tPvRmT2_T3_mT4_T5_T6_T7_T8_P12ihipStream_tbENKUlT_T0_E_clISt17integral_constantIbLb0EES13_EEDaSY_SZ_EUlSY_E_NS1_11comp_targetILNS1_3genE2ELNS1_11target_archE906ELNS1_3gpuE6ELNS1_3repE0EEENS1_30default_config_static_selectorELNS0_4arch9wavefront6targetE1EEEvT1_: ; @_ZN7rocprim17ROCPRIM_400000_NS6detail17trampoline_kernelINS0_14default_configENS1_29reduce_by_key_config_selectorIilN6thrust23THRUST_200600_302600_NS4plusIlEEEEZZNS1_33reduce_by_key_impl_wrapped_configILNS1_25lookback_scan_determinismE0ES3_S9_PiNS6_17constant_iteratorIiNS6_11use_defaultESE_EENS6_10device_ptrIiEENSG_IlEEPmS8_NS6_8equal_toIiEEEE10hipError_tPvRmT2_T3_mT4_T5_T6_T7_T8_P12ihipStream_tbENKUlT_T0_E_clISt17integral_constantIbLb0EES13_EEDaSY_SZ_EUlSY_E_NS1_11comp_targetILNS1_3genE2ELNS1_11target_archE906ELNS1_3gpuE6ELNS1_3repE0EEENS1_30default_config_static_selectorELNS0_4arch9wavefront6targetE1EEEvT1_
; %bb.0:
	.section	.rodata,"a",@progbits
	.p2align	6, 0x0
	.amdhsa_kernel _ZN7rocprim17ROCPRIM_400000_NS6detail17trampoline_kernelINS0_14default_configENS1_29reduce_by_key_config_selectorIilN6thrust23THRUST_200600_302600_NS4plusIlEEEEZZNS1_33reduce_by_key_impl_wrapped_configILNS1_25lookback_scan_determinismE0ES3_S9_PiNS6_17constant_iteratorIiNS6_11use_defaultESE_EENS6_10device_ptrIiEENSG_IlEEPmS8_NS6_8equal_toIiEEEE10hipError_tPvRmT2_T3_mT4_T5_T6_T7_T8_P12ihipStream_tbENKUlT_T0_E_clISt17integral_constantIbLb0EES13_EEDaSY_SZ_EUlSY_E_NS1_11comp_targetILNS1_3genE2ELNS1_11target_archE906ELNS1_3gpuE6ELNS1_3repE0EEENS1_30default_config_static_selectorELNS0_4arch9wavefront6targetE1EEEvT1_
		.amdhsa_group_segment_fixed_size 0
		.amdhsa_private_segment_fixed_size 0
		.amdhsa_kernarg_size 144
		.amdhsa_user_sgpr_count 6
		.amdhsa_user_sgpr_private_segment_buffer 1
		.amdhsa_user_sgpr_dispatch_ptr 0
		.amdhsa_user_sgpr_queue_ptr 0
		.amdhsa_user_sgpr_kernarg_segment_ptr 1
		.amdhsa_user_sgpr_dispatch_id 0
		.amdhsa_user_sgpr_flat_scratch_init 0
		.amdhsa_user_sgpr_kernarg_preload_length 0
		.amdhsa_user_sgpr_kernarg_preload_offset 0
		.amdhsa_user_sgpr_private_segment_size 0
		.amdhsa_uses_dynamic_stack 0
		.amdhsa_system_sgpr_private_segment_wavefront_offset 0
		.amdhsa_system_sgpr_workgroup_id_x 1
		.amdhsa_system_sgpr_workgroup_id_y 0
		.amdhsa_system_sgpr_workgroup_id_z 0
		.amdhsa_system_sgpr_workgroup_info 0
		.amdhsa_system_vgpr_workitem_id 0
		.amdhsa_next_free_vgpr 1
		.amdhsa_next_free_sgpr 0
		.amdhsa_accum_offset 4
		.amdhsa_reserve_vcc 0
		.amdhsa_reserve_flat_scratch 0
		.amdhsa_float_round_mode_32 0
		.amdhsa_float_round_mode_16_64 0
		.amdhsa_float_denorm_mode_32 3
		.amdhsa_float_denorm_mode_16_64 3
		.amdhsa_dx10_clamp 1
		.amdhsa_ieee_mode 1
		.amdhsa_fp16_overflow 0
		.amdhsa_tg_split 0
		.amdhsa_exception_fp_ieee_invalid_op 0
		.amdhsa_exception_fp_denorm_src 0
		.amdhsa_exception_fp_ieee_div_zero 0
		.amdhsa_exception_fp_ieee_overflow 0
		.amdhsa_exception_fp_ieee_underflow 0
		.amdhsa_exception_fp_ieee_inexact 0
		.amdhsa_exception_int_div_zero 0
	.end_amdhsa_kernel
	.section	.text._ZN7rocprim17ROCPRIM_400000_NS6detail17trampoline_kernelINS0_14default_configENS1_29reduce_by_key_config_selectorIilN6thrust23THRUST_200600_302600_NS4plusIlEEEEZZNS1_33reduce_by_key_impl_wrapped_configILNS1_25lookback_scan_determinismE0ES3_S9_PiNS6_17constant_iteratorIiNS6_11use_defaultESE_EENS6_10device_ptrIiEENSG_IlEEPmS8_NS6_8equal_toIiEEEE10hipError_tPvRmT2_T3_mT4_T5_T6_T7_T8_P12ihipStream_tbENKUlT_T0_E_clISt17integral_constantIbLb0EES13_EEDaSY_SZ_EUlSY_E_NS1_11comp_targetILNS1_3genE2ELNS1_11target_archE906ELNS1_3gpuE6ELNS1_3repE0EEENS1_30default_config_static_selectorELNS0_4arch9wavefront6targetE1EEEvT1_,"axG",@progbits,_ZN7rocprim17ROCPRIM_400000_NS6detail17trampoline_kernelINS0_14default_configENS1_29reduce_by_key_config_selectorIilN6thrust23THRUST_200600_302600_NS4plusIlEEEEZZNS1_33reduce_by_key_impl_wrapped_configILNS1_25lookback_scan_determinismE0ES3_S9_PiNS6_17constant_iteratorIiNS6_11use_defaultESE_EENS6_10device_ptrIiEENSG_IlEEPmS8_NS6_8equal_toIiEEEE10hipError_tPvRmT2_T3_mT4_T5_T6_T7_T8_P12ihipStream_tbENKUlT_T0_E_clISt17integral_constantIbLb0EES13_EEDaSY_SZ_EUlSY_E_NS1_11comp_targetILNS1_3genE2ELNS1_11target_archE906ELNS1_3gpuE6ELNS1_3repE0EEENS1_30default_config_static_selectorELNS0_4arch9wavefront6targetE1EEEvT1_,comdat
.Lfunc_end942:
	.size	_ZN7rocprim17ROCPRIM_400000_NS6detail17trampoline_kernelINS0_14default_configENS1_29reduce_by_key_config_selectorIilN6thrust23THRUST_200600_302600_NS4plusIlEEEEZZNS1_33reduce_by_key_impl_wrapped_configILNS1_25lookback_scan_determinismE0ES3_S9_PiNS6_17constant_iteratorIiNS6_11use_defaultESE_EENS6_10device_ptrIiEENSG_IlEEPmS8_NS6_8equal_toIiEEEE10hipError_tPvRmT2_T3_mT4_T5_T6_T7_T8_P12ihipStream_tbENKUlT_T0_E_clISt17integral_constantIbLb0EES13_EEDaSY_SZ_EUlSY_E_NS1_11comp_targetILNS1_3genE2ELNS1_11target_archE906ELNS1_3gpuE6ELNS1_3repE0EEENS1_30default_config_static_selectorELNS0_4arch9wavefront6targetE1EEEvT1_, .Lfunc_end942-_ZN7rocprim17ROCPRIM_400000_NS6detail17trampoline_kernelINS0_14default_configENS1_29reduce_by_key_config_selectorIilN6thrust23THRUST_200600_302600_NS4plusIlEEEEZZNS1_33reduce_by_key_impl_wrapped_configILNS1_25lookback_scan_determinismE0ES3_S9_PiNS6_17constant_iteratorIiNS6_11use_defaultESE_EENS6_10device_ptrIiEENSG_IlEEPmS8_NS6_8equal_toIiEEEE10hipError_tPvRmT2_T3_mT4_T5_T6_T7_T8_P12ihipStream_tbENKUlT_T0_E_clISt17integral_constantIbLb0EES13_EEDaSY_SZ_EUlSY_E_NS1_11comp_targetILNS1_3genE2ELNS1_11target_archE906ELNS1_3gpuE6ELNS1_3repE0EEENS1_30default_config_static_selectorELNS0_4arch9wavefront6targetE1EEEvT1_
                                        ; -- End function
	.section	.AMDGPU.csdata,"",@progbits
; Kernel info:
; codeLenInByte = 0
; NumSgprs: 4
; NumVgprs: 0
; NumAgprs: 0
; TotalNumVgprs: 0
; ScratchSize: 0
; MemoryBound: 0
; FloatMode: 240
; IeeeMode: 1
; LDSByteSize: 0 bytes/workgroup (compile time only)
; SGPRBlocks: 0
; VGPRBlocks: 0
; NumSGPRsForWavesPerEU: 4
; NumVGPRsForWavesPerEU: 1
; AccumOffset: 4
; Occupancy: 8
; WaveLimiterHint : 0
; COMPUTE_PGM_RSRC2:SCRATCH_EN: 0
; COMPUTE_PGM_RSRC2:USER_SGPR: 6
; COMPUTE_PGM_RSRC2:TRAP_HANDLER: 0
; COMPUTE_PGM_RSRC2:TGID_X_EN: 1
; COMPUTE_PGM_RSRC2:TGID_Y_EN: 0
; COMPUTE_PGM_RSRC2:TGID_Z_EN: 0
; COMPUTE_PGM_RSRC2:TIDIG_COMP_CNT: 0
; COMPUTE_PGM_RSRC3_GFX90A:ACCUM_OFFSET: 0
; COMPUTE_PGM_RSRC3_GFX90A:TG_SPLIT: 0
	.section	.text._ZN7rocprim17ROCPRIM_400000_NS6detail17trampoline_kernelINS0_14default_configENS1_29reduce_by_key_config_selectorIilN6thrust23THRUST_200600_302600_NS4plusIlEEEEZZNS1_33reduce_by_key_impl_wrapped_configILNS1_25lookback_scan_determinismE0ES3_S9_PiNS6_17constant_iteratorIiNS6_11use_defaultESE_EENS6_10device_ptrIiEENSG_IlEEPmS8_NS6_8equal_toIiEEEE10hipError_tPvRmT2_T3_mT4_T5_T6_T7_T8_P12ihipStream_tbENKUlT_T0_E_clISt17integral_constantIbLb0EES13_EEDaSY_SZ_EUlSY_E_NS1_11comp_targetILNS1_3genE10ELNS1_11target_archE1201ELNS1_3gpuE5ELNS1_3repE0EEENS1_30default_config_static_selectorELNS0_4arch9wavefront6targetE1EEEvT1_,"axG",@progbits,_ZN7rocprim17ROCPRIM_400000_NS6detail17trampoline_kernelINS0_14default_configENS1_29reduce_by_key_config_selectorIilN6thrust23THRUST_200600_302600_NS4plusIlEEEEZZNS1_33reduce_by_key_impl_wrapped_configILNS1_25lookback_scan_determinismE0ES3_S9_PiNS6_17constant_iteratorIiNS6_11use_defaultESE_EENS6_10device_ptrIiEENSG_IlEEPmS8_NS6_8equal_toIiEEEE10hipError_tPvRmT2_T3_mT4_T5_T6_T7_T8_P12ihipStream_tbENKUlT_T0_E_clISt17integral_constantIbLb0EES13_EEDaSY_SZ_EUlSY_E_NS1_11comp_targetILNS1_3genE10ELNS1_11target_archE1201ELNS1_3gpuE5ELNS1_3repE0EEENS1_30default_config_static_selectorELNS0_4arch9wavefront6targetE1EEEvT1_,comdat
	.protected	_ZN7rocprim17ROCPRIM_400000_NS6detail17trampoline_kernelINS0_14default_configENS1_29reduce_by_key_config_selectorIilN6thrust23THRUST_200600_302600_NS4plusIlEEEEZZNS1_33reduce_by_key_impl_wrapped_configILNS1_25lookback_scan_determinismE0ES3_S9_PiNS6_17constant_iteratorIiNS6_11use_defaultESE_EENS6_10device_ptrIiEENSG_IlEEPmS8_NS6_8equal_toIiEEEE10hipError_tPvRmT2_T3_mT4_T5_T6_T7_T8_P12ihipStream_tbENKUlT_T0_E_clISt17integral_constantIbLb0EES13_EEDaSY_SZ_EUlSY_E_NS1_11comp_targetILNS1_3genE10ELNS1_11target_archE1201ELNS1_3gpuE5ELNS1_3repE0EEENS1_30default_config_static_selectorELNS0_4arch9wavefront6targetE1EEEvT1_ ; -- Begin function _ZN7rocprim17ROCPRIM_400000_NS6detail17trampoline_kernelINS0_14default_configENS1_29reduce_by_key_config_selectorIilN6thrust23THRUST_200600_302600_NS4plusIlEEEEZZNS1_33reduce_by_key_impl_wrapped_configILNS1_25lookback_scan_determinismE0ES3_S9_PiNS6_17constant_iteratorIiNS6_11use_defaultESE_EENS6_10device_ptrIiEENSG_IlEEPmS8_NS6_8equal_toIiEEEE10hipError_tPvRmT2_T3_mT4_T5_T6_T7_T8_P12ihipStream_tbENKUlT_T0_E_clISt17integral_constantIbLb0EES13_EEDaSY_SZ_EUlSY_E_NS1_11comp_targetILNS1_3genE10ELNS1_11target_archE1201ELNS1_3gpuE5ELNS1_3repE0EEENS1_30default_config_static_selectorELNS0_4arch9wavefront6targetE1EEEvT1_
	.globl	_ZN7rocprim17ROCPRIM_400000_NS6detail17trampoline_kernelINS0_14default_configENS1_29reduce_by_key_config_selectorIilN6thrust23THRUST_200600_302600_NS4plusIlEEEEZZNS1_33reduce_by_key_impl_wrapped_configILNS1_25lookback_scan_determinismE0ES3_S9_PiNS6_17constant_iteratorIiNS6_11use_defaultESE_EENS6_10device_ptrIiEENSG_IlEEPmS8_NS6_8equal_toIiEEEE10hipError_tPvRmT2_T3_mT4_T5_T6_T7_T8_P12ihipStream_tbENKUlT_T0_E_clISt17integral_constantIbLb0EES13_EEDaSY_SZ_EUlSY_E_NS1_11comp_targetILNS1_3genE10ELNS1_11target_archE1201ELNS1_3gpuE5ELNS1_3repE0EEENS1_30default_config_static_selectorELNS0_4arch9wavefront6targetE1EEEvT1_
	.p2align	8
	.type	_ZN7rocprim17ROCPRIM_400000_NS6detail17trampoline_kernelINS0_14default_configENS1_29reduce_by_key_config_selectorIilN6thrust23THRUST_200600_302600_NS4plusIlEEEEZZNS1_33reduce_by_key_impl_wrapped_configILNS1_25lookback_scan_determinismE0ES3_S9_PiNS6_17constant_iteratorIiNS6_11use_defaultESE_EENS6_10device_ptrIiEENSG_IlEEPmS8_NS6_8equal_toIiEEEE10hipError_tPvRmT2_T3_mT4_T5_T6_T7_T8_P12ihipStream_tbENKUlT_T0_E_clISt17integral_constantIbLb0EES13_EEDaSY_SZ_EUlSY_E_NS1_11comp_targetILNS1_3genE10ELNS1_11target_archE1201ELNS1_3gpuE5ELNS1_3repE0EEENS1_30default_config_static_selectorELNS0_4arch9wavefront6targetE1EEEvT1_,@function
_ZN7rocprim17ROCPRIM_400000_NS6detail17trampoline_kernelINS0_14default_configENS1_29reduce_by_key_config_selectorIilN6thrust23THRUST_200600_302600_NS4plusIlEEEEZZNS1_33reduce_by_key_impl_wrapped_configILNS1_25lookback_scan_determinismE0ES3_S9_PiNS6_17constant_iteratorIiNS6_11use_defaultESE_EENS6_10device_ptrIiEENSG_IlEEPmS8_NS6_8equal_toIiEEEE10hipError_tPvRmT2_T3_mT4_T5_T6_T7_T8_P12ihipStream_tbENKUlT_T0_E_clISt17integral_constantIbLb0EES13_EEDaSY_SZ_EUlSY_E_NS1_11comp_targetILNS1_3genE10ELNS1_11target_archE1201ELNS1_3gpuE5ELNS1_3repE0EEENS1_30default_config_static_selectorELNS0_4arch9wavefront6targetE1EEEvT1_: ; @_ZN7rocprim17ROCPRIM_400000_NS6detail17trampoline_kernelINS0_14default_configENS1_29reduce_by_key_config_selectorIilN6thrust23THRUST_200600_302600_NS4plusIlEEEEZZNS1_33reduce_by_key_impl_wrapped_configILNS1_25lookback_scan_determinismE0ES3_S9_PiNS6_17constant_iteratorIiNS6_11use_defaultESE_EENS6_10device_ptrIiEENSG_IlEEPmS8_NS6_8equal_toIiEEEE10hipError_tPvRmT2_T3_mT4_T5_T6_T7_T8_P12ihipStream_tbENKUlT_T0_E_clISt17integral_constantIbLb0EES13_EEDaSY_SZ_EUlSY_E_NS1_11comp_targetILNS1_3genE10ELNS1_11target_archE1201ELNS1_3gpuE5ELNS1_3repE0EEENS1_30default_config_static_selectorELNS0_4arch9wavefront6targetE1EEEvT1_
; %bb.0:
	.section	.rodata,"a",@progbits
	.p2align	6, 0x0
	.amdhsa_kernel _ZN7rocprim17ROCPRIM_400000_NS6detail17trampoline_kernelINS0_14default_configENS1_29reduce_by_key_config_selectorIilN6thrust23THRUST_200600_302600_NS4plusIlEEEEZZNS1_33reduce_by_key_impl_wrapped_configILNS1_25lookback_scan_determinismE0ES3_S9_PiNS6_17constant_iteratorIiNS6_11use_defaultESE_EENS6_10device_ptrIiEENSG_IlEEPmS8_NS6_8equal_toIiEEEE10hipError_tPvRmT2_T3_mT4_T5_T6_T7_T8_P12ihipStream_tbENKUlT_T0_E_clISt17integral_constantIbLb0EES13_EEDaSY_SZ_EUlSY_E_NS1_11comp_targetILNS1_3genE10ELNS1_11target_archE1201ELNS1_3gpuE5ELNS1_3repE0EEENS1_30default_config_static_selectorELNS0_4arch9wavefront6targetE1EEEvT1_
		.amdhsa_group_segment_fixed_size 0
		.amdhsa_private_segment_fixed_size 0
		.amdhsa_kernarg_size 144
		.amdhsa_user_sgpr_count 6
		.amdhsa_user_sgpr_private_segment_buffer 1
		.amdhsa_user_sgpr_dispatch_ptr 0
		.amdhsa_user_sgpr_queue_ptr 0
		.amdhsa_user_sgpr_kernarg_segment_ptr 1
		.amdhsa_user_sgpr_dispatch_id 0
		.amdhsa_user_sgpr_flat_scratch_init 0
		.amdhsa_user_sgpr_kernarg_preload_length 0
		.amdhsa_user_sgpr_kernarg_preload_offset 0
		.amdhsa_user_sgpr_private_segment_size 0
		.amdhsa_uses_dynamic_stack 0
		.amdhsa_system_sgpr_private_segment_wavefront_offset 0
		.amdhsa_system_sgpr_workgroup_id_x 1
		.amdhsa_system_sgpr_workgroup_id_y 0
		.amdhsa_system_sgpr_workgroup_id_z 0
		.amdhsa_system_sgpr_workgroup_info 0
		.amdhsa_system_vgpr_workitem_id 0
		.amdhsa_next_free_vgpr 1
		.amdhsa_next_free_sgpr 0
		.amdhsa_accum_offset 4
		.amdhsa_reserve_vcc 0
		.amdhsa_reserve_flat_scratch 0
		.amdhsa_float_round_mode_32 0
		.amdhsa_float_round_mode_16_64 0
		.amdhsa_float_denorm_mode_32 3
		.amdhsa_float_denorm_mode_16_64 3
		.amdhsa_dx10_clamp 1
		.amdhsa_ieee_mode 1
		.amdhsa_fp16_overflow 0
		.amdhsa_tg_split 0
		.amdhsa_exception_fp_ieee_invalid_op 0
		.amdhsa_exception_fp_denorm_src 0
		.amdhsa_exception_fp_ieee_div_zero 0
		.amdhsa_exception_fp_ieee_overflow 0
		.amdhsa_exception_fp_ieee_underflow 0
		.amdhsa_exception_fp_ieee_inexact 0
		.amdhsa_exception_int_div_zero 0
	.end_amdhsa_kernel
	.section	.text._ZN7rocprim17ROCPRIM_400000_NS6detail17trampoline_kernelINS0_14default_configENS1_29reduce_by_key_config_selectorIilN6thrust23THRUST_200600_302600_NS4plusIlEEEEZZNS1_33reduce_by_key_impl_wrapped_configILNS1_25lookback_scan_determinismE0ES3_S9_PiNS6_17constant_iteratorIiNS6_11use_defaultESE_EENS6_10device_ptrIiEENSG_IlEEPmS8_NS6_8equal_toIiEEEE10hipError_tPvRmT2_T3_mT4_T5_T6_T7_T8_P12ihipStream_tbENKUlT_T0_E_clISt17integral_constantIbLb0EES13_EEDaSY_SZ_EUlSY_E_NS1_11comp_targetILNS1_3genE10ELNS1_11target_archE1201ELNS1_3gpuE5ELNS1_3repE0EEENS1_30default_config_static_selectorELNS0_4arch9wavefront6targetE1EEEvT1_,"axG",@progbits,_ZN7rocprim17ROCPRIM_400000_NS6detail17trampoline_kernelINS0_14default_configENS1_29reduce_by_key_config_selectorIilN6thrust23THRUST_200600_302600_NS4plusIlEEEEZZNS1_33reduce_by_key_impl_wrapped_configILNS1_25lookback_scan_determinismE0ES3_S9_PiNS6_17constant_iteratorIiNS6_11use_defaultESE_EENS6_10device_ptrIiEENSG_IlEEPmS8_NS6_8equal_toIiEEEE10hipError_tPvRmT2_T3_mT4_T5_T6_T7_T8_P12ihipStream_tbENKUlT_T0_E_clISt17integral_constantIbLb0EES13_EEDaSY_SZ_EUlSY_E_NS1_11comp_targetILNS1_3genE10ELNS1_11target_archE1201ELNS1_3gpuE5ELNS1_3repE0EEENS1_30default_config_static_selectorELNS0_4arch9wavefront6targetE1EEEvT1_,comdat
.Lfunc_end943:
	.size	_ZN7rocprim17ROCPRIM_400000_NS6detail17trampoline_kernelINS0_14default_configENS1_29reduce_by_key_config_selectorIilN6thrust23THRUST_200600_302600_NS4plusIlEEEEZZNS1_33reduce_by_key_impl_wrapped_configILNS1_25lookback_scan_determinismE0ES3_S9_PiNS6_17constant_iteratorIiNS6_11use_defaultESE_EENS6_10device_ptrIiEENSG_IlEEPmS8_NS6_8equal_toIiEEEE10hipError_tPvRmT2_T3_mT4_T5_T6_T7_T8_P12ihipStream_tbENKUlT_T0_E_clISt17integral_constantIbLb0EES13_EEDaSY_SZ_EUlSY_E_NS1_11comp_targetILNS1_3genE10ELNS1_11target_archE1201ELNS1_3gpuE5ELNS1_3repE0EEENS1_30default_config_static_selectorELNS0_4arch9wavefront6targetE1EEEvT1_, .Lfunc_end943-_ZN7rocprim17ROCPRIM_400000_NS6detail17trampoline_kernelINS0_14default_configENS1_29reduce_by_key_config_selectorIilN6thrust23THRUST_200600_302600_NS4plusIlEEEEZZNS1_33reduce_by_key_impl_wrapped_configILNS1_25lookback_scan_determinismE0ES3_S9_PiNS6_17constant_iteratorIiNS6_11use_defaultESE_EENS6_10device_ptrIiEENSG_IlEEPmS8_NS6_8equal_toIiEEEE10hipError_tPvRmT2_T3_mT4_T5_T6_T7_T8_P12ihipStream_tbENKUlT_T0_E_clISt17integral_constantIbLb0EES13_EEDaSY_SZ_EUlSY_E_NS1_11comp_targetILNS1_3genE10ELNS1_11target_archE1201ELNS1_3gpuE5ELNS1_3repE0EEENS1_30default_config_static_selectorELNS0_4arch9wavefront6targetE1EEEvT1_
                                        ; -- End function
	.section	.AMDGPU.csdata,"",@progbits
; Kernel info:
; codeLenInByte = 0
; NumSgprs: 4
; NumVgprs: 0
; NumAgprs: 0
; TotalNumVgprs: 0
; ScratchSize: 0
; MemoryBound: 0
; FloatMode: 240
; IeeeMode: 1
; LDSByteSize: 0 bytes/workgroup (compile time only)
; SGPRBlocks: 0
; VGPRBlocks: 0
; NumSGPRsForWavesPerEU: 4
; NumVGPRsForWavesPerEU: 1
; AccumOffset: 4
; Occupancy: 8
; WaveLimiterHint : 0
; COMPUTE_PGM_RSRC2:SCRATCH_EN: 0
; COMPUTE_PGM_RSRC2:USER_SGPR: 6
; COMPUTE_PGM_RSRC2:TRAP_HANDLER: 0
; COMPUTE_PGM_RSRC2:TGID_X_EN: 1
; COMPUTE_PGM_RSRC2:TGID_Y_EN: 0
; COMPUTE_PGM_RSRC2:TGID_Z_EN: 0
; COMPUTE_PGM_RSRC2:TIDIG_COMP_CNT: 0
; COMPUTE_PGM_RSRC3_GFX90A:ACCUM_OFFSET: 0
; COMPUTE_PGM_RSRC3_GFX90A:TG_SPLIT: 0
	.section	.text._ZN7rocprim17ROCPRIM_400000_NS6detail17trampoline_kernelINS0_14default_configENS1_29reduce_by_key_config_selectorIilN6thrust23THRUST_200600_302600_NS4plusIlEEEEZZNS1_33reduce_by_key_impl_wrapped_configILNS1_25lookback_scan_determinismE0ES3_S9_PiNS6_17constant_iteratorIiNS6_11use_defaultESE_EENS6_10device_ptrIiEENSG_IlEEPmS8_NS6_8equal_toIiEEEE10hipError_tPvRmT2_T3_mT4_T5_T6_T7_T8_P12ihipStream_tbENKUlT_T0_E_clISt17integral_constantIbLb0EES13_EEDaSY_SZ_EUlSY_E_NS1_11comp_targetILNS1_3genE10ELNS1_11target_archE1200ELNS1_3gpuE4ELNS1_3repE0EEENS1_30default_config_static_selectorELNS0_4arch9wavefront6targetE1EEEvT1_,"axG",@progbits,_ZN7rocprim17ROCPRIM_400000_NS6detail17trampoline_kernelINS0_14default_configENS1_29reduce_by_key_config_selectorIilN6thrust23THRUST_200600_302600_NS4plusIlEEEEZZNS1_33reduce_by_key_impl_wrapped_configILNS1_25lookback_scan_determinismE0ES3_S9_PiNS6_17constant_iteratorIiNS6_11use_defaultESE_EENS6_10device_ptrIiEENSG_IlEEPmS8_NS6_8equal_toIiEEEE10hipError_tPvRmT2_T3_mT4_T5_T6_T7_T8_P12ihipStream_tbENKUlT_T0_E_clISt17integral_constantIbLb0EES13_EEDaSY_SZ_EUlSY_E_NS1_11comp_targetILNS1_3genE10ELNS1_11target_archE1200ELNS1_3gpuE4ELNS1_3repE0EEENS1_30default_config_static_selectorELNS0_4arch9wavefront6targetE1EEEvT1_,comdat
	.protected	_ZN7rocprim17ROCPRIM_400000_NS6detail17trampoline_kernelINS0_14default_configENS1_29reduce_by_key_config_selectorIilN6thrust23THRUST_200600_302600_NS4plusIlEEEEZZNS1_33reduce_by_key_impl_wrapped_configILNS1_25lookback_scan_determinismE0ES3_S9_PiNS6_17constant_iteratorIiNS6_11use_defaultESE_EENS6_10device_ptrIiEENSG_IlEEPmS8_NS6_8equal_toIiEEEE10hipError_tPvRmT2_T3_mT4_T5_T6_T7_T8_P12ihipStream_tbENKUlT_T0_E_clISt17integral_constantIbLb0EES13_EEDaSY_SZ_EUlSY_E_NS1_11comp_targetILNS1_3genE10ELNS1_11target_archE1200ELNS1_3gpuE4ELNS1_3repE0EEENS1_30default_config_static_selectorELNS0_4arch9wavefront6targetE1EEEvT1_ ; -- Begin function _ZN7rocprim17ROCPRIM_400000_NS6detail17trampoline_kernelINS0_14default_configENS1_29reduce_by_key_config_selectorIilN6thrust23THRUST_200600_302600_NS4plusIlEEEEZZNS1_33reduce_by_key_impl_wrapped_configILNS1_25lookback_scan_determinismE0ES3_S9_PiNS6_17constant_iteratorIiNS6_11use_defaultESE_EENS6_10device_ptrIiEENSG_IlEEPmS8_NS6_8equal_toIiEEEE10hipError_tPvRmT2_T3_mT4_T5_T6_T7_T8_P12ihipStream_tbENKUlT_T0_E_clISt17integral_constantIbLb0EES13_EEDaSY_SZ_EUlSY_E_NS1_11comp_targetILNS1_3genE10ELNS1_11target_archE1200ELNS1_3gpuE4ELNS1_3repE0EEENS1_30default_config_static_selectorELNS0_4arch9wavefront6targetE1EEEvT1_
	.globl	_ZN7rocprim17ROCPRIM_400000_NS6detail17trampoline_kernelINS0_14default_configENS1_29reduce_by_key_config_selectorIilN6thrust23THRUST_200600_302600_NS4plusIlEEEEZZNS1_33reduce_by_key_impl_wrapped_configILNS1_25lookback_scan_determinismE0ES3_S9_PiNS6_17constant_iteratorIiNS6_11use_defaultESE_EENS6_10device_ptrIiEENSG_IlEEPmS8_NS6_8equal_toIiEEEE10hipError_tPvRmT2_T3_mT4_T5_T6_T7_T8_P12ihipStream_tbENKUlT_T0_E_clISt17integral_constantIbLb0EES13_EEDaSY_SZ_EUlSY_E_NS1_11comp_targetILNS1_3genE10ELNS1_11target_archE1200ELNS1_3gpuE4ELNS1_3repE0EEENS1_30default_config_static_selectorELNS0_4arch9wavefront6targetE1EEEvT1_
	.p2align	8
	.type	_ZN7rocprim17ROCPRIM_400000_NS6detail17trampoline_kernelINS0_14default_configENS1_29reduce_by_key_config_selectorIilN6thrust23THRUST_200600_302600_NS4plusIlEEEEZZNS1_33reduce_by_key_impl_wrapped_configILNS1_25lookback_scan_determinismE0ES3_S9_PiNS6_17constant_iteratorIiNS6_11use_defaultESE_EENS6_10device_ptrIiEENSG_IlEEPmS8_NS6_8equal_toIiEEEE10hipError_tPvRmT2_T3_mT4_T5_T6_T7_T8_P12ihipStream_tbENKUlT_T0_E_clISt17integral_constantIbLb0EES13_EEDaSY_SZ_EUlSY_E_NS1_11comp_targetILNS1_3genE10ELNS1_11target_archE1200ELNS1_3gpuE4ELNS1_3repE0EEENS1_30default_config_static_selectorELNS0_4arch9wavefront6targetE1EEEvT1_,@function
_ZN7rocprim17ROCPRIM_400000_NS6detail17trampoline_kernelINS0_14default_configENS1_29reduce_by_key_config_selectorIilN6thrust23THRUST_200600_302600_NS4plusIlEEEEZZNS1_33reduce_by_key_impl_wrapped_configILNS1_25lookback_scan_determinismE0ES3_S9_PiNS6_17constant_iteratorIiNS6_11use_defaultESE_EENS6_10device_ptrIiEENSG_IlEEPmS8_NS6_8equal_toIiEEEE10hipError_tPvRmT2_T3_mT4_T5_T6_T7_T8_P12ihipStream_tbENKUlT_T0_E_clISt17integral_constantIbLb0EES13_EEDaSY_SZ_EUlSY_E_NS1_11comp_targetILNS1_3genE10ELNS1_11target_archE1200ELNS1_3gpuE4ELNS1_3repE0EEENS1_30default_config_static_selectorELNS0_4arch9wavefront6targetE1EEEvT1_: ; @_ZN7rocprim17ROCPRIM_400000_NS6detail17trampoline_kernelINS0_14default_configENS1_29reduce_by_key_config_selectorIilN6thrust23THRUST_200600_302600_NS4plusIlEEEEZZNS1_33reduce_by_key_impl_wrapped_configILNS1_25lookback_scan_determinismE0ES3_S9_PiNS6_17constant_iteratorIiNS6_11use_defaultESE_EENS6_10device_ptrIiEENSG_IlEEPmS8_NS6_8equal_toIiEEEE10hipError_tPvRmT2_T3_mT4_T5_T6_T7_T8_P12ihipStream_tbENKUlT_T0_E_clISt17integral_constantIbLb0EES13_EEDaSY_SZ_EUlSY_E_NS1_11comp_targetILNS1_3genE10ELNS1_11target_archE1200ELNS1_3gpuE4ELNS1_3repE0EEENS1_30default_config_static_selectorELNS0_4arch9wavefront6targetE1EEEvT1_
; %bb.0:
	.section	.rodata,"a",@progbits
	.p2align	6, 0x0
	.amdhsa_kernel _ZN7rocprim17ROCPRIM_400000_NS6detail17trampoline_kernelINS0_14default_configENS1_29reduce_by_key_config_selectorIilN6thrust23THRUST_200600_302600_NS4plusIlEEEEZZNS1_33reduce_by_key_impl_wrapped_configILNS1_25lookback_scan_determinismE0ES3_S9_PiNS6_17constant_iteratorIiNS6_11use_defaultESE_EENS6_10device_ptrIiEENSG_IlEEPmS8_NS6_8equal_toIiEEEE10hipError_tPvRmT2_T3_mT4_T5_T6_T7_T8_P12ihipStream_tbENKUlT_T0_E_clISt17integral_constantIbLb0EES13_EEDaSY_SZ_EUlSY_E_NS1_11comp_targetILNS1_3genE10ELNS1_11target_archE1200ELNS1_3gpuE4ELNS1_3repE0EEENS1_30default_config_static_selectorELNS0_4arch9wavefront6targetE1EEEvT1_
		.amdhsa_group_segment_fixed_size 0
		.amdhsa_private_segment_fixed_size 0
		.amdhsa_kernarg_size 144
		.amdhsa_user_sgpr_count 6
		.amdhsa_user_sgpr_private_segment_buffer 1
		.amdhsa_user_sgpr_dispatch_ptr 0
		.amdhsa_user_sgpr_queue_ptr 0
		.amdhsa_user_sgpr_kernarg_segment_ptr 1
		.amdhsa_user_sgpr_dispatch_id 0
		.amdhsa_user_sgpr_flat_scratch_init 0
		.amdhsa_user_sgpr_kernarg_preload_length 0
		.amdhsa_user_sgpr_kernarg_preload_offset 0
		.amdhsa_user_sgpr_private_segment_size 0
		.amdhsa_uses_dynamic_stack 0
		.amdhsa_system_sgpr_private_segment_wavefront_offset 0
		.amdhsa_system_sgpr_workgroup_id_x 1
		.amdhsa_system_sgpr_workgroup_id_y 0
		.amdhsa_system_sgpr_workgroup_id_z 0
		.amdhsa_system_sgpr_workgroup_info 0
		.amdhsa_system_vgpr_workitem_id 0
		.amdhsa_next_free_vgpr 1
		.amdhsa_next_free_sgpr 0
		.amdhsa_accum_offset 4
		.amdhsa_reserve_vcc 0
		.amdhsa_reserve_flat_scratch 0
		.amdhsa_float_round_mode_32 0
		.amdhsa_float_round_mode_16_64 0
		.amdhsa_float_denorm_mode_32 3
		.amdhsa_float_denorm_mode_16_64 3
		.amdhsa_dx10_clamp 1
		.amdhsa_ieee_mode 1
		.amdhsa_fp16_overflow 0
		.amdhsa_tg_split 0
		.amdhsa_exception_fp_ieee_invalid_op 0
		.amdhsa_exception_fp_denorm_src 0
		.amdhsa_exception_fp_ieee_div_zero 0
		.amdhsa_exception_fp_ieee_overflow 0
		.amdhsa_exception_fp_ieee_underflow 0
		.amdhsa_exception_fp_ieee_inexact 0
		.amdhsa_exception_int_div_zero 0
	.end_amdhsa_kernel
	.section	.text._ZN7rocprim17ROCPRIM_400000_NS6detail17trampoline_kernelINS0_14default_configENS1_29reduce_by_key_config_selectorIilN6thrust23THRUST_200600_302600_NS4plusIlEEEEZZNS1_33reduce_by_key_impl_wrapped_configILNS1_25lookback_scan_determinismE0ES3_S9_PiNS6_17constant_iteratorIiNS6_11use_defaultESE_EENS6_10device_ptrIiEENSG_IlEEPmS8_NS6_8equal_toIiEEEE10hipError_tPvRmT2_T3_mT4_T5_T6_T7_T8_P12ihipStream_tbENKUlT_T0_E_clISt17integral_constantIbLb0EES13_EEDaSY_SZ_EUlSY_E_NS1_11comp_targetILNS1_3genE10ELNS1_11target_archE1200ELNS1_3gpuE4ELNS1_3repE0EEENS1_30default_config_static_selectorELNS0_4arch9wavefront6targetE1EEEvT1_,"axG",@progbits,_ZN7rocprim17ROCPRIM_400000_NS6detail17trampoline_kernelINS0_14default_configENS1_29reduce_by_key_config_selectorIilN6thrust23THRUST_200600_302600_NS4plusIlEEEEZZNS1_33reduce_by_key_impl_wrapped_configILNS1_25lookback_scan_determinismE0ES3_S9_PiNS6_17constant_iteratorIiNS6_11use_defaultESE_EENS6_10device_ptrIiEENSG_IlEEPmS8_NS6_8equal_toIiEEEE10hipError_tPvRmT2_T3_mT4_T5_T6_T7_T8_P12ihipStream_tbENKUlT_T0_E_clISt17integral_constantIbLb0EES13_EEDaSY_SZ_EUlSY_E_NS1_11comp_targetILNS1_3genE10ELNS1_11target_archE1200ELNS1_3gpuE4ELNS1_3repE0EEENS1_30default_config_static_selectorELNS0_4arch9wavefront6targetE1EEEvT1_,comdat
.Lfunc_end944:
	.size	_ZN7rocprim17ROCPRIM_400000_NS6detail17trampoline_kernelINS0_14default_configENS1_29reduce_by_key_config_selectorIilN6thrust23THRUST_200600_302600_NS4plusIlEEEEZZNS1_33reduce_by_key_impl_wrapped_configILNS1_25lookback_scan_determinismE0ES3_S9_PiNS6_17constant_iteratorIiNS6_11use_defaultESE_EENS6_10device_ptrIiEENSG_IlEEPmS8_NS6_8equal_toIiEEEE10hipError_tPvRmT2_T3_mT4_T5_T6_T7_T8_P12ihipStream_tbENKUlT_T0_E_clISt17integral_constantIbLb0EES13_EEDaSY_SZ_EUlSY_E_NS1_11comp_targetILNS1_3genE10ELNS1_11target_archE1200ELNS1_3gpuE4ELNS1_3repE0EEENS1_30default_config_static_selectorELNS0_4arch9wavefront6targetE1EEEvT1_, .Lfunc_end944-_ZN7rocprim17ROCPRIM_400000_NS6detail17trampoline_kernelINS0_14default_configENS1_29reduce_by_key_config_selectorIilN6thrust23THRUST_200600_302600_NS4plusIlEEEEZZNS1_33reduce_by_key_impl_wrapped_configILNS1_25lookback_scan_determinismE0ES3_S9_PiNS6_17constant_iteratorIiNS6_11use_defaultESE_EENS6_10device_ptrIiEENSG_IlEEPmS8_NS6_8equal_toIiEEEE10hipError_tPvRmT2_T3_mT4_T5_T6_T7_T8_P12ihipStream_tbENKUlT_T0_E_clISt17integral_constantIbLb0EES13_EEDaSY_SZ_EUlSY_E_NS1_11comp_targetILNS1_3genE10ELNS1_11target_archE1200ELNS1_3gpuE4ELNS1_3repE0EEENS1_30default_config_static_selectorELNS0_4arch9wavefront6targetE1EEEvT1_
                                        ; -- End function
	.section	.AMDGPU.csdata,"",@progbits
; Kernel info:
; codeLenInByte = 0
; NumSgprs: 4
; NumVgprs: 0
; NumAgprs: 0
; TotalNumVgprs: 0
; ScratchSize: 0
; MemoryBound: 0
; FloatMode: 240
; IeeeMode: 1
; LDSByteSize: 0 bytes/workgroup (compile time only)
; SGPRBlocks: 0
; VGPRBlocks: 0
; NumSGPRsForWavesPerEU: 4
; NumVGPRsForWavesPerEU: 1
; AccumOffset: 4
; Occupancy: 8
; WaveLimiterHint : 0
; COMPUTE_PGM_RSRC2:SCRATCH_EN: 0
; COMPUTE_PGM_RSRC2:USER_SGPR: 6
; COMPUTE_PGM_RSRC2:TRAP_HANDLER: 0
; COMPUTE_PGM_RSRC2:TGID_X_EN: 1
; COMPUTE_PGM_RSRC2:TGID_Y_EN: 0
; COMPUTE_PGM_RSRC2:TGID_Z_EN: 0
; COMPUTE_PGM_RSRC2:TIDIG_COMP_CNT: 0
; COMPUTE_PGM_RSRC3_GFX90A:ACCUM_OFFSET: 0
; COMPUTE_PGM_RSRC3_GFX90A:TG_SPLIT: 0
	.section	.text._ZN7rocprim17ROCPRIM_400000_NS6detail17trampoline_kernelINS0_14default_configENS1_29reduce_by_key_config_selectorIilN6thrust23THRUST_200600_302600_NS4plusIlEEEEZZNS1_33reduce_by_key_impl_wrapped_configILNS1_25lookback_scan_determinismE0ES3_S9_PiNS6_17constant_iteratorIiNS6_11use_defaultESE_EENS6_10device_ptrIiEENSG_IlEEPmS8_NS6_8equal_toIiEEEE10hipError_tPvRmT2_T3_mT4_T5_T6_T7_T8_P12ihipStream_tbENKUlT_T0_E_clISt17integral_constantIbLb0EES13_EEDaSY_SZ_EUlSY_E_NS1_11comp_targetILNS1_3genE9ELNS1_11target_archE1100ELNS1_3gpuE3ELNS1_3repE0EEENS1_30default_config_static_selectorELNS0_4arch9wavefront6targetE1EEEvT1_,"axG",@progbits,_ZN7rocprim17ROCPRIM_400000_NS6detail17trampoline_kernelINS0_14default_configENS1_29reduce_by_key_config_selectorIilN6thrust23THRUST_200600_302600_NS4plusIlEEEEZZNS1_33reduce_by_key_impl_wrapped_configILNS1_25lookback_scan_determinismE0ES3_S9_PiNS6_17constant_iteratorIiNS6_11use_defaultESE_EENS6_10device_ptrIiEENSG_IlEEPmS8_NS6_8equal_toIiEEEE10hipError_tPvRmT2_T3_mT4_T5_T6_T7_T8_P12ihipStream_tbENKUlT_T0_E_clISt17integral_constantIbLb0EES13_EEDaSY_SZ_EUlSY_E_NS1_11comp_targetILNS1_3genE9ELNS1_11target_archE1100ELNS1_3gpuE3ELNS1_3repE0EEENS1_30default_config_static_selectorELNS0_4arch9wavefront6targetE1EEEvT1_,comdat
	.protected	_ZN7rocprim17ROCPRIM_400000_NS6detail17trampoline_kernelINS0_14default_configENS1_29reduce_by_key_config_selectorIilN6thrust23THRUST_200600_302600_NS4plusIlEEEEZZNS1_33reduce_by_key_impl_wrapped_configILNS1_25lookback_scan_determinismE0ES3_S9_PiNS6_17constant_iteratorIiNS6_11use_defaultESE_EENS6_10device_ptrIiEENSG_IlEEPmS8_NS6_8equal_toIiEEEE10hipError_tPvRmT2_T3_mT4_T5_T6_T7_T8_P12ihipStream_tbENKUlT_T0_E_clISt17integral_constantIbLb0EES13_EEDaSY_SZ_EUlSY_E_NS1_11comp_targetILNS1_3genE9ELNS1_11target_archE1100ELNS1_3gpuE3ELNS1_3repE0EEENS1_30default_config_static_selectorELNS0_4arch9wavefront6targetE1EEEvT1_ ; -- Begin function _ZN7rocprim17ROCPRIM_400000_NS6detail17trampoline_kernelINS0_14default_configENS1_29reduce_by_key_config_selectorIilN6thrust23THRUST_200600_302600_NS4plusIlEEEEZZNS1_33reduce_by_key_impl_wrapped_configILNS1_25lookback_scan_determinismE0ES3_S9_PiNS6_17constant_iteratorIiNS6_11use_defaultESE_EENS6_10device_ptrIiEENSG_IlEEPmS8_NS6_8equal_toIiEEEE10hipError_tPvRmT2_T3_mT4_T5_T6_T7_T8_P12ihipStream_tbENKUlT_T0_E_clISt17integral_constantIbLb0EES13_EEDaSY_SZ_EUlSY_E_NS1_11comp_targetILNS1_3genE9ELNS1_11target_archE1100ELNS1_3gpuE3ELNS1_3repE0EEENS1_30default_config_static_selectorELNS0_4arch9wavefront6targetE1EEEvT1_
	.globl	_ZN7rocprim17ROCPRIM_400000_NS6detail17trampoline_kernelINS0_14default_configENS1_29reduce_by_key_config_selectorIilN6thrust23THRUST_200600_302600_NS4plusIlEEEEZZNS1_33reduce_by_key_impl_wrapped_configILNS1_25lookback_scan_determinismE0ES3_S9_PiNS6_17constant_iteratorIiNS6_11use_defaultESE_EENS6_10device_ptrIiEENSG_IlEEPmS8_NS6_8equal_toIiEEEE10hipError_tPvRmT2_T3_mT4_T5_T6_T7_T8_P12ihipStream_tbENKUlT_T0_E_clISt17integral_constantIbLb0EES13_EEDaSY_SZ_EUlSY_E_NS1_11comp_targetILNS1_3genE9ELNS1_11target_archE1100ELNS1_3gpuE3ELNS1_3repE0EEENS1_30default_config_static_selectorELNS0_4arch9wavefront6targetE1EEEvT1_
	.p2align	8
	.type	_ZN7rocprim17ROCPRIM_400000_NS6detail17trampoline_kernelINS0_14default_configENS1_29reduce_by_key_config_selectorIilN6thrust23THRUST_200600_302600_NS4plusIlEEEEZZNS1_33reduce_by_key_impl_wrapped_configILNS1_25lookback_scan_determinismE0ES3_S9_PiNS6_17constant_iteratorIiNS6_11use_defaultESE_EENS6_10device_ptrIiEENSG_IlEEPmS8_NS6_8equal_toIiEEEE10hipError_tPvRmT2_T3_mT4_T5_T6_T7_T8_P12ihipStream_tbENKUlT_T0_E_clISt17integral_constantIbLb0EES13_EEDaSY_SZ_EUlSY_E_NS1_11comp_targetILNS1_3genE9ELNS1_11target_archE1100ELNS1_3gpuE3ELNS1_3repE0EEENS1_30default_config_static_selectorELNS0_4arch9wavefront6targetE1EEEvT1_,@function
_ZN7rocprim17ROCPRIM_400000_NS6detail17trampoline_kernelINS0_14default_configENS1_29reduce_by_key_config_selectorIilN6thrust23THRUST_200600_302600_NS4plusIlEEEEZZNS1_33reduce_by_key_impl_wrapped_configILNS1_25lookback_scan_determinismE0ES3_S9_PiNS6_17constant_iteratorIiNS6_11use_defaultESE_EENS6_10device_ptrIiEENSG_IlEEPmS8_NS6_8equal_toIiEEEE10hipError_tPvRmT2_T3_mT4_T5_T6_T7_T8_P12ihipStream_tbENKUlT_T0_E_clISt17integral_constantIbLb0EES13_EEDaSY_SZ_EUlSY_E_NS1_11comp_targetILNS1_3genE9ELNS1_11target_archE1100ELNS1_3gpuE3ELNS1_3repE0EEENS1_30default_config_static_selectorELNS0_4arch9wavefront6targetE1EEEvT1_: ; @_ZN7rocprim17ROCPRIM_400000_NS6detail17trampoline_kernelINS0_14default_configENS1_29reduce_by_key_config_selectorIilN6thrust23THRUST_200600_302600_NS4plusIlEEEEZZNS1_33reduce_by_key_impl_wrapped_configILNS1_25lookback_scan_determinismE0ES3_S9_PiNS6_17constant_iteratorIiNS6_11use_defaultESE_EENS6_10device_ptrIiEENSG_IlEEPmS8_NS6_8equal_toIiEEEE10hipError_tPvRmT2_T3_mT4_T5_T6_T7_T8_P12ihipStream_tbENKUlT_T0_E_clISt17integral_constantIbLb0EES13_EEDaSY_SZ_EUlSY_E_NS1_11comp_targetILNS1_3genE9ELNS1_11target_archE1100ELNS1_3gpuE3ELNS1_3repE0EEENS1_30default_config_static_selectorELNS0_4arch9wavefront6targetE1EEEvT1_
; %bb.0:
	.section	.rodata,"a",@progbits
	.p2align	6, 0x0
	.amdhsa_kernel _ZN7rocprim17ROCPRIM_400000_NS6detail17trampoline_kernelINS0_14default_configENS1_29reduce_by_key_config_selectorIilN6thrust23THRUST_200600_302600_NS4plusIlEEEEZZNS1_33reduce_by_key_impl_wrapped_configILNS1_25lookback_scan_determinismE0ES3_S9_PiNS6_17constant_iteratorIiNS6_11use_defaultESE_EENS6_10device_ptrIiEENSG_IlEEPmS8_NS6_8equal_toIiEEEE10hipError_tPvRmT2_T3_mT4_T5_T6_T7_T8_P12ihipStream_tbENKUlT_T0_E_clISt17integral_constantIbLb0EES13_EEDaSY_SZ_EUlSY_E_NS1_11comp_targetILNS1_3genE9ELNS1_11target_archE1100ELNS1_3gpuE3ELNS1_3repE0EEENS1_30default_config_static_selectorELNS0_4arch9wavefront6targetE1EEEvT1_
		.amdhsa_group_segment_fixed_size 0
		.amdhsa_private_segment_fixed_size 0
		.amdhsa_kernarg_size 144
		.amdhsa_user_sgpr_count 6
		.amdhsa_user_sgpr_private_segment_buffer 1
		.amdhsa_user_sgpr_dispatch_ptr 0
		.amdhsa_user_sgpr_queue_ptr 0
		.amdhsa_user_sgpr_kernarg_segment_ptr 1
		.amdhsa_user_sgpr_dispatch_id 0
		.amdhsa_user_sgpr_flat_scratch_init 0
		.amdhsa_user_sgpr_kernarg_preload_length 0
		.amdhsa_user_sgpr_kernarg_preload_offset 0
		.amdhsa_user_sgpr_private_segment_size 0
		.amdhsa_uses_dynamic_stack 0
		.amdhsa_system_sgpr_private_segment_wavefront_offset 0
		.amdhsa_system_sgpr_workgroup_id_x 1
		.amdhsa_system_sgpr_workgroup_id_y 0
		.amdhsa_system_sgpr_workgroup_id_z 0
		.amdhsa_system_sgpr_workgroup_info 0
		.amdhsa_system_vgpr_workitem_id 0
		.amdhsa_next_free_vgpr 1
		.amdhsa_next_free_sgpr 0
		.amdhsa_accum_offset 4
		.amdhsa_reserve_vcc 0
		.amdhsa_reserve_flat_scratch 0
		.amdhsa_float_round_mode_32 0
		.amdhsa_float_round_mode_16_64 0
		.amdhsa_float_denorm_mode_32 3
		.amdhsa_float_denorm_mode_16_64 3
		.amdhsa_dx10_clamp 1
		.amdhsa_ieee_mode 1
		.amdhsa_fp16_overflow 0
		.amdhsa_tg_split 0
		.amdhsa_exception_fp_ieee_invalid_op 0
		.amdhsa_exception_fp_denorm_src 0
		.amdhsa_exception_fp_ieee_div_zero 0
		.amdhsa_exception_fp_ieee_overflow 0
		.amdhsa_exception_fp_ieee_underflow 0
		.amdhsa_exception_fp_ieee_inexact 0
		.amdhsa_exception_int_div_zero 0
	.end_amdhsa_kernel
	.section	.text._ZN7rocprim17ROCPRIM_400000_NS6detail17trampoline_kernelINS0_14default_configENS1_29reduce_by_key_config_selectorIilN6thrust23THRUST_200600_302600_NS4plusIlEEEEZZNS1_33reduce_by_key_impl_wrapped_configILNS1_25lookback_scan_determinismE0ES3_S9_PiNS6_17constant_iteratorIiNS6_11use_defaultESE_EENS6_10device_ptrIiEENSG_IlEEPmS8_NS6_8equal_toIiEEEE10hipError_tPvRmT2_T3_mT4_T5_T6_T7_T8_P12ihipStream_tbENKUlT_T0_E_clISt17integral_constantIbLb0EES13_EEDaSY_SZ_EUlSY_E_NS1_11comp_targetILNS1_3genE9ELNS1_11target_archE1100ELNS1_3gpuE3ELNS1_3repE0EEENS1_30default_config_static_selectorELNS0_4arch9wavefront6targetE1EEEvT1_,"axG",@progbits,_ZN7rocprim17ROCPRIM_400000_NS6detail17trampoline_kernelINS0_14default_configENS1_29reduce_by_key_config_selectorIilN6thrust23THRUST_200600_302600_NS4plusIlEEEEZZNS1_33reduce_by_key_impl_wrapped_configILNS1_25lookback_scan_determinismE0ES3_S9_PiNS6_17constant_iteratorIiNS6_11use_defaultESE_EENS6_10device_ptrIiEENSG_IlEEPmS8_NS6_8equal_toIiEEEE10hipError_tPvRmT2_T3_mT4_T5_T6_T7_T8_P12ihipStream_tbENKUlT_T0_E_clISt17integral_constantIbLb0EES13_EEDaSY_SZ_EUlSY_E_NS1_11comp_targetILNS1_3genE9ELNS1_11target_archE1100ELNS1_3gpuE3ELNS1_3repE0EEENS1_30default_config_static_selectorELNS0_4arch9wavefront6targetE1EEEvT1_,comdat
.Lfunc_end945:
	.size	_ZN7rocprim17ROCPRIM_400000_NS6detail17trampoline_kernelINS0_14default_configENS1_29reduce_by_key_config_selectorIilN6thrust23THRUST_200600_302600_NS4plusIlEEEEZZNS1_33reduce_by_key_impl_wrapped_configILNS1_25lookback_scan_determinismE0ES3_S9_PiNS6_17constant_iteratorIiNS6_11use_defaultESE_EENS6_10device_ptrIiEENSG_IlEEPmS8_NS6_8equal_toIiEEEE10hipError_tPvRmT2_T3_mT4_T5_T6_T7_T8_P12ihipStream_tbENKUlT_T0_E_clISt17integral_constantIbLb0EES13_EEDaSY_SZ_EUlSY_E_NS1_11comp_targetILNS1_3genE9ELNS1_11target_archE1100ELNS1_3gpuE3ELNS1_3repE0EEENS1_30default_config_static_selectorELNS0_4arch9wavefront6targetE1EEEvT1_, .Lfunc_end945-_ZN7rocprim17ROCPRIM_400000_NS6detail17trampoline_kernelINS0_14default_configENS1_29reduce_by_key_config_selectorIilN6thrust23THRUST_200600_302600_NS4plusIlEEEEZZNS1_33reduce_by_key_impl_wrapped_configILNS1_25lookback_scan_determinismE0ES3_S9_PiNS6_17constant_iteratorIiNS6_11use_defaultESE_EENS6_10device_ptrIiEENSG_IlEEPmS8_NS6_8equal_toIiEEEE10hipError_tPvRmT2_T3_mT4_T5_T6_T7_T8_P12ihipStream_tbENKUlT_T0_E_clISt17integral_constantIbLb0EES13_EEDaSY_SZ_EUlSY_E_NS1_11comp_targetILNS1_3genE9ELNS1_11target_archE1100ELNS1_3gpuE3ELNS1_3repE0EEENS1_30default_config_static_selectorELNS0_4arch9wavefront6targetE1EEEvT1_
                                        ; -- End function
	.section	.AMDGPU.csdata,"",@progbits
; Kernel info:
; codeLenInByte = 0
; NumSgprs: 4
; NumVgprs: 0
; NumAgprs: 0
; TotalNumVgprs: 0
; ScratchSize: 0
; MemoryBound: 0
; FloatMode: 240
; IeeeMode: 1
; LDSByteSize: 0 bytes/workgroup (compile time only)
; SGPRBlocks: 0
; VGPRBlocks: 0
; NumSGPRsForWavesPerEU: 4
; NumVGPRsForWavesPerEU: 1
; AccumOffset: 4
; Occupancy: 8
; WaveLimiterHint : 0
; COMPUTE_PGM_RSRC2:SCRATCH_EN: 0
; COMPUTE_PGM_RSRC2:USER_SGPR: 6
; COMPUTE_PGM_RSRC2:TRAP_HANDLER: 0
; COMPUTE_PGM_RSRC2:TGID_X_EN: 1
; COMPUTE_PGM_RSRC2:TGID_Y_EN: 0
; COMPUTE_PGM_RSRC2:TGID_Z_EN: 0
; COMPUTE_PGM_RSRC2:TIDIG_COMP_CNT: 0
; COMPUTE_PGM_RSRC3_GFX90A:ACCUM_OFFSET: 0
; COMPUTE_PGM_RSRC3_GFX90A:TG_SPLIT: 0
	.section	.text._ZN7rocprim17ROCPRIM_400000_NS6detail17trampoline_kernelINS0_14default_configENS1_29reduce_by_key_config_selectorIilN6thrust23THRUST_200600_302600_NS4plusIlEEEEZZNS1_33reduce_by_key_impl_wrapped_configILNS1_25lookback_scan_determinismE0ES3_S9_PiNS6_17constant_iteratorIiNS6_11use_defaultESE_EENS6_10device_ptrIiEENSG_IlEEPmS8_NS6_8equal_toIiEEEE10hipError_tPvRmT2_T3_mT4_T5_T6_T7_T8_P12ihipStream_tbENKUlT_T0_E_clISt17integral_constantIbLb0EES13_EEDaSY_SZ_EUlSY_E_NS1_11comp_targetILNS1_3genE8ELNS1_11target_archE1030ELNS1_3gpuE2ELNS1_3repE0EEENS1_30default_config_static_selectorELNS0_4arch9wavefront6targetE1EEEvT1_,"axG",@progbits,_ZN7rocprim17ROCPRIM_400000_NS6detail17trampoline_kernelINS0_14default_configENS1_29reduce_by_key_config_selectorIilN6thrust23THRUST_200600_302600_NS4plusIlEEEEZZNS1_33reduce_by_key_impl_wrapped_configILNS1_25lookback_scan_determinismE0ES3_S9_PiNS6_17constant_iteratorIiNS6_11use_defaultESE_EENS6_10device_ptrIiEENSG_IlEEPmS8_NS6_8equal_toIiEEEE10hipError_tPvRmT2_T3_mT4_T5_T6_T7_T8_P12ihipStream_tbENKUlT_T0_E_clISt17integral_constantIbLb0EES13_EEDaSY_SZ_EUlSY_E_NS1_11comp_targetILNS1_3genE8ELNS1_11target_archE1030ELNS1_3gpuE2ELNS1_3repE0EEENS1_30default_config_static_selectorELNS0_4arch9wavefront6targetE1EEEvT1_,comdat
	.protected	_ZN7rocprim17ROCPRIM_400000_NS6detail17trampoline_kernelINS0_14default_configENS1_29reduce_by_key_config_selectorIilN6thrust23THRUST_200600_302600_NS4plusIlEEEEZZNS1_33reduce_by_key_impl_wrapped_configILNS1_25lookback_scan_determinismE0ES3_S9_PiNS6_17constant_iteratorIiNS6_11use_defaultESE_EENS6_10device_ptrIiEENSG_IlEEPmS8_NS6_8equal_toIiEEEE10hipError_tPvRmT2_T3_mT4_T5_T6_T7_T8_P12ihipStream_tbENKUlT_T0_E_clISt17integral_constantIbLb0EES13_EEDaSY_SZ_EUlSY_E_NS1_11comp_targetILNS1_3genE8ELNS1_11target_archE1030ELNS1_3gpuE2ELNS1_3repE0EEENS1_30default_config_static_selectorELNS0_4arch9wavefront6targetE1EEEvT1_ ; -- Begin function _ZN7rocprim17ROCPRIM_400000_NS6detail17trampoline_kernelINS0_14default_configENS1_29reduce_by_key_config_selectorIilN6thrust23THRUST_200600_302600_NS4plusIlEEEEZZNS1_33reduce_by_key_impl_wrapped_configILNS1_25lookback_scan_determinismE0ES3_S9_PiNS6_17constant_iteratorIiNS6_11use_defaultESE_EENS6_10device_ptrIiEENSG_IlEEPmS8_NS6_8equal_toIiEEEE10hipError_tPvRmT2_T3_mT4_T5_T6_T7_T8_P12ihipStream_tbENKUlT_T0_E_clISt17integral_constantIbLb0EES13_EEDaSY_SZ_EUlSY_E_NS1_11comp_targetILNS1_3genE8ELNS1_11target_archE1030ELNS1_3gpuE2ELNS1_3repE0EEENS1_30default_config_static_selectorELNS0_4arch9wavefront6targetE1EEEvT1_
	.globl	_ZN7rocprim17ROCPRIM_400000_NS6detail17trampoline_kernelINS0_14default_configENS1_29reduce_by_key_config_selectorIilN6thrust23THRUST_200600_302600_NS4plusIlEEEEZZNS1_33reduce_by_key_impl_wrapped_configILNS1_25lookback_scan_determinismE0ES3_S9_PiNS6_17constant_iteratorIiNS6_11use_defaultESE_EENS6_10device_ptrIiEENSG_IlEEPmS8_NS6_8equal_toIiEEEE10hipError_tPvRmT2_T3_mT4_T5_T6_T7_T8_P12ihipStream_tbENKUlT_T0_E_clISt17integral_constantIbLb0EES13_EEDaSY_SZ_EUlSY_E_NS1_11comp_targetILNS1_3genE8ELNS1_11target_archE1030ELNS1_3gpuE2ELNS1_3repE0EEENS1_30default_config_static_selectorELNS0_4arch9wavefront6targetE1EEEvT1_
	.p2align	8
	.type	_ZN7rocprim17ROCPRIM_400000_NS6detail17trampoline_kernelINS0_14default_configENS1_29reduce_by_key_config_selectorIilN6thrust23THRUST_200600_302600_NS4plusIlEEEEZZNS1_33reduce_by_key_impl_wrapped_configILNS1_25lookback_scan_determinismE0ES3_S9_PiNS6_17constant_iteratorIiNS6_11use_defaultESE_EENS6_10device_ptrIiEENSG_IlEEPmS8_NS6_8equal_toIiEEEE10hipError_tPvRmT2_T3_mT4_T5_T6_T7_T8_P12ihipStream_tbENKUlT_T0_E_clISt17integral_constantIbLb0EES13_EEDaSY_SZ_EUlSY_E_NS1_11comp_targetILNS1_3genE8ELNS1_11target_archE1030ELNS1_3gpuE2ELNS1_3repE0EEENS1_30default_config_static_selectorELNS0_4arch9wavefront6targetE1EEEvT1_,@function
_ZN7rocprim17ROCPRIM_400000_NS6detail17trampoline_kernelINS0_14default_configENS1_29reduce_by_key_config_selectorIilN6thrust23THRUST_200600_302600_NS4plusIlEEEEZZNS1_33reduce_by_key_impl_wrapped_configILNS1_25lookback_scan_determinismE0ES3_S9_PiNS6_17constant_iteratorIiNS6_11use_defaultESE_EENS6_10device_ptrIiEENSG_IlEEPmS8_NS6_8equal_toIiEEEE10hipError_tPvRmT2_T3_mT4_T5_T6_T7_T8_P12ihipStream_tbENKUlT_T0_E_clISt17integral_constantIbLb0EES13_EEDaSY_SZ_EUlSY_E_NS1_11comp_targetILNS1_3genE8ELNS1_11target_archE1030ELNS1_3gpuE2ELNS1_3repE0EEENS1_30default_config_static_selectorELNS0_4arch9wavefront6targetE1EEEvT1_: ; @_ZN7rocprim17ROCPRIM_400000_NS6detail17trampoline_kernelINS0_14default_configENS1_29reduce_by_key_config_selectorIilN6thrust23THRUST_200600_302600_NS4plusIlEEEEZZNS1_33reduce_by_key_impl_wrapped_configILNS1_25lookback_scan_determinismE0ES3_S9_PiNS6_17constant_iteratorIiNS6_11use_defaultESE_EENS6_10device_ptrIiEENSG_IlEEPmS8_NS6_8equal_toIiEEEE10hipError_tPvRmT2_T3_mT4_T5_T6_T7_T8_P12ihipStream_tbENKUlT_T0_E_clISt17integral_constantIbLb0EES13_EEDaSY_SZ_EUlSY_E_NS1_11comp_targetILNS1_3genE8ELNS1_11target_archE1030ELNS1_3gpuE2ELNS1_3repE0EEENS1_30default_config_static_selectorELNS0_4arch9wavefront6targetE1EEEvT1_
; %bb.0:
	.section	.rodata,"a",@progbits
	.p2align	6, 0x0
	.amdhsa_kernel _ZN7rocprim17ROCPRIM_400000_NS6detail17trampoline_kernelINS0_14default_configENS1_29reduce_by_key_config_selectorIilN6thrust23THRUST_200600_302600_NS4plusIlEEEEZZNS1_33reduce_by_key_impl_wrapped_configILNS1_25lookback_scan_determinismE0ES3_S9_PiNS6_17constant_iteratorIiNS6_11use_defaultESE_EENS6_10device_ptrIiEENSG_IlEEPmS8_NS6_8equal_toIiEEEE10hipError_tPvRmT2_T3_mT4_T5_T6_T7_T8_P12ihipStream_tbENKUlT_T0_E_clISt17integral_constantIbLb0EES13_EEDaSY_SZ_EUlSY_E_NS1_11comp_targetILNS1_3genE8ELNS1_11target_archE1030ELNS1_3gpuE2ELNS1_3repE0EEENS1_30default_config_static_selectorELNS0_4arch9wavefront6targetE1EEEvT1_
		.amdhsa_group_segment_fixed_size 0
		.amdhsa_private_segment_fixed_size 0
		.amdhsa_kernarg_size 144
		.amdhsa_user_sgpr_count 6
		.amdhsa_user_sgpr_private_segment_buffer 1
		.amdhsa_user_sgpr_dispatch_ptr 0
		.amdhsa_user_sgpr_queue_ptr 0
		.amdhsa_user_sgpr_kernarg_segment_ptr 1
		.amdhsa_user_sgpr_dispatch_id 0
		.amdhsa_user_sgpr_flat_scratch_init 0
		.amdhsa_user_sgpr_kernarg_preload_length 0
		.amdhsa_user_sgpr_kernarg_preload_offset 0
		.amdhsa_user_sgpr_private_segment_size 0
		.amdhsa_uses_dynamic_stack 0
		.amdhsa_system_sgpr_private_segment_wavefront_offset 0
		.amdhsa_system_sgpr_workgroup_id_x 1
		.amdhsa_system_sgpr_workgroup_id_y 0
		.amdhsa_system_sgpr_workgroup_id_z 0
		.amdhsa_system_sgpr_workgroup_info 0
		.amdhsa_system_vgpr_workitem_id 0
		.amdhsa_next_free_vgpr 1
		.amdhsa_next_free_sgpr 0
		.amdhsa_accum_offset 4
		.amdhsa_reserve_vcc 0
		.amdhsa_reserve_flat_scratch 0
		.amdhsa_float_round_mode_32 0
		.amdhsa_float_round_mode_16_64 0
		.amdhsa_float_denorm_mode_32 3
		.amdhsa_float_denorm_mode_16_64 3
		.amdhsa_dx10_clamp 1
		.amdhsa_ieee_mode 1
		.amdhsa_fp16_overflow 0
		.amdhsa_tg_split 0
		.amdhsa_exception_fp_ieee_invalid_op 0
		.amdhsa_exception_fp_denorm_src 0
		.amdhsa_exception_fp_ieee_div_zero 0
		.amdhsa_exception_fp_ieee_overflow 0
		.amdhsa_exception_fp_ieee_underflow 0
		.amdhsa_exception_fp_ieee_inexact 0
		.amdhsa_exception_int_div_zero 0
	.end_amdhsa_kernel
	.section	.text._ZN7rocprim17ROCPRIM_400000_NS6detail17trampoline_kernelINS0_14default_configENS1_29reduce_by_key_config_selectorIilN6thrust23THRUST_200600_302600_NS4plusIlEEEEZZNS1_33reduce_by_key_impl_wrapped_configILNS1_25lookback_scan_determinismE0ES3_S9_PiNS6_17constant_iteratorIiNS6_11use_defaultESE_EENS6_10device_ptrIiEENSG_IlEEPmS8_NS6_8equal_toIiEEEE10hipError_tPvRmT2_T3_mT4_T5_T6_T7_T8_P12ihipStream_tbENKUlT_T0_E_clISt17integral_constantIbLb0EES13_EEDaSY_SZ_EUlSY_E_NS1_11comp_targetILNS1_3genE8ELNS1_11target_archE1030ELNS1_3gpuE2ELNS1_3repE0EEENS1_30default_config_static_selectorELNS0_4arch9wavefront6targetE1EEEvT1_,"axG",@progbits,_ZN7rocprim17ROCPRIM_400000_NS6detail17trampoline_kernelINS0_14default_configENS1_29reduce_by_key_config_selectorIilN6thrust23THRUST_200600_302600_NS4plusIlEEEEZZNS1_33reduce_by_key_impl_wrapped_configILNS1_25lookback_scan_determinismE0ES3_S9_PiNS6_17constant_iteratorIiNS6_11use_defaultESE_EENS6_10device_ptrIiEENSG_IlEEPmS8_NS6_8equal_toIiEEEE10hipError_tPvRmT2_T3_mT4_T5_T6_T7_T8_P12ihipStream_tbENKUlT_T0_E_clISt17integral_constantIbLb0EES13_EEDaSY_SZ_EUlSY_E_NS1_11comp_targetILNS1_3genE8ELNS1_11target_archE1030ELNS1_3gpuE2ELNS1_3repE0EEENS1_30default_config_static_selectorELNS0_4arch9wavefront6targetE1EEEvT1_,comdat
.Lfunc_end946:
	.size	_ZN7rocprim17ROCPRIM_400000_NS6detail17trampoline_kernelINS0_14default_configENS1_29reduce_by_key_config_selectorIilN6thrust23THRUST_200600_302600_NS4plusIlEEEEZZNS1_33reduce_by_key_impl_wrapped_configILNS1_25lookback_scan_determinismE0ES3_S9_PiNS6_17constant_iteratorIiNS6_11use_defaultESE_EENS6_10device_ptrIiEENSG_IlEEPmS8_NS6_8equal_toIiEEEE10hipError_tPvRmT2_T3_mT4_T5_T6_T7_T8_P12ihipStream_tbENKUlT_T0_E_clISt17integral_constantIbLb0EES13_EEDaSY_SZ_EUlSY_E_NS1_11comp_targetILNS1_3genE8ELNS1_11target_archE1030ELNS1_3gpuE2ELNS1_3repE0EEENS1_30default_config_static_selectorELNS0_4arch9wavefront6targetE1EEEvT1_, .Lfunc_end946-_ZN7rocprim17ROCPRIM_400000_NS6detail17trampoline_kernelINS0_14default_configENS1_29reduce_by_key_config_selectorIilN6thrust23THRUST_200600_302600_NS4plusIlEEEEZZNS1_33reduce_by_key_impl_wrapped_configILNS1_25lookback_scan_determinismE0ES3_S9_PiNS6_17constant_iteratorIiNS6_11use_defaultESE_EENS6_10device_ptrIiEENSG_IlEEPmS8_NS6_8equal_toIiEEEE10hipError_tPvRmT2_T3_mT4_T5_T6_T7_T8_P12ihipStream_tbENKUlT_T0_E_clISt17integral_constantIbLb0EES13_EEDaSY_SZ_EUlSY_E_NS1_11comp_targetILNS1_3genE8ELNS1_11target_archE1030ELNS1_3gpuE2ELNS1_3repE0EEENS1_30default_config_static_selectorELNS0_4arch9wavefront6targetE1EEEvT1_
                                        ; -- End function
	.section	.AMDGPU.csdata,"",@progbits
; Kernel info:
; codeLenInByte = 0
; NumSgprs: 4
; NumVgprs: 0
; NumAgprs: 0
; TotalNumVgprs: 0
; ScratchSize: 0
; MemoryBound: 0
; FloatMode: 240
; IeeeMode: 1
; LDSByteSize: 0 bytes/workgroup (compile time only)
; SGPRBlocks: 0
; VGPRBlocks: 0
; NumSGPRsForWavesPerEU: 4
; NumVGPRsForWavesPerEU: 1
; AccumOffset: 4
; Occupancy: 8
; WaveLimiterHint : 0
; COMPUTE_PGM_RSRC2:SCRATCH_EN: 0
; COMPUTE_PGM_RSRC2:USER_SGPR: 6
; COMPUTE_PGM_RSRC2:TRAP_HANDLER: 0
; COMPUTE_PGM_RSRC2:TGID_X_EN: 1
; COMPUTE_PGM_RSRC2:TGID_Y_EN: 0
; COMPUTE_PGM_RSRC2:TGID_Z_EN: 0
; COMPUTE_PGM_RSRC2:TIDIG_COMP_CNT: 0
; COMPUTE_PGM_RSRC3_GFX90A:ACCUM_OFFSET: 0
; COMPUTE_PGM_RSRC3_GFX90A:TG_SPLIT: 0
	.section	.text._ZN7rocprim17ROCPRIM_400000_NS6detail17trampoline_kernelINS0_14default_configENS1_29reduce_by_key_config_selectorIilN6thrust23THRUST_200600_302600_NS4plusIlEEEEZZNS1_33reduce_by_key_impl_wrapped_configILNS1_25lookback_scan_determinismE0ES3_S9_PiNS6_17constant_iteratorIiNS6_11use_defaultESE_EENS6_10device_ptrIiEENSG_IlEEPmS8_NS6_8equal_toIiEEEE10hipError_tPvRmT2_T3_mT4_T5_T6_T7_T8_P12ihipStream_tbENKUlT_T0_E_clISt17integral_constantIbLb1EES13_EEDaSY_SZ_EUlSY_E_NS1_11comp_targetILNS1_3genE0ELNS1_11target_archE4294967295ELNS1_3gpuE0ELNS1_3repE0EEENS1_30default_config_static_selectorELNS0_4arch9wavefront6targetE1EEEvT1_,"axG",@progbits,_ZN7rocprim17ROCPRIM_400000_NS6detail17trampoline_kernelINS0_14default_configENS1_29reduce_by_key_config_selectorIilN6thrust23THRUST_200600_302600_NS4plusIlEEEEZZNS1_33reduce_by_key_impl_wrapped_configILNS1_25lookback_scan_determinismE0ES3_S9_PiNS6_17constant_iteratorIiNS6_11use_defaultESE_EENS6_10device_ptrIiEENSG_IlEEPmS8_NS6_8equal_toIiEEEE10hipError_tPvRmT2_T3_mT4_T5_T6_T7_T8_P12ihipStream_tbENKUlT_T0_E_clISt17integral_constantIbLb1EES13_EEDaSY_SZ_EUlSY_E_NS1_11comp_targetILNS1_3genE0ELNS1_11target_archE4294967295ELNS1_3gpuE0ELNS1_3repE0EEENS1_30default_config_static_selectorELNS0_4arch9wavefront6targetE1EEEvT1_,comdat
	.protected	_ZN7rocprim17ROCPRIM_400000_NS6detail17trampoline_kernelINS0_14default_configENS1_29reduce_by_key_config_selectorIilN6thrust23THRUST_200600_302600_NS4plusIlEEEEZZNS1_33reduce_by_key_impl_wrapped_configILNS1_25lookback_scan_determinismE0ES3_S9_PiNS6_17constant_iteratorIiNS6_11use_defaultESE_EENS6_10device_ptrIiEENSG_IlEEPmS8_NS6_8equal_toIiEEEE10hipError_tPvRmT2_T3_mT4_T5_T6_T7_T8_P12ihipStream_tbENKUlT_T0_E_clISt17integral_constantIbLb1EES13_EEDaSY_SZ_EUlSY_E_NS1_11comp_targetILNS1_3genE0ELNS1_11target_archE4294967295ELNS1_3gpuE0ELNS1_3repE0EEENS1_30default_config_static_selectorELNS0_4arch9wavefront6targetE1EEEvT1_ ; -- Begin function _ZN7rocprim17ROCPRIM_400000_NS6detail17trampoline_kernelINS0_14default_configENS1_29reduce_by_key_config_selectorIilN6thrust23THRUST_200600_302600_NS4plusIlEEEEZZNS1_33reduce_by_key_impl_wrapped_configILNS1_25lookback_scan_determinismE0ES3_S9_PiNS6_17constant_iteratorIiNS6_11use_defaultESE_EENS6_10device_ptrIiEENSG_IlEEPmS8_NS6_8equal_toIiEEEE10hipError_tPvRmT2_T3_mT4_T5_T6_T7_T8_P12ihipStream_tbENKUlT_T0_E_clISt17integral_constantIbLb1EES13_EEDaSY_SZ_EUlSY_E_NS1_11comp_targetILNS1_3genE0ELNS1_11target_archE4294967295ELNS1_3gpuE0ELNS1_3repE0EEENS1_30default_config_static_selectorELNS0_4arch9wavefront6targetE1EEEvT1_
	.globl	_ZN7rocprim17ROCPRIM_400000_NS6detail17trampoline_kernelINS0_14default_configENS1_29reduce_by_key_config_selectorIilN6thrust23THRUST_200600_302600_NS4plusIlEEEEZZNS1_33reduce_by_key_impl_wrapped_configILNS1_25lookback_scan_determinismE0ES3_S9_PiNS6_17constant_iteratorIiNS6_11use_defaultESE_EENS6_10device_ptrIiEENSG_IlEEPmS8_NS6_8equal_toIiEEEE10hipError_tPvRmT2_T3_mT4_T5_T6_T7_T8_P12ihipStream_tbENKUlT_T0_E_clISt17integral_constantIbLb1EES13_EEDaSY_SZ_EUlSY_E_NS1_11comp_targetILNS1_3genE0ELNS1_11target_archE4294967295ELNS1_3gpuE0ELNS1_3repE0EEENS1_30default_config_static_selectorELNS0_4arch9wavefront6targetE1EEEvT1_
	.p2align	8
	.type	_ZN7rocprim17ROCPRIM_400000_NS6detail17trampoline_kernelINS0_14default_configENS1_29reduce_by_key_config_selectorIilN6thrust23THRUST_200600_302600_NS4plusIlEEEEZZNS1_33reduce_by_key_impl_wrapped_configILNS1_25lookback_scan_determinismE0ES3_S9_PiNS6_17constant_iteratorIiNS6_11use_defaultESE_EENS6_10device_ptrIiEENSG_IlEEPmS8_NS6_8equal_toIiEEEE10hipError_tPvRmT2_T3_mT4_T5_T6_T7_T8_P12ihipStream_tbENKUlT_T0_E_clISt17integral_constantIbLb1EES13_EEDaSY_SZ_EUlSY_E_NS1_11comp_targetILNS1_3genE0ELNS1_11target_archE4294967295ELNS1_3gpuE0ELNS1_3repE0EEENS1_30default_config_static_selectorELNS0_4arch9wavefront6targetE1EEEvT1_,@function
_ZN7rocprim17ROCPRIM_400000_NS6detail17trampoline_kernelINS0_14default_configENS1_29reduce_by_key_config_selectorIilN6thrust23THRUST_200600_302600_NS4plusIlEEEEZZNS1_33reduce_by_key_impl_wrapped_configILNS1_25lookback_scan_determinismE0ES3_S9_PiNS6_17constant_iteratorIiNS6_11use_defaultESE_EENS6_10device_ptrIiEENSG_IlEEPmS8_NS6_8equal_toIiEEEE10hipError_tPvRmT2_T3_mT4_T5_T6_T7_T8_P12ihipStream_tbENKUlT_T0_E_clISt17integral_constantIbLb1EES13_EEDaSY_SZ_EUlSY_E_NS1_11comp_targetILNS1_3genE0ELNS1_11target_archE4294967295ELNS1_3gpuE0ELNS1_3repE0EEENS1_30default_config_static_selectorELNS0_4arch9wavefront6targetE1EEEvT1_: ; @_ZN7rocprim17ROCPRIM_400000_NS6detail17trampoline_kernelINS0_14default_configENS1_29reduce_by_key_config_selectorIilN6thrust23THRUST_200600_302600_NS4plusIlEEEEZZNS1_33reduce_by_key_impl_wrapped_configILNS1_25lookback_scan_determinismE0ES3_S9_PiNS6_17constant_iteratorIiNS6_11use_defaultESE_EENS6_10device_ptrIiEENSG_IlEEPmS8_NS6_8equal_toIiEEEE10hipError_tPvRmT2_T3_mT4_T5_T6_T7_T8_P12ihipStream_tbENKUlT_T0_E_clISt17integral_constantIbLb1EES13_EEDaSY_SZ_EUlSY_E_NS1_11comp_targetILNS1_3genE0ELNS1_11target_archE4294967295ELNS1_3gpuE0ELNS1_3repE0EEENS1_30default_config_static_selectorELNS0_4arch9wavefront6targetE1EEEvT1_
; %bb.0:
	.section	.rodata,"a",@progbits
	.p2align	6, 0x0
	.amdhsa_kernel _ZN7rocprim17ROCPRIM_400000_NS6detail17trampoline_kernelINS0_14default_configENS1_29reduce_by_key_config_selectorIilN6thrust23THRUST_200600_302600_NS4plusIlEEEEZZNS1_33reduce_by_key_impl_wrapped_configILNS1_25lookback_scan_determinismE0ES3_S9_PiNS6_17constant_iteratorIiNS6_11use_defaultESE_EENS6_10device_ptrIiEENSG_IlEEPmS8_NS6_8equal_toIiEEEE10hipError_tPvRmT2_T3_mT4_T5_T6_T7_T8_P12ihipStream_tbENKUlT_T0_E_clISt17integral_constantIbLb1EES13_EEDaSY_SZ_EUlSY_E_NS1_11comp_targetILNS1_3genE0ELNS1_11target_archE4294967295ELNS1_3gpuE0ELNS1_3repE0EEENS1_30default_config_static_selectorELNS0_4arch9wavefront6targetE1EEEvT1_
		.amdhsa_group_segment_fixed_size 0
		.amdhsa_private_segment_fixed_size 0
		.amdhsa_kernarg_size 144
		.amdhsa_user_sgpr_count 6
		.amdhsa_user_sgpr_private_segment_buffer 1
		.amdhsa_user_sgpr_dispatch_ptr 0
		.amdhsa_user_sgpr_queue_ptr 0
		.amdhsa_user_sgpr_kernarg_segment_ptr 1
		.amdhsa_user_sgpr_dispatch_id 0
		.amdhsa_user_sgpr_flat_scratch_init 0
		.amdhsa_user_sgpr_kernarg_preload_length 0
		.amdhsa_user_sgpr_kernarg_preload_offset 0
		.amdhsa_user_sgpr_private_segment_size 0
		.amdhsa_uses_dynamic_stack 0
		.amdhsa_system_sgpr_private_segment_wavefront_offset 0
		.amdhsa_system_sgpr_workgroup_id_x 1
		.amdhsa_system_sgpr_workgroup_id_y 0
		.amdhsa_system_sgpr_workgroup_id_z 0
		.amdhsa_system_sgpr_workgroup_info 0
		.amdhsa_system_vgpr_workitem_id 0
		.amdhsa_next_free_vgpr 1
		.amdhsa_next_free_sgpr 0
		.amdhsa_accum_offset 4
		.amdhsa_reserve_vcc 0
		.amdhsa_reserve_flat_scratch 0
		.amdhsa_float_round_mode_32 0
		.amdhsa_float_round_mode_16_64 0
		.amdhsa_float_denorm_mode_32 3
		.amdhsa_float_denorm_mode_16_64 3
		.amdhsa_dx10_clamp 1
		.amdhsa_ieee_mode 1
		.amdhsa_fp16_overflow 0
		.amdhsa_tg_split 0
		.amdhsa_exception_fp_ieee_invalid_op 0
		.amdhsa_exception_fp_denorm_src 0
		.amdhsa_exception_fp_ieee_div_zero 0
		.amdhsa_exception_fp_ieee_overflow 0
		.amdhsa_exception_fp_ieee_underflow 0
		.amdhsa_exception_fp_ieee_inexact 0
		.amdhsa_exception_int_div_zero 0
	.end_amdhsa_kernel
	.section	.text._ZN7rocprim17ROCPRIM_400000_NS6detail17trampoline_kernelINS0_14default_configENS1_29reduce_by_key_config_selectorIilN6thrust23THRUST_200600_302600_NS4plusIlEEEEZZNS1_33reduce_by_key_impl_wrapped_configILNS1_25lookback_scan_determinismE0ES3_S9_PiNS6_17constant_iteratorIiNS6_11use_defaultESE_EENS6_10device_ptrIiEENSG_IlEEPmS8_NS6_8equal_toIiEEEE10hipError_tPvRmT2_T3_mT4_T5_T6_T7_T8_P12ihipStream_tbENKUlT_T0_E_clISt17integral_constantIbLb1EES13_EEDaSY_SZ_EUlSY_E_NS1_11comp_targetILNS1_3genE0ELNS1_11target_archE4294967295ELNS1_3gpuE0ELNS1_3repE0EEENS1_30default_config_static_selectorELNS0_4arch9wavefront6targetE1EEEvT1_,"axG",@progbits,_ZN7rocprim17ROCPRIM_400000_NS6detail17trampoline_kernelINS0_14default_configENS1_29reduce_by_key_config_selectorIilN6thrust23THRUST_200600_302600_NS4plusIlEEEEZZNS1_33reduce_by_key_impl_wrapped_configILNS1_25lookback_scan_determinismE0ES3_S9_PiNS6_17constant_iteratorIiNS6_11use_defaultESE_EENS6_10device_ptrIiEENSG_IlEEPmS8_NS6_8equal_toIiEEEE10hipError_tPvRmT2_T3_mT4_T5_T6_T7_T8_P12ihipStream_tbENKUlT_T0_E_clISt17integral_constantIbLb1EES13_EEDaSY_SZ_EUlSY_E_NS1_11comp_targetILNS1_3genE0ELNS1_11target_archE4294967295ELNS1_3gpuE0ELNS1_3repE0EEENS1_30default_config_static_selectorELNS0_4arch9wavefront6targetE1EEEvT1_,comdat
.Lfunc_end947:
	.size	_ZN7rocprim17ROCPRIM_400000_NS6detail17trampoline_kernelINS0_14default_configENS1_29reduce_by_key_config_selectorIilN6thrust23THRUST_200600_302600_NS4plusIlEEEEZZNS1_33reduce_by_key_impl_wrapped_configILNS1_25lookback_scan_determinismE0ES3_S9_PiNS6_17constant_iteratorIiNS6_11use_defaultESE_EENS6_10device_ptrIiEENSG_IlEEPmS8_NS6_8equal_toIiEEEE10hipError_tPvRmT2_T3_mT4_T5_T6_T7_T8_P12ihipStream_tbENKUlT_T0_E_clISt17integral_constantIbLb1EES13_EEDaSY_SZ_EUlSY_E_NS1_11comp_targetILNS1_3genE0ELNS1_11target_archE4294967295ELNS1_3gpuE0ELNS1_3repE0EEENS1_30default_config_static_selectorELNS0_4arch9wavefront6targetE1EEEvT1_, .Lfunc_end947-_ZN7rocprim17ROCPRIM_400000_NS6detail17trampoline_kernelINS0_14default_configENS1_29reduce_by_key_config_selectorIilN6thrust23THRUST_200600_302600_NS4plusIlEEEEZZNS1_33reduce_by_key_impl_wrapped_configILNS1_25lookback_scan_determinismE0ES3_S9_PiNS6_17constant_iteratorIiNS6_11use_defaultESE_EENS6_10device_ptrIiEENSG_IlEEPmS8_NS6_8equal_toIiEEEE10hipError_tPvRmT2_T3_mT4_T5_T6_T7_T8_P12ihipStream_tbENKUlT_T0_E_clISt17integral_constantIbLb1EES13_EEDaSY_SZ_EUlSY_E_NS1_11comp_targetILNS1_3genE0ELNS1_11target_archE4294967295ELNS1_3gpuE0ELNS1_3repE0EEENS1_30default_config_static_selectorELNS0_4arch9wavefront6targetE1EEEvT1_
                                        ; -- End function
	.section	.AMDGPU.csdata,"",@progbits
; Kernel info:
; codeLenInByte = 0
; NumSgprs: 4
; NumVgprs: 0
; NumAgprs: 0
; TotalNumVgprs: 0
; ScratchSize: 0
; MemoryBound: 0
; FloatMode: 240
; IeeeMode: 1
; LDSByteSize: 0 bytes/workgroup (compile time only)
; SGPRBlocks: 0
; VGPRBlocks: 0
; NumSGPRsForWavesPerEU: 4
; NumVGPRsForWavesPerEU: 1
; AccumOffset: 4
; Occupancy: 8
; WaveLimiterHint : 0
; COMPUTE_PGM_RSRC2:SCRATCH_EN: 0
; COMPUTE_PGM_RSRC2:USER_SGPR: 6
; COMPUTE_PGM_RSRC2:TRAP_HANDLER: 0
; COMPUTE_PGM_RSRC2:TGID_X_EN: 1
; COMPUTE_PGM_RSRC2:TGID_Y_EN: 0
; COMPUTE_PGM_RSRC2:TGID_Z_EN: 0
; COMPUTE_PGM_RSRC2:TIDIG_COMP_CNT: 0
; COMPUTE_PGM_RSRC3_GFX90A:ACCUM_OFFSET: 0
; COMPUTE_PGM_RSRC3_GFX90A:TG_SPLIT: 0
	.section	.text._ZN7rocprim17ROCPRIM_400000_NS6detail17trampoline_kernelINS0_14default_configENS1_29reduce_by_key_config_selectorIilN6thrust23THRUST_200600_302600_NS4plusIlEEEEZZNS1_33reduce_by_key_impl_wrapped_configILNS1_25lookback_scan_determinismE0ES3_S9_PiNS6_17constant_iteratorIiNS6_11use_defaultESE_EENS6_10device_ptrIiEENSG_IlEEPmS8_NS6_8equal_toIiEEEE10hipError_tPvRmT2_T3_mT4_T5_T6_T7_T8_P12ihipStream_tbENKUlT_T0_E_clISt17integral_constantIbLb1EES13_EEDaSY_SZ_EUlSY_E_NS1_11comp_targetILNS1_3genE5ELNS1_11target_archE942ELNS1_3gpuE9ELNS1_3repE0EEENS1_30default_config_static_selectorELNS0_4arch9wavefront6targetE1EEEvT1_,"axG",@progbits,_ZN7rocprim17ROCPRIM_400000_NS6detail17trampoline_kernelINS0_14default_configENS1_29reduce_by_key_config_selectorIilN6thrust23THRUST_200600_302600_NS4plusIlEEEEZZNS1_33reduce_by_key_impl_wrapped_configILNS1_25lookback_scan_determinismE0ES3_S9_PiNS6_17constant_iteratorIiNS6_11use_defaultESE_EENS6_10device_ptrIiEENSG_IlEEPmS8_NS6_8equal_toIiEEEE10hipError_tPvRmT2_T3_mT4_T5_T6_T7_T8_P12ihipStream_tbENKUlT_T0_E_clISt17integral_constantIbLb1EES13_EEDaSY_SZ_EUlSY_E_NS1_11comp_targetILNS1_3genE5ELNS1_11target_archE942ELNS1_3gpuE9ELNS1_3repE0EEENS1_30default_config_static_selectorELNS0_4arch9wavefront6targetE1EEEvT1_,comdat
	.protected	_ZN7rocprim17ROCPRIM_400000_NS6detail17trampoline_kernelINS0_14default_configENS1_29reduce_by_key_config_selectorIilN6thrust23THRUST_200600_302600_NS4plusIlEEEEZZNS1_33reduce_by_key_impl_wrapped_configILNS1_25lookback_scan_determinismE0ES3_S9_PiNS6_17constant_iteratorIiNS6_11use_defaultESE_EENS6_10device_ptrIiEENSG_IlEEPmS8_NS6_8equal_toIiEEEE10hipError_tPvRmT2_T3_mT4_T5_T6_T7_T8_P12ihipStream_tbENKUlT_T0_E_clISt17integral_constantIbLb1EES13_EEDaSY_SZ_EUlSY_E_NS1_11comp_targetILNS1_3genE5ELNS1_11target_archE942ELNS1_3gpuE9ELNS1_3repE0EEENS1_30default_config_static_selectorELNS0_4arch9wavefront6targetE1EEEvT1_ ; -- Begin function _ZN7rocprim17ROCPRIM_400000_NS6detail17trampoline_kernelINS0_14default_configENS1_29reduce_by_key_config_selectorIilN6thrust23THRUST_200600_302600_NS4plusIlEEEEZZNS1_33reduce_by_key_impl_wrapped_configILNS1_25lookback_scan_determinismE0ES3_S9_PiNS6_17constant_iteratorIiNS6_11use_defaultESE_EENS6_10device_ptrIiEENSG_IlEEPmS8_NS6_8equal_toIiEEEE10hipError_tPvRmT2_T3_mT4_T5_T6_T7_T8_P12ihipStream_tbENKUlT_T0_E_clISt17integral_constantIbLb1EES13_EEDaSY_SZ_EUlSY_E_NS1_11comp_targetILNS1_3genE5ELNS1_11target_archE942ELNS1_3gpuE9ELNS1_3repE0EEENS1_30default_config_static_selectorELNS0_4arch9wavefront6targetE1EEEvT1_
	.globl	_ZN7rocprim17ROCPRIM_400000_NS6detail17trampoline_kernelINS0_14default_configENS1_29reduce_by_key_config_selectorIilN6thrust23THRUST_200600_302600_NS4plusIlEEEEZZNS1_33reduce_by_key_impl_wrapped_configILNS1_25lookback_scan_determinismE0ES3_S9_PiNS6_17constant_iteratorIiNS6_11use_defaultESE_EENS6_10device_ptrIiEENSG_IlEEPmS8_NS6_8equal_toIiEEEE10hipError_tPvRmT2_T3_mT4_T5_T6_T7_T8_P12ihipStream_tbENKUlT_T0_E_clISt17integral_constantIbLb1EES13_EEDaSY_SZ_EUlSY_E_NS1_11comp_targetILNS1_3genE5ELNS1_11target_archE942ELNS1_3gpuE9ELNS1_3repE0EEENS1_30default_config_static_selectorELNS0_4arch9wavefront6targetE1EEEvT1_
	.p2align	8
	.type	_ZN7rocprim17ROCPRIM_400000_NS6detail17trampoline_kernelINS0_14default_configENS1_29reduce_by_key_config_selectorIilN6thrust23THRUST_200600_302600_NS4plusIlEEEEZZNS1_33reduce_by_key_impl_wrapped_configILNS1_25lookback_scan_determinismE0ES3_S9_PiNS6_17constant_iteratorIiNS6_11use_defaultESE_EENS6_10device_ptrIiEENSG_IlEEPmS8_NS6_8equal_toIiEEEE10hipError_tPvRmT2_T3_mT4_T5_T6_T7_T8_P12ihipStream_tbENKUlT_T0_E_clISt17integral_constantIbLb1EES13_EEDaSY_SZ_EUlSY_E_NS1_11comp_targetILNS1_3genE5ELNS1_11target_archE942ELNS1_3gpuE9ELNS1_3repE0EEENS1_30default_config_static_selectorELNS0_4arch9wavefront6targetE1EEEvT1_,@function
_ZN7rocprim17ROCPRIM_400000_NS6detail17trampoline_kernelINS0_14default_configENS1_29reduce_by_key_config_selectorIilN6thrust23THRUST_200600_302600_NS4plusIlEEEEZZNS1_33reduce_by_key_impl_wrapped_configILNS1_25lookback_scan_determinismE0ES3_S9_PiNS6_17constant_iteratorIiNS6_11use_defaultESE_EENS6_10device_ptrIiEENSG_IlEEPmS8_NS6_8equal_toIiEEEE10hipError_tPvRmT2_T3_mT4_T5_T6_T7_T8_P12ihipStream_tbENKUlT_T0_E_clISt17integral_constantIbLb1EES13_EEDaSY_SZ_EUlSY_E_NS1_11comp_targetILNS1_3genE5ELNS1_11target_archE942ELNS1_3gpuE9ELNS1_3repE0EEENS1_30default_config_static_selectorELNS0_4arch9wavefront6targetE1EEEvT1_: ; @_ZN7rocprim17ROCPRIM_400000_NS6detail17trampoline_kernelINS0_14default_configENS1_29reduce_by_key_config_selectorIilN6thrust23THRUST_200600_302600_NS4plusIlEEEEZZNS1_33reduce_by_key_impl_wrapped_configILNS1_25lookback_scan_determinismE0ES3_S9_PiNS6_17constant_iteratorIiNS6_11use_defaultESE_EENS6_10device_ptrIiEENSG_IlEEPmS8_NS6_8equal_toIiEEEE10hipError_tPvRmT2_T3_mT4_T5_T6_T7_T8_P12ihipStream_tbENKUlT_T0_E_clISt17integral_constantIbLb1EES13_EEDaSY_SZ_EUlSY_E_NS1_11comp_targetILNS1_3genE5ELNS1_11target_archE942ELNS1_3gpuE9ELNS1_3repE0EEENS1_30default_config_static_selectorELNS0_4arch9wavefront6targetE1EEEvT1_
; %bb.0:
	.section	.rodata,"a",@progbits
	.p2align	6, 0x0
	.amdhsa_kernel _ZN7rocprim17ROCPRIM_400000_NS6detail17trampoline_kernelINS0_14default_configENS1_29reduce_by_key_config_selectorIilN6thrust23THRUST_200600_302600_NS4plusIlEEEEZZNS1_33reduce_by_key_impl_wrapped_configILNS1_25lookback_scan_determinismE0ES3_S9_PiNS6_17constant_iteratorIiNS6_11use_defaultESE_EENS6_10device_ptrIiEENSG_IlEEPmS8_NS6_8equal_toIiEEEE10hipError_tPvRmT2_T3_mT4_T5_T6_T7_T8_P12ihipStream_tbENKUlT_T0_E_clISt17integral_constantIbLb1EES13_EEDaSY_SZ_EUlSY_E_NS1_11comp_targetILNS1_3genE5ELNS1_11target_archE942ELNS1_3gpuE9ELNS1_3repE0EEENS1_30default_config_static_selectorELNS0_4arch9wavefront6targetE1EEEvT1_
		.amdhsa_group_segment_fixed_size 0
		.amdhsa_private_segment_fixed_size 0
		.amdhsa_kernarg_size 144
		.amdhsa_user_sgpr_count 6
		.amdhsa_user_sgpr_private_segment_buffer 1
		.amdhsa_user_sgpr_dispatch_ptr 0
		.amdhsa_user_sgpr_queue_ptr 0
		.amdhsa_user_sgpr_kernarg_segment_ptr 1
		.amdhsa_user_sgpr_dispatch_id 0
		.amdhsa_user_sgpr_flat_scratch_init 0
		.amdhsa_user_sgpr_kernarg_preload_length 0
		.amdhsa_user_sgpr_kernarg_preload_offset 0
		.amdhsa_user_sgpr_private_segment_size 0
		.amdhsa_uses_dynamic_stack 0
		.amdhsa_system_sgpr_private_segment_wavefront_offset 0
		.amdhsa_system_sgpr_workgroup_id_x 1
		.amdhsa_system_sgpr_workgroup_id_y 0
		.amdhsa_system_sgpr_workgroup_id_z 0
		.amdhsa_system_sgpr_workgroup_info 0
		.amdhsa_system_vgpr_workitem_id 0
		.amdhsa_next_free_vgpr 1
		.amdhsa_next_free_sgpr 0
		.amdhsa_accum_offset 4
		.amdhsa_reserve_vcc 0
		.amdhsa_reserve_flat_scratch 0
		.amdhsa_float_round_mode_32 0
		.amdhsa_float_round_mode_16_64 0
		.amdhsa_float_denorm_mode_32 3
		.amdhsa_float_denorm_mode_16_64 3
		.amdhsa_dx10_clamp 1
		.amdhsa_ieee_mode 1
		.amdhsa_fp16_overflow 0
		.amdhsa_tg_split 0
		.amdhsa_exception_fp_ieee_invalid_op 0
		.amdhsa_exception_fp_denorm_src 0
		.amdhsa_exception_fp_ieee_div_zero 0
		.amdhsa_exception_fp_ieee_overflow 0
		.amdhsa_exception_fp_ieee_underflow 0
		.amdhsa_exception_fp_ieee_inexact 0
		.amdhsa_exception_int_div_zero 0
	.end_amdhsa_kernel
	.section	.text._ZN7rocprim17ROCPRIM_400000_NS6detail17trampoline_kernelINS0_14default_configENS1_29reduce_by_key_config_selectorIilN6thrust23THRUST_200600_302600_NS4plusIlEEEEZZNS1_33reduce_by_key_impl_wrapped_configILNS1_25lookback_scan_determinismE0ES3_S9_PiNS6_17constant_iteratorIiNS6_11use_defaultESE_EENS6_10device_ptrIiEENSG_IlEEPmS8_NS6_8equal_toIiEEEE10hipError_tPvRmT2_T3_mT4_T5_T6_T7_T8_P12ihipStream_tbENKUlT_T0_E_clISt17integral_constantIbLb1EES13_EEDaSY_SZ_EUlSY_E_NS1_11comp_targetILNS1_3genE5ELNS1_11target_archE942ELNS1_3gpuE9ELNS1_3repE0EEENS1_30default_config_static_selectorELNS0_4arch9wavefront6targetE1EEEvT1_,"axG",@progbits,_ZN7rocprim17ROCPRIM_400000_NS6detail17trampoline_kernelINS0_14default_configENS1_29reduce_by_key_config_selectorIilN6thrust23THRUST_200600_302600_NS4plusIlEEEEZZNS1_33reduce_by_key_impl_wrapped_configILNS1_25lookback_scan_determinismE0ES3_S9_PiNS6_17constant_iteratorIiNS6_11use_defaultESE_EENS6_10device_ptrIiEENSG_IlEEPmS8_NS6_8equal_toIiEEEE10hipError_tPvRmT2_T3_mT4_T5_T6_T7_T8_P12ihipStream_tbENKUlT_T0_E_clISt17integral_constantIbLb1EES13_EEDaSY_SZ_EUlSY_E_NS1_11comp_targetILNS1_3genE5ELNS1_11target_archE942ELNS1_3gpuE9ELNS1_3repE0EEENS1_30default_config_static_selectorELNS0_4arch9wavefront6targetE1EEEvT1_,comdat
.Lfunc_end948:
	.size	_ZN7rocprim17ROCPRIM_400000_NS6detail17trampoline_kernelINS0_14default_configENS1_29reduce_by_key_config_selectorIilN6thrust23THRUST_200600_302600_NS4plusIlEEEEZZNS1_33reduce_by_key_impl_wrapped_configILNS1_25lookback_scan_determinismE0ES3_S9_PiNS6_17constant_iteratorIiNS6_11use_defaultESE_EENS6_10device_ptrIiEENSG_IlEEPmS8_NS6_8equal_toIiEEEE10hipError_tPvRmT2_T3_mT4_T5_T6_T7_T8_P12ihipStream_tbENKUlT_T0_E_clISt17integral_constantIbLb1EES13_EEDaSY_SZ_EUlSY_E_NS1_11comp_targetILNS1_3genE5ELNS1_11target_archE942ELNS1_3gpuE9ELNS1_3repE0EEENS1_30default_config_static_selectorELNS0_4arch9wavefront6targetE1EEEvT1_, .Lfunc_end948-_ZN7rocprim17ROCPRIM_400000_NS6detail17trampoline_kernelINS0_14default_configENS1_29reduce_by_key_config_selectorIilN6thrust23THRUST_200600_302600_NS4plusIlEEEEZZNS1_33reduce_by_key_impl_wrapped_configILNS1_25lookback_scan_determinismE0ES3_S9_PiNS6_17constant_iteratorIiNS6_11use_defaultESE_EENS6_10device_ptrIiEENSG_IlEEPmS8_NS6_8equal_toIiEEEE10hipError_tPvRmT2_T3_mT4_T5_T6_T7_T8_P12ihipStream_tbENKUlT_T0_E_clISt17integral_constantIbLb1EES13_EEDaSY_SZ_EUlSY_E_NS1_11comp_targetILNS1_3genE5ELNS1_11target_archE942ELNS1_3gpuE9ELNS1_3repE0EEENS1_30default_config_static_selectorELNS0_4arch9wavefront6targetE1EEEvT1_
                                        ; -- End function
	.section	.AMDGPU.csdata,"",@progbits
; Kernel info:
; codeLenInByte = 0
; NumSgprs: 4
; NumVgprs: 0
; NumAgprs: 0
; TotalNumVgprs: 0
; ScratchSize: 0
; MemoryBound: 0
; FloatMode: 240
; IeeeMode: 1
; LDSByteSize: 0 bytes/workgroup (compile time only)
; SGPRBlocks: 0
; VGPRBlocks: 0
; NumSGPRsForWavesPerEU: 4
; NumVGPRsForWavesPerEU: 1
; AccumOffset: 4
; Occupancy: 8
; WaveLimiterHint : 0
; COMPUTE_PGM_RSRC2:SCRATCH_EN: 0
; COMPUTE_PGM_RSRC2:USER_SGPR: 6
; COMPUTE_PGM_RSRC2:TRAP_HANDLER: 0
; COMPUTE_PGM_RSRC2:TGID_X_EN: 1
; COMPUTE_PGM_RSRC2:TGID_Y_EN: 0
; COMPUTE_PGM_RSRC2:TGID_Z_EN: 0
; COMPUTE_PGM_RSRC2:TIDIG_COMP_CNT: 0
; COMPUTE_PGM_RSRC3_GFX90A:ACCUM_OFFSET: 0
; COMPUTE_PGM_RSRC3_GFX90A:TG_SPLIT: 0
	.section	.text._ZN7rocprim17ROCPRIM_400000_NS6detail17trampoline_kernelINS0_14default_configENS1_29reduce_by_key_config_selectorIilN6thrust23THRUST_200600_302600_NS4plusIlEEEEZZNS1_33reduce_by_key_impl_wrapped_configILNS1_25lookback_scan_determinismE0ES3_S9_PiNS6_17constant_iteratorIiNS6_11use_defaultESE_EENS6_10device_ptrIiEENSG_IlEEPmS8_NS6_8equal_toIiEEEE10hipError_tPvRmT2_T3_mT4_T5_T6_T7_T8_P12ihipStream_tbENKUlT_T0_E_clISt17integral_constantIbLb1EES13_EEDaSY_SZ_EUlSY_E_NS1_11comp_targetILNS1_3genE4ELNS1_11target_archE910ELNS1_3gpuE8ELNS1_3repE0EEENS1_30default_config_static_selectorELNS0_4arch9wavefront6targetE1EEEvT1_,"axG",@progbits,_ZN7rocprim17ROCPRIM_400000_NS6detail17trampoline_kernelINS0_14default_configENS1_29reduce_by_key_config_selectorIilN6thrust23THRUST_200600_302600_NS4plusIlEEEEZZNS1_33reduce_by_key_impl_wrapped_configILNS1_25lookback_scan_determinismE0ES3_S9_PiNS6_17constant_iteratorIiNS6_11use_defaultESE_EENS6_10device_ptrIiEENSG_IlEEPmS8_NS6_8equal_toIiEEEE10hipError_tPvRmT2_T3_mT4_T5_T6_T7_T8_P12ihipStream_tbENKUlT_T0_E_clISt17integral_constantIbLb1EES13_EEDaSY_SZ_EUlSY_E_NS1_11comp_targetILNS1_3genE4ELNS1_11target_archE910ELNS1_3gpuE8ELNS1_3repE0EEENS1_30default_config_static_selectorELNS0_4arch9wavefront6targetE1EEEvT1_,comdat
	.protected	_ZN7rocprim17ROCPRIM_400000_NS6detail17trampoline_kernelINS0_14default_configENS1_29reduce_by_key_config_selectorIilN6thrust23THRUST_200600_302600_NS4plusIlEEEEZZNS1_33reduce_by_key_impl_wrapped_configILNS1_25lookback_scan_determinismE0ES3_S9_PiNS6_17constant_iteratorIiNS6_11use_defaultESE_EENS6_10device_ptrIiEENSG_IlEEPmS8_NS6_8equal_toIiEEEE10hipError_tPvRmT2_T3_mT4_T5_T6_T7_T8_P12ihipStream_tbENKUlT_T0_E_clISt17integral_constantIbLb1EES13_EEDaSY_SZ_EUlSY_E_NS1_11comp_targetILNS1_3genE4ELNS1_11target_archE910ELNS1_3gpuE8ELNS1_3repE0EEENS1_30default_config_static_selectorELNS0_4arch9wavefront6targetE1EEEvT1_ ; -- Begin function _ZN7rocprim17ROCPRIM_400000_NS6detail17trampoline_kernelINS0_14default_configENS1_29reduce_by_key_config_selectorIilN6thrust23THRUST_200600_302600_NS4plusIlEEEEZZNS1_33reduce_by_key_impl_wrapped_configILNS1_25lookback_scan_determinismE0ES3_S9_PiNS6_17constant_iteratorIiNS6_11use_defaultESE_EENS6_10device_ptrIiEENSG_IlEEPmS8_NS6_8equal_toIiEEEE10hipError_tPvRmT2_T3_mT4_T5_T6_T7_T8_P12ihipStream_tbENKUlT_T0_E_clISt17integral_constantIbLb1EES13_EEDaSY_SZ_EUlSY_E_NS1_11comp_targetILNS1_3genE4ELNS1_11target_archE910ELNS1_3gpuE8ELNS1_3repE0EEENS1_30default_config_static_selectorELNS0_4arch9wavefront6targetE1EEEvT1_
	.globl	_ZN7rocprim17ROCPRIM_400000_NS6detail17trampoline_kernelINS0_14default_configENS1_29reduce_by_key_config_selectorIilN6thrust23THRUST_200600_302600_NS4plusIlEEEEZZNS1_33reduce_by_key_impl_wrapped_configILNS1_25lookback_scan_determinismE0ES3_S9_PiNS6_17constant_iteratorIiNS6_11use_defaultESE_EENS6_10device_ptrIiEENSG_IlEEPmS8_NS6_8equal_toIiEEEE10hipError_tPvRmT2_T3_mT4_T5_T6_T7_T8_P12ihipStream_tbENKUlT_T0_E_clISt17integral_constantIbLb1EES13_EEDaSY_SZ_EUlSY_E_NS1_11comp_targetILNS1_3genE4ELNS1_11target_archE910ELNS1_3gpuE8ELNS1_3repE0EEENS1_30default_config_static_selectorELNS0_4arch9wavefront6targetE1EEEvT1_
	.p2align	8
	.type	_ZN7rocprim17ROCPRIM_400000_NS6detail17trampoline_kernelINS0_14default_configENS1_29reduce_by_key_config_selectorIilN6thrust23THRUST_200600_302600_NS4plusIlEEEEZZNS1_33reduce_by_key_impl_wrapped_configILNS1_25lookback_scan_determinismE0ES3_S9_PiNS6_17constant_iteratorIiNS6_11use_defaultESE_EENS6_10device_ptrIiEENSG_IlEEPmS8_NS6_8equal_toIiEEEE10hipError_tPvRmT2_T3_mT4_T5_T6_T7_T8_P12ihipStream_tbENKUlT_T0_E_clISt17integral_constantIbLb1EES13_EEDaSY_SZ_EUlSY_E_NS1_11comp_targetILNS1_3genE4ELNS1_11target_archE910ELNS1_3gpuE8ELNS1_3repE0EEENS1_30default_config_static_selectorELNS0_4arch9wavefront6targetE1EEEvT1_,@function
_ZN7rocprim17ROCPRIM_400000_NS6detail17trampoline_kernelINS0_14default_configENS1_29reduce_by_key_config_selectorIilN6thrust23THRUST_200600_302600_NS4plusIlEEEEZZNS1_33reduce_by_key_impl_wrapped_configILNS1_25lookback_scan_determinismE0ES3_S9_PiNS6_17constant_iteratorIiNS6_11use_defaultESE_EENS6_10device_ptrIiEENSG_IlEEPmS8_NS6_8equal_toIiEEEE10hipError_tPvRmT2_T3_mT4_T5_T6_T7_T8_P12ihipStream_tbENKUlT_T0_E_clISt17integral_constantIbLb1EES13_EEDaSY_SZ_EUlSY_E_NS1_11comp_targetILNS1_3genE4ELNS1_11target_archE910ELNS1_3gpuE8ELNS1_3repE0EEENS1_30default_config_static_selectorELNS0_4arch9wavefront6targetE1EEEvT1_: ; @_ZN7rocprim17ROCPRIM_400000_NS6detail17trampoline_kernelINS0_14default_configENS1_29reduce_by_key_config_selectorIilN6thrust23THRUST_200600_302600_NS4plusIlEEEEZZNS1_33reduce_by_key_impl_wrapped_configILNS1_25lookback_scan_determinismE0ES3_S9_PiNS6_17constant_iteratorIiNS6_11use_defaultESE_EENS6_10device_ptrIiEENSG_IlEEPmS8_NS6_8equal_toIiEEEE10hipError_tPvRmT2_T3_mT4_T5_T6_T7_T8_P12ihipStream_tbENKUlT_T0_E_clISt17integral_constantIbLb1EES13_EEDaSY_SZ_EUlSY_E_NS1_11comp_targetILNS1_3genE4ELNS1_11target_archE910ELNS1_3gpuE8ELNS1_3repE0EEENS1_30default_config_static_selectorELNS0_4arch9wavefront6targetE1EEEvT1_
; %bb.0:
	s_load_dwordx4 s[52:55], s[4:5], 0x20
	s_load_dwordx2 s[56:57], s[4:5], 0x30
	s_load_dwordx2 s[30:31], s[4:5], 0x80
	v_cmp_ne_u32_e64 s[2:3], 0, v0
	v_cmp_eq_u32_e64 s[0:1], 0, v0
	s_and_saveexec_b64 s[6:7], s[0:1]
	s_cbranch_execz .LBB949_4
; %bb.1:
	s_mov_b64 s[10:11], exec
	v_mbcnt_lo_u32_b32 v1, s10, 0
	v_mbcnt_hi_u32_b32 v1, s11, v1
	v_cmp_eq_u32_e32 vcc, 0, v1
                                        ; implicit-def: $vgpr2
	s_and_saveexec_b64 s[8:9], vcc
	s_cbranch_execz .LBB949_3
; %bb.2:
	s_load_dwordx2 s[12:13], s[4:5], 0x88
	s_bcnt1_i32_b64 s10, s[10:11]
	v_mov_b32_e32 v2, 0
	v_mov_b32_e32 v3, s10
	s_waitcnt lgkmcnt(0)
	global_atomic_add v2, v2, v3, s[12:13] glc
.LBB949_3:
	s_or_b64 exec, exec, s[8:9]
	s_waitcnt vmcnt(0)
	v_readfirstlane_b32 s8, v2
	v_add_u32_e32 v1, s8, v1
	v_mov_b32_e32 v2, 0
	ds_write_b32 v2, v1
.LBB949_4:
	s_or_b64 exec, exec, s[6:7]
	s_load_dwordx4 s[8:11], s[4:5], 0x0
	s_load_dword s6, s[4:5], 0x18
	s_load_dwordx16 s[36:51], s[4:5], 0x40
	v_mov_b32_e32 v3, 0
	s_waitcnt lgkmcnt(0)
	s_barrier
	ds_read_b32 v1, v3
	s_mul_i32 s4, s44, s43
	s_mul_hi_u32 s5, s44, s42
	s_add_i32 s4, s5, s4
	s_mul_i32 s5, s45, s42
	s_add_i32 s7, s4, s5
	s_lshl_b64 s[4:5], s[10:11], 2
	s_add_u32 s4, s8, s4
	s_movk_i32 s8, 0xf00
	s_waitcnt lgkmcnt(0)
	v_mul_lo_u32 v2, v1, s8
	s_mul_i32 s12, s44, s42
	s_addc_u32 s5, s9, s5
	v_readfirstlane_b32 s60, v1
	v_lshlrev_b64 v[2:3], 2, v[2:3]
	v_add_co_u32_e32 v46, vcc, s4, v2
	s_add_u32 s4, s12, s60
	v_mov_b32_e32 v1, s5
	s_addc_u32 s5, s7, 0
	s_add_u32 s12, s46, -1
	s_addc_u32 s13, s47, -1
	s_cmp_eq_u64 s[4:5], s[12:13]
	v_addc_co_u32_e32 v47, vcc, v1, v3, vcc
	s_cselect_b64 s[44:45], -1, 0
	s_cmp_lg_u64 s[4:5], s[12:13]
	s_mov_b64 s[10:11], -1
	s_cselect_b64 s[8:9], -1, 0
	s_mul_i32 s33, s12, 0xfffff100
	s_and_b64 vcc, exec, s[44:45]
	s_barrier
	s_cbranch_vccnz .LBB949_6
; %bb.5:
	v_lshlrev_b32_e32 v1, 2, v0
	v_add_co_u32_e32 v4, vcc, v46, v1
	v_addc_co_u32_e32 v5, vcc, 0, v47, vcc
	v_add_co_u32_e32 v2, vcc, 0x1000, v4
	v_readfirstlane_b32 s10, v46
	v_readfirstlane_b32 s11, v47
	v_addc_co_u32_e32 v3, vcc, 0, v5, vcc
	s_nop 3
	global_load_dword v6, v1, s[10:11]
	global_load_dword v7, v1, s[10:11] offset:1024
	global_load_dword v8, v1, s[10:11] offset:2048
	;; [unrolled: 1-line block ×3, first 2 shown]
	global_load_dword v10, v[2:3], off
	global_load_dword v11, v[2:3], off offset:1024
	global_load_dword v12, v[2:3], off offset:2048
	global_load_dword v13, v[2:3], off offset:3072
	v_add_co_u32_e32 v2, vcc, 0x2000, v4
	v_addc_co_u32_e32 v3, vcc, 0, v5, vcc
	v_add_co_u32_e32 v4, vcc, 0x3000, v4
	v_addc_co_u32_e32 v5, vcc, 0, v5, vcc
	global_load_dword v14, v[2:3], off
	global_load_dword v15, v[2:3], off offset:1024
	global_load_dword v16, v[2:3], off offset:2048
	;; [unrolled: 1-line block ×3, first 2 shown]
	global_load_dword v30, v[4:5], off
	global_load_dword v31, v[4:5], off offset:1024
	global_load_dword v32, v[4:5], off offset:2048
	v_mad_u32_u24 v33, v0, 56, v1
	s_ashr_i32 s7, s6, 31
	s_movk_i32 s10, 0xffcc
	v_mul_u32_u24_e32 v2, 15, v0
	v_mad_u32_u24 v19, v0, 15, 1
	v_mad_u32_u24 v3, v0, 15, 2
	;; [unrolled: 1-line block ×14, first 2 shown]
	v_pk_mov_b32 v[26:27], s[6:7], s[6:7] op_sel:[0,1]
	v_mad_i32_i24 v34, v0, s10, v33
	s_waitcnt vmcnt(13)
	ds_write2st64_b32 v1, v6, v7 offset1:4
	s_waitcnt vmcnt(11)
	ds_write2st64_b32 v1, v8, v9 offset0:8 offset1:12
	s_waitcnt vmcnt(9)
	ds_write2st64_b32 v1, v10, v11 offset0:16 offset1:20
	;; [unrolled: 2-line block ×6, first 2 shown]
	s_waitcnt vmcnt(0)
	ds_write_b32 v1, v32 offset:14336
	s_waitcnt lgkmcnt(0)
	s_barrier
	ds_read2_b32 v[16:17], v33 offset1:1
	ds_read2_b32 v[14:15], v33 offset0:2 offset1:3
	ds_read2_b32 v[12:13], v33 offset0:4 offset1:5
	;; [unrolled: 1-line block ×6, first 2 shown]
	ds_read_b32 v1, v33 offset:56
	s_waitcnt lgkmcnt(7)
	v_mov_b32_e32 v54, v16
	s_waitcnt lgkmcnt(6)
	v_mov_b32_e32 v55, v14
	;; [unrolled: 2-line block ×7, first 2 shown]
	s_waitcnt lgkmcnt(0)
	s_barrier
	ds_write2st64_b64 v34, v[26:27], v[26:27] offset1:4
	ds_write2st64_b64 v34, v[26:27], v[26:27] offset0:8 offset1:12
	ds_write2st64_b64 v34, v[26:27], v[26:27] offset0:16 offset1:20
	;; [unrolled: 1-line block ×6, first 2 shown]
	ds_write_b64 v34, v[26:27] offset:28672
	s_waitcnt lgkmcnt(0)
	s_barrier
	s_add_i32 s33, s33, s48
	s_cbranch_execz .LBB949_7
	s_branch .LBB949_38
.LBB949_6:
                                        ; implicit-def: $vgpr1
                                        ; implicit-def: $vgpr4
                                        ; implicit-def: $vgpr6
                                        ; implicit-def: $vgpr8
                                        ; implicit-def: $vgpr10
                                        ; implicit-def: $vgpr12
                                        ; implicit-def: $vgpr14
                                        ; implicit-def: $vgpr16
                                        ; implicit-def: $vgpr45
                                        ; implicit-def: $vgpr56
                                        ; implicit-def: $vgpr44
                                        ; implicit-def: $vgpr29
                                        ; implicit-def: $vgpr24
                                        ; implicit-def: $vgpr28
                                        ; implicit-def: $vgpr23
                                        ; implicit-def: $vgpr25
                                        ; implicit-def: $vgpr20
                                        ; implicit-def: $vgpr22
                                        ; implicit-def: $vgpr18
                                        ; implicit-def: $vgpr21
                                        ; implicit-def: $vgpr3
                                        ; implicit-def: $vgpr19
                                        ; implicit-def: $vgpr2
                                        ; implicit-def: $vgpr48_vgpr49
                                        ; implicit-def: $vgpr50_vgpr51
                                        ; implicit-def: $vgpr54_vgpr55
                                        ; implicit-def: $vgpr52_vgpr53
	s_andn2_b64 vcc, exec, s[10:11]
	s_add_i32 s33, s33, s48
	s_cbranch_vccnz .LBB949_38
.LBB949_7:
	v_cmp_gt_u32_e32 vcc, s33, v0
                                        ; implicit-def: $vgpr1
	s_and_saveexec_b64 s[10:11], vcc
	s_cbranch_execz .LBB949_9
; %bb.8:
	v_lshlrev_b32_e32 v1, 2, v0
	v_readfirstlane_b32 s12, v46
	v_readfirstlane_b32 s13, v47
	s_nop 4
	global_load_dword v1, v1, s[12:13]
.LBB949_9:
	s_or_b64 exec, exec, s[10:11]
	v_or_b32_e32 v2, 0x100, v0
	v_cmp_gt_u32_e32 vcc, s33, v2
                                        ; implicit-def: $vgpr2
	s_and_saveexec_b64 s[10:11], vcc
	s_cbranch_execz .LBB949_11
; %bb.10:
	v_lshlrev_b32_e32 v2, 2, v0
	v_readfirstlane_b32 s12, v46
	v_readfirstlane_b32 s13, v47
	s_nop 4
	global_load_dword v2, v2, s[12:13] offset:1024
.LBB949_11:
	s_or_b64 exec, exec, s[10:11]
	v_or_b32_e32 v3, 0x200, v0
	v_cmp_gt_u32_e32 vcc, s33, v3
                                        ; implicit-def: $vgpr3
	s_and_saveexec_b64 s[10:11], vcc
	s_cbranch_execz .LBB949_13
; %bb.12:
	v_lshlrev_b32_e32 v3, 2, v0
	v_readfirstlane_b32 s12, v46
	v_readfirstlane_b32 s13, v47
	s_nop 4
	global_load_dword v3, v3, s[12:13] offset:2048
.LBB949_13:
	s_or_b64 exec, exec, s[10:11]
	v_or_b32_e32 v4, 0x300, v0
	v_cmp_gt_u32_e32 vcc, s33, v4
                                        ; implicit-def: $vgpr4
	s_and_saveexec_b64 s[10:11], vcc
	s_cbranch_execz .LBB949_15
; %bb.14:
	v_lshlrev_b32_e32 v4, 2, v0
	v_readfirstlane_b32 s12, v46
	v_readfirstlane_b32 s13, v47
	s_nop 4
	global_load_dword v4, v4, s[12:13] offset:3072
.LBB949_15:
	s_or_b64 exec, exec, s[10:11]
	v_or_b32_e32 v6, 0x400, v0
	v_cmp_gt_u32_e32 vcc, s33, v6
                                        ; implicit-def: $vgpr5
	s_and_saveexec_b64 s[10:11], vcc
	s_cbranch_execz .LBB949_17
; %bb.16:
	v_lshlrev_b32_e32 v5, 2, v6
	v_readfirstlane_b32 s12, v46
	v_readfirstlane_b32 s13, v47
	s_nop 4
	global_load_dword v5, v5, s[12:13]
.LBB949_17:
	s_or_b64 exec, exec, s[10:11]
	v_or_b32_e32 v7, 0x500, v0
	v_cmp_gt_u32_e32 vcc, s33, v7
                                        ; implicit-def: $vgpr6
	s_and_saveexec_b64 s[10:11], vcc
	s_cbranch_execz .LBB949_19
; %bb.18:
	v_lshlrev_b32_e32 v6, 2, v7
	v_readfirstlane_b32 s12, v46
	v_readfirstlane_b32 s13, v47
	s_nop 4
	global_load_dword v6, v6, s[12:13]
.LBB949_19:
	s_or_b64 exec, exec, s[10:11]
	v_or_b32_e32 v8, 0x600, v0
	v_cmp_gt_u32_e32 vcc, s33, v8
                                        ; implicit-def: $vgpr7
	s_and_saveexec_b64 s[10:11], vcc
	s_cbranch_execz .LBB949_21
; %bb.20:
	v_lshlrev_b32_e32 v7, 2, v8
	v_readfirstlane_b32 s12, v46
	v_readfirstlane_b32 s13, v47
	s_nop 4
	global_load_dword v7, v7, s[12:13]
.LBB949_21:
	s_or_b64 exec, exec, s[10:11]
	v_or_b32_e32 v9, 0x700, v0
	v_cmp_gt_u32_e32 vcc, s33, v9
                                        ; implicit-def: $vgpr8
	s_and_saveexec_b64 s[10:11], vcc
	s_cbranch_execz .LBB949_23
; %bb.22:
	v_lshlrev_b32_e32 v8, 2, v9
	v_readfirstlane_b32 s12, v46
	v_readfirstlane_b32 s13, v47
	s_nop 4
	global_load_dword v8, v8, s[12:13]
.LBB949_23:
	s_or_b64 exec, exec, s[10:11]
	v_or_b32_e32 v10, 0x800, v0
	v_cmp_gt_u32_e32 vcc, s33, v10
                                        ; implicit-def: $vgpr9
	s_and_saveexec_b64 s[10:11], vcc
	s_cbranch_execz .LBB949_25
; %bb.24:
	v_lshlrev_b32_e32 v9, 2, v10
	v_readfirstlane_b32 s12, v46
	v_readfirstlane_b32 s13, v47
	s_nop 4
	global_load_dword v9, v9, s[12:13]
.LBB949_25:
	s_or_b64 exec, exec, s[10:11]
	v_or_b32_e32 v11, 0x900, v0
	v_cmp_gt_u32_e32 vcc, s33, v11
                                        ; implicit-def: $vgpr10
	s_and_saveexec_b64 s[10:11], vcc
	s_cbranch_execz .LBB949_27
; %bb.26:
	v_lshlrev_b32_e32 v10, 2, v11
	v_readfirstlane_b32 s12, v46
	v_readfirstlane_b32 s13, v47
	s_nop 4
	global_load_dword v10, v10, s[12:13]
.LBB949_27:
	s_or_b64 exec, exec, s[10:11]
	v_or_b32_e32 v12, 0xa00, v0
	v_cmp_gt_u32_e32 vcc, s33, v12
                                        ; implicit-def: $vgpr11
	s_and_saveexec_b64 s[10:11], vcc
	s_cbranch_execz .LBB949_29
; %bb.28:
	v_lshlrev_b32_e32 v11, 2, v12
	v_readfirstlane_b32 s12, v46
	v_readfirstlane_b32 s13, v47
	s_nop 4
	global_load_dword v11, v11, s[12:13]
.LBB949_29:
	s_or_b64 exec, exec, s[10:11]
	v_or_b32_e32 v13, 0xb00, v0
	v_cmp_gt_u32_e32 vcc, s33, v13
                                        ; implicit-def: $vgpr12
	s_and_saveexec_b64 s[10:11], vcc
	s_cbranch_execz .LBB949_31
; %bb.30:
	v_lshlrev_b32_e32 v12, 2, v13
	v_readfirstlane_b32 s12, v46
	v_readfirstlane_b32 s13, v47
	s_nop 4
	global_load_dword v12, v12, s[12:13]
.LBB949_31:
	s_or_b64 exec, exec, s[10:11]
	v_or_b32_e32 v14, 0xc00, v0
	v_cmp_gt_u32_e32 vcc, s33, v14
                                        ; implicit-def: $vgpr13
	s_and_saveexec_b64 s[10:11], vcc
	s_cbranch_execz .LBB949_33
; %bb.32:
	v_lshlrev_b32_e32 v13, 2, v14
	v_readfirstlane_b32 s12, v46
	v_readfirstlane_b32 s13, v47
	s_nop 4
	global_load_dword v13, v13, s[12:13]
.LBB949_33:
	s_or_b64 exec, exec, s[10:11]
	v_or_b32_e32 v15, 0xd00, v0
	v_cmp_gt_u32_e32 vcc, s33, v15
                                        ; implicit-def: $vgpr14
	s_and_saveexec_b64 s[10:11], vcc
	s_cbranch_execz .LBB949_35
; %bb.34:
	v_lshlrev_b32_e32 v14, 2, v15
	v_readfirstlane_b32 s12, v46
	v_readfirstlane_b32 s13, v47
	s_nop 4
	global_load_dword v14, v14, s[12:13]
.LBB949_35:
	s_or_b64 exec, exec, s[10:11]
	v_or_b32_e32 v16, 0xe00, v0
	v_cmp_gt_u32_e32 vcc, s33, v16
                                        ; implicit-def: $vgpr15
	s_and_saveexec_b64 s[10:11], vcc
	s_cbranch_execz .LBB949_37
; %bb.36:
	v_lshlrev_b32_e32 v15, 2, v16
	v_readfirstlane_b32 s12, v46
	v_readfirstlane_b32 s13, v47
	s_nop 4
	global_load_dword v15, v15, s[12:13]
.LBB949_37:
	s_or_b64 exec, exec, s[10:11]
	v_lshlrev_b32_e32 v16, 2, v0
	v_mad_u32_u24 v26, v0, 56, v16
	s_waitcnt vmcnt(0)
	ds_write2st64_b32 v16, v1, v2 offset1:4
	ds_write2st64_b32 v16, v3, v4 offset0:8 offset1:12
	ds_write2st64_b32 v16, v5, v6 offset0:16 offset1:20
	;; [unrolled: 1-line block ×6, first 2 shown]
	ds_write_b32 v16, v15 offset:14336
	s_waitcnt lgkmcnt(0)
	s_barrier
	ds_read2_b32 v[16:17], v26 offset1:1
	ds_read2_b32 v[14:15], v26 offset0:2 offset1:3
	ds_read2_b32 v[12:13], v26 offset0:4 offset1:5
	;; [unrolled: 1-line block ×6, first 2 shown]
	ds_read_b32 v1, v26 offset:56
	s_ashr_i32 s7, s6, 31
	s_movk_i32 s10, 0xffcc
	v_mul_u32_u24_e32 v2, 15, v0
	v_mad_u32_u24 v19, v0, 15, 1
	v_mad_u32_u24 v3, v0, 15, 2
	;; [unrolled: 1-line block ×14, first 2 shown]
	v_mad_i32_i24 v30, v0, s10, v26
	v_pk_mov_b32 v[26:27], s[6:7], s[6:7] op_sel:[0,1]
	s_waitcnt lgkmcnt(7)
	v_mov_b32_e32 v54, v16
	s_waitcnt lgkmcnt(6)
	v_mov_b32_e32 v55, v14
	s_waitcnt lgkmcnt(5)
	v_mov_b32_e32 v50, v12
	s_waitcnt lgkmcnt(4)
	v_mov_b32_e32 v51, v10
	s_waitcnt lgkmcnt(3)
	v_mov_b32_e32 v48, v8
	s_waitcnt lgkmcnt(2)
	v_mov_b32_e32 v49, v6
	s_waitcnt lgkmcnt(1)
	v_mov_b32_e32 v52, v4
	s_waitcnt lgkmcnt(0)
	s_barrier
	ds_write2st64_b64 v30, v[26:27], v[26:27] offset1:4
	ds_write2st64_b64 v30, v[26:27], v[26:27] offset0:8 offset1:12
	ds_write2st64_b64 v30, v[26:27], v[26:27] offset0:16 offset1:20
	;; [unrolled: 1-line block ×6, first 2 shown]
	ds_write_b64 v30, v[26:27] offset:28672
	s_waitcnt lgkmcnt(0)
	s_barrier
.LBB949_38:
	v_lshlrev_b32_e32 v2, 3, v2
	v_lshlrev_b32_e32 v3, 3, v3
	v_lshlrev_b32_e32 v19, 3, v19
	v_lshlrev_b32_e32 v21, 3, v21
	ds_read_b64 v[42:43], v2
	ds_read_b64 v[40:41], v19
	ds_read_b64 v[38:39], v3
	ds_read_b64 v[34:35], v21
	v_lshlrev_b32_e32 v2, 3, v18
	v_lshlrev_b32_e32 v3, 3, v22
	v_lshlrev_b32_e32 v18, 3, v20
	v_lshlrev_b32_e32 v19, 3, v25
	ds_read_b64 v[36:37], v2
	ds_read_b64 v[32:33], v3
	ds_read_b64 v[30:31], v18
	ds_read_b64 v[26:27], v19
	;; [unrolled: 8-line block ×3, first 2 shown]
	v_lshlrev_b32_e32 v2, 3, v44
	v_lshlrev_b32_e32 v3, 3, v56
	v_lshlrev_b32_e32 v44, 3, v45
	ds_read_b64 v[18:19], v2
	ds_read_b64 v[2:3], v3
	;; [unrolled: 1-line block ×3, first 2 shown]
	s_cmp_eq_u64 s[4:5], 0
	s_cselect_b64 s[46:47], -1, 0
	s_cmp_lg_u64 s[4:5], 0
	s_mov_b64 s[6:7], 0
	s_cselect_b64 s[10:11], -1, 0
	s_and_b64 vcc, exec, s[8:9]
	s_waitcnt lgkmcnt(0)
	s_barrier
	s_cbranch_vccz .LBB949_44
; %bb.39:
	s_and_b64 vcc, exec, s[10:11]
	s_cbranch_vccz .LBB949_45
; %bb.40:
	global_load_dword v53, v[46:47], off offset:-4
	v_lshlrev_b32_e32 v56, 2, v0
	ds_write_b32 v56, v1
	s_waitcnt lgkmcnt(0)
	s_barrier
	s_and_saveexec_b64 s[6:7], s[2:3]
	s_cbranch_execz .LBB949_42
; %bb.41:
	s_waitcnt vmcnt(0)
	v_add_u32_e32 v53, -4, v56
	ds_read_b32 v53, v53
.LBB949_42:
	s_or_b64 exec, exec, s[6:7]
	v_cmp_ne_u32_e32 vcc, v54, v17
	v_cndmask_b32_e64 v95, 0, 1, vcc
	v_cmp_ne_u32_e32 vcc, v55, v17
	v_cndmask_b32_e64 v94, 0, 1, vcc
	v_cmp_ne_u32_e32 vcc, v55, v15
	v_cndmask_b32_e64 v93, 0, 1, vcc
	v_cmp_ne_u32_e32 vcc, v50, v15
	v_cndmask_b32_e64 v92, 0, 1, vcc
	v_cmp_ne_u32_e32 vcc, v50, v13
	v_cndmask_b32_e64 v91, 0, 1, vcc
	v_cmp_ne_u32_e32 vcc, v51, v13
	v_cndmask_b32_e64 v90, 0, 1, vcc
	v_cmp_ne_u32_e32 vcc, v51, v11
	v_cndmask_b32_e64 v89, 0, 1, vcc
	v_cmp_ne_u32_e32 vcc, v48, v11
	v_cndmask_b32_e64 v88, 0, 1, vcc
	v_cmp_ne_u32_e32 vcc, v48, v9
	v_cndmask_b32_e64 v87, 0, 1, vcc
	v_cmp_ne_u32_e32 vcc, v49, v9
	v_cndmask_b32_e64 v86, 0, 1, vcc
	v_cmp_ne_u32_e32 vcc, v49, v7
	v_cndmask_b32_e64 v85, 0, 1, vcc
	v_cmp_ne_u32_e32 vcc, v52, v7
	v_cndmask_b32_e64 v84, 0, 1, vcc
	v_cmp_ne_u32_e32 vcc, v52, v5
	v_cndmask_b32_e64 v83, 0, 1, vcc
	v_cmp_ne_u32_e32 vcc, v1, v5
	v_cndmask_b32_e64 v82, 0, 1, vcc
	s_waitcnt vmcnt(0) lgkmcnt(0)
	v_cmp_ne_u32_e64 s[8:9], v53, v16
	s_mov_b64 s[6:7], -1
.LBB949_43:
                                        ; implicit-def: $sgpr14
	s_branch .LBB949_57
.LBB949_44:
                                        ; implicit-def: $sgpr8_sgpr9
                                        ; implicit-def: $vgpr82
                                        ; implicit-def: $vgpr83
                                        ; implicit-def: $vgpr84
                                        ; implicit-def: $vgpr85
                                        ; implicit-def: $vgpr86
                                        ; implicit-def: $vgpr87
                                        ; implicit-def: $vgpr88
                                        ; implicit-def: $vgpr89
                                        ; implicit-def: $vgpr90
                                        ; implicit-def: $vgpr91
                                        ; implicit-def: $vgpr92
                                        ; implicit-def: $vgpr93
                                        ; implicit-def: $vgpr94
                                        ; implicit-def: $vgpr95
                                        ; implicit-def: $sgpr14
	s_cbranch_execnz .LBB949_49
	s_branch .LBB949_57
.LBB949_45:
                                        ; implicit-def: $sgpr8_sgpr9
                                        ; implicit-def: $vgpr82
                                        ; implicit-def: $vgpr83
                                        ; implicit-def: $vgpr84
                                        ; implicit-def: $vgpr85
                                        ; implicit-def: $vgpr86
                                        ; implicit-def: $vgpr87
                                        ; implicit-def: $vgpr88
                                        ; implicit-def: $vgpr89
                                        ; implicit-def: $vgpr90
                                        ; implicit-def: $vgpr91
                                        ; implicit-def: $vgpr92
                                        ; implicit-def: $vgpr93
                                        ; implicit-def: $vgpr94
                                        ; implicit-def: $vgpr95
	s_cbranch_execz .LBB949_43
; %bb.46:
	v_cmp_ne_u32_e32 vcc, v17, v54
	v_cndmask_b32_e64 v95, 0, 1, vcc
	v_cmp_ne_u32_e32 vcc, v17, v55
	v_cndmask_b32_e64 v94, 0, 1, vcc
	;; [unrolled: 2-line block ×13, first 2 shown]
	v_cmp_ne_u32_e32 vcc, v5, v1
	v_lshlrev_b32_e32 v53, 2, v0
	v_cndmask_b32_e64 v82, 0, 1, vcc
	ds_write_b32 v53, v1
	s_waitcnt lgkmcnt(0)
	s_barrier
	s_waitcnt lgkmcnt(0)
                                        ; implicit-def: $sgpr8_sgpr9
	s_and_saveexec_b64 s[12:13], s[2:3]
	s_xor_b64 s[12:13], exec, s[12:13]
	s_cbranch_execz .LBB949_48
; %bb.47:
	v_add_u32_e32 v48, -4, v53
	ds_read_b32 v48, v48
	s_or_b64 s[6:7], s[6:7], exec
	s_waitcnt lgkmcnt(0)
	v_cmp_ne_u32_e32 vcc, v48, v16
	s_and_b64 s[8:9], vcc, exec
.LBB949_48:
	s_or_b64 exec, exec, s[12:13]
	s_mov_b32 s14, 1
	s_branch .LBB949_57
.LBB949_49:
	s_mul_hi_u32 s8, s4, 0xfffff100
	s_mulk_i32 s5, 0xf100
	s_sub_i32 s8, s8, s4
	s_add_i32 s8, s8, s5
	s_mulk_i32 s4, 0xf100
	s_add_u32 s12, s4, s48
	s_addc_u32 s13, s8, s49
	s_and_b64 vcc, exec, s[10:11]
	s_cbranch_vccz .LBB949_54
; %bb.50:
	global_load_dword v50, v[46:47], off offset:-4
	v_mad_u32_u24 v48, v0, 15, 14
	v_mov_b32_e32 v49, 0
	v_cmp_gt_u64_e32 vcc, s[12:13], v[48:49]
	v_cmp_ne_u32_e64 s[4:5], v5, v1
	v_mad_u32_u24 v48, v0, 15, 13
	s_and_b64 s[6:7], vcc, s[4:5]
	v_cmp_gt_u64_e32 vcc, s[12:13], v[48:49]
	v_cmp_ne_u32_e64 s[4:5], v4, v5
	v_mad_u32_u24 v48, v0, 15, 12
	s_and_b64 s[8:9], vcc, s[4:5]
	v_cmp_gt_u64_e32 vcc, s[12:13], v[48:49]
	v_cmp_ne_u32_e64 s[4:5], v7, v4
	v_mad_u32_u24 v48, v0, 15, 11
	s_and_b64 s[10:11], vcc, s[4:5]
	v_cmp_gt_u64_e32 vcc, s[12:13], v[48:49]
	v_cmp_ne_u32_e64 s[4:5], v6, v7
	v_mad_u32_u24 v48, v0, 15, 10
	s_and_b64 s[14:15], vcc, s[4:5]
	v_cmp_gt_u64_e32 vcc, s[12:13], v[48:49]
	v_cmp_ne_u32_e64 s[4:5], v9, v6
	v_mad_u32_u24 v48, v0, 15, 9
	s_and_b64 s[16:17], vcc, s[4:5]
	v_cmp_gt_u64_e32 vcc, s[12:13], v[48:49]
	v_cmp_ne_u32_e64 s[4:5], v8, v9
	v_mad_u32_u24 v48, v0, 15, 8
	s_and_b64 s[18:19], vcc, s[4:5]
	v_cmp_gt_u64_e32 vcc, s[12:13], v[48:49]
	v_cmp_ne_u32_e64 s[4:5], v11, v8
	v_mad_u32_u24 v48, v0, 15, 7
	s_and_b64 s[20:21], vcc, s[4:5]
	v_cmp_gt_u64_e32 vcc, s[12:13], v[48:49]
	v_cmp_ne_u32_e64 s[4:5], v10, v11
	v_mad_u32_u24 v48, v0, 15, 6
	s_and_b64 s[22:23], vcc, s[4:5]
	v_cmp_gt_u64_e32 vcc, s[12:13], v[48:49]
	v_cmp_ne_u32_e64 s[4:5], v13, v10
	v_mad_u32_u24 v48, v0, 15, 5
	s_and_b64 s[24:25], vcc, s[4:5]
	v_cmp_gt_u64_e32 vcc, s[12:13], v[48:49]
	v_cmp_ne_u32_e64 s[4:5], v12, v13
	v_mad_u32_u24 v48, v0, 15, 4
	s_and_b64 s[26:27], vcc, s[4:5]
	v_cmp_gt_u64_e32 vcc, s[12:13], v[48:49]
	v_cmp_ne_u32_e64 s[4:5], v15, v12
	v_mad_u32_u24 v48, v0, 15, 3
	s_and_b64 s[28:29], vcc, s[4:5]
	v_cmp_gt_u64_e32 vcc, s[12:13], v[48:49]
	v_cmp_ne_u32_e64 s[4:5], v14, v15
	v_mad_u32_u24 v48, v0, 15, 2
	s_and_b64 s[34:35], vcc, s[4:5]
	v_cmp_gt_u64_e32 vcc, s[12:13], v[48:49]
	v_cmp_ne_u32_e64 s[4:5], v17, v14
	v_mad_u32_u24 v48, v0, 15, 1
	s_and_b64 s[48:49], vcc, s[4:5]
	v_cmp_gt_u64_e32 vcc, s[12:13], v[48:49]
	v_cmp_ne_u32_e64 s[4:5], v16, v17
	v_lshlrev_b32_e32 v47, 2, v0
	v_mul_u32_u24_e32 v46, 15, v0
	s_and_b64 s[4:5], vcc, s[4:5]
	ds_write_b32 v47, v1
	s_waitcnt lgkmcnt(0)
	s_barrier
	s_and_saveexec_b64 s[58:59], s[2:3]
	s_cbranch_execz .LBB949_52
; %bb.51:
	v_add_u32_e32 v47, -4, v47
	s_waitcnt vmcnt(0)
	ds_read_b32 v50, v47
.LBB949_52:
	s_or_b64 exec, exec, s[58:59]
	v_mov_b32_e32 v47, v49
	v_cndmask_b32_e64 v95, 0, 1, s[4:5]
	v_cmp_gt_u64_e32 vcc, s[12:13], v[46:47]
	s_waitcnt vmcnt(0) lgkmcnt(0)
	v_cmp_ne_u32_e64 s[4:5], v50, v16
	v_cndmask_b32_e64 v82, 0, 1, s[6:7]
	v_cndmask_b32_e64 v83, 0, 1, s[8:9]
	;; [unrolled: 1-line block ×13, first 2 shown]
	s_and_b64 s[8:9], vcc, s[4:5]
	s_mov_b64 s[6:7], -1
.LBB949_53:
                                        ; implicit-def: $sgpr14
	v_mov_b32_e32 v96, s14
	s_and_saveexec_b64 s[2:3], s[6:7]
	s_cbranch_execnz .LBB949_58
	s_branch .LBB949_59
.LBB949_54:
                                        ; implicit-def: $sgpr8_sgpr9
                                        ; implicit-def: $vgpr82
                                        ; implicit-def: $vgpr83
                                        ; implicit-def: $vgpr84
                                        ; implicit-def: $vgpr85
                                        ; implicit-def: $vgpr86
                                        ; implicit-def: $vgpr87
                                        ; implicit-def: $vgpr88
                                        ; implicit-def: $vgpr89
                                        ; implicit-def: $vgpr90
                                        ; implicit-def: $vgpr91
                                        ; implicit-def: $vgpr92
                                        ; implicit-def: $vgpr93
                                        ; implicit-def: $vgpr94
                                        ; implicit-def: $vgpr95
	s_cbranch_execz .LBB949_53
; %bb.55:
	v_mad_u32_u24 v46, v0, 15, 14
	v_mov_b32_e32 v47, 0
	v_cmp_gt_u64_e32 vcc, s[12:13], v[46:47]
	v_cmp_ne_u32_e64 s[4:5], v5, v1
	s_and_b64 s[4:5], vcc, s[4:5]
	v_mad_u32_u24 v46, v0, 15, 13
	v_cndmask_b32_e64 v82, 0, 1, s[4:5]
	v_cmp_gt_u64_e32 vcc, s[12:13], v[46:47]
	v_cmp_ne_u32_e64 s[4:5], v4, v5
	s_and_b64 s[4:5], vcc, s[4:5]
	v_mad_u32_u24 v46, v0, 15, 12
	v_cndmask_b32_e64 v83, 0, 1, s[4:5]
	;; [unrolled: 5-line block ×13, first 2 shown]
	v_cmp_gt_u64_e32 vcc, s[12:13], v[46:47]
	v_cmp_ne_u32_e64 s[4:5], v16, v17
	s_and_b64 s[4:5], vcc, s[4:5]
	v_lshlrev_b32_e32 v48, 2, v0
	s_mov_b32 s14, 1
	v_cndmask_b32_e64 v95, 0, 1, s[4:5]
	ds_write_b32 v48, v1
	s_waitcnt lgkmcnt(0)
	s_barrier
	s_waitcnt lgkmcnt(0)
                                        ; implicit-def: $sgpr8_sgpr9
	s_and_saveexec_b64 s[4:5], s[2:3]
	s_cbranch_execz .LBB949_210
; %bb.56:
	v_add_u32_e32 v46, -4, v48
	ds_read_b32 v48, v46
	v_mul_u32_u24_e32 v46, 15, v0
	v_cmp_gt_u64_e32 vcc, s[12:13], v[46:47]
	s_or_b64 s[6:7], s[6:7], exec
	s_waitcnt lgkmcnt(0)
	v_cmp_ne_u32_e64 s[2:3], v48, v16
	s_and_b64 s[2:3], vcc, s[2:3]
	s_and_b64 s[8:9], s[2:3], exec
	s_or_b64 exec, exec, s[4:5]
.LBB949_57:
	v_mov_b32_e32 v96, s14
	s_and_saveexec_b64 s[2:3], s[6:7]
.LBB949_58:
	v_cndmask_b32_e64 v96, 0, 1, s[8:9]
.LBB949_59:
	s_or_b64 exec, exec, s[2:3]
	s_cmp_eq_u64 s[42:43], 0
	v_add3_u32 v46, v95, v96, v94
	s_cselect_b64 s[34:35], -1, 0
	s_cmp_lg_u32 s60, 0
	v_cmp_eq_u32_e64 s[26:27], 0, v95
	v_cmp_eq_u32_e64 s[24:25], 0, v94
	;; [unrolled: 1-line block ×3, first 2 shown]
	v_add3_u32 v99, v46, v93, v92
	v_cmp_eq_u32_e64 s[20:21], 0, v92
	v_cmp_eq_u32_e64 s[18:19], 0, v91
	;; [unrolled: 1-line block ×10, first 2 shown]
	v_cmp_eq_u32_e32 vcc, 0, v82
	v_mbcnt_lo_u32_b32 v98, -1, 0
	s_cbranch_scc0 .LBB949_130
; %bb.60:
	v_cndmask_b32_e64 v47, 0, v42, s[26:27]
	v_cndmask_b32_e64 v46, 0, v43, s[26:27]
	v_add_co_u32_e64 v47, s[28:29], v47, v40
	v_addc_co_u32_e64 v46, s[28:29], v46, v41, s[28:29]
	v_cndmask_b32_e64 v47, 0, v47, s[24:25]
	v_cndmask_b32_e64 v46, 0, v46, s[24:25]
	v_add_co_u32_e64 v47, s[28:29], v47, v38
	v_addc_co_u32_e64 v46, s[28:29], v46, v39, s[28:29]
	;; [unrolled: 4-line block ×11, first 2 shown]
	v_cndmask_b32_e64 v47, 0, v47, s[4:5]
	v_add3_u32 v48, v99, v91, v90
	v_cndmask_b32_e64 v46, 0, v46, s[4:5]
	v_add_co_u32_e64 v47, s[28:29], v47, v18
	v_add3_u32 v48, v48, v89, v88
	v_addc_co_u32_e64 v46, s[28:29], v46, v19, s[28:29]
	v_cndmask_b32_e64 v47, 0, v47, s[2:3]
	v_add3_u32 v48, v48, v87, v86
	v_cndmask_b32_e64 v46, 0, v46, s[2:3]
	v_add_co_u32_e64 v47, s[28:29], v47, v2
	v_add3_u32 v48, v48, v85, v84
	v_addc_co_u32_e64 v46, s[28:29], v46, v3, s[28:29]
	v_cndmask_b32_e32 v47, 0, v47, vcc
	v_add3_u32 v50, v48, v83, v82
	v_cndmask_b32_e32 v46, 0, v46, vcc
	v_add_co_u32_e32 v48, vcc, v47, v44
	v_mbcnt_hi_u32_b32 v51, -1, v98
	v_addc_co_u32_e32 v49, vcc, v46, v45, vcc
	v_and_b32_e32 v46, 15, v51
	v_mov_b32_dpp v52, v50 row_shr:1 row_mask:0xf bank_mask:0xf
	v_mov_b32_dpp v47, v48 row_shr:1 row_mask:0xf bank_mask:0xf
	;; [unrolled: 1-line block ×3, first 2 shown]
	v_cmp_ne_u32_e32 vcc, 0, v46
	s_and_saveexec_b64 s[28:29], vcc
; %bb.61:
	v_cmp_eq_u32_e32 vcc, 0, v50
	v_cndmask_b32_e32 v47, 0, v47, vcc
	v_add_u32_e32 v52, v52, v50
	v_cndmask_b32_e32 v50, 0, v53, vcc
	v_add_co_u32_e32 v48, vcc, v47, v48
	v_addc_co_u32_e32 v49, vcc, v50, v49, vcc
	v_mov_b32_e32 v50, v52
; %bb.62:
	s_or_b64 exec, exec, s[28:29]
	s_nop 0
	v_mov_b32_dpp v52, v50 row_shr:2 row_mask:0xf bank_mask:0xf
	v_mov_b32_dpp v47, v48 row_shr:2 row_mask:0xf bank_mask:0xf
	v_mov_b32_dpp v53, v49 row_shr:2 row_mask:0xf bank_mask:0xf
	v_cmp_lt_u32_e32 vcc, 1, v46
	s_and_saveexec_b64 s[28:29], vcc
; %bb.63:
	v_cmp_eq_u32_e32 vcc, 0, v50
	v_cndmask_b32_e32 v47, 0, v47, vcc
	v_add_u32_e32 v52, v52, v50
	v_cndmask_b32_e32 v50, 0, v53, vcc
	v_add_co_u32_e32 v48, vcc, v47, v48
	v_addc_co_u32_e32 v49, vcc, v50, v49, vcc
	v_mov_b32_e32 v50, v52
; %bb.64:
	s_or_b64 exec, exec, s[28:29]
	s_nop 0
	v_mov_b32_dpp v52, v50 row_shr:4 row_mask:0xf bank_mask:0xf
	v_mov_b32_dpp v47, v48 row_shr:4 row_mask:0xf bank_mask:0xf
	v_mov_b32_dpp v53, v49 row_shr:4 row_mask:0xf bank_mask:0xf
	v_cmp_lt_u32_e32 vcc, 3, v46
	;; [unrolled: 16-line block ×3, first 2 shown]
	s_and_saveexec_b64 s[28:29], vcc
; %bb.67:
	v_cmp_eq_u32_e32 vcc, 0, v50
	v_cndmask_b32_e32 v47, 0, v47, vcc
	v_add_u32_e32 v46, v52, v50
	v_cndmask_b32_e32 v50, 0, v53, vcc
	v_add_co_u32_e32 v48, vcc, v47, v48
	v_addc_co_u32_e32 v49, vcc, v50, v49, vcc
	v_mov_b32_e32 v50, v46
; %bb.68:
	s_or_b64 exec, exec, s[28:29]
	v_and_b32_e32 v53, 16, v51
	v_mov_b32_dpp v47, v50 row_bcast:15 row_mask:0xf bank_mask:0xf
	v_mov_b32_dpp v46, v48 row_bcast:15 row_mask:0xf bank_mask:0xf
	;; [unrolled: 1-line block ×3, first 2 shown]
	v_cmp_ne_u32_e32 vcc, 0, v53
	s_and_saveexec_b64 s[28:29], vcc
; %bb.69:
	v_cmp_eq_u32_e32 vcc, 0, v50
	v_cndmask_b32_e32 v46, 0, v46, vcc
	v_add_u32_e32 v47, v47, v50
	v_cndmask_b32_e32 v50, 0, v52, vcc
	v_add_co_u32_e32 v48, vcc, v46, v48
	v_addc_co_u32_e32 v49, vcc, v50, v49, vcc
	v_mov_b32_e32 v50, v47
; %bb.70:
	s_or_b64 exec, exec, s[28:29]
	s_nop 0
	v_mov_b32_dpp v47, v50 row_bcast:31 row_mask:0xf bank_mask:0xf
	v_mov_b32_dpp v46, v48 row_bcast:31 row_mask:0xf bank_mask:0xf
	;; [unrolled: 1-line block ×3, first 2 shown]
	v_cmp_lt_u32_e32 vcc, 31, v51
	s_and_saveexec_b64 s[28:29], vcc
; %bb.71:
	v_cmp_eq_u32_e32 vcc, 0, v50
	v_cndmask_b32_e32 v46, 0, v46, vcc
	v_add_u32_e32 v47, v47, v50
	v_cndmask_b32_e32 v50, 0, v52, vcc
	v_add_co_u32_e32 v48, vcc, v46, v48
	v_addc_co_u32_e32 v49, vcc, v50, v49, vcc
	v_mov_b32_e32 v50, v47
; %bb.72:
	s_or_b64 exec, exec, s[28:29]
	v_lshrrev_b32_e32 v46, 6, v0
	v_or_b32_e32 v47, 63, v0
	v_cmp_eq_u32_e32 vcc, v47, v0
	v_lshlrev_b32_e32 v52, 4, v46
	s_and_saveexec_b64 s[28:29], vcc
	s_cbranch_execz .LBB949_74
; %bb.73:
	ds_write_b32 v52, v50 offset:2080
	ds_write_b64 v52, v[48:49] offset:2088
.LBB949_74:
	s_or_b64 exec, exec, s[28:29]
	v_cmp_gt_u32_e32 vcc, 4, v0
	s_waitcnt lgkmcnt(0)
	s_barrier
	s_and_saveexec_b64 s[28:29], vcc
	s_cbranch_execz .LBB949_80
; %bb.75:
	v_lshlrev_b32_e32 v53, 4, v0
	ds_read_b32 v54, v53 offset:2080
	ds_read_b64 v[46:47], v53 offset:2088
	v_and_b32_e32 v55, 3, v51
	v_cmp_ne_u32_e32 vcc, 0, v55
	s_waitcnt lgkmcnt(1)
	v_mov_b32_dpp v57, v54 row_shr:1 row_mask:0xf bank_mask:0xf
	s_waitcnt lgkmcnt(0)
	v_mov_b32_dpp v56, v46 row_shr:1 row_mask:0xf bank_mask:0xf
	v_mov_b32_dpp v58, v47 row_shr:1 row_mask:0xf bank_mask:0xf
	s_and_saveexec_b64 s[42:43], vcc
; %bb.76:
	v_cmp_eq_u32_e32 vcc, 0, v54
	v_cndmask_b32_e32 v56, 0, v56, vcc
	v_add_u32_e32 v57, v57, v54
	v_cndmask_b32_e32 v54, 0, v58, vcc
	v_add_co_u32_e32 v46, vcc, v56, v46
	v_addc_co_u32_e32 v47, vcc, v54, v47, vcc
	v_mov_b32_e32 v54, v57
; %bb.77:
	s_or_b64 exec, exec, s[42:43]
	s_nop 0
	v_mov_b32_dpp v57, v54 row_shr:2 row_mask:0xf bank_mask:0xf
	v_mov_b32_dpp v56, v46 row_shr:2 row_mask:0xf bank_mask:0xf
	;; [unrolled: 1-line block ×3, first 2 shown]
	v_cmp_lt_u32_e32 vcc, 1, v55
	s_and_saveexec_b64 s[42:43], vcc
; %bb.78:
	v_cmp_eq_u32_e32 vcc, 0, v54
	v_cndmask_b32_e32 v56, 0, v56, vcc
	v_add_u32_e32 v55, v57, v54
	v_cndmask_b32_e32 v54, 0, v58, vcc
	v_add_co_u32_e32 v46, vcc, v56, v46
	v_addc_co_u32_e32 v47, vcc, v54, v47, vcc
	v_mov_b32_e32 v54, v55
; %bb.79:
	s_or_b64 exec, exec, s[42:43]
	ds_write_b32 v53, v54 offset:2080
	ds_write_b64 v53, v[46:47] offset:2088
.LBB949_80:
	s_or_b64 exec, exec, s[28:29]
	v_cmp_gt_u32_e32 vcc, 64, v0
	v_cmp_lt_u32_e64 s[28:29], 63, v0
	v_pk_mov_b32 v[46:47], 0, 0
	v_mov_b32_e32 v58, 0
	s_waitcnt lgkmcnt(0)
	s_barrier
	s_and_saveexec_b64 s[42:43], s[28:29]
	s_cbranch_execz .LBB949_82
; %bb.81:
	ds_read_b32 v58, v52 offset:2064
	ds_read_b64 v[46:47], v52 offset:2072
	v_cmp_eq_u32_e64 s[28:29], 0, v50
	s_waitcnt lgkmcnt(1)
	v_add_u32_e32 v52, v58, v50
	s_waitcnt lgkmcnt(0)
	v_cndmask_b32_e64 v53, 0, v46, s[28:29]
	v_cndmask_b32_e64 v50, 0, v47, s[28:29]
	v_add_co_u32_e64 v48, s[28:29], v53, v48
	v_addc_co_u32_e64 v49, s[28:29], v50, v49, s[28:29]
	v_mov_b32_e32 v50, v52
.LBB949_82:
	s_or_b64 exec, exec, s[42:43]
	v_add_u32_e32 v52, -1, v51
	v_and_b32_e32 v53, 64, v51
	v_cmp_lt_i32_e64 s[28:29], v52, v53
	v_cndmask_b32_e64 v52, v52, v51, s[28:29]
	v_lshlrev_b32_e32 v52, 2, v52
	ds_bpermute_b32 v59, v52, v50
	ds_bpermute_b32 v60, v52, v48
	;; [unrolled: 1-line block ×3, first 2 shown]
	v_cmp_eq_u32_e64 s[28:29], 0, v51
	s_and_saveexec_b64 s[42:43], vcc
	s_cbranch_execz .LBB949_129
; %bb.83:
	v_mov_b32_e32 v53, 0
	ds_read_b32 v62, v53 offset:2128
	ds_read_b64 v[48:49], v53 offset:2136
	s_and_saveexec_b64 s[48:49], s[28:29]
	s_cbranch_execz .LBB949_85
; %bb.84:
	s_add_i32 s58, s60, 64
	s_mov_b32 s59, 0
	s_lshl_b64 s[62:63], s[58:59], 4
	s_add_u32 s62, s36, s62
	s_addc_u32 s63, s37, s63
	v_mov_b32_e32 v50, s58
	v_mov_b32_e32 v52, 1
	s_waitcnt lgkmcnt(1)
	global_store_dword v53, v62, s[62:63]
	s_waitcnt lgkmcnt(0)
	global_store_dwordx2 v53, v[48:49], s[62:63] offset:8
	s_waitcnt vmcnt(0)
	buffer_wbinvl1_vol
	global_store_byte v50, v52, s[40:41]
.LBB949_85:
	s_or_b64 exec, exec, s[48:49]
	v_xad_u32 v50, v51, -1, s60
	v_add_u32_e32 v52, 64, v50
	global_load_ubyte v63, v52, s[40:41] glc
	s_waitcnt vmcnt(0)
	v_cmp_eq_u16_e32 vcc, 0, v63
	s_and_saveexec_b64 s[48:49], vcc
	s_cbranch_execz .LBB949_91
; %bb.86:
	v_mov_b32_e32 v55, s41
	v_add_co_u32_e32 v54, vcc, s40, v52
	v_addc_co_u32_e32 v55, vcc, 0, v55, vcc
	s_mov_b32 s61, 1
	s_mov_b64 s[58:59], 0
.LBB949_87:                             ; =>This Loop Header: Depth=1
                                        ;     Child Loop BB949_88 Depth 2
	s_max_u32 s62, s61, 1
.LBB949_88:                             ;   Parent Loop BB949_87 Depth=1
                                        ; =>  This Inner Loop Header: Depth=2
	s_add_i32 s62, s62, -1
	s_cmp_eq_u32 s62, 0
	s_sleep 1
	s_cbranch_scc0 .LBB949_88
; %bb.89:                               ;   in Loop: Header=BB949_87 Depth=1
	global_load_ubyte v63, v[54:55], off glc
	s_cmp_lt_u32 s61, 32
	s_cselect_b64 s[62:63], -1, 0
	s_cmp_lg_u64 s[62:63], 0
	s_addc_u32 s61, s61, 0
	s_waitcnt vmcnt(0)
	v_cmp_ne_u16_e32 vcc, 0, v63
	s_or_b64 s[58:59], vcc, s[58:59]
	s_andn2_b64 exec, exec, s[58:59]
	s_cbranch_execnz .LBB949_87
; %bb.90:
	s_or_b64 exec, exec, s[58:59]
.LBB949_91:
	s_or_b64 exec, exec, s[48:49]
	v_mov_b32_e32 v54, s39
	v_mov_b32_e32 v55, s37
	v_cmp_eq_u16_e32 vcc, 1, v63
	v_cndmask_b32_e32 v54, v54, v55, vcc
	v_mov_b32_e32 v55, s38
	v_mov_b32_e32 v56, s36
	v_cndmask_b32_e32 v55, v55, v56, vcc
	v_lshlrev_b64 v[52:53], 4, v[52:53]
	v_add_co_u32_e32 v52, vcc, v55, v52
	v_addc_co_u32_e32 v53, vcc, v54, v53, vcc
	s_waitcnt lgkmcnt(0)
	buffer_wbinvl1_vol
	global_load_dword v78, v[52:53], off
	global_load_dwordx2 v[56:57], v[52:53], off offset:8
	v_cmp_eq_u16_e32 vcc, 2, v63
	v_lshlrev_b64 v[52:53], v51, -1
	v_and_b32_e32 v64, 63, v51
	v_and_b32_e32 v54, vcc_hi, v53
	v_and_b32_e32 v68, vcc_lo, v52
	v_cmp_ne_u32_e32 vcc, 63, v64
	v_addc_co_u32_e32 v55, vcc, 0, v51, vcc
	v_lshlrev_b32_e32 v65, 2, v55
	v_or_b32_e32 v54, 0x80000000, v54
	v_ffbl_b32_e32 v54, v54
	v_add_u32_e32 v54, 32, v54
	v_ffbl_b32_e32 v68, v68
	v_min_u32_e32 v54, v68, v54
	v_cmp_lt_u32_e32 vcc, v64, v54
	s_waitcnt vmcnt(1)
	ds_bpermute_b32 v66, v65, v78
	s_waitcnt vmcnt(0)
	ds_bpermute_b32 v55, v65, v56
	ds_bpermute_b32 v67, v65, v57
	s_and_saveexec_b64 s[48:49], vcc
	s_cbranch_execz .LBB949_93
; %bb.92:
	v_cmp_eq_u32_e32 vcc, 0, v78
	s_waitcnt lgkmcnt(1)
	v_cndmask_b32_e32 v55, 0, v55, vcc
	v_add_u32_e32 v66, v66, v78
	s_waitcnt lgkmcnt(0)
	v_cndmask_b32_e32 v67, 0, v67, vcc
	v_add_co_u32_e32 v56, vcc, v55, v56
	v_addc_co_u32_e32 v57, vcc, v67, v57, vcc
	v_mov_b32_e32 v78, v66
.LBB949_93:
	s_or_b64 exec, exec, s[48:49]
	v_cmp_gt_u32_e32 vcc, 62, v64
	s_waitcnt lgkmcnt(1)
	v_cndmask_b32_e64 v55, 0, 1, vcc
	v_lshlrev_b32_e32 v55, 1, v55
	v_add_lshl_u32 v66, v55, v51, 2
	ds_bpermute_b32 v68, v66, v78
	ds_bpermute_b32 v55, v66, v56
	ds_bpermute_b32 v69, v66, v57
	s_waitcnt lgkmcnt(3)
	v_add_u32_e32 v67, 2, v64
	v_cmp_le_u32_e32 vcc, v67, v54
	s_and_saveexec_b64 s[48:49], vcc
	s_cbranch_execz .LBB949_95
; %bb.94:
	v_cmp_eq_u32_e32 vcc, 0, v78
	s_waitcnt lgkmcnt(1)
	v_cndmask_b32_e32 v55, 0, v55, vcc
	v_add_u32_e32 v68, v68, v78
	s_waitcnt lgkmcnt(0)
	v_cndmask_b32_e32 v69, 0, v69, vcc
	v_add_co_u32_e32 v56, vcc, v55, v56
	v_addc_co_u32_e32 v57, vcc, v69, v57, vcc
	v_mov_b32_e32 v78, v68
.LBB949_95:
	s_or_b64 exec, exec, s[48:49]
	v_cmp_gt_u32_e32 vcc, 60, v64
	s_waitcnt lgkmcnt(1)
	v_cndmask_b32_e64 v55, 0, 1, vcc
	v_lshlrev_b32_e32 v55, 2, v55
	v_add_lshl_u32 v68, v55, v51, 2
	ds_bpermute_b32 v70, v68, v78
	ds_bpermute_b32 v55, v68, v56
	ds_bpermute_b32 v71, v68, v57
	s_waitcnt lgkmcnt(3)
	v_add_u32_e32 v69, 4, v64
	v_cmp_le_u32_e32 vcc, v69, v54
	;; [unrolled: 25-line block ×4, first 2 shown]
	s_and_saveexec_b64 s[48:49], vcc
	s_cbranch_execz .LBB949_101
; %bb.100:
	v_cmp_eq_u32_e32 vcc, 0, v78
	s_waitcnt lgkmcnt(1)
	v_cndmask_b32_e32 v55, 0, v55, vcc
	v_add_u32_e32 v74, v74, v78
	s_waitcnt lgkmcnt(0)
	v_cndmask_b32_e32 v75, 0, v75, vcc
	v_add_co_u32_e32 v56, vcc, v55, v56
	v_addc_co_u32_e32 v57, vcc, v75, v57, vcc
	v_mov_b32_e32 v78, v74
.LBB949_101:
	s_or_b64 exec, exec, s[48:49]
	v_cmp_gt_u32_e32 vcc, 32, v64
	s_waitcnt lgkmcnt(1)
	v_cndmask_b32_e64 v55, 0, 1, vcc
	v_lshlrev_b32_e32 v55, 5, v55
	v_add_lshl_u32 v74, v55, v51, 2
	ds_bpermute_b32 v55, v74, v78
	ds_bpermute_b32 v51, v74, v56
	s_waitcnt lgkmcnt(2)
	ds_bpermute_b32 v75, v74, v57
	v_add_u32_e32 v76, 32, v64
	v_cmp_le_u32_e32 vcc, v76, v54
	s_and_saveexec_b64 s[48:49], vcc
	s_cbranch_execz .LBB949_103
; %bb.102:
	v_cmp_eq_u32_e32 vcc, 0, v78
	s_waitcnt lgkmcnt(1)
	v_cndmask_b32_e32 v51, 0, v51, vcc
	v_add_u32_e32 v54, v55, v78
	s_waitcnt lgkmcnt(0)
	v_cndmask_b32_e32 v55, 0, v75, vcc
	v_add_co_u32_e32 v56, vcc, v51, v56
	v_addc_co_u32_e32 v57, vcc, v55, v57, vcc
	v_mov_b32_e32 v78, v54
.LBB949_103:
	s_or_b64 exec, exec, s[48:49]
	s_waitcnt lgkmcnt(1)
	v_mov_b32_e32 v51, 0
	v_mov_b32_e32 v77, 2
	s_branch .LBB949_105
.LBB949_104:                            ;   in Loop: Header=BB949_105 Depth=1
	s_or_b64 exec, exec, s[48:49]
	v_cmp_eq_u32_e32 vcc, 0, v75
	v_cndmask_b32_e32 v56, 0, v56, vcc
	v_cndmask_b32_e32 v57, 0, v57, vcc
	v_add_co_u32_e32 v56, vcc, v56, v54
	v_subrev_u32_e32 v50, 64, v50
	v_add_u32_e32 v78, v79, v75
	v_addc_co_u32_e32 v57, vcc, v57, v55, vcc
.LBB949_105:                            ; =>This Loop Header: Depth=1
                                        ;     Child Loop BB949_108 Depth 2
                                        ;       Child Loop BB949_109 Depth 3
	v_cmp_ne_u16_sdwa s[48:49], v63, v77 src0_sel:BYTE_0 src1_sel:DWORD
	v_pk_mov_b32 v[54:55], v[56:57], v[56:57] op_sel:[0,1]
	v_cndmask_b32_e64 v56, 0, 1, s[48:49]
	;;#ASMSTART
	;;#ASMEND
	v_cmp_ne_u32_e32 vcc, 0, v56
	s_cmp_lg_u64 vcc, exec
	s_waitcnt lgkmcnt(0)
	v_mov_b32_e32 v75, v78
	s_cbranch_scc1 .LBB949_124
; %bb.106:                              ;   in Loop: Header=BB949_105 Depth=1
	global_load_ubyte v63, v50, s[40:41] glc
	s_waitcnt vmcnt(0)
	v_cmp_eq_u16_e32 vcc, 0, v63
	s_and_saveexec_b64 s[48:49], vcc
	s_cbranch_execz .LBB949_112
; %bb.107:                              ;   in Loop: Header=BB949_105 Depth=1
	v_mov_b32_e32 v57, s41
	v_add_co_u32_e32 v56, vcc, s40, v50
	v_addc_co_u32_e32 v57, vcc, 0, v57, vcc
	s_mov_b32 s61, 1
	s_mov_b64 s[58:59], 0
.LBB949_108:                            ;   Parent Loop BB949_105 Depth=1
                                        ; =>  This Loop Header: Depth=2
                                        ;       Child Loop BB949_109 Depth 3
	s_max_u32 s62, s61, 1
.LBB949_109:                            ;   Parent Loop BB949_105 Depth=1
                                        ;     Parent Loop BB949_108 Depth=2
                                        ; =>    This Inner Loop Header: Depth=3
	s_add_i32 s62, s62, -1
	s_cmp_eq_u32 s62, 0
	s_sleep 1
	s_cbranch_scc0 .LBB949_109
; %bb.110:                              ;   in Loop: Header=BB949_108 Depth=2
	global_load_ubyte v63, v[56:57], off glc
	s_cmp_lt_u32 s61, 32
	s_cselect_b64 s[62:63], -1, 0
	s_cmp_lg_u64 s[62:63], 0
	s_addc_u32 s61, s61, 0
	s_waitcnt vmcnt(0)
	v_cmp_ne_u16_e32 vcc, 0, v63
	s_or_b64 s[58:59], vcc, s[58:59]
	s_andn2_b64 exec, exec, s[58:59]
	s_cbranch_execnz .LBB949_108
; %bb.111:                              ;   in Loop: Header=BB949_105 Depth=1
	s_or_b64 exec, exec, s[58:59]
.LBB949_112:                            ;   in Loop: Header=BB949_105 Depth=1
	s_or_b64 exec, exec, s[48:49]
	v_mov_b32_e32 v56, s39
	v_mov_b32_e32 v57, s37
	v_cmp_eq_u16_e32 vcc, 1, v63
	v_cndmask_b32_e32 v78, v56, v57, vcc
	v_mov_b32_e32 v56, s38
	v_mov_b32_e32 v57, s36
	v_cndmask_b32_e32 v79, v56, v57, vcc
	v_lshlrev_b64 v[56:57], 4, v[50:51]
	v_add_co_u32_e32 v56, vcc, v79, v56
	v_addc_co_u32_e32 v57, vcc, v78, v57, vcc
	buffer_wbinvl1_vol
	global_load_dword v79, v[56:57], off
	s_nop 0
	global_load_dwordx2 v[56:57], v[56:57], off offset:8
	v_cmp_eq_u16_e32 vcc, 2, v63
	v_and_b32_e32 v78, vcc_hi, v53
	v_or_b32_e32 v78, 0x80000000, v78
	v_and_b32_e32 v100, vcc_lo, v52
	v_ffbl_b32_e32 v78, v78
	v_add_u32_e32 v78, 32, v78
	v_ffbl_b32_e32 v100, v100
	v_min_u32_e32 v78, v100, v78
	v_cmp_lt_u32_e32 vcc, v64, v78
	s_waitcnt vmcnt(1)
	ds_bpermute_b32 v81, v65, v79
	s_waitcnt vmcnt(0)
	ds_bpermute_b32 v80, v65, v56
	ds_bpermute_b32 v97, v65, v57
	s_and_saveexec_b64 s[48:49], vcc
	s_cbranch_execz .LBB949_114
; %bb.113:                              ;   in Loop: Header=BB949_105 Depth=1
	v_cmp_eq_u32_e32 vcc, 0, v79
	s_waitcnt lgkmcnt(1)
	v_cndmask_b32_e32 v80, 0, v80, vcc
	v_add_u32_e32 v81, v81, v79
	s_waitcnt lgkmcnt(0)
	v_cndmask_b32_e32 v79, 0, v97, vcc
	v_add_co_u32_e32 v56, vcc, v80, v56
	v_addc_co_u32_e32 v57, vcc, v79, v57, vcc
	v_mov_b32_e32 v79, v81
.LBB949_114:                            ;   in Loop: Header=BB949_105 Depth=1
	s_or_b64 exec, exec, s[48:49]
	s_waitcnt lgkmcnt(2)
	ds_bpermute_b32 v81, v66, v79
	s_waitcnt lgkmcnt(2)
	ds_bpermute_b32 v80, v66, v56
	s_waitcnt lgkmcnt(2)
	ds_bpermute_b32 v97, v66, v57
	v_cmp_le_u32_e32 vcc, v67, v78
	s_and_saveexec_b64 s[48:49], vcc
	s_cbranch_execz .LBB949_116
; %bb.115:                              ;   in Loop: Header=BB949_105 Depth=1
	v_cmp_eq_u32_e32 vcc, 0, v79
	s_waitcnt lgkmcnt(1)
	v_cndmask_b32_e32 v80, 0, v80, vcc
	v_add_u32_e32 v81, v81, v79
	s_waitcnt lgkmcnt(0)
	v_cndmask_b32_e32 v79, 0, v97, vcc
	v_add_co_u32_e32 v56, vcc, v80, v56
	v_addc_co_u32_e32 v57, vcc, v79, v57, vcc
	v_mov_b32_e32 v79, v81
.LBB949_116:                            ;   in Loop: Header=BB949_105 Depth=1
	s_or_b64 exec, exec, s[48:49]
	s_waitcnt lgkmcnt(2)
	ds_bpermute_b32 v81, v68, v79
	s_waitcnt lgkmcnt(2)
	ds_bpermute_b32 v80, v68, v56
	s_waitcnt lgkmcnt(2)
	ds_bpermute_b32 v97, v68, v57
	v_cmp_le_u32_e32 vcc, v69, v78
	;; [unrolled: 21-line block ×5, first 2 shown]
	s_and_saveexec_b64 s[48:49], vcc
	s_cbranch_execz .LBB949_104
; %bb.123:                              ;   in Loop: Header=BB949_105 Depth=1
	v_cmp_eq_u32_e32 vcc, 0, v79
	s_waitcnt lgkmcnt(1)
	v_cndmask_b32_e32 v80, 0, v80, vcc
	v_add_u32_e32 v78, v81, v79
	s_waitcnt lgkmcnt(0)
	v_cndmask_b32_e32 v79, 0, v97, vcc
	v_add_co_u32_e32 v56, vcc, v80, v56
	v_addc_co_u32_e32 v57, vcc, v79, v57, vcc
	v_mov_b32_e32 v79, v78
	s_branch .LBB949_104
.LBB949_124:                            ;   in Loop: Header=BB949_105 Depth=1
                                        ; implicit-def: $vgpr56_vgpr57
                                        ; implicit-def: $vgpr78
                                        ; implicit-def: $vgpr63
	s_cbranch_execz .LBB949_105
; %bb.125:
	s_and_saveexec_b64 s[36:37], s[28:29]
	s_cbranch_execz .LBB949_127
; %bb.126:
	s_mov_b32 s49, 0
	v_cmp_eq_u32_e32 vcc, 0, v62
	s_add_i32 s48, s60, 64
	v_cndmask_b32_e32 v50, 0, v54, vcc
	s_lshl_b64 s[58:59], s[48:49], 4
	v_cndmask_b32_e32 v51, 0, v55, vcc
	v_add_co_u32_e32 v50, vcc, v50, v48
	s_add_u32 s58, s38, s58
	v_add_u32_e32 v52, v75, v62
	v_addc_co_u32_e32 v51, vcc, v51, v49, vcc
	s_addc_u32 s59, s39, s59
	v_mov_b32_e32 v53, 0
	global_store_dword v53, v52, s[58:59]
	global_store_dwordx2 v53, v[50:51], s[58:59] offset:8
	v_mov_b32_e32 v50, s48
	v_mov_b32_e32 v51, 2
	s_waitcnt vmcnt(0) lgkmcnt(0)
	buffer_wbinvl1_vol
	global_store_byte v50, v51, s[40:41]
	ds_write_b32 v53, v62 offset:2048
	ds_write_b64 v53, v[48:49] offset:2056
	ds_write_b32 v53, v75 offset:2064
	ds_write_b64 v53, v[54:55] offset:2072
.LBB949_127:
	s_or_b64 exec, exec, s[36:37]
	s_and_b64 exec, exec, s[0:1]
	s_cbranch_execz .LBB949_129
; %bb.128:
	v_mov_b32_e32 v48, 0
	ds_write_b32 v48, v75 offset:2128
	ds_write_b64 v48, v[54:55] offset:2136
.LBB949_129:
	s_or_b64 exec, exec, s[42:43]
	v_mov_b32_e32 v51, 0
	s_waitcnt lgkmcnt(0)
	s_barrier
	ds_read_b32 v50, v51 offset:2128
	ds_read_b64 v[48:49], v51 offset:2136
	v_cndmask_b32_e64 v52, v59, v58, s[28:29]
	v_cmp_eq_u32_e32 vcc, 0, v52
	v_cndmask_b32_e64 v46, v60, v46, s[28:29]
	v_cndmask_b32_e64 v47, v61, v47, s[28:29]
	s_waitcnt lgkmcnt(0)
	v_cndmask_b32_e32 v54, 0, v48, vcc
	v_cndmask_b32_e32 v53, 0, v49, vcc
	v_add_co_u32_e32 v46, vcc, v54, v46
	v_addc_co_u32_e32 v47, vcc, v53, v47, vcc
	v_cndmask_b32_e64 v76, v46, v48, s[0:1]
	v_cmp_eq_u32_e32 vcc, 0, v96
	v_cndmask_b32_e64 v52, v52, 0, s[0:1]
	v_cndmask_b32_e64 v77, v47, v49, s[0:1]
	v_cndmask_b32_e32 v47, 0, v76, vcc
	v_add_u32_e32 v97, v50, v52
	v_cndmask_b32_e32 v46, 0, v77, vcc
	v_add_co_u32_e32 v52, vcc, v47, v42
	v_addc_co_u32_e32 v53, vcc, v46, v43, vcc
	v_cndmask_b32_e64 v47, 0, v52, s[26:27]
	v_cndmask_b32_e64 v46, 0, v53, s[26:27]
	v_add_co_u32_e32 v54, vcc, v47, v40
	v_addc_co_u32_e32 v55, vcc, v46, v41, vcc
	v_cndmask_b32_e64 v47, 0, v54, s[24:25]
	v_cndmask_b32_e64 v46, 0, v55, s[24:25]
	;; [unrolled: 4-line block ×11, first 2 shown]
	v_add_co_u32_e32 v74, vcc, v47, v20
	v_addc_co_u32_e32 v75, vcc, v46, v21, vcc
	s_barrier
	ds_read_b32 v46, v51 offset:2048
	ds_read_b64 v[48:49], v51 offset:2056
	ds_read_b32 v50, v51 offset:2064
	ds_read_b64 v[100:101], v51 offset:2072
	v_cndmask_b32_e64 v78, 0, v74, s[4:5]
	v_cndmask_b32_e64 v47, 0, v75, s[4:5]
	v_add_co_u32_e32 v78, vcc, v78, v18
	v_addc_co_u32_e32 v79, vcc, v47, v19, vcc
	s_waitcnt lgkmcnt(3)
	v_cmp_eq_u32_e32 vcc, 0, v46
	s_waitcnt lgkmcnt(0)
	v_cndmask_b32_e32 v51, 0, v100, vcc
	v_cndmask_b32_e32 v47, 0, v101, vcc
	v_add_co_u32_e32 v48, vcc, v51, v48
	v_cndmask_b32_e64 v81, 0, v79, s[2:3]
	v_cndmask_b32_e64 v80, 0, v78, s[2:3]
	v_addc_co_u32_e32 v49, vcc, v47, v49, vcc
	s_branch .LBB949_158
.LBB949_130:
                                        ; implicit-def: $vgpr46
                                        ; implicit-def: $vgpr48_vgpr49
                                        ; implicit-def: $vgpr50
                                        ; implicit-def: $vgpr76_vgpr77
                                        ; implicit-def: $vgpr52_vgpr53
                                        ; implicit-def: $vgpr54_vgpr55
                                        ; implicit-def: $vgpr56_vgpr57
                                        ; implicit-def: $vgpr58_vgpr59
                                        ; implicit-def: $vgpr60_vgpr61
                                        ; implicit-def: $vgpr62_vgpr63
                                        ; implicit-def: $vgpr64_vgpr65
                                        ; implicit-def: $vgpr66_vgpr67
                                        ; implicit-def: $vgpr68_vgpr69
                                        ; implicit-def: $vgpr70_vgpr71
                                        ; implicit-def: $vgpr72_vgpr73
                                        ; implicit-def: $vgpr74_vgpr75
                                        ; implicit-def: $vgpr78_vgpr79
                                        ; implicit-def: $vgpr80_vgpr81
                                        ; implicit-def: $vgpr97
	s_cbranch_execz .LBB949_158
; %bb.131:
	s_and_b64 s[2:3], s[34:35], exec
	s_cselect_b32 s3, 0, s31
	s_cselect_b32 s2, 0, s30
	s_cmp_eq_u64 s[2:3], 0
	v_pk_mov_b32 v[50:51], v[42:43], v[42:43] op_sel:[0,1]
	s_cbranch_scc1 .LBB949_133
; %bb.132:
	v_mov_b32_e32 v46, 0
	global_load_dwordx2 v[50:51], v46, s[2:3]
.LBB949_133:
	v_cmp_eq_u32_e64 s[24:25], 0, v95
	v_cndmask_b32_e64 v47, 0, v42, s[24:25]
	v_cndmask_b32_e64 v46, 0, v43, s[24:25]
	v_add_co_u32_e32 v47, vcc, v47, v40
	v_cmp_eq_u32_e64 s[22:23], 0, v94
	v_addc_co_u32_e32 v46, vcc, v46, v41, vcc
	v_cndmask_b32_e64 v47, 0, v47, s[22:23]
	v_cndmask_b32_e64 v46, 0, v46, s[22:23]
	v_add_co_u32_e32 v47, vcc, v47, v38
	v_cmp_eq_u32_e64 s[20:21], 0, v93
	v_addc_co_u32_e32 v46, vcc, v46, v39, vcc
	;; [unrolled: 5-line block ×11, first 2 shown]
	v_cndmask_b32_e64 v47, 0, v47, s[4:5]
	v_cndmask_b32_e64 v46, 0, v46, s[4:5]
	v_add_co_u32_e32 v47, vcc, v47, v18
	v_addc_co_u32_e32 v46, vcc, v46, v19, vcc
	v_cmp_eq_u32_e32 vcc, 0, v83
	v_cndmask_b32_e32 v47, 0, v47, vcc
	v_add3_u32 v48, v99, v91, v90
	v_cndmask_b32_e32 v46, 0, v46, vcc
	v_add_co_u32_e64 v47, s[26:27], v47, v2
	v_add3_u32 v48, v48, v89, v88
	v_addc_co_u32_e64 v46, s[26:27], v46, v3, s[26:27]
	v_add3_u32 v48, v48, v87, v86
	v_cmp_eq_u32_e64 s[26:27], 0, v82
	v_add3_u32 v48, v48, v85, v84
	v_cndmask_b32_e64 v47, 0, v47, s[26:27]
	v_add3_u32 v49, v48, v83, v82
	v_cndmask_b32_e64 v46, 0, v46, s[26:27]
	v_add_co_u32_e64 v44, s[26:27], v47, v44
	v_mbcnt_hi_u32_b32 v48, -1, v98
	v_addc_co_u32_e64 v45, s[26:27], v46, v45, s[26:27]
	v_and_b32_e32 v46, 15, v48
	v_mov_b32_dpp v52, v49 row_shr:1 row_mask:0xf bank_mask:0xf
	v_mov_b32_dpp v47, v44 row_shr:1 row_mask:0xf bank_mask:0xf
	v_mov_b32_dpp v53, v45 row_shr:1 row_mask:0xf bank_mask:0xf
	v_cmp_ne_u32_e64 s[26:27], 0, v46
	s_and_saveexec_b64 s[28:29], s[26:27]
; %bb.134:
	v_cmp_eq_u32_e64 s[26:27], 0, v49
	v_cndmask_b32_e64 v47, 0, v47, s[26:27]
	v_add_u32_e32 v52, v52, v49
	v_cndmask_b32_e64 v49, 0, v53, s[26:27]
	v_add_co_u32_e64 v44, s[26:27], v47, v44
	v_addc_co_u32_e64 v45, s[26:27], v49, v45, s[26:27]
	v_mov_b32_e32 v49, v52
; %bb.135:
	s_or_b64 exec, exec, s[28:29]
	s_nop 0
	v_mov_b32_dpp v52, v49 row_shr:2 row_mask:0xf bank_mask:0xf
	v_mov_b32_dpp v47, v44 row_shr:2 row_mask:0xf bank_mask:0xf
	v_mov_b32_dpp v53, v45 row_shr:2 row_mask:0xf bank_mask:0xf
	v_cmp_lt_u32_e64 s[26:27], 1, v46
	s_and_saveexec_b64 s[28:29], s[26:27]
; %bb.136:
	v_cmp_eq_u32_e64 s[26:27], 0, v49
	v_cndmask_b32_e64 v47, 0, v47, s[26:27]
	v_add_u32_e32 v52, v52, v49
	v_cndmask_b32_e64 v49, 0, v53, s[26:27]
	v_add_co_u32_e64 v44, s[26:27], v47, v44
	v_addc_co_u32_e64 v45, s[26:27], v49, v45, s[26:27]
	v_mov_b32_e32 v49, v52
; %bb.137:
	s_or_b64 exec, exec, s[28:29]
	s_nop 0
	v_mov_b32_dpp v52, v49 row_shr:4 row_mask:0xf bank_mask:0xf
	v_mov_b32_dpp v47, v44 row_shr:4 row_mask:0xf bank_mask:0xf
	v_mov_b32_dpp v53, v45 row_shr:4 row_mask:0xf bank_mask:0xf
	v_cmp_lt_u32_e64 s[26:27], 3, v46
	;; [unrolled: 16-line block ×3, first 2 shown]
	s_and_saveexec_b64 s[28:29], s[26:27]
; %bb.140:
	v_cmp_eq_u32_e64 s[26:27], 0, v49
	v_cndmask_b32_e64 v47, 0, v47, s[26:27]
	v_add_u32_e32 v46, v52, v49
	v_cndmask_b32_e64 v49, 0, v53, s[26:27]
	v_add_co_u32_e64 v44, s[26:27], v47, v44
	v_addc_co_u32_e64 v45, s[26:27], v49, v45, s[26:27]
	v_mov_b32_e32 v49, v46
; %bb.141:
	s_or_b64 exec, exec, s[28:29]
	v_and_b32_e32 v53, 16, v48
	v_mov_b32_dpp v47, v49 row_bcast:15 row_mask:0xf bank_mask:0xf
	v_mov_b32_dpp v46, v44 row_bcast:15 row_mask:0xf bank_mask:0xf
	;; [unrolled: 1-line block ×3, first 2 shown]
	v_cmp_ne_u32_e64 s[26:27], 0, v53
	s_and_saveexec_b64 s[28:29], s[26:27]
; %bb.142:
	v_cmp_eq_u32_e64 s[26:27], 0, v49
	v_cndmask_b32_e64 v46, 0, v46, s[26:27]
	v_add_u32_e32 v47, v47, v49
	v_cndmask_b32_e64 v49, 0, v52, s[26:27]
	v_add_co_u32_e64 v44, s[26:27], v46, v44
	v_addc_co_u32_e64 v45, s[26:27], v49, v45, s[26:27]
	v_mov_b32_e32 v49, v47
; %bb.143:
	s_or_b64 exec, exec, s[28:29]
	s_nop 0
	v_mov_b32_dpp v47, v49 row_bcast:31 row_mask:0xf bank_mask:0xf
	v_mov_b32_dpp v46, v44 row_bcast:31 row_mask:0xf bank_mask:0xf
	;; [unrolled: 1-line block ×3, first 2 shown]
	v_cmp_lt_u32_e64 s[26:27], 31, v48
	s_and_saveexec_b64 s[28:29], s[26:27]
; %bb.144:
	v_cmp_eq_u32_e64 s[26:27], 0, v49
	v_cndmask_b32_e64 v46, 0, v46, s[26:27]
	v_add_u32_e32 v47, v47, v49
	v_cndmask_b32_e64 v49, 0, v52, s[26:27]
	v_add_co_u32_e64 v44, s[26:27], v46, v44
	v_addc_co_u32_e64 v45, s[26:27], v49, v45, s[26:27]
	v_mov_b32_e32 v49, v47
; %bb.145:
	s_or_b64 exec, exec, s[28:29]
	v_or_b32_e32 v46, 63, v0
	v_lshrrev_b32_e32 v52, 6, v0
	v_cmp_eq_u32_e64 s[26:27], v46, v0
	s_and_saveexec_b64 s[28:29], s[26:27]
	s_cbranch_execz .LBB949_147
; %bb.146:
	v_lshlrev_b32_e32 v46, 4, v52
	ds_write_b32 v46, v49 offset:2080
	ds_write_b64 v46, v[44:45] offset:2088
.LBB949_147:
	s_or_b64 exec, exec, s[28:29]
	v_cmp_gt_u32_e64 s[26:27], 4, v0
	s_waitcnt lgkmcnt(0)
	s_barrier
	s_and_saveexec_b64 s[28:29], s[26:27]
	s_cbranch_execz .LBB949_153
; %bb.148:
	v_lshlrev_b32_e32 v53, 4, v0
	ds_read_b32 v54, v53 offset:2080
	ds_read_b64 v[46:47], v53 offset:2088
	v_and_b32_e32 v55, 3, v48
	v_cmp_ne_u32_e64 s[26:27], 0, v55
	s_waitcnt lgkmcnt(1)
	v_mov_b32_dpp v57, v54 row_shr:1 row_mask:0xf bank_mask:0xf
	s_waitcnt lgkmcnt(0)
	v_mov_b32_dpp v56, v46 row_shr:1 row_mask:0xf bank_mask:0xf
	v_mov_b32_dpp v58, v47 row_shr:1 row_mask:0xf bank_mask:0xf
	s_and_saveexec_b64 s[30:31], s[26:27]
; %bb.149:
	v_cmp_eq_u32_e64 s[26:27], 0, v54
	v_cndmask_b32_e64 v56, 0, v56, s[26:27]
	v_add_u32_e32 v57, v57, v54
	v_cndmask_b32_e64 v54, 0, v58, s[26:27]
	v_add_co_u32_e64 v46, s[26:27], v56, v46
	v_addc_co_u32_e64 v47, s[26:27], v54, v47, s[26:27]
	v_mov_b32_e32 v54, v57
; %bb.150:
	s_or_b64 exec, exec, s[30:31]
	s_nop 0
	v_mov_b32_dpp v57, v54 row_shr:2 row_mask:0xf bank_mask:0xf
	v_mov_b32_dpp v56, v46 row_shr:2 row_mask:0xf bank_mask:0xf
	;; [unrolled: 1-line block ×3, first 2 shown]
	v_cmp_lt_u32_e64 s[26:27], 1, v55
	s_and_saveexec_b64 s[30:31], s[26:27]
; %bb.151:
	v_cmp_eq_u32_e64 s[26:27], 0, v54
	v_cndmask_b32_e64 v56, 0, v56, s[26:27]
	v_add_u32_e32 v55, v57, v54
	v_cndmask_b32_e64 v54, 0, v58, s[26:27]
	v_add_co_u32_e64 v46, s[26:27], v56, v46
	v_addc_co_u32_e64 v47, s[26:27], v54, v47, s[26:27]
	v_mov_b32_e32 v54, v55
; %bb.152:
	s_or_b64 exec, exec, s[30:31]
	ds_write_b32 v53, v54 offset:2080
	ds_write_b64 v53, v[46:47] offset:2088
.LBB949_153:
	s_or_b64 exec, exec, s[28:29]
	v_cmp_lt_u32_e64 s[26:27], 63, v0
	v_mov_b32_e32 v98, 0
	v_mov_b32_e32 v53, 0
	s_waitcnt vmcnt(0)
	v_pk_mov_b32 v[46:47], v[50:51], v[50:51] op_sel:[0,1]
	s_waitcnt lgkmcnt(0)
	s_barrier
	s_and_saveexec_b64 s[28:29], s[26:27]
	s_cbranch_execz .LBB949_155
; %bb.154:
	v_lshlrev_b32_e32 v46, 4, v52
	ds_read_b32 v53, v46 offset:2064
	ds_read_b64 v[46:47], v46 offset:2072
	s_waitcnt lgkmcnt(1)
	v_cmp_eq_u32_e64 s[26:27], 0, v53
	v_cndmask_b32_e64 v54, 0, v50, s[26:27]
	v_cndmask_b32_e64 v52, 0, v51, s[26:27]
	s_waitcnt lgkmcnt(0)
	v_add_co_u32_e64 v46, s[26:27], v54, v46
	v_addc_co_u32_e64 v47, s[26:27], v52, v47, s[26:27]
.LBB949_155:
	s_or_b64 exec, exec, s[28:29]
	v_cmp_eq_u32_e64 s[26:27], 0, v49
	v_cndmask_b32_e64 v54, 0, v46, s[26:27]
	v_add_u32_e32 v52, v53, v49
	v_cndmask_b32_e64 v49, 0, v47, s[26:27]
	v_add_co_u32_e64 v44, s[26:27], v54, v44
	v_addc_co_u32_e64 v45, s[26:27], v49, v45, s[26:27]
	v_add_u32_e32 v49, -1, v48
	v_and_b32_e32 v54, 64, v48
	v_cmp_lt_i32_e64 s[26:27], v49, v54
	v_cndmask_b32_e64 v49, v49, v48, s[26:27]
	v_lshlrev_b32_e32 v49, 2, v49
	ds_bpermute_b32 v44, v49, v44
	ds_bpermute_b32 v52, v49, v52
	;; [unrolled: 1-line block ×3, first 2 shown]
	v_cmp_eq_u32_e64 s[26:27], 0, v48
	s_waitcnt lgkmcnt(2)
	v_cndmask_b32_e64 v76, v44, v46, s[26:27]
	s_waitcnt lgkmcnt(1)
	v_cndmask_b32_e64 v97, v52, v53, s[26:27]
	;; [unrolled: 2-line block ×3, first 2 shown]
	v_cndmask_b32_e64 v44, v76, v50, s[0:1]
	v_cmp_eq_u32_e64 s[26:27], 0, v96
	v_cndmask_b32_e64 v45, v77, v51, s[0:1]
	v_cndmask_b32_e64 v44, 0, v44, s[26:27]
	;; [unrolled: 1-line block ×3, first 2 shown]
	v_add_co_u32_e64 v52, s[26:27], v44, v42
	v_addc_co_u32_e64 v53, s[26:27], v45, v43, s[26:27]
	v_cndmask_b32_e64 v43, 0, v52, s[24:25]
	v_cndmask_b32_e64 v42, 0, v53, s[24:25]
	v_add_co_u32_e64 v54, s[24:25], v43, v40
	v_addc_co_u32_e64 v55, s[24:25], v42, v41, s[24:25]
	v_cndmask_b32_e64 v41, 0, v54, s[22:23]
	v_cndmask_b32_e64 v40, 0, v55, s[22:23]
	;; [unrolled: 4-line block ×11, first 2 shown]
	v_add_co_u32_e64 v74, s[2:3], v23, v20
	v_addc_co_u32_e64 v75, s[2:3], v22, v21, s[2:3]
	v_cndmask_b32_e64 v21, 0, v74, s[4:5]
	ds_read_b32 v46, v98 offset:2128
	v_cndmask_b32_e64 v20, 0, v75, s[4:5]
	v_add_co_u32_e64 v78, s[2:3], v21, v18
	v_addc_co_u32_e64 v79, s[2:3], v20, v19, s[2:3]
	ds_read_b64 v[18:19], v98 offset:2136
	v_cndmask_b32_e32 v81, 0, v79, vcc
	v_cndmask_b32_e32 v80, 0, v78, vcc
	s_waitcnt lgkmcnt(1)
	v_cmp_eq_u32_e32 vcc, 0, v46
	v_cndmask_b32_e32 v21, 0, v50, vcc
	v_cndmask_b32_e32 v20, 0, v51, vcc
	s_waitcnt lgkmcnt(0)
	v_add_co_u32_e32 v48, vcc, v21, v18
	v_addc_co_u32_e32 v49, vcc, v20, v19, vcc
	s_and_saveexec_b64 s[2:3], s[0:1]
	s_cbranch_execz .LBB949_157
; %bb.156:
	v_mov_b32_e32 v97, 0
	v_mov_b32_e32 v18, 2
	v_pk_mov_b32 v[76:77], v[50:51], v[50:51] op_sel:[0,1]
	global_store_dword v97, v46, s[38:39] offset:1024
	global_store_dwordx2 v97, v[48:49], s[38:39] offset:1032
	s_waitcnt vmcnt(0)
	buffer_wbinvl1_vol
	global_store_byte v97, v18, s[40:41] offset:64
.LBB949_157:
	s_or_b64 exec, exec, s[2:3]
	v_mov_b32_e32 v50, 0
.LBB949_158:
	s_and_b64 s[2:3], s[34:35], exec
	s_cselect_b32 s3, 0, s51
	s_cselect_b32 s2, 0, s50
	s_cmp_eq_u64 s[2:3], 0
	v_pk_mov_b32 v[18:19], 0, 0
	s_barrier
	s_cbranch_scc1 .LBB949_160
; %bb.159:
	v_mov_b32_e32 v18, 0
	global_load_dwordx2 v[18:19], v18, s[2:3]
.LBB949_160:
	s_waitcnt vmcnt(0)
	v_lshlrev_b64 v[34:35], 2, v[18:19]
	v_mov_b32_e32 v36, s53
	v_add_co_u32_e32 v37, vcc, s52, v34
	v_mov_b32_e32 v51, 0
	v_addc_co_u32_e32 v36, vcc, v36, v35, vcc
	v_lshlrev_b64 v[34:35], 2, v[50:51]
	v_add_co_u32_e32 v34, vcc, v37, v34
	v_addc_co_u32_e32 v35, vcc, v36, v35, vcc
	v_cmp_eq_u32_e32 vcc, 0, v96
	v_cndmask_b32_e64 v36, 1, 2, vcc
	v_cmp_eq_u32_e32 vcc, 0, v95
	v_cndmask_b32_e64 v37, 1, 2, vcc
	v_cmp_eq_u32_e32 vcc, 0, v94
	v_and_b32_e32 v36, v37, v36
	v_cndmask_b32_e64 v37, 1, 2, vcc
	v_cmp_eq_u32_e32 vcc, 0, v93
	v_add_u32_e32 v33, v97, v96
	v_and_b32_e32 v36, v36, v37
	v_cndmask_b32_e64 v37, 1, 2, vcc
	v_cmp_eq_u32_e32 vcc, 0, v92
	v_add_u32_e32 v32, v33, v95
	;; [unrolled: 4-line block ×12, first 2 shown]
	v_and_b32_e32 v36, v36, v37
	v_cndmask_b32_e64 v37, 1, 2, vcc
	s_movk_i32 s34, 0x100
	v_add_u32_e32 v21, v22, v84
	v_and_b32_e32 v36, v36, v37
	v_cmp_gt_u32_e32 vcc, s34, v46
	v_add_u32_e32 v20, v21, v83
	v_cmp_ne_u32_e64 s[30:31], 0, v96
	v_cmp_ne_u32_e64 s[28:29], 0, v95
	;; [unrolled: 1-line block ×15, first 2 shown]
	s_mov_b64 s[36:37], -1
	v_cmp_gt_i16_e64 s[34:35], 2, v36
	s_cbranch_vccz .LBB949_167
; %bb.161:
	s_and_saveexec_b64 s[36:37], s[34:35]
	s_cbranch_execz .LBB949_166
; %bb.162:
	v_cmp_ne_u16_e32 vcc, 1, v36
	s_mov_b64 s[38:39], 0
	s_and_saveexec_b64 s[34:35], vcc
	s_xor_b64 s[34:35], exec, s[34:35]
	s_cbranch_execnz .LBB949_211
; %bb.163:
	s_andn2_saveexec_b64 s[34:35], s[34:35]
	s_cbranch_execnz .LBB949_227
.LBB949_164:
	s_or_b64 exec, exec, s[34:35]
	s_and_b64 exec, exec, s[38:39]
	s_cbranch_execz .LBB949_166
.LBB949_165:
	v_sub_u32_e32 v38, v20, v50
	v_mov_b32_e32 v39, 0
	v_lshlrev_b64 v[38:39], 2, v[38:39]
	v_add_co_u32_e32 v38, vcc, v34, v38
	v_addc_co_u32_e32 v39, vcc, v35, v39, vcc
	global_store_dword v[38:39], v1, off
.LBB949_166:
	s_or_b64 exec, exec, s[36:37]
	s_mov_b64 s[36:37], 0
.LBB949_167:
	s_and_b64 vcc, exec, s[36:37]
	s_cbranch_vccz .LBB949_189
; %bb.168:
	v_cmp_gt_i16_e32 vcc, 2, v36
	s_and_saveexec_b64 s[34:35], vcc
	s_cbranch_execz .LBB949_173
; %bb.169:
	v_cmp_ne_u16_e32 vcc, 1, v36
	s_mov_b64 s[38:39], 0
	s_and_saveexec_b64 s[36:37], vcc
	s_xor_b64 s[36:37], exec, s[36:37]
	s_cbranch_execnz .LBB949_228
; %bb.170:
	s_andn2_saveexec_b64 s[2:3], s[36:37]
	s_cbranch_execnz .LBB949_244
.LBB949_171:
	s_or_b64 exec, exec, s[2:3]
	s_and_b64 exec, exec, s[38:39]
	s_cbranch_execz .LBB949_173
.LBB949_172:
	v_sub_u32_e32 v4, v20, v50
	v_lshlrev_b32_e32 v4, 2, v4
	ds_write_b32 v4, v1
.LBB949_173:
	s_or_b64 exec, exec, s[34:35]
	v_cmp_lt_u32_e32 vcc, v0, v46
	s_waitcnt lgkmcnt(0)
	s_barrier
	s_and_saveexec_b64 s[4:5], vcc
	s_cbranch_execz .LBB949_188
; %bb.174:
	v_xad_u32 v1, v0, -1, v46
	s_movk_i32 s2, 0x1700
	v_cmp_gt_u32_e64 s[6:7], s2, v1
	s_movk_i32 s2, 0x16ff
	v_cmp_lt_u32_e32 vcc, s2, v1
	v_mov_b32_e32 v4, v0
	s_and_saveexec_b64 s[8:9], vcc
	s_cbranch_execz .LBB949_185
; %bb.175:
	v_sub_u32_e32 v4, v0, v46
	v_or_b32_e32 v4, 0xff, v4
	v_cmp_ge_u32_e32 vcc, v4, v0
	s_mov_b64 s[2:3], -1
	v_mov_b32_e32 v4, v0
	s_and_saveexec_b64 s[10:11], vcc
	s_cbranch_execz .LBB949_184
; %bb.176:
	v_lshrrev_b32_e32 v8, 8, v1
	v_add_u32_e32 v4, -1, v8
	v_or_b32_e32 v1, 0x100, v0
	v_lshrrev_b32_e32 v5, 1, v4
	v_add_u32_e32 v10, 1, v5
	v_cmp_lt_u32_e32 vcc, 13, v4
	v_mov_b32_e32 v13, 0
	v_lshlrev_b32_e32 v9, 2, v0
	v_pk_mov_b32 v[4:5], v[0:1], v[0:1] op_sel:[0,1]
	s_and_saveexec_b64 s[12:13], vcc
	s_cbranch_execz .LBB949_180
; %bb.177:
	v_and_b32_e32 v11, -8, v10
	s_mov_b32 s16, 0
	s_mov_b64 s[14:15], 0
	v_mov_b32_e32 v7, 0
	v_mov_b32_e32 v12, v9
	v_pk_mov_b32 v[4:5], v[0:1], v[0:1] op_sel:[0,1]
.LBB949_178:                            ; =>This Inner Loop Header: Depth=1
	v_mov_b32_e32 v6, v4
	v_add_u32_e32 v11, -8, v11
	v_lshlrev_b64 v[114:115], 2, v[6:7]
	v_mov_b32_e32 v6, v5
	ds_read2st64_b32 v[14:15], v12 offset1:4
	s_add_i32 s16, s16, 16
	v_cmp_eq_u32_e32 vcc, 0, v11
	v_lshlrev_b64 v[116:117], 2, v[6:7]
	v_add_u32_e32 v6, 0x200, v4
	s_or_b64 s[14:15], vcc, s[14:15]
	v_add_co_u32_e32 v116, vcc, v34, v116
	v_add_u32_e32 v16, 0x200, v5
	v_mov_b32_e32 v17, v7
	ds_read2st64_b32 v[36:37], v12 offset0:8 offset1:12
	ds_read2st64_b32 v[40:41], v12 offset0:16 offset1:20
	v_add_co_u32_e64 v114, s[2:3], v34, v114
	v_addc_co_u32_e32 v117, vcc, v35, v117, vcc
	v_lshlrev_b64 v[118:119], 2, v[6:7]
	v_lshlrev_b64 v[16:17], 2, v[16:17]
	v_addc_co_u32_e64 v115, s[2:3], v35, v115, s[2:3]
	v_add_u32_e32 v6, 0x400, v4
	v_add_co_u32_e32 v118, vcc, v34, v118
	v_add_u32_e32 v38, 0x400, v5
	v_mov_b32_e32 v39, v7
	ds_read2st64_b32 v[44:45], v12 offset0:24 offset1:28
	v_add_co_u32_e64 v16, s[2:3], v34, v16
	v_addc_co_u32_e32 v119, vcc, v35, v119, vcc
	v_lshlrev_b64 v[120:121], 2, v[6:7]
	ds_read2st64_b32 v[100:101], v12 offset0:32 offset1:36
	ds_read2st64_b32 v[104:105], v12 offset0:40 offset1:44
	ds_read2st64_b32 v[108:109], v12 offset0:48 offset1:52
	ds_read2st64_b32 v[112:113], v12 offset0:56 offset1:60
	v_lshlrev_b64 v[38:39], 2, v[38:39]
	v_addc_co_u32_e64 v17, s[2:3], v35, v17, s[2:3]
	v_add_u32_e32 v6, 0x600, v4
	s_waitcnt lgkmcnt(7)
	global_store_dword v[114:115], v14, off
	global_store_dword v[116:117], v15, off
	s_waitcnt lgkmcnt(6)
	global_store_dword v[118:119], v36, off
	global_store_dword v[16:17], v37, off
	v_add_co_u32_e32 v14, vcc, v34, v120
	v_add_u32_e32 v42, 0x600, v5
	v_mov_b32_e32 v43, v7
	v_add_co_u32_e64 v38, s[2:3], v34, v38
	v_addc_co_u32_e32 v15, vcc, v35, v121, vcc
	v_lshlrev_b64 v[16:17], 2, v[6:7]
	v_lshlrev_b64 v[42:43], 2, v[42:43]
	v_addc_co_u32_e64 v39, s[2:3], v35, v39, s[2:3]
	v_add_u32_e32 v6, 0x800, v4
	s_waitcnt lgkmcnt(5)
	global_store_dword v[14:15], v40, off
	global_store_dword v[38:39], v41, off
	v_add_co_u32_e32 v14, vcc, v34, v16
	v_add_u32_e32 v98, 0x800, v5
	v_mov_b32_e32 v99, v7
	v_add_co_u32_e64 v42, s[2:3], v34, v42
	v_addc_co_u32_e32 v15, vcc, v35, v17, vcc
	v_lshlrev_b64 v[16:17], 2, v[6:7]
	v_lshlrev_b64 v[98:99], 2, v[98:99]
	v_addc_co_u32_e64 v43, s[2:3], v35, v43, s[2:3]
	v_add_u32_e32 v6, 0xa00, v4
	;; [unrolled: 12-line block ×4, first 2 shown]
	s_waitcnt lgkmcnt(2)
	global_store_dword v[14:15], v104, off
	global_store_dword v[102:103], v105, off
	v_add_co_u32_e32 v14, vcc, v34, v16
	v_add_u32_e32 v110, 0xe00, v5
	v_mov_b32_e32 v111, v7
	v_add_co_u32_e64 v106, s[2:3], v34, v106
	v_addc_co_u32_e32 v15, vcc, v35, v17, vcc
	v_lshlrev_b64 v[16:17], 2, v[6:7]
	v_lshlrev_b64 v[110:111], 2, v[110:111]
	v_addc_co_u32_e64 v107, s[2:3], v35, v107, s[2:3]
	s_waitcnt lgkmcnt(1)
	global_store_dword v[14:15], v108, off
	global_store_dword v[106:107], v109, off
	v_add_co_u32_e32 v14, vcc, v34, v16
	v_add_u32_e32 v12, 0x4000, v12
	v_add_u32_e32 v5, 0x1000, v5
	v_mov_b32_e32 v13, s16
	v_add_co_u32_e64 v110, s[2:3], v34, v110
	v_add_u32_e32 v4, 0x1000, v4
	v_addc_co_u32_e32 v15, vcc, v35, v17, vcc
	v_addc_co_u32_e64 v111, s[2:3], v35, v111, s[2:3]
	s_waitcnt lgkmcnt(0)
	global_store_dword v[14:15], v112, off
	global_store_dword v[110:111], v113, off
	s_andn2_b64 exec, exec, s[14:15]
	s_cbranch_execnz .LBB949_178
; %bb.179:
	s_or_b64 exec, exec, s[14:15]
.LBB949_180:
	s_or_b64 exec, exec, s[12:13]
	v_and_b32_e32 v1, 7, v10
	v_cmp_ne_u32_e32 vcc, 0, v1
	s_and_saveexec_b64 s[12:13], vcc
	s_cbranch_execz .LBB949_183
; %bb.181:
	v_lshl_or_b32 v9, v13, 10, v9
	s_mov_b64 s[14:15], 0
	v_mov_b32_e32 v7, 0
.LBB949_182:                            ; =>This Inner Loop Header: Depth=1
	ds_read2st64_b32 v[10:11], v9 offset1:4
	v_mov_b32_e32 v6, v4
	v_add_u32_e32 v1, -1, v1
	v_lshlrev_b64 v[12:13], 2, v[6:7]
	v_mov_b32_e32 v6, v5
	v_cmp_eq_u32_e32 vcc, 0, v1
	v_add_co_u32_e64 v12, s[2:3], v34, v12
	v_lshlrev_b64 v[14:15], 2, v[6:7]
	v_add_u32_e32 v4, 0x200, v4
	v_add_u32_e32 v9, 0x800, v9
	;; [unrolled: 1-line block ×3, first 2 shown]
	v_addc_co_u32_e64 v13, s[2:3], v35, v13, s[2:3]
	s_or_b64 s[14:15], vcc, s[14:15]
	v_add_co_u32_e32 v14, vcc, v34, v14
	v_addc_co_u32_e32 v15, vcc, v35, v15, vcc
	s_waitcnt lgkmcnt(0)
	global_store_dword v[12:13], v10, off
	global_store_dword v[14:15], v11, off
	s_andn2_b64 exec, exec, s[14:15]
	s_cbranch_execnz .LBB949_182
.LBB949_183:
	s_or_b64 exec, exec, s[12:13]
	v_add_u32_e32 v1, 1, v8
	v_and_b32_e32 v5, 0x1fffffe, v1
	v_cmp_ne_u32_e32 vcc, v1, v5
	v_lshl_or_b32 v4, v5, 8, v0
	s_orn2_b64 s[2:3], vcc, exec
.LBB949_184:
	s_or_b64 exec, exec, s[10:11]
	s_andn2_b64 s[6:7], s[6:7], exec
	s_and_b64 s[2:3], s[2:3], exec
	s_or_b64 s[6:7], s[6:7], s[2:3]
.LBB949_185:
	s_or_b64 exec, exec, s[8:9]
	s_and_b64 exec, exec, s[6:7]
	s_cbranch_execz .LBB949_188
; %bb.186:
	v_lshlrev_b32_e32 v1, 2, v4
	s_mov_b64 s[2:3], 0
	v_mov_b32_e32 v5, 0
.LBB949_187:                            ; =>This Inner Loop Header: Depth=1
	v_lshlrev_b64 v[6:7], 2, v[4:5]
	ds_read_b32 v8, v1
	v_add_co_u32_e32 v6, vcc, v34, v6
	v_add_u32_e32 v4, 0x100, v4
	v_addc_co_u32_e32 v7, vcc, v35, v7, vcc
	v_cmp_ge_u32_e32 vcc, v4, v46
	v_add_u32_e32 v1, 0x400, v1
	s_or_b64 s[2:3], vcc, s[2:3]
	s_waitcnt lgkmcnt(0)
	global_store_dword v[6:7], v8, off
	s_andn2_b64 exec, exec, s[2:3]
	s_cbranch_execnz .LBB949_187
.LBB949_188:
	s_or_b64 exec, exec, s[4:5]
.LBB949_189:
	s_cmpk_lg_i32 s33, 0xf00
	s_cselect_b64 s[2:3], -1, 0
	v_cndmask_b32_e64 v8, 0, 1, s[46:47]
	s_and_b64 s[2:3], s[2:3], s[44:45]
	v_sub_u32_e32 v1, v46, v8
	v_cndmask_b32_e64 v4, 0, 1, s[2:3]
	s_and_b64 s[0:1], s[0:1], s[46:47]
	v_add_co_u32_e32 v2, vcc, v80, v2
	v_add_u32_e32 v1, v1, v4
	v_cndmask_b32_e64 v4, v96, 0, s[0:1]
	s_mul_hi_u32 s0, s33, 0x88888889
	v_addc_co_u32_e32 v3, vcc, v81, v3, vcc
	s_lshr_b32 s0, s0, 3
	v_mad_i32_i24 v5, v0, -15, s33
	v_cmp_eq_u32_e32 vcc, s0, v0
	v_cmp_ne_u32_e64 s[0:1], 0, v5
	v_cndmask_b32_e64 v6, 1, v4, s[0:1]
	v_cmp_ne_u32_e64 s[0:1], 1, v5
	v_cndmask_b32_e64 v7, 1, v95, s[0:1]
	;; [unrolled: 2-line block ×15, first 2 shown]
	s_and_b64 vcc, vcc, s[44:45]
	v_cndmask_b32_e32 v37, v82, v5, vcc
	v_cndmask_b32_e32 v39, v4, v6, vcc
	v_lshlrev_b64 v[4:5], 3, v[18:19]
	v_cndmask_b32_e32 v36, v83, v36, vcc
	v_cndmask_b32_e32 v35, v84, v35, vcc
	;; [unrolled: 1-line block ×13, first 2 shown]
	v_mov_b32_e32 v6, s55
	v_add_co_u32_e32 v7, vcc, s54, v4
	v_addc_co_u32_e32 v6, vcc, v6, v5, vcc
	v_lshlrev_b64 v[4:5], 3, v[50:51]
	v_add_co_u32_e32 v4, vcc, v7, v4
	v_addc_co_u32_e32 v5, vcc, v6, v5, vcc
	v_lshlrev_b32_e32 v6, 3, v8
	v_add_co_u32_e32 v6, vcc, v6, v4
	v_addc_co_u32_e32 v7, vcc, 0, v5, vcc
	v_add_co_u32_e32 v6, vcc, -8, v6
	v_addc_co_u32_e32 v7, vcc, -1, v7, vcc
	v_cmp_eq_u32_e32 vcc, 0, v39
	v_cmp_ne_u32_e64 s[28:29], 0, v39
	v_cndmask_b32_e64 v39, 1, 2, vcc
	v_cmp_eq_u32_e32 vcc, 0, v38
	v_cmp_ne_u32_e64 s[26:27], 0, v38
	v_cndmask_b32_e64 v38, 1, 2, vcc
	v_cmp_eq_u32_e32 vcc, 0, v9
	v_and_b32_e32 v38, v38, v39
	v_cmp_ne_u32_e64 s[24:25], 0, v9
	v_cndmask_b32_e64 v9, 1, 2, vcc
	v_cmp_eq_u32_e32 vcc, 0, v10
	v_and_b32_e32 v9, v38, v9
	;; [unrolled: 4-line block ×3, first 2 shown]
	v_cndmask_b32_e64 v10, 1, 2, vcc
	v_cmp_eq_u32_e32 vcc, 0, v12
	v_and_b32_e32 v9, v9, v10
	v_cndmask_b32_e64 v10, 1, 2, vcc
	v_cmp_eq_u32_e32 vcc, 0, v13
	v_and_b32_e32 v9, v9, v10
	v_cndmask_b32_e64 v10, 1, 2, vcc
	v_cmp_eq_u32_e32 vcc, 0, v14
	v_and_b32_e32 v9, v9, v10
	v_cndmask_b32_e64 v10, 1, 2, vcc
	v_cmp_eq_u32_e32 vcc, 0, v15
	v_and_b32_e32 v9, v9, v10
	v_cndmask_b32_e64 v10, 1, 2, vcc
	v_cmp_eq_u32_e32 vcc, 0, v16
	v_and_b32_e32 v9, v9, v10
	v_cndmask_b32_e64 v10, 1, 2, vcc
	v_cmp_eq_u32_e32 vcc, 0, v17
	v_and_b32_e32 v9, v9, v10
	v_cndmask_b32_e64 v10, 1, 2, vcc
	v_cmp_eq_u32_e32 vcc, 0, v34
	v_and_b32_e32 v9, v9, v10
	v_cndmask_b32_e64 v10, 1, 2, vcc
	v_cmp_eq_u32_e32 vcc, 0, v35
	v_and_b32_e32 v9, v9, v10
	v_cndmask_b32_e64 v10, 1, 2, vcc
	v_cmp_eq_u32_e32 vcc, 0, v36
	v_and_b32_e32 v9, v9, v10
	v_cndmask_b32_e64 v10, 1, 2, vcc
	v_cmp_eq_u32_e32 vcc, 0, v37
	v_and_b32_e32 v9, v9, v10
	v_cndmask_b32_e64 v10, 1, 2, vcc
	s_movk_i32 s30, 0x100
	v_and_b32_e32 v9, v9, v10
	v_cmp_gt_u32_e32 vcc, s30, v1
	v_add_u32_e32 v8, v50, v8
	v_cmp_ne_u32_e64 s[20:21], 0, v11
	v_cmp_ne_u32_e64 s[18:19], 0, v12
	;; [unrolled: 1-line block ×11, first 2 shown]
	s_mov_b64 s[34:35], -1
	v_cmp_gt_i16_e64 s[30:31], 2, v9
	s_barrier
	s_cbranch_vccz .LBB949_196
; %bb.190:
	s_and_saveexec_b64 s[34:35], s[30:31]
	s_cbranch_execz .LBB949_195
; %bb.191:
	v_cmp_ne_u16_e32 vcc, 1, v9
	s_mov_b64 s[36:37], 0
	s_and_saveexec_b64 s[30:31], vcc
	s_xor_b64 s[30:31], exec, s[30:31]
	s_cbranch_execnz .LBB949_245
; %bb.192:
	s_andn2_saveexec_b64 s[30:31], s[30:31]
	s_cbranch_execnz .LBB949_261
.LBB949_193:
	s_or_b64 exec, exec, s[30:31]
	s_and_b64 exec, exec, s[36:37]
	s_cbranch_execz .LBB949_195
.LBB949_194:
	v_sub_u32_e32 v10, v20, v8
	v_mov_b32_e32 v11, 0
	v_lshlrev_b64 v[10:11], 3, v[10:11]
	v_add_co_u32_e32 v10, vcc, v6, v10
	v_addc_co_u32_e32 v11, vcc, v7, v11, vcc
	global_store_dwordx2 v[10:11], v[2:3], off
.LBB949_195:
	s_or_b64 exec, exec, s[34:35]
	s_mov_b64 s[34:35], 0
.LBB949_196:
	s_and_b64 vcc, exec, s[34:35]
	s_cbranch_vccz .LBB949_206
; %bb.197:
	v_cmp_gt_i16_e32 vcc, 2, v9
	s_and_saveexec_b64 s[30:31], vcc
	s_cbranch_execz .LBB949_202
; %bb.198:
	v_cmp_ne_u16_e32 vcc, 1, v9
	s_mov_b64 s[36:37], 0
	s_and_saveexec_b64 s[34:35], vcc
	s_xor_b64 s[34:35], exec, s[34:35]
	s_cbranch_execnz .LBB949_262
; %bb.199:
	s_andn2_saveexec_b64 s[0:1], s[34:35]
	s_cbranch_execnz .LBB949_278
.LBB949_200:
	s_or_b64 exec, exec, s[0:1]
	s_and_b64 exec, exec, s[36:37]
	s_cbranch_execz .LBB949_202
.LBB949_201:
	v_sub_u32_e32 v8, v20, v8
	v_lshlrev_b32_e32 v8, 3, v8
	ds_write_b64 v8, v[2:3]
.LBB949_202:
	s_or_b64 exec, exec, s[30:31]
	v_cmp_lt_u32_e32 vcc, v0, v1
	s_waitcnt lgkmcnt(0)
	s_barrier
	s_and_saveexec_b64 s[0:1], vcc
	s_cbranch_execz .LBB949_205
; %bb.203:
	v_lshlrev_b32_e32 v8, 3, v0
	s_mov_b64 s[2:3], 0
	v_mov_b32_e32 v3, 0
	v_mov_b32_e32 v2, v0
.LBB949_204:                            ; =>This Inner Loop Header: Depth=1
	v_lshlrev_b64 v[10:11], 3, v[2:3]
	ds_read_b64 v[12:13], v8
	v_add_co_u32_e32 v10, vcc, v6, v10
	v_add_u32_e32 v2, 0x100, v2
	v_addc_co_u32_e32 v11, vcc, v7, v11, vcc
	v_cmp_ge_u32_e32 vcc, v2, v1
	v_add_u32_e32 v8, 0x800, v8
	s_or_b64 s[2:3], vcc, s[2:3]
	s_waitcnt lgkmcnt(0)
	global_store_dwordx2 v[10:11], v[12:13], off
	s_andn2_b64 exec, exec, s[2:3]
	s_cbranch_execnz .LBB949_204
.LBB949_205:
	s_or_b64 exec, exec, s[0:1]
.LBB949_206:
	s_movk_i32 s0, 0xff
	v_cmp_eq_u32_e32 vcc, s0, v0
	s_and_b64 s[0:1], vcc, s[44:45]
	s_and_saveexec_b64 s[2:3], s[0:1]
	s_cbranch_execz .LBB949_209
; %bb.207:
	v_add_co_u32_e32 v0, vcc, v46, v50
	v_addc_co_u32_e64 v1, s[0:1], 0, 0, vcc
	v_add_co_u32_e32 v0, vcc, v0, v18
	v_mov_b32_e32 v47, 0
	v_addc_co_u32_e32 v1, vcc, v1, v19, vcc
	s_cmpk_lg_i32 s33, 0xf00
	global_store_dwordx2 v47, v[0:1], s[56:57]
	s_cbranch_scc1 .LBB949_209
; %bb.208:
	v_lshlrev_b64 v[0:1], 3, v[46:47]
	v_add_co_u32_e32 v0, vcc, v4, v0
	v_addc_co_u32_e32 v1, vcc, v5, v1, vcc
	global_store_dwordx2 v[0:1], v[48:49], off offset:-8
.LBB949_209:
	s_endpgm
.LBB949_210:
	s_or_b64 exec, exec, s[4:5]
	v_mov_b32_e32 v96, s14
	s_and_saveexec_b64 s[2:3], s[6:7]
	s_cbranch_execnz .LBB949_58
	s_branch .LBB949_59
.LBB949_211:
	s_and_saveexec_b64 s[38:39], s[30:31]
	s_cbranch_execnz .LBB949_279
; %bb.212:
	s_or_b64 exec, exec, s[38:39]
	s_and_saveexec_b64 s[38:39], s[28:29]
	s_cbranch_execnz .LBB949_280
.LBB949_213:
	s_or_b64 exec, exec, s[38:39]
	s_and_saveexec_b64 s[38:39], s[26:27]
	s_cbranch_execnz .LBB949_281
.LBB949_214:
	s_or_b64 exec, exec, s[38:39]
	s_and_saveexec_b64 s[38:39], s[24:25]
	s_cbranch_execnz .LBB949_282
.LBB949_215:
	s_or_b64 exec, exec, s[38:39]
	s_and_saveexec_b64 s[38:39], s[22:23]
	s_cbranch_execnz .LBB949_283
.LBB949_216:
	s_or_b64 exec, exec, s[38:39]
	s_and_saveexec_b64 s[38:39], s[20:21]
	s_cbranch_execnz .LBB949_284
.LBB949_217:
	s_or_b64 exec, exec, s[38:39]
	s_and_saveexec_b64 s[38:39], s[18:19]
	s_cbranch_execnz .LBB949_285
.LBB949_218:
	s_or_b64 exec, exec, s[38:39]
	s_and_saveexec_b64 s[38:39], s[16:17]
	s_cbranch_execnz .LBB949_286
.LBB949_219:
	s_or_b64 exec, exec, s[38:39]
	s_and_saveexec_b64 s[38:39], s[14:15]
	s_cbranch_execnz .LBB949_287
.LBB949_220:
	s_or_b64 exec, exec, s[38:39]
	s_and_saveexec_b64 s[38:39], s[12:13]
	s_cbranch_execnz .LBB949_288
.LBB949_221:
	s_or_b64 exec, exec, s[38:39]
	s_and_saveexec_b64 s[38:39], s[10:11]
	s_cbranch_execnz .LBB949_289
.LBB949_222:
	s_or_b64 exec, exec, s[38:39]
	s_and_saveexec_b64 s[38:39], s[8:9]
	s_cbranch_execnz .LBB949_290
.LBB949_223:
	s_or_b64 exec, exec, s[38:39]
	s_and_saveexec_b64 s[38:39], s[6:7]
	s_cbranch_execnz .LBB949_291
.LBB949_224:
	s_or_b64 exec, exec, s[38:39]
	s_and_saveexec_b64 s[38:39], s[4:5]
	s_cbranch_execz .LBB949_226
.LBB949_225:
	v_sub_u32_e32 v38, v21, v50
	v_mov_b32_e32 v39, 0
	v_lshlrev_b64 v[38:39], 2, v[38:39]
	v_add_co_u32_e32 v38, vcc, v34, v38
	v_addc_co_u32_e32 v39, vcc, v35, v39, vcc
	global_store_dword v[38:39], v5, off
.LBB949_226:
	s_or_b64 exec, exec, s[38:39]
	s_and_b64 s[38:39], s[2:3], exec
	s_andn2_saveexec_b64 s[34:35], s[34:35]
	s_cbranch_execz .LBB949_164
.LBB949_227:
	v_sub_u32_e32 v38, v97, v50
	v_mov_b32_e32 v39, 0
	v_lshlrev_b64 v[40:41], 2, v[38:39]
	v_add_co_u32_e32 v40, vcc, v34, v40
	v_addc_co_u32_e32 v41, vcc, v35, v41, vcc
	v_sub_u32_e32 v38, v33, v50
	global_store_dword v[40:41], v16, off
	v_lshlrev_b64 v[40:41], 2, v[38:39]
	v_add_co_u32_e32 v40, vcc, v34, v40
	v_addc_co_u32_e32 v41, vcc, v35, v41, vcc
	v_sub_u32_e32 v38, v32, v50
	global_store_dword v[40:41], v17, off
	;; [unrolled: 5-line block ×12, first 2 shown]
	v_lshlrev_b64 v[40:41], 2, v[38:39]
	v_add_co_u32_e32 v40, vcc, v34, v40
	v_sub_u32_e32 v38, v21, v50
	v_addc_co_u32_e32 v41, vcc, v35, v41, vcc
	v_lshlrev_b64 v[38:39], 2, v[38:39]
	v_add_co_u32_e32 v38, vcc, v34, v38
	v_addc_co_u32_e32 v39, vcc, v35, v39, vcc
	s_or_b64 s[38:39], s[38:39], exec
	global_store_dword v[40:41], v4, off
	global_store_dword v[38:39], v5, off
	s_or_b64 exec, exec, s[34:35]
	s_and_b64 exec, exec, s[38:39]
	s_cbranch_execnz .LBB949_165
	s_branch .LBB949_166
.LBB949_228:
	s_and_saveexec_b64 s[38:39], s[30:31]
	s_cbranch_execnz .LBB949_292
; %bb.229:
	s_or_b64 exec, exec, s[38:39]
	s_and_saveexec_b64 s[30:31], s[28:29]
	s_cbranch_execnz .LBB949_293
.LBB949_230:
	s_or_b64 exec, exec, s[30:31]
	s_and_saveexec_b64 s[28:29], s[26:27]
	s_cbranch_execnz .LBB949_294
.LBB949_231:
	s_or_b64 exec, exec, s[28:29]
	s_and_saveexec_b64 s[26:27], s[24:25]
	s_cbranch_execnz .LBB949_295
.LBB949_232:
	s_or_b64 exec, exec, s[26:27]
	s_and_saveexec_b64 s[24:25], s[22:23]
	s_cbranch_execnz .LBB949_296
.LBB949_233:
	s_or_b64 exec, exec, s[24:25]
	s_and_saveexec_b64 s[22:23], s[20:21]
	s_cbranch_execnz .LBB949_297
.LBB949_234:
	s_or_b64 exec, exec, s[22:23]
	s_and_saveexec_b64 s[20:21], s[18:19]
	s_cbranch_execnz .LBB949_298
.LBB949_235:
	s_or_b64 exec, exec, s[20:21]
	s_and_saveexec_b64 s[18:19], s[16:17]
	s_cbranch_execnz .LBB949_299
.LBB949_236:
	s_or_b64 exec, exec, s[18:19]
	s_and_saveexec_b64 s[16:17], s[14:15]
	s_cbranch_execnz .LBB949_300
.LBB949_237:
	s_or_b64 exec, exec, s[16:17]
	s_and_saveexec_b64 s[14:15], s[12:13]
	s_cbranch_execnz .LBB949_301
.LBB949_238:
	s_or_b64 exec, exec, s[14:15]
	s_and_saveexec_b64 s[12:13], s[10:11]
	s_cbranch_execnz .LBB949_302
.LBB949_239:
	s_or_b64 exec, exec, s[12:13]
	s_and_saveexec_b64 s[10:11], s[8:9]
	s_cbranch_execnz .LBB949_303
.LBB949_240:
	s_or_b64 exec, exec, s[10:11]
	s_and_saveexec_b64 s[8:9], s[6:7]
	s_cbranch_execnz .LBB949_304
.LBB949_241:
	s_or_b64 exec, exec, s[8:9]
	s_and_saveexec_b64 s[6:7], s[4:5]
	s_cbranch_execz .LBB949_243
.LBB949_242:
	v_sub_u32_e32 v4, v21, v50
	v_lshlrev_b32_e32 v4, 2, v4
	ds_write_b32 v4, v5
.LBB949_243:
	s_or_b64 exec, exec, s[6:7]
	s_and_b64 s[38:39], s[2:3], exec
                                        ; implicit-def: $vgpr4
                                        ; implicit-def: $vgpr6
                                        ; implicit-def: $vgpr8
                                        ; implicit-def: $vgpr10
                                        ; implicit-def: $vgpr12
                                        ; implicit-def: $vgpr14
                                        ; implicit-def: $vgpr16
	s_andn2_saveexec_b64 s[2:3], s[36:37]
	s_cbranch_execz .LBB949_171
.LBB949_244:
	v_sub_u32_e32 v36, v97, v50
	v_lshlrev_b32_e32 v36, 2, v36
	ds_write_b32 v36, v16
	v_sub_u32_e32 v16, v33, v50
	v_lshlrev_b32_e32 v16, 2, v16
	ds_write_b32 v16, v17
	;; [unrolled: 3-line block ×13, first 2 shown]
	v_sub_u32_e32 v4, v21, v50
	v_lshlrev_b32_e32 v4, 2, v4
	s_or_b64 s[38:39], s[38:39], exec
	ds_write_b32 v4, v5
	s_or_b64 exec, exec, s[2:3]
	s_and_b64 exec, exec, s[38:39]
	s_cbranch_execnz .LBB949_172
	s_branch .LBB949_173
.LBB949_245:
	s_and_saveexec_b64 s[36:37], s[28:29]
	s_cbranch_execnz .LBB949_305
; %bb.246:
	s_or_b64 exec, exec, s[36:37]
	s_and_saveexec_b64 s[36:37], s[26:27]
	s_cbranch_execnz .LBB949_306
.LBB949_247:
	s_or_b64 exec, exec, s[36:37]
	s_and_saveexec_b64 s[36:37], s[24:25]
	s_cbranch_execnz .LBB949_307
.LBB949_248:
	s_or_b64 exec, exec, s[36:37]
	s_and_saveexec_b64 s[36:37], s[22:23]
	s_cbranch_execnz .LBB949_308
.LBB949_249:
	s_or_b64 exec, exec, s[36:37]
	s_and_saveexec_b64 s[36:37], s[20:21]
	s_cbranch_execnz .LBB949_309
.LBB949_250:
	s_or_b64 exec, exec, s[36:37]
	s_and_saveexec_b64 s[36:37], s[18:19]
	s_cbranch_execnz .LBB949_310
.LBB949_251:
	s_or_b64 exec, exec, s[36:37]
	s_and_saveexec_b64 s[36:37], s[16:17]
	s_cbranch_execnz .LBB949_311
.LBB949_252:
	s_or_b64 exec, exec, s[36:37]
	s_and_saveexec_b64 s[36:37], s[14:15]
	s_cbranch_execnz .LBB949_312
.LBB949_253:
	s_or_b64 exec, exec, s[36:37]
	s_and_saveexec_b64 s[36:37], s[12:13]
	s_cbranch_execnz .LBB949_313
.LBB949_254:
	s_or_b64 exec, exec, s[36:37]
	s_and_saveexec_b64 s[36:37], s[10:11]
	s_cbranch_execnz .LBB949_314
.LBB949_255:
	s_or_b64 exec, exec, s[36:37]
	s_and_saveexec_b64 s[36:37], s[8:9]
	s_cbranch_execnz .LBB949_315
.LBB949_256:
	s_or_b64 exec, exec, s[36:37]
	s_and_saveexec_b64 s[36:37], s[6:7]
	s_cbranch_execnz .LBB949_316
.LBB949_257:
	s_or_b64 exec, exec, s[36:37]
	s_and_saveexec_b64 s[36:37], s[4:5]
	s_cbranch_execnz .LBB949_317
.LBB949_258:
	s_or_b64 exec, exec, s[36:37]
	s_and_saveexec_b64 s[36:37], s[2:3]
	s_cbranch_execz .LBB949_260
.LBB949_259:
	v_sub_u32_e32 v10, v21, v8
	v_mov_b32_e32 v11, 0
	v_lshlrev_b64 v[10:11], 3, v[10:11]
	v_add_co_u32_e32 v10, vcc, v6, v10
	v_addc_co_u32_e32 v11, vcc, v7, v11, vcc
	global_store_dwordx2 v[10:11], v[78:79], off
.LBB949_260:
	s_or_b64 exec, exec, s[36:37]
	s_and_b64 s[36:37], s[0:1], exec
	s_andn2_saveexec_b64 s[30:31], s[30:31]
	s_cbranch_execz .LBB949_193
.LBB949_261:
	v_sub_u32_e32 v10, v97, v8
	v_mov_b32_e32 v11, 0
	v_lshlrev_b64 v[12:13], 3, v[10:11]
	v_add_co_u32_e32 v12, vcc, v6, v12
	v_addc_co_u32_e32 v13, vcc, v7, v13, vcc
	v_sub_u32_e32 v10, v33, v8
	global_store_dwordx2 v[12:13], v[76:77], off
	v_lshlrev_b64 v[12:13], 3, v[10:11]
	v_add_co_u32_e32 v12, vcc, v6, v12
	v_addc_co_u32_e32 v13, vcc, v7, v13, vcc
	v_sub_u32_e32 v10, v32, v8
	global_store_dwordx2 v[12:13], v[52:53], off
	v_lshlrev_b64 v[12:13], 3, v[10:11]
	v_add_co_u32_e32 v12, vcc, v6, v12
	v_addc_co_u32_e32 v13, vcc, v7, v13, vcc
	v_sub_u32_e32 v10, v31, v8
	global_store_dwordx2 v[12:13], v[54:55], off
	v_lshlrev_b64 v[12:13], 3, v[10:11]
	v_add_co_u32_e32 v12, vcc, v6, v12
	v_addc_co_u32_e32 v13, vcc, v7, v13, vcc
	v_sub_u32_e32 v10, v30, v8
	global_store_dwordx2 v[12:13], v[56:57], off
	v_lshlrev_b64 v[12:13], 3, v[10:11]
	v_add_co_u32_e32 v12, vcc, v6, v12
	v_addc_co_u32_e32 v13, vcc, v7, v13, vcc
	v_sub_u32_e32 v10, v29, v8
	global_store_dwordx2 v[12:13], v[58:59], off
	v_lshlrev_b64 v[12:13], 3, v[10:11]
	v_add_co_u32_e32 v12, vcc, v6, v12
	v_addc_co_u32_e32 v13, vcc, v7, v13, vcc
	v_sub_u32_e32 v10, v28, v8
	global_store_dwordx2 v[12:13], v[60:61], off
	v_lshlrev_b64 v[12:13], 3, v[10:11]
	v_add_co_u32_e32 v12, vcc, v6, v12
	v_addc_co_u32_e32 v13, vcc, v7, v13, vcc
	v_sub_u32_e32 v10, v27, v8
	global_store_dwordx2 v[12:13], v[62:63], off
	v_lshlrev_b64 v[12:13], 3, v[10:11]
	v_add_co_u32_e32 v12, vcc, v6, v12
	v_addc_co_u32_e32 v13, vcc, v7, v13, vcc
	v_sub_u32_e32 v10, v26, v8
	global_store_dwordx2 v[12:13], v[64:65], off
	v_lshlrev_b64 v[12:13], 3, v[10:11]
	v_add_co_u32_e32 v12, vcc, v6, v12
	v_addc_co_u32_e32 v13, vcc, v7, v13, vcc
	v_sub_u32_e32 v10, v25, v8
	global_store_dwordx2 v[12:13], v[66:67], off
	v_lshlrev_b64 v[12:13], 3, v[10:11]
	v_add_co_u32_e32 v12, vcc, v6, v12
	v_addc_co_u32_e32 v13, vcc, v7, v13, vcc
	v_sub_u32_e32 v10, v24, v8
	global_store_dwordx2 v[12:13], v[68:69], off
	v_lshlrev_b64 v[12:13], 3, v[10:11]
	v_add_co_u32_e32 v12, vcc, v6, v12
	v_addc_co_u32_e32 v13, vcc, v7, v13, vcc
	v_sub_u32_e32 v10, v23, v8
	global_store_dwordx2 v[12:13], v[70:71], off
	v_lshlrev_b64 v[12:13], 3, v[10:11]
	v_add_co_u32_e32 v12, vcc, v6, v12
	v_addc_co_u32_e32 v13, vcc, v7, v13, vcc
	v_sub_u32_e32 v10, v22, v8
	global_store_dwordx2 v[12:13], v[72:73], off
	v_lshlrev_b64 v[12:13], 3, v[10:11]
	v_add_co_u32_e32 v12, vcc, v6, v12
	v_sub_u32_e32 v10, v21, v8
	v_addc_co_u32_e32 v13, vcc, v7, v13, vcc
	v_lshlrev_b64 v[10:11], 3, v[10:11]
	v_add_co_u32_e32 v10, vcc, v6, v10
	v_addc_co_u32_e32 v11, vcc, v7, v11, vcc
	s_or_b64 s[36:37], s[36:37], exec
	global_store_dwordx2 v[12:13], v[74:75], off
	global_store_dwordx2 v[10:11], v[78:79], off
	s_or_b64 exec, exec, s[30:31]
	s_and_b64 exec, exec, s[36:37]
	s_cbranch_execnz .LBB949_194
	s_branch .LBB949_195
.LBB949_262:
	s_and_saveexec_b64 s[36:37], s[28:29]
	s_cbranch_execnz .LBB949_318
; %bb.263:
	s_or_b64 exec, exec, s[36:37]
	s_and_saveexec_b64 s[28:29], s[26:27]
	s_cbranch_execnz .LBB949_319
.LBB949_264:
	s_or_b64 exec, exec, s[28:29]
	s_and_saveexec_b64 s[26:27], s[24:25]
	s_cbranch_execnz .LBB949_320
.LBB949_265:
	s_or_b64 exec, exec, s[26:27]
	s_and_saveexec_b64 s[24:25], s[22:23]
	s_cbranch_execnz .LBB949_321
.LBB949_266:
	s_or_b64 exec, exec, s[24:25]
	s_and_saveexec_b64 s[22:23], s[20:21]
	s_cbranch_execnz .LBB949_322
.LBB949_267:
	s_or_b64 exec, exec, s[22:23]
	s_and_saveexec_b64 s[20:21], s[18:19]
	s_cbranch_execnz .LBB949_323
.LBB949_268:
	s_or_b64 exec, exec, s[20:21]
	s_and_saveexec_b64 s[18:19], s[16:17]
	s_cbranch_execnz .LBB949_324
.LBB949_269:
	s_or_b64 exec, exec, s[18:19]
	s_and_saveexec_b64 s[16:17], s[14:15]
	s_cbranch_execnz .LBB949_325
.LBB949_270:
	s_or_b64 exec, exec, s[16:17]
	s_and_saveexec_b64 s[14:15], s[12:13]
	s_cbranch_execnz .LBB949_326
.LBB949_271:
	s_or_b64 exec, exec, s[14:15]
	s_and_saveexec_b64 s[12:13], s[10:11]
	s_cbranch_execnz .LBB949_327
.LBB949_272:
	s_or_b64 exec, exec, s[12:13]
	s_and_saveexec_b64 s[10:11], s[8:9]
	s_cbranch_execnz .LBB949_328
.LBB949_273:
	s_or_b64 exec, exec, s[10:11]
	s_and_saveexec_b64 s[8:9], s[6:7]
	s_cbranch_execnz .LBB949_329
.LBB949_274:
	s_or_b64 exec, exec, s[8:9]
	s_and_saveexec_b64 s[6:7], s[4:5]
	s_cbranch_execnz .LBB949_330
.LBB949_275:
	s_or_b64 exec, exec, s[6:7]
	s_and_saveexec_b64 s[4:5], s[2:3]
	s_cbranch_execz .LBB949_277
.LBB949_276:
	v_sub_u32_e32 v9, v21, v8
	v_lshlrev_b32_e32 v9, 3, v9
	ds_write_b64 v9, v[78:79]
.LBB949_277:
	s_or_b64 exec, exec, s[4:5]
	s_and_b64 s[36:37], s[0:1], exec
                                        ; implicit-def: $vgpr76_vgpr77
                                        ; implicit-def: $vgpr52_vgpr53
                                        ; implicit-def: $vgpr54_vgpr55
                                        ; implicit-def: $vgpr56_vgpr57
                                        ; implicit-def: $vgpr58_vgpr59
                                        ; implicit-def: $vgpr60_vgpr61
                                        ; implicit-def: $vgpr62_vgpr63
                                        ; implicit-def: $vgpr64_vgpr65
                                        ; implicit-def: $vgpr66_vgpr67
                                        ; implicit-def: $vgpr68_vgpr69
                                        ; implicit-def: $vgpr70_vgpr71
                                        ; implicit-def: $vgpr72_vgpr73
                                        ; implicit-def: $vgpr74_vgpr75
                                        ; implicit-def: $vgpr78_vgpr79
                                        ; implicit-def: $vgpr97
                                        ; implicit-def: $vgpr33
                                        ; implicit-def: $vgpr32
                                        ; implicit-def: $vgpr31
                                        ; implicit-def: $vgpr30
                                        ; implicit-def: $vgpr29
                                        ; implicit-def: $vgpr28
                                        ; implicit-def: $vgpr27
                                        ; implicit-def: $vgpr26
                                        ; implicit-def: $vgpr25
                                        ; implicit-def: $vgpr24
                                        ; implicit-def: $vgpr23
                                        ; implicit-def: $vgpr22
                                        ; implicit-def: $vgpr21
	s_andn2_saveexec_b64 s[0:1], s[34:35]
	s_cbranch_execz .LBB949_200
.LBB949_278:
	v_sub_u32_e32 v9, v97, v8
	v_lshlrev_b32_e32 v9, 3, v9
	ds_write_b64 v9, v[76:77]
	v_sub_u32_e32 v9, v33, v8
	v_lshlrev_b32_e32 v9, 3, v9
	ds_write_b64 v9, v[52:53]
	;; [unrolled: 3-line block ×13, first 2 shown]
	v_sub_u32_e32 v9, v21, v8
	v_lshlrev_b32_e32 v9, 3, v9
	s_or_b64 s[36:37], s[36:37], exec
	ds_write_b64 v9, v[78:79]
	s_or_b64 exec, exec, s[0:1]
	s_and_b64 exec, exec, s[36:37]
	s_cbranch_execnz .LBB949_201
	s_branch .LBB949_202
.LBB949_279:
	v_sub_u32_e32 v38, v97, v50
	v_mov_b32_e32 v39, 0
	v_lshlrev_b64 v[38:39], 2, v[38:39]
	v_add_co_u32_e32 v38, vcc, v34, v38
	v_addc_co_u32_e32 v39, vcc, v35, v39, vcc
	global_store_dword v[38:39], v16, off
	s_or_b64 exec, exec, s[38:39]
	s_and_saveexec_b64 s[38:39], s[28:29]
	s_cbranch_execz .LBB949_213
.LBB949_280:
	v_sub_u32_e32 v38, v33, v50
	v_mov_b32_e32 v39, 0
	v_lshlrev_b64 v[38:39], 2, v[38:39]
	v_add_co_u32_e32 v38, vcc, v34, v38
	v_addc_co_u32_e32 v39, vcc, v35, v39, vcc
	global_store_dword v[38:39], v17, off
	s_or_b64 exec, exec, s[38:39]
	s_and_saveexec_b64 s[38:39], s[26:27]
	s_cbranch_execz .LBB949_214
.LBB949_281:
	v_sub_u32_e32 v38, v32, v50
	v_mov_b32_e32 v39, 0
	v_lshlrev_b64 v[38:39], 2, v[38:39]
	v_add_co_u32_e32 v38, vcc, v34, v38
	v_addc_co_u32_e32 v39, vcc, v35, v39, vcc
	global_store_dword v[38:39], v14, off
	s_or_b64 exec, exec, s[38:39]
	s_and_saveexec_b64 s[38:39], s[24:25]
	s_cbranch_execz .LBB949_215
.LBB949_282:
	v_sub_u32_e32 v38, v31, v50
	v_mov_b32_e32 v39, 0
	v_lshlrev_b64 v[38:39], 2, v[38:39]
	v_add_co_u32_e32 v38, vcc, v34, v38
	v_addc_co_u32_e32 v39, vcc, v35, v39, vcc
	global_store_dword v[38:39], v15, off
	s_or_b64 exec, exec, s[38:39]
	s_and_saveexec_b64 s[38:39], s[22:23]
	s_cbranch_execz .LBB949_216
.LBB949_283:
	v_sub_u32_e32 v38, v30, v50
	v_mov_b32_e32 v39, 0
	v_lshlrev_b64 v[38:39], 2, v[38:39]
	v_add_co_u32_e32 v38, vcc, v34, v38
	v_addc_co_u32_e32 v39, vcc, v35, v39, vcc
	global_store_dword v[38:39], v12, off
	s_or_b64 exec, exec, s[38:39]
	s_and_saveexec_b64 s[38:39], s[20:21]
	s_cbranch_execz .LBB949_217
.LBB949_284:
	v_sub_u32_e32 v38, v29, v50
	v_mov_b32_e32 v39, 0
	v_lshlrev_b64 v[38:39], 2, v[38:39]
	v_add_co_u32_e32 v38, vcc, v34, v38
	v_addc_co_u32_e32 v39, vcc, v35, v39, vcc
	global_store_dword v[38:39], v13, off
	s_or_b64 exec, exec, s[38:39]
	s_and_saveexec_b64 s[38:39], s[18:19]
	s_cbranch_execz .LBB949_218
.LBB949_285:
	v_sub_u32_e32 v38, v28, v50
	v_mov_b32_e32 v39, 0
	v_lshlrev_b64 v[38:39], 2, v[38:39]
	v_add_co_u32_e32 v38, vcc, v34, v38
	v_addc_co_u32_e32 v39, vcc, v35, v39, vcc
	global_store_dword v[38:39], v10, off
	s_or_b64 exec, exec, s[38:39]
	s_and_saveexec_b64 s[38:39], s[16:17]
	s_cbranch_execz .LBB949_219
.LBB949_286:
	v_sub_u32_e32 v38, v27, v50
	v_mov_b32_e32 v39, 0
	v_lshlrev_b64 v[38:39], 2, v[38:39]
	v_add_co_u32_e32 v38, vcc, v34, v38
	v_addc_co_u32_e32 v39, vcc, v35, v39, vcc
	global_store_dword v[38:39], v11, off
	s_or_b64 exec, exec, s[38:39]
	s_and_saveexec_b64 s[38:39], s[14:15]
	s_cbranch_execz .LBB949_220
.LBB949_287:
	v_sub_u32_e32 v38, v26, v50
	v_mov_b32_e32 v39, 0
	v_lshlrev_b64 v[38:39], 2, v[38:39]
	v_add_co_u32_e32 v38, vcc, v34, v38
	v_addc_co_u32_e32 v39, vcc, v35, v39, vcc
	global_store_dword v[38:39], v8, off
	s_or_b64 exec, exec, s[38:39]
	s_and_saveexec_b64 s[38:39], s[12:13]
	s_cbranch_execz .LBB949_221
.LBB949_288:
	v_sub_u32_e32 v38, v25, v50
	v_mov_b32_e32 v39, 0
	v_lshlrev_b64 v[38:39], 2, v[38:39]
	v_add_co_u32_e32 v38, vcc, v34, v38
	v_addc_co_u32_e32 v39, vcc, v35, v39, vcc
	global_store_dword v[38:39], v9, off
	s_or_b64 exec, exec, s[38:39]
	s_and_saveexec_b64 s[38:39], s[10:11]
	s_cbranch_execz .LBB949_222
.LBB949_289:
	v_sub_u32_e32 v38, v24, v50
	v_mov_b32_e32 v39, 0
	v_lshlrev_b64 v[38:39], 2, v[38:39]
	v_add_co_u32_e32 v38, vcc, v34, v38
	v_addc_co_u32_e32 v39, vcc, v35, v39, vcc
	global_store_dword v[38:39], v6, off
	s_or_b64 exec, exec, s[38:39]
	s_and_saveexec_b64 s[38:39], s[8:9]
	s_cbranch_execz .LBB949_223
.LBB949_290:
	v_sub_u32_e32 v38, v23, v50
	v_mov_b32_e32 v39, 0
	v_lshlrev_b64 v[38:39], 2, v[38:39]
	v_add_co_u32_e32 v38, vcc, v34, v38
	v_addc_co_u32_e32 v39, vcc, v35, v39, vcc
	global_store_dword v[38:39], v7, off
	s_or_b64 exec, exec, s[38:39]
	s_and_saveexec_b64 s[38:39], s[6:7]
	s_cbranch_execz .LBB949_224
.LBB949_291:
	v_sub_u32_e32 v38, v22, v50
	v_mov_b32_e32 v39, 0
	v_lshlrev_b64 v[38:39], 2, v[38:39]
	v_add_co_u32_e32 v38, vcc, v34, v38
	v_addc_co_u32_e32 v39, vcc, v35, v39, vcc
	global_store_dword v[38:39], v4, off
	s_or_b64 exec, exec, s[38:39]
	s_and_saveexec_b64 s[38:39], s[4:5]
	s_cbranch_execnz .LBB949_225
	s_branch .LBB949_226
.LBB949_292:
	v_sub_u32_e32 v36, v97, v50
	v_lshlrev_b32_e32 v36, 2, v36
	ds_write_b32 v36, v16
	s_or_b64 exec, exec, s[38:39]
	s_and_saveexec_b64 s[30:31], s[28:29]
	s_cbranch_execz .LBB949_230
.LBB949_293:
	v_sub_u32_e32 v16, v33, v50
	v_lshlrev_b32_e32 v16, 2, v16
	ds_write_b32 v16, v17
	s_or_b64 exec, exec, s[30:31]
	s_and_saveexec_b64 s[28:29], s[26:27]
	s_cbranch_execz .LBB949_231
.LBB949_294:
	v_sub_u32_e32 v16, v32, v50
	v_lshlrev_b32_e32 v16, 2, v16
	ds_write_b32 v16, v14
	s_or_b64 exec, exec, s[28:29]
	s_and_saveexec_b64 s[26:27], s[24:25]
	s_cbranch_execz .LBB949_232
.LBB949_295:
	v_sub_u32_e32 v14, v31, v50
	v_lshlrev_b32_e32 v14, 2, v14
	ds_write_b32 v14, v15
	s_or_b64 exec, exec, s[26:27]
	s_and_saveexec_b64 s[24:25], s[22:23]
	s_cbranch_execz .LBB949_233
.LBB949_296:
	v_sub_u32_e32 v14, v30, v50
	v_lshlrev_b32_e32 v14, 2, v14
	ds_write_b32 v14, v12
	s_or_b64 exec, exec, s[24:25]
	s_and_saveexec_b64 s[22:23], s[20:21]
	s_cbranch_execz .LBB949_234
.LBB949_297:
	v_sub_u32_e32 v12, v29, v50
	v_lshlrev_b32_e32 v12, 2, v12
	ds_write_b32 v12, v13
	s_or_b64 exec, exec, s[22:23]
	s_and_saveexec_b64 s[20:21], s[18:19]
	s_cbranch_execz .LBB949_235
.LBB949_298:
	v_sub_u32_e32 v12, v28, v50
	v_lshlrev_b32_e32 v12, 2, v12
	ds_write_b32 v12, v10
	s_or_b64 exec, exec, s[20:21]
	s_and_saveexec_b64 s[18:19], s[16:17]
	s_cbranch_execz .LBB949_236
.LBB949_299:
	v_sub_u32_e32 v10, v27, v50
	v_lshlrev_b32_e32 v10, 2, v10
	ds_write_b32 v10, v11
	s_or_b64 exec, exec, s[18:19]
	s_and_saveexec_b64 s[16:17], s[14:15]
	s_cbranch_execz .LBB949_237
.LBB949_300:
	v_sub_u32_e32 v10, v26, v50
	v_lshlrev_b32_e32 v10, 2, v10
	ds_write_b32 v10, v8
	s_or_b64 exec, exec, s[16:17]
	s_and_saveexec_b64 s[14:15], s[12:13]
	s_cbranch_execz .LBB949_238
.LBB949_301:
	v_sub_u32_e32 v8, v25, v50
	v_lshlrev_b32_e32 v8, 2, v8
	ds_write_b32 v8, v9
	s_or_b64 exec, exec, s[14:15]
	s_and_saveexec_b64 s[12:13], s[10:11]
	s_cbranch_execz .LBB949_239
.LBB949_302:
	v_sub_u32_e32 v8, v24, v50
	v_lshlrev_b32_e32 v8, 2, v8
	ds_write_b32 v8, v6
	s_or_b64 exec, exec, s[12:13]
	s_and_saveexec_b64 s[10:11], s[8:9]
	s_cbranch_execz .LBB949_240
.LBB949_303:
	v_sub_u32_e32 v6, v23, v50
	v_lshlrev_b32_e32 v6, 2, v6
	ds_write_b32 v6, v7
	s_or_b64 exec, exec, s[10:11]
	s_and_saveexec_b64 s[8:9], s[6:7]
	s_cbranch_execz .LBB949_241
.LBB949_304:
	v_sub_u32_e32 v6, v22, v50
	v_lshlrev_b32_e32 v6, 2, v6
	ds_write_b32 v6, v4
	s_or_b64 exec, exec, s[8:9]
	s_and_saveexec_b64 s[6:7], s[4:5]
	s_cbranch_execnz .LBB949_242
	s_branch .LBB949_243
.LBB949_305:
	v_sub_u32_e32 v10, v97, v8
	v_mov_b32_e32 v11, 0
	v_lshlrev_b64 v[10:11], 3, v[10:11]
	v_add_co_u32_e32 v10, vcc, v6, v10
	v_addc_co_u32_e32 v11, vcc, v7, v11, vcc
	global_store_dwordx2 v[10:11], v[76:77], off
	s_or_b64 exec, exec, s[36:37]
	s_and_saveexec_b64 s[36:37], s[26:27]
	s_cbranch_execz .LBB949_247
.LBB949_306:
	v_sub_u32_e32 v10, v33, v8
	v_mov_b32_e32 v11, 0
	v_lshlrev_b64 v[10:11], 3, v[10:11]
	v_add_co_u32_e32 v10, vcc, v6, v10
	v_addc_co_u32_e32 v11, vcc, v7, v11, vcc
	global_store_dwordx2 v[10:11], v[52:53], off
	s_or_b64 exec, exec, s[36:37]
	s_and_saveexec_b64 s[36:37], s[24:25]
	s_cbranch_execz .LBB949_248
.LBB949_307:
	v_sub_u32_e32 v10, v32, v8
	v_mov_b32_e32 v11, 0
	v_lshlrev_b64 v[10:11], 3, v[10:11]
	v_add_co_u32_e32 v10, vcc, v6, v10
	v_addc_co_u32_e32 v11, vcc, v7, v11, vcc
	global_store_dwordx2 v[10:11], v[54:55], off
	s_or_b64 exec, exec, s[36:37]
	s_and_saveexec_b64 s[36:37], s[22:23]
	s_cbranch_execz .LBB949_249
.LBB949_308:
	v_sub_u32_e32 v10, v31, v8
	v_mov_b32_e32 v11, 0
	v_lshlrev_b64 v[10:11], 3, v[10:11]
	v_add_co_u32_e32 v10, vcc, v6, v10
	v_addc_co_u32_e32 v11, vcc, v7, v11, vcc
	global_store_dwordx2 v[10:11], v[56:57], off
	s_or_b64 exec, exec, s[36:37]
	s_and_saveexec_b64 s[36:37], s[20:21]
	s_cbranch_execz .LBB949_250
.LBB949_309:
	v_sub_u32_e32 v10, v30, v8
	v_mov_b32_e32 v11, 0
	v_lshlrev_b64 v[10:11], 3, v[10:11]
	v_add_co_u32_e32 v10, vcc, v6, v10
	v_addc_co_u32_e32 v11, vcc, v7, v11, vcc
	global_store_dwordx2 v[10:11], v[58:59], off
	s_or_b64 exec, exec, s[36:37]
	s_and_saveexec_b64 s[36:37], s[18:19]
	s_cbranch_execz .LBB949_251
.LBB949_310:
	v_sub_u32_e32 v10, v29, v8
	v_mov_b32_e32 v11, 0
	v_lshlrev_b64 v[10:11], 3, v[10:11]
	v_add_co_u32_e32 v10, vcc, v6, v10
	v_addc_co_u32_e32 v11, vcc, v7, v11, vcc
	global_store_dwordx2 v[10:11], v[60:61], off
	s_or_b64 exec, exec, s[36:37]
	s_and_saveexec_b64 s[36:37], s[16:17]
	s_cbranch_execz .LBB949_252
.LBB949_311:
	v_sub_u32_e32 v10, v28, v8
	v_mov_b32_e32 v11, 0
	v_lshlrev_b64 v[10:11], 3, v[10:11]
	v_add_co_u32_e32 v10, vcc, v6, v10
	v_addc_co_u32_e32 v11, vcc, v7, v11, vcc
	global_store_dwordx2 v[10:11], v[62:63], off
	s_or_b64 exec, exec, s[36:37]
	s_and_saveexec_b64 s[36:37], s[14:15]
	s_cbranch_execz .LBB949_253
.LBB949_312:
	v_sub_u32_e32 v10, v27, v8
	v_mov_b32_e32 v11, 0
	v_lshlrev_b64 v[10:11], 3, v[10:11]
	v_add_co_u32_e32 v10, vcc, v6, v10
	v_addc_co_u32_e32 v11, vcc, v7, v11, vcc
	global_store_dwordx2 v[10:11], v[64:65], off
	s_or_b64 exec, exec, s[36:37]
	s_and_saveexec_b64 s[36:37], s[12:13]
	s_cbranch_execz .LBB949_254
.LBB949_313:
	v_sub_u32_e32 v10, v26, v8
	v_mov_b32_e32 v11, 0
	v_lshlrev_b64 v[10:11], 3, v[10:11]
	v_add_co_u32_e32 v10, vcc, v6, v10
	v_addc_co_u32_e32 v11, vcc, v7, v11, vcc
	global_store_dwordx2 v[10:11], v[66:67], off
	s_or_b64 exec, exec, s[36:37]
	s_and_saveexec_b64 s[36:37], s[10:11]
	s_cbranch_execz .LBB949_255
.LBB949_314:
	v_sub_u32_e32 v10, v25, v8
	v_mov_b32_e32 v11, 0
	v_lshlrev_b64 v[10:11], 3, v[10:11]
	v_add_co_u32_e32 v10, vcc, v6, v10
	v_addc_co_u32_e32 v11, vcc, v7, v11, vcc
	global_store_dwordx2 v[10:11], v[68:69], off
	s_or_b64 exec, exec, s[36:37]
	s_and_saveexec_b64 s[36:37], s[8:9]
	s_cbranch_execz .LBB949_256
.LBB949_315:
	v_sub_u32_e32 v10, v24, v8
	v_mov_b32_e32 v11, 0
	v_lshlrev_b64 v[10:11], 3, v[10:11]
	v_add_co_u32_e32 v10, vcc, v6, v10
	v_addc_co_u32_e32 v11, vcc, v7, v11, vcc
	global_store_dwordx2 v[10:11], v[70:71], off
	s_or_b64 exec, exec, s[36:37]
	s_and_saveexec_b64 s[36:37], s[6:7]
	s_cbranch_execz .LBB949_257
.LBB949_316:
	v_sub_u32_e32 v10, v23, v8
	v_mov_b32_e32 v11, 0
	v_lshlrev_b64 v[10:11], 3, v[10:11]
	v_add_co_u32_e32 v10, vcc, v6, v10
	v_addc_co_u32_e32 v11, vcc, v7, v11, vcc
	global_store_dwordx2 v[10:11], v[72:73], off
	s_or_b64 exec, exec, s[36:37]
	s_and_saveexec_b64 s[36:37], s[4:5]
	s_cbranch_execz .LBB949_258
.LBB949_317:
	v_sub_u32_e32 v10, v22, v8
	v_mov_b32_e32 v11, 0
	v_lshlrev_b64 v[10:11], 3, v[10:11]
	v_add_co_u32_e32 v10, vcc, v6, v10
	v_addc_co_u32_e32 v11, vcc, v7, v11, vcc
	global_store_dwordx2 v[10:11], v[74:75], off
	s_or_b64 exec, exec, s[36:37]
	s_and_saveexec_b64 s[36:37], s[2:3]
	s_cbranch_execnz .LBB949_259
	s_branch .LBB949_260
.LBB949_318:
	v_sub_u32_e32 v9, v97, v8
	v_lshlrev_b32_e32 v9, 3, v9
	ds_write_b64 v9, v[76:77]
	s_or_b64 exec, exec, s[36:37]
	s_and_saveexec_b64 s[28:29], s[26:27]
	s_cbranch_execz .LBB949_264
.LBB949_319:
	v_sub_u32_e32 v9, v33, v8
	v_lshlrev_b32_e32 v9, 3, v9
	ds_write_b64 v9, v[52:53]
	s_or_b64 exec, exec, s[28:29]
	s_and_saveexec_b64 s[26:27], s[24:25]
	s_cbranch_execz .LBB949_265
.LBB949_320:
	v_sub_u32_e32 v9, v32, v8
	v_lshlrev_b32_e32 v9, 3, v9
	ds_write_b64 v9, v[54:55]
	s_or_b64 exec, exec, s[26:27]
	s_and_saveexec_b64 s[24:25], s[22:23]
	s_cbranch_execz .LBB949_266
.LBB949_321:
	v_sub_u32_e32 v9, v31, v8
	v_lshlrev_b32_e32 v9, 3, v9
	ds_write_b64 v9, v[56:57]
	s_or_b64 exec, exec, s[24:25]
	s_and_saveexec_b64 s[22:23], s[20:21]
	s_cbranch_execz .LBB949_267
.LBB949_322:
	v_sub_u32_e32 v9, v30, v8
	v_lshlrev_b32_e32 v9, 3, v9
	ds_write_b64 v9, v[58:59]
	s_or_b64 exec, exec, s[22:23]
	s_and_saveexec_b64 s[20:21], s[18:19]
	s_cbranch_execz .LBB949_268
.LBB949_323:
	v_sub_u32_e32 v9, v29, v8
	v_lshlrev_b32_e32 v9, 3, v9
	ds_write_b64 v9, v[60:61]
	s_or_b64 exec, exec, s[20:21]
	s_and_saveexec_b64 s[18:19], s[16:17]
	s_cbranch_execz .LBB949_269
.LBB949_324:
	v_sub_u32_e32 v9, v28, v8
	v_lshlrev_b32_e32 v9, 3, v9
	ds_write_b64 v9, v[62:63]
	s_or_b64 exec, exec, s[18:19]
	s_and_saveexec_b64 s[16:17], s[14:15]
	s_cbranch_execz .LBB949_270
.LBB949_325:
	v_sub_u32_e32 v9, v27, v8
	v_lshlrev_b32_e32 v9, 3, v9
	ds_write_b64 v9, v[64:65]
	s_or_b64 exec, exec, s[16:17]
	s_and_saveexec_b64 s[14:15], s[12:13]
	s_cbranch_execz .LBB949_271
.LBB949_326:
	v_sub_u32_e32 v9, v26, v8
	v_lshlrev_b32_e32 v9, 3, v9
	ds_write_b64 v9, v[66:67]
	s_or_b64 exec, exec, s[14:15]
	s_and_saveexec_b64 s[12:13], s[10:11]
	s_cbranch_execz .LBB949_272
.LBB949_327:
	v_sub_u32_e32 v9, v25, v8
	v_lshlrev_b32_e32 v9, 3, v9
	ds_write_b64 v9, v[68:69]
	s_or_b64 exec, exec, s[12:13]
	s_and_saveexec_b64 s[10:11], s[8:9]
	s_cbranch_execz .LBB949_273
.LBB949_328:
	v_sub_u32_e32 v9, v24, v8
	v_lshlrev_b32_e32 v9, 3, v9
	ds_write_b64 v9, v[70:71]
	s_or_b64 exec, exec, s[10:11]
	s_and_saveexec_b64 s[8:9], s[6:7]
	s_cbranch_execz .LBB949_274
.LBB949_329:
	v_sub_u32_e32 v9, v23, v8
	v_lshlrev_b32_e32 v9, 3, v9
	ds_write_b64 v9, v[72:73]
	s_or_b64 exec, exec, s[8:9]
	s_and_saveexec_b64 s[6:7], s[4:5]
	s_cbranch_execz .LBB949_275
.LBB949_330:
	v_sub_u32_e32 v9, v22, v8
	v_lshlrev_b32_e32 v9, 3, v9
	ds_write_b64 v9, v[74:75]
	s_or_b64 exec, exec, s[6:7]
	s_and_saveexec_b64 s[4:5], s[2:3]
	s_cbranch_execnz .LBB949_276
	s_branch .LBB949_277
	.section	.rodata,"a",@progbits
	.p2align	6, 0x0
	.amdhsa_kernel _ZN7rocprim17ROCPRIM_400000_NS6detail17trampoline_kernelINS0_14default_configENS1_29reduce_by_key_config_selectorIilN6thrust23THRUST_200600_302600_NS4plusIlEEEEZZNS1_33reduce_by_key_impl_wrapped_configILNS1_25lookback_scan_determinismE0ES3_S9_PiNS6_17constant_iteratorIiNS6_11use_defaultESE_EENS6_10device_ptrIiEENSG_IlEEPmS8_NS6_8equal_toIiEEEE10hipError_tPvRmT2_T3_mT4_T5_T6_T7_T8_P12ihipStream_tbENKUlT_T0_E_clISt17integral_constantIbLb1EES13_EEDaSY_SZ_EUlSY_E_NS1_11comp_targetILNS1_3genE4ELNS1_11target_archE910ELNS1_3gpuE8ELNS1_3repE0EEENS1_30default_config_static_selectorELNS0_4arch9wavefront6targetE1EEEvT1_
		.amdhsa_group_segment_fixed_size 30720
		.amdhsa_private_segment_fixed_size 0
		.amdhsa_kernarg_size 144
		.amdhsa_user_sgpr_count 6
		.amdhsa_user_sgpr_private_segment_buffer 1
		.amdhsa_user_sgpr_dispatch_ptr 0
		.amdhsa_user_sgpr_queue_ptr 0
		.amdhsa_user_sgpr_kernarg_segment_ptr 1
		.amdhsa_user_sgpr_dispatch_id 0
		.amdhsa_user_sgpr_flat_scratch_init 0
		.amdhsa_user_sgpr_kernarg_preload_length 0
		.amdhsa_user_sgpr_kernarg_preload_offset 0
		.amdhsa_user_sgpr_private_segment_size 0
		.amdhsa_uses_dynamic_stack 0
		.amdhsa_system_sgpr_private_segment_wavefront_offset 0
		.amdhsa_system_sgpr_workgroup_id_x 1
		.amdhsa_system_sgpr_workgroup_id_y 0
		.amdhsa_system_sgpr_workgroup_id_z 0
		.amdhsa_system_sgpr_workgroup_info 0
		.amdhsa_system_vgpr_workitem_id 0
		.amdhsa_next_free_vgpr 122
		.amdhsa_next_free_sgpr 64
		.amdhsa_accum_offset 124
		.amdhsa_reserve_vcc 1
		.amdhsa_reserve_flat_scratch 0
		.amdhsa_float_round_mode_32 0
		.amdhsa_float_round_mode_16_64 0
		.amdhsa_float_denorm_mode_32 3
		.amdhsa_float_denorm_mode_16_64 3
		.amdhsa_dx10_clamp 1
		.amdhsa_ieee_mode 1
		.amdhsa_fp16_overflow 0
		.amdhsa_tg_split 0
		.amdhsa_exception_fp_ieee_invalid_op 0
		.amdhsa_exception_fp_denorm_src 0
		.amdhsa_exception_fp_ieee_div_zero 0
		.amdhsa_exception_fp_ieee_overflow 0
		.amdhsa_exception_fp_ieee_underflow 0
		.amdhsa_exception_fp_ieee_inexact 0
		.amdhsa_exception_int_div_zero 0
	.end_amdhsa_kernel
	.section	.text._ZN7rocprim17ROCPRIM_400000_NS6detail17trampoline_kernelINS0_14default_configENS1_29reduce_by_key_config_selectorIilN6thrust23THRUST_200600_302600_NS4plusIlEEEEZZNS1_33reduce_by_key_impl_wrapped_configILNS1_25lookback_scan_determinismE0ES3_S9_PiNS6_17constant_iteratorIiNS6_11use_defaultESE_EENS6_10device_ptrIiEENSG_IlEEPmS8_NS6_8equal_toIiEEEE10hipError_tPvRmT2_T3_mT4_T5_T6_T7_T8_P12ihipStream_tbENKUlT_T0_E_clISt17integral_constantIbLb1EES13_EEDaSY_SZ_EUlSY_E_NS1_11comp_targetILNS1_3genE4ELNS1_11target_archE910ELNS1_3gpuE8ELNS1_3repE0EEENS1_30default_config_static_selectorELNS0_4arch9wavefront6targetE1EEEvT1_,"axG",@progbits,_ZN7rocprim17ROCPRIM_400000_NS6detail17trampoline_kernelINS0_14default_configENS1_29reduce_by_key_config_selectorIilN6thrust23THRUST_200600_302600_NS4plusIlEEEEZZNS1_33reduce_by_key_impl_wrapped_configILNS1_25lookback_scan_determinismE0ES3_S9_PiNS6_17constant_iteratorIiNS6_11use_defaultESE_EENS6_10device_ptrIiEENSG_IlEEPmS8_NS6_8equal_toIiEEEE10hipError_tPvRmT2_T3_mT4_T5_T6_T7_T8_P12ihipStream_tbENKUlT_T0_E_clISt17integral_constantIbLb1EES13_EEDaSY_SZ_EUlSY_E_NS1_11comp_targetILNS1_3genE4ELNS1_11target_archE910ELNS1_3gpuE8ELNS1_3repE0EEENS1_30default_config_static_selectorELNS0_4arch9wavefront6targetE1EEEvT1_,comdat
.Lfunc_end949:
	.size	_ZN7rocprim17ROCPRIM_400000_NS6detail17trampoline_kernelINS0_14default_configENS1_29reduce_by_key_config_selectorIilN6thrust23THRUST_200600_302600_NS4plusIlEEEEZZNS1_33reduce_by_key_impl_wrapped_configILNS1_25lookback_scan_determinismE0ES3_S9_PiNS6_17constant_iteratorIiNS6_11use_defaultESE_EENS6_10device_ptrIiEENSG_IlEEPmS8_NS6_8equal_toIiEEEE10hipError_tPvRmT2_T3_mT4_T5_T6_T7_T8_P12ihipStream_tbENKUlT_T0_E_clISt17integral_constantIbLb1EES13_EEDaSY_SZ_EUlSY_E_NS1_11comp_targetILNS1_3genE4ELNS1_11target_archE910ELNS1_3gpuE8ELNS1_3repE0EEENS1_30default_config_static_selectorELNS0_4arch9wavefront6targetE1EEEvT1_, .Lfunc_end949-_ZN7rocprim17ROCPRIM_400000_NS6detail17trampoline_kernelINS0_14default_configENS1_29reduce_by_key_config_selectorIilN6thrust23THRUST_200600_302600_NS4plusIlEEEEZZNS1_33reduce_by_key_impl_wrapped_configILNS1_25lookback_scan_determinismE0ES3_S9_PiNS6_17constant_iteratorIiNS6_11use_defaultESE_EENS6_10device_ptrIiEENSG_IlEEPmS8_NS6_8equal_toIiEEEE10hipError_tPvRmT2_T3_mT4_T5_T6_T7_T8_P12ihipStream_tbENKUlT_T0_E_clISt17integral_constantIbLb1EES13_EEDaSY_SZ_EUlSY_E_NS1_11comp_targetILNS1_3genE4ELNS1_11target_archE910ELNS1_3gpuE8ELNS1_3repE0EEENS1_30default_config_static_selectorELNS0_4arch9wavefront6targetE1EEEvT1_
                                        ; -- End function
	.section	.AMDGPU.csdata,"",@progbits
; Kernel info:
; codeLenInByte = 17344
; NumSgprs: 68
; NumVgprs: 122
; NumAgprs: 0
; TotalNumVgprs: 122
; ScratchSize: 0
; MemoryBound: 0
; FloatMode: 240
; IeeeMode: 1
; LDSByteSize: 30720 bytes/workgroup (compile time only)
; SGPRBlocks: 8
; VGPRBlocks: 15
; NumSGPRsForWavesPerEU: 68
; NumVGPRsForWavesPerEU: 122
; AccumOffset: 124
; Occupancy: 2
; WaveLimiterHint : 1
; COMPUTE_PGM_RSRC2:SCRATCH_EN: 0
; COMPUTE_PGM_RSRC2:USER_SGPR: 6
; COMPUTE_PGM_RSRC2:TRAP_HANDLER: 0
; COMPUTE_PGM_RSRC2:TGID_X_EN: 1
; COMPUTE_PGM_RSRC2:TGID_Y_EN: 0
; COMPUTE_PGM_RSRC2:TGID_Z_EN: 0
; COMPUTE_PGM_RSRC2:TIDIG_COMP_CNT: 0
; COMPUTE_PGM_RSRC3_GFX90A:ACCUM_OFFSET: 30
; COMPUTE_PGM_RSRC3_GFX90A:TG_SPLIT: 0
	.section	.text._ZN7rocprim17ROCPRIM_400000_NS6detail17trampoline_kernelINS0_14default_configENS1_29reduce_by_key_config_selectorIilN6thrust23THRUST_200600_302600_NS4plusIlEEEEZZNS1_33reduce_by_key_impl_wrapped_configILNS1_25lookback_scan_determinismE0ES3_S9_PiNS6_17constant_iteratorIiNS6_11use_defaultESE_EENS6_10device_ptrIiEENSG_IlEEPmS8_NS6_8equal_toIiEEEE10hipError_tPvRmT2_T3_mT4_T5_T6_T7_T8_P12ihipStream_tbENKUlT_T0_E_clISt17integral_constantIbLb1EES13_EEDaSY_SZ_EUlSY_E_NS1_11comp_targetILNS1_3genE3ELNS1_11target_archE908ELNS1_3gpuE7ELNS1_3repE0EEENS1_30default_config_static_selectorELNS0_4arch9wavefront6targetE1EEEvT1_,"axG",@progbits,_ZN7rocprim17ROCPRIM_400000_NS6detail17trampoline_kernelINS0_14default_configENS1_29reduce_by_key_config_selectorIilN6thrust23THRUST_200600_302600_NS4plusIlEEEEZZNS1_33reduce_by_key_impl_wrapped_configILNS1_25lookback_scan_determinismE0ES3_S9_PiNS6_17constant_iteratorIiNS6_11use_defaultESE_EENS6_10device_ptrIiEENSG_IlEEPmS8_NS6_8equal_toIiEEEE10hipError_tPvRmT2_T3_mT4_T5_T6_T7_T8_P12ihipStream_tbENKUlT_T0_E_clISt17integral_constantIbLb1EES13_EEDaSY_SZ_EUlSY_E_NS1_11comp_targetILNS1_3genE3ELNS1_11target_archE908ELNS1_3gpuE7ELNS1_3repE0EEENS1_30default_config_static_selectorELNS0_4arch9wavefront6targetE1EEEvT1_,comdat
	.protected	_ZN7rocprim17ROCPRIM_400000_NS6detail17trampoline_kernelINS0_14default_configENS1_29reduce_by_key_config_selectorIilN6thrust23THRUST_200600_302600_NS4plusIlEEEEZZNS1_33reduce_by_key_impl_wrapped_configILNS1_25lookback_scan_determinismE0ES3_S9_PiNS6_17constant_iteratorIiNS6_11use_defaultESE_EENS6_10device_ptrIiEENSG_IlEEPmS8_NS6_8equal_toIiEEEE10hipError_tPvRmT2_T3_mT4_T5_T6_T7_T8_P12ihipStream_tbENKUlT_T0_E_clISt17integral_constantIbLb1EES13_EEDaSY_SZ_EUlSY_E_NS1_11comp_targetILNS1_3genE3ELNS1_11target_archE908ELNS1_3gpuE7ELNS1_3repE0EEENS1_30default_config_static_selectorELNS0_4arch9wavefront6targetE1EEEvT1_ ; -- Begin function _ZN7rocprim17ROCPRIM_400000_NS6detail17trampoline_kernelINS0_14default_configENS1_29reduce_by_key_config_selectorIilN6thrust23THRUST_200600_302600_NS4plusIlEEEEZZNS1_33reduce_by_key_impl_wrapped_configILNS1_25lookback_scan_determinismE0ES3_S9_PiNS6_17constant_iteratorIiNS6_11use_defaultESE_EENS6_10device_ptrIiEENSG_IlEEPmS8_NS6_8equal_toIiEEEE10hipError_tPvRmT2_T3_mT4_T5_T6_T7_T8_P12ihipStream_tbENKUlT_T0_E_clISt17integral_constantIbLb1EES13_EEDaSY_SZ_EUlSY_E_NS1_11comp_targetILNS1_3genE3ELNS1_11target_archE908ELNS1_3gpuE7ELNS1_3repE0EEENS1_30default_config_static_selectorELNS0_4arch9wavefront6targetE1EEEvT1_
	.globl	_ZN7rocprim17ROCPRIM_400000_NS6detail17trampoline_kernelINS0_14default_configENS1_29reduce_by_key_config_selectorIilN6thrust23THRUST_200600_302600_NS4plusIlEEEEZZNS1_33reduce_by_key_impl_wrapped_configILNS1_25lookback_scan_determinismE0ES3_S9_PiNS6_17constant_iteratorIiNS6_11use_defaultESE_EENS6_10device_ptrIiEENSG_IlEEPmS8_NS6_8equal_toIiEEEE10hipError_tPvRmT2_T3_mT4_T5_T6_T7_T8_P12ihipStream_tbENKUlT_T0_E_clISt17integral_constantIbLb1EES13_EEDaSY_SZ_EUlSY_E_NS1_11comp_targetILNS1_3genE3ELNS1_11target_archE908ELNS1_3gpuE7ELNS1_3repE0EEENS1_30default_config_static_selectorELNS0_4arch9wavefront6targetE1EEEvT1_
	.p2align	8
	.type	_ZN7rocprim17ROCPRIM_400000_NS6detail17trampoline_kernelINS0_14default_configENS1_29reduce_by_key_config_selectorIilN6thrust23THRUST_200600_302600_NS4plusIlEEEEZZNS1_33reduce_by_key_impl_wrapped_configILNS1_25lookback_scan_determinismE0ES3_S9_PiNS6_17constant_iteratorIiNS6_11use_defaultESE_EENS6_10device_ptrIiEENSG_IlEEPmS8_NS6_8equal_toIiEEEE10hipError_tPvRmT2_T3_mT4_T5_T6_T7_T8_P12ihipStream_tbENKUlT_T0_E_clISt17integral_constantIbLb1EES13_EEDaSY_SZ_EUlSY_E_NS1_11comp_targetILNS1_3genE3ELNS1_11target_archE908ELNS1_3gpuE7ELNS1_3repE0EEENS1_30default_config_static_selectorELNS0_4arch9wavefront6targetE1EEEvT1_,@function
_ZN7rocprim17ROCPRIM_400000_NS6detail17trampoline_kernelINS0_14default_configENS1_29reduce_by_key_config_selectorIilN6thrust23THRUST_200600_302600_NS4plusIlEEEEZZNS1_33reduce_by_key_impl_wrapped_configILNS1_25lookback_scan_determinismE0ES3_S9_PiNS6_17constant_iteratorIiNS6_11use_defaultESE_EENS6_10device_ptrIiEENSG_IlEEPmS8_NS6_8equal_toIiEEEE10hipError_tPvRmT2_T3_mT4_T5_T6_T7_T8_P12ihipStream_tbENKUlT_T0_E_clISt17integral_constantIbLb1EES13_EEDaSY_SZ_EUlSY_E_NS1_11comp_targetILNS1_3genE3ELNS1_11target_archE908ELNS1_3gpuE7ELNS1_3repE0EEENS1_30default_config_static_selectorELNS0_4arch9wavefront6targetE1EEEvT1_: ; @_ZN7rocprim17ROCPRIM_400000_NS6detail17trampoline_kernelINS0_14default_configENS1_29reduce_by_key_config_selectorIilN6thrust23THRUST_200600_302600_NS4plusIlEEEEZZNS1_33reduce_by_key_impl_wrapped_configILNS1_25lookback_scan_determinismE0ES3_S9_PiNS6_17constant_iteratorIiNS6_11use_defaultESE_EENS6_10device_ptrIiEENSG_IlEEPmS8_NS6_8equal_toIiEEEE10hipError_tPvRmT2_T3_mT4_T5_T6_T7_T8_P12ihipStream_tbENKUlT_T0_E_clISt17integral_constantIbLb1EES13_EEDaSY_SZ_EUlSY_E_NS1_11comp_targetILNS1_3genE3ELNS1_11target_archE908ELNS1_3gpuE7ELNS1_3repE0EEENS1_30default_config_static_selectorELNS0_4arch9wavefront6targetE1EEEvT1_
; %bb.0:
	.section	.rodata,"a",@progbits
	.p2align	6, 0x0
	.amdhsa_kernel _ZN7rocprim17ROCPRIM_400000_NS6detail17trampoline_kernelINS0_14default_configENS1_29reduce_by_key_config_selectorIilN6thrust23THRUST_200600_302600_NS4plusIlEEEEZZNS1_33reduce_by_key_impl_wrapped_configILNS1_25lookback_scan_determinismE0ES3_S9_PiNS6_17constant_iteratorIiNS6_11use_defaultESE_EENS6_10device_ptrIiEENSG_IlEEPmS8_NS6_8equal_toIiEEEE10hipError_tPvRmT2_T3_mT4_T5_T6_T7_T8_P12ihipStream_tbENKUlT_T0_E_clISt17integral_constantIbLb1EES13_EEDaSY_SZ_EUlSY_E_NS1_11comp_targetILNS1_3genE3ELNS1_11target_archE908ELNS1_3gpuE7ELNS1_3repE0EEENS1_30default_config_static_selectorELNS0_4arch9wavefront6targetE1EEEvT1_
		.amdhsa_group_segment_fixed_size 0
		.amdhsa_private_segment_fixed_size 0
		.amdhsa_kernarg_size 144
		.amdhsa_user_sgpr_count 6
		.amdhsa_user_sgpr_private_segment_buffer 1
		.amdhsa_user_sgpr_dispatch_ptr 0
		.amdhsa_user_sgpr_queue_ptr 0
		.amdhsa_user_sgpr_kernarg_segment_ptr 1
		.amdhsa_user_sgpr_dispatch_id 0
		.amdhsa_user_sgpr_flat_scratch_init 0
		.amdhsa_user_sgpr_kernarg_preload_length 0
		.amdhsa_user_sgpr_kernarg_preload_offset 0
		.amdhsa_user_sgpr_private_segment_size 0
		.amdhsa_uses_dynamic_stack 0
		.amdhsa_system_sgpr_private_segment_wavefront_offset 0
		.amdhsa_system_sgpr_workgroup_id_x 1
		.amdhsa_system_sgpr_workgroup_id_y 0
		.amdhsa_system_sgpr_workgroup_id_z 0
		.amdhsa_system_sgpr_workgroup_info 0
		.amdhsa_system_vgpr_workitem_id 0
		.amdhsa_next_free_vgpr 1
		.amdhsa_next_free_sgpr 0
		.amdhsa_accum_offset 4
		.amdhsa_reserve_vcc 0
		.amdhsa_reserve_flat_scratch 0
		.amdhsa_float_round_mode_32 0
		.amdhsa_float_round_mode_16_64 0
		.amdhsa_float_denorm_mode_32 3
		.amdhsa_float_denorm_mode_16_64 3
		.amdhsa_dx10_clamp 1
		.amdhsa_ieee_mode 1
		.amdhsa_fp16_overflow 0
		.amdhsa_tg_split 0
		.amdhsa_exception_fp_ieee_invalid_op 0
		.amdhsa_exception_fp_denorm_src 0
		.amdhsa_exception_fp_ieee_div_zero 0
		.amdhsa_exception_fp_ieee_overflow 0
		.amdhsa_exception_fp_ieee_underflow 0
		.amdhsa_exception_fp_ieee_inexact 0
		.amdhsa_exception_int_div_zero 0
	.end_amdhsa_kernel
	.section	.text._ZN7rocprim17ROCPRIM_400000_NS6detail17trampoline_kernelINS0_14default_configENS1_29reduce_by_key_config_selectorIilN6thrust23THRUST_200600_302600_NS4plusIlEEEEZZNS1_33reduce_by_key_impl_wrapped_configILNS1_25lookback_scan_determinismE0ES3_S9_PiNS6_17constant_iteratorIiNS6_11use_defaultESE_EENS6_10device_ptrIiEENSG_IlEEPmS8_NS6_8equal_toIiEEEE10hipError_tPvRmT2_T3_mT4_T5_T6_T7_T8_P12ihipStream_tbENKUlT_T0_E_clISt17integral_constantIbLb1EES13_EEDaSY_SZ_EUlSY_E_NS1_11comp_targetILNS1_3genE3ELNS1_11target_archE908ELNS1_3gpuE7ELNS1_3repE0EEENS1_30default_config_static_selectorELNS0_4arch9wavefront6targetE1EEEvT1_,"axG",@progbits,_ZN7rocprim17ROCPRIM_400000_NS6detail17trampoline_kernelINS0_14default_configENS1_29reduce_by_key_config_selectorIilN6thrust23THRUST_200600_302600_NS4plusIlEEEEZZNS1_33reduce_by_key_impl_wrapped_configILNS1_25lookback_scan_determinismE0ES3_S9_PiNS6_17constant_iteratorIiNS6_11use_defaultESE_EENS6_10device_ptrIiEENSG_IlEEPmS8_NS6_8equal_toIiEEEE10hipError_tPvRmT2_T3_mT4_T5_T6_T7_T8_P12ihipStream_tbENKUlT_T0_E_clISt17integral_constantIbLb1EES13_EEDaSY_SZ_EUlSY_E_NS1_11comp_targetILNS1_3genE3ELNS1_11target_archE908ELNS1_3gpuE7ELNS1_3repE0EEENS1_30default_config_static_selectorELNS0_4arch9wavefront6targetE1EEEvT1_,comdat
.Lfunc_end950:
	.size	_ZN7rocprim17ROCPRIM_400000_NS6detail17trampoline_kernelINS0_14default_configENS1_29reduce_by_key_config_selectorIilN6thrust23THRUST_200600_302600_NS4plusIlEEEEZZNS1_33reduce_by_key_impl_wrapped_configILNS1_25lookback_scan_determinismE0ES3_S9_PiNS6_17constant_iteratorIiNS6_11use_defaultESE_EENS6_10device_ptrIiEENSG_IlEEPmS8_NS6_8equal_toIiEEEE10hipError_tPvRmT2_T3_mT4_T5_T6_T7_T8_P12ihipStream_tbENKUlT_T0_E_clISt17integral_constantIbLb1EES13_EEDaSY_SZ_EUlSY_E_NS1_11comp_targetILNS1_3genE3ELNS1_11target_archE908ELNS1_3gpuE7ELNS1_3repE0EEENS1_30default_config_static_selectorELNS0_4arch9wavefront6targetE1EEEvT1_, .Lfunc_end950-_ZN7rocprim17ROCPRIM_400000_NS6detail17trampoline_kernelINS0_14default_configENS1_29reduce_by_key_config_selectorIilN6thrust23THRUST_200600_302600_NS4plusIlEEEEZZNS1_33reduce_by_key_impl_wrapped_configILNS1_25lookback_scan_determinismE0ES3_S9_PiNS6_17constant_iteratorIiNS6_11use_defaultESE_EENS6_10device_ptrIiEENSG_IlEEPmS8_NS6_8equal_toIiEEEE10hipError_tPvRmT2_T3_mT4_T5_T6_T7_T8_P12ihipStream_tbENKUlT_T0_E_clISt17integral_constantIbLb1EES13_EEDaSY_SZ_EUlSY_E_NS1_11comp_targetILNS1_3genE3ELNS1_11target_archE908ELNS1_3gpuE7ELNS1_3repE0EEENS1_30default_config_static_selectorELNS0_4arch9wavefront6targetE1EEEvT1_
                                        ; -- End function
	.section	.AMDGPU.csdata,"",@progbits
; Kernel info:
; codeLenInByte = 0
; NumSgprs: 4
; NumVgprs: 0
; NumAgprs: 0
; TotalNumVgprs: 0
; ScratchSize: 0
; MemoryBound: 0
; FloatMode: 240
; IeeeMode: 1
; LDSByteSize: 0 bytes/workgroup (compile time only)
; SGPRBlocks: 0
; VGPRBlocks: 0
; NumSGPRsForWavesPerEU: 4
; NumVGPRsForWavesPerEU: 1
; AccumOffset: 4
; Occupancy: 8
; WaveLimiterHint : 0
; COMPUTE_PGM_RSRC2:SCRATCH_EN: 0
; COMPUTE_PGM_RSRC2:USER_SGPR: 6
; COMPUTE_PGM_RSRC2:TRAP_HANDLER: 0
; COMPUTE_PGM_RSRC2:TGID_X_EN: 1
; COMPUTE_PGM_RSRC2:TGID_Y_EN: 0
; COMPUTE_PGM_RSRC2:TGID_Z_EN: 0
; COMPUTE_PGM_RSRC2:TIDIG_COMP_CNT: 0
; COMPUTE_PGM_RSRC3_GFX90A:ACCUM_OFFSET: 0
; COMPUTE_PGM_RSRC3_GFX90A:TG_SPLIT: 0
	.section	.text._ZN7rocprim17ROCPRIM_400000_NS6detail17trampoline_kernelINS0_14default_configENS1_29reduce_by_key_config_selectorIilN6thrust23THRUST_200600_302600_NS4plusIlEEEEZZNS1_33reduce_by_key_impl_wrapped_configILNS1_25lookback_scan_determinismE0ES3_S9_PiNS6_17constant_iteratorIiNS6_11use_defaultESE_EENS6_10device_ptrIiEENSG_IlEEPmS8_NS6_8equal_toIiEEEE10hipError_tPvRmT2_T3_mT4_T5_T6_T7_T8_P12ihipStream_tbENKUlT_T0_E_clISt17integral_constantIbLb1EES13_EEDaSY_SZ_EUlSY_E_NS1_11comp_targetILNS1_3genE2ELNS1_11target_archE906ELNS1_3gpuE6ELNS1_3repE0EEENS1_30default_config_static_selectorELNS0_4arch9wavefront6targetE1EEEvT1_,"axG",@progbits,_ZN7rocprim17ROCPRIM_400000_NS6detail17trampoline_kernelINS0_14default_configENS1_29reduce_by_key_config_selectorIilN6thrust23THRUST_200600_302600_NS4plusIlEEEEZZNS1_33reduce_by_key_impl_wrapped_configILNS1_25lookback_scan_determinismE0ES3_S9_PiNS6_17constant_iteratorIiNS6_11use_defaultESE_EENS6_10device_ptrIiEENSG_IlEEPmS8_NS6_8equal_toIiEEEE10hipError_tPvRmT2_T3_mT4_T5_T6_T7_T8_P12ihipStream_tbENKUlT_T0_E_clISt17integral_constantIbLb1EES13_EEDaSY_SZ_EUlSY_E_NS1_11comp_targetILNS1_3genE2ELNS1_11target_archE906ELNS1_3gpuE6ELNS1_3repE0EEENS1_30default_config_static_selectorELNS0_4arch9wavefront6targetE1EEEvT1_,comdat
	.protected	_ZN7rocprim17ROCPRIM_400000_NS6detail17trampoline_kernelINS0_14default_configENS1_29reduce_by_key_config_selectorIilN6thrust23THRUST_200600_302600_NS4plusIlEEEEZZNS1_33reduce_by_key_impl_wrapped_configILNS1_25lookback_scan_determinismE0ES3_S9_PiNS6_17constant_iteratorIiNS6_11use_defaultESE_EENS6_10device_ptrIiEENSG_IlEEPmS8_NS6_8equal_toIiEEEE10hipError_tPvRmT2_T3_mT4_T5_T6_T7_T8_P12ihipStream_tbENKUlT_T0_E_clISt17integral_constantIbLb1EES13_EEDaSY_SZ_EUlSY_E_NS1_11comp_targetILNS1_3genE2ELNS1_11target_archE906ELNS1_3gpuE6ELNS1_3repE0EEENS1_30default_config_static_selectorELNS0_4arch9wavefront6targetE1EEEvT1_ ; -- Begin function _ZN7rocprim17ROCPRIM_400000_NS6detail17trampoline_kernelINS0_14default_configENS1_29reduce_by_key_config_selectorIilN6thrust23THRUST_200600_302600_NS4plusIlEEEEZZNS1_33reduce_by_key_impl_wrapped_configILNS1_25lookback_scan_determinismE0ES3_S9_PiNS6_17constant_iteratorIiNS6_11use_defaultESE_EENS6_10device_ptrIiEENSG_IlEEPmS8_NS6_8equal_toIiEEEE10hipError_tPvRmT2_T3_mT4_T5_T6_T7_T8_P12ihipStream_tbENKUlT_T0_E_clISt17integral_constantIbLb1EES13_EEDaSY_SZ_EUlSY_E_NS1_11comp_targetILNS1_3genE2ELNS1_11target_archE906ELNS1_3gpuE6ELNS1_3repE0EEENS1_30default_config_static_selectorELNS0_4arch9wavefront6targetE1EEEvT1_
	.globl	_ZN7rocprim17ROCPRIM_400000_NS6detail17trampoline_kernelINS0_14default_configENS1_29reduce_by_key_config_selectorIilN6thrust23THRUST_200600_302600_NS4plusIlEEEEZZNS1_33reduce_by_key_impl_wrapped_configILNS1_25lookback_scan_determinismE0ES3_S9_PiNS6_17constant_iteratorIiNS6_11use_defaultESE_EENS6_10device_ptrIiEENSG_IlEEPmS8_NS6_8equal_toIiEEEE10hipError_tPvRmT2_T3_mT4_T5_T6_T7_T8_P12ihipStream_tbENKUlT_T0_E_clISt17integral_constantIbLb1EES13_EEDaSY_SZ_EUlSY_E_NS1_11comp_targetILNS1_3genE2ELNS1_11target_archE906ELNS1_3gpuE6ELNS1_3repE0EEENS1_30default_config_static_selectorELNS0_4arch9wavefront6targetE1EEEvT1_
	.p2align	8
	.type	_ZN7rocprim17ROCPRIM_400000_NS6detail17trampoline_kernelINS0_14default_configENS1_29reduce_by_key_config_selectorIilN6thrust23THRUST_200600_302600_NS4plusIlEEEEZZNS1_33reduce_by_key_impl_wrapped_configILNS1_25lookback_scan_determinismE0ES3_S9_PiNS6_17constant_iteratorIiNS6_11use_defaultESE_EENS6_10device_ptrIiEENSG_IlEEPmS8_NS6_8equal_toIiEEEE10hipError_tPvRmT2_T3_mT4_T5_T6_T7_T8_P12ihipStream_tbENKUlT_T0_E_clISt17integral_constantIbLb1EES13_EEDaSY_SZ_EUlSY_E_NS1_11comp_targetILNS1_3genE2ELNS1_11target_archE906ELNS1_3gpuE6ELNS1_3repE0EEENS1_30default_config_static_selectorELNS0_4arch9wavefront6targetE1EEEvT1_,@function
_ZN7rocprim17ROCPRIM_400000_NS6detail17trampoline_kernelINS0_14default_configENS1_29reduce_by_key_config_selectorIilN6thrust23THRUST_200600_302600_NS4plusIlEEEEZZNS1_33reduce_by_key_impl_wrapped_configILNS1_25lookback_scan_determinismE0ES3_S9_PiNS6_17constant_iteratorIiNS6_11use_defaultESE_EENS6_10device_ptrIiEENSG_IlEEPmS8_NS6_8equal_toIiEEEE10hipError_tPvRmT2_T3_mT4_T5_T6_T7_T8_P12ihipStream_tbENKUlT_T0_E_clISt17integral_constantIbLb1EES13_EEDaSY_SZ_EUlSY_E_NS1_11comp_targetILNS1_3genE2ELNS1_11target_archE906ELNS1_3gpuE6ELNS1_3repE0EEENS1_30default_config_static_selectorELNS0_4arch9wavefront6targetE1EEEvT1_: ; @_ZN7rocprim17ROCPRIM_400000_NS6detail17trampoline_kernelINS0_14default_configENS1_29reduce_by_key_config_selectorIilN6thrust23THRUST_200600_302600_NS4plusIlEEEEZZNS1_33reduce_by_key_impl_wrapped_configILNS1_25lookback_scan_determinismE0ES3_S9_PiNS6_17constant_iteratorIiNS6_11use_defaultESE_EENS6_10device_ptrIiEENSG_IlEEPmS8_NS6_8equal_toIiEEEE10hipError_tPvRmT2_T3_mT4_T5_T6_T7_T8_P12ihipStream_tbENKUlT_T0_E_clISt17integral_constantIbLb1EES13_EEDaSY_SZ_EUlSY_E_NS1_11comp_targetILNS1_3genE2ELNS1_11target_archE906ELNS1_3gpuE6ELNS1_3repE0EEENS1_30default_config_static_selectorELNS0_4arch9wavefront6targetE1EEEvT1_
; %bb.0:
	.section	.rodata,"a",@progbits
	.p2align	6, 0x0
	.amdhsa_kernel _ZN7rocprim17ROCPRIM_400000_NS6detail17trampoline_kernelINS0_14default_configENS1_29reduce_by_key_config_selectorIilN6thrust23THRUST_200600_302600_NS4plusIlEEEEZZNS1_33reduce_by_key_impl_wrapped_configILNS1_25lookback_scan_determinismE0ES3_S9_PiNS6_17constant_iteratorIiNS6_11use_defaultESE_EENS6_10device_ptrIiEENSG_IlEEPmS8_NS6_8equal_toIiEEEE10hipError_tPvRmT2_T3_mT4_T5_T6_T7_T8_P12ihipStream_tbENKUlT_T0_E_clISt17integral_constantIbLb1EES13_EEDaSY_SZ_EUlSY_E_NS1_11comp_targetILNS1_3genE2ELNS1_11target_archE906ELNS1_3gpuE6ELNS1_3repE0EEENS1_30default_config_static_selectorELNS0_4arch9wavefront6targetE1EEEvT1_
		.amdhsa_group_segment_fixed_size 0
		.amdhsa_private_segment_fixed_size 0
		.amdhsa_kernarg_size 144
		.amdhsa_user_sgpr_count 6
		.amdhsa_user_sgpr_private_segment_buffer 1
		.amdhsa_user_sgpr_dispatch_ptr 0
		.amdhsa_user_sgpr_queue_ptr 0
		.amdhsa_user_sgpr_kernarg_segment_ptr 1
		.amdhsa_user_sgpr_dispatch_id 0
		.amdhsa_user_sgpr_flat_scratch_init 0
		.amdhsa_user_sgpr_kernarg_preload_length 0
		.amdhsa_user_sgpr_kernarg_preload_offset 0
		.amdhsa_user_sgpr_private_segment_size 0
		.amdhsa_uses_dynamic_stack 0
		.amdhsa_system_sgpr_private_segment_wavefront_offset 0
		.amdhsa_system_sgpr_workgroup_id_x 1
		.amdhsa_system_sgpr_workgroup_id_y 0
		.amdhsa_system_sgpr_workgroup_id_z 0
		.amdhsa_system_sgpr_workgroup_info 0
		.amdhsa_system_vgpr_workitem_id 0
		.amdhsa_next_free_vgpr 1
		.amdhsa_next_free_sgpr 0
		.amdhsa_accum_offset 4
		.amdhsa_reserve_vcc 0
		.amdhsa_reserve_flat_scratch 0
		.amdhsa_float_round_mode_32 0
		.amdhsa_float_round_mode_16_64 0
		.amdhsa_float_denorm_mode_32 3
		.amdhsa_float_denorm_mode_16_64 3
		.amdhsa_dx10_clamp 1
		.amdhsa_ieee_mode 1
		.amdhsa_fp16_overflow 0
		.amdhsa_tg_split 0
		.amdhsa_exception_fp_ieee_invalid_op 0
		.amdhsa_exception_fp_denorm_src 0
		.amdhsa_exception_fp_ieee_div_zero 0
		.amdhsa_exception_fp_ieee_overflow 0
		.amdhsa_exception_fp_ieee_underflow 0
		.amdhsa_exception_fp_ieee_inexact 0
		.amdhsa_exception_int_div_zero 0
	.end_amdhsa_kernel
	.section	.text._ZN7rocprim17ROCPRIM_400000_NS6detail17trampoline_kernelINS0_14default_configENS1_29reduce_by_key_config_selectorIilN6thrust23THRUST_200600_302600_NS4plusIlEEEEZZNS1_33reduce_by_key_impl_wrapped_configILNS1_25lookback_scan_determinismE0ES3_S9_PiNS6_17constant_iteratorIiNS6_11use_defaultESE_EENS6_10device_ptrIiEENSG_IlEEPmS8_NS6_8equal_toIiEEEE10hipError_tPvRmT2_T3_mT4_T5_T6_T7_T8_P12ihipStream_tbENKUlT_T0_E_clISt17integral_constantIbLb1EES13_EEDaSY_SZ_EUlSY_E_NS1_11comp_targetILNS1_3genE2ELNS1_11target_archE906ELNS1_3gpuE6ELNS1_3repE0EEENS1_30default_config_static_selectorELNS0_4arch9wavefront6targetE1EEEvT1_,"axG",@progbits,_ZN7rocprim17ROCPRIM_400000_NS6detail17trampoline_kernelINS0_14default_configENS1_29reduce_by_key_config_selectorIilN6thrust23THRUST_200600_302600_NS4plusIlEEEEZZNS1_33reduce_by_key_impl_wrapped_configILNS1_25lookback_scan_determinismE0ES3_S9_PiNS6_17constant_iteratorIiNS6_11use_defaultESE_EENS6_10device_ptrIiEENSG_IlEEPmS8_NS6_8equal_toIiEEEE10hipError_tPvRmT2_T3_mT4_T5_T6_T7_T8_P12ihipStream_tbENKUlT_T0_E_clISt17integral_constantIbLb1EES13_EEDaSY_SZ_EUlSY_E_NS1_11comp_targetILNS1_3genE2ELNS1_11target_archE906ELNS1_3gpuE6ELNS1_3repE0EEENS1_30default_config_static_selectorELNS0_4arch9wavefront6targetE1EEEvT1_,comdat
.Lfunc_end951:
	.size	_ZN7rocprim17ROCPRIM_400000_NS6detail17trampoline_kernelINS0_14default_configENS1_29reduce_by_key_config_selectorIilN6thrust23THRUST_200600_302600_NS4plusIlEEEEZZNS1_33reduce_by_key_impl_wrapped_configILNS1_25lookback_scan_determinismE0ES3_S9_PiNS6_17constant_iteratorIiNS6_11use_defaultESE_EENS6_10device_ptrIiEENSG_IlEEPmS8_NS6_8equal_toIiEEEE10hipError_tPvRmT2_T3_mT4_T5_T6_T7_T8_P12ihipStream_tbENKUlT_T0_E_clISt17integral_constantIbLb1EES13_EEDaSY_SZ_EUlSY_E_NS1_11comp_targetILNS1_3genE2ELNS1_11target_archE906ELNS1_3gpuE6ELNS1_3repE0EEENS1_30default_config_static_selectorELNS0_4arch9wavefront6targetE1EEEvT1_, .Lfunc_end951-_ZN7rocprim17ROCPRIM_400000_NS6detail17trampoline_kernelINS0_14default_configENS1_29reduce_by_key_config_selectorIilN6thrust23THRUST_200600_302600_NS4plusIlEEEEZZNS1_33reduce_by_key_impl_wrapped_configILNS1_25lookback_scan_determinismE0ES3_S9_PiNS6_17constant_iteratorIiNS6_11use_defaultESE_EENS6_10device_ptrIiEENSG_IlEEPmS8_NS6_8equal_toIiEEEE10hipError_tPvRmT2_T3_mT4_T5_T6_T7_T8_P12ihipStream_tbENKUlT_T0_E_clISt17integral_constantIbLb1EES13_EEDaSY_SZ_EUlSY_E_NS1_11comp_targetILNS1_3genE2ELNS1_11target_archE906ELNS1_3gpuE6ELNS1_3repE0EEENS1_30default_config_static_selectorELNS0_4arch9wavefront6targetE1EEEvT1_
                                        ; -- End function
	.section	.AMDGPU.csdata,"",@progbits
; Kernel info:
; codeLenInByte = 0
; NumSgprs: 4
; NumVgprs: 0
; NumAgprs: 0
; TotalNumVgprs: 0
; ScratchSize: 0
; MemoryBound: 0
; FloatMode: 240
; IeeeMode: 1
; LDSByteSize: 0 bytes/workgroup (compile time only)
; SGPRBlocks: 0
; VGPRBlocks: 0
; NumSGPRsForWavesPerEU: 4
; NumVGPRsForWavesPerEU: 1
; AccumOffset: 4
; Occupancy: 8
; WaveLimiterHint : 0
; COMPUTE_PGM_RSRC2:SCRATCH_EN: 0
; COMPUTE_PGM_RSRC2:USER_SGPR: 6
; COMPUTE_PGM_RSRC2:TRAP_HANDLER: 0
; COMPUTE_PGM_RSRC2:TGID_X_EN: 1
; COMPUTE_PGM_RSRC2:TGID_Y_EN: 0
; COMPUTE_PGM_RSRC2:TGID_Z_EN: 0
; COMPUTE_PGM_RSRC2:TIDIG_COMP_CNT: 0
; COMPUTE_PGM_RSRC3_GFX90A:ACCUM_OFFSET: 0
; COMPUTE_PGM_RSRC3_GFX90A:TG_SPLIT: 0
	.section	.text._ZN7rocprim17ROCPRIM_400000_NS6detail17trampoline_kernelINS0_14default_configENS1_29reduce_by_key_config_selectorIilN6thrust23THRUST_200600_302600_NS4plusIlEEEEZZNS1_33reduce_by_key_impl_wrapped_configILNS1_25lookback_scan_determinismE0ES3_S9_PiNS6_17constant_iteratorIiNS6_11use_defaultESE_EENS6_10device_ptrIiEENSG_IlEEPmS8_NS6_8equal_toIiEEEE10hipError_tPvRmT2_T3_mT4_T5_T6_T7_T8_P12ihipStream_tbENKUlT_T0_E_clISt17integral_constantIbLb1EES13_EEDaSY_SZ_EUlSY_E_NS1_11comp_targetILNS1_3genE10ELNS1_11target_archE1201ELNS1_3gpuE5ELNS1_3repE0EEENS1_30default_config_static_selectorELNS0_4arch9wavefront6targetE1EEEvT1_,"axG",@progbits,_ZN7rocprim17ROCPRIM_400000_NS6detail17trampoline_kernelINS0_14default_configENS1_29reduce_by_key_config_selectorIilN6thrust23THRUST_200600_302600_NS4plusIlEEEEZZNS1_33reduce_by_key_impl_wrapped_configILNS1_25lookback_scan_determinismE0ES3_S9_PiNS6_17constant_iteratorIiNS6_11use_defaultESE_EENS6_10device_ptrIiEENSG_IlEEPmS8_NS6_8equal_toIiEEEE10hipError_tPvRmT2_T3_mT4_T5_T6_T7_T8_P12ihipStream_tbENKUlT_T0_E_clISt17integral_constantIbLb1EES13_EEDaSY_SZ_EUlSY_E_NS1_11comp_targetILNS1_3genE10ELNS1_11target_archE1201ELNS1_3gpuE5ELNS1_3repE0EEENS1_30default_config_static_selectorELNS0_4arch9wavefront6targetE1EEEvT1_,comdat
	.protected	_ZN7rocprim17ROCPRIM_400000_NS6detail17trampoline_kernelINS0_14default_configENS1_29reduce_by_key_config_selectorIilN6thrust23THRUST_200600_302600_NS4plusIlEEEEZZNS1_33reduce_by_key_impl_wrapped_configILNS1_25lookback_scan_determinismE0ES3_S9_PiNS6_17constant_iteratorIiNS6_11use_defaultESE_EENS6_10device_ptrIiEENSG_IlEEPmS8_NS6_8equal_toIiEEEE10hipError_tPvRmT2_T3_mT4_T5_T6_T7_T8_P12ihipStream_tbENKUlT_T0_E_clISt17integral_constantIbLb1EES13_EEDaSY_SZ_EUlSY_E_NS1_11comp_targetILNS1_3genE10ELNS1_11target_archE1201ELNS1_3gpuE5ELNS1_3repE0EEENS1_30default_config_static_selectorELNS0_4arch9wavefront6targetE1EEEvT1_ ; -- Begin function _ZN7rocprim17ROCPRIM_400000_NS6detail17trampoline_kernelINS0_14default_configENS1_29reduce_by_key_config_selectorIilN6thrust23THRUST_200600_302600_NS4plusIlEEEEZZNS1_33reduce_by_key_impl_wrapped_configILNS1_25lookback_scan_determinismE0ES3_S9_PiNS6_17constant_iteratorIiNS6_11use_defaultESE_EENS6_10device_ptrIiEENSG_IlEEPmS8_NS6_8equal_toIiEEEE10hipError_tPvRmT2_T3_mT4_T5_T6_T7_T8_P12ihipStream_tbENKUlT_T0_E_clISt17integral_constantIbLb1EES13_EEDaSY_SZ_EUlSY_E_NS1_11comp_targetILNS1_3genE10ELNS1_11target_archE1201ELNS1_3gpuE5ELNS1_3repE0EEENS1_30default_config_static_selectorELNS0_4arch9wavefront6targetE1EEEvT1_
	.globl	_ZN7rocprim17ROCPRIM_400000_NS6detail17trampoline_kernelINS0_14default_configENS1_29reduce_by_key_config_selectorIilN6thrust23THRUST_200600_302600_NS4plusIlEEEEZZNS1_33reduce_by_key_impl_wrapped_configILNS1_25lookback_scan_determinismE0ES3_S9_PiNS6_17constant_iteratorIiNS6_11use_defaultESE_EENS6_10device_ptrIiEENSG_IlEEPmS8_NS6_8equal_toIiEEEE10hipError_tPvRmT2_T3_mT4_T5_T6_T7_T8_P12ihipStream_tbENKUlT_T0_E_clISt17integral_constantIbLb1EES13_EEDaSY_SZ_EUlSY_E_NS1_11comp_targetILNS1_3genE10ELNS1_11target_archE1201ELNS1_3gpuE5ELNS1_3repE0EEENS1_30default_config_static_selectorELNS0_4arch9wavefront6targetE1EEEvT1_
	.p2align	8
	.type	_ZN7rocprim17ROCPRIM_400000_NS6detail17trampoline_kernelINS0_14default_configENS1_29reduce_by_key_config_selectorIilN6thrust23THRUST_200600_302600_NS4plusIlEEEEZZNS1_33reduce_by_key_impl_wrapped_configILNS1_25lookback_scan_determinismE0ES3_S9_PiNS6_17constant_iteratorIiNS6_11use_defaultESE_EENS6_10device_ptrIiEENSG_IlEEPmS8_NS6_8equal_toIiEEEE10hipError_tPvRmT2_T3_mT4_T5_T6_T7_T8_P12ihipStream_tbENKUlT_T0_E_clISt17integral_constantIbLb1EES13_EEDaSY_SZ_EUlSY_E_NS1_11comp_targetILNS1_3genE10ELNS1_11target_archE1201ELNS1_3gpuE5ELNS1_3repE0EEENS1_30default_config_static_selectorELNS0_4arch9wavefront6targetE1EEEvT1_,@function
_ZN7rocprim17ROCPRIM_400000_NS6detail17trampoline_kernelINS0_14default_configENS1_29reduce_by_key_config_selectorIilN6thrust23THRUST_200600_302600_NS4plusIlEEEEZZNS1_33reduce_by_key_impl_wrapped_configILNS1_25lookback_scan_determinismE0ES3_S9_PiNS6_17constant_iteratorIiNS6_11use_defaultESE_EENS6_10device_ptrIiEENSG_IlEEPmS8_NS6_8equal_toIiEEEE10hipError_tPvRmT2_T3_mT4_T5_T6_T7_T8_P12ihipStream_tbENKUlT_T0_E_clISt17integral_constantIbLb1EES13_EEDaSY_SZ_EUlSY_E_NS1_11comp_targetILNS1_3genE10ELNS1_11target_archE1201ELNS1_3gpuE5ELNS1_3repE0EEENS1_30default_config_static_selectorELNS0_4arch9wavefront6targetE1EEEvT1_: ; @_ZN7rocprim17ROCPRIM_400000_NS6detail17trampoline_kernelINS0_14default_configENS1_29reduce_by_key_config_selectorIilN6thrust23THRUST_200600_302600_NS4plusIlEEEEZZNS1_33reduce_by_key_impl_wrapped_configILNS1_25lookback_scan_determinismE0ES3_S9_PiNS6_17constant_iteratorIiNS6_11use_defaultESE_EENS6_10device_ptrIiEENSG_IlEEPmS8_NS6_8equal_toIiEEEE10hipError_tPvRmT2_T3_mT4_T5_T6_T7_T8_P12ihipStream_tbENKUlT_T0_E_clISt17integral_constantIbLb1EES13_EEDaSY_SZ_EUlSY_E_NS1_11comp_targetILNS1_3genE10ELNS1_11target_archE1201ELNS1_3gpuE5ELNS1_3repE0EEENS1_30default_config_static_selectorELNS0_4arch9wavefront6targetE1EEEvT1_
; %bb.0:
	.section	.rodata,"a",@progbits
	.p2align	6, 0x0
	.amdhsa_kernel _ZN7rocprim17ROCPRIM_400000_NS6detail17trampoline_kernelINS0_14default_configENS1_29reduce_by_key_config_selectorIilN6thrust23THRUST_200600_302600_NS4plusIlEEEEZZNS1_33reduce_by_key_impl_wrapped_configILNS1_25lookback_scan_determinismE0ES3_S9_PiNS6_17constant_iteratorIiNS6_11use_defaultESE_EENS6_10device_ptrIiEENSG_IlEEPmS8_NS6_8equal_toIiEEEE10hipError_tPvRmT2_T3_mT4_T5_T6_T7_T8_P12ihipStream_tbENKUlT_T0_E_clISt17integral_constantIbLb1EES13_EEDaSY_SZ_EUlSY_E_NS1_11comp_targetILNS1_3genE10ELNS1_11target_archE1201ELNS1_3gpuE5ELNS1_3repE0EEENS1_30default_config_static_selectorELNS0_4arch9wavefront6targetE1EEEvT1_
		.amdhsa_group_segment_fixed_size 0
		.amdhsa_private_segment_fixed_size 0
		.amdhsa_kernarg_size 144
		.amdhsa_user_sgpr_count 6
		.amdhsa_user_sgpr_private_segment_buffer 1
		.amdhsa_user_sgpr_dispatch_ptr 0
		.amdhsa_user_sgpr_queue_ptr 0
		.amdhsa_user_sgpr_kernarg_segment_ptr 1
		.amdhsa_user_sgpr_dispatch_id 0
		.amdhsa_user_sgpr_flat_scratch_init 0
		.amdhsa_user_sgpr_kernarg_preload_length 0
		.amdhsa_user_sgpr_kernarg_preload_offset 0
		.amdhsa_user_sgpr_private_segment_size 0
		.amdhsa_uses_dynamic_stack 0
		.amdhsa_system_sgpr_private_segment_wavefront_offset 0
		.amdhsa_system_sgpr_workgroup_id_x 1
		.amdhsa_system_sgpr_workgroup_id_y 0
		.amdhsa_system_sgpr_workgroup_id_z 0
		.amdhsa_system_sgpr_workgroup_info 0
		.amdhsa_system_vgpr_workitem_id 0
		.amdhsa_next_free_vgpr 1
		.amdhsa_next_free_sgpr 0
		.amdhsa_accum_offset 4
		.amdhsa_reserve_vcc 0
		.amdhsa_reserve_flat_scratch 0
		.amdhsa_float_round_mode_32 0
		.amdhsa_float_round_mode_16_64 0
		.amdhsa_float_denorm_mode_32 3
		.amdhsa_float_denorm_mode_16_64 3
		.amdhsa_dx10_clamp 1
		.amdhsa_ieee_mode 1
		.amdhsa_fp16_overflow 0
		.amdhsa_tg_split 0
		.amdhsa_exception_fp_ieee_invalid_op 0
		.amdhsa_exception_fp_denorm_src 0
		.amdhsa_exception_fp_ieee_div_zero 0
		.amdhsa_exception_fp_ieee_overflow 0
		.amdhsa_exception_fp_ieee_underflow 0
		.amdhsa_exception_fp_ieee_inexact 0
		.amdhsa_exception_int_div_zero 0
	.end_amdhsa_kernel
	.section	.text._ZN7rocprim17ROCPRIM_400000_NS6detail17trampoline_kernelINS0_14default_configENS1_29reduce_by_key_config_selectorIilN6thrust23THRUST_200600_302600_NS4plusIlEEEEZZNS1_33reduce_by_key_impl_wrapped_configILNS1_25lookback_scan_determinismE0ES3_S9_PiNS6_17constant_iteratorIiNS6_11use_defaultESE_EENS6_10device_ptrIiEENSG_IlEEPmS8_NS6_8equal_toIiEEEE10hipError_tPvRmT2_T3_mT4_T5_T6_T7_T8_P12ihipStream_tbENKUlT_T0_E_clISt17integral_constantIbLb1EES13_EEDaSY_SZ_EUlSY_E_NS1_11comp_targetILNS1_3genE10ELNS1_11target_archE1201ELNS1_3gpuE5ELNS1_3repE0EEENS1_30default_config_static_selectorELNS0_4arch9wavefront6targetE1EEEvT1_,"axG",@progbits,_ZN7rocprim17ROCPRIM_400000_NS6detail17trampoline_kernelINS0_14default_configENS1_29reduce_by_key_config_selectorIilN6thrust23THRUST_200600_302600_NS4plusIlEEEEZZNS1_33reduce_by_key_impl_wrapped_configILNS1_25lookback_scan_determinismE0ES3_S9_PiNS6_17constant_iteratorIiNS6_11use_defaultESE_EENS6_10device_ptrIiEENSG_IlEEPmS8_NS6_8equal_toIiEEEE10hipError_tPvRmT2_T3_mT4_T5_T6_T7_T8_P12ihipStream_tbENKUlT_T0_E_clISt17integral_constantIbLb1EES13_EEDaSY_SZ_EUlSY_E_NS1_11comp_targetILNS1_3genE10ELNS1_11target_archE1201ELNS1_3gpuE5ELNS1_3repE0EEENS1_30default_config_static_selectorELNS0_4arch9wavefront6targetE1EEEvT1_,comdat
.Lfunc_end952:
	.size	_ZN7rocprim17ROCPRIM_400000_NS6detail17trampoline_kernelINS0_14default_configENS1_29reduce_by_key_config_selectorIilN6thrust23THRUST_200600_302600_NS4plusIlEEEEZZNS1_33reduce_by_key_impl_wrapped_configILNS1_25lookback_scan_determinismE0ES3_S9_PiNS6_17constant_iteratorIiNS6_11use_defaultESE_EENS6_10device_ptrIiEENSG_IlEEPmS8_NS6_8equal_toIiEEEE10hipError_tPvRmT2_T3_mT4_T5_T6_T7_T8_P12ihipStream_tbENKUlT_T0_E_clISt17integral_constantIbLb1EES13_EEDaSY_SZ_EUlSY_E_NS1_11comp_targetILNS1_3genE10ELNS1_11target_archE1201ELNS1_3gpuE5ELNS1_3repE0EEENS1_30default_config_static_selectorELNS0_4arch9wavefront6targetE1EEEvT1_, .Lfunc_end952-_ZN7rocprim17ROCPRIM_400000_NS6detail17trampoline_kernelINS0_14default_configENS1_29reduce_by_key_config_selectorIilN6thrust23THRUST_200600_302600_NS4plusIlEEEEZZNS1_33reduce_by_key_impl_wrapped_configILNS1_25lookback_scan_determinismE0ES3_S9_PiNS6_17constant_iteratorIiNS6_11use_defaultESE_EENS6_10device_ptrIiEENSG_IlEEPmS8_NS6_8equal_toIiEEEE10hipError_tPvRmT2_T3_mT4_T5_T6_T7_T8_P12ihipStream_tbENKUlT_T0_E_clISt17integral_constantIbLb1EES13_EEDaSY_SZ_EUlSY_E_NS1_11comp_targetILNS1_3genE10ELNS1_11target_archE1201ELNS1_3gpuE5ELNS1_3repE0EEENS1_30default_config_static_selectorELNS0_4arch9wavefront6targetE1EEEvT1_
                                        ; -- End function
	.section	.AMDGPU.csdata,"",@progbits
; Kernel info:
; codeLenInByte = 0
; NumSgprs: 4
; NumVgprs: 0
; NumAgprs: 0
; TotalNumVgprs: 0
; ScratchSize: 0
; MemoryBound: 0
; FloatMode: 240
; IeeeMode: 1
; LDSByteSize: 0 bytes/workgroup (compile time only)
; SGPRBlocks: 0
; VGPRBlocks: 0
; NumSGPRsForWavesPerEU: 4
; NumVGPRsForWavesPerEU: 1
; AccumOffset: 4
; Occupancy: 8
; WaveLimiterHint : 0
; COMPUTE_PGM_RSRC2:SCRATCH_EN: 0
; COMPUTE_PGM_RSRC2:USER_SGPR: 6
; COMPUTE_PGM_RSRC2:TRAP_HANDLER: 0
; COMPUTE_PGM_RSRC2:TGID_X_EN: 1
; COMPUTE_PGM_RSRC2:TGID_Y_EN: 0
; COMPUTE_PGM_RSRC2:TGID_Z_EN: 0
; COMPUTE_PGM_RSRC2:TIDIG_COMP_CNT: 0
; COMPUTE_PGM_RSRC3_GFX90A:ACCUM_OFFSET: 0
; COMPUTE_PGM_RSRC3_GFX90A:TG_SPLIT: 0
	.section	.text._ZN7rocprim17ROCPRIM_400000_NS6detail17trampoline_kernelINS0_14default_configENS1_29reduce_by_key_config_selectorIilN6thrust23THRUST_200600_302600_NS4plusIlEEEEZZNS1_33reduce_by_key_impl_wrapped_configILNS1_25lookback_scan_determinismE0ES3_S9_PiNS6_17constant_iteratorIiNS6_11use_defaultESE_EENS6_10device_ptrIiEENSG_IlEEPmS8_NS6_8equal_toIiEEEE10hipError_tPvRmT2_T3_mT4_T5_T6_T7_T8_P12ihipStream_tbENKUlT_T0_E_clISt17integral_constantIbLb1EES13_EEDaSY_SZ_EUlSY_E_NS1_11comp_targetILNS1_3genE10ELNS1_11target_archE1200ELNS1_3gpuE4ELNS1_3repE0EEENS1_30default_config_static_selectorELNS0_4arch9wavefront6targetE1EEEvT1_,"axG",@progbits,_ZN7rocprim17ROCPRIM_400000_NS6detail17trampoline_kernelINS0_14default_configENS1_29reduce_by_key_config_selectorIilN6thrust23THRUST_200600_302600_NS4plusIlEEEEZZNS1_33reduce_by_key_impl_wrapped_configILNS1_25lookback_scan_determinismE0ES3_S9_PiNS6_17constant_iteratorIiNS6_11use_defaultESE_EENS6_10device_ptrIiEENSG_IlEEPmS8_NS6_8equal_toIiEEEE10hipError_tPvRmT2_T3_mT4_T5_T6_T7_T8_P12ihipStream_tbENKUlT_T0_E_clISt17integral_constantIbLb1EES13_EEDaSY_SZ_EUlSY_E_NS1_11comp_targetILNS1_3genE10ELNS1_11target_archE1200ELNS1_3gpuE4ELNS1_3repE0EEENS1_30default_config_static_selectorELNS0_4arch9wavefront6targetE1EEEvT1_,comdat
	.protected	_ZN7rocprim17ROCPRIM_400000_NS6detail17trampoline_kernelINS0_14default_configENS1_29reduce_by_key_config_selectorIilN6thrust23THRUST_200600_302600_NS4plusIlEEEEZZNS1_33reduce_by_key_impl_wrapped_configILNS1_25lookback_scan_determinismE0ES3_S9_PiNS6_17constant_iteratorIiNS6_11use_defaultESE_EENS6_10device_ptrIiEENSG_IlEEPmS8_NS6_8equal_toIiEEEE10hipError_tPvRmT2_T3_mT4_T5_T6_T7_T8_P12ihipStream_tbENKUlT_T0_E_clISt17integral_constantIbLb1EES13_EEDaSY_SZ_EUlSY_E_NS1_11comp_targetILNS1_3genE10ELNS1_11target_archE1200ELNS1_3gpuE4ELNS1_3repE0EEENS1_30default_config_static_selectorELNS0_4arch9wavefront6targetE1EEEvT1_ ; -- Begin function _ZN7rocprim17ROCPRIM_400000_NS6detail17trampoline_kernelINS0_14default_configENS1_29reduce_by_key_config_selectorIilN6thrust23THRUST_200600_302600_NS4plusIlEEEEZZNS1_33reduce_by_key_impl_wrapped_configILNS1_25lookback_scan_determinismE0ES3_S9_PiNS6_17constant_iteratorIiNS6_11use_defaultESE_EENS6_10device_ptrIiEENSG_IlEEPmS8_NS6_8equal_toIiEEEE10hipError_tPvRmT2_T3_mT4_T5_T6_T7_T8_P12ihipStream_tbENKUlT_T0_E_clISt17integral_constantIbLb1EES13_EEDaSY_SZ_EUlSY_E_NS1_11comp_targetILNS1_3genE10ELNS1_11target_archE1200ELNS1_3gpuE4ELNS1_3repE0EEENS1_30default_config_static_selectorELNS0_4arch9wavefront6targetE1EEEvT1_
	.globl	_ZN7rocprim17ROCPRIM_400000_NS6detail17trampoline_kernelINS0_14default_configENS1_29reduce_by_key_config_selectorIilN6thrust23THRUST_200600_302600_NS4plusIlEEEEZZNS1_33reduce_by_key_impl_wrapped_configILNS1_25lookback_scan_determinismE0ES3_S9_PiNS6_17constant_iteratorIiNS6_11use_defaultESE_EENS6_10device_ptrIiEENSG_IlEEPmS8_NS6_8equal_toIiEEEE10hipError_tPvRmT2_T3_mT4_T5_T6_T7_T8_P12ihipStream_tbENKUlT_T0_E_clISt17integral_constantIbLb1EES13_EEDaSY_SZ_EUlSY_E_NS1_11comp_targetILNS1_3genE10ELNS1_11target_archE1200ELNS1_3gpuE4ELNS1_3repE0EEENS1_30default_config_static_selectorELNS0_4arch9wavefront6targetE1EEEvT1_
	.p2align	8
	.type	_ZN7rocprim17ROCPRIM_400000_NS6detail17trampoline_kernelINS0_14default_configENS1_29reduce_by_key_config_selectorIilN6thrust23THRUST_200600_302600_NS4plusIlEEEEZZNS1_33reduce_by_key_impl_wrapped_configILNS1_25lookback_scan_determinismE0ES3_S9_PiNS6_17constant_iteratorIiNS6_11use_defaultESE_EENS6_10device_ptrIiEENSG_IlEEPmS8_NS6_8equal_toIiEEEE10hipError_tPvRmT2_T3_mT4_T5_T6_T7_T8_P12ihipStream_tbENKUlT_T0_E_clISt17integral_constantIbLb1EES13_EEDaSY_SZ_EUlSY_E_NS1_11comp_targetILNS1_3genE10ELNS1_11target_archE1200ELNS1_3gpuE4ELNS1_3repE0EEENS1_30default_config_static_selectorELNS0_4arch9wavefront6targetE1EEEvT1_,@function
_ZN7rocprim17ROCPRIM_400000_NS6detail17trampoline_kernelINS0_14default_configENS1_29reduce_by_key_config_selectorIilN6thrust23THRUST_200600_302600_NS4plusIlEEEEZZNS1_33reduce_by_key_impl_wrapped_configILNS1_25lookback_scan_determinismE0ES3_S9_PiNS6_17constant_iteratorIiNS6_11use_defaultESE_EENS6_10device_ptrIiEENSG_IlEEPmS8_NS6_8equal_toIiEEEE10hipError_tPvRmT2_T3_mT4_T5_T6_T7_T8_P12ihipStream_tbENKUlT_T0_E_clISt17integral_constantIbLb1EES13_EEDaSY_SZ_EUlSY_E_NS1_11comp_targetILNS1_3genE10ELNS1_11target_archE1200ELNS1_3gpuE4ELNS1_3repE0EEENS1_30default_config_static_selectorELNS0_4arch9wavefront6targetE1EEEvT1_: ; @_ZN7rocprim17ROCPRIM_400000_NS6detail17trampoline_kernelINS0_14default_configENS1_29reduce_by_key_config_selectorIilN6thrust23THRUST_200600_302600_NS4plusIlEEEEZZNS1_33reduce_by_key_impl_wrapped_configILNS1_25lookback_scan_determinismE0ES3_S9_PiNS6_17constant_iteratorIiNS6_11use_defaultESE_EENS6_10device_ptrIiEENSG_IlEEPmS8_NS6_8equal_toIiEEEE10hipError_tPvRmT2_T3_mT4_T5_T6_T7_T8_P12ihipStream_tbENKUlT_T0_E_clISt17integral_constantIbLb1EES13_EEDaSY_SZ_EUlSY_E_NS1_11comp_targetILNS1_3genE10ELNS1_11target_archE1200ELNS1_3gpuE4ELNS1_3repE0EEENS1_30default_config_static_selectorELNS0_4arch9wavefront6targetE1EEEvT1_
; %bb.0:
	.section	.rodata,"a",@progbits
	.p2align	6, 0x0
	.amdhsa_kernel _ZN7rocprim17ROCPRIM_400000_NS6detail17trampoline_kernelINS0_14default_configENS1_29reduce_by_key_config_selectorIilN6thrust23THRUST_200600_302600_NS4plusIlEEEEZZNS1_33reduce_by_key_impl_wrapped_configILNS1_25lookback_scan_determinismE0ES3_S9_PiNS6_17constant_iteratorIiNS6_11use_defaultESE_EENS6_10device_ptrIiEENSG_IlEEPmS8_NS6_8equal_toIiEEEE10hipError_tPvRmT2_T3_mT4_T5_T6_T7_T8_P12ihipStream_tbENKUlT_T0_E_clISt17integral_constantIbLb1EES13_EEDaSY_SZ_EUlSY_E_NS1_11comp_targetILNS1_3genE10ELNS1_11target_archE1200ELNS1_3gpuE4ELNS1_3repE0EEENS1_30default_config_static_selectorELNS0_4arch9wavefront6targetE1EEEvT1_
		.amdhsa_group_segment_fixed_size 0
		.amdhsa_private_segment_fixed_size 0
		.amdhsa_kernarg_size 144
		.amdhsa_user_sgpr_count 6
		.amdhsa_user_sgpr_private_segment_buffer 1
		.amdhsa_user_sgpr_dispatch_ptr 0
		.amdhsa_user_sgpr_queue_ptr 0
		.amdhsa_user_sgpr_kernarg_segment_ptr 1
		.amdhsa_user_sgpr_dispatch_id 0
		.amdhsa_user_sgpr_flat_scratch_init 0
		.amdhsa_user_sgpr_kernarg_preload_length 0
		.amdhsa_user_sgpr_kernarg_preload_offset 0
		.amdhsa_user_sgpr_private_segment_size 0
		.amdhsa_uses_dynamic_stack 0
		.amdhsa_system_sgpr_private_segment_wavefront_offset 0
		.amdhsa_system_sgpr_workgroup_id_x 1
		.amdhsa_system_sgpr_workgroup_id_y 0
		.amdhsa_system_sgpr_workgroup_id_z 0
		.amdhsa_system_sgpr_workgroup_info 0
		.amdhsa_system_vgpr_workitem_id 0
		.amdhsa_next_free_vgpr 1
		.amdhsa_next_free_sgpr 0
		.amdhsa_accum_offset 4
		.amdhsa_reserve_vcc 0
		.amdhsa_reserve_flat_scratch 0
		.amdhsa_float_round_mode_32 0
		.amdhsa_float_round_mode_16_64 0
		.amdhsa_float_denorm_mode_32 3
		.amdhsa_float_denorm_mode_16_64 3
		.amdhsa_dx10_clamp 1
		.amdhsa_ieee_mode 1
		.amdhsa_fp16_overflow 0
		.amdhsa_tg_split 0
		.amdhsa_exception_fp_ieee_invalid_op 0
		.amdhsa_exception_fp_denorm_src 0
		.amdhsa_exception_fp_ieee_div_zero 0
		.amdhsa_exception_fp_ieee_overflow 0
		.amdhsa_exception_fp_ieee_underflow 0
		.amdhsa_exception_fp_ieee_inexact 0
		.amdhsa_exception_int_div_zero 0
	.end_amdhsa_kernel
	.section	.text._ZN7rocprim17ROCPRIM_400000_NS6detail17trampoline_kernelINS0_14default_configENS1_29reduce_by_key_config_selectorIilN6thrust23THRUST_200600_302600_NS4plusIlEEEEZZNS1_33reduce_by_key_impl_wrapped_configILNS1_25lookback_scan_determinismE0ES3_S9_PiNS6_17constant_iteratorIiNS6_11use_defaultESE_EENS6_10device_ptrIiEENSG_IlEEPmS8_NS6_8equal_toIiEEEE10hipError_tPvRmT2_T3_mT4_T5_T6_T7_T8_P12ihipStream_tbENKUlT_T0_E_clISt17integral_constantIbLb1EES13_EEDaSY_SZ_EUlSY_E_NS1_11comp_targetILNS1_3genE10ELNS1_11target_archE1200ELNS1_3gpuE4ELNS1_3repE0EEENS1_30default_config_static_selectorELNS0_4arch9wavefront6targetE1EEEvT1_,"axG",@progbits,_ZN7rocprim17ROCPRIM_400000_NS6detail17trampoline_kernelINS0_14default_configENS1_29reduce_by_key_config_selectorIilN6thrust23THRUST_200600_302600_NS4plusIlEEEEZZNS1_33reduce_by_key_impl_wrapped_configILNS1_25lookback_scan_determinismE0ES3_S9_PiNS6_17constant_iteratorIiNS6_11use_defaultESE_EENS6_10device_ptrIiEENSG_IlEEPmS8_NS6_8equal_toIiEEEE10hipError_tPvRmT2_T3_mT4_T5_T6_T7_T8_P12ihipStream_tbENKUlT_T0_E_clISt17integral_constantIbLb1EES13_EEDaSY_SZ_EUlSY_E_NS1_11comp_targetILNS1_3genE10ELNS1_11target_archE1200ELNS1_3gpuE4ELNS1_3repE0EEENS1_30default_config_static_selectorELNS0_4arch9wavefront6targetE1EEEvT1_,comdat
.Lfunc_end953:
	.size	_ZN7rocprim17ROCPRIM_400000_NS6detail17trampoline_kernelINS0_14default_configENS1_29reduce_by_key_config_selectorIilN6thrust23THRUST_200600_302600_NS4plusIlEEEEZZNS1_33reduce_by_key_impl_wrapped_configILNS1_25lookback_scan_determinismE0ES3_S9_PiNS6_17constant_iteratorIiNS6_11use_defaultESE_EENS6_10device_ptrIiEENSG_IlEEPmS8_NS6_8equal_toIiEEEE10hipError_tPvRmT2_T3_mT4_T5_T6_T7_T8_P12ihipStream_tbENKUlT_T0_E_clISt17integral_constantIbLb1EES13_EEDaSY_SZ_EUlSY_E_NS1_11comp_targetILNS1_3genE10ELNS1_11target_archE1200ELNS1_3gpuE4ELNS1_3repE0EEENS1_30default_config_static_selectorELNS0_4arch9wavefront6targetE1EEEvT1_, .Lfunc_end953-_ZN7rocprim17ROCPRIM_400000_NS6detail17trampoline_kernelINS0_14default_configENS1_29reduce_by_key_config_selectorIilN6thrust23THRUST_200600_302600_NS4plusIlEEEEZZNS1_33reduce_by_key_impl_wrapped_configILNS1_25lookback_scan_determinismE0ES3_S9_PiNS6_17constant_iteratorIiNS6_11use_defaultESE_EENS6_10device_ptrIiEENSG_IlEEPmS8_NS6_8equal_toIiEEEE10hipError_tPvRmT2_T3_mT4_T5_T6_T7_T8_P12ihipStream_tbENKUlT_T0_E_clISt17integral_constantIbLb1EES13_EEDaSY_SZ_EUlSY_E_NS1_11comp_targetILNS1_3genE10ELNS1_11target_archE1200ELNS1_3gpuE4ELNS1_3repE0EEENS1_30default_config_static_selectorELNS0_4arch9wavefront6targetE1EEEvT1_
                                        ; -- End function
	.section	.AMDGPU.csdata,"",@progbits
; Kernel info:
; codeLenInByte = 0
; NumSgprs: 4
; NumVgprs: 0
; NumAgprs: 0
; TotalNumVgprs: 0
; ScratchSize: 0
; MemoryBound: 0
; FloatMode: 240
; IeeeMode: 1
; LDSByteSize: 0 bytes/workgroup (compile time only)
; SGPRBlocks: 0
; VGPRBlocks: 0
; NumSGPRsForWavesPerEU: 4
; NumVGPRsForWavesPerEU: 1
; AccumOffset: 4
; Occupancy: 8
; WaveLimiterHint : 0
; COMPUTE_PGM_RSRC2:SCRATCH_EN: 0
; COMPUTE_PGM_RSRC2:USER_SGPR: 6
; COMPUTE_PGM_RSRC2:TRAP_HANDLER: 0
; COMPUTE_PGM_RSRC2:TGID_X_EN: 1
; COMPUTE_PGM_RSRC2:TGID_Y_EN: 0
; COMPUTE_PGM_RSRC2:TGID_Z_EN: 0
; COMPUTE_PGM_RSRC2:TIDIG_COMP_CNT: 0
; COMPUTE_PGM_RSRC3_GFX90A:ACCUM_OFFSET: 0
; COMPUTE_PGM_RSRC3_GFX90A:TG_SPLIT: 0
	.section	.text._ZN7rocprim17ROCPRIM_400000_NS6detail17trampoline_kernelINS0_14default_configENS1_29reduce_by_key_config_selectorIilN6thrust23THRUST_200600_302600_NS4plusIlEEEEZZNS1_33reduce_by_key_impl_wrapped_configILNS1_25lookback_scan_determinismE0ES3_S9_PiNS6_17constant_iteratorIiNS6_11use_defaultESE_EENS6_10device_ptrIiEENSG_IlEEPmS8_NS6_8equal_toIiEEEE10hipError_tPvRmT2_T3_mT4_T5_T6_T7_T8_P12ihipStream_tbENKUlT_T0_E_clISt17integral_constantIbLb1EES13_EEDaSY_SZ_EUlSY_E_NS1_11comp_targetILNS1_3genE9ELNS1_11target_archE1100ELNS1_3gpuE3ELNS1_3repE0EEENS1_30default_config_static_selectorELNS0_4arch9wavefront6targetE1EEEvT1_,"axG",@progbits,_ZN7rocprim17ROCPRIM_400000_NS6detail17trampoline_kernelINS0_14default_configENS1_29reduce_by_key_config_selectorIilN6thrust23THRUST_200600_302600_NS4plusIlEEEEZZNS1_33reduce_by_key_impl_wrapped_configILNS1_25lookback_scan_determinismE0ES3_S9_PiNS6_17constant_iteratorIiNS6_11use_defaultESE_EENS6_10device_ptrIiEENSG_IlEEPmS8_NS6_8equal_toIiEEEE10hipError_tPvRmT2_T3_mT4_T5_T6_T7_T8_P12ihipStream_tbENKUlT_T0_E_clISt17integral_constantIbLb1EES13_EEDaSY_SZ_EUlSY_E_NS1_11comp_targetILNS1_3genE9ELNS1_11target_archE1100ELNS1_3gpuE3ELNS1_3repE0EEENS1_30default_config_static_selectorELNS0_4arch9wavefront6targetE1EEEvT1_,comdat
	.protected	_ZN7rocprim17ROCPRIM_400000_NS6detail17trampoline_kernelINS0_14default_configENS1_29reduce_by_key_config_selectorIilN6thrust23THRUST_200600_302600_NS4plusIlEEEEZZNS1_33reduce_by_key_impl_wrapped_configILNS1_25lookback_scan_determinismE0ES3_S9_PiNS6_17constant_iteratorIiNS6_11use_defaultESE_EENS6_10device_ptrIiEENSG_IlEEPmS8_NS6_8equal_toIiEEEE10hipError_tPvRmT2_T3_mT4_T5_T6_T7_T8_P12ihipStream_tbENKUlT_T0_E_clISt17integral_constantIbLb1EES13_EEDaSY_SZ_EUlSY_E_NS1_11comp_targetILNS1_3genE9ELNS1_11target_archE1100ELNS1_3gpuE3ELNS1_3repE0EEENS1_30default_config_static_selectorELNS0_4arch9wavefront6targetE1EEEvT1_ ; -- Begin function _ZN7rocprim17ROCPRIM_400000_NS6detail17trampoline_kernelINS0_14default_configENS1_29reduce_by_key_config_selectorIilN6thrust23THRUST_200600_302600_NS4plusIlEEEEZZNS1_33reduce_by_key_impl_wrapped_configILNS1_25lookback_scan_determinismE0ES3_S9_PiNS6_17constant_iteratorIiNS6_11use_defaultESE_EENS6_10device_ptrIiEENSG_IlEEPmS8_NS6_8equal_toIiEEEE10hipError_tPvRmT2_T3_mT4_T5_T6_T7_T8_P12ihipStream_tbENKUlT_T0_E_clISt17integral_constantIbLb1EES13_EEDaSY_SZ_EUlSY_E_NS1_11comp_targetILNS1_3genE9ELNS1_11target_archE1100ELNS1_3gpuE3ELNS1_3repE0EEENS1_30default_config_static_selectorELNS0_4arch9wavefront6targetE1EEEvT1_
	.globl	_ZN7rocprim17ROCPRIM_400000_NS6detail17trampoline_kernelINS0_14default_configENS1_29reduce_by_key_config_selectorIilN6thrust23THRUST_200600_302600_NS4plusIlEEEEZZNS1_33reduce_by_key_impl_wrapped_configILNS1_25lookback_scan_determinismE0ES3_S9_PiNS6_17constant_iteratorIiNS6_11use_defaultESE_EENS6_10device_ptrIiEENSG_IlEEPmS8_NS6_8equal_toIiEEEE10hipError_tPvRmT2_T3_mT4_T5_T6_T7_T8_P12ihipStream_tbENKUlT_T0_E_clISt17integral_constantIbLb1EES13_EEDaSY_SZ_EUlSY_E_NS1_11comp_targetILNS1_3genE9ELNS1_11target_archE1100ELNS1_3gpuE3ELNS1_3repE0EEENS1_30default_config_static_selectorELNS0_4arch9wavefront6targetE1EEEvT1_
	.p2align	8
	.type	_ZN7rocprim17ROCPRIM_400000_NS6detail17trampoline_kernelINS0_14default_configENS1_29reduce_by_key_config_selectorIilN6thrust23THRUST_200600_302600_NS4plusIlEEEEZZNS1_33reduce_by_key_impl_wrapped_configILNS1_25lookback_scan_determinismE0ES3_S9_PiNS6_17constant_iteratorIiNS6_11use_defaultESE_EENS6_10device_ptrIiEENSG_IlEEPmS8_NS6_8equal_toIiEEEE10hipError_tPvRmT2_T3_mT4_T5_T6_T7_T8_P12ihipStream_tbENKUlT_T0_E_clISt17integral_constantIbLb1EES13_EEDaSY_SZ_EUlSY_E_NS1_11comp_targetILNS1_3genE9ELNS1_11target_archE1100ELNS1_3gpuE3ELNS1_3repE0EEENS1_30default_config_static_selectorELNS0_4arch9wavefront6targetE1EEEvT1_,@function
_ZN7rocprim17ROCPRIM_400000_NS6detail17trampoline_kernelINS0_14default_configENS1_29reduce_by_key_config_selectorIilN6thrust23THRUST_200600_302600_NS4plusIlEEEEZZNS1_33reduce_by_key_impl_wrapped_configILNS1_25lookback_scan_determinismE0ES3_S9_PiNS6_17constant_iteratorIiNS6_11use_defaultESE_EENS6_10device_ptrIiEENSG_IlEEPmS8_NS6_8equal_toIiEEEE10hipError_tPvRmT2_T3_mT4_T5_T6_T7_T8_P12ihipStream_tbENKUlT_T0_E_clISt17integral_constantIbLb1EES13_EEDaSY_SZ_EUlSY_E_NS1_11comp_targetILNS1_3genE9ELNS1_11target_archE1100ELNS1_3gpuE3ELNS1_3repE0EEENS1_30default_config_static_selectorELNS0_4arch9wavefront6targetE1EEEvT1_: ; @_ZN7rocprim17ROCPRIM_400000_NS6detail17trampoline_kernelINS0_14default_configENS1_29reduce_by_key_config_selectorIilN6thrust23THRUST_200600_302600_NS4plusIlEEEEZZNS1_33reduce_by_key_impl_wrapped_configILNS1_25lookback_scan_determinismE0ES3_S9_PiNS6_17constant_iteratorIiNS6_11use_defaultESE_EENS6_10device_ptrIiEENSG_IlEEPmS8_NS6_8equal_toIiEEEE10hipError_tPvRmT2_T3_mT4_T5_T6_T7_T8_P12ihipStream_tbENKUlT_T0_E_clISt17integral_constantIbLb1EES13_EEDaSY_SZ_EUlSY_E_NS1_11comp_targetILNS1_3genE9ELNS1_11target_archE1100ELNS1_3gpuE3ELNS1_3repE0EEENS1_30default_config_static_selectorELNS0_4arch9wavefront6targetE1EEEvT1_
; %bb.0:
	.section	.rodata,"a",@progbits
	.p2align	6, 0x0
	.amdhsa_kernel _ZN7rocprim17ROCPRIM_400000_NS6detail17trampoline_kernelINS0_14default_configENS1_29reduce_by_key_config_selectorIilN6thrust23THRUST_200600_302600_NS4plusIlEEEEZZNS1_33reduce_by_key_impl_wrapped_configILNS1_25lookback_scan_determinismE0ES3_S9_PiNS6_17constant_iteratorIiNS6_11use_defaultESE_EENS6_10device_ptrIiEENSG_IlEEPmS8_NS6_8equal_toIiEEEE10hipError_tPvRmT2_T3_mT4_T5_T6_T7_T8_P12ihipStream_tbENKUlT_T0_E_clISt17integral_constantIbLb1EES13_EEDaSY_SZ_EUlSY_E_NS1_11comp_targetILNS1_3genE9ELNS1_11target_archE1100ELNS1_3gpuE3ELNS1_3repE0EEENS1_30default_config_static_selectorELNS0_4arch9wavefront6targetE1EEEvT1_
		.amdhsa_group_segment_fixed_size 0
		.amdhsa_private_segment_fixed_size 0
		.amdhsa_kernarg_size 144
		.amdhsa_user_sgpr_count 6
		.amdhsa_user_sgpr_private_segment_buffer 1
		.amdhsa_user_sgpr_dispatch_ptr 0
		.amdhsa_user_sgpr_queue_ptr 0
		.amdhsa_user_sgpr_kernarg_segment_ptr 1
		.amdhsa_user_sgpr_dispatch_id 0
		.amdhsa_user_sgpr_flat_scratch_init 0
		.amdhsa_user_sgpr_kernarg_preload_length 0
		.amdhsa_user_sgpr_kernarg_preload_offset 0
		.amdhsa_user_sgpr_private_segment_size 0
		.amdhsa_uses_dynamic_stack 0
		.amdhsa_system_sgpr_private_segment_wavefront_offset 0
		.amdhsa_system_sgpr_workgroup_id_x 1
		.amdhsa_system_sgpr_workgroup_id_y 0
		.amdhsa_system_sgpr_workgroup_id_z 0
		.amdhsa_system_sgpr_workgroup_info 0
		.amdhsa_system_vgpr_workitem_id 0
		.amdhsa_next_free_vgpr 1
		.amdhsa_next_free_sgpr 0
		.amdhsa_accum_offset 4
		.amdhsa_reserve_vcc 0
		.amdhsa_reserve_flat_scratch 0
		.amdhsa_float_round_mode_32 0
		.amdhsa_float_round_mode_16_64 0
		.amdhsa_float_denorm_mode_32 3
		.amdhsa_float_denorm_mode_16_64 3
		.amdhsa_dx10_clamp 1
		.amdhsa_ieee_mode 1
		.amdhsa_fp16_overflow 0
		.amdhsa_tg_split 0
		.amdhsa_exception_fp_ieee_invalid_op 0
		.amdhsa_exception_fp_denorm_src 0
		.amdhsa_exception_fp_ieee_div_zero 0
		.amdhsa_exception_fp_ieee_overflow 0
		.amdhsa_exception_fp_ieee_underflow 0
		.amdhsa_exception_fp_ieee_inexact 0
		.amdhsa_exception_int_div_zero 0
	.end_amdhsa_kernel
	.section	.text._ZN7rocprim17ROCPRIM_400000_NS6detail17trampoline_kernelINS0_14default_configENS1_29reduce_by_key_config_selectorIilN6thrust23THRUST_200600_302600_NS4plusIlEEEEZZNS1_33reduce_by_key_impl_wrapped_configILNS1_25lookback_scan_determinismE0ES3_S9_PiNS6_17constant_iteratorIiNS6_11use_defaultESE_EENS6_10device_ptrIiEENSG_IlEEPmS8_NS6_8equal_toIiEEEE10hipError_tPvRmT2_T3_mT4_T5_T6_T7_T8_P12ihipStream_tbENKUlT_T0_E_clISt17integral_constantIbLb1EES13_EEDaSY_SZ_EUlSY_E_NS1_11comp_targetILNS1_3genE9ELNS1_11target_archE1100ELNS1_3gpuE3ELNS1_3repE0EEENS1_30default_config_static_selectorELNS0_4arch9wavefront6targetE1EEEvT1_,"axG",@progbits,_ZN7rocprim17ROCPRIM_400000_NS6detail17trampoline_kernelINS0_14default_configENS1_29reduce_by_key_config_selectorIilN6thrust23THRUST_200600_302600_NS4plusIlEEEEZZNS1_33reduce_by_key_impl_wrapped_configILNS1_25lookback_scan_determinismE0ES3_S9_PiNS6_17constant_iteratorIiNS6_11use_defaultESE_EENS6_10device_ptrIiEENSG_IlEEPmS8_NS6_8equal_toIiEEEE10hipError_tPvRmT2_T3_mT4_T5_T6_T7_T8_P12ihipStream_tbENKUlT_T0_E_clISt17integral_constantIbLb1EES13_EEDaSY_SZ_EUlSY_E_NS1_11comp_targetILNS1_3genE9ELNS1_11target_archE1100ELNS1_3gpuE3ELNS1_3repE0EEENS1_30default_config_static_selectorELNS0_4arch9wavefront6targetE1EEEvT1_,comdat
.Lfunc_end954:
	.size	_ZN7rocprim17ROCPRIM_400000_NS6detail17trampoline_kernelINS0_14default_configENS1_29reduce_by_key_config_selectorIilN6thrust23THRUST_200600_302600_NS4plusIlEEEEZZNS1_33reduce_by_key_impl_wrapped_configILNS1_25lookback_scan_determinismE0ES3_S9_PiNS6_17constant_iteratorIiNS6_11use_defaultESE_EENS6_10device_ptrIiEENSG_IlEEPmS8_NS6_8equal_toIiEEEE10hipError_tPvRmT2_T3_mT4_T5_T6_T7_T8_P12ihipStream_tbENKUlT_T0_E_clISt17integral_constantIbLb1EES13_EEDaSY_SZ_EUlSY_E_NS1_11comp_targetILNS1_3genE9ELNS1_11target_archE1100ELNS1_3gpuE3ELNS1_3repE0EEENS1_30default_config_static_selectorELNS0_4arch9wavefront6targetE1EEEvT1_, .Lfunc_end954-_ZN7rocprim17ROCPRIM_400000_NS6detail17trampoline_kernelINS0_14default_configENS1_29reduce_by_key_config_selectorIilN6thrust23THRUST_200600_302600_NS4plusIlEEEEZZNS1_33reduce_by_key_impl_wrapped_configILNS1_25lookback_scan_determinismE0ES3_S9_PiNS6_17constant_iteratorIiNS6_11use_defaultESE_EENS6_10device_ptrIiEENSG_IlEEPmS8_NS6_8equal_toIiEEEE10hipError_tPvRmT2_T3_mT4_T5_T6_T7_T8_P12ihipStream_tbENKUlT_T0_E_clISt17integral_constantIbLb1EES13_EEDaSY_SZ_EUlSY_E_NS1_11comp_targetILNS1_3genE9ELNS1_11target_archE1100ELNS1_3gpuE3ELNS1_3repE0EEENS1_30default_config_static_selectorELNS0_4arch9wavefront6targetE1EEEvT1_
                                        ; -- End function
	.section	.AMDGPU.csdata,"",@progbits
; Kernel info:
; codeLenInByte = 0
; NumSgprs: 4
; NumVgprs: 0
; NumAgprs: 0
; TotalNumVgprs: 0
; ScratchSize: 0
; MemoryBound: 0
; FloatMode: 240
; IeeeMode: 1
; LDSByteSize: 0 bytes/workgroup (compile time only)
; SGPRBlocks: 0
; VGPRBlocks: 0
; NumSGPRsForWavesPerEU: 4
; NumVGPRsForWavesPerEU: 1
; AccumOffset: 4
; Occupancy: 8
; WaveLimiterHint : 0
; COMPUTE_PGM_RSRC2:SCRATCH_EN: 0
; COMPUTE_PGM_RSRC2:USER_SGPR: 6
; COMPUTE_PGM_RSRC2:TRAP_HANDLER: 0
; COMPUTE_PGM_RSRC2:TGID_X_EN: 1
; COMPUTE_PGM_RSRC2:TGID_Y_EN: 0
; COMPUTE_PGM_RSRC2:TGID_Z_EN: 0
; COMPUTE_PGM_RSRC2:TIDIG_COMP_CNT: 0
; COMPUTE_PGM_RSRC3_GFX90A:ACCUM_OFFSET: 0
; COMPUTE_PGM_RSRC3_GFX90A:TG_SPLIT: 0
	.section	.text._ZN7rocprim17ROCPRIM_400000_NS6detail17trampoline_kernelINS0_14default_configENS1_29reduce_by_key_config_selectorIilN6thrust23THRUST_200600_302600_NS4plusIlEEEEZZNS1_33reduce_by_key_impl_wrapped_configILNS1_25lookback_scan_determinismE0ES3_S9_PiNS6_17constant_iteratorIiNS6_11use_defaultESE_EENS6_10device_ptrIiEENSG_IlEEPmS8_NS6_8equal_toIiEEEE10hipError_tPvRmT2_T3_mT4_T5_T6_T7_T8_P12ihipStream_tbENKUlT_T0_E_clISt17integral_constantIbLb1EES13_EEDaSY_SZ_EUlSY_E_NS1_11comp_targetILNS1_3genE8ELNS1_11target_archE1030ELNS1_3gpuE2ELNS1_3repE0EEENS1_30default_config_static_selectorELNS0_4arch9wavefront6targetE1EEEvT1_,"axG",@progbits,_ZN7rocprim17ROCPRIM_400000_NS6detail17trampoline_kernelINS0_14default_configENS1_29reduce_by_key_config_selectorIilN6thrust23THRUST_200600_302600_NS4plusIlEEEEZZNS1_33reduce_by_key_impl_wrapped_configILNS1_25lookback_scan_determinismE0ES3_S9_PiNS6_17constant_iteratorIiNS6_11use_defaultESE_EENS6_10device_ptrIiEENSG_IlEEPmS8_NS6_8equal_toIiEEEE10hipError_tPvRmT2_T3_mT4_T5_T6_T7_T8_P12ihipStream_tbENKUlT_T0_E_clISt17integral_constantIbLb1EES13_EEDaSY_SZ_EUlSY_E_NS1_11comp_targetILNS1_3genE8ELNS1_11target_archE1030ELNS1_3gpuE2ELNS1_3repE0EEENS1_30default_config_static_selectorELNS0_4arch9wavefront6targetE1EEEvT1_,comdat
	.protected	_ZN7rocprim17ROCPRIM_400000_NS6detail17trampoline_kernelINS0_14default_configENS1_29reduce_by_key_config_selectorIilN6thrust23THRUST_200600_302600_NS4plusIlEEEEZZNS1_33reduce_by_key_impl_wrapped_configILNS1_25lookback_scan_determinismE0ES3_S9_PiNS6_17constant_iteratorIiNS6_11use_defaultESE_EENS6_10device_ptrIiEENSG_IlEEPmS8_NS6_8equal_toIiEEEE10hipError_tPvRmT2_T3_mT4_T5_T6_T7_T8_P12ihipStream_tbENKUlT_T0_E_clISt17integral_constantIbLb1EES13_EEDaSY_SZ_EUlSY_E_NS1_11comp_targetILNS1_3genE8ELNS1_11target_archE1030ELNS1_3gpuE2ELNS1_3repE0EEENS1_30default_config_static_selectorELNS0_4arch9wavefront6targetE1EEEvT1_ ; -- Begin function _ZN7rocprim17ROCPRIM_400000_NS6detail17trampoline_kernelINS0_14default_configENS1_29reduce_by_key_config_selectorIilN6thrust23THRUST_200600_302600_NS4plusIlEEEEZZNS1_33reduce_by_key_impl_wrapped_configILNS1_25lookback_scan_determinismE0ES3_S9_PiNS6_17constant_iteratorIiNS6_11use_defaultESE_EENS6_10device_ptrIiEENSG_IlEEPmS8_NS6_8equal_toIiEEEE10hipError_tPvRmT2_T3_mT4_T5_T6_T7_T8_P12ihipStream_tbENKUlT_T0_E_clISt17integral_constantIbLb1EES13_EEDaSY_SZ_EUlSY_E_NS1_11comp_targetILNS1_3genE8ELNS1_11target_archE1030ELNS1_3gpuE2ELNS1_3repE0EEENS1_30default_config_static_selectorELNS0_4arch9wavefront6targetE1EEEvT1_
	.globl	_ZN7rocprim17ROCPRIM_400000_NS6detail17trampoline_kernelINS0_14default_configENS1_29reduce_by_key_config_selectorIilN6thrust23THRUST_200600_302600_NS4plusIlEEEEZZNS1_33reduce_by_key_impl_wrapped_configILNS1_25lookback_scan_determinismE0ES3_S9_PiNS6_17constant_iteratorIiNS6_11use_defaultESE_EENS6_10device_ptrIiEENSG_IlEEPmS8_NS6_8equal_toIiEEEE10hipError_tPvRmT2_T3_mT4_T5_T6_T7_T8_P12ihipStream_tbENKUlT_T0_E_clISt17integral_constantIbLb1EES13_EEDaSY_SZ_EUlSY_E_NS1_11comp_targetILNS1_3genE8ELNS1_11target_archE1030ELNS1_3gpuE2ELNS1_3repE0EEENS1_30default_config_static_selectorELNS0_4arch9wavefront6targetE1EEEvT1_
	.p2align	8
	.type	_ZN7rocprim17ROCPRIM_400000_NS6detail17trampoline_kernelINS0_14default_configENS1_29reduce_by_key_config_selectorIilN6thrust23THRUST_200600_302600_NS4plusIlEEEEZZNS1_33reduce_by_key_impl_wrapped_configILNS1_25lookback_scan_determinismE0ES3_S9_PiNS6_17constant_iteratorIiNS6_11use_defaultESE_EENS6_10device_ptrIiEENSG_IlEEPmS8_NS6_8equal_toIiEEEE10hipError_tPvRmT2_T3_mT4_T5_T6_T7_T8_P12ihipStream_tbENKUlT_T0_E_clISt17integral_constantIbLb1EES13_EEDaSY_SZ_EUlSY_E_NS1_11comp_targetILNS1_3genE8ELNS1_11target_archE1030ELNS1_3gpuE2ELNS1_3repE0EEENS1_30default_config_static_selectorELNS0_4arch9wavefront6targetE1EEEvT1_,@function
_ZN7rocprim17ROCPRIM_400000_NS6detail17trampoline_kernelINS0_14default_configENS1_29reduce_by_key_config_selectorIilN6thrust23THRUST_200600_302600_NS4plusIlEEEEZZNS1_33reduce_by_key_impl_wrapped_configILNS1_25lookback_scan_determinismE0ES3_S9_PiNS6_17constant_iteratorIiNS6_11use_defaultESE_EENS6_10device_ptrIiEENSG_IlEEPmS8_NS6_8equal_toIiEEEE10hipError_tPvRmT2_T3_mT4_T5_T6_T7_T8_P12ihipStream_tbENKUlT_T0_E_clISt17integral_constantIbLb1EES13_EEDaSY_SZ_EUlSY_E_NS1_11comp_targetILNS1_3genE8ELNS1_11target_archE1030ELNS1_3gpuE2ELNS1_3repE0EEENS1_30default_config_static_selectorELNS0_4arch9wavefront6targetE1EEEvT1_: ; @_ZN7rocprim17ROCPRIM_400000_NS6detail17trampoline_kernelINS0_14default_configENS1_29reduce_by_key_config_selectorIilN6thrust23THRUST_200600_302600_NS4plusIlEEEEZZNS1_33reduce_by_key_impl_wrapped_configILNS1_25lookback_scan_determinismE0ES3_S9_PiNS6_17constant_iteratorIiNS6_11use_defaultESE_EENS6_10device_ptrIiEENSG_IlEEPmS8_NS6_8equal_toIiEEEE10hipError_tPvRmT2_T3_mT4_T5_T6_T7_T8_P12ihipStream_tbENKUlT_T0_E_clISt17integral_constantIbLb1EES13_EEDaSY_SZ_EUlSY_E_NS1_11comp_targetILNS1_3genE8ELNS1_11target_archE1030ELNS1_3gpuE2ELNS1_3repE0EEENS1_30default_config_static_selectorELNS0_4arch9wavefront6targetE1EEEvT1_
; %bb.0:
	.section	.rodata,"a",@progbits
	.p2align	6, 0x0
	.amdhsa_kernel _ZN7rocprim17ROCPRIM_400000_NS6detail17trampoline_kernelINS0_14default_configENS1_29reduce_by_key_config_selectorIilN6thrust23THRUST_200600_302600_NS4plusIlEEEEZZNS1_33reduce_by_key_impl_wrapped_configILNS1_25lookback_scan_determinismE0ES3_S9_PiNS6_17constant_iteratorIiNS6_11use_defaultESE_EENS6_10device_ptrIiEENSG_IlEEPmS8_NS6_8equal_toIiEEEE10hipError_tPvRmT2_T3_mT4_T5_T6_T7_T8_P12ihipStream_tbENKUlT_T0_E_clISt17integral_constantIbLb1EES13_EEDaSY_SZ_EUlSY_E_NS1_11comp_targetILNS1_3genE8ELNS1_11target_archE1030ELNS1_3gpuE2ELNS1_3repE0EEENS1_30default_config_static_selectorELNS0_4arch9wavefront6targetE1EEEvT1_
		.amdhsa_group_segment_fixed_size 0
		.amdhsa_private_segment_fixed_size 0
		.amdhsa_kernarg_size 144
		.amdhsa_user_sgpr_count 6
		.amdhsa_user_sgpr_private_segment_buffer 1
		.amdhsa_user_sgpr_dispatch_ptr 0
		.amdhsa_user_sgpr_queue_ptr 0
		.amdhsa_user_sgpr_kernarg_segment_ptr 1
		.amdhsa_user_sgpr_dispatch_id 0
		.amdhsa_user_sgpr_flat_scratch_init 0
		.amdhsa_user_sgpr_kernarg_preload_length 0
		.amdhsa_user_sgpr_kernarg_preload_offset 0
		.amdhsa_user_sgpr_private_segment_size 0
		.amdhsa_uses_dynamic_stack 0
		.amdhsa_system_sgpr_private_segment_wavefront_offset 0
		.amdhsa_system_sgpr_workgroup_id_x 1
		.amdhsa_system_sgpr_workgroup_id_y 0
		.amdhsa_system_sgpr_workgroup_id_z 0
		.amdhsa_system_sgpr_workgroup_info 0
		.amdhsa_system_vgpr_workitem_id 0
		.amdhsa_next_free_vgpr 1
		.amdhsa_next_free_sgpr 0
		.amdhsa_accum_offset 4
		.amdhsa_reserve_vcc 0
		.amdhsa_reserve_flat_scratch 0
		.amdhsa_float_round_mode_32 0
		.amdhsa_float_round_mode_16_64 0
		.amdhsa_float_denorm_mode_32 3
		.amdhsa_float_denorm_mode_16_64 3
		.amdhsa_dx10_clamp 1
		.amdhsa_ieee_mode 1
		.amdhsa_fp16_overflow 0
		.amdhsa_tg_split 0
		.amdhsa_exception_fp_ieee_invalid_op 0
		.amdhsa_exception_fp_denorm_src 0
		.amdhsa_exception_fp_ieee_div_zero 0
		.amdhsa_exception_fp_ieee_overflow 0
		.amdhsa_exception_fp_ieee_underflow 0
		.amdhsa_exception_fp_ieee_inexact 0
		.amdhsa_exception_int_div_zero 0
	.end_amdhsa_kernel
	.section	.text._ZN7rocprim17ROCPRIM_400000_NS6detail17trampoline_kernelINS0_14default_configENS1_29reduce_by_key_config_selectorIilN6thrust23THRUST_200600_302600_NS4plusIlEEEEZZNS1_33reduce_by_key_impl_wrapped_configILNS1_25lookback_scan_determinismE0ES3_S9_PiNS6_17constant_iteratorIiNS6_11use_defaultESE_EENS6_10device_ptrIiEENSG_IlEEPmS8_NS6_8equal_toIiEEEE10hipError_tPvRmT2_T3_mT4_T5_T6_T7_T8_P12ihipStream_tbENKUlT_T0_E_clISt17integral_constantIbLb1EES13_EEDaSY_SZ_EUlSY_E_NS1_11comp_targetILNS1_3genE8ELNS1_11target_archE1030ELNS1_3gpuE2ELNS1_3repE0EEENS1_30default_config_static_selectorELNS0_4arch9wavefront6targetE1EEEvT1_,"axG",@progbits,_ZN7rocprim17ROCPRIM_400000_NS6detail17trampoline_kernelINS0_14default_configENS1_29reduce_by_key_config_selectorIilN6thrust23THRUST_200600_302600_NS4plusIlEEEEZZNS1_33reduce_by_key_impl_wrapped_configILNS1_25lookback_scan_determinismE0ES3_S9_PiNS6_17constant_iteratorIiNS6_11use_defaultESE_EENS6_10device_ptrIiEENSG_IlEEPmS8_NS6_8equal_toIiEEEE10hipError_tPvRmT2_T3_mT4_T5_T6_T7_T8_P12ihipStream_tbENKUlT_T0_E_clISt17integral_constantIbLb1EES13_EEDaSY_SZ_EUlSY_E_NS1_11comp_targetILNS1_3genE8ELNS1_11target_archE1030ELNS1_3gpuE2ELNS1_3repE0EEENS1_30default_config_static_selectorELNS0_4arch9wavefront6targetE1EEEvT1_,comdat
.Lfunc_end955:
	.size	_ZN7rocprim17ROCPRIM_400000_NS6detail17trampoline_kernelINS0_14default_configENS1_29reduce_by_key_config_selectorIilN6thrust23THRUST_200600_302600_NS4plusIlEEEEZZNS1_33reduce_by_key_impl_wrapped_configILNS1_25lookback_scan_determinismE0ES3_S9_PiNS6_17constant_iteratorIiNS6_11use_defaultESE_EENS6_10device_ptrIiEENSG_IlEEPmS8_NS6_8equal_toIiEEEE10hipError_tPvRmT2_T3_mT4_T5_T6_T7_T8_P12ihipStream_tbENKUlT_T0_E_clISt17integral_constantIbLb1EES13_EEDaSY_SZ_EUlSY_E_NS1_11comp_targetILNS1_3genE8ELNS1_11target_archE1030ELNS1_3gpuE2ELNS1_3repE0EEENS1_30default_config_static_selectorELNS0_4arch9wavefront6targetE1EEEvT1_, .Lfunc_end955-_ZN7rocprim17ROCPRIM_400000_NS6detail17trampoline_kernelINS0_14default_configENS1_29reduce_by_key_config_selectorIilN6thrust23THRUST_200600_302600_NS4plusIlEEEEZZNS1_33reduce_by_key_impl_wrapped_configILNS1_25lookback_scan_determinismE0ES3_S9_PiNS6_17constant_iteratorIiNS6_11use_defaultESE_EENS6_10device_ptrIiEENSG_IlEEPmS8_NS6_8equal_toIiEEEE10hipError_tPvRmT2_T3_mT4_T5_T6_T7_T8_P12ihipStream_tbENKUlT_T0_E_clISt17integral_constantIbLb1EES13_EEDaSY_SZ_EUlSY_E_NS1_11comp_targetILNS1_3genE8ELNS1_11target_archE1030ELNS1_3gpuE2ELNS1_3repE0EEENS1_30default_config_static_selectorELNS0_4arch9wavefront6targetE1EEEvT1_
                                        ; -- End function
	.section	.AMDGPU.csdata,"",@progbits
; Kernel info:
; codeLenInByte = 0
; NumSgprs: 4
; NumVgprs: 0
; NumAgprs: 0
; TotalNumVgprs: 0
; ScratchSize: 0
; MemoryBound: 0
; FloatMode: 240
; IeeeMode: 1
; LDSByteSize: 0 bytes/workgroup (compile time only)
; SGPRBlocks: 0
; VGPRBlocks: 0
; NumSGPRsForWavesPerEU: 4
; NumVGPRsForWavesPerEU: 1
; AccumOffset: 4
; Occupancy: 8
; WaveLimiterHint : 0
; COMPUTE_PGM_RSRC2:SCRATCH_EN: 0
; COMPUTE_PGM_RSRC2:USER_SGPR: 6
; COMPUTE_PGM_RSRC2:TRAP_HANDLER: 0
; COMPUTE_PGM_RSRC2:TGID_X_EN: 1
; COMPUTE_PGM_RSRC2:TGID_Y_EN: 0
; COMPUTE_PGM_RSRC2:TGID_Z_EN: 0
; COMPUTE_PGM_RSRC2:TIDIG_COMP_CNT: 0
; COMPUTE_PGM_RSRC3_GFX90A:ACCUM_OFFSET: 0
; COMPUTE_PGM_RSRC3_GFX90A:TG_SPLIT: 0
	.section	.text._ZN7rocprim17ROCPRIM_400000_NS6detail17trampoline_kernelINS0_14default_configENS1_29reduce_by_key_config_selectorIilN6thrust23THRUST_200600_302600_NS4plusIlEEEEZZNS1_33reduce_by_key_impl_wrapped_configILNS1_25lookback_scan_determinismE0ES3_S9_PiNS6_17constant_iteratorIiNS6_11use_defaultESE_EENS6_10device_ptrIiEENSG_IlEEPmS8_NS6_8equal_toIiEEEE10hipError_tPvRmT2_T3_mT4_T5_T6_T7_T8_P12ihipStream_tbENKUlT_T0_E_clISt17integral_constantIbLb1EES12_IbLb0EEEEDaSY_SZ_EUlSY_E_NS1_11comp_targetILNS1_3genE0ELNS1_11target_archE4294967295ELNS1_3gpuE0ELNS1_3repE0EEENS1_30default_config_static_selectorELNS0_4arch9wavefront6targetE1EEEvT1_,"axG",@progbits,_ZN7rocprim17ROCPRIM_400000_NS6detail17trampoline_kernelINS0_14default_configENS1_29reduce_by_key_config_selectorIilN6thrust23THRUST_200600_302600_NS4plusIlEEEEZZNS1_33reduce_by_key_impl_wrapped_configILNS1_25lookback_scan_determinismE0ES3_S9_PiNS6_17constant_iteratorIiNS6_11use_defaultESE_EENS6_10device_ptrIiEENSG_IlEEPmS8_NS6_8equal_toIiEEEE10hipError_tPvRmT2_T3_mT4_T5_T6_T7_T8_P12ihipStream_tbENKUlT_T0_E_clISt17integral_constantIbLb1EES12_IbLb0EEEEDaSY_SZ_EUlSY_E_NS1_11comp_targetILNS1_3genE0ELNS1_11target_archE4294967295ELNS1_3gpuE0ELNS1_3repE0EEENS1_30default_config_static_selectorELNS0_4arch9wavefront6targetE1EEEvT1_,comdat
	.protected	_ZN7rocprim17ROCPRIM_400000_NS6detail17trampoline_kernelINS0_14default_configENS1_29reduce_by_key_config_selectorIilN6thrust23THRUST_200600_302600_NS4plusIlEEEEZZNS1_33reduce_by_key_impl_wrapped_configILNS1_25lookback_scan_determinismE0ES3_S9_PiNS6_17constant_iteratorIiNS6_11use_defaultESE_EENS6_10device_ptrIiEENSG_IlEEPmS8_NS6_8equal_toIiEEEE10hipError_tPvRmT2_T3_mT4_T5_T6_T7_T8_P12ihipStream_tbENKUlT_T0_E_clISt17integral_constantIbLb1EES12_IbLb0EEEEDaSY_SZ_EUlSY_E_NS1_11comp_targetILNS1_3genE0ELNS1_11target_archE4294967295ELNS1_3gpuE0ELNS1_3repE0EEENS1_30default_config_static_selectorELNS0_4arch9wavefront6targetE1EEEvT1_ ; -- Begin function _ZN7rocprim17ROCPRIM_400000_NS6detail17trampoline_kernelINS0_14default_configENS1_29reduce_by_key_config_selectorIilN6thrust23THRUST_200600_302600_NS4plusIlEEEEZZNS1_33reduce_by_key_impl_wrapped_configILNS1_25lookback_scan_determinismE0ES3_S9_PiNS6_17constant_iteratorIiNS6_11use_defaultESE_EENS6_10device_ptrIiEENSG_IlEEPmS8_NS6_8equal_toIiEEEE10hipError_tPvRmT2_T3_mT4_T5_T6_T7_T8_P12ihipStream_tbENKUlT_T0_E_clISt17integral_constantIbLb1EES12_IbLb0EEEEDaSY_SZ_EUlSY_E_NS1_11comp_targetILNS1_3genE0ELNS1_11target_archE4294967295ELNS1_3gpuE0ELNS1_3repE0EEENS1_30default_config_static_selectorELNS0_4arch9wavefront6targetE1EEEvT1_
	.globl	_ZN7rocprim17ROCPRIM_400000_NS6detail17trampoline_kernelINS0_14default_configENS1_29reduce_by_key_config_selectorIilN6thrust23THRUST_200600_302600_NS4plusIlEEEEZZNS1_33reduce_by_key_impl_wrapped_configILNS1_25lookback_scan_determinismE0ES3_S9_PiNS6_17constant_iteratorIiNS6_11use_defaultESE_EENS6_10device_ptrIiEENSG_IlEEPmS8_NS6_8equal_toIiEEEE10hipError_tPvRmT2_T3_mT4_T5_T6_T7_T8_P12ihipStream_tbENKUlT_T0_E_clISt17integral_constantIbLb1EES12_IbLb0EEEEDaSY_SZ_EUlSY_E_NS1_11comp_targetILNS1_3genE0ELNS1_11target_archE4294967295ELNS1_3gpuE0ELNS1_3repE0EEENS1_30default_config_static_selectorELNS0_4arch9wavefront6targetE1EEEvT1_
	.p2align	8
	.type	_ZN7rocprim17ROCPRIM_400000_NS6detail17trampoline_kernelINS0_14default_configENS1_29reduce_by_key_config_selectorIilN6thrust23THRUST_200600_302600_NS4plusIlEEEEZZNS1_33reduce_by_key_impl_wrapped_configILNS1_25lookback_scan_determinismE0ES3_S9_PiNS6_17constant_iteratorIiNS6_11use_defaultESE_EENS6_10device_ptrIiEENSG_IlEEPmS8_NS6_8equal_toIiEEEE10hipError_tPvRmT2_T3_mT4_T5_T6_T7_T8_P12ihipStream_tbENKUlT_T0_E_clISt17integral_constantIbLb1EES12_IbLb0EEEEDaSY_SZ_EUlSY_E_NS1_11comp_targetILNS1_3genE0ELNS1_11target_archE4294967295ELNS1_3gpuE0ELNS1_3repE0EEENS1_30default_config_static_selectorELNS0_4arch9wavefront6targetE1EEEvT1_,@function
_ZN7rocprim17ROCPRIM_400000_NS6detail17trampoline_kernelINS0_14default_configENS1_29reduce_by_key_config_selectorIilN6thrust23THRUST_200600_302600_NS4plusIlEEEEZZNS1_33reduce_by_key_impl_wrapped_configILNS1_25lookback_scan_determinismE0ES3_S9_PiNS6_17constant_iteratorIiNS6_11use_defaultESE_EENS6_10device_ptrIiEENSG_IlEEPmS8_NS6_8equal_toIiEEEE10hipError_tPvRmT2_T3_mT4_T5_T6_T7_T8_P12ihipStream_tbENKUlT_T0_E_clISt17integral_constantIbLb1EES12_IbLb0EEEEDaSY_SZ_EUlSY_E_NS1_11comp_targetILNS1_3genE0ELNS1_11target_archE4294967295ELNS1_3gpuE0ELNS1_3repE0EEENS1_30default_config_static_selectorELNS0_4arch9wavefront6targetE1EEEvT1_: ; @_ZN7rocprim17ROCPRIM_400000_NS6detail17trampoline_kernelINS0_14default_configENS1_29reduce_by_key_config_selectorIilN6thrust23THRUST_200600_302600_NS4plusIlEEEEZZNS1_33reduce_by_key_impl_wrapped_configILNS1_25lookback_scan_determinismE0ES3_S9_PiNS6_17constant_iteratorIiNS6_11use_defaultESE_EENS6_10device_ptrIiEENSG_IlEEPmS8_NS6_8equal_toIiEEEE10hipError_tPvRmT2_T3_mT4_T5_T6_T7_T8_P12ihipStream_tbENKUlT_T0_E_clISt17integral_constantIbLb1EES12_IbLb0EEEEDaSY_SZ_EUlSY_E_NS1_11comp_targetILNS1_3genE0ELNS1_11target_archE4294967295ELNS1_3gpuE0ELNS1_3repE0EEENS1_30default_config_static_selectorELNS0_4arch9wavefront6targetE1EEEvT1_
; %bb.0:
	.section	.rodata,"a",@progbits
	.p2align	6, 0x0
	.amdhsa_kernel _ZN7rocprim17ROCPRIM_400000_NS6detail17trampoline_kernelINS0_14default_configENS1_29reduce_by_key_config_selectorIilN6thrust23THRUST_200600_302600_NS4plusIlEEEEZZNS1_33reduce_by_key_impl_wrapped_configILNS1_25lookback_scan_determinismE0ES3_S9_PiNS6_17constant_iteratorIiNS6_11use_defaultESE_EENS6_10device_ptrIiEENSG_IlEEPmS8_NS6_8equal_toIiEEEE10hipError_tPvRmT2_T3_mT4_T5_T6_T7_T8_P12ihipStream_tbENKUlT_T0_E_clISt17integral_constantIbLb1EES12_IbLb0EEEEDaSY_SZ_EUlSY_E_NS1_11comp_targetILNS1_3genE0ELNS1_11target_archE4294967295ELNS1_3gpuE0ELNS1_3repE0EEENS1_30default_config_static_selectorELNS0_4arch9wavefront6targetE1EEEvT1_
		.amdhsa_group_segment_fixed_size 0
		.amdhsa_private_segment_fixed_size 0
		.amdhsa_kernarg_size 144
		.amdhsa_user_sgpr_count 6
		.amdhsa_user_sgpr_private_segment_buffer 1
		.amdhsa_user_sgpr_dispatch_ptr 0
		.amdhsa_user_sgpr_queue_ptr 0
		.amdhsa_user_sgpr_kernarg_segment_ptr 1
		.amdhsa_user_sgpr_dispatch_id 0
		.amdhsa_user_sgpr_flat_scratch_init 0
		.amdhsa_user_sgpr_kernarg_preload_length 0
		.amdhsa_user_sgpr_kernarg_preload_offset 0
		.amdhsa_user_sgpr_private_segment_size 0
		.amdhsa_uses_dynamic_stack 0
		.amdhsa_system_sgpr_private_segment_wavefront_offset 0
		.amdhsa_system_sgpr_workgroup_id_x 1
		.amdhsa_system_sgpr_workgroup_id_y 0
		.amdhsa_system_sgpr_workgroup_id_z 0
		.amdhsa_system_sgpr_workgroup_info 0
		.amdhsa_system_vgpr_workitem_id 0
		.amdhsa_next_free_vgpr 1
		.amdhsa_next_free_sgpr 0
		.amdhsa_accum_offset 4
		.amdhsa_reserve_vcc 0
		.amdhsa_reserve_flat_scratch 0
		.amdhsa_float_round_mode_32 0
		.amdhsa_float_round_mode_16_64 0
		.amdhsa_float_denorm_mode_32 3
		.amdhsa_float_denorm_mode_16_64 3
		.amdhsa_dx10_clamp 1
		.amdhsa_ieee_mode 1
		.amdhsa_fp16_overflow 0
		.amdhsa_tg_split 0
		.amdhsa_exception_fp_ieee_invalid_op 0
		.amdhsa_exception_fp_denorm_src 0
		.amdhsa_exception_fp_ieee_div_zero 0
		.amdhsa_exception_fp_ieee_overflow 0
		.amdhsa_exception_fp_ieee_underflow 0
		.amdhsa_exception_fp_ieee_inexact 0
		.amdhsa_exception_int_div_zero 0
	.end_amdhsa_kernel
	.section	.text._ZN7rocprim17ROCPRIM_400000_NS6detail17trampoline_kernelINS0_14default_configENS1_29reduce_by_key_config_selectorIilN6thrust23THRUST_200600_302600_NS4plusIlEEEEZZNS1_33reduce_by_key_impl_wrapped_configILNS1_25lookback_scan_determinismE0ES3_S9_PiNS6_17constant_iteratorIiNS6_11use_defaultESE_EENS6_10device_ptrIiEENSG_IlEEPmS8_NS6_8equal_toIiEEEE10hipError_tPvRmT2_T3_mT4_T5_T6_T7_T8_P12ihipStream_tbENKUlT_T0_E_clISt17integral_constantIbLb1EES12_IbLb0EEEEDaSY_SZ_EUlSY_E_NS1_11comp_targetILNS1_3genE0ELNS1_11target_archE4294967295ELNS1_3gpuE0ELNS1_3repE0EEENS1_30default_config_static_selectorELNS0_4arch9wavefront6targetE1EEEvT1_,"axG",@progbits,_ZN7rocprim17ROCPRIM_400000_NS6detail17trampoline_kernelINS0_14default_configENS1_29reduce_by_key_config_selectorIilN6thrust23THRUST_200600_302600_NS4plusIlEEEEZZNS1_33reduce_by_key_impl_wrapped_configILNS1_25lookback_scan_determinismE0ES3_S9_PiNS6_17constant_iteratorIiNS6_11use_defaultESE_EENS6_10device_ptrIiEENSG_IlEEPmS8_NS6_8equal_toIiEEEE10hipError_tPvRmT2_T3_mT4_T5_T6_T7_T8_P12ihipStream_tbENKUlT_T0_E_clISt17integral_constantIbLb1EES12_IbLb0EEEEDaSY_SZ_EUlSY_E_NS1_11comp_targetILNS1_3genE0ELNS1_11target_archE4294967295ELNS1_3gpuE0ELNS1_3repE0EEENS1_30default_config_static_selectorELNS0_4arch9wavefront6targetE1EEEvT1_,comdat
.Lfunc_end956:
	.size	_ZN7rocprim17ROCPRIM_400000_NS6detail17trampoline_kernelINS0_14default_configENS1_29reduce_by_key_config_selectorIilN6thrust23THRUST_200600_302600_NS4plusIlEEEEZZNS1_33reduce_by_key_impl_wrapped_configILNS1_25lookback_scan_determinismE0ES3_S9_PiNS6_17constant_iteratorIiNS6_11use_defaultESE_EENS6_10device_ptrIiEENSG_IlEEPmS8_NS6_8equal_toIiEEEE10hipError_tPvRmT2_T3_mT4_T5_T6_T7_T8_P12ihipStream_tbENKUlT_T0_E_clISt17integral_constantIbLb1EES12_IbLb0EEEEDaSY_SZ_EUlSY_E_NS1_11comp_targetILNS1_3genE0ELNS1_11target_archE4294967295ELNS1_3gpuE0ELNS1_3repE0EEENS1_30default_config_static_selectorELNS0_4arch9wavefront6targetE1EEEvT1_, .Lfunc_end956-_ZN7rocprim17ROCPRIM_400000_NS6detail17trampoline_kernelINS0_14default_configENS1_29reduce_by_key_config_selectorIilN6thrust23THRUST_200600_302600_NS4plusIlEEEEZZNS1_33reduce_by_key_impl_wrapped_configILNS1_25lookback_scan_determinismE0ES3_S9_PiNS6_17constant_iteratorIiNS6_11use_defaultESE_EENS6_10device_ptrIiEENSG_IlEEPmS8_NS6_8equal_toIiEEEE10hipError_tPvRmT2_T3_mT4_T5_T6_T7_T8_P12ihipStream_tbENKUlT_T0_E_clISt17integral_constantIbLb1EES12_IbLb0EEEEDaSY_SZ_EUlSY_E_NS1_11comp_targetILNS1_3genE0ELNS1_11target_archE4294967295ELNS1_3gpuE0ELNS1_3repE0EEENS1_30default_config_static_selectorELNS0_4arch9wavefront6targetE1EEEvT1_
                                        ; -- End function
	.section	.AMDGPU.csdata,"",@progbits
; Kernel info:
; codeLenInByte = 0
; NumSgprs: 4
; NumVgprs: 0
; NumAgprs: 0
; TotalNumVgprs: 0
; ScratchSize: 0
; MemoryBound: 0
; FloatMode: 240
; IeeeMode: 1
; LDSByteSize: 0 bytes/workgroup (compile time only)
; SGPRBlocks: 0
; VGPRBlocks: 0
; NumSGPRsForWavesPerEU: 4
; NumVGPRsForWavesPerEU: 1
; AccumOffset: 4
; Occupancy: 8
; WaveLimiterHint : 0
; COMPUTE_PGM_RSRC2:SCRATCH_EN: 0
; COMPUTE_PGM_RSRC2:USER_SGPR: 6
; COMPUTE_PGM_RSRC2:TRAP_HANDLER: 0
; COMPUTE_PGM_RSRC2:TGID_X_EN: 1
; COMPUTE_PGM_RSRC2:TGID_Y_EN: 0
; COMPUTE_PGM_RSRC2:TGID_Z_EN: 0
; COMPUTE_PGM_RSRC2:TIDIG_COMP_CNT: 0
; COMPUTE_PGM_RSRC3_GFX90A:ACCUM_OFFSET: 0
; COMPUTE_PGM_RSRC3_GFX90A:TG_SPLIT: 0
	.section	.text._ZN7rocprim17ROCPRIM_400000_NS6detail17trampoline_kernelINS0_14default_configENS1_29reduce_by_key_config_selectorIilN6thrust23THRUST_200600_302600_NS4plusIlEEEEZZNS1_33reduce_by_key_impl_wrapped_configILNS1_25lookback_scan_determinismE0ES3_S9_PiNS6_17constant_iteratorIiNS6_11use_defaultESE_EENS6_10device_ptrIiEENSG_IlEEPmS8_NS6_8equal_toIiEEEE10hipError_tPvRmT2_T3_mT4_T5_T6_T7_T8_P12ihipStream_tbENKUlT_T0_E_clISt17integral_constantIbLb1EES12_IbLb0EEEEDaSY_SZ_EUlSY_E_NS1_11comp_targetILNS1_3genE5ELNS1_11target_archE942ELNS1_3gpuE9ELNS1_3repE0EEENS1_30default_config_static_selectorELNS0_4arch9wavefront6targetE1EEEvT1_,"axG",@progbits,_ZN7rocprim17ROCPRIM_400000_NS6detail17trampoline_kernelINS0_14default_configENS1_29reduce_by_key_config_selectorIilN6thrust23THRUST_200600_302600_NS4plusIlEEEEZZNS1_33reduce_by_key_impl_wrapped_configILNS1_25lookback_scan_determinismE0ES3_S9_PiNS6_17constant_iteratorIiNS6_11use_defaultESE_EENS6_10device_ptrIiEENSG_IlEEPmS8_NS6_8equal_toIiEEEE10hipError_tPvRmT2_T3_mT4_T5_T6_T7_T8_P12ihipStream_tbENKUlT_T0_E_clISt17integral_constantIbLb1EES12_IbLb0EEEEDaSY_SZ_EUlSY_E_NS1_11comp_targetILNS1_3genE5ELNS1_11target_archE942ELNS1_3gpuE9ELNS1_3repE0EEENS1_30default_config_static_selectorELNS0_4arch9wavefront6targetE1EEEvT1_,comdat
	.protected	_ZN7rocprim17ROCPRIM_400000_NS6detail17trampoline_kernelINS0_14default_configENS1_29reduce_by_key_config_selectorIilN6thrust23THRUST_200600_302600_NS4plusIlEEEEZZNS1_33reduce_by_key_impl_wrapped_configILNS1_25lookback_scan_determinismE0ES3_S9_PiNS6_17constant_iteratorIiNS6_11use_defaultESE_EENS6_10device_ptrIiEENSG_IlEEPmS8_NS6_8equal_toIiEEEE10hipError_tPvRmT2_T3_mT4_T5_T6_T7_T8_P12ihipStream_tbENKUlT_T0_E_clISt17integral_constantIbLb1EES12_IbLb0EEEEDaSY_SZ_EUlSY_E_NS1_11comp_targetILNS1_3genE5ELNS1_11target_archE942ELNS1_3gpuE9ELNS1_3repE0EEENS1_30default_config_static_selectorELNS0_4arch9wavefront6targetE1EEEvT1_ ; -- Begin function _ZN7rocprim17ROCPRIM_400000_NS6detail17trampoline_kernelINS0_14default_configENS1_29reduce_by_key_config_selectorIilN6thrust23THRUST_200600_302600_NS4plusIlEEEEZZNS1_33reduce_by_key_impl_wrapped_configILNS1_25lookback_scan_determinismE0ES3_S9_PiNS6_17constant_iteratorIiNS6_11use_defaultESE_EENS6_10device_ptrIiEENSG_IlEEPmS8_NS6_8equal_toIiEEEE10hipError_tPvRmT2_T3_mT4_T5_T6_T7_T8_P12ihipStream_tbENKUlT_T0_E_clISt17integral_constantIbLb1EES12_IbLb0EEEEDaSY_SZ_EUlSY_E_NS1_11comp_targetILNS1_3genE5ELNS1_11target_archE942ELNS1_3gpuE9ELNS1_3repE0EEENS1_30default_config_static_selectorELNS0_4arch9wavefront6targetE1EEEvT1_
	.globl	_ZN7rocprim17ROCPRIM_400000_NS6detail17trampoline_kernelINS0_14default_configENS1_29reduce_by_key_config_selectorIilN6thrust23THRUST_200600_302600_NS4plusIlEEEEZZNS1_33reduce_by_key_impl_wrapped_configILNS1_25lookback_scan_determinismE0ES3_S9_PiNS6_17constant_iteratorIiNS6_11use_defaultESE_EENS6_10device_ptrIiEENSG_IlEEPmS8_NS6_8equal_toIiEEEE10hipError_tPvRmT2_T3_mT4_T5_T6_T7_T8_P12ihipStream_tbENKUlT_T0_E_clISt17integral_constantIbLb1EES12_IbLb0EEEEDaSY_SZ_EUlSY_E_NS1_11comp_targetILNS1_3genE5ELNS1_11target_archE942ELNS1_3gpuE9ELNS1_3repE0EEENS1_30default_config_static_selectorELNS0_4arch9wavefront6targetE1EEEvT1_
	.p2align	8
	.type	_ZN7rocprim17ROCPRIM_400000_NS6detail17trampoline_kernelINS0_14default_configENS1_29reduce_by_key_config_selectorIilN6thrust23THRUST_200600_302600_NS4plusIlEEEEZZNS1_33reduce_by_key_impl_wrapped_configILNS1_25lookback_scan_determinismE0ES3_S9_PiNS6_17constant_iteratorIiNS6_11use_defaultESE_EENS6_10device_ptrIiEENSG_IlEEPmS8_NS6_8equal_toIiEEEE10hipError_tPvRmT2_T3_mT4_T5_T6_T7_T8_P12ihipStream_tbENKUlT_T0_E_clISt17integral_constantIbLb1EES12_IbLb0EEEEDaSY_SZ_EUlSY_E_NS1_11comp_targetILNS1_3genE5ELNS1_11target_archE942ELNS1_3gpuE9ELNS1_3repE0EEENS1_30default_config_static_selectorELNS0_4arch9wavefront6targetE1EEEvT1_,@function
_ZN7rocprim17ROCPRIM_400000_NS6detail17trampoline_kernelINS0_14default_configENS1_29reduce_by_key_config_selectorIilN6thrust23THRUST_200600_302600_NS4plusIlEEEEZZNS1_33reduce_by_key_impl_wrapped_configILNS1_25lookback_scan_determinismE0ES3_S9_PiNS6_17constant_iteratorIiNS6_11use_defaultESE_EENS6_10device_ptrIiEENSG_IlEEPmS8_NS6_8equal_toIiEEEE10hipError_tPvRmT2_T3_mT4_T5_T6_T7_T8_P12ihipStream_tbENKUlT_T0_E_clISt17integral_constantIbLb1EES12_IbLb0EEEEDaSY_SZ_EUlSY_E_NS1_11comp_targetILNS1_3genE5ELNS1_11target_archE942ELNS1_3gpuE9ELNS1_3repE0EEENS1_30default_config_static_selectorELNS0_4arch9wavefront6targetE1EEEvT1_: ; @_ZN7rocprim17ROCPRIM_400000_NS6detail17trampoline_kernelINS0_14default_configENS1_29reduce_by_key_config_selectorIilN6thrust23THRUST_200600_302600_NS4plusIlEEEEZZNS1_33reduce_by_key_impl_wrapped_configILNS1_25lookback_scan_determinismE0ES3_S9_PiNS6_17constant_iteratorIiNS6_11use_defaultESE_EENS6_10device_ptrIiEENSG_IlEEPmS8_NS6_8equal_toIiEEEE10hipError_tPvRmT2_T3_mT4_T5_T6_T7_T8_P12ihipStream_tbENKUlT_T0_E_clISt17integral_constantIbLb1EES12_IbLb0EEEEDaSY_SZ_EUlSY_E_NS1_11comp_targetILNS1_3genE5ELNS1_11target_archE942ELNS1_3gpuE9ELNS1_3repE0EEENS1_30default_config_static_selectorELNS0_4arch9wavefront6targetE1EEEvT1_
; %bb.0:
	.section	.rodata,"a",@progbits
	.p2align	6, 0x0
	.amdhsa_kernel _ZN7rocprim17ROCPRIM_400000_NS6detail17trampoline_kernelINS0_14default_configENS1_29reduce_by_key_config_selectorIilN6thrust23THRUST_200600_302600_NS4plusIlEEEEZZNS1_33reduce_by_key_impl_wrapped_configILNS1_25lookback_scan_determinismE0ES3_S9_PiNS6_17constant_iteratorIiNS6_11use_defaultESE_EENS6_10device_ptrIiEENSG_IlEEPmS8_NS6_8equal_toIiEEEE10hipError_tPvRmT2_T3_mT4_T5_T6_T7_T8_P12ihipStream_tbENKUlT_T0_E_clISt17integral_constantIbLb1EES12_IbLb0EEEEDaSY_SZ_EUlSY_E_NS1_11comp_targetILNS1_3genE5ELNS1_11target_archE942ELNS1_3gpuE9ELNS1_3repE0EEENS1_30default_config_static_selectorELNS0_4arch9wavefront6targetE1EEEvT1_
		.amdhsa_group_segment_fixed_size 0
		.amdhsa_private_segment_fixed_size 0
		.amdhsa_kernarg_size 144
		.amdhsa_user_sgpr_count 6
		.amdhsa_user_sgpr_private_segment_buffer 1
		.amdhsa_user_sgpr_dispatch_ptr 0
		.amdhsa_user_sgpr_queue_ptr 0
		.amdhsa_user_sgpr_kernarg_segment_ptr 1
		.amdhsa_user_sgpr_dispatch_id 0
		.amdhsa_user_sgpr_flat_scratch_init 0
		.amdhsa_user_sgpr_kernarg_preload_length 0
		.amdhsa_user_sgpr_kernarg_preload_offset 0
		.amdhsa_user_sgpr_private_segment_size 0
		.amdhsa_uses_dynamic_stack 0
		.amdhsa_system_sgpr_private_segment_wavefront_offset 0
		.amdhsa_system_sgpr_workgroup_id_x 1
		.amdhsa_system_sgpr_workgroup_id_y 0
		.amdhsa_system_sgpr_workgroup_id_z 0
		.amdhsa_system_sgpr_workgroup_info 0
		.amdhsa_system_vgpr_workitem_id 0
		.amdhsa_next_free_vgpr 1
		.amdhsa_next_free_sgpr 0
		.amdhsa_accum_offset 4
		.amdhsa_reserve_vcc 0
		.amdhsa_reserve_flat_scratch 0
		.amdhsa_float_round_mode_32 0
		.amdhsa_float_round_mode_16_64 0
		.amdhsa_float_denorm_mode_32 3
		.amdhsa_float_denorm_mode_16_64 3
		.amdhsa_dx10_clamp 1
		.amdhsa_ieee_mode 1
		.amdhsa_fp16_overflow 0
		.amdhsa_tg_split 0
		.amdhsa_exception_fp_ieee_invalid_op 0
		.amdhsa_exception_fp_denorm_src 0
		.amdhsa_exception_fp_ieee_div_zero 0
		.amdhsa_exception_fp_ieee_overflow 0
		.amdhsa_exception_fp_ieee_underflow 0
		.amdhsa_exception_fp_ieee_inexact 0
		.amdhsa_exception_int_div_zero 0
	.end_amdhsa_kernel
	.section	.text._ZN7rocprim17ROCPRIM_400000_NS6detail17trampoline_kernelINS0_14default_configENS1_29reduce_by_key_config_selectorIilN6thrust23THRUST_200600_302600_NS4plusIlEEEEZZNS1_33reduce_by_key_impl_wrapped_configILNS1_25lookback_scan_determinismE0ES3_S9_PiNS6_17constant_iteratorIiNS6_11use_defaultESE_EENS6_10device_ptrIiEENSG_IlEEPmS8_NS6_8equal_toIiEEEE10hipError_tPvRmT2_T3_mT4_T5_T6_T7_T8_P12ihipStream_tbENKUlT_T0_E_clISt17integral_constantIbLb1EES12_IbLb0EEEEDaSY_SZ_EUlSY_E_NS1_11comp_targetILNS1_3genE5ELNS1_11target_archE942ELNS1_3gpuE9ELNS1_3repE0EEENS1_30default_config_static_selectorELNS0_4arch9wavefront6targetE1EEEvT1_,"axG",@progbits,_ZN7rocprim17ROCPRIM_400000_NS6detail17trampoline_kernelINS0_14default_configENS1_29reduce_by_key_config_selectorIilN6thrust23THRUST_200600_302600_NS4plusIlEEEEZZNS1_33reduce_by_key_impl_wrapped_configILNS1_25lookback_scan_determinismE0ES3_S9_PiNS6_17constant_iteratorIiNS6_11use_defaultESE_EENS6_10device_ptrIiEENSG_IlEEPmS8_NS6_8equal_toIiEEEE10hipError_tPvRmT2_T3_mT4_T5_T6_T7_T8_P12ihipStream_tbENKUlT_T0_E_clISt17integral_constantIbLb1EES12_IbLb0EEEEDaSY_SZ_EUlSY_E_NS1_11comp_targetILNS1_3genE5ELNS1_11target_archE942ELNS1_3gpuE9ELNS1_3repE0EEENS1_30default_config_static_selectorELNS0_4arch9wavefront6targetE1EEEvT1_,comdat
.Lfunc_end957:
	.size	_ZN7rocprim17ROCPRIM_400000_NS6detail17trampoline_kernelINS0_14default_configENS1_29reduce_by_key_config_selectorIilN6thrust23THRUST_200600_302600_NS4plusIlEEEEZZNS1_33reduce_by_key_impl_wrapped_configILNS1_25lookback_scan_determinismE0ES3_S9_PiNS6_17constant_iteratorIiNS6_11use_defaultESE_EENS6_10device_ptrIiEENSG_IlEEPmS8_NS6_8equal_toIiEEEE10hipError_tPvRmT2_T3_mT4_T5_T6_T7_T8_P12ihipStream_tbENKUlT_T0_E_clISt17integral_constantIbLb1EES12_IbLb0EEEEDaSY_SZ_EUlSY_E_NS1_11comp_targetILNS1_3genE5ELNS1_11target_archE942ELNS1_3gpuE9ELNS1_3repE0EEENS1_30default_config_static_selectorELNS0_4arch9wavefront6targetE1EEEvT1_, .Lfunc_end957-_ZN7rocprim17ROCPRIM_400000_NS6detail17trampoline_kernelINS0_14default_configENS1_29reduce_by_key_config_selectorIilN6thrust23THRUST_200600_302600_NS4plusIlEEEEZZNS1_33reduce_by_key_impl_wrapped_configILNS1_25lookback_scan_determinismE0ES3_S9_PiNS6_17constant_iteratorIiNS6_11use_defaultESE_EENS6_10device_ptrIiEENSG_IlEEPmS8_NS6_8equal_toIiEEEE10hipError_tPvRmT2_T3_mT4_T5_T6_T7_T8_P12ihipStream_tbENKUlT_T0_E_clISt17integral_constantIbLb1EES12_IbLb0EEEEDaSY_SZ_EUlSY_E_NS1_11comp_targetILNS1_3genE5ELNS1_11target_archE942ELNS1_3gpuE9ELNS1_3repE0EEENS1_30default_config_static_selectorELNS0_4arch9wavefront6targetE1EEEvT1_
                                        ; -- End function
	.section	.AMDGPU.csdata,"",@progbits
; Kernel info:
; codeLenInByte = 0
; NumSgprs: 4
; NumVgprs: 0
; NumAgprs: 0
; TotalNumVgprs: 0
; ScratchSize: 0
; MemoryBound: 0
; FloatMode: 240
; IeeeMode: 1
; LDSByteSize: 0 bytes/workgroup (compile time only)
; SGPRBlocks: 0
; VGPRBlocks: 0
; NumSGPRsForWavesPerEU: 4
; NumVGPRsForWavesPerEU: 1
; AccumOffset: 4
; Occupancy: 8
; WaveLimiterHint : 0
; COMPUTE_PGM_RSRC2:SCRATCH_EN: 0
; COMPUTE_PGM_RSRC2:USER_SGPR: 6
; COMPUTE_PGM_RSRC2:TRAP_HANDLER: 0
; COMPUTE_PGM_RSRC2:TGID_X_EN: 1
; COMPUTE_PGM_RSRC2:TGID_Y_EN: 0
; COMPUTE_PGM_RSRC2:TGID_Z_EN: 0
; COMPUTE_PGM_RSRC2:TIDIG_COMP_CNT: 0
; COMPUTE_PGM_RSRC3_GFX90A:ACCUM_OFFSET: 0
; COMPUTE_PGM_RSRC3_GFX90A:TG_SPLIT: 0
	.section	.text._ZN7rocprim17ROCPRIM_400000_NS6detail17trampoline_kernelINS0_14default_configENS1_29reduce_by_key_config_selectorIilN6thrust23THRUST_200600_302600_NS4plusIlEEEEZZNS1_33reduce_by_key_impl_wrapped_configILNS1_25lookback_scan_determinismE0ES3_S9_PiNS6_17constant_iteratorIiNS6_11use_defaultESE_EENS6_10device_ptrIiEENSG_IlEEPmS8_NS6_8equal_toIiEEEE10hipError_tPvRmT2_T3_mT4_T5_T6_T7_T8_P12ihipStream_tbENKUlT_T0_E_clISt17integral_constantIbLb1EES12_IbLb0EEEEDaSY_SZ_EUlSY_E_NS1_11comp_targetILNS1_3genE4ELNS1_11target_archE910ELNS1_3gpuE8ELNS1_3repE0EEENS1_30default_config_static_selectorELNS0_4arch9wavefront6targetE1EEEvT1_,"axG",@progbits,_ZN7rocprim17ROCPRIM_400000_NS6detail17trampoline_kernelINS0_14default_configENS1_29reduce_by_key_config_selectorIilN6thrust23THRUST_200600_302600_NS4plusIlEEEEZZNS1_33reduce_by_key_impl_wrapped_configILNS1_25lookback_scan_determinismE0ES3_S9_PiNS6_17constant_iteratorIiNS6_11use_defaultESE_EENS6_10device_ptrIiEENSG_IlEEPmS8_NS6_8equal_toIiEEEE10hipError_tPvRmT2_T3_mT4_T5_T6_T7_T8_P12ihipStream_tbENKUlT_T0_E_clISt17integral_constantIbLb1EES12_IbLb0EEEEDaSY_SZ_EUlSY_E_NS1_11comp_targetILNS1_3genE4ELNS1_11target_archE910ELNS1_3gpuE8ELNS1_3repE0EEENS1_30default_config_static_selectorELNS0_4arch9wavefront6targetE1EEEvT1_,comdat
	.protected	_ZN7rocprim17ROCPRIM_400000_NS6detail17trampoline_kernelINS0_14default_configENS1_29reduce_by_key_config_selectorIilN6thrust23THRUST_200600_302600_NS4plusIlEEEEZZNS1_33reduce_by_key_impl_wrapped_configILNS1_25lookback_scan_determinismE0ES3_S9_PiNS6_17constant_iteratorIiNS6_11use_defaultESE_EENS6_10device_ptrIiEENSG_IlEEPmS8_NS6_8equal_toIiEEEE10hipError_tPvRmT2_T3_mT4_T5_T6_T7_T8_P12ihipStream_tbENKUlT_T0_E_clISt17integral_constantIbLb1EES12_IbLb0EEEEDaSY_SZ_EUlSY_E_NS1_11comp_targetILNS1_3genE4ELNS1_11target_archE910ELNS1_3gpuE8ELNS1_3repE0EEENS1_30default_config_static_selectorELNS0_4arch9wavefront6targetE1EEEvT1_ ; -- Begin function _ZN7rocprim17ROCPRIM_400000_NS6detail17trampoline_kernelINS0_14default_configENS1_29reduce_by_key_config_selectorIilN6thrust23THRUST_200600_302600_NS4plusIlEEEEZZNS1_33reduce_by_key_impl_wrapped_configILNS1_25lookback_scan_determinismE0ES3_S9_PiNS6_17constant_iteratorIiNS6_11use_defaultESE_EENS6_10device_ptrIiEENSG_IlEEPmS8_NS6_8equal_toIiEEEE10hipError_tPvRmT2_T3_mT4_T5_T6_T7_T8_P12ihipStream_tbENKUlT_T0_E_clISt17integral_constantIbLb1EES12_IbLb0EEEEDaSY_SZ_EUlSY_E_NS1_11comp_targetILNS1_3genE4ELNS1_11target_archE910ELNS1_3gpuE8ELNS1_3repE0EEENS1_30default_config_static_selectorELNS0_4arch9wavefront6targetE1EEEvT1_
	.globl	_ZN7rocprim17ROCPRIM_400000_NS6detail17trampoline_kernelINS0_14default_configENS1_29reduce_by_key_config_selectorIilN6thrust23THRUST_200600_302600_NS4plusIlEEEEZZNS1_33reduce_by_key_impl_wrapped_configILNS1_25lookback_scan_determinismE0ES3_S9_PiNS6_17constant_iteratorIiNS6_11use_defaultESE_EENS6_10device_ptrIiEENSG_IlEEPmS8_NS6_8equal_toIiEEEE10hipError_tPvRmT2_T3_mT4_T5_T6_T7_T8_P12ihipStream_tbENKUlT_T0_E_clISt17integral_constantIbLb1EES12_IbLb0EEEEDaSY_SZ_EUlSY_E_NS1_11comp_targetILNS1_3genE4ELNS1_11target_archE910ELNS1_3gpuE8ELNS1_3repE0EEENS1_30default_config_static_selectorELNS0_4arch9wavefront6targetE1EEEvT1_
	.p2align	8
	.type	_ZN7rocprim17ROCPRIM_400000_NS6detail17trampoline_kernelINS0_14default_configENS1_29reduce_by_key_config_selectorIilN6thrust23THRUST_200600_302600_NS4plusIlEEEEZZNS1_33reduce_by_key_impl_wrapped_configILNS1_25lookback_scan_determinismE0ES3_S9_PiNS6_17constant_iteratorIiNS6_11use_defaultESE_EENS6_10device_ptrIiEENSG_IlEEPmS8_NS6_8equal_toIiEEEE10hipError_tPvRmT2_T3_mT4_T5_T6_T7_T8_P12ihipStream_tbENKUlT_T0_E_clISt17integral_constantIbLb1EES12_IbLb0EEEEDaSY_SZ_EUlSY_E_NS1_11comp_targetILNS1_3genE4ELNS1_11target_archE910ELNS1_3gpuE8ELNS1_3repE0EEENS1_30default_config_static_selectorELNS0_4arch9wavefront6targetE1EEEvT1_,@function
_ZN7rocprim17ROCPRIM_400000_NS6detail17trampoline_kernelINS0_14default_configENS1_29reduce_by_key_config_selectorIilN6thrust23THRUST_200600_302600_NS4plusIlEEEEZZNS1_33reduce_by_key_impl_wrapped_configILNS1_25lookback_scan_determinismE0ES3_S9_PiNS6_17constant_iteratorIiNS6_11use_defaultESE_EENS6_10device_ptrIiEENSG_IlEEPmS8_NS6_8equal_toIiEEEE10hipError_tPvRmT2_T3_mT4_T5_T6_T7_T8_P12ihipStream_tbENKUlT_T0_E_clISt17integral_constantIbLb1EES12_IbLb0EEEEDaSY_SZ_EUlSY_E_NS1_11comp_targetILNS1_3genE4ELNS1_11target_archE910ELNS1_3gpuE8ELNS1_3repE0EEENS1_30default_config_static_selectorELNS0_4arch9wavefront6targetE1EEEvT1_: ; @_ZN7rocprim17ROCPRIM_400000_NS6detail17trampoline_kernelINS0_14default_configENS1_29reduce_by_key_config_selectorIilN6thrust23THRUST_200600_302600_NS4plusIlEEEEZZNS1_33reduce_by_key_impl_wrapped_configILNS1_25lookback_scan_determinismE0ES3_S9_PiNS6_17constant_iteratorIiNS6_11use_defaultESE_EENS6_10device_ptrIiEENSG_IlEEPmS8_NS6_8equal_toIiEEEE10hipError_tPvRmT2_T3_mT4_T5_T6_T7_T8_P12ihipStream_tbENKUlT_T0_E_clISt17integral_constantIbLb1EES12_IbLb0EEEEDaSY_SZ_EUlSY_E_NS1_11comp_targetILNS1_3genE4ELNS1_11target_archE910ELNS1_3gpuE8ELNS1_3repE0EEENS1_30default_config_static_selectorELNS0_4arch9wavefront6targetE1EEEvT1_
; %bb.0:
	s_load_dwordx16 s[36:51], s[4:5], 0x40
	s_load_dwordx4 s[0:3], s[4:5], 0x0
	s_load_dword s10, s[4:5], 0x18
	s_load_dwordx4 s[52:55], s[4:5], 0x20
	s_load_dwordx2 s[34:35], s[4:5], 0x30
	s_waitcnt lgkmcnt(0)
	s_mul_i32 s7, s44, s43
	s_mul_hi_u32 s8, s44, s42
	s_add_i32 s7, s8, s7
	s_mul_i32 s8, s45, s42
	s_add_i32 s7, s7, s8
	s_lshl_b64 s[2:3], s[2:3], 2
	s_add_u32 s2, s0, s2
	s_addc_u32 s3, s1, s3
	s_mul_i32 s0, s6, 0xf00
	s_mov_b32 s1, 0
	s_lshl_b64 s[0:1], s[0:1], 2
	s_add_u32 s0, s2, s0
	s_mul_i32 s8, s44, s42
	s_addc_u32 s1, s3, s1
	s_add_u32 s2, s8, s6
	s_addc_u32 s3, s7, 0
	s_add_u32 s14, s46, -1
	s_addc_u32 s15, s47, -1
	s_cmp_eq_u64 s[2:3], s[14:15]
	s_cselect_b64 s[44:45], -1, 0
	s_cmp_lg_u64 s[2:3], s[14:15]
	s_mov_b64 s[12:13], -1
	s_cselect_b64 s[8:9], -1, 0
	s_mul_i32 s33, s14, 0xfffff100
	s_and_b64 vcc, exec, s[44:45]
	s_cbranch_vccnz .LBB958_2
; %bb.1:
	v_lshlrev_b32_e32 v1, 2, v0
	v_mov_b32_e32 v2, s1
	v_add_co_u32_e32 v4, vcc, s0, v1
	v_addc_co_u32_e32 v5, vcc, 0, v2, vcc
	v_add_co_u32_e32 v2, vcc, 0x1000, v4
	v_addc_co_u32_e32 v3, vcc, 0, v5, vcc
	global_load_dword v6, v1, s[0:1]
	global_load_dword v7, v1, s[0:1] offset:1024
	global_load_dword v8, v1, s[0:1] offset:2048
	;; [unrolled: 1-line block ×3, first 2 shown]
	global_load_dword v10, v[2:3], off
	global_load_dword v11, v[2:3], off offset:1024
	global_load_dword v12, v[2:3], off offset:2048
	;; [unrolled: 1-line block ×3, first 2 shown]
	v_add_co_u32_e32 v2, vcc, 0x2000, v4
	v_addc_co_u32_e32 v3, vcc, 0, v5, vcc
	v_add_co_u32_e32 v4, vcc, 0x3000, v4
	v_addc_co_u32_e32 v5, vcc, 0, v5, vcc
	global_load_dword v14, v[2:3], off
	global_load_dword v15, v[2:3], off offset:1024
	global_load_dword v16, v[2:3], off offset:2048
	;; [unrolled: 1-line block ×3, first 2 shown]
	global_load_dword v30, v[4:5], off
	global_load_dword v31, v[4:5], off offset:1024
	global_load_dword v32, v[4:5], off offset:2048
	v_mad_u32_u24 v33, v0, 56, v1
	s_ashr_i32 s11, s10, 31
	s_movk_i32 s7, 0xffcc
	v_mul_u32_u24_e32 v2, 15, v0
	v_mad_u32_u24 v19, v0, 15, 1
	v_mad_u32_u24 v3, v0, 15, 2
	;; [unrolled: 1-line block ×14, first 2 shown]
	v_pk_mov_b32 v[26:27], s[10:11], s[10:11] op_sel:[0,1]
	v_mad_i32_i24 v34, v0, s7, v33
	s_waitcnt vmcnt(13)
	ds_write2st64_b32 v1, v6, v7 offset1:4
	s_waitcnt vmcnt(11)
	ds_write2st64_b32 v1, v8, v9 offset0:8 offset1:12
	s_waitcnt vmcnt(9)
	ds_write2st64_b32 v1, v10, v11 offset0:16 offset1:20
	;; [unrolled: 2-line block ×6, first 2 shown]
	s_waitcnt vmcnt(0)
	ds_write_b32 v1, v32 offset:14336
	s_waitcnt lgkmcnt(0)
	s_barrier
	ds_read2_b32 v[16:17], v33 offset1:1
	ds_read2_b32 v[14:15], v33 offset0:2 offset1:3
	ds_read2_b32 v[12:13], v33 offset0:4 offset1:5
	;; [unrolled: 1-line block ×6, first 2 shown]
	ds_read_b32 v1, v33 offset:56
	s_waitcnt lgkmcnt(7)
	v_mov_b32_e32 v52, v16
	s_waitcnt lgkmcnt(6)
	v_mov_b32_e32 v53, v14
	;; [unrolled: 2-line block ×7, first 2 shown]
	s_waitcnt lgkmcnt(0)
	s_barrier
	ds_write2st64_b64 v34, v[26:27], v[26:27] offset1:4
	ds_write2st64_b64 v34, v[26:27], v[26:27] offset0:8 offset1:12
	ds_write2st64_b64 v34, v[26:27], v[26:27] offset0:16 offset1:20
	;; [unrolled: 1-line block ×6, first 2 shown]
	ds_write_b64 v34, v[26:27] offset:28672
	s_waitcnt lgkmcnt(0)
	s_barrier
	s_load_dwordx2 s[30:31], s[4:5], 0x80
	s_add_i32 s33, s33, s48
	s_cbranch_execz .LBB958_3
	s_branch .LBB958_34
.LBB958_2:
                                        ; implicit-def: $vgpr1
                                        ; implicit-def: $vgpr4
                                        ; implicit-def: $vgpr6
                                        ; implicit-def: $vgpr8
                                        ; implicit-def: $vgpr10
                                        ; implicit-def: $vgpr12
                                        ; implicit-def: $vgpr14
                                        ; implicit-def: $vgpr16
                                        ; implicit-def: $vgpr45
                                        ; implicit-def: $vgpr54
                                        ; implicit-def: $vgpr44
                                        ; implicit-def: $vgpr29
                                        ; implicit-def: $vgpr24
                                        ; implicit-def: $vgpr28
                                        ; implicit-def: $vgpr23
                                        ; implicit-def: $vgpr25
                                        ; implicit-def: $vgpr20
                                        ; implicit-def: $vgpr22
                                        ; implicit-def: $vgpr18
                                        ; implicit-def: $vgpr21
                                        ; implicit-def: $vgpr3
                                        ; implicit-def: $vgpr19
                                        ; implicit-def: $vgpr2
                                        ; implicit-def: $vgpr46_vgpr47
                                        ; implicit-def: $vgpr48_vgpr49
                                        ; implicit-def: $vgpr52_vgpr53
                                        ; implicit-def: $vgpr50_vgpr51
	s_load_dwordx2 s[30:31], s[4:5], 0x80
	s_andn2_b64 vcc, exec, s[12:13]
	s_add_i32 s33, s33, s48
	s_cbranch_vccnz .LBB958_34
.LBB958_3:
	v_cmp_gt_u32_e32 vcc, s33, v0
                                        ; implicit-def: $vgpr1
	s_and_saveexec_b64 s[4:5], vcc
	s_cbranch_execz .LBB958_5
; %bb.4:
	v_lshlrev_b32_e32 v1, 2, v0
	global_load_dword v1, v1, s[0:1]
.LBB958_5:
	s_or_b64 exec, exec, s[4:5]
	v_or_b32_e32 v2, 0x100, v0
	v_cmp_gt_u32_e32 vcc, s33, v2
                                        ; implicit-def: $vgpr2
	s_and_saveexec_b64 s[4:5], vcc
	s_cbranch_execz .LBB958_7
; %bb.6:
	v_lshlrev_b32_e32 v2, 2, v0
	global_load_dword v2, v2, s[0:1] offset:1024
.LBB958_7:
	s_or_b64 exec, exec, s[4:5]
	v_or_b32_e32 v3, 0x200, v0
	v_cmp_gt_u32_e32 vcc, s33, v3
                                        ; implicit-def: $vgpr3
	s_and_saveexec_b64 s[4:5], vcc
	s_cbranch_execz .LBB958_9
; %bb.8:
	v_lshlrev_b32_e32 v3, 2, v0
	global_load_dword v3, v3, s[0:1] offset:2048
.LBB958_9:
	s_or_b64 exec, exec, s[4:5]
	v_or_b32_e32 v4, 0x300, v0
	v_cmp_gt_u32_e32 vcc, s33, v4
                                        ; implicit-def: $vgpr4
	s_and_saveexec_b64 s[4:5], vcc
	s_cbranch_execz .LBB958_11
; %bb.10:
	v_lshlrev_b32_e32 v4, 2, v0
	global_load_dword v4, v4, s[0:1] offset:3072
.LBB958_11:
	s_or_b64 exec, exec, s[4:5]
	v_or_b32_e32 v6, 0x400, v0
	v_cmp_gt_u32_e32 vcc, s33, v6
                                        ; implicit-def: $vgpr5
	s_and_saveexec_b64 s[4:5], vcc
	s_cbranch_execz .LBB958_13
; %bb.12:
	v_lshlrev_b32_e32 v5, 2, v6
	global_load_dword v5, v5, s[0:1]
.LBB958_13:
	s_or_b64 exec, exec, s[4:5]
	v_or_b32_e32 v7, 0x500, v0
	v_cmp_gt_u32_e32 vcc, s33, v7
                                        ; implicit-def: $vgpr6
	s_and_saveexec_b64 s[4:5], vcc
	s_cbranch_execz .LBB958_15
; %bb.14:
	v_lshlrev_b32_e32 v6, 2, v7
	global_load_dword v6, v6, s[0:1]
.LBB958_15:
	s_or_b64 exec, exec, s[4:5]
	v_or_b32_e32 v8, 0x600, v0
	v_cmp_gt_u32_e32 vcc, s33, v8
                                        ; implicit-def: $vgpr7
	s_and_saveexec_b64 s[4:5], vcc
	s_cbranch_execz .LBB958_17
; %bb.16:
	v_lshlrev_b32_e32 v7, 2, v8
	global_load_dword v7, v7, s[0:1]
.LBB958_17:
	s_or_b64 exec, exec, s[4:5]
	v_or_b32_e32 v9, 0x700, v0
	v_cmp_gt_u32_e32 vcc, s33, v9
                                        ; implicit-def: $vgpr8
	s_and_saveexec_b64 s[4:5], vcc
	s_cbranch_execz .LBB958_19
; %bb.18:
	v_lshlrev_b32_e32 v8, 2, v9
	global_load_dword v8, v8, s[0:1]
.LBB958_19:
	s_or_b64 exec, exec, s[4:5]
	v_or_b32_e32 v10, 0x800, v0
	v_cmp_gt_u32_e32 vcc, s33, v10
                                        ; implicit-def: $vgpr9
	s_and_saveexec_b64 s[4:5], vcc
	s_cbranch_execz .LBB958_21
; %bb.20:
	v_lshlrev_b32_e32 v9, 2, v10
	global_load_dword v9, v9, s[0:1]
.LBB958_21:
	s_or_b64 exec, exec, s[4:5]
	v_or_b32_e32 v11, 0x900, v0
	v_cmp_gt_u32_e32 vcc, s33, v11
                                        ; implicit-def: $vgpr10
	s_and_saveexec_b64 s[4:5], vcc
	s_cbranch_execz .LBB958_23
; %bb.22:
	v_lshlrev_b32_e32 v10, 2, v11
	global_load_dword v10, v10, s[0:1]
.LBB958_23:
	s_or_b64 exec, exec, s[4:5]
	v_or_b32_e32 v12, 0xa00, v0
	v_cmp_gt_u32_e32 vcc, s33, v12
                                        ; implicit-def: $vgpr11
	s_and_saveexec_b64 s[4:5], vcc
	s_cbranch_execz .LBB958_25
; %bb.24:
	v_lshlrev_b32_e32 v11, 2, v12
	global_load_dword v11, v11, s[0:1]
.LBB958_25:
	s_or_b64 exec, exec, s[4:5]
	v_or_b32_e32 v13, 0xb00, v0
	v_cmp_gt_u32_e32 vcc, s33, v13
                                        ; implicit-def: $vgpr12
	s_and_saveexec_b64 s[4:5], vcc
	s_cbranch_execz .LBB958_27
; %bb.26:
	v_lshlrev_b32_e32 v12, 2, v13
	global_load_dword v12, v12, s[0:1]
.LBB958_27:
	s_or_b64 exec, exec, s[4:5]
	v_or_b32_e32 v14, 0xc00, v0
	v_cmp_gt_u32_e32 vcc, s33, v14
                                        ; implicit-def: $vgpr13
	s_and_saveexec_b64 s[4:5], vcc
	s_cbranch_execz .LBB958_29
; %bb.28:
	v_lshlrev_b32_e32 v13, 2, v14
	global_load_dword v13, v13, s[0:1]
.LBB958_29:
	s_or_b64 exec, exec, s[4:5]
	v_or_b32_e32 v15, 0xd00, v0
	v_cmp_gt_u32_e32 vcc, s33, v15
                                        ; implicit-def: $vgpr14
	s_and_saveexec_b64 s[4:5], vcc
	s_cbranch_execz .LBB958_31
; %bb.30:
	v_lshlrev_b32_e32 v14, 2, v15
	global_load_dword v14, v14, s[0:1]
.LBB958_31:
	s_or_b64 exec, exec, s[4:5]
	v_or_b32_e32 v16, 0xe00, v0
	v_cmp_gt_u32_e32 vcc, s33, v16
                                        ; implicit-def: $vgpr15
	s_and_saveexec_b64 s[4:5], vcc
	s_cbranch_execz .LBB958_33
; %bb.32:
	v_lshlrev_b32_e32 v15, 2, v16
	global_load_dword v15, v15, s[0:1]
.LBB958_33:
	s_or_b64 exec, exec, s[4:5]
	v_lshlrev_b32_e32 v16, 2, v0
	v_mad_u32_u24 v26, v0, 56, v16
	s_waitcnt vmcnt(0)
	ds_write2st64_b32 v16, v1, v2 offset1:4
	ds_write2st64_b32 v16, v3, v4 offset0:8 offset1:12
	ds_write2st64_b32 v16, v5, v6 offset0:16 offset1:20
	;; [unrolled: 1-line block ×6, first 2 shown]
	ds_write_b32 v16, v15 offset:14336
	s_waitcnt lgkmcnt(0)
	s_barrier
	ds_read2_b32 v[16:17], v26 offset1:1
	ds_read2_b32 v[14:15], v26 offset0:2 offset1:3
	ds_read2_b32 v[12:13], v26 offset0:4 offset1:5
	ds_read2_b32 v[10:11], v26 offset0:6 offset1:7
	ds_read2_b32 v[8:9], v26 offset0:8 offset1:9
	ds_read2_b32 v[6:7], v26 offset0:10 offset1:11
	ds_read2_b32 v[4:5], v26 offset0:12 offset1:13
	ds_read_b32 v1, v26 offset:56
	s_ashr_i32 s11, s10, 31
	s_movk_i32 s4, 0xffcc
	v_mul_u32_u24_e32 v2, 15, v0
	v_mad_u32_u24 v19, v0, 15, 1
	v_mad_u32_u24 v3, v0, 15, 2
	;; [unrolled: 1-line block ×14, first 2 shown]
	v_mad_i32_i24 v30, v0, s4, v26
	v_pk_mov_b32 v[26:27], s[10:11], s[10:11] op_sel:[0,1]
	s_waitcnt lgkmcnt(7)
	v_mov_b32_e32 v52, v16
	s_waitcnt lgkmcnt(6)
	v_mov_b32_e32 v53, v14
	;; [unrolled: 2-line block ×7, first 2 shown]
	s_waitcnt lgkmcnt(0)
	s_barrier
	ds_write2st64_b64 v30, v[26:27], v[26:27] offset1:4
	ds_write2st64_b64 v30, v[26:27], v[26:27] offset0:8 offset1:12
	ds_write2st64_b64 v30, v[26:27], v[26:27] offset0:16 offset1:20
	;; [unrolled: 1-line block ×6, first 2 shown]
	ds_write_b64 v30, v[26:27] offset:28672
	s_waitcnt lgkmcnt(0)
	s_barrier
.LBB958_34:
	v_lshlrev_b32_e32 v2, 3, v2
	v_lshlrev_b32_e32 v3, 3, v3
	s_waitcnt lgkmcnt(0)
	v_lshlrev_b32_e32 v19, 3, v19
	v_lshlrev_b32_e32 v21, 3, v21
	ds_read_b64 v[42:43], v2
	ds_read_b64 v[40:41], v19
	ds_read_b64 v[38:39], v3
	ds_read_b64 v[34:35], v21
	v_lshlrev_b32_e32 v2, 3, v18
	v_lshlrev_b32_e32 v3, 3, v22
	v_lshlrev_b32_e32 v18, 3, v20
	v_lshlrev_b32_e32 v19, 3, v25
	ds_read_b64 v[36:37], v2
	ds_read_b64 v[32:33], v3
	ds_read_b64 v[30:31], v18
	ds_read_b64 v[26:27], v19
	v_lshlrev_b32_e32 v2, 3, v23
	v_lshlrev_b32_e32 v3, 3, v28
	;; [unrolled: 8-line block ×3, first 2 shown]
	v_lshlrev_b32_e32 v44, 3, v45
	ds_read_b64 v[18:19], v2
	ds_read_b64 v[2:3], v3
	;; [unrolled: 1-line block ×3, first 2 shown]
	s_cmp_eq_u64 s[2:3], 0
	s_cselect_b64 s[46:47], -1, 0
	s_cmp_lg_u64 s[2:3], 0
	s_mov_b64 s[4:5], 0
	s_cselect_b64 s[10:11], -1, 0
	s_and_b64 vcc, exec, s[8:9]
	s_waitcnt lgkmcnt(0)
	s_barrier
	s_cbranch_vccz .LBB958_40
; %bb.35:
	s_and_b64 vcc, exec, s[10:11]
	s_cbranch_vccz .LBB958_41
; %bb.36:
	s_add_u32 s4, s0, -4
	s_addc_u32 s5, s1, -1
	s_load_dword s4, s[4:5], 0x0
	v_lshlrev_b32_e32 v54, 2, v0
	v_cmp_ne_u32_e32 vcc, 0, v0
	ds_write_b32 v54, v1
	s_waitcnt lgkmcnt(0)
	v_mov_b32_e32 v51, s4
	s_barrier
	s_and_saveexec_b64 s[4:5], vcc
	s_cbranch_execz .LBB958_38
; %bb.37:
	v_add_u32_e32 v51, -4, v54
	ds_read_b32 v51, v51
.LBB958_38:
	s_or_b64 exec, exec, s[4:5]
	v_cmp_ne_u32_e32 vcc, v52, v17
	v_cndmask_b32_e64 v95, 0, 1, vcc
	v_cmp_ne_u32_e32 vcc, v53, v17
	v_cndmask_b32_e64 v94, 0, 1, vcc
	;; [unrolled: 2-line block ×14, first 2 shown]
	s_waitcnt lgkmcnt(0)
	v_cmp_ne_u32_e64 s[8:9], v51, v16
	s_mov_b64 s[4:5], -1
.LBB958_39:
                                        ; implicit-def: $sgpr7
	s_branch .LBB958_53
.LBB958_40:
                                        ; implicit-def: $sgpr8_sgpr9
                                        ; implicit-def: $vgpr82
                                        ; implicit-def: $vgpr83
                                        ; implicit-def: $vgpr84
                                        ; implicit-def: $vgpr85
                                        ; implicit-def: $vgpr86
                                        ; implicit-def: $vgpr87
                                        ; implicit-def: $vgpr88
                                        ; implicit-def: $vgpr89
                                        ; implicit-def: $vgpr90
                                        ; implicit-def: $vgpr91
                                        ; implicit-def: $vgpr92
                                        ; implicit-def: $vgpr93
                                        ; implicit-def: $vgpr94
                                        ; implicit-def: $vgpr95
                                        ; implicit-def: $sgpr7
	s_cbranch_execnz .LBB958_45
	s_branch .LBB958_53
.LBB958_41:
                                        ; implicit-def: $sgpr8_sgpr9
                                        ; implicit-def: $vgpr82
                                        ; implicit-def: $vgpr83
                                        ; implicit-def: $vgpr84
                                        ; implicit-def: $vgpr85
                                        ; implicit-def: $vgpr86
                                        ; implicit-def: $vgpr87
                                        ; implicit-def: $vgpr88
                                        ; implicit-def: $vgpr89
                                        ; implicit-def: $vgpr90
                                        ; implicit-def: $vgpr91
                                        ; implicit-def: $vgpr92
                                        ; implicit-def: $vgpr93
                                        ; implicit-def: $vgpr94
                                        ; implicit-def: $vgpr95
	s_cbranch_execz .LBB958_39
; %bb.42:
	v_cmp_ne_u32_e32 vcc, v17, v52
	v_cndmask_b32_e64 v95, 0, 1, vcc
	v_cmp_ne_u32_e32 vcc, v17, v53
	v_cndmask_b32_e64 v94, 0, 1, vcc
	v_cmp_ne_u32_e32 vcc, v53, v15
	v_cndmask_b32_e64 v93, 0, 1, vcc
	v_cmp_ne_u32_e32 vcc, v48, v15
	v_cndmask_b32_e64 v92, 0, 1, vcc
	v_cmp_ne_u32_e32 vcc, v13, v48
	v_cndmask_b32_e64 v91, 0, 1, vcc
	v_cmp_ne_u32_e32 vcc, v13, v49
	v_cndmask_b32_e64 v90, 0, 1, vcc
	v_cmp_ne_u32_e32 vcc, v49, v11
	v_cndmask_b32_e64 v89, 0, 1, vcc
	v_cmp_ne_u32_e32 vcc, v46, v11
	v_cndmask_b32_e64 v88, 0, 1, vcc
	v_cmp_ne_u32_e32 vcc, v9, v46
	v_cndmask_b32_e64 v87, 0, 1, vcc
	v_cmp_ne_u32_e32 vcc, v9, v47
	v_cndmask_b32_e64 v86, 0, 1, vcc
	v_cmp_ne_u32_e32 vcc, v47, v7
	v_cndmask_b32_e64 v85, 0, 1, vcc
	v_cmp_ne_u32_e32 vcc, v50, v7
	v_cndmask_b32_e64 v84, 0, 1, vcc
	v_cmp_ne_u32_e32 vcc, v5, v50
	v_cndmask_b32_e64 v83, 0, 1, vcc
	v_cmp_ne_u32_e32 vcc, v5, v1
	v_lshlrev_b32_e32 v51, 2, v0
	v_cndmask_b32_e64 v82, 0, 1, vcc
	v_cmp_ne_u32_e32 vcc, 0, v0
	ds_write_b32 v51, v1
	s_waitcnt lgkmcnt(0)
	s_barrier
	s_waitcnt lgkmcnt(0)
                                        ; implicit-def: $sgpr8_sgpr9
	s_and_saveexec_b64 s[12:13], vcc
	s_xor_b64 s[12:13], exec, s[12:13]
	s_cbranch_execz .LBB958_44
; %bb.43:
	v_add_u32_e32 v46, -4, v51
	ds_read_b32 v46, v46
	s_or_b64 s[4:5], s[4:5], exec
	s_waitcnt lgkmcnt(0)
	v_cmp_ne_u32_e32 vcc, v46, v16
	s_and_b64 s[8:9], vcc, exec
.LBB958_44:
	s_or_b64 exec, exec, s[12:13]
	s_mov_b32 s7, 1
	s_branch .LBB958_53
.LBB958_45:
	s_mul_hi_u32 s7, s2, 0xfffff100
	s_mulk_i32 s3, 0xf100
	s_sub_i32 s7, s7, s2
	s_add_i32 s7, s7, s3
	s_mulk_i32 s2, 0xf100
	s_add_u32 s2, s2, s48
	s_addc_u32 s3, s7, s49
	s_and_b64 vcc, exec, s[10:11]
	s_cbranch_vccz .LBB958_50
; %bb.46:
	s_add_u32 s0, s0, -4
	s_addc_u32 s1, s1, -1
	v_mad_u32_u24 v48, v0, 15, 14
	v_mov_b32_e32 v49, 0
	s_load_dword s7, s[0:1], 0x0
	v_cmp_gt_u64_e32 vcc, s[2:3], v[48:49]
	v_cmp_ne_u32_e64 s[0:1], v5, v1
	v_mad_u32_u24 v48, v0, 15, 13
	s_and_b64 s[4:5], vcc, s[0:1]
	v_cmp_gt_u64_e32 vcc, s[2:3], v[48:49]
	v_cmp_ne_u32_e64 s[0:1], v4, v5
	v_mad_u32_u24 v48, v0, 15, 12
	s_and_b64 s[8:9], vcc, s[0:1]
	v_cmp_gt_u64_e32 vcc, s[2:3], v[48:49]
	v_cmp_ne_u32_e64 s[0:1], v7, v4
	v_mad_u32_u24 v48, v0, 15, 11
	s_and_b64 s[10:11], vcc, s[0:1]
	v_cmp_gt_u64_e32 vcc, s[2:3], v[48:49]
	v_cmp_ne_u32_e64 s[0:1], v6, v7
	v_mad_u32_u24 v48, v0, 15, 10
	s_and_b64 s[12:13], vcc, s[0:1]
	v_cmp_gt_u64_e32 vcc, s[2:3], v[48:49]
	v_cmp_ne_u32_e64 s[0:1], v9, v6
	v_mad_u32_u24 v48, v0, 15, 9
	s_and_b64 s[14:15], vcc, s[0:1]
	v_cmp_gt_u64_e32 vcc, s[2:3], v[48:49]
	v_cmp_ne_u32_e64 s[0:1], v8, v9
	v_mad_u32_u24 v48, v0, 15, 8
	s_and_b64 s[16:17], vcc, s[0:1]
	v_cmp_gt_u64_e32 vcc, s[2:3], v[48:49]
	v_cmp_ne_u32_e64 s[0:1], v11, v8
	v_mad_u32_u24 v48, v0, 15, 7
	s_and_b64 s[18:19], vcc, s[0:1]
	v_cmp_gt_u64_e32 vcc, s[2:3], v[48:49]
	v_cmp_ne_u32_e64 s[0:1], v10, v11
	v_mad_u32_u24 v48, v0, 15, 6
	s_and_b64 s[20:21], vcc, s[0:1]
	v_cmp_gt_u64_e32 vcc, s[2:3], v[48:49]
	v_cmp_ne_u32_e64 s[0:1], v13, v10
	v_mad_u32_u24 v48, v0, 15, 5
	s_and_b64 s[22:23], vcc, s[0:1]
	v_cmp_gt_u64_e32 vcc, s[2:3], v[48:49]
	v_cmp_ne_u32_e64 s[0:1], v12, v13
	v_mad_u32_u24 v48, v0, 15, 4
	s_and_b64 s[24:25], vcc, s[0:1]
	v_cmp_gt_u64_e32 vcc, s[2:3], v[48:49]
	v_cmp_ne_u32_e64 s[0:1], v15, v12
	v_mad_u32_u24 v48, v0, 15, 3
	s_and_b64 s[26:27], vcc, s[0:1]
	v_cmp_gt_u64_e32 vcc, s[2:3], v[48:49]
	v_cmp_ne_u32_e64 s[0:1], v14, v15
	v_mad_u32_u24 v48, v0, 15, 2
	s_and_b64 s[28:29], vcc, s[0:1]
	v_cmp_gt_u64_e32 vcc, s[2:3], v[48:49]
	v_cmp_ne_u32_e64 s[0:1], v17, v14
	v_mad_u32_u24 v48, v0, 15, 1
	s_and_b64 s[48:49], vcc, s[0:1]
	v_cmp_gt_u64_e32 vcc, s[2:3], v[48:49]
	v_cmp_ne_u32_e64 s[0:1], v16, v17
	v_lshlrev_b32_e32 v47, 2, v0
	v_mul_u32_u24_e32 v46, 15, v0
	s_and_b64 s[0:1], vcc, s[0:1]
	v_cmp_ne_u32_e32 vcc, 0, v0
	s_waitcnt lgkmcnt(0)
	v_mov_b32_e32 v48, s7
	ds_write_b32 v47, v1
	s_waitcnt lgkmcnt(0)
	s_barrier
	s_and_saveexec_b64 s[56:57], vcc
	s_cbranch_execz .LBB958_48
; %bb.47:
	v_add_u32_e32 v47, -4, v47
	ds_read_b32 v48, v47
.LBB958_48:
	s_or_b64 exec, exec, s[56:57]
	v_mov_b32_e32 v47, v49
	v_cndmask_b32_e64 v95, 0, 1, s[0:1]
	v_cmp_gt_u64_e32 vcc, s[2:3], v[46:47]
	s_waitcnt lgkmcnt(0)
	v_cmp_ne_u32_e64 s[0:1], v48, v16
	v_cndmask_b32_e64 v82, 0, 1, s[4:5]
	v_cndmask_b32_e64 v83, 0, 1, s[8:9]
	;; [unrolled: 1-line block ×13, first 2 shown]
	s_and_b64 s[8:9], vcc, s[0:1]
	s_mov_b64 s[4:5], -1
.LBB958_49:
                                        ; implicit-def: $sgpr7
	v_mov_b32_e32 v96, s7
	s_and_saveexec_b64 s[0:1], s[4:5]
	s_cbranch_execnz .LBB958_54
	s_branch .LBB958_55
.LBB958_50:
                                        ; implicit-def: $sgpr8_sgpr9
                                        ; implicit-def: $vgpr82
                                        ; implicit-def: $vgpr83
                                        ; implicit-def: $vgpr84
                                        ; implicit-def: $vgpr85
                                        ; implicit-def: $vgpr86
                                        ; implicit-def: $vgpr87
                                        ; implicit-def: $vgpr88
                                        ; implicit-def: $vgpr89
                                        ; implicit-def: $vgpr90
                                        ; implicit-def: $vgpr91
                                        ; implicit-def: $vgpr92
                                        ; implicit-def: $vgpr93
                                        ; implicit-def: $vgpr94
                                        ; implicit-def: $vgpr95
	s_cbranch_execz .LBB958_49
; %bb.51:
	v_mad_u32_u24 v46, v0, 15, 14
	v_mov_b32_e32 v47, 0
	v_cmp_gt_u64_e32 vcc, s[2:3], v[46:47]
	v_cmp_ne_u32_e64 s[0:1], v5, v1
	s_and_b64 s[0:1], vcc, s[0:1]
	v_mad_u32_u24 v46, v0, 15, 13
	v_cndmask_b32_e64 v82, 0, 1, s[0:1]
	v_cmp_gt_u64_e32 vcc, s[2:3], v[46:47]
	v_cmp_ne_u32_e64 s[0:1], v4, v5
	s_and_b64 s[0:1], vcc, s[0:1]
	v_mad_u32_u24 v46, v0, 15, 12
	v_cndmask_b32_e64 v83, 0, 1, s[0:1]
	;; [unrolled: 5-line block ×13, first 2 shown]
	v_cmp_gt_u64_e32 vcc, s[2:3], v[46:47]
	v_cmp_ne_u32_e64 s[0:1], v16, v17
	s_and_b64 s[0:1], vcc, s[0:1]
	v_lshlrev_b32_e32 v48, 2, v0
	s_mov_b32 s7, 1
	v_cndmask_b32_e64 v95, 0, 1, s[0:1]
	v_cmp_ne_u32_e32 vcc, 0, v0
	ds_write_b32 v48, v1
	s_waitcnt lgkmcnt(0)
	s_barrier
	s_waitcnt lgkmcnt(0)
                                        ; implicit-def: $sgpr8_sgpr9
	s_and_saveexec_b64 s[10:11], vcc
	s_cbranch_execz .LBB958_206
; %bb.52:
	v_add_u32_e32 v46, -4, v48
	ds_read_b32 v48, v46
	v_mul_u32_u24_e32 v46, 15, v0
	v_cmp_gt_u64_e32 vcc, s[2:3], v[46:47]
	s_or_b64 s[4:5], s[4:5], exec
	s_waitcnt lgkmcnt(0)
	v_cmp_ne_u32_e64 s[0:1], v48, v16
	s_and_b64 s[0:1], vcc, s[0:1]
	s_and_b64 s[8:9], s[0:1], exec
	s_or_b64 exec, exec, s[10:11]
.LBB958_53:
	v_mov_b32_e32 v96, s7
	s_and_saveexec_b64 s[0:1], s[4:5]
.LBB958_54:
	v_cndmask_b32_e64 v96, 0, 1, s[8:9]
.LBB958_55:
	s_or_b64 exec, exec, s[0:1]
	s_cmp_eq_u64 s[42:43], 0
	v_add3_u32 v46, v95, v96, v94
	s_cselect_b64 s[42:43], -1, 0
	s_cmp_lg_u32 s6, 0
	v_cmp_eq_u32_e64 s[24:25], 0, v95
	v_cmp_eq_u32_e64 s[22:23], 0, v94
	;; [unrolled: 1-line block ×3, first 2 shown]
	v_add3_u32 v99, v46, v93, v92
	v_cmp_eq_u32_e64 s[18:19], 0, v92
	v_cmp_eq_u32_e64 s[16:17], 0, v91
	;; [unrolled: 1-line block ×10, first 2 shown]
	v_cmp_eq_u32_e32 vcc, 0, v82
	v_mbcnt_lo_u32_b32 v98, -1, 0
	s_cbranch_scc0 .LBB958_126
; %bb.56:
	v_cndmask_b32_e64 v47, 0, v42, s[24:25]
	v_cndmask_b32_e64 v46, 0, v43, s[24:25]
	v_add_co_u32_e64 v47, s[26:27], v47, v40
	v_addc_co_u32_e64 v46, s[26:27], v46, v41, s[26:27]
	v_cndmask_b32_e64 v47, 0, v47, s[22:23]
	v_cndmask_b32_e64 v46, 0, v46, s[22:23]
	v_add_co_u32_e64 v47, s[26:27], v47, v38
	v_addc_co_u32_e64 v46, s[26:27], v46, v39, s[26:27]
	;; [unrolled: 4-line block ×11, first 2 shown]
	v_cndmask_b32_e64 v47, 0, v47, s[2:3]
	v_add3_u32 v48, v99, v91, v90
	v_cndmask_b32_e64 v46, 0, v46, s[2:3]
	v_add_co_u32_e64 v47, s[26:27], v47, v18
	v_add3_u32 v48, v48, v89, v88
	v_addc_co_u32_e64 v46, s[26:27], v46, v19, s[26:27]
	v_cndmask_b32_e64 v47, 0, v47, s[0:1]
	v_add3_u32 v48, v48, v87, v86
	v_cndmask_b32_e64 v46, 0, v46, s[0:1]
	v_add_co_u32_e64 v47, s[26:27], v47, v2
	v_add3_u32 v48, v48, v85, v84
	v_addc_co_u32_e64 v46, s[26:27], v46, v3, s[26:27]
	v_cndmask_b32_e32 v47, 0, v47, vcc
	v_add3_u32 v50, v48, v83, v82
	v_cndmask_b32_e32 v46, 0, v46, vcc
	v_add_co_u32_e32 v48, vcc, v47, v44
	v_mbcnt_hi_u32_b32 v51, -1, v98
	v_addc_co_u32_e32 v49, vcc, v46, v45, vcc
	v_and_b32_e32 v46, 15, v51
	v_mov_b32_dpp v52, v50 row_shr:1 row_mask:0xf bank_mask:0xf
	v_mov_b32_dpp v47, v48 row_shr:1 row_mask:0xf bank_mask:0xf
	;; [unrolled: 1-line block ×3, first 2 shown]
	v_cmp_ne_u32_e32 vcc, 0, v46
	s_and_saveexec_b64 s[26:27], vcc
; %bb.57:
	v_cmp_eq_u32_e32 vcc, 0, v50
	v_cndmask_b32_e32 v47, 0, v47, vcc
	v_add_u32_e32 v52, v52, v50
	v_cndmask_b32_e32 v50, 0, v53, vcc
	v_add_co_u32_e32 v48, vcc, v47, v48
	v_addc_co_u32_e32 v49, vcc, v50, v49, vcc
	v_mov_b32_e32 v50, v52
; %bb.58:
	s_or_b64 exec, exec, s[26:27]
	s_nop 0
	v_mov_b32_dpp v52, v50 row_shr:2 row_mask:0xf bank_mask:0xf
	v_mov_b32_dpp v47, v48 row_shr:2 row_mask:0xf bank_mask:0xf
	v_mov_b32_dpp v53, v49 row_shr:2 row_mask:0xf bank_mask:0xf
	v_cmp_lt_u32_e32 vcc, 1, v46
	s_and_saveexec_b64 s[26:27], vcc
; %bb.59:
	v_cmp_eq_u32_e32 vcc, 0, v50
	v_cndmask_b32_e32 v47, 0, v47, vcc
	v_add_u32_e32 v52, v52, v50
	v_cndmask_b32_e32 v50, 0, v53, vcc
	v_add_co_u32_e32 v48, vcc, v47, v48
	v_addc_co_u32_e32 v49, vcc, v50, v49, vcc
	v_mov_b32_e32 v50, v52
; %bb.60:
	s_or_b64 exec, exec, s[26:27]
	s_nop 0
	v_mov_b32_dpp v52, v50 row_shr:4 row_mask:0xf bank_mask:0xf
	v_mov_b32_dpp v47, v48 row_shr:4 row_mask:0xf bank_mask:0xf
	v_mov_b32_dpp v53, v49 row_shr:4 row_mask:0xf bank_mask:0xf
	v_cmp_lt_u32_e32 vcc, 3, v46
	;; [unrolled: 16-line block ×3, first 2 shown]
	s_and_saveexec_b64 s[26:27], vcc
; %bb.63:
	v_cmp_eq_u32_e32 vcc, 0, v50
	v_cndmask_b32_e32 v47, 0, v47, vcc
	v_add_u32_e32 v46, v52, v50
	v_cndmask_b32_e32 v50, 0, v53, vcc
	v_add_co_u32_e32 v48, vcc, v47, v48
	v_addc_co_u32_e32 v49, vcc, v50, v49, vcc
	v_mov_b32_e32 v50, v46
; %bb.64:
	s_or_b64 exec, exec, s[26:27]
	v_and_b32_e32 v53, 16, v51
	v_mov_b32_dpp v47, v50 row_bcast:15 row_mask:0xf bank_mask:0xf
	v_mov_b32_dpp v46, v48 row_bcast:15 row_mask:0xf bank_mask:0xf
	;; [unrolled: 1-line block ×3, first 2 shown]
	v_cmp_ne_u32_e32 vcc, 0, v53
	s_and_saveexec_b64 s[26:27], vcc
; %bb.65:
	v_cmp_eq_u32_e32 vcc, 0, v50
	v_cndmask_b32_e32 v46, 0, v46, vcc
	v_add_u32_e32 v47, v47, v50
	v_cndmask_b32_e32 v50, 0, v52, vcc
	v_add_co_u32_e32 v48, vcc, v46, v48
	v_addc_co_u32_e32 v49, vcc, v50, v49, vcc
	v_mov_b32_e32 v50, v47
; %bb.66:
	s_or_b64 exec, exec, s[26:27]
	s_nop 0
	v_mov_b32_dpp v47, v50 row_bcast:31 row_mask:0xf bank_mask:0xf
	v_mov_b32_dpp v46, v48 row_bcast:31 row_mask:0xf bank_mask:0xf
	;; [unrolled: 1-line block ×3, first 2 shown]
	v_cmp_lt_u32_e32 vcc, 31, v51
	s_and_saveexec_b64 s[26:27], vcc
; %bb.67:
	v_cmp_eq_u32_e32 vcc, 0, v50
	v_cndmask_b32_e32 v46, 0, v46, vcc
	v_add_u32_e32 v47, v47, v50
	v_cndmask_b32_e32 v50, 0, v52, vcc
	v_add_co_u32_e32 v48, vcc, v46, v48
	v_addc_co_u32_e32 v49, vcc, v50, v49, vcc
	v_mov_b32_e32 v50, v47
; %bb.68:
	s_or_b64 exec, exec, s[26:27]
	v_lshrrev_b32_e32 v46, 6, v0
	v_or_b32_e32 v47, 63, v0
	v_cmp_eq_u32_e32 vcc, v47, v0
	v_lshlrev_b32_e32 v52, 4, v46
	s_and_saveexec_b64 s[26:27], vcc
	s_cbranch_execz .LBB958_70
; %bb.69:
	ds_write_b32 v52, v50 offset:2080
	ds_write_b64 v52, v[48:49] offset:2088
.LBB958_70:
	s_or_b64 exec, exec, s[26:27]
	v_cmp_gt_u32_e32 vcc, 4, v0
	s_waitcnt lgkmcnt(0)
	s_barrier
	s_and_saveexec_b64 s[26:27], vcc
	s_cbranch_execz .LBB958_76
; %bb.71:
	v_lshlrev_b32_e32 v53, 4, v0
	ds_read_b32 v54, v53 offset:2080
	ds_read_b64 v[46:47], v53 offset:2088
	v_and_b32_e32 v55, 3, v51
	v_cmp_ne_u32_e32 vcc, 0, v55
	s_waitcnt lgkmcnt(1)
	v_mov_b32_dpp v57, v54 row_shr:1 row_mask:0xf bank_mask:0xf
	s_waitcnt lgkmcnt(0)
	v_mov_b32_dpp v56, v46 row_shr:1 row_mask:0xf bank_mask:0xf
	v_mov_b32_dpp v58, v47 row_shr:1 row_mask:0xf bank_mask:0xf
	s_and_saveexec_b64 s[48:49], vcc
; %bb.72:
	v_cmp_eq_u32_e32 vcc, 0, v54
	v_cndmask_b32_e32 v56, 0, v56, vcc
	v_add_u32_e32 v57, v57, v54
	v_cndmask_b32_e32 v54, 0, v58, vcc
	v_add_co_u32_e32 v46, vcc, v56, v46
	v_addc_co_u32_e32 v47, vcc, v54, v47, vcc
	v_mov_b32_e32 v54, v57
; %bb.73:
	s_or_b64 exec, exec, s[48:49]
	s_nop 0
	v_mov_b32_dpp v57, v54 row_shr:2 row_mask:0xf bank_mask:0xf
	v_mov_b32_dpp v56, v46 row_shr:2 row_mask:0xf bank_mask:0xf
	;; [unrolled: 1-line block ×3, first 2 shown]
	v_cmp_lt_u32_e32 vcc, 1, v55
	s_and_saveexec_b64 s[48:49], vcc
; %bb.74:
	v_cmp_eq_u32_e32 vcc, 0, v54
	v_cndmask_b32_e32 v56, 0, v56, vcc
	v_add_u32_e32 v55, v57, v54
	v_cndmask_b32_e32 v54, 0, v58, vcc
	v_add_co_u32_e32 v46, vcc, v56, v46
	v_addc_co_u32_e32 v47, vcc, v54, v47, vcc
	v_mov_b32_e32 v54, v55
; %bb.75:
	s_or_b64 exec, exec, s[48:49]
	ds_write_b32 v53, v54 offset:2080
	ds_write_b64 v53, v[46:47] offset:2088
.LBB958_76:
	s_or_b64 exec, exec, s[26:27]
	v_cmp_gt_u32_e32 vcc, 64, v0
	v_cmp_lt_u32_e64 s[26:27], 63, v0
	v_pk_mov_b32 v[46:47], 0, 0
	v_mov_b32_e32 v58, 0
	s_waitcnt lgkmcnt(0)
	s_barrier
	s_and_saveexec_b64 s[48:49], s[26:27]
	s_cbranch_execz .LBB958_78
; %bb.77:
	ds_read_b32 v58, v52 offset:2064
	ds_read_b64 v[46:47], v52 offset:2072
	v_cmp_eq_u32_e64 s[26:27], 0, v50
	s_waitcnt lgkmcnt(1)
	v_add_u32_e32 v52, v58, v50
	s_waitcnt lgkmcnt(0)
	v_cndmask_b32_e64 v53, 0, v46, s[26:27]
	v_cndmask_b32_e64 v50, 0, v47, s[26:27]
	v_add_co_u32_e64 v48, s[26:27], v53, v48
	v_addc_co_u32_e64 v49, s[26:27], v50, v49, s[26:27]
	v_mov_b32_e32 v50, v52
.LBB958_78:
	s_or_b64 exec, exec, s[48:49]
	v_add_u32_e32 v52, -1, v51
	v_and_b32_e32 v53, 64, v51
	v_cmp_lt_i32_e64 s[26:27], v52, v53
	v_cndmask_b32_e64 v52, v52, v51, s[26:27]
	v_lshlrev_b32_e32 v52, 2, v52
	ds_bpermute_b32 v59, v52, v50
	ds_bpermute_b32 v60, v52, v48
	;; [unrolled: 1-line block ×3, first 2 shown]
	v_cmp_eq_u32_e64 s[26:27], 0, v51
	s_and_saveexec_b64 s[48:49], vcc
	s_cbranch_execz .LBB958_125
; %bb.79:
	v_mov_b32_e32 v53, 0
	ds_read_b32 v62, v53 offset:2128
	ds_read_b64 v[48:49], v53 offset:2136
	s_and_saveexec_b64 s[56:57], s[26:27]
	s_cbranch_execz .LBB958_81
; %bb.80:
	s_add_i32 s58, s6, 64
	s_mov_b32 s59, 0
	s_lshl_b64 s[60:61], s[58:59], 4
	s_add_u32 s60, s36, s60
	s_addc_u32 s61, s37, s61
	v_mov_b32_e32 v50, s58
	v_mov_b32_e32 v52, 1
	s_waitcnt lgkmcnt(1)
	global_store_dword v53, v62, s[60:61]
	s_waitcnt lgkmcnt(0)
	global_store_dwordx2 v53, v[48:49], s[60:61] offset:8
	s_waitcnt vmcnt(0)
	buffer_wbinvl1_vol
	global_store_byte v50, v52, s[40:41]
.LBB958_81:
	s_or_b64 exec, exec, s[56:57]
	v_xad_u32 v50, v51, -1, s6
	v_add_u32_e32 v52, 64, v50
	global_load_ubyte v63, v52, s[40:41] glc
	s_waitcnt vmcnt(0)
	v_cmp_eq_u16_e32 vcc, 0, v63
	s_and_saveexec_b64 s[56:57], vcc
	s_cbranch_execz .LBB958_87
; %bb.82:
	v_mov_b32_e32 v55, s41
	v_add_co_u32_e32 v54, vcc, s40, v52
	v_addc_co_u32_e32 v55, vcc, 0, v55, vcc
	s_mov_b32 s7, 1
	s_mov_b64 s[58:59], 0
.LBB958_83:                             ; =>This Loop Header: Depth=1
                                        ;     Child Loop BB958_84 Depth 2
	s_max_u32 s60, s7, 1
.LBB958_84:                             ;   Parent Loop BB958_83 Depth=1
                                        ; =>  This Inner Loop Header: Depth=2
	s_add_i32 s60, s60, -1
	s_cmp_eq_u32 s60, 0
	s_sleep 1
	s_cbranch_scc0 .LBB958_84
; %bb.85:                               ;   in Loop: Header=BB958_83 Depth=1
	global_load_ubyte v63, v[54:55], off glc
	s_cmp_lt_u32 s7, 32
	s_cselect_b64 s[60:61], -1, 0
	s_cmp_lg_u64 s[60:61], 0
	s_addc_u32 s7, s7, 0
	s_waitcnt vmcnt(0)
	v_cmp_ne_u16_e32 vcc, 0, v63
	s_or_b64 s[58:59], vcc, s[58:59]
	s_andn2_b64 exec, exec, s[58:59]
	s_cbranch_execnz .LBB958_83
; %bb.86:
	s_or_b64 exec, exec, s[58:59]
.LBB958_87:
	s_or_b64 exec, exec, s[56:57]
	v_mov_b32_e32 v54, s39
	v_mov_b32_e32 v55, s37
	v_cmp_eq_u16_e32 vcc, 1, v63
	v_cndmask_b32_e32 v54, v54, v55, vcc
	v_mov_b32_e32 v55, s38
	v_mov_b32_e32 v56, s36
	v_cndmask_b32_e32 v55, v55, v56, vcc
	v_lshlrev_b64 v[52:53], 4, v[52:53]
	v_add_co_u32_e32 v52, vcc, v55, v52
	v_addc_co_u32_e32 v53, vcc, v54, v53, vcc
	s_waitcnt lgkmcnt(0)
	buffer_wbinvl1_vol
	global_load_dword v78, v[52:53], off
	global_load_dwordx2 v[56:57], v[52:53], off offset:8
	v_cmp_eq_u16_e32 vcc, 2, v63
	v_lshlrev_b64 v[52:53], v51, -1
	v_and_b32_e32 v64, 63, v51
	v_and_b32_e32 v54, vcc_hi, v53
	v_and_b32_e32 v68, vcc_lo, v52
	v_cmp_ne_u32_e32 vcc, 63, v64
	v_addc_co_u32_e32 v55, vcc, 0, v51, vcc
	v_lshlrev_b32_e32 v65, 2, v55
	v_or_b32_e32 v54, 0x80000000, v54
	v_ffbl_b32_e32 v54, v54
	v_add_u32_e32 v54, 32, v54
	v_ffbl_b32_e32 v68, v68
	v_min_u32_e32 v54, v68, v54
	v_cmp_lt_u32_e32 vcc, v64, v54
	s_waitcnt vmcnt(1)
	ds_bpermute_b32 v66, v65, v78
	s_waitcnt vmcnt(0)
	ds_bpermute_b32 v55, v65, v56
	ds_bpermute_b32 v67, v65, v57
	s_and_saveexec_b64 s[56:57], vcc
	s_cbranch_execz .LBB958_89
; %bb.88:
	v_cmp_eq_u32_e32 vcc, 0, v78
	s_waitcnt lgkmcnt(1)
	v_cndmask_b32_e32 v55, 0, v55, vcc
	v_add_u32_e32 v66, v66, v78
	s_waitcnt lgkmcnt(0)
	v_cndmask_b32_e32 v67, 0, v67, vcc
	v_add_co_u32_e32 v56, vcc, v55, v56
	v_addc_co_u32_e32 v57, vcc, v67, v57, vcc
	v_mov_b32_e32 v78, v66
.LBB958_89:
	s_or_b64 exec, exec, s[56:57]
	v_cmp_gt_u32_e32 vcc, 62, v64
	s_waitcnt lgkmcnt(1)
	v_cndmask_b32_e64 v55, 0, 1, vcc
	v_lshlrev_b32_e32 v55, 1, v55
	v_add_lshl_u32 v66, v55, v51, 2
	ds_bpermute_b32 v68, v66, v78
	ds_bpermute_b32 v55, v66, v56
	ds_bpermute_b32 v69, v66, v57
	s_waitcnt lgkmcnt(3)
	v_add_u32_e32 v67, 2, v64
	v_cmp_le_u32_e32 vcc, v67, v54
	s_and_saveexec_b64 s[56:57], vcc
	s_cbranch_execz .LBB958_91
; %bb.90:
	v_cmp_eq_u32_e32 vcc, 0, v78
	s_waitcnt lgkmcnt(1)
	v_cndmask_b32_e32 v55, 0, v55, vcc
	v_add_u32_e32 v68, v68, v78
	s_waitcnt lgkmcnt(0)
	v_cndmask_b32_e32 v69, 0, v69, vcc
	v_add_co_u32_e32 v56, vcc, v55, v56
	v_addc_co_u32_e32 v57, vcc, v69, v57, vcc
	v_mov_b32_e32 v78, v68
.LBB958_91:
	s_or_b64 exec, exec, s[56:57]
	v_cmp_gt_u32_e32 vcc, 60, v64
	s_waitcnt lgkmcnt(1)
	v_cndmask_b32_e64 v55, 0, 1, vcc
	v_lshlrev_b32_e32 v55, 2, v55
	v_add_lshl_u32 v68, v55, v51, 2
	ds_bpermute_b32 v70, v68, v78
	ds_bpermute_b32 v55, v68, v56
	ds_bpermute_b32 v71, v68, v57
	s_waitcnt lgkmcnt(3)
	v_add_u32_e32 v69, 4, v64
	v_cmp_le_u32_e32 vcc, v69, v54
	;; [unrolled: 25-line block ×4, first 2 shown]
	s_and_saveexec_b64 s[56:57], vcc
	s_cbranch_execz .LBB958_97
; %bb.96:
	v_cmp_eq_u32_e32 vcc, 0, v78
	s_waitcnt lgkmcnt(1)
	v_cndmask_b32_e32 v55, 0, v55, vcc
	v_add_u32_e32 v74, v74, v78
	s_waitcnt lgkmcnt(0)
	v_cndmask_b32_e32 v75, 0, v75, vcc
	v_add_co_u32_e32 v56, vcc, v55, v56
	v_addc_co_u32_e32 v57, vcc, v75, v57, vcc
	v_mov_b32_e32 v78, v74
.LBB958_97:
	s_or_b64 exec, exec, s[56:57]
	v_cmp_gt_u32_e32 vcc, 32, v64
	s_waitcnt lgkmcnt(1)
	v_cndmask_b32_e64 v55, 0, 1, vcc
	v_lshlrev_b32_e32 v55, 5, v55
	v_add_lshl_u32 v74, v55, v51, 2
	ds_bpermute_b32 v55, v74, v78
	ds_bpermute_b32 v51, v74, v56
	s_waitcnt lgkmcnt(2)
	ds_bpermute_b32 v75, v74, v57
	v_add_u32_e32 v76, 32, v64
	v_cmp_le_u32_e32 vcc, v76, v54
	s_and_saveexec_b64 s[56:57], vcc
	s_cbranch_execz .LBB958_99
; %bb.98:
	v_cmp_eq_u32_e32 vcc, 0, v78
	s_waitcnt lgkmcnt(1)
	v_cndmask_b32_e32 v51, 0, v51, vcc
	v_add_u32_e32 v54, v55, v78
	s_waitcnt lgkmcnt(0)
	v_cndmask_b32_e32 v55, 0, v75, vcc
	v_add_co_u32_e32 v56, vcc, v51, v56
	v_addc_co_u32_e32 v57, vcc, v55, v57, vcc
	v_mov_b32_e32 v78, v54
.LBB958_99:
	s_or_b64 exec, exec, s[56:57]
	s_waitcnt lgkmcnt(1)
	v_mov_b32_e32 v51, 0
	v_mov_b32_e32 v77, 2
	s_branch .LBB958_101
.LBB958_100:                            ;   in Loop: Header=BB958_101 Depth=1
	s_or_b64 exec, exec, s[56:57]
	v_cmp_eq_u32_e32 vcc, 0, v75
	v_cndmask_b32_e32 v56, 0, v56, vcc
	v_cndmask_b32_e32 v57, 0, v57, vcc
	v_add_co_u32_e32 v56, vcc, v56, v54
	v_subrev_u32_e32 v50, 64, v50
	v_add_u32_e32 v78, v79, v75
	v_addc_co_u32_e32 v57, vcc, v57, v55, vcc
.LBB958_101:                            ; =>This Loop Header: Depth=1
                                        ;     Child Loop BB958_104 Depth 2
                                        ;       Child Loop BB958_105 Depth 3
	v_cmp_ne_u16_sdwa s[56:57], v63, v77 src0_sel:BYTE_0 src1_sel:DWORD
	v_pk_mov_b32 v[54:55], v[56:57], v[56:57] op_sel:[0,1]
	v_cndmask_b32_e64 v56, 0, 1, s[56:57]
	;;#ASMSTART
	;;#ASMEND
	v_cmp_ne_u32_e32 vcc, 0, v56
	s_cmp_lg_u64 vcc, exec
	s_waitcnt lgkmcnt(0)
	v_mov_b32_e32 v75, v78
	s_cbranch_scc1 .LBB958_120
; %bb.102:                              ;   in Loop: Header=BB958_101 Depth=1
	global_load_ubyte v63, v50, s[40:41] glc
	s_waitcnt vmcnt(0)
	v_cmp_eq_u16_e32 vcc, 0, v63
	s_and_saveexec_b64 s[56:57], vcc
	s_cbranch_execz .LBB958_108
; %bb.103:                              ;   in Loop: Header=BB958_101 Depth=1
	v_mov_b32_e32 v57, s41
	v_add_co_u32_e32 v56, vcc, s40, v50
	v_addc_co_u32_e32 v57, vcc, 0, v57, vcc
	s_mov_b32 s7, 1
	s_mov_b64 s[58:59], 0
.LBB958_104:                            ;   Parent Loop BB958_101 Depth=1
                                        ; =>  This Loop Header: Depth=2
                                        ;       Child Loop BB958_105 Depth 3
	s_max_u32 s60, s7, 1
.LBB958_105:                            ;   Parent Loop BB958_101 Depth=1
                                        ;     Parent Loop BB958_104 Depth=2
                                        ; =>    This Inner Loop Header: Depth=3
	s_add_i32 s60, s60, -1
	s_cmp_eq_u32 s60, 0
	s_sleep 1
	s_cbranch_scc0 .LBB958_105
; %bb.106:                              ;   in Loop: Header=BB958_104 Depth=2
	global_load_ubyte v63, v[56:57], off glc
	s_cmp_lt_u32 s7, 32
	s_cselect_b64 s[60:61], -1, 0
	s_cmp_lg_u64 s[60:61], 0
	s_addc_u32 s7, s7, 0
	s_waitcnt vmcnt(0)
	v_cmp_ne_u16_e32 vcc, 0, v63
	s_or_b64 s[58:59], vcc, s[58:59]
	s_andn2_b64 exec, exec, s[58:59]
	s_cbranch_execnz .LBB958_104
; %bb.107:                              ;   in Loop: Header=BB958_101 Depth=1
	s_or_b64 exec, exec, s[58:59]
.LBB958_108:                            ;   in Loop: Header=BB958_101 Depth=1
	s_or_b64 exec, exec, s[56:57]
	v_mov_b32_e32 v56, s39
	v_mov_b32_e32 v57, s37
	v_cmp_eq_u16_e32 vcc, 1, v63
	v_cndmask_b32_e32 v78, v56, v57, vcc
	v_mov_b32_e32 v56, s38
	v_mov_b32_e32 v57, s36
	v_cndmask_b32_e32 v79, v56, v57, vcc
	v_lshlrev_b64 v[56:57], 4, v[50:51]
	v_add_co_u32_e32 v56, vcc, v79, v56
	v_addc_co_u32_e32 v57, vcc, v78, v57, vcc
	buffer_wbinvl1_vol
	global_load_dword v79, v[56:57], off
	s_nop 0
	global_load_dwordx2 v[56:57], v[56:57], off offset:8
	v_cmp_eq_u16_e32 vcc, 2, v63
	v_and_b32_e32 v78, vcc_hi, v53
	v_or_b32_e32 v78, 0x80000000, v78
	v_and_b32_e32 v100, vcc_lo, v52
	v_ffbl_b32_e32 v78, v78
	v_add_u32_e32 v78, 32, v78
	v_ffbl_b32_e32 v100, v100
	v_min_u32_e32 v78, v100, v78
	v_cmp_lt_u32_e32 vcc, v64, v78
	s_waitcnt vmcnt(1)
	ds_bpermute_b32 v81, v65, v79
	s_waitcnt vmcnt(0)
	ds_bpermute_b32 v80, v65, v56
	ds_bpermute_b32 v97, v65, v57
	s_and_saveexec_b64 s[56:57], vcc
	s_cbranch_execz .LBB958_110
; %bb.109:                              ;   in Loop: Header=BB958_101 Depth=1
	v_cmp_eq_u32_e32 vcc, 0, v79
	s_waitcnt lgkmcnt(1)
	v_cndmask_b32_e32 v80, 0, v80, vcc
	v_add_u32_e32 v81, v81, v79
	s_waitcnt lgkmcnt(0)
	v_cndmask_b32_e32 v79, 0, v97, vcc
	v_add_co_u32_e32 v56, vcc, v80, v56
	v_addc_co_u32_e32 v57, vcc, v79, v57, vcc
	v_mov_b32_e32 v79, v81
.LBB958_110:                            ;   in Loop: Header=BB958_101 Depth=1
	s_or_b64 exec, exec, s[56:57]
	s_waitcnt lgkmcnt(2)
	ds_bpermute_b32 v81, v66, v79
	s_waitcnt lgkmcnt(2)
	ds_bpermute_b32 v80, v66, v56
	s_waitcnt lgkmcnt(2)
	ds_bpermute_b32 v97, v66, v57
	v_cmp_le_u32_e32 vcc, v67, v78
	s_and_saveexec_b64 s[56:57], vcc
	s_cbranch_execz .LBB958_112
; %bb.111:                              ;   in Loop: Header=BB958_101 Depth=1
	v_cmp_eq_u32_e32 vcc, 0, v79
	s_waitcnt lgkmcnt(1)
	v_cndmask_b32_e32 v80, 0, v80, vcc
	v_add_u32_e32 v81, v81, v79
	s_waitcnt lgkmcnt(0)
	v_cndmask_b32_e32 v79, 0, v97, vcc
	v_add_co_u32_e32 v56, vcc, v80, v56
	v_addc_co_u32_e32 v57, vcc, v79, v57, vcc
	v_mov_b32_e32 v79, v81
.LBB958_112:                            ;   in Loop: Header=BB958_101 Depth=1
	s_or_b64 exec, exec, s[56:57]
	s_waitcnt lgkmcnt(2)
	ds_bpermute_b32 v81, v68, v79
	s_waitcnt lgkmcnt(2)
	ds_bpermute_b32 v80, v68, v56
	s_waitcnt lgkmcnt(2)
	ds_bpermute_b32 v97, v68, v57
	v_cmp_le_u32_e32 vcc, v69, v78
	;; [unrolled: 21-line block ×5, first 2 shown]
	s_and_saveexec_b64 s[56:57], vcc
	s_cbranch_execz .LBB958_100
; %bb.119:                              ;   in Loop: Header=BB958_101 Depth=1
	v_cmp_eq_u32_e32 vcc, 0, v79
	s_waitcnt lgkmcnt(1)
	v_cndmask_b32_e32 v80, 0, v80, vcc
	v_add_u32_e32 v78, v81, v79
	s_waitcnt lgkmcnt(0)
	v_cndmask_b32_e32 v79, 0, v97, vcc
	v_add_co_u32_e32 v56, vcc, v80, v56
	v_addc_co_u32_e32 v57, vcc, v79, v57, vcc
	v_mov_b32_e32 v79, v78
	s_branch .LBB958_100
.LBB958_120:                            ;   in Loop: Header=BB958_101 Depth=1
                                        ; implicit-def: $vgpr56_vgpr57
                                        ; implicit-def: $vgpr78
                                        ; implicit-def: $vgpr63
	s_cbranch_execz .LBB958_101
; %bb.121:
	s_and_saveexec_b64 s[36:37], s[26:27]
	s_cbranch_execz .LBB958_123
; %bb.122:
	s_mov_b32 s7, 0
	v_cmp_eq_u32_e32 vcc, 0, v62
	s_add_i32 s6, s6, 64
	v_cndmask_b32_e32 v50, 0, v54, vcc
	s_lshl_b64 s[56:57], s[6:7], 4
	v_cndmask_b32_e32 v51, 0, v55, vcc
	v_add_co_u32_e32 v50, vcc, v50, v48
	s_add_u32 s56, s38, s56
	v_add_u32_e32 v52, v75, v62
	v_addc_co_u32_e32 v51, vcc, v51, v49, vcc
	s_addc_u32 s57, s39, s57
	v_mov_b32_e32 v53, 0
	global_store_dword v53, v52, s[56:57]
	global_store_dwordx2 v53, v[50:51], s[56:57] offset:8
	v_mov_b32_e32 v50, s6
	v_mov_b32_e32 v51, 2
	s_waitcnt vmcnt(0) lgkmcnt(0)
	buffer_wbinvl1_vol
	global_store_byte v50, v51, s[40:41]
	ds_write_b32 v53, v62 offset:2048
	ds_write_b64 v53, v[48:49] offset:2056
	ds_write_b32 v53, v75 offset:2064
	ds_write_b64 v53, v[54:55] offset:2072
.LBB958_123:
	s_or_b64 exec, exec, s[36:37]
	v_cmp_eq_u32_e32 vcc, 0, v0
	s_and_b64 exec, exec, vcc
	s_cbranch_execz .LBB958_125
; %bb.124:
	v_mov_b32_e32 v48, 0
	ds_write_b32 v48, v75 offset:2128
	ds_write_b64 v48, v[54:55] offset:2136
.LBB958_125:
	s_or_b64 exec, exec, s[48:49]
	v_mov_b32_e32 v51, 0
	s_waitcnt lgkmcnt(0)
	s_barrier
	ds_read_b32 v50, v51 offset:2128
	ds_read_b64 v[48:49], v51 offset:2136
	v_cndmask_b32_e64 v52, v59, v58, s[26:27]
	v_cmp_eq_u32_e32 vcc, 0, v52
	v_cndmask_b32_e64 v46, v60, v46, s[26:27]
	v_cndmask_b32_e64 v47, v61, v47, s[26:27]
	s_waitcnt lgkmcnt(0)
	v_cndmask_b32_e32 v54, 0, v48, vcc
	v_cndmask_b32_e32 v53, 0, v49, vcc
	v_add_co_u32_e32 v46, vcc, v54, v46
	v_addc_co_u32_e32 v47, vcc, v53, v47, vcc
	v_cmp_eq_u32_e32 vcc, 0, v0
	v_cndmask_b32_e64 v52, v52, 0, vcc
	v_cndmask_b32_e32 v77, v47, v49, vcc
	v_cndmask_b32_e32 v76, v46, v48, vcc
	v_cmp_eq_u32_e32 vcc, 0, v96
	v_cndmask_b32_e32 v47, 0, v76, vcc
	v_add_u32_e32 v97, v50, v52
	v_cndmask_b32_e32 v46, 0, v77, vcc
	v_add_co_u32_e32 v52, vcc, v47, v42
	v_addc_co_u32_e32 v53, vcc, v46, v43, vcc
	v_cndmask_b32_e64 v47, 0, v52, s[24:25]
	v_cndmask_b32_e64 v46, 0, v53, s[24:25]
	v_add_co_u32_e32 v54, vcc, v47, v40
	v_addc_co_u32_e32 v55, vcc, v46, v41, vcc
	v_cndmask_b32_e64 v47, 0, v54, s[22:23]
	v_cndmask_b32_e64 v46, 0, v55, s[22:23]
	;; [unrolled: 4-line block ×11, first 2 shown]
	v_add_co_u32_e32 v74, vcc, v47, v20
	v_addc_co_u32_e32 v75, vcc, v46, v21, vcc
	s_barrier
	ds_read_b32 v46, v51 offset:2048
	ds_read_b64 v[48:49], v51 offset:2056
	ds_read_b32 v50, v51 offset:2064
	ds_read_b64 v[100:101], v51 offset:2072
	v_cndmask_b32_e64 v78, 0, v74, s[2:3]
	v_cndmask_b32_e64 v47, 0, v75, s[2:3]
	v_add_co_u32_e32 v78, vcc, v78, v18
	v_addc_co_u32_e32 v79, vcc, v47, v19, vcc
	s_waitcnt lgkmcnt(3)
	v_cmp_eq_u32_e32 vcc, 0, v46
	s_waitcnt lgkmcnt(0)
	v_cndmask_b32_e32 v51, 0, v100, vcc
	v_cndmask_b32_e32 v47, 0, v101, vcc
	v_add_co_u32_e32 v48, vcc, v51, v48
	v_cndmask_b32_e64 v81, 0, v79, s[0:1]
	v_cndmask_b32_e64 v80, 0, v78, s[0:1]
	v_addc_co_u32_e32 v49, vcc, v47, v49, vcc
	s_branch .LBB958_154
.LBB958_126:
                                        ; implicit-def: $vgpr46
                                        ; implicit-def: $vgpr48_vgpr49
                                        ; implicit-def: $vgpr50
                                        ; implicit-def: $vgpr76_vgpr77
                                        ; implicit-def: $vgpr52_vgpr53
                                        ; implicit-def: $vgpr54_vgpr55
                                        ; implicit-def: $vgpr56_vgpr57
                                        ; implicit-def: $vgpr58_vgpr59
                                        ; implicit-def: $vgpr60_vgpr61
                                        ; implicit-def: $vgpr62_vgpr63
                                        ; implicit-def: $vgpr64_vgpr65
                                        ; implicit-def: $vgpr66_vgpr67
                                        ; implicit-def: $vgpr68_vgpr69
                                        ; implicit-def: $vgpr70_vgpr71
                                        ; implicit-def: $vgpr72_vgpr73
                                        ; implicit-def: $vgpr74_vgpr75
                                        ; implicit-def: $vgpr78_vgpr79
                                        ; implicit-def: $vgpr80_vgpr81
                                        ; implicit-def: $vgpr97
	s_cbranch_execz .LBB958_154
; %bb.127:
	s_and_b64 s[0:1], s[42:43], exec
	s_cselect_b32 s1, 0, s31
	s_cselect_b32 s0, 0, s30
	s_cmp_eq_u64 s[0:1], 0
	v_pk_mov_b32 v[50:51], v[42:43], v[42:43] op_sel:[0,1]
	s_cbranch_scc1 .LBB958_129
; %bb.128:
	v_mov_b32_e32 v46, 0
	global_load_dwordx2 v[50:51], v46, s[0:1]
.LBB958_129:
	v_cmp_eq_u32_e64 s[22:23], 0, v95
	v_cndmask_b32_e64 v47, 0, v42, s[22:23]
	v_cndmask_b32_e64 v46, 0, v43, s[22:23]
	v_add_co_u32_e32 v47, vcc, v47, v40
	v_cmp_eq_u32_e64 s[20:21], 0, v94
	v_addc_co_u32_e32 v46, vcc, v46, v41, vcc
	v_cndmask_b32_e64 v47, 0, v47, s[20:21]
	v_cndmask_b32_e64 v46, 0, v46, s[20:21]
	v_add_co_u32_e32 v47, vcc, v47, v38
	v_cmp_eq_u32_e64 s[18:19], 0, v93
	v_addc_co_u32_e32 v46, vcc, v46, v39, vcc
	;; [unrolled: 5-line block ×11, first 2 shown]
	v_cndmask_b32_e64 v47, 0, v47, s[2:3]
	v_cndmask_b32_e64 v46, 0, v46, s[2:3]
	v_add_co_u32_e32 v47, vcc, v47, v18
	v_addc_co_u32_e32 v46, vcc, v46, v19, vcc
	v_cmp_eq_u32_e32 vcc, 0, v83
	v_cndmask_b32_e32 v47, 0, v47, vcc
	v_add3_u32 v48, v99, v91, v90
	v_cndmask_b32_e32 v46, 0, v46, vcc
	v_add_co_u32_e64 v47, s[24:25], v47, v2
	v_add3_u32 v48, v48, v89, v88
	v_addc_co_u32_e64 v46, s[24:25], v46, v3, s[24:25]
	v_add3_u32 v48, v48, v87, v86
	v_cmp_eq_u32_e64 s[24:25], 0, v82
	v_add3_u32 v48, v48, v85, v84
	v_cndmask_b32_e64 v47, 0, v47, s[24:25]
	v_add3_u32 v49, v48, v83, v82
	v_cndmask_b32_e64 v46, 0, v46, s[24:25]
	v_add_co_u32_e64 v44, s[24:25], v47, v44
	v_mbcnt_hi_u32_b32 v48, -1, v98
	v_addc_co_u32_e64 v45, s[24:25], v46, v45, s[24:25]
	v_and_b32_e32 v46, 15, v48
	v_mov_b32_dpp v52, v49 row_shr:1 row_mask:0xf bank_mask:0xf
	v_mov_b32_dpp v47, v44 row_shr:1 row_mask:0xf bank_mask:0xf
	;; [unrolled: 1-line block ×3, first 2 shown]
	v_cmp_ne_u32_e64 s[24:25], 0, v46
	s_and_saveexec_b64 s[26:27], s[24:25]
; %bb.130:
	v_cmp_eq_u32_e64 s[24:25], 0, v49
	v_cndmask_b32_e64 v47, 0, v47, s[24:25]
	v_add_u32_e32 v52, v52, v49
	v_cndmask_b32_e64 v49, 0, v53, s[24:25]
	v_add_co_u32_e64 v44, s[24:25], v47, v44
	v_addc_co_u32_e64 v45, s[24:25], v49, v45, s[24:25]
	v_mov_b32_e32 v49, v52
; %bb.131:
	s_or_b64 exec, exec, s[26:27]
	s_nop 0
	v_mov_b32_dpp v52, v49 row_shr:2 row_mask:0xf bank_mask:0xf
	v_mov_b32_dpp v47, v44 row_shr:2 row_mask:0xf bank_mask:0xf
	v_mov_b32_dpp v53, v45 row_shr:2 row_mask:0xf bank_mask:0xf
	v_cmp_lt_u32_e64 s[24:25], 1, v46
	s_and_saveexec_b64 s[26:27], s[24:25]
; %bb.132:
	v_cmp_eq_u32_e64 s[24:25], 0, v49
	v_cndmask_b32_e64 v47, 0, v47, s[24:25]
	v_add_u32_e32 v52, v52, v49
	v_cndmask_b32_e64 v49, 0, v53, s[24:25]
	v_add_co_u32_e64 v44, s[24:25], v47, v44
	v_addc_co_u32_e64 v45, s[24:25], v49, v45, s[24:25]
	v_mov_b32_e32 v49, v52
; %bb.133:
	s_or_b64 exec, exec, s[26:27]
	s_nop 0
	v_mov_b32_dpp v52, v49 row_shr:4 row_mask:0xf bank_mask:0xf
	v_mov_b32_dpp v47, v44 row_shr:4 row_mask:0xf bank_mask:0xf
	v_mov_b32_dpp v53, v45 row_shr:4 row_mask:0xf bank_mask:0xf
	v_cmp_lt_u32_e64 s[24:25], 3, v46
	;; [unrolled: 16-line block ×3, first 2 shown]
	s_and_saveexec_b64 s[26:27], s[24:25]
; %bb.136:
	v_cmp_eq_u32_e64 s[24:25], 0, v49
	v_cndmask_b32_e64 v47, 0, v47, s[24:25]
	v_add_u32_e32 v46, v52, v49
	v_cndmask_b32_e64 v49, 0, v53, s[24:25]
	v_add_co_u32_e64 v44, s[24:25], v47, v44
	v_addc_co_u32_e64 v45, s[24:25], v49, v45, s[24:25]
	v_mov_b32_e32 v49, v46
; %bb.137:
	s_or_b64 exec, exec, s[26:27]
	v_and_b32_e32 v53, 16, v48
	v_mov_b32_dpp v47, v49 row_bcast:15 row_mask:0xf bank_mask:0xf
	v_mov_b32_dpp v46, v44 row_bcast:15 row_mask:0xf bank_mask:0xf
	;; [unrolled: 1-line block ×3, first 2 shown]
	v_cmp_ne_u32_e64 s[24:25], 0, v53
	s_and_saveexec_b64 s[26:27], s[24:25]
; %bb.138:
	v_cmp_eq_u32_e64 s[24:25], 0, v49
	v_cndmask_b32_e64 v46, 0, v46, s[24:25]
	v_add_u32_e32 v47, v47, v49
	v_cndmask_b32_e64 v49, 0, v52, s[24:25]
	v_add_co_u32_e64 v44, s[24:25], v46, v44
	v_addc_co_u32_e64 v45, s[24:25], v49, v45, s[24:25]
	v_mov_b32_e32 v49, v47
; %bb.139:
	s_or_b64 exec, exec, s[26:27]
	s_nop 0
	v_mov_b32_dpp v47, v49 row_bcast:31 row_mask:0xf bank_mask:0xf
	v_mov_b32_dpp v46, v44 row_bcast:31 row_mask:0xf bank_mask:0xf
	;; [unrolled: 1-line block ×3, first 2 shown]
	v_cmp_lt_u32_e64 s[24:25], 31, v48
	s_and_saveexec_b64 s[26:27], s[24:25]
; %bb.140:
	v_cmp_eq_u32_e64 s[24:25], 0, v49
	v_cndmask_b32_e64 v46, 0, v46, s[24:25]
	v_add_u32_e32 v47, v47, v49
	v_cndmask_b32_e64 v49, 0, v52, s[24:25]
	v_add_co_u32_e64 v44, s[24:25], v46, v44
	v_addc_co_u32_e64 v45, s[24:25], v49, v45, s[24:25]
	v_mov_b32_e32 v49, v47
; %bb.141:
	s_or_b64 exec, exec, s[26:27]
	v_or_b32_e32 v46, 63, v0
	v_lshrrev_b32_e32 v52, 6, v0
	v_cmp_eq_u32_e64 s[24:25], v46, v0
	s_and_saveexec_b64 s[26:27], s[24:25]
	s_cbranch_execz .LBB958_143
; %bb.142:
	v_lshlrev_b32_e32 v46, 4, v52
	ds_write_b32 v46, v49 offset:2080
	ds_write_b64 v46, v[44:45] offset:2088
.LBB958_143:
	s_or_b64 exec, exec, s[26:27]
	v_cmp_gt_u32_e64 s[24:25], 4, v0
	s_waitcnt lgkmcnt(0)
	s_barrier
	s_and_saveexec_b64 s[26:27], s[24:25]
	s_cbranch_execz .LBB958_149
; %bb.144:
	v_lshlrev_b32_e32 v53, 4, v0
	ds_read_b32 v54, v53 offset:2080
	ds_read_b64 v[46:47], v53 offset:2088
	v_and_b32_e32 v55, 3, v48
	v_cmp_ne_u32_e64 s[24:25], 0, v55
	s_waitcnt lgkmcnt(1)
	v_mov_b32_dpp v57, v54 row_shr:1 row_mask:0xf bank_mask:0xf
	s_waitcnt lgkmcnt(0)
	v_mov_b32_dpp v56, v46 row_shr:1 row_mask:0xf bank_mask:0xf
	v_mov_b32_dpp v58, v47 row_shr:1 row_mask:0xf bank_mask:0xf
	s_and_saveexec_b64 s[28:29], s[24:25]
; %bb.145:
	v_cmp_eq_u32_e64 s[24:25], 0, v54
	v_cndmask_b32_e64 v56, 0, v56, s[24:25]
	v_add_u32_e32 v57, v57, v54
	v_cndmask_b32_e64 v54, 0, v58, s[24:25]
	v_add_co_u32_e64 v46, s[24:25], v56, v46
	v_addc_co_u32_e64 v47, s[24:25], v54, v47, s[24:25]
	v_mov_b32_e32 v54, v57
; %bb.146:
	s_or_b64 exec, exec, s[28:29]
	s_nop 0
	v_mov_b32_dpp v57, v54 row_shr:2 row_mask:0xf bank_mask:0xf
	v_mov_b32_dpp v56, v46 row_shr:2 row_mask:0xf bank_mask:0xf
	;; [unrolled: 1-line block ×3, first 2 shown]
	v_cmp_lt_u32_e64 s[24:25], 1, v55
	s_and_saveexec_b64 s[28:29], s[24:25]
; %bb.147:
	v_cmp_eq_u32_e64 s[24:25], 0, v54
	v_cndmask_b32_e64 v56, 0, v56, s[24:25]
	v_add_u32_e32 v55, v57, v54
	v_cndmask_b32_e64 v54, 0, v58, s[24:25]
	v_add_co_u32_e64 v46, s[24:25], v56, v46
	v_addc_co_u32_e64 v47, s[24:25], v54, v47, s[24:25]
	v_mov_b32_e32 v54, v55
; %bb.148:
	s_or_b64 exec, exec, s[28:29]
	ds_write_b32 v53, v54 offset:2080
	ds_write_b64 v53, v[46:47] offset:2088
.LBB958_149:
	s_or_b64 exec, exec, s[26:27]
	v_cmp_lt_u32_e64 s[24:25], 63, v0
	v_mov_b32_e32 v98, 0
	v_mov_b32_e32 v53, 0
	s_waitcnt vmcnt(0)
	v_pk_mov_b32 v[46:47], v[50:51], v[50:51] op_sel:[0,1]
	s_waitcnt lgkmcnt(0)
	s_barrier
	s_and_saveexec_b64 s[26:27], s[24:25]
	s_cbranch_execz .LBB958_151
; %bb.150:
	v_lshlrev_b32_e32 v46, 4, v52
	ds_read_b32 v53, v46 offset:2064
	ds_read_b64 v[46:47], v46 offset:2072
	s_waitcnt lgkmcnt(1)
	v_cmp_eq_u32_e64 s[24:25], 0, v53
	v_cndmask_b32_e64 v54, 0, v50, s[24:25]
	v_cndmask_b32_e64 v52, 0, v51, s[24:25]
	s_waitcnt lgkmcnt(0)
	v_add_co_u32_e64 v46, s[24:25], v54, v46
	v_addc_co_u32_e64 v47, s[24:25], v52, v47, s[24:25]
.LBB958_151:
	s_or_b64 exec, exec, s[26:27]
	v_cmp_eq_u32_e64 s[24:25], 0, v49
	v_cndmask_b32_e64 v54, 0, v46, s[24:25]
	v_add_u32_e32 v52, v53, v49
	v_cndmask_b32_e64 v49, 0, v47, s[24:25]
	v_add_co_u32_e64 v44, s[24:25], v54, v44
	v_addc_co_u32_e64 v45, s[24:25], v49, v45, s[24:25]
	v_add_u32_e32 v49, -1, v48
	v_and_b32_e32 v54, 64, v48
	v_cmp_lt_i32_e64 s[24:25], v49, v54
	v_cndmask_b32_e64 v49, v49, v48, s[24:25]
	v_lshlrev_b32_e32 v49, 2, v49
	ds_bpermute_b32 v52, v49, v52
	ds_bpermute_b32 v45, v49, v45
	;; [unrolled: 1-line block ×3, first 2 shown]
	v_cmp_eq_u32_e64 s[24:25], 0, v48
	v_cmp_eq_u32_e64 s[26:27], 0, v96
	s_waitcnt lgkmcnt(2)
	v_cndmask_b32_e64 v97, v52, v53, s[24:25]
	s_waitcnt lgkmcnt(1)
	v_cndmask_b32_e64 v77, v45, v47, s[24:25]
	;; [unrolled: 2-line block ×3, first 2 shown]
	v_cmp_eq_u32_e64 s[24:25], 0, v0
	v_cndmask_b32_e64 v44, v76, v50, s[24:25]
	v_cndmask_b32_e64 v45, v77, v51, s[24:25]
	;; [unrolled: 1-line block ×4, first 2 shown]
	v_add_co_u32_e64 v52, s[26:27], v44, v42
	v_addc_co_u32_e64 v53, s[26:27], v45, v43, s[26:27]
	v_cndmask_b32_e64 v43, 0, v52, s[22:23]
	v_cndmask_b32_e64 v42, 0, v53, s[22:23]
	v_add_co_u32_e64 v54, s[22:23], v43, v40
	v_addc_co_u32_e64 v55, s[22:23], v42, v41, s[22:23]
	v_cndmask_b32_e64 v41, 0, v54, s[20:21]
	v_cndmask_b32_e64 v40, 0, v55, s[20:21]
	;; [unrolled: 4-line block ×11, first 2 shown]
	v_add_co_u32_e64 v74, s[0:1], v23, v20
	v_addc_co_u32_e64 v75, s[0:1], v22, v21, s[0:1]
	v_cndmask_b32_e64 v21, 0, v74, s[2:3]
	ds_read_b32 v46, v98 offset:2128
	v_cndmask_b32_e64 v20, 0, v75, s[2:3]
	v_add_co_u32_e64 v78, s[0:1], v21, v18
	v_addc_co_u32_e64 v79, s[0:1], v20, v19, s[0:1]
	ds_read_b64 v[18:19], v98 offset:2136
	v_cndmask_b32_e32 v81, 0, v79, vcc
	v_cndmask_b32_e32 v80, 0, v78, vcc
	s_waitcnt lgkmcnt(1)
	v_cmp_eq_u32_e32 vcc, 0, v46
	v_cndmask_b32_e32 v21, 0, v50, vcc
	v_cndmask_b32_e32 v20, 0, v51, vcc
	s_waitcnt lgkmcnt(0)
	v_add_co_u32_e32 v48, vcc, v21, v18
	v_addc_co_u32_e32 v49, vcc, v20, v19, vcc
	s_and_saveexec_b64 s[0:1], s[24:25]
	s_cbranch_execz .LBB958_153
; %bb.152:
	v_mov_b32_e32 v97, 0
	v_mov_b32_e32 v18, 2
	v_pk_mov_b32 v[76:77], v[50:51], v[50:51] op_sel:[0,1]
	global_store_dword v97, v46, s[38:39] offset:1024
	global_store_dwordx2 v97, v[48:49], s[38:39] offset:1032
	s_waitcnt vmcnt(0)
	buffer_wbinvl1_vol
	global_store_byte v97, v18, s[40:41] offset:64
.LBB958_153:
	s_or_b64 exec, exec, s[0:1]
	v_mov_b32_e32 v50, 0
.LBB958_154:
	s_and_b64 s[0:1], s[42:43], exec
	s_cselect_b32 s1, 0, s51
	s_cselect_b32 s0, 0, s50
	s_cmp_eq_u64 s[0:1], 0
	v_pk_mov_b32 v[18:19], 0, 0
	s_barrier
	s_cbranch_scc1 .LBB958_156
; %bb.155:
	v_mov_b32_e32 v18, 0
	global_load_dwordx2 v[18:19], v18, s[0:1]
.LBB958_156:
	s_waitcnt vmcnt(0)
	v_lshlrev_b64 v[34:35], 2, v[18:19]
	v_mov_b32_e32 v36, s53
	v_add_co_u32_e32 v37, vcc, s52, v34
	v_mov_b32_e32 v51, 0
	v_addc_co_u32_e32 v36, vcc, v36, v35, vcc
	v_lshlrev_b64 v[34:35], 2, v[50:51]
	v_add_co_u32_e32 v34, vcc, v37, v34
	v_addc_co_u32_e32 v35, vcc, v36, v35, vcc
	v_cmp_eq_u32_e32 vcc, 0, v96
	v_cndmask_b32_e64 v36, 1, 2, vcc
	v_cmp_eq_u32_e32 vcc, 0, v95
	v_cndmask_b32_e64 v37, 1, 2, vcc
	v_cmp_eq_u32_e32 vcc, 0, v94
	v_and_b32_e32 v36, v37, v36
	v_cndmask_b32_e64 v37, 1, 2, vcc
	v_cmp_eq_u32_e32 vcc, 0, v93
	v_add_u32_e32 v33, v97, v96
	v_and_b32_e32 v36, v36, v37
	v_cndmask_b32_e64 v37, 1, 2, vcc
	v_cmp_eq_u32_e32 vcc, 0, v92
	v_add_u32_e32 v32, v33, v95
	v_and_b32_e32 v36, v36, v37
	v_cndmask_b32_e64 v37, 1, 2, vcc
	v_cmp_eq_u32_e32 vcc, 0, v91
	v_add_u32_e32 v31, v32, v94
	v_and_b32_e32 v36, v36, v37
	v_cndmask_b32_e64 v37, 1, 2, vcc
	v_cmp_eq_u32_e32 vcc, 0, v90
	v_add_u32_e32 v30, v31, v93
	v_and_b32_e32 v36, v36, v37
	v_cndmask_b32_e64 v37, 1, 2, vcc
	v_cmp_eq_u32_e32 vcc, 0, v89
	v_add_u32_e32 v29, v30, v92
	v_and_b32_e32 v36, v36, v37
	v_cndmask_b32_e64 v37, 1, 2, vcc
	v_cmp_eq_u32_e32 vcc, 0, v88
	v_add_u32_e32 v28, v29, v91
	v_and_b32_e32 v36, v36, v37
	v_cndmask_b32_e64 v37, 1, 2, vcc
	v_cmp_eq_u32_e32 vcc, 0, v87
	v_add_u32_e32 v27, v28, v90
	v_and_b32_e32 v36, v36, v37
	v_cndmask_b32_e64 v37, 1, 2, vcc
	v_cmp_eq_u32_e32 vcc, 0, v86
	v_add_u32_e32 v26, v27, v89
	v_and_b32_e32 v36, v36, v37
	v_cndmask_b32_e64 v37, 1, 2, vcc
	v_cmp_eq_u32_e32 vcc, 0, v85
	v_add_u32_e32 v25, v26, v88
	v_and_b32_e32 v36, v36, v37
	v_cndmask_b32_e64 v37, 1, 2, vcc
	v_cmp_eq_u32_e32 vcc, 0, v84
	v_add_u32_e32 v24, v25, v87
	v_and_b32_e32 v36, v36, v37
	v_cndmask_b32_e64 v37, 1, 2, vcc
	v_cmp_eq_u32_e32 vcc, 0, v83
	v_add_u32_e32 v23, v24, v86
	v_and_b32_e32 v36, v36, v37
	v_cndmask_b32_e64 v37, 1, 2, vcc
	v_cmp_eq_u32_e32 vcc, 0, v82
	v_add_u32_e32 v22, v23, v85
	v_and_b32_e32 v36, v36, v37
	v_cndmask_b32_e64 v37, 1, 2, vcc
	s_movk_i32 s30, 0x100
	v_add_u32_e32 v21, v22, v84
	v_and_b32_e32 v36, v36, v37
	v_cmp_gt_u32_e32 vcc, s30, v46
	v_add_u32_e32 v20, v21, v83
	v_cmp_ne_u32_e64 s[28:29], 0, v96
	v_cmp_ne_u32_e64 s[26:27], 0, v95
	;; [unrolled: 1-line block ×15, first 2 shown]
	s_mov_b64 s[36:37], -1
	v_cmp_gt_i16_e64 s[30:31], 2, v36
	s_cbranch_vccz .LBB958_163
; %bb.157:
	s_and_saveexec_b64 s[36:37], s[30:31]
	s_cbranch_execz .LBB958_162
; %bb.158:
	v_cmp_ne_u16_e32 vcc, 1, v36
	s_mov_b64 s[38:39], 0
	s_and_saveexec_b64 s[30:31], vcc
	s_xor_b64 s[30:31], exec, s[30:31]
	s_cbranch_execnz .LBB958_207
; %bb.159:
	s_andn2_saveexec_b64 s[30:31], s[30:31]
	s_cbranch_execnz .LBB958_223
.LBB958_160:
	s_or_b64 exec, exec, s[30:31]
	s_and_b64 exec, exec, s[38:39]
	s_cbranch_execz .LBB958_162
.LBB958_161:
	v_sub_u32_e32 v38, v20, v50
	v_mov_b32_e32 v39, 0
	v_lshlrev_b64 v[38:39], 2, v[38:39]
	v_add_co_u32_e32 v38, vcc, v34, v38
	v_addc_co_u32_e32 v39, vcc, v35, v39, vcc
	global_store_dword v[38:39], v1, off
.LBB958_162:
	s_or_b64 exec, exec, s[36:37]
	s_mov_b64 s[36:37], 0
.LBB958_163:
	s_and_b64 vcc, exec, s[36:37]
	s_cbranch_vccz .LBB958_185
; %bb.164:
	v_cmp_gt_i16_e32 vcc, 2, v36
	s_and_saveexec_b64 s[30:31], vcc
	s_cbranch_execz .LBB958_169
; %bb.165:
	v_cmp_ne_u16_e32 vcc, 1, v36
	s_mov_b64 s[38:39], 0
	s_and_saveexec_b64 s[36:37], vcc
	s_xor_b64 s[36:37], exec, s[36:37]
	s_cbranch_execnz .LBB958_224
; %bb.166:
	s_andn2_saveexec_b64 s[0:1], s[36:37]
	s_cbranch_execnz .LBB958_240
.LBB958_167:
	s_or_b64 exec, exec, s[0:1]
	s_and_b64 exec, exec, s[38:39]
	s_cbranch_execz .LBB958_169
.LBB958_168:
	v_sub_u32_e32 v4, v20, v50
	v_lshlrev_b32_e32 v4, 2, v4
	ds_write_b32 v4, v1
.LBB958_169:
	s_or_b64 exec, exec, s[30:31]
	v_cmp_lt_u32_e32 vcc, v0, v46
	s_waitcnt lgkmcnt(0)
	s_barrier
	s_and_saveexec_b64 s[2:3], vcc
	s_cbranch_execz .LBB958_184
; %bb.170:
	v_xad_u32 v1, v0, -1, v46
	s_movk_i32 s0, 0x1700
	v_cmp_gt_u32_e64 s[4:5], s0, v1
	s_movk_i32 s0, 0x16ff
	v_cmp_lt_u32_e32 vcc, s0, v1
	v_mov_b32_e32 v4, v0
	s_and_saveexec_b64 s[6:7], vcc
	s_cbranch_execz .LBB958_181
; %bb.171:
	v_sub_u32_e32 v4, v0, v46
	v_or_b32_e32 v4, 0xff, v4
	v_cmp_ge_u32_e32 vcc, v4, v0
	s_mov_b64 s[0:1], -1
	v_mov_b32_e32 v4, v0
	s_and_saveexec_b64 s[8:9], vcc
	s_cbranch_execz .LBB958_180
; %bb.172:
	v_lshrrev_b32_e32 v8, 8, v1
	v_add_u32_e32 v4, -1, v8
	v_or_b32_e32 v1, 0x100, v0
	v_lshrrev_b32_e32 v5, 1, v4
	v_add_u32_e32 v10, 1, v5
	v_cmp_lt_u32_e32 vcc, 13, v4
	v_mov_b32_e32 v13, 0
	v_lshlrev_b32_e32 v9, 2, v0
	v_pk_mov_b32 v[4:5], v[0:1], v[0:1] op_sel:[0,1]
	s_and_saveexec_b64 s[10:11], vcc
	s_cbranch_execz .LBB958_176
; %bb.173:
	v_and_b32_e32 v11, -8, v10
	s_mov_b32 s14, 0
	s_mov_b64 s[12:13], 0
	v_mov_b32_e32 v7, 0
	v_mov_b32_e32 v12, v9
	v_pk_mov_b32 v[4:5], v[0:1], v[0:1] op_sel:[0,1]
.LBB958_174:                            ; =>This Inner Loop Header: Depth=1
	v_mov_b32_e32 v6, v4
	v_add_u32_e32 v11, -8, v11
	v_lshlrev_b64 v[114:115], 2, v[6:7]
	v_mov_b32_e32 v6, v5
	ds_read2st64_b32 v[14:15], v12 offset1:4
	s_add_i32 s14, s14, 16
	v_cmp_eq_u32_e32 vcc, 0, v11
	v_lshlrev_b64 v[116:117], 2, v[6:7]
	v_add_u32_e32 v6, 0x200, v4
	s_or_b64 s[12:13], vcc, s[12:13]
	v_add_co_u32_e32 v116, vcc, v34, v116
	v_add_u32_e32 v16, 0x200, v5
	v_mov_b32_e32 v17, v7
	ds_read2st64_b32 v[36:37], v12 offset0:8 offset1:12
	ds_read2st64_b32 v[40:41], v12 offset0:16 offset1:20
	v_add_co_u32_e64 v114, s[0:1], v34, v114
	v_addc_co_u32_e32 v117, vcc, v35, v117, vcc
	v_lshlrev_b64 v[118:119], 2, v[6:7]
	v_lshlrev_b64 v[16:17], 2, v[16:17]
	v_addc_co_u32_e64 v115, s[0:1], v35, v115, s[0:1]
	v_add_u32_e32 v6, 0x400, v4
	v_add_co_u32_e32 v118, vcc, v34, v118
	v_add_u32_e32 v38, 0x400, v5
	v_mov_b32_e32 v39, v7
	ds_read2st64_b32 v[44:45], v12 offset0:24 offset1:28
	v_add_co_u32_e64 v16, s[0:1], v34, v16
	v_addc_co_u32_e32 v119, vcc, v35, v119, vcc
	v_lshlrev_b64 v[120:121], 2, v[6:7]
	ds_read2st64_b32 v[100:101], v12 offset0:32 offset1:36
	ds_read2st64_b32 v[104:105], v12 offset0:40 offset1:44
	;; [unrolled: 1-line block ×4, first 2 shown]
	v_lshlrev_b64 v[38:39], 2, v[38:39]
	v_addc_co_u32_e64 v17, s[0:1], v35, v17, s[0:1]
	v_add_u32_e32 v6, 0x600, v4
	s_waitcnt lgkmcnt(7)
	global_store_dword v[114:115], v14, off
	global_store_dword v[116:117], v15, off
	s_waitcnt lgkmcnt(6)
	global_store_dword v[118:119], v36, off
	global_store_dword v[16:17], v37, off
	v_add_co_u32_e32 v14, vcc, v34, v120
	v_add_u32_e32 v42, 0x600, v5
	v_mov_b32_e32 v43, v7
	v_add_co_u32_e64 v38, s[0:1], v34, v38
	v_addc_co_u32_e32 v15, vcc, v35, v121, vcc
	v_lshlrev_b64 v[16:17], 2, v[6:7]
	v_lshlrev_b64 v[42:43], 2, v[42:43]
	v_addc_co_u32_e64 v39, s[0:1], v35, v39, s[0:1]
	v_add_u32_e32 v6, 0x800, v4
	s_waitcnt lgkmcnt(5)
	global_store_dword v[14:15], v40, off
	global_store_dword v[38:39], v41, off
	v_add_co_u32_e32 v14, vcc, v34, v16
	v_add_u32_e32 v98, 0x800, v5
	v_mov_b32_e32 v99, v7
	v_add_co_u32_e64 v42, s[0:1], v34, v42
	v_addc_co_u32_e32 v15, vcc, v35, v17, vcc
	v_lshlrev_b64 v[16:17], 2, v[6:7]
	v_lshlrev_b64 v[98:99], 2, v[98:99]
	v_addc_co_u32_e64 v43, s[0:1], v35, v43, s[0:1]
	v_add_u32_e32 v6, 0xa00, v4
	;; [unrolled: 12-line block ×4, first 2 shown]
	s_waitcnt lgkmcnt(2)
	global_store_dword v[14:15], v104, off
	global_store_dword v[102:103], v105, off
	v_add_co_u32_e32 v14, vcc, v34, v16
	v_add_u32_e32 v110, 0xe00, v5
	v_mov_b32_e32 v111, v7
	v_add_co_u32_e64 v106, s[0:1], v34, v106
	v_addc_co_u32_e32 v15, vcc, v35, v17, vcc
	v_lshlrev_b64 v[16:17], 2, v[6:7]
	v_lshlrev_b64 v[110:111], 2, v[110:111]
	v_addc_co_u32_e64 v107, s[0:1], v35, v107, s[0:1]
	s_waitcnt lgkmcnt(1)
	global_store_dword v[14:15], v108, off
	global_store_dword v[106:107], v109, off
	v_add_co_u32_e32 v14, vcc, v34, v16
	v_add_u32_e32 v12, 0x4000, v12
	v_add_u32_e32 v5, 0x1000, v5
	v_mov_b32_e32 v13, s14
	v_add_co_u32_e64 v110, s[0:1], v34, v110
	v_add_u32_e32 v4, 0x1000, v4
	v_addc_co_u32_e32 v15, vcc, v35, v17, vcc
	v_addc_co_u32_e64 v111, s[0:1], v35, v111, s[0:1]
	s_waitcnt lgkmcnt(0)
	global_store_dword v[14:15], v112, off
	global_store_dword v[110:111], v113, off
	s_andn2_b64 exec, exec, s[12:13]
	s_cbranch_execnz .LBB958_174
; %bb.175:
	s_or_b64 exec, exec, s[12:13]
.LBB958_176:
	s_or_b64 exec, exec, s[10:11]
	v_and_b32_e32 v1, 7, v10
	v_cmp_ne_u32_e32 vcc, 0, v1
	s_and_saveexec_b64 s[10:11], vcc
	s_cbranch_execz .LBB958_179
; %bb.177:
	v_lshl_or_b32 v9, v13, 10, v9
	s_mov_b64 s[12:13], 0
	v_mov_b32_e32 v7, 0
.LBB958_178:                            ; =>This Inner Loop Header: Depth=1
	ds_read2st64_b32 v[10:11], v9 offset1:4
	v_mov_b32_e32 v6, v4
	v_add_u32_e32 v1, -1, v1
	v_lshlrev_b64 v[12:13], 2, v[6:7]
	v_mov_b32_e32 v6, v5
	v_cmp_eq_u32_e32 vcc, 0, v1
	v_add_co_u32_e64 v12, s[0:1], v34, v12
	v_lshlrev_b64 v[14:15], 2, v[6:7]
	v_add_u32_e32 v4, 0x200, v4
	v_add_u32_e32 v9, 0x800, v9
	;; [unrolled: 1-line block ×3, first 2 shown]
	v_addc_co_u32_e64 v13, s[0:1], v35, v13, s[0:1]
	s_or_b64 s[12:13], vcc, s[12:13]
	v_add_co_u32_e32 v14, vcc, v34, v14
	v_addc_co_u32_e32 v15, vcc, v35, v15, vcc
	s_waitcnt lgkmcnt(0)
	global_store_dword v[12:13], v10, off
	global_store_dword v[14:15], v11, off
	s_andn2_b64 exec, exec, s[12:13]
	s_cbranch_execnz .LBB958_178
.LBB958_179:
	s_or_b64 exec, exec, s[10:11]
	v_add_u32_e32 v1, 1, v8
	v_and_b32_e32 v5, 0x1fffffe, v1
	v_cmp_ne_u32_e32 vcc, v1, v5
	v_lshl_or_b32 v4, v5, 8, v0
	s_orn2_b64 s[0:1], vcc, exec
.LBB958_180:
	s_or_b64 exec, exec, s[8:9]
	s_andn2_b64 s[4:5], s[4:5], exec
	s_and_b64 s[0:1], s[0:1], exec
	s_or_b64 s[4:5], s[4:5], s[0:1]
.LBB958_181:
	s_or_b64 exec, exec, s[6:7]
	s_and_b64 exec, exec, s[4:5]
	s_cbranch_execz .LBB958_184
; %bb.182:
	v_lshlrev_b32_e32 v1, 2, v4
	s_mov_b64 s[0:1], 0
	v_mov_b32_e32 v5, 0
.LBB958_183:                            ; =>This Inner Loop Header: Depth=1
	v_lshlrev_b64 v[6:7], 2, v[4:5]
	ds_read_b32 v8, v1
	v_add_co_u32_e32 v6, vcc, v34, v6
	v_add_u32_e32 v4, 0x100, v4
	v_addc_co_u32_e32 v7, vcc, v35, v7, vcc
	v_cmp_ge_u32_e32 vcc, v4, v46
	v_add_u32_e32 v1, 0x400, v1
	s_or_b64 s[0:1], vcc, s[0:1]
	s_waitcnt lgkmcnt(0)
	global_store_dword v[6:7], v8, off
	s_andn2_b64 exec, exec, s[0:1]
	s_cbranch_execnz .LBB958_183
.LBB958_184:
	s_or_b64 exec, exec, s[2:3]
.LBB958_185:
	v_add_co_u32_e32 v2, vcc, v80, v2
	s_cmpk_lg_i32 s33, 0xf00
	v_addc_co_u32_e32 v3, vcc, v81, v3, vcc
	s_cselect_b64 s[0:1], -1, 0
	v_cndmask_b32_e64 v8, 0, 1, s[46:47]
	s_and_b64 s[0:1], s[44:45], s[0:1]
	v_cmp_eq_u32_e32 vcc, 0, v0
	v_sub_u32_e32 v1, v46, v8
	v_cndmask_b32_e64 v4, 0, 1, s[0:1]
	s_and_b64 s[0:1], vcc, s[46:47]
	v_add_u32_e32 v1, v1, v4
	v_cndmask_b32_e64 v4, v96, 0, s[0:1]
	s_mul_hi_u32 s0, s33, 0x88888889
	s_lshr_b32 s0, s0, 3
	v_mad_i32_i24 v5, v0, -15, s33
	v_cmp_eq_u32_e32 vcc, s0, v0
	v_cmp_ne_u32_e64 s[0:1], 0, v5
	v_cndmask_b32_e64 v6, 1, v4, s[0:1]
	v_cmp_ne_u32_e64 s[0:1], 1, v5
	v_cndmask_b32_e64 v7, 1, v95, s[0:1]
	;; [unrolled: 2-line block ×15, first 2 shown]
	s_and_b64 vcc, s[44:45], vcc
	v_cndmask_b32_e32 v37, v82, v5, vcc
	v_cndmask_b32_e32 v39, v4, v6, vcc
	v_lshlrev_b64 v[4:5], 3, v[18:19]
	v_cndmask_b32_e32 v36, v83, v36, vcc
	v_cndmask_b32_e32 v35, v84, v35, vcc
	;; [unrolled: 1-line block ×13, first 2 shown]
	v_mov_b32_e32 v6, s55
	v_add_co_u32_e32 v7, vcc, s54, v4
	v_addc_co_u32_e32 v6, vcc, v6, v5, vcc
	v_lshlrev_b64 v[4:5], 3, v[50:51]
	v_add_co_u32_e32 v4, vcc, v7, v4
	v_addc_co_u32_e32 v5, vcc, v6, v5, vcc
	v_lshlrev_b32_e32 v6, 3, v8
	v_add_co_u32_e32 v6, vcc, v6, v4
	v_addc_co_u32_e32 v7, vcc, 0, v5, vcc
	v_add_co_u32_e32 v6, vcc, -8, v6
	v_addc_co_u32_e32 v7, vcc, -1, v7, vcc
	v_cmp_eq_u32_e32 vcc, 0, v39
	v_cmp_ne_u32_e64 s[28:29], 0, v39
	v_cndmask_b32_e64 v39, 1, 2, vcc
	v_cmp_eq_u32_e32 vcc, 0, v38
	v_cmp_ne_u32_e64 s[26:27], 0, v38
	v_cndmask_b32_e64 v38, 1, 2, vcc
	v_cmp_eq_u32_e32 vcc, 0, v9
	v_and_b32_e32 v38, v38, v39
	v_cmp_ne_u32_e64 s[24:25], 0, v9
	v_cndmask_b32_e64 v9, 1, 2, vcc
	v_cmp_eq_u32_e32 vcc, 0, v10
	v_and_b32_e32 v9, v38, v9
	;; [unrolled: 4-line block ×3, first 2 shown]
	v_cndmask_b32_e64 v10, 1, 2, vcc
	v_cmp_eq_u32_e32 vcc, 0, v12
	v_and_b32_e32 v9, v9, v10
	v_cndmask_b32_e64 v10, 1, 2, vcc
	v_cmp_eq_u32_e32 vcc, 0, v13
	v_and_b32_e32 v9, v9, v10
	;; [unrolled: 3-line block ×10, first 2 shown]
	v_cndmask_b32_e64 v10, 1, 2, vcc
	s_movk_i32 s30, 0x100
	v_and_b32_e32 v9, v9, v10
	v_cmp_gt_u32_e32 vcc, s30, v1
	v_add_u32_e32 v8, v50, v8
	v_cmp_ne_u32_e64 s[20:21], 0, v11
	v_cmp_ne_u32_e64 s[18:19], 0, v12
	v_cmp_ne_u32_e64 s[16:17], 0, v13
	v_cmp_ne_u32_e64 s[14:15], 0, v14
	v_cmp_ne_u32_e64 s[12:13], 0, v15
	v_cmp_ne_u32_e64 s[10:11], 0, v16
	v_cmp_ne_u32_e64 s[8:9], 0, v17
	v_cmp_ne_u32_e64 s[6:7], 0, v34
	v_cmp_ne_u32_e64 s[4:5], 0, v35
	v_cmp_ne_u32_e64 s[2:3], 0, v36
	v_cmp_ne_u32_e64 s[0:1], 0, v37
	s_mov_b64 s[36:37], -1
	v_cmp_gt_i16_e64 s[30:31], 2, v9
	s_barrier
	s_cbranch_vccz .LBB958_192
; %bb.186:
	s_and_saveexec_b64 s[36:37], s[30:31]
	s_cbranch_execz .LBB958_191
; %bb.187:
	v_cmp_ne_u16_e32 vcc, 1, v9
	s_mov_b64 s[38:39], 0
	s_and_saveexec_b64 s[30:31], vcc
	s_xor_b64 s[30:31], exec, s[30:31]
	s_cbranch_execnz .LBB958_241
; %bb.188:
	s_andn2_saveexec_b64 s[30:31], s[30:31]
	s_cbranch_execnz .LBB958_257
.LBB958_189:
	s_or_b64 exec, exec, s[30:31]
	s_and_b64 exec, exec, s[38:39]
	s_cbranch_execz .LBB958_191
.LBB958_190:
	v_sub_u32_e32 v10, v20, v8
	v_mov_b32_e32 v11, 0
	v_lshlrev_b64 v[10:11], 3, v[10:11]
	v_add_co_u32_e32 v10, vcc, v6, v10
	v_addc_co_u32_e32 v11, vcc, v7, v11, vcc
	global_store_dwordx2 v[10:11], v[2:3], off
.LBB958_191:
	s_or_b64 exec, exec, s[36:37]
	s_mov_b64 s[36:37], 0
.LBB958_192:
	s_and_b64 vcc, exec, s[36:37]
	s_cbranch_vccz .LBB958_202
; %bb.193:
	v_cmp_gt_i16_e32 vcc, 2, v9
	s_and_saveexec_b64 s[30:31], vcc
	s_cbranch_execz .LBB958_198
; %bb.194:
	v_cmp_ne_u16_e32 vcc, 1, v9
	s_mov_b64 s[38:39], 0
	s_and_saveexec_b64 s[36:37], vcc
	s_xor_b64 s[36:37], exec, s[36:37]
	s_cbranch_execnz .LBB958_258
; %bb.195:
	s_andn2_saveexec_b64 s[0:1], s[36:37]
	s_cbranch_execnz .LBB958_274
.LBB958_196:
	s_or_b64 exec, exec, s[0:1]
	s_and_b64 exec, exec, s[38:39]
	s_cbranch_execz .LBB958_198
.LBB958_197:
	v_sub_u32_e32 v8, v20, v8
	v_lshlrev_b32_e32 v8, 3, v8
	ds_write_b64 v8, v[2:3]
.LBB958_198:
	s_or_b64 exec, exec, s[30:31]
	v_cmp_lt_u32_e32 vcc, v0, v1
	s_waitcnt lgkmcnt(0)
	s_barrier
	s_and_saveexec_b64 s[0:1], vcc
	s_cbranch_execz .LBB958_201
; %bb.199:
	v_lshlrev_b32_e32 v8, 3, v0
	s_mov_b64 s[2:3], 0
	v_mov_b32_e32 v3, 0
	v_mov_b32_e32 v2, v0
.LBB958_200:                            ; =>This Inner Loop Header: Depth=1
	v_lshlrev_b64 v[10:11], 3, v[2:3]
	ds_read_b64 v[12:13], v8
	v_add_co_u32_e32 v10, vcc, v6, v10
	v_add_u32_e32 v2, 0x100, v2
	v_addc_co_u32_e32 v11, vcc, v7, v11, vcc
	v_cmp_ge_u32_e32 vcc, v2, v1
	v_add_u32_e32 v8, 0x800, v8
	s_or_b64 s[2:3], vcc, s[2:3]
	s_waitcnt lgkmcnt(0)
	global_store_dwordx2 v[10:11], v[12:13], off
	s_andn2_b64 exec, exec, s[2:3]
	s_cbranch_execnz .LBB958_200
.LBB958_201:
	s_or_b64 exec, exec, s[0:1]
.LBB958_202:
	s_movk_i32 s0, 0xff
	v_cmp_eq_u32_e32 vcc, s0, v0
	s_and_b64 s[0:1], vcc, s[44:45]
	s_and_saveexec_b64 s[2:3], s[0:1]
	s_cbranch_execz .LBB958_205
; %bb.203:
	v_add_co_u32_e32 v0, vcc, v46, v50
	v_addc_co_u32_e64 v1, s[0:1], 0, 0, vcc
	v_add_co_u32_e32 v0, vcc, v0, v18
	v_mov_b32_e32 v47, 0
	v_addc_co_u32_e32 v1, vcc, v1, v19, vcc
	s_cmpk_lg_i32 s33, 0xf00
	global_store_dwordx2 v47, v[0:1], s[34:35]
	s_cbranch_scc1 .LBB958_205
; %bb.204:
	v_lshlrev_b64 v[0:1], 3, v[46:47]
	v_add_co_u32_e32 v0, vcc, v4, v0
	v_addc_co_u32_e32 v1, vcc, v5, v1, vcc
	global_store_dwordx2 v[0:1], v[48:49], off offset:-8
.LBB958_205:
	s_endpgm
.LBB958_206:
	s_or_b64 exec, exec, s[10:11]
	v_mov_b32_e32 v96, s7
	s_and_saveexec_b64 s[0:1], s[4:5]
	s_cbranch_execnz .LBB958_54
	s_branch .LBB958_55
.LBB958_207:
	s_and_saveexec_b64 s[38:39], s[28:29]
	s_cbranch_execnz .LBB958_275
; %bb.208:
	s_or_b64 exec, exec, s[38:39]
	s_and_saveexec_b64 s[38:39], s[26:27]
	s_cbranch_execnz .LBB958_276
.LBB958_209:
	s_or_b64 exec, exec, s[38:39]
	s_and_saveexec_b64 s[38:39], s[24:25]
	s_cbranch_execnz .LBB958_277
.LBB958_210:
	s_or_b64 exec, exec, s[38:39]
	s_and_saveexec_b64 s[38:39], s[22:23]
	s_cbranch_execnz .LBB958_278
.LBB958_211:
	s_or_b64 exec, exec, s[38:39]
	s_and_saveexec_b64 s[38:39], s[20:21]
	s_cbranch_execnz .LBB958_279
.LBB958_212:
	s_or_b64 exec, exec, s[38:39]
	s_and_saveexec_b64 s[38:39], s[18:19]
	s_cbranch_execnz .LBB958_280
.LBB958_213:
	s_or_b64 exec, exec, s[38:39]
	s_and_saveexec_b64 s[38:39], s[16:17]
	s_cbranch_execnz .LBB958_281
.LBB958_214:
	s_or_b64 exec, exec, s[38:39]
	s_and_saveexec_b64 s[38:39], s[14:15]
	s_cbranch_execnz .LBB958_282
.LBB958_215:
	s_or_b64 exec, exec, s[38:39]
	s_and_saveexec_b64 s[38:39], s[12:13]
	s_cbranch_execnz .LBB958_283
.LBB958_216:
	s_or_b64 exec, exec, s[38:39]
	s_and_saveexec_b64 s[38:39], s[10:11]
	s_cbranch_execnz .LBB958_284
.LBB958_217:
	s_or_b64 exec, exec, s[38:39]
	s_and_saveexec_b64 s[38:39], s[8:9]
	s_cbranch_execnz .LBB958_285
.LBB958_218:
	s_or_b64 exec, exec, s[38:39]
	s_and_saveexec_b64 s[38:39], s[6:7]
	s_cbranch_execnz .LBB958_286
.LBB958_219:
	s_or_b64 exec, exec, s[38:39]
	s_and_saveexec_b64 s[38:39], s[4:5]
	s_cbranch_execnz .LBB958_287
.LBB958_220:
	s_or_b64 exec, exec, s[38:39]
	s_and_saveexec_b64 s[38:39], s[2:3]
	s_cbranch_execz .LBB958_222
.LBB958_221:
	v_sub_u32_e32 v38, v21, v50
	v_mov_b32_e32 v39, 0
	v_lshlrev_b64 v[38:39], 2, v[38:39]
	v_add_co_u32_e32 v38, vcc, v34, v38
	v_addc_co_u32_e32 v39, vcc, v35, v39, vcc
	global_store_dword v[38:39], v5, off
.LBB958_222:
	s_or_b64 exec, exec, s[38:39]
	s_and_b64 s[38:39], s[0:1], exec
	s_andn2_saveexec_b64 s[30:31], s[30:31]
	s_cbranch_execz .LBB958_160
.LBB958_223:
	v_sub_u32_e32 v38, v97, v50
	v_mov_b32_e32 v39, 0
	v_lshlrev_b64 v[40:41], 2, v[38:39]
	v_add_co_u32_e32 v40, vcc, v34, v40
	v_addc_co_u32_e32 v41, vcc, v35, v41, vcc
	v_sub_u32_e32 v38, v33, v50
	global_store_dword v[40:41], v16, off
	v_lshlrev_b64 v[40:41], 2, v[38:39]
	v_add_co_u32_e32 v40, vcc, v34, v40
	v_addc_co_u32_e32 v41, vcc, v35, v41, vcc
	v_sub_u32_e32 v38, v32, v50
	global_store_dword v[40:41], v17, off
	;; [unrolled: 5-line block ×12, first 2 shown]
	v_lshlrev_b64 v[40:41], 2, v[38:39]
	v_add_co_u32_e32 v40, vcc, v34, v40
	v_sub_u32_e32 v38, v21, v50
	v_addc_co_u32_e32 v41, vcc, v35, v41, vcc
	v_lshlrev_b64 v[38:39], 2, v[38:39]
	v_add_co_u32_e32 v38, vcc, v34, v38
	v_addc_co_u32_e32 v39, vcc, v35, v39, vcc
	s_or_b64 s[38:39], s[38:39], exec
	global_store_dword v[40:41], v4, off
	global_store_dword v[38:39], v5, off
	s_or_b64 exec, exec, s[30:31]
	s_and_b64 exec, exec, s[38:39]
	s_cbranch_execnz .LBB958_161
	s_branch .LBB958_162
.LBB958_224:
	s_and_saveexec_b64 s[38:39], s[28:29]
	s_cbranch_execnz .LBB958_288
; %bb.225:
	s_or_b64 exec, exec, s[38:39]
	s_and_saveexec_b64 s[28:29], s[26:27]
	s_cbranch_execnz .LBB958_289
.LBB958_226:
	s_or_b64 exec, exec, s[28:29]
	s_and_saveexec_b64 s[26:27], s[24:25]
	s_cbranch_execnz .LBB958_290
.LBB958_227:
	s_or_b64 exec, exec, s[26:27]
	s_and_saveexec_b64 s[24:25], s[22:23]
	s_cbranch_execnz .LBB958_291
.LBB958_228:
	s_or_b64 exec, exec, s[24:25]
	s_and_saveexec_b64 s[22:23], s[20:21]
	s_cbranch_execnz .LBB958_292
.LBB958_229:
	s_or_b64 exec, exec, s[22:23]
	s_and_saveexec_b64 s[20:21], s[18:19]
	s_cbranch_execnz .LBB958_293
.LBB958_230:
	s_or_b64 exec, exec, s[20:21]
	s_and_saveexec_b64 s[18:19], s[16:17]
	s_cbranch_execnz .LBB958_294
.LBB958_231:
	s_or_b64 exec, exec, s[18:19]
	s_and_saveexec_b64 s[16:17], s[14:15]
	s_cbranch_execnz .LBB958_295
.LBB958_232:
	s_or_b64 exec, exec, s[16:17]
	s_and_saveexec_b64 s[14:15], s[12:13]
	s_cbranch_execnz .LBB958_296
.LBB958_233:
	s_or_b64 exec, exec, s[14:15]
	s_and_saveexec_b64 s[12:13], s[10:11]
	s_cbranch_execnz .LBB958_297
.LBB958_234:
	s_or_b64 exec, exec, s[12:13]
	s_and_saveexec_b64 s[10:11], s[8:9]
	s_cbranch_execnz .LBB958_298
.LBB958_235:
	s_or_b64 exec, exec, s[10:11]
	s_and_saveexec_b64 s[8:9], s[6:7]
	s_cbranch_execnz .LBB958_299
.LBB958_236:
	s_or_b64 exec, exec, s[8:9]
	s_and_saveexec_b64 s[6:7], s[4:5]
	s_cbranch_execnz .LBB958_300
.LBB958_237:
	s_or_b64 exec, exec, s[6:7]
	s_and_saveexec_b64 s[4:5], s[2:3]
	s_cbranch_execz .LBB958_239
.LBB958_238:
	v_sub_u32_e32 v4, v21, v50
	v_lshlrev_b32_e32 v4, 2, v4
	ds_write_b32 v4, v5
.LBB958_239:
	s_or_b64 exec, exec, s[4:5]
	s_and_b64 s[38:39], s[0:1], exec
                                        ; implicit-def: $vgpr4
                                        ; implicit-def: $vgpr6
                                        ; implicit-def: $vgpr8
                                        ; implicit-def: $vgpr10
                                        ; implicit-def: $vgpr12
                                        ; implicit-def: $vgpr14
                                        ; implicit-def: $vgpr16
	s_andn2_saveexec_b64 s[0:1], s[36:37]
	s_cbranch_execz .LBB958_167
.LBB958_240:
	v_sub_u32_e32 v36, v97, v50
	v_lshlrev_b32_e32 v36, 2, v36
	ds_write_b32 v36, v16
	v_sub_u32_e32 v16, v33, v50
	v_lshlrev_b32_e32 v16, 2, v16
	ds_write_b32 v16, v17
	;; [unrolled: 3-line block ×13, first 2 shown]
	v_sub_u32_e32 v4, v21, v50
	v_lshlrev_b32_e32 v4, 2, v4
	s_or_b64 s[38:39], s[38:39], exec
	ds_write_b32 v4, v5
	s_or_b64 exec, exec, s[0:1]
	s_and_b64 exec, exec, s[38:39]
	s_cbranch_execnz .LBB958_168
	s_branch .LBB958_169
.LBB958_241:
	s_and_saveexec_b64 s[38:39], s[28:29]
	s_cbranch_execnz .LBB958_301
; %bb.242:
	s_or_b64 exec, exec, s[38:39]
	s_and_saveexec_b64 s[38:39], s[26:27]
	s_cbranch_execnz .LBB958_302
.LBB958_243:
	s_or_b64 exec, exec, s[38:39]
	s_and_saveexec_b64 s[38:39], s[24:25]
	s_cbranch_execnz .LBB958_303
.LBB958_244:
	s_or_b64 exec, exec, s[38:39]
	s_and_saveexec_b64 s[38:39], s[22:23]
	s_cbranch_execnz .LBB958_304
.LBB958_245:
	s_or_b64 exec, exec, s[38:39]
	s_and_saveexec_b64 s[38:39], s[20:21]
	s_cbranch_execnz .LBB958_305
.LBB958_246:
	s_or_b64 exec, exec, s[38:39]
	s_and_saveexec_b64 s[38:39], s[18:19]
	s_cbranch_execnz .LBB958_306
.LBB958_247:
	s_or_b64 exec, exec, s[38:39]
	s_and_saveexec_b64 s[38:39], s[16:17]
	s_cbranch_execnz .LBB958_307
.LBB958_248:
	s_or_b64 exec, exec, s[38:39]
	s_and_saveexec_b64 s[38:39], s[14:15]
	s_cbranch_execnz .LBB958_308
.LBB958_249:
	s_or_b64 exec, exec, s[38:39]
	s_and_saveexec_b64 s[38:39], s[12:13]
	s_cbranch_execnz .LBB958_309
.LBB958_250:
	s_or_b64 exec, exec, s[38:39]
	s_and_saveexec_b64 s[38:39], s[10:11]
	s_cbranch_execnz .LBB958_310
.LBB958_251:
	s_or_b64 exec, exec, s[38:39]
	s_and_saveexec_b64 s[38:39], s[8:9]
	s_cbranch_execnz .LBB958_311
.LBB958_252:
	s_or_b64 exec, exec, s[38:39]
	s_and_saveexec_b64 s[38:39], s[6:7]
	s_cbranch_execnz .LBB958_312
.LBB958_253:
	s_or_b64 exec, exec, s[38:39]
	s_and_saveexec_b64 s[38:39], s[4:5]
	s_cbranch_execnz .LBB958_313
.LBB958_254:
	s_or_b64 exec, exec, s[38:39]
	s_and_saveexec_b64 s[38:39], s[2:3]
	s_cbranch_execz .LBB958_256
.LBB958_255:
	v_sub_u32_e32 v10, v21, v8
	v_mov_b32_e32 v11, 0
	v_lshlrev_b64 v[10:11], 3, v[10:11]
	v_add_co_u32_e32 v10, vcc, v6, v10
	v_addc_co_u32_e32 v11, vcc, v7, v11, vcc
	global_store_dwordx2 v[10:11], v[78:79], off
.LBB958_256:
	s_or_b64 exec, exec, s[38:39]
	s_and_b64 s[38:39], s[0:1], exec
	s_andn2_saveexec_b64 s[30:31], s[30:31]
	s_cbranch_execz .LBB958_189
.LBB958_257:
	v_sub_u32_e32 v10, v97, v8
	v_mov_b32_e32 v11, 0
	v_lshlrev_b64 v[12:13], 3, v[10:11]
	v_add_co_u32_e32 v12, vcc, v6, v12
	v_addc_co_u32_e32 v13, vcc, v7, v13, vcc
	v_sub_u32_e32 v10, v33, v8
	global_store_dwordx2 v[12:13], v[76:77], off
	v_lshlrev_b64 v[12:13], 3, v[10:11]
	v_add_co_u32_e32 v12, vcc, v6, v12
	v_addc_co_u32_e32 v13, vcc, v7, v13, vcc
	v_sub_u32_e32 v10, v32, v8
	global_store_dwordx2 v[12:13], v[52:53], off
	;; [unrolled: 5-line block ×12, first 2 shown]
	v_lshlrev_b64 v[12:13], 3, v[10:11]
	v_add_co_u32_e32 v12, vcc, v6, v12
	v_sub_u32_e32 v10, v21, v8
	v_addc_co_u32_e32 v13, vcc, v7, v13, vcc
	v_lshlrev_b64 v[10:11], 3, v[10:11]
	v_add_co_u32_e32 v10, vcc, v6, v10
	v_addc_co_u32_e32 v11, vcc, v7, v11, vcc
	s_or_b64 s[38:39], s[38:39], exec
	global_store_dwordx2 v[12:13], v[74:75], off
	global_store_dwordx2 v[10:11], v[78:79], off
	s_or_b64 exec, exec, s[30:31]
	s_and_b64 exec, exec, s[38:39]
	s_cbranch_execnz .LBB958_190
	s_branch .LBB958_191
.LBB958_258:
	s_and_saveexec_b64 s[38:39], s[28:29]
	s_cbranch_execnz .LBB958_314
; %bb.259:
	s_or_b64 exec, exec, s[38:39]
	s_and_saveexec_b64 s[28:29], s[26:27]
	s_cbranch_execnz .LBB958_315
.LBB958_260:
	s_or_b64 exec, exec, s[28:29]
	s_and_saveexec_b64 s[26:27], s[24:25]
	s_cbranch_execnz .LBB958_316
.LBB958_261:
	s_or_b64 exec, exec, s[26:27]
	s_and_saveexec_b64 s[24:25], s[22:23]
	s_cbranch_execnz .LBB958_317
.LBB958_262:
	s_or_b64 exec, exec, s[24:25]
	s_and_saveexec_b64 s[22:23], s[20:21]
	s_cbranch_execnz .LBB958_318
.LBB958_263:
	s_or_b64 exec, exec, s[22:23]
	s_and_saveexec_b64 s[20:21], s[18:19]
	s_cbranch_execnz .LBB958_319
.LBB958_264:
	s_or_b64 exec, exec, s[20:21]
	s_and_saveexec_b64 s[18:19], s[16:17]
	s_cbranch_execnz .LBB958_320
.LBB958_265:
	s_or_b64 exec, exec, s[18:19]
	s_and_saveexec_b64 s[16:17], s[14:15]
	s_cbranch_execnz .LBB958_321
.LBB958_266:
	s_or_b64 exec, exec, s[16:17]
	s_and_saveexec_b64 s[14:15], s[12:13]
	s_cbranch_execnz .LBB958_322
.LBB958_267:
	s_or_b64 exec, exec, s[14:15]
	s_and_saveexec_b64 s[12:13], s[10:11]
	s_cbranch_execnz .LBB958_323
.LBB958_268:
	s_or_b64 exec, exec, s[12:13]
	s_and_saveexec_b64 s[10:11], s[8:9]
	s_cbranch_execnz .LBB958_324
.LBB958_269:
	s_or_b64 exec, exec, s[10:11]
	s_and_saveexec_b64 s[8:9], s[6:7]
	s_cbranch_execnz .LBB958_325
.LBB958_270:
	s_or_b64 exec, exec, s[8:9]
	s_and_saveexec_b64 s[6:7], s[4:5]
	s_cbranch_execnz .LBB958_326
.LBB958_271:
	s_or_b64 exec, exec, s[6:7]
	s_and_saveexec_b64 s[4:5], s[2:3]
	s_cbranch_execz .LBB958_273
.LBB958_272:
	v_sub_u32_e32 v9, v21, v8
	v_lshlrev_b32_e32 v9, 3, v9
	ds_write_b64 v9, v[78:79]
.LBB958_273:
	s_or_b64 exec, exec, s[4:5]
	s_and_b64 s[38:39], s[0:1], exec
                                        ; implicit-def: $vgpr76_vgpr77
                                        ; implicit-def: $vgpr52_vgpr53
                                        ; implicit-def: $vgpr54_vgpr55
                                        ; implicit-def: $vgpr56_vgpr57
                                        ; implicit-def: $vgpr58_vgpr59
                                        ; implicit-def: $vgpr60_vgpr61
                                        ; implicit-def: $vgpr62_vgpr63
                                        ; implicit-def: $vgpr64_vgpr65
                                        ; implicit-def: $vgpr66_vgpr67
                                        ; implicit-def: $vgpr68_vgpr69
                                        ; implicit-def: $vgpr70_vgpr71
                                        ; implicit-def: $vgpr72_vgpr73
                                        ; implicit-def: $vgpr74_vgpr75
                                        ; implicit-def: $vgpr78_vgpr79
                                        ; implicit-def: $vgpr97
                                        ; implicit-def: $vgpr33
                                        ; implicit-def: $vgpr32
                                        ; implicit-def: $vgpr31
                                        ; implicit-def: $vgpr30
                                        ; implicit-def: $vgpr29
                                        ; implicit-def: $vgpr28
                                        ; implicit-def: $vgpr27
                                        ; implicit-def: $vgpr26
                                        ; implicit-def: $vgpr25
                                        ; implicit-def: $vgpr24
                                        ; implicit-def: $vgpr23
                                        ; implicit-def: $vgpr22
                                        ; implicit-def: $vgpr21
	s_andn2_saveexec_b64 s[0:1], s[36:37]
	s_cbranch_execz .LBB958_196
.LBB958_274:
	v_sub_u32_e32 v9, v97, v8
	v_lshlrev_b32_e32 v9, 3, v9
	ds_write_b64 v9, v[76:77]
	v_sub_u32_e32 v9, v33, v8
	v_lshlrev_b32_e32 v9, 3, v9
	ds_write_b64 v9, v[52:53]
	;; [unrolled: 3-line block ×13, first 2 shown]
	v_sub_u32_e32 v9, v21, v8
	v_lshlrev_b32_e32 v9, 3, v9
	s_or_b64 s[38:39], s[38:39], exec
	ds_write_b64 v9, v[78:79]
	s_or_b64 exec, exec, s[0:1]
	s_and_b64 exec, exec, s[38:39]
	s_cbranch_execnz .LBB958_197
	s_branch .LBB958_198
.LBB958_275:
	v_sub_u32_e32 v38, v97, v50
	v_mov_b32_e32 v39, 0
	v_lshlrev_b64 v[38:39], 2, v[38:39]
	v_add_co_u32_e32 v38, vcc, v34, v38
	v_addc_co_u32_e32 v39, vcc, v35, v39, vcc
	global_store_dword v[38:39], v16, off
	s_or_b64 exec, exec, s[38:39]
	s_and_saveexec_b64 s[38:39], s[26:27]
	s_cbranch_execz .LBB958_209
.LBB958_276:
	v_sub_u32_e32 v38, v33, v50
	v_mov_b32_e32 v39, 0
	v_lshlrev_b64 v[38:39], 2, v[38:39]
	v_add_co_u32_e32 v38, vcc, v34, v38
	v_addc_co_u32_e32 v39, vcc, v35, v39, vcc
	global_store_dword v[38:39], v17, off
	s_or_b64 exec, exec, s[38:39]
	s_and_saveexec_b64 s[38:39], s[24:25]
	s_cbranch_execz .LBB958_210
.LBB958_277:
	v_sub_u32_e32 v38, v32, v50
	v_mov_b32_e32 v39, 0
	v_lshlrev_b64 v[38:39], 2, v[38:39]
	v_add_co_u32_e32 v38, vcc, v34, v38
	v_addc_co_u32_e32 v39, vcc, v35, v39, vcc
	global_store_dword v[38:39], v14, off
	s_or_b64 exec, exec, s[38:39]
	s_and_saveexec_b64 s[38:39], s[22:23]
	s_cbranch_execz .LBB958_211
.LBB958_278:
	v_sub_u32_e32 v38, v31, v50
	v_mov_b32_e32 v39, 0
	v_lshlrev_b64 v[38:39], 2, v[38:39]
	v_add_co_u32_e32 v38, vcc, v34, v38
	v_addc_co_u32_e32 v39, vcc, v35, v39, vcc
	global_store_dword v[38:39], v15, off
	s_or_b64 exec, exec, s[38:39]
	s_and_saveexec_b64 s[38:39], s[20:21]
	s_cbranch_execz .LBB958_212
.LBB958_279:
	v_sub_u32_e32 v38, v30, v50
	v_mov_b32_e32 v39, 0
	v_lshlrev_b64 v[38:39], 2, v[38:39]
	v_add_co_u32_e32 v38, vcc, v34, v38
	v_addc_co_u32_e32 v39, vcc, v35, v39, vcc
	global_store_dword v[38:39], v12, off
	s_or_b64 exec, exec, s[38:39]
	s_and_saveexec_b64 s[38:39], s[18:19]
	s_cbranch_execz .LBB958_213
.LBB958_280:
	v_sub_u32_e32 v38, v29, v50
	v_mov_b32_e32 v39, 0
	v_lshlrev_b64 v[38:39], 2, v[38:39]
	v_add_co_u32_e32 v38, vcc, v34, v38
	v_addc_co_u32_e32 v39, vcc, v35, v39, vcc
	global_store_dword v[38:39], v13, off
	s_or_b64 exec, exec, s[38:39]
	s_and_saveexec_b64 s[38:39], s[16:17]
	s_cbranch_execz .LBB958_214
.LBB958_281:
	v_sub_u32_e32 v38, v28, v50
	v_mov_b32_e32 v39, 0
	v_lshlrev_b64 v[38:39], 2, v[38:39]
	v_add_co_u32_e32 v38, vcc, v34, v38
	v_addc_co_u32_e32 v39, vcc, v35, v39, vcc
	global_store_dword v[38:39], v10, off
	s_or_b64 exec, exec, s[38:39]
	s_and_saveexec_b64 s[38:39], s[14:15]
	s_cbranch_execz .LBB958_215
.LBB958_282:
	v_sub_u32_e32 v38, v27, v50
	v_mov_b32_e32 v39, 0
	v_lshlrev_b64 v[38:39], 2, v[38:39]
	v_add_co_u32_e32 v38, vcc, v34, v38
	v_addc_co_u32_e32 v39, vcc, v35, v39, vcc
	global_store_dword v[38:39], v11, off
	s_or_b64 exec, exec, s[38:39]
	s_and_saveexec_b64 s[38:39], s[12:13]
	s_cbranch_execz .LBB958_216
.LBB958_283:
	v_sub_u32_e32 v38, v26, v50
	v_mov_b32_e32 v39, 0
	v_lshlrev_b64 v[38:39], 2, v[38:39]
	v_add_co_u32_e32 v38, vcc, v34, v38
	v_addc_co_u32_e32 v39, vcc, v35, v39, vcc
	global_store_dword v[38:39], v8, off
	s_or_b64 exec, exec, s[38:39]
	s_and_saveexec_b64 s[38:39], s[10:11]
	s_cbranch_execz .LBB958_217
.LBB958_284:
	v_sub_u32_e32 v38, v25, v50
	v_mov_b32_e32 v39, 0
	v_lshlrev_b64 v[38:39], 2, v[38:39]
	v_add_co_u32_e32 v38, vcc, v34, v38
	v_addc_co_u32_e32 v39, vcc, v35, v39, vcc
	global_store_dword v[38:39], v9, off
	s_or_b64 exec, exec, s[38:39]
	s_and_saveexec_b64 s[38:39], s[8:9]
	s_cbranch_execz .LBB958_218
.LBB958_285:
	v_sub_u32_e32 v38, v24, v50
	v_mov_b32_e32 v39, 0
	v_lshlrev_b64 v[38:39], 2, v[38:39]
	v_add_co_u32_e32 v38, vcc, v34, v38
	v_addc_co_u32_e32 v39, vcc, v35, v39, vcc
	global_store_dword v[38:39], v6, off
	s_or_b64 exec, exec, s[38:39]
	s_and_saveexec_b64 s[38:39], s[6:7]
	s_cbranch_execz .LBB958_219
.LBB958_286:
	v_sub_u32_e32 v38, v23, v50
	v_mov_b32_e32 v39, 0
	v_lshlrev_b64 v[38:39], 2, v[38:39]
	v_add_co_u32_e32 v38, vcc, v34, v38
	v_addc_co_u32_e32 v39, vcc, v35, v39, vcc
	global_store_dword v[38:39], v7, off
	s_or_b64 exec, exec, s[38:39]
	s_and_saveexec_b64 s[38:39], s[4:5]
	s_cbranch_execz .LBB958_220
.LBB958_287:
	v_sub_u32_e32 v38, v22, v50
	v_mov_b32_e32 v39, 0
	v_lshlrev_b64 v[38:39], 2, v[38:39]
	v_add_co_u32_e32 v38, vcc, v34, v38
	v_addc_co_u32_e32 v39, vcc, v35, v39, vcc
	global_store_dword v[38:39], v4, off
	s_or_b64 exec, exec, s[38:39]
	s_and_saveexec_b64 s[38:39], s[2:3]
	s_cbranch_execnz .LBB958_221
	s_branch .LBB958_222
.LBB958_288:
	v_sub_u32_e32 v36, v97, v50
	v_lshlrev_b32_e32 v36, 2, v36
	ds_write_b32 v36, v16
	s_or_b64 exec, exec, s[38:39]
	s_and_saveexec_b64 s[28:29], s[26:27]
	s_cbranch_execz .LBB958_226
.LBB958_289:
	v_sub_u32_e32 v16, v33, v50
	v_lshlrev_b32_e32 v16, 2, v16
	ds_write_b32 v16, v17
	s_or_b64 exec, exec, s[28:29]
	s_and_saveexec_b64 s[26:27], s[24:25]
	s_cbranch_execz .LBB958_227
.LBB958_290:
	v_sub_u32_e32 v16, v32, v50
	v_lshlrev_b32_e32 v16, 2, v16
	ds_write_b32 v16, v14
	s_or_b64 exec, exec, s[26:27]
	s_and_saveexec_b64 s[24:25], s[22:23]
	s_cbranch_execz .LBB958_228
.LBB958_291:
	v_sub_u32_e32 v14, v31, v50
	v_lshlrev_b32_e32 v14, 2, v14
	ds_write_b32 v14, v15
	s_or_b64 exec, exec, s[24:25]
	s_and_saveexec_b64 s[22:23], s[20:21]
	s_cbranch_execz .LBB958_229
.LBB958_292:
	v_sub_u32_e32 v14, v30, v50
	v_lshlrev_b32_e32 v14, 2, v14
	ds_write_b32 v14, v12
	s_or_b64 exec, exec, s[22:23]
	s_and_saveexec_b64 s[20:21], s[18:19]
	s_cbranch_execz .LBB958_230
.LBB958_293:
	v_sub_u32_e32 v12, v29, v50
	v_lshlrev_b32_e32 v12, 2, v12
	ds_write_b32 v12, v13
	s_or_b64 exec, exec, s[20:21]
	s_and_saveexec_b64 s[18:19], s[16:17]
	s_cbranch_execz .LBB958_231
.LBB958_294:
	v_sub_u32_e32 v12, v28, v50
	v_lshlrev_b32_e32 v12, 2, v12
	ds_write_b32 v12, v10
	s_or_b64 exec, exec, s[18:19]
	s_and_saveexec_b64 s[16:17], s[14:15]
	s_cbranch_execz .LBB958_232
.LBB958_295:
	v_sub_u32_e32 v10, v27, v50
	v_lshlrev_b32_e32 v10, 2, v10
	ds_write_b32 v10, v11
	s_or_b64 exec, exec, s[16:17]
	s_and_saveexec_b64 s[14:15], s[12:13]
	s_cbranch_execz .LBB958_233
.LBB958_296:
	v_sub_u32_e32 v10, v26, v50
	v_lshlrev_b32_e32 v10, 2, v10
	ds_write_b32 v10, v8
	s_or_b64 exec, exec, s[14:15]
	s_and_saveexec_b64 s[12:13], s[10:11]
	s_cbranch_execz .LBB958_234
.LBB958_297:
	v_sub_u32_e32 v8, v25, v50
	v_lshlrev_b32_e32 v8, 2, v8
	ds_write_b32 v8, v9
	s_or_b64 exec, exec, s[12:13]
	s_and_saveexec_b64 s[10:11], s[8:9]
	s_cbranch_execz .LBB958_235
.LBB958_298:
	v_sub_u32_e32 v8, v24, v50
	v_lshlrev_b32_e32 v8, 2, v8
	ds_write_b32 v8, v6
	s_or_b64 exec, exec, s[10:11]
	s_and_saveexec_b64 s[8:9], s[6:7]
	s_cbranch_execz .LBB958_236
.LBB958_299:
	v_sub_u32_e32 v6, v23, v50
	v_lshlrev_b32_e32 v6, 2, v6
	ds_write_b32 v6, v7
	s_or_b64 exec, exec, s[8:9]
	s_and_saveexec_b64 s[6:7], s[4:5]
	s_cbranch_execz .LBB958_237
.LBB958_300:
	v_sub_u32_e32 v6, v22, v50
	v_lshlrev_b32_e32 v6, 2, v6
	ds_write_b32 v6, v4
	s_or_b64 exec, exec, s[6:7]
	s_and_saveexec_b64 s[4:5], s[2:3]
	s_cbranch_execnz .LBB958_238
	s_branch .LBB958_239
.LBB958_301:
	v_sub_u32_e32 v10, v97, v8
	v_mov_b32_e32 v11, 0
	v_lshlrev_b64 v[10:11], 3, v[10:11]
	v_add_co_u32_e32 v10, vcc, v6, v10
	v_addc_co_u32_e32 v11, vcc, v7, v11, vcc
	global_store_dwordx2 v[10:11], v[76:77], off
	s_or_b64 exec, exec, s[38:39]
	s_and_saveexec_b64 s[38:39], s[26:27]
	s_cbranch_execz .LBB958_243
.LBB958_302:
	v_sub_u32_e32 v10, v33, v8
	v_mov_b32_e32 v11, 0
	v_lshlrev_b64 v[10:11], 3, v[10:11]
	v_add_co_u32_e32 v10, vcc, v6, v10
	v_addc_co_u32_e32 v11, vcc, v7, v11, vcc
	global_store_dwordx2 v[10:11], v[52:53], off
	s_or_b64 exec, exec, s[38:39]
	s_and_saveexec_b64 s[38:39], s[24:25]
	s_cbranch_execz .LBB958_244
.LBB958_303:
	v_sub_u32_e32 v10, v32, v8
	v_mov_b32_e32 v11, 0
	v_lshlrev_b64 v[10:11], 3, v[10:11]
	v_add_co_u32_e32 v10, vcc, v6, v10
	v_addc_co_u32_e32 v11, vcc, v7, v11, vcc
	global_store_dwordx2 v[10:11], v[54:55], off
	s_or_b64 exec, exec, s[38:39]
	s_and_saveexec_b64 s[38:39], s[22:23]
	s_cbranch_execz .LBB958_245
.LBB958_304:
	v_sub_u32_e32 v10, v31, v8
	v_mov_b32_e32 v11, 0
	v_lshlrev_b64 v[10:11], 3, v[10:11]
	v_add_co_u32_e32 v10, vcc, v6, v10
	v_addc_co_u32_e32 v11, vcc, v7, v11, vcc
	global_store_dwordx2 v[10:11], v[56:57], off
	s_or_b64 exec, exec, s[38:39]
	s_and_saveexec_b64 s[38:39], s[20:21]
	s_cbranch_execz .LBB958_246
.LBB958_305:
	v_sub_u32_e32 v10, v30, v8
	v_mov_b32_e32 v11, 0
	v_lshlrev_b64 v[10:11], 3, v[10:11]
	v_add_co_u32_e32 v10, vcc, v6, v10
	v_addc_co_u32_e32 v11, vcc, v7, v11, vcc
	global_store_dwordx2 v[10:11], v[58:59], off
	s_or_b64 exec, exec, s[38:39]
	s_and_saveexec_b64 s[38:39], s[18:19]
	s_cbranch_execz .LBB958_247
.LBB958_306:
	v_sub_u32_e32 v10, v29, v8
	v_mov_b32_e32 v11, 0
	v_lshlrev_b64 v[10:11], 3, v[10:11]
	v_add_co_u32_e32 v10, vcc, v6, v10
	v_addc_co_u32_e32 v11, vcc, v7, v11, vcc
	global_store_dwordx2 v[10:11], v[60:61], off
	s_or_b64 exec, exec, s[38:39]
	s_and_saveexec_b64 s[38:39], s[16:17]
	s_cbranch_execz .LBB958_248
.LBB958_307:
	v_sub_u32_e32 v10, v28, v8
	v_mov_b32_e32 v11, 0
	v_lshlrev_b64 v[10:11], 3, v[10:11]
	v_add_co_u32_e32 v10, vcc, v6, v10
	v_addc_co_u32_e32 v11, vcc, v7, v11, vcc
	global_store_dwordx2 v[10:11], v[62:63], off
	s_or_b64 exec, exec, s[38:39]
	s_and_saveexec_b64 s[38:39], s[14:15]
	s_cbranch_execz .LBB958_249
.LBB958_308:
	v_sub_u32_e32 v10, v27, v8
	v_mov_b32_e32 v11, 0
	v_lshlrev_b64 v[10:11], 3, v[10:11]
	v_add_co_u32_e32 v10, vcc, v6, v10
	v_addc_co_u32_e32 v11, vcc, v7, v11, vcc
	global_store_dwordx2 v[10:11], v[64:65], off
	s_or_b64 exec, exec, s[38:39]
	s_and_saveexec_b64 s[38:39], s[12:13]
	s_cbranch_execz .LBB958_250
.LBB958_309:
	v_sub_u32_e32 v10, v26, v8
	v_mov_b32_e32 v11, 0
	v_lshlrev_b64 v[10:11], 3, v[10:11]
	v_add_co_u32_e32 v10, vcc, v6, v10
	v_addc_co_u32_e32 v11, vcc, v7, v11, vcc
	global_store_dwordx2 v[10:11], v[66:67], off
	s_or_b64 exec, exec, s[38:39]
	s_and_saveexec_b64 s[38:39], s[10:11]
	s_cbranch_execz .LBB958_251
.LBB958_310:
	v_sub_u32_e32 v10, v25, v8
	v_mov_b32_e32 v11, 0
	v_lshlrev_b64 v[10:11], 3, v[10:11]
	v_add_co_u32_e32 v10, vcc, v6, v10
	v_addc_co_u32_e32 v11, vcc, v7, v11, vcc
	global_store_dwordx2 v[10:11], v[68:69], off
	s_or_b64 exec, exec, s[38:39]
	s_and_saveexec_b64 s[38:39], s[8:9]
	s_cbranch_execz .LBB958_252
.LBB958_311:
	v_sub_u32_e32 v10, v24, v8
	v_mov_b32_e32 v11, 0
	v_lshlrev_b64 v[10:11], 3, v[10:11]
	v_add_co_u32_e32 v10, vcc, v6, v10
	v_addc_co_u32_e32 v11, vcc, v7, v11, vcc
	global_store_dwordx2 v[10:11], v[70:71], off
	s_or_b64 exec, exec, s[38:39]
	s_and_saveexec_b64 s[38:39], s[6:7]
	s_cbranch_execz .LBB958_253
.LBB958_312:
	v_sub_u32_e32 v10, v23, v8
	v_mov_b32_e32 v11, 0
	v_lshlrev_b64 v[10:11], 3, v[10:11]
	v_add_co_u32_e32 v10, vcc, v6, v10
	v_addc_co_u32_e32 v11, vcc, v7, v11, vcc
	global_store_dwordx2 v[10:11], v[72:73], off
	s_or_b64 exec, exec, s[38:39]
	s_and_saveexec_b64 s[38:39], s[4:5]
	s_cbranch_execz .LBB958_254
.LBB958_313:
	v_sub_u32_e32 v10, v22, v8
	v_mov_b32_e32 v11, 0
	v_lshlrev_b64 v[10:11], 3, v[10:11]
	v_add_co_u32_e32 v10, vcc, v6, v10
	v_addc_co_u32_e32 v11, vcc, v7, v11, vcc
	global_store_dwordx2 v[10:11], v[74:75], off
	s_or_b64 exec, exec, s[38:39]
	s_and_saveexec_b64 s[38:39], s[2:3]
	s_cbranch_execnz .LBB958_255
	s_branch .LBB958_256
.LBB958_314:
	v_sub_u32_e32 v9, v97, v8
	v_lshlrev_b32_e32 v9, 3, v9
	ds_write_b64 v9, v[76:77]
	s_or_b64 exec, exec, s[38:39]
	s_and_saveexec_b64 s[28:29], s[26:27]
	s_cbranch_execz .LBB958_260
.LBB958_315:
	v_sub_u32_e32 v9, v33, v8
	v_lshlrev_b32_e32 v9, 3, v9
	ds_write_b64 v9, v[52:53]
	s_or_b64 exec, exec, s[28:29]
	s_and_saveexec_b64 s[26:27], s[24:25]
	s_cbranch_execz .LBB958_261
.LBB958_316:
	v_sub_u32_e32 v9, v32, v8
	v_lshlrev_b32_e32 v9, 3, v9
	ds_write_b64 v9, v[54:55]
	s_or_b64 exec, exec, s[26:27]
	s_and_saveexec_b64 s[24:25], s[22:23]
	s_cbranch_execz .LBB958_262
.LBB958_317:
	v_sub_u32_e32 v9, v31, v8
	v_lshlrev_b32_e32 v9, 3, v9
	ds_write_b64 v9, v[56:57]
	s_or_b64 exec, exec, s[24:25]
	s_and_saveexec_b64 s[22:23], s[20:21]
	s_cbranch_execz .LBB958_263
.LBB958_318:
	v_sub_u32_e32 v9, v30, v8
	v_lshlrev_b32_e32 v9, 3, v9
	ds_write_b64 v9, v[58:59]
	s_or_b64 exec, exec, s[22:23]
	s_and_saveexec_b64 s[20:21], s[18:19]
	s_cbranch_execz .LBB958_264
.LBB958_319:
	v_sub_u32_e32 v9, v29, v8
	v_lshlrev_b32_e32 v9, 3, v9
	ds_write_b64 v9, v[60:61]
	s_or_b64 exec, exec, s[20:21]
	s_and_saveexec_b64 s[18:19], s[16:17]
	s_cbranch_execz .LBB958_265
.LBB958_320:
	v_sub_u32_e32 v9, v28, v8
	v_lshlrev_b32_e32 v9, 3, v9
	ds_write_b64 v9, v[62:63]
	s_or_b64 exec, exec, s[18:19]
	s_and_saveexec_b64 s[16:17], s[14:15]
	s_cbranch_execz .LBB958_266
.LBB958_321:
	v_sub_u32_e32 v9, v27, v8
	v_lshlrev_b32_e32 v9, 3, v9
	ds_write_b64 v9, v[64:65]
	s_or_b64 exec, exec, s[16:17]
	s_and_saveexec_b64 s[14:15], s[12:13]
	s_cbranch_execz .LBB958_267
.LBB958_322:
	v_sub_u32_e32 v9, v26, v8
	v_lshlrev_b32_e32 v9, 3, v9
	ds_write_b64 v9, v[66:67]
	s_or_b64 exec, exec, s[14:15]
	s_and_saveexec_b64 s[12:13], s[10:11]
	s_cbranch_execz .LBB958_268
.LBB958_323:
	v_sub_u32_e32 v9, v25, v8
	v_lshlrev_b32_e32 v9, 3, v9
	ds_write_b64 v9, v[68:69]
	s_or_b64 exec, exec, s[12:13]
	s_and_saveexec_b64 s[10:11], s[8:9]
	s_cbranch_execz .LBB958_269
.LBB958_324:
	v_sub_u32_e32 v9, v24, v8
	v_lshlrev_b32_e32 v9, 3, v9
	ds_write_b64 v9, v[70:71]
	s_or_b64 exec, exec, s[10:11]
	s_and_saveexec_b64 s[8:9], s[6:7]
	s_cbranch_execz .LBB958_270
.LBB958_325:
	v_sub_u32_e32 v9, v23, v8
	v_lshlrev_b32_e32 v9, 3, v9
	ds_write_b64 v9, v[72:73]
	s_or_b64 exec, exec, s[8:9]
	s_and_saveexec_b64 s[6:7], s[4:5]
	s_cbranch_execz .LBB958_271
.LBB958_326:
	v_sub_u32_e32 v9, v22, v8
	v_lshlrev_b32_e32 v9, 3, v9
	ds_write_b64 v9, v[74:75]
	s_or_b64 exec, exec, s[6:7]
	s_and_saveexec_b64 s[4:5], s[2:3]
	s_cbranch_execnz .LBB958_272
	s_branch .LBB958_273
	.section	.rodata,"a",@progbits
	.p2align	6, 0x0
	.amdhsa_kernel _ZN7rocprim17ROCPRIM_400000_NS6detail17trampoline_kernelINS0_14default_configENS1_29reduce_by_key_config_selectorIilN6thrust23THRUST_200600_302600_NS4plusIlEEEEZZNS1_33reduce_by_key_impl_wrapped_configILNS1_25lookback_scan_determinismE0ES3_S9_PiNS6_17constant_iteratorIiNS6_11use_defaultESE_EENS6_10device_ptrIiEENSG_IlEEPmS8_NS6_8equal_toIiEEEE10hipError_tPvRmT2_T3_mT4_T5_T6_T7_T8_P12ihipStream_tbENKUlT_T0_E_clISt17integral_constantIbLb1EES12_IbLb0EEEEDaSY_SZ_EUlSY_E_NS1_11comp_targetILNS1_3genE4ELNS1_11target_archE910ELNS1_3gpuE8ELNS1_3repE0EEENS1_30default_config_static_selectorELNS0_4arch9wavefront6targetE1EEEvT1_
		.amdhsa_group_segment_fixed_size 30720
		.amdhsa_private_segment_fixed_size 0
		.amdhsa_kernarg_size 144
		.amdhsa_user_sgpr_count 6
		.amdhsa_user_sgpr_private_segment_buffer 1
		.amdhsa_user_sgpr_dispatch_ptr 0
		.amdhsa_user_sgpr_queue_ptr 0
		.amdhsa_user_sgpr_kernarg_segment_ptr 1
		.amdhsa_user_sgpr_dispatch_id 0
		.amdhsa_user_sgpr_flat_scratch_init 0
		.amdhsa_user_sgpr_kernarg_preload_length 0
		.amdhsa_user_sgpr_kernarg_preload_offset 0
		.amdhsa_user_sgpr_private_segment_size 0
		.amdhsa_uses_dynamic_stack 0
		.amdhsa_system_sgpr_private_segment_wavefront_offset 0
		.amdhsa_system_sgpr_workgroup_id_x 1
		.amdhsa_system_sgpr_workgroup_id_y 0
		.amdhsa_system_sgpr_workgroup_id_z 0
		.amdhsa_system_sgpr_workgroup_info 0
		.amdhsa_system_vgpr_workitem_id 0
		.amdhsa_next_free_vgpr 122
		.amdhsa_next_free_sgpr 62
		.amdhsa_accum_offset 124
		.amdhsa_reserve_vcc 1
		.amdhsa_reserve_flat_scratch 0
		.amdhsa_float_round_mode_32 0
		.amdhsa_float_round_mode_16_64 0
		.amdhsa_float_denorm_mode_32 3
		.amdhsa_float_denorm_mode_16_64 3
		.amdhsa_dx10_clamp 1
		.amdhsa_ieee_mode 1
		.amdhsa_fp16_overflow 0
		.amdhsa_tg_split 0
		.amdhsa_exception_fp_ieee_invalid_op 0
		.amdhsa_exception_fp_denorm_src 0
		.amdhsa_exception_fp_ieee_div_zero 0
		.amdhsa_exception_fp_ieee_overflow 0
		.amdhsa_exception_fp_ieee_underflow 0
		.amdhsa_exception_fp_ieee_inexact 0
		.amdhsa_exception_int_div_zero 0
	.end_amdhsa_kernel
	.section	.text._ZN7rocprim17ROCPRIM_400000_NS6detail17trampoline_kernelINS0_14default_configENS1_29reduce_by_key_config_selectorIilN6thrust23THRUST_200600_302600_NS4plusIlEEEEZZNS1_33reduce_by_key_impl_wrapped_configILNS1_25lookback_scan_determinismE0ES3_S9_PiNS6_17constant_iteratorIiNS6_11use_defaultESE_EENS6_10device_ptrIiEENSG_IlEEPmS8_NS6_8equal_toIiEEEE10hipError_tPvRmT2_T3_mT4_T5_T6_T7_T8_P12ihipStream_tbENKUlT_T0_E_clISt17integral_constantIbLb1EES12_IbLb0EEEEDaSY_SZ_EUlSY_E_NS1_11comp_targetILNS1_3genE4ELNS1_11target_archE910ELNS1_3gpuE8ELNS1_3repE0EEENS1_30default_config_static_selectorELNS0_4arch9wavefront6targetE1EEEvT1_,"axG",@progbits,_ZN7rocprim17ROCPRIM_400000_NS6detail17trampoline_kernelINS0_14default_configENS1_29reduce_by_key_config_selectorIilN6thrust23THRUST_200600_302600_NS4plusIlEEEEZZNS1_33reduce_by_key_impl_wrapped_configILNS1_25lookback_scan_determinismE0ES3_S9_PiNS6_17constant_iteratorIiNS6_11use_defaultESE_EENS6_10device_ptrIiEENSG_IlEEPmS8_NS6_8equal_toIiEEEE10hipError_tPvRmT2_T3_mT4_T5_T6_T7_T8_P12ihipStream_tbENKUlT_T0_E_clISt17integral_constantIbLb1EES12_IbLb0EEEEDaSY_SZ_EUlSY_E_NS1_11comp_targetILNS1_3genE4ELNS1_11target_archE910ELNS1_3gpuE8ELNS1_3repE0EEENS1_30default_config_static_selectorELNS0_4arch9wavefront6targetE1EEEvT1_,comdat
.Lfunc_end958:
	.size	_ZN7rocprim17ROCPRIM_400000_NS6detail17trampoline_kernelINS0_14default_configENS1_29reduce_by_key_config_selectorIilN6thrust23THRUST_200600_302600_NS4plusIlEEEEZZNS1_33reduce_by_key_impl_wrapped_configILNS1_25lookback_scan_determinismE0ES3_S9_PiNS6_17constant_iteratorIiNS6_11use_defaultESE_EENS6_10device_ptrIiEENSG_IlEEPmS8_NS6_8equal_toIiEEEE10hipError_tPvRmT2_T3_mT4_T5_T6_T7_T8_P12ihipStream_tbENKUlT_T0_E_clISt17integral_constantIbLb1EES12_IbLb0EEEEDaSY_SZ_EUlSY_E_NS1_11comp_targetILNS1_3genE4ELNS1_11target_archE910ELNS1_3gpuE8ELNS1_3repE0EEENS1_30default_config_static_selectorELNS0_4arch9wavefront6targetE1EEEvT1_, .Lfunc_end958-_ZN7rocprim17ROCPRIM_400000_NS6detail17trampoline_kernelINS0_14default_configENS1_29reduce_by_key_config_selectorIilN6thrust23THRUST_200600_302600_NS4plusIlEEEEZZNS1_33reduce_by_key_impl_wrapped_configILNS1_25lookback_scan_determinismE0ES3_S9_PiNS6_17constant_iteratorIiNS6_11use_defaultESE_EENS6_10device_ptrIiEENSG_IlEEPmS8_NS6_8equal_toIiEEEE10hipError_tPvRmT2_T3_mT4_T5_T6_T7_T8_P12ihipStream_tbENKUlT_T0_E_clISt17integral_constantIbLb1EES12_IbLb0EEEEDaSY_SZ_EUlSY_E_NS1_11comp_targetILNS1_3genE4ELNS1_11target_archE910ELNS1_3gpuE8ELNS1_3repE0EEENS1_30default_config_static_selectorELNS0_4arch9wavefront6targetE1EEEvT1_
                                        ; -- End function
	.section	.AMDGPU.csdata,"",@progbits
; Kernel info:
; codeLenInByte = 17060
; NumSgprs: 66
; NumVgprs: 122
; NumAgprs: 0
; TotalNumVgprs: 122
; ScratchSize: 0
; MemoryBound: 0
; FloatMode: 240
; IeeeMode: 1
; LDSByteSize: 30720 bytes/workgroup (compile time only)
; SGPRBlocks: 8
; VGPRBlocks: 15
; NumSGPRsForWavesPerEU: 66
; NumVGPRsForWavesPerEU: 122
; AccumOffset: 124
; Occupancy: 2
; WaveLimiterHint : 1
; COMPUTE_PGM_RSRC2:SCRATCH_EN: 0
; COMPUTE_PGM_RSRC2:USER_SGPR: 6
; COMPUTE_PGM_RSRC2:TRAP_HANDLER: 0
; COMPUTE_PGM_RSRC2:TGID_X_EN: 1
; COMPUTE_PGM_RSRC2:TGID_Y_EN: 0
; COMPUTE_PGM_RSRC2:TGID_Z_EN: 0
; COMPUTE_PGM_RSRC2:TIDIG_COMP_CNT: 0
; COMPUTE_PGM_RSRC3_GFX90A:ACCUM_OFFSET: 30
; COMPUTE_PGM_RSRC3_GFX90A:TG_SPLIT: 0
	.section	.text._ZN7rocprim17ROCPRIM_400000_NS6detail17trampoline_kernelINS0_14default_configENS1_29reduce_by_key_config_selectorIilN6thrust23THRUST_200600_302600_NS4plusIlEEEEZZNS1_33reduce_by_key_impl_wrapped_configILNS1_25lookback_scan_determinismE0ES3_S9_PiNS6_17constant_iteratorIiNS6_11use_defaultESE_EENS6_10device_ptrIiEENSG_IlEEPmS8_NS6_8equal_toIiEEEE10hipError_tPvRmT2_T3_mT4_T5_T6_T7_T8_P12ihipStream_tbENKUlT_T0_E_clISt17integral_constantIbLb1EES12_IbLb0EEEEDaSY_SZ_EUlSY_E_NS1_11comp_targetILNS1_3genE3ELNS1_11target_archE908ELNS1_3gpuE7ELNS1_3repE0EEENS1_30default_config_static_selectorELNS0_4arch9wavefront6targetE1EEEvT1_,"axG",@progbits,_ZN7rocprim17ROCPRIM_400000_NS6detail17trampoline_kernelINS0_14default_configENS1_29reduce_by_key_config_selectorIilN6thrust23THRUST_200600_302600_NS4plusIlEEEEZZNS1_33reduce_by_key_impl_wrapped_configILNS1_25lookback_scan_determinismE0ES3_S9_PiNS6_17constant_iteratorIiNS6_11use_defaultESE_EENS6_10device_ptrIiEENSG_IlEEPmS8_NS6_8equal_toIiEEEE10hipError_tPvRmT2_T3_mT4_T5_T6_T7_T8_P12ihipStream_tbENKUlT_T0_E_clISt17integral_constantIbLb1EES12_IbLb0EEEEDaSY_SZ_EUlSY_E_NS1_11comp_targetILNS1_3genE3ELNS1_11target_archE908ELNS1_3gpuE7ELNS1_3repE0EEENS1_30default_config_static_selectorELNS0_4arch9wavefront6targetE1EEEvT1_,comdat
	.protected	_ZN7rocprim17ROCPRIM_400000_NS6detail17trampoline_kernelINS0_14default_configENS1_29reduce_by_key_config_selectorIilN6thrust23THRUST_200600_302600_NS4plusIlEEEEZZNS1_33reduce_by_key_impl_wrapped_configILNS1_25lookback_scan_determinismE0ES3_S9_PiNS6_17constant_iteratorIiNS6_11use_defaultESE_EENS6_10device_ptrIiEENSG_IlEEPmS8_NS6_8equal_toIiEEEE10hipError_tPvRmT2_T3_mT4_T5_T6_T7_T8_P12ihipStream_tbENKUlT_T0_E_clISt17integral_constantIbLb1EES12_IbLb0EEEEDaSY_SZ_EUlSY_E_NS1_11comp_targetILNS1_3genE3ELNS1_11target_archE908ELNS1_3gpuE7ELNS1_3repE0EEENS1_30default_config_static_selectorELNS0_4arch9wavefront6targetE1EEEvT1_ ; -- Begin function _ZN7rocprim17ROCPRIM_400000_NS6detail17trampoline_kernelINS0_14default_configENS1_29reduce_by_key_config_selectorIilN6thrust23THRUST_200600_302600_NS4plusIlEEEEZZNS1_33reduce_by_key_impl_wrapped_configILNS1_25lookback_scan_determinismE0ES3_S9_PiNS6_17constant_iteratorIiNS6_11use_defaultESE_EENS6_10device_ptrIiEENSG_IlEEPmS8_NS6_8equal_toIiEEEE10hipError_tPvRmT2_T3_mT4_T5_T6_T7_T8_P12ihipStream_tbENKUlT_T0_E_clISt17integral_constantIbLb1EES12_IbLb0EEEEDaSY_SZ_EUlSY_E_NS1_11comp_targetILNS1_3genE3ELNS1_11target_archE908ELNS1_3gpuE7ELNS1_3repE0EEENS1_30default_config_static_selectorELNS0_4arch9wavefront6targetE1EEEvT1_
	.globl	_ZN7rocprim17ROCPRIM_400000_NS6detail17trampoline_kernelINS0_14default_configENS1_29reduce_by_key_config_selectorIilN6thrust23THRUST_200600_302600_NS4plusIlEEEEZZNS1_33reduce_by_key_impl_wrapped_configILNS1_25lookback_scan_determinismE0ES3_S9_PiNS6_17constant_iteratorIiNS6_11use_defaultESE_EENS6_10device_ptrIiEENSG_IlEEPmS8_NS6_8equal_toIiEEEE10hipError_tPvRmT2_T3_mT4_T5_T6_T7_T8_P12ihipStream_tbENKUlT_T0_E_clISt17integral_constantIbLb1EES12_IbLb0EEEEDaSY_SZ_EUlSY_E_NS1_11comp_targetILNS1_3genE3ELNS1_11target_archE908ELNS1_3gpuE7ELNS1_3repE0EEENS1_30default_config_static_selectorELNS0_4arch9wavefront6targetE1EEEvT1_
	.p2align	8
	.type	_ZN7rocprim17ROCPRIM_400000_NS6detail17trampoline_kernelINS0_14default_configENS1_29reduce_by_key_config_selectorIilN6thrust23THRUST_200600_302600_NS4plusIlEEEEZZNS1_33reduce_by_key_impl_wrapped_configILNS1_25lookback_scan_determinismE0ES3_S9_PiNS6_17constant_iteratorIiNS6_11use_defaultESE_EENS6_10device_ptrIiEENSG_IlEEPmS8_NS6_8equal_toIiEEEE10hipError_tPvRmT2_T3_mT4_T5_T6_T7_T8_P12ihipStream_tbENKUlT_T0_E_clISt17integral_constantIbLb1EES12_IbLb0EEEEDaSY_SZ_EUlSY_E_NS1_11comp_targetILNS1_3genE3ELNS1_11target_archE908ELNS1_3gpuE7ELNS1_3repE0EEENS1_30default_config_static_selectorELNS0_4arch9wavefront6targetE1EEEvT1_,@function
_ZN7rocprim17ROCPRIM_400000_NS6detail17trampoline_kernelINS0_14default_configENS1_29reduce_by_key_config_selectorIilN6thrust23THRUST_200600_302600_NS4plusIlEEEEZZNS1_33reduce_by_key_impl_wrapped_configILNS1_25lookback_scan_determinismE0ES3_S9_PiNS6_17constant_iteratorIiNS6_11use_defaultESE_EENS6_10device_ptrIiEENSG_IlEEPmS8_NS6_8equal_toIiEEEE10hipError_tPvRmT2_T3_mT4_T5_T6_T7_T8_P12ihipStream_tbENKUlT_T0_E_clISt17integral_constantIbLb1EES12_IbLb0EEEEDaSY_SZ_EUlSY_E_NS1_11comp_targetILNS1_3genE3ELNS1_11target_archE908ELNS1_3gpuE7ELNS1_3repE0EEENS1_30default_config_static_selectorELNS0_4arch9wavefront6targetE1EEEvT1_: ; @_ZN7rocprim17ROCPRIM_400000_NS6detail17trampoline_kernelINS0_14default_configENS1_29reduce_by_key_config_selectorIilN6thrust23THRUST_200600_302600_NS4plusIlEEEEZZNS1_33reduce_by_key_impl_wrapped_configILNS1_25lookback_scan_determinismE0ES3_S9_PiNS6_17constant_iteratorIiNS6_11use_defaultESE_EENS6_10device_ptrIiEENSG_IlEEPmS8_NS6_8equal_toIiEEEE10hipError_tPvRmT2_T3_mT4_T5_T6_T7_T8_P12ihipStream_tbENKUlT_T0_E_clISt17integral_constantIbLb1EES12_IbLb0EEEEDaSY_SZ_EUlSY_E_NS1_11comp_targetILNS1_3genE3ELNS1_11target_archE908ELNS1_3gpuE7ELNS1_3repE0EEENS1_30default_config_static_selectorELNS0_4arch9wavefront6targetE1EEEvT1_
; %bb.0:
	.section	.rodata,"a",@progbits
	.p2align	6, 0x0
	.amdhsa_kernel _ZN7rocprim17ROCPRIM_400000_NS6detail17trampoline_kernelINS0_14default_configENS1_29reduce_by_key_config_selectorIilN6thrust23THRUST_200600_302600_NS4plusIlEEEEZZNS1_33reduce_by_key_impl_wrapped_configILNS1_25lookback_scan_determinismE0ES3_S9_PiNS6_17constant_iteratorIiNS6_11use_defaultESE_EENS6_10device_ptrIiEENSG_IlEEPmS8_NS6_8equal_toIiEEEE10hipError_tPvRmT2_T3_mT4_T5_T6_T7_T8_P12ihipStream_tbENKUlT_T0_E_clISt17integral_constantIbLb1EES12_IbLb0EEEEDaSY_SZ_EUlSY_E_NS1_11comp_targetILNS1_3genE3ELNS1_11target_archE908ELNS1_3gpuE7ELNS1_3repE0EEENS1_30default_config_static_selectorELNS0_4arch9wavefront6targetE1EEEvT1_
		.amdhsa_group_segment_fixed_size 0
		.amdhsa_private_segment_fixed_size 0
		.amdhsa_kernarg_size 144
		.amdhsa_user_sgpr_count 6
		.amdhsa_user_sgpr_private_segment_buffer 1
		.amdhsa_user_sgpr_dispatch_ptr 0
		.amdhsa_user_sgpr_queue_ptr 0
		.amdhsa_user_sgpr_kernarg_segment_ptr 1
		.amdhsa_user_sgpr_dispatch_id 0
		.amdhsa_user_sgpr_flat_scratch_init 0
		.amdhsa_user_sgpr_kernarg_preload_length 0
		.amdhsa_user_sgpr_kernarg_preload_offset 0
		.amdhsa_user_sgpr_private_segment_size 0
		.amdhsa_uses_dynamic_stack 0
		.amdhsa_system_sgpr_private_segment_wavefront_offset 0
		.amdhsa_system_sgpr_workgroup_id_x 1
		.amdhsa_system_sgpr_workgroup_id_y 0
		.amdhsa_system_sgpr_workgroup_id_z 0
		.amdhsa_system_sgpr_workgroup_info 0
		.amdhsa_system_vgpr_workitem_id 0
		.amdhsa_next_free_vgpr 1
		.amdhsa_next_free_sgpr 0
		.amdhsa_accum_offset 4
		.amdhsa_reserve_vcc 0
		.amdhsa_reserve_flat_scratch 0
		.amdhsa_float_round_mode_32 0
		.amdhsa_float_round_mode_16_64 0
		.amdhsa_float_denorm_mode_32 3
		.amdhsa_float_denorm_mode_16_64 3
		.amdhsa_dx10_clamp 1
		.amdhsa_ieee_mode 1
		.amdhsa_fp16_overflow 0
		.amdhsa_tg_split 0
		.amdhsa_exception_fp_ieee_invalid_op 0
		.amdhsa_exception_fp_denorm_src 0
		.amdhsa_exception_fp_ieee_div_zero 0
		.amdhsa_exception_fp_ieee_overflow 0
		.amdhsa_exception_fp_ieee_underflow 0
		.amdhsa_exception_fp_ieee_inexact 0
		.amdhsa_exception_int_div_zero 0
	.end_amdhsa_kernel
	.section	.text._ZN7rocprim17ROCPRIM_400000_NS6detail17trampoline_kernelINS0_14default_configENS1_29reduce_by_key_config_selectorIilN6thrust23THRUST_200600_302600_NS4plusIlEEEEZZNS1_33reduce_by_key_impl_wrapped_configILNS1_25lookback_scan_determinismE0ES3_S9_PiNS6_17constant_iteratorIiNS6_11use_defaultESE_EENS6_10device_ptrIiEENSG_IlEEPmS8_NS6_8equal_toIiEEEE10hipError_tPvRmT2_T3_mT4_T5_T6_T7_T8_P12ihipStream_tbENKUlT_T0_E_clISt17integral_constantIbLb1EES12_IbLb0EEEEDaSY_SZ_EUlSY_E_NS1_11comp_targetILNS1_3genE3ELNS1_11target_archE908ELNS1_3gpuE7ELNS1_3repE0EEENS1_30default_config_static_selectorELNS0_4arch9wavefront6targetE1EEEvT1_,"axG",@progbits,_ZN7rocprim17ROCPRIM_400000_NS6detail17trampoline_kernelINS0_14default_configENS1_29reduce_by_key_config_selectorIilN6thrust23THRUST_200600_302600_NS4plusIlEEEEZZNS1_33reduce_by_key_impl_wrapped_configILNS1_25lookback_scan_determinismE0ES3_S9_PiNS6_17constant_iteratorIiNS6_11use_defaultESE_EENS6_10device_ptrIiEENSG_IlEEPmS8_NS6_8equal_toIiEEEE10hipError_tPvRmT2_T3_mT4_T5_T6_T7_T8_P12ihipStream_tbENKUlT_T0_E_clISt17integral_constantIbLb1EES12_IbLb0EEEEDaSY_SZ_EUlSY_E_NS1_11comp_targetILNS1_3genE3ELNS1_11target_archE908ELNS1_3gpuE7ELNS1_3repE0EEENS1_30default_config_static_selectorELNS0_4arch9wavefront6targetE1EEEvT1_,comdat
.Lfunc_end959:
	.size	_ZN7rocprim17ROCPRIM_400000_NS6detail17trampoline_kernelINS0_14default_configENS1_29reduce_by_key_config_selectorIilN6thrust23THRUST_200600_302600_NS4plusIlEEEEZZNS1_33reduce_by_key_impl_wrapped_configILNS1_25lookback_scan_determinismE0ES3_S9_PiNS6_17constant_iteratorIiNS6_11use_defaultESE_EENS6_10device_ptrIiEENSG_IlEEPmS8_NS6_8equal_toIiEEEE10hipError_tPvRmT2_T3_mT4_T5_T6_T7_T8_P12ihipStream_tbENKUlT_T0_E_clISt17integral_constantIbLb1EES12_IbLb0EEEEDaSY_SZ_EUlSY_E_NS1_11comp_targetILNS1_3genE3ELNS1_11target_archE908ELNS1_3gpuE7ELNS1_3repE0EEENS1_30default_config_static_selectorELNS0_4arch9wavefront6targetE1EEEvT1_, .Lfunc_end959-_ZN7rocprim17ROCPRIM_400000_NS6detail17trampoline_kernelINS0_14default_configENS1_29reduce_by_key_config_selectorIilN6thrust23THRUST_200600_302600_NS4plusIlEEEEZZNS1_33reduce_by_key_impl_wrapped_configILNS1_25lookback_scan_determinismE0ES3_S9_PiNS6_17constant_iteratorIiNS6_11use_defaultESE_EENS6_10device_ptrIiEENSG_IlEEPmS8_NS6_8equal_toIiEEEE10hipError_tPvRmT2_T3_mT4_T5_T6_T7_T8_P12ihipStream_tbENKUlT_T0_E_clISt17integral_constantIbLb1EES12_IbLb0EEEEDaSY_SZ_EUlSY_E_NS1_11comp_targetILNS1_3genE3ELNS1_11target_archE908ELNS1_3gpuE7ELNS1_3repE0EEENS1_30default_config_static_selectorELNS0_4arch9wavefront6targetE1EEEvT1_
                                        ; -- End function
	.section	.AMDGPU.csdata,"",@progbits
; Kernel info:
; codeLenInByte = 0
; NumSgprs: 4
; NumVgprs: 0
; NumAgprs: 0
; TotalNumVgprs: 0
; ScratchSize: 0
; MemoryBound: 0
; FloatMode: 240
; IeeeMode: 1
; LDSByteSize: 0 bytes/workgroup (compile time only)
; SGPRBlocks: 0
; VGPRBlocks: 0
; NumSGPRsForWavesPerEU: 4
; NumVGPRsForWavesPerEU: 1
; AccumOffset: 4
; Occupancy: 8
; WaveLimiterHint : 0
; COMPUTE_PGM_RSRC2:SCRATCH_EN: 0
; COMPUTE_PGM_RSRC2:USER_SGPR: 6
; COMPUTE_PGM_RSRC2:TRAP_HANDLER: 0
; COMPUTE_PGM_RSRC2:TGID_X_EN: 1
; COMPUTE_PGM_RSRC2:TGID_Y_EN: 0
; COMPUTE_PGM_RSRC2:TGID_Z_EN: 0
; COMPUTE_PGM_RSRC2:TIDIG_COMP_CNT: 0
; COMPUTE_PGM_RSRC3_GFX90A:ACCUM_OFFSET: 0
; COMPUTE_PGM_RSRC3_GFX90A:TG_SPLIT: 0
	.section	.text._ZN7rocprim17ROCPRIM_400000_NS6detail17trampoline_kernelINS0_14default_configENS1_29reduce_by_key_config_selectorIilN6thrust23THRUST_200600_302600_NS4plusIlEEEEZZNS1_33reduce_by_key_impl_wrapped_configILNS1_25lookback_scan_determinismE0ES3_S9_PiNS6_17constant_iteratorIiNS6_11use_defaultESE_EENS6_10device_ptrIiEENSG_IlEEPmS8_NS6_8equal_toIiEEEE10hipError_tPvRmT2_T3_mT4_T5_T6_T7_T8_P12ihipStream_tbENKUlT_T0_E_clISt17integral_constantIbLb1EES12_IbLb0EEEEDaSY_SZ_EUlSY_E_NS1_11comp_targetILNS1_3genE2ELNS1_11target_archE906ELNS1_3gpuE6ELNS1_3repE0EEENS1_30default_config_static_selectorELNS0_4arch9wavefront6targetE1EEEvT1_,"axG",@progbits,_ZN7rocprim17ROCPRIM_400000_NS6detail17trampoline_kernelINS0_14default_configENS1_29reduce_by_key_config_selectorIilN6thrust23THRUST_200600_302600_NS4plusIlEEEEZZNS1_33reduce_by_key_impl_wrapped_configILNS1_25lookback_scan_determinismE0ES3_S9_PiNS6_17constant_iteratorIiNS6_11use_defaultESE_EENS6_10device_ptrIiEENSG_IlEEPmS8_NS6_8equal_toIiEEEE10hipError_tPvRmT2_T3_mT4_T5_T6_T7_T8_P12ihipStream_tbENKUlT_T0_E_clISt17integral_constantIbLb1EES12_IbLb0EEEEDaSY_SZ_EUlSY_E_NS1_11comp_targetILNS1_3genE2ELNS1_11target_archE906ELNS1_3gpuE6ELNS1_3repE0EEENS1_30default_config_static_selectorELNS0_4arch9wavefront6targetE1EEEvT1_,comdat
	.protected	_ZN7rocprim17ROCPRIM_400000_NS6detail17trampoline_kernelINS0_14default_configENS1_29reduce_by_key_config_selectorIilN6thrust23THRUST_200600_302600_NS4plusIlEEEEZZNS1_33reduce_by_key_impl_wrapped_configILNS1_25lookback_scan_determinismE0ES3_S9_PiNS6_17constant_iteratorIiNS6_11use_defaultESE_EENS6_10device_ptrIiEENSG_IlEEPmS8_NS6_8equal_toIiEEEE10hipError_tPvRmT2_T3_mT4_T5_T6_T7_T8_P12ihipStream_tbENKUlT_T0_E_clISt17integral_constantIbLb1EES12_IbLb0EEEEDaSY_SZ_EUlSY_E_NS1_11comp_targetILNS1_3genE2ELNS1_11target_archE906ELNS1_3gpuE6ELNS1_3repE0EEENS1_30default_config_static_selectorELNS0_4arch9wavefront6targetE1EEEvT1_ ; -- Begin function _ZN7rocprim17ROCPRIM_400000_NS6detail17trampoline_kernelINS0_14default_configENS1_29reduce_by_key_config_selectorIilN6thrust23THRUST_200600_302600_NS4plusIlEEEEZZNS1_33reduce_by_key_impl_wrapped_configILNS1_25lookback_scan_determinismE0ES3_S9_PiNS6_17constant_iteratorIiNS6_11use_defaultESE_EENS6_10device_ptrIiEENSG_IlEEPmS8_NS6_8equal_toIiEEEE10hipError_tPvRmT2_T3_mT4_T5_T6_T7_T8_P12ihipStream_tbENKUlT_T0_E_clISt17integral_constantIbLb1EES12_IbLb0EEEEDaSY_SZ_EUlSY_E_NS1_11comp_targetILNS1_3genE2ELNS1_11target_archE906ELNS1_3gpuE6ELNS1_3repE0EEENS1_30default_config_static_selectorELNS0_4arch9wavefront6targetE1EEEvT1_
	.globl	_ZN7rocprim17ROCPRIM_400000_NS6detail17trampoline_kernelINS0_14default_configENS1_29reduce_by_key_config_selectorIilN6thrust23THRUST_200600_302600_NS4plusIlEEEEZZNS1_33reduce_by_key_impl_wrapped_configILNS1_25lookback_scan_determinismE0ES3_S9_PiNS6_17constant_iteratorIiNS6_11use_defaultESE_EENS6_10device_ptrIiEENSG_IlEEPmS8_NS6_8equal_toIiEEEE10hipError_tPvRmT2_T3_mT4_T5_T6_T7_T8_P12ihipStream_tbENKUlT_T0_E_clISt17integral_constantIbLb1EES12_IbLb0EEEEDaSY_SZ_EUlSY_E_NS1_11comp_targetILNS1_3genE2ELNS1_11target_archE906ELNS1_3gpuE6ELNS1_3repE0EEENS1_30default_config_static_selectorELNS0_4arch9wavefront6targetE1EEEvT1_
	.p2align	8
	.type	_ZN7rocprim17ROCPRIM_400000_NS6detail17trampoline_kernelINS0_14default_configENS1_29reduce_by_key_config_selectorIilN6thrust23THRUST_200600_302600_NS4plusIlEEEEZZNS1_33reduce_by_key_impl_wrapped_configILNS1_25lookback_scan_determinismE0ES3_S9_PiNS6_17constant_iteratorIiNS6_11use_defaultESE_EENS6_10device_ptrIiEENSG_IlEEPmS8_NS6_8equal_toIiEEEE10hipError_tPvRmT2_T3_mT4_T5_T6_T7_T8_P12ihipStream_tbENKUlT_T0_E_clISt17integral_constantIbLb1EES12_IbLb0EEEEDaSY_SZ_EUlSY_E_NS1_11comp_targetILNS1_3genE2ELNS1_11target_archE906ELNS1_3gpuE6ELNS1_3repE0EEENS1_30default_config_static_selectorELNS0_4arch9wavefront6targetE1EEEvT1_,@function
_ZN7rocprim17ROCPRIM_400000_NS6detail17trampoline_kernelINS0_14default_configENS1_29reduce_by_key_config_selectorIilN6thrust23THRUST_200600_302600_NS4plusIlEEEEZZNS1_33reduce_by_key_impl_wrapped_configILNS1_25lookback_scan_determinismE0ES3_S9_PiNS6_17constant_iteratorIiNS6_11use_defaultESE_EENS6_10device_ptrIiEENSG_IlEEPmS8_NS6_8equal_toIiEEEE10hipError_tPvRmT2_T3_mT4_T5_T6_T7_T8_P12ihipStream_tbENKUlT_T0_E_clISt17integral_constantIbLb1EES12_IbLb0EEEEDaSY_SZ_EUlSY_E_NS1_11comp_targetILNS1_3genE2ELNS1_11target_archE906ELNS1_3gpuE6ELNS1_3repE0EEENS1_30default_config_static_selectorELNS0_4arch9wavefront6targetE1EEEvT1_: ; @_ZN7rocprim17ROCPRIM_400000_NS6detail17trampoline_kernelINS0_14default_configENS1_29reduce_by_key_config_selectorIilN6thrust23THRUST_200600_302600_NS4plusIlEEEEZZNS1_33reduce_by_key_impl_wrapped_configILNS1_25lookback_scan_determinismE0ES3_S9_PiNS6_17constant_iteratorIiNS6_11use_defaultESE_EENS6_10device_ptrIiEENSG_IlEEPmS8_NS6_8equal_toIiEEEE10hipError_tPvRmT2_T3_mT4_T5_T6_T7_T8_P12ihipStream_tbENKUlT_T0_E_clISt17integral_constantIbLb1EES12_IbLb0EEEEDaSY_SZ_EUlSY_E_NS1_11comp_targetILNS1_3genE2ELNS1_11target_archE906ELNS1_3gpuE6ELNS1_3repE0EEENS1_30default_config_static_selectorELNS0_4arch9wavefront6targetE1EEEvT1_
; %bb.0:
	.section	.rodata,"a",@progbits
	.p2align	6, 0x0
	.amdhsa_kernel _ZN7rocprim17ROCPRIM_400000_NS6detail17trampoline_kernelINS0_14default_configENS1_29reduce_by_key_config_selectorIilN6thrust23THRUST_200600_302600_NS4plusIlEEEEZZNS1_33reduce_by_key_impl_wrapped_configILNS1_25lookback_scan_determinismE0ES3_S9_PiNS6_17constant_iteratorIiNS6_11use_defaultESE_EENS6_10device_ptrIiEENSG_IlEEPmS8_NS6_8equal_toIiEEEE10hipError_tPvRmT2_T3_mT4_T5_T6_T7_T8_P12ihipStream_tbENKUlT_T0_E_clISt17integral_constantIbLb1EES12_IbLb0EEEEDaSY_SZ_EUlSY_E_NS1_11comp_targetILNS1_3genE2ELNS1_11target_archE906ELNS1_3gpuE6ELNS1_3repE0EEENS1_30default_config_static_selectorELNS0_4arch9wavefront6targetE1EEEvT1_
		.amdhsa_group_segment_fixed_size 0
		.amdhsa_private_segment_fixed_size 0
		.amdhsa_kernarg_size 144
		.amdhsa_user_sgpr_count 6
		.amdhsa_user_sgpr_private_segment_buffer 1
		.amdhsa_user_sgpr_dispatch_ptr 0
		.amdhsa_user_sgpr_queue_ptr 0
		.amdhsa_user_sgpr_kernarg_segment_ptr 1
		.amdhsa_user_sgpr_dispatch_id 0
		.amdhsa_user_sgpr_flat_scratch_init 0
		.amdhsa_user_sgpr_kernarg_preload_length 0
		.amdhsa_user_sgpr_kernarg_preload_offset 0
		.amdhsa_user_sgpr_private_segment_size 0
		.amdhsa_uses_dynamic_stack 0
		.amdhsa_system_sgpr_private_segment_wavefront_offset 0
		.amdhsa_system_sgpr_workgroup_id_x 1
		.amdhsa_system_sgpr_workgroup_id_y 0
		.amdhsa_system_sgpr_workgroup_id_z 0
		.amdhsa_system_sgpr_workgroup_info 0
		.amdhsa_system_vgpr_workitem_id 0
		.amdhsa_next_free_vgpr 1
		.amdhsa_next_free_sgpr 0
		.amdhsa_accum_offset 4
		.amdhsa_reserve_vcc 0
		.amdhsa_reserve_flat_scratch 0
		.amdhsa_float_round_mode_32 0
		.amdhsa_float_round_mode_16_64 0
		.amdhsa_float_denorm_mode_32 3
		.amdhsa_float_denorm_mode_16_64 3
		.amdhsa_dx10_clamp 1
		.amdhsa_ieee_mode 1
		.amdhsa_fp16_overflow 0
		.amdhsa_tg_split 0
		.amdhsa_exception_fp_ieee_invalid_op 0
		.amdhsa_exception_fp_denorm_src 0
		.amdhsa_exception_fp_ieee_div_zero 0
		.amdhsa_exception_fp_ieee_overflow 0
		.amdhsa_exception_fp_ieee_underflow 0
		.amdhsa_exception_fp_ieee_inexact 0
		.amdhsa_exception_int_div_zero 0
	.end_amdhsa_kernel
	.section	.text._ZN7rocprim17ROCPRIM_400000_NS6detail17trampoline_kernelINS0_14default_configENS1_29reduce_by_key_config_selectorIilN6thrust23THRUST_200600_302600_NS4plusIlEEEEZZNS1_33reduce_by_key_impl_wrapped_configILNS1_25lookback_scan_determinismE0ES3_S9_PiNS6_17constant_iteratorIiNS6_11use_defaultESE_EENS6_10device_ptrIiEENSG_IlEEPmS8_NS6_8equal_toIiEEEE10hipError_tPvRmT2_T3_mT4_T5_T6_T7_T8_P12ihipStream_tbENKUlT_T0_E_clISt17integral_constantIbLb1EES12_IbLb0EEEEDaSY_SZ_EUlSY_E_NS1_11comp_targetILNS1_3genE2ELNS1_11target_archE906ELNS1_3gpuE6ELNS1_3repE0EEENS1_30default_config_static_selectorELNS0_4arch9wavefront6targetE1EEEvT1_,"axG",@progbits,_ZN7rocprim17ROCPRIM_400000_NS6detail17trampoline_kernelINS0_14default_configENS1_29reduce_by_key_config_selectorIilN6thrust23THRUST_200600_302600_NS4plusIlEEEEZZNS1_33reduce_by_key_impl_wrapped_configILNS1_25lookback_scan_determinismE0ES3_S9_PiNS6_17constant_iteratorIiNS6_11use_defaultESE_EENS6_10device_ptrIiEENSG_IlEEPmS8_NS6_8equal_toIiEEEE10hipError_tPvRmT2_T3_mT4_T5_T6_T7_T8_P12ihipStream_tbENKUlT_T0_E_clISt17integral_constantIbLb1EES12_IbLb0EEEEDaSY_SZ_EUlSY_E_NS1_11comp_targetILNS1_3genE2ELNS1_11target_archE906ELNS1_3gpuE6ELNS1_3repE0EEENS1_30default_config_static_selectorELNS0_4arch9wavefront6targetE1EEEvT1_,comdat
.Lfunc_end960:
	.size	_ZN7rocprim17ROCPRIM_400000_NS6detail17trampoline_kernelINS0_14default_configENS1_29reduce_by_key_config_selectorIilN6thrust23THRUST_200600_302600_NS4plusIlEEEEZZNS1_33reduce_by_key_impl_wrapped_configILNS1_25lookback_scan_determinismE0ES3_S9_PiNS6_17constant_iteratorIiNS6_11use_defaultESE_EENS6_10device_ptrIiEENSG_IlEEPmS8_NS6_8equal_toIiEEEE10hipError_tPvRmT2_T3_mT4_T5_T6_T7_T8_P12ihipStream_tbENKUlT_T0_E_clISt17integral_constantIbLb1EES12_IbLb0EEEEDaSY_SZ_EUlSY_E_NS1_11comp_targetILNS1_3genE2ELNS1_11target_archE906ELNS1_3gpuE6ELNS1_3repE0EEENS1_30default_config_static_selectorELNS0_4arch9wavefront6targetE1EEEvT1_, .Lfunc_end960-_ZN7rocprim17ROCPRIM_400000_NS6detail17trampoline_kernelINS0_14default_configENS1_29reduce_by_key_config_selectorIilN6thrust23THRUST_200600_302600_NS4plusIlEEEEZZNS1_33reduce_by_key_impl_wrapped_configILNS1_25lookback_scan_determinismE0ES3_S9_PiNS6_17constant_iteratorIiNS6_11use_defaultESE_EENS6_10device_ptrIiEENSG_IlEEPmS8_NS6_8equal_toIiEEEE10hipError_tPvRmT2_T3_mT4_T5_T6_T7_T8_P12ihipStream_tbENKUlT_T0_E_clISt17integral_constantIbLb1EES12_IbLb0EEEEDaSY_SZ_EUlSY_E_NS1_11comp_targetILNS1_3genE2ELNS1_11target_archE906ELNS1_3gpuE6ELNS1_3repE0EEENS1_30default_config_static_selectorELNS0_4arch9wavefront6targetE1EEEvT1_
                                        ; -- End function
	.section	.AMDGPU.csdata,"",@progbits
; Kernel info:
; codeLenInByte = 0
; NumSgprs: 4
; NumVgprs: 0
; NumAgprs: 0
; TotalNumVgprs: 0
; ScratchSize: 0
; MemoryBound: 0
; FloatMode: 240
; IeeeMode: 1
; LDSByteSize: 0 bytes/workgroup (compile time only)
; SGPRBlocks: 0
; VGPRBlocks: 0
; NumSGPRsForWavesPerEU: 4
; NumVGPRsForWavesPerEU: 1
; AccumOffset: 4
; Occupancy: 8
; WaveLimiterHint : 0
; COMPUTE_PGM_RSRC2:SCRATCH_EN: 0
; COMPUTE_PGM_RSRC2:USER_SGPR: 6
; COMPUTE_PGM_RSRC2:TRAP_HANDLER: 0
; COMPUTE_PGM_RSRC2:TGID_X_EN: 1
; COMPUTE_PGM_RSRC2:TGID_Y_EN: 0
; COMPUTE_PGM_RSRC2:TGID_Z_EN: 0
; COMPUTE_PGM_RSRC2:TIDIG_COMP_CNT: 0
; COMPUTE_PGM_RSRC3_GFX90A:ACCUM_OFFSET: 0
; COMPUTE_PGM_RSRC3_GFX90A:TG_SPLIT: 0
	.section	.text._ZN7rocprim17ROCPRIM_400000_NS6detail17trampoline_kernelINS0_14default_configENS1_29reduce_by_key_config_selectorIilN6thrust23THRUST_200600_302600_NS4plusIlEEEEZZNS1_33reduce_by_key_impl_wrapped_configILNS1_25lookback_scan_determinismE0ES3_S9_PiNS6_17constant_iteratorIiNS6_11use_defaultESE_EENS6_10device_ptrIiEENSG_IlEEPmS8_NS6_8equal_toIiEEEE10hipError_tPvRmT2_T3_mT4_T5_T6_T7_T8_P12ihipStream_tbENKUlT_T0_E_clISt17integral_constantIbLb1EES12_IbLb0EEEEDaSY_SZ_EUlSY_E_NS1_11comp_targetILNS1_3genE10ELNS1_11target_archE1201ELNS1_3gpuE5ELNS1_3repE0EEENS1_30default_config_static_selectorELNS0_4arch9wavefront6targetE1EEEvT1_,"axG",@progbits,_ZN7rocprim17ROCPRIM_400000_NS6detail17trampoline_kernelINS0_14default_configENS1_29reduce_by_key_config_selectorIilN6thrust23THRUST_200600_302600_NS4plusIlEEEEZZNS1_33reduce_by_key_impl_wrapped_configILNS1_25lookback_scan_determinismE0ES3_S9_PiNS6_17constant_iteratorIiNS6_11use_defaultESE_EENS6_10device_ptrIiEENSG_IlEEPmS8_NS6_8equal_toIiEEEE10hipError_tPvRmT2_T3_mT4_T5_T6_T7_T8_P12ihipStream_tbENKUlT_T0_E_clISt17integral_constantIbLb1EES12_IbLb0EEEEDaSY_SZ_EUlSY_E_NS1_11comp_targetILNS1_3genE10ELNS1_11target_archE1201ELNS1_3gpuE5ELNS1_3repE0EEENS1_30default_config_static_selectorELNS0_4arch9wavefront6targetE1EEEvT1_,comdat
	.protected	_ZN7rocprim17ROCPRIM_400000_NS6detail17trampoline_kernelINS0_14default_configENS1_29reduce_by_key_config_selectorIilN6thrust23THRUST_200600_302600_NS4plusIlEEEEZZNS1_33reduce_by_key_impl_wrapped_configILNS1_25lookback_scan_determinismE0ES3_S9_PiNS6_17constant_iteratorIiNS6_11use_defaultESE_EENS6_10device_ptrIiEENSG_IlEEPmS8_NS6_8equal_toIiEEEE10hipError_tPvRmT2_T3_mT4_T5_T6_T7_T8_P12ihipStream_tbENKUlT_T0_E_clISt17integral_constantIbLb1EES12_IbLb0EEEEDaSY_SZ_EUlSY_E_NS1_11comp_targetILNS1_3genE10ELNS1_11target_archE1201ELNS1_3gpuE5ELNS1_3repE0EEENS1_30default_config_static_selectorELNS0_4arch9wavefront6targetE1EEEvT1_ ; -- Begin function _ZN7rocprim17ROCPRIM_400000_NS6detail17trampoline_kernelINS0_14default_configENS1_29reduce_by_key_config_selectorIilN6thrust23THRUST_200600_302600_NS4plusIlEEEEZZNS1_33reduce_by_key_impl_wrapped_configILNS1_25lookback_scan_determinismE0ES3_S9_PiNS6_17constant_iteratorIiNS6_11use_defaultESE_EENS6_10device_ptrIiEENSG_IlEEPmS8_NS6_8equal_toIiEEEE10hipError_tPvRmT2_T3_mT4_T5_T6_T7_T8_P12ihipStream_tbENKUlT_T0_E_clISt17integral_constantIbLb1EES12_IbLb0EEEEDaSY_SZ_EUlSY_E_NS1_11comp_targetILNS1_3genE10ELNS1_11target_archE1201ELNS1_3gpuE5ELNS1_3repE0EEENS1_30default_config_static_selectorELNS0_4arch9wavefront6targetE1EEEvT1_
	.globl	_ZN7rocprim17ROCPRIM_400000_NS6detail17trampoline_kernelINS0_14default_configENS1_29reduce_by_key_config_selectorIilN6thrust23THRUST_200600_302600_NS4plusIlEEEEZZNS1_33reduce_by_key_impl_wrapped_configILNS1_25lookback_scan_determinismE0ES3_S9_PiNS6_17constant_iteratorIiNS6_11use_defaultESE_EENS6_10device_ptrIiEENSG_IlEEPmS8_NS6_8equal_toIiEEEE10hipError_tPvRmT2_T3_mT4_T5_T6_T7_T8_P12ihipStream_tbENKUlT_T0_E_clISt17integral_constantIbLb1EES12_IbLb0EEEEDaSY_SZ_EUlSY_E_NS1_11comp_targetILNS1_3genE10ELNS1_11target_archE1201ELNS1_3gpuE5ELNS1_3repE0EEENS1_30default_config_static_selectorELNS0_4arch9wavefront6targetE1EEEvT1_
	.p2align	8
	.type	_ZN7rocprim17ROCPRIM_400000_NS6detail17trampoline_kernelINS0_14default_configENS1_29reduce_by_key_config_selectorIilN6thrust23THRUST_200600_302600_NS4plusIlEEEEZZNS1_33reduce_by_key_impl_wrapped_configILNS1_25lookback_scan_determinismE0ES3_S9_PiNS6_17constant_iteratorIiNS6_11use_defaultESE_EENS6_10device_ptrIiEENSG_IlEEPmS8_NS6_8equal_toIiEEEE10hipError_tPvRmT2_T3_mT4_T5_T6_T7_T8_P12ihipStream_tbENKUlT_T0_E_clISt17integral_constantIbLb1EES12_IbLb0EEEEDaSY_SZ_EUlSY_E_NS1_11comp_targetILNS1_3genE10ELNS1_11target_archE1201ELNS1_3gpuE5ELNS1_3repE0EEENS1_30default_config_static_selectorELNS0_4arch9wavefront6targetE1EEEvT1_,@function
_ZN7rocprim17ROCPRIM_400000_NS6detail17trampoline_kernelINS0_14default_configENS1_29reduce_by_key_config_selectorIilN6thrust23THRUST_200600_302600_NS4plusIlEEEEZZNS1_33reduce_by_key_impl_wrapped_configILNS1_25lookback_scan_determinismE0ES3_S9_PiNS6_17constant_iteratorIiNS6_11use_defaultESE_EENS6_10device_ptrIiEENSG_IlEEPmS8_NS6_8equal_toIiEEEE10hipError_tPvRmT2_T3_mT4_T5_T6_T7_T8_P12ihipStream_tbENKUlT_T0_E_clISt17integral_constantIbLb1EES12_IbLb0EEEEDaSY_SZ_EUlSY_E_NS1_11comp_targetILNS1_3genE10ELNS1_11target_archE1201ELNS1_3gpuE5ELNS1_3repE0EEENS1_30default_config_static_selectorELNS0_4arch9wavefront6targetE1EEEvT1_: ; @_ZN7rocprim17ROCPRIM_400000_NS6detail17trampoline_kernelINS0_14default_configENS1_29reduce_by_key_config_selectorIilN6thrust23THRUST_200600_302600_NS4plusIlEEEEZZNS1_33reduce_by_key_impl_wrapped_configILNS1_25lookback_scan_determinismE0ES3_S9_PiNS6_17constant_iteratorIiNS6_11use_defaultESE_EENS6_10device_ptrIiEENSG_IlEEPmS8_NS6_8equal_toIiEEEE10hipError_tPvRmT2_T3_mT4_T5_T6_T7_T8_P12ihipStream_tbENKUlT_T0_E_clISt17integral_constantIbLb1EES12_IbLb0EEEEDaSY_SZ_EUlSY_E_NS1_11comp_targetILNS1_3genE10ELNS1_11target_archE1201ELNS1_3gpuE5ELNS1_3repE0EEENS1_30default_config_static_selectorELNS0_4arch9wavefront6targetE1EEEvT1_
; %bb.0:
	.section	.rodata,"a",@progbits
	.p2align	6, 0x0
	.amdhsa_kernel _ZN7rocprim17ROCPRIM_400000_NS6detail17trampoline_kernelINS0_14default_configENS1_29reduce_by_key_config_selectorIilN6thrust23THRUST_200600_302600_NS4plusIlEEEEZZNS1_33reduce_by_key_impl_wrapped_configILNS1_25lookback_scan_determinismE0ES3_S9_PiNS6_17constant_iteratorIiNS6_11use_defaultESE_EENS6_10device_ptrIiEENSG_IlEEPmS8_NS6_8equal_toIiEEEE10hipError_tPvRmT2_T3_mT4_T5_T6_T7_T8_P12ihipStream_tbENKUlT_T0_E_clISt17integral_constantIbLb1EES12_IbLb0EEEEDaSY_SZ_EUlSY_E_NS1_11comp_targetILNS1_3genE10ELNS1_11target_archE1201ELNS1_3gpuE5ELNS1_3repE0EEENS1_30default_config_static_selectorELNS0_4arch9wavefront6targetE1EEEvT1_
		.amdhsa_group_segment_fixed_size 0
		.amdhsa_private_segment_fixed_size 0
		.amdhsa_kernarg_size 144
		.amdhsa_user_sgpr_count 6
		.amdhsa_user_sgpr_private_segment_buffer 1
		.amdhsa_user_sgpr_dispatch_ptr 0
		.amdhsa_user_sgpr_queue_ptr 0
		.amdhsa_user_sgpr_kernarg_segment_ptr 1
		.amdhsa_user_sgpr_dispatch_id 0
		.amdhsa_user_sgpr_flat_scratch_init 0
		.amdhsa_user_sgpr_kernarg_preload_length 0
		.amdhsa_user_sgpr_kernarg_preload_offset 0
		.amdhsa_user_sgpr_private_segment_size 0
		.amdhsa_uses_dynamic_stack 0
		.amdhsa_system_sgpr_private_segment_wavefront_offset 0
		.amdhsa_system_sgpr_workgroup_id_x 1
		.amdhsa_system_sgpr_workgroup_id_y 0
		.amdhsa_system_sgpr_workgroup_id_z 0
		.amdhsa_system_sgpr_workgroup_info 0
		.amdhsa_system_vgpr_workitem_id 0
		.amdhsa_next_free_vgpr 1
		.amdhsa_next_free_sgpr 0
		.amdhsa_accum_offset 4
		.amdhsa_reserve_vcc 0
		.amdhsa_reserve_flat_scratch 0
		.amdhsa_float_round_mode_32 0
		.amdhsa_float_round_mode_16_64 0
		.amdhsa_float_denorm_mode_32 3
		.amdhsa_float_denorm_mode_16_64 3
		.amdhsa_dx10_clamp 1
		.amdhsa_ieee_mode 1
		.amdhsa_fp16_overflow 0
		.amdhsa_tg_split 0
		.amdhsa_exception_fp_ieee_invalid_op 0
		.amdhsa_exception_fp_denorm_src 0
		.amdhsa_exception_fp_ieee_div_zero 0
		.amdhsa_exception_fp_ieee_overflow 0
		.amdhsa_exception_fp_ieee_underflow 0
		.amdhsa_exception_fp_ieee_inexact 0
		.amdhsa_exception_int_div_zero 0
	.end_amdhsa_kernel
	.section	.text._ZN7rocprim17ROCPRIM_400000_NS6detail17trampoline_kernelINS0_14default_configENS1_29reduce_by_key_config_selectorIilN6thrust23THRUST_200600_302600_NS4plusIlEEEEZZNS1_33reduce_by_key_impl_wrapped_configILNS1_25lookback_scan_determinismE0ES3_S9_PiNS6_17constant_iteratorIiNS6_11use_defaultESE_EENS6_10device_ptrIiEENSG_IlEEPmS8_NS6_8equal_toIiEEEE10hipError_tPvRmT2_T3_mT4_T5_T6_T7_T8_P12ihipStream_tbENKUlT_T0_E_clISt17integral_constantIbLb1EES12_IbLb0EEEEDaSY_SZ_EUlSY_E_NS1_11comp_targetILNS1_3genE10ELNS1_11target_archE1201ELNS1_3gpuE5ELNS1_3repE0EEENS1_30default_config_static_selectorELNS0_4arch9wavefront6targetE1EEEvT1_,"axG",@progbits,_ZN7rocprim17ROCPRIM_400000_NS6detail17trampoline_kernelINS0_14default_configENS1_29reduce_by_key_config_selectorIilN6thrust23THRUST_200600_302600_NS4plusIlEEEEZZNS1_33reduce_by_key_impl_wrapped_configILNS1_25lookback_scan_determinismE0ES3_S9_PiNS6_17constant_iteratorIiNS6_11use_defaultESE_EENS6_10device_ptrIiEENSG_IlEEPmS8_NS6_8equal_toIiEEEE10hipError_tPvRmT2_T3_mT4_T5_T6_T7_T8_P12ihipStream_tbENKUlT_T0_E_clISt17integral_constantIbLb1EES12_IbLb0EEEEDaSY_SZ_EUlSY_E_NS1_11comp_targetILNS1_3genE10ELNS1_11target_archE1201ELNS1_3gpuE5ELNS1_3repE0EEENS1_30default_config_static_selectorELNS0_4arch9wavefront6targetE1EEEvT1_,comdat
.Lfunc_end961:
	.size	_ZN7rocprim17ROCPRIM_400000_NS6detail17trampoline_kernelINS0_14default_configENS1_29reduce_by_key_config_selectorIilN6thrust23THRUST_200600_302600_NS4plusIlEEEEZZNS1_33reduce_by_key_impl_wrapped_configILNS1_25lookback_scan_determinismE0ES3_S9_PiNS6_17constant_iteratorIiNS6_11use_defaultESE_EENS6_10device_ptrIiEENSG_IlEEPmS8_NS6_8equal_toIiEEEE10hipError_tPvRmT2_T3_mT4_T5_T6_T7_T8_P12ihipStream_tbENKUlT_T0_E_clISt17integral_constantIbLb1EES12_IbLb0EEEEDaSY_SZ_EUlSY_E_NS1_11comp_targetILNS1_3genE10ELNS1_11target_archE1201ELNS1_3gpuE5ELNS1_3repE0EEENS1_30default_config_static_selectorELNS0_4arch9wavefront6targetE1EEEvT1_, .Lfunc_end961-_ZN7rocprim17ROCPRIM_400000_NS6detail17trampoline_kernelINS0_14default_configENS1_29reduce_by_key_config_selectorIilN6thrust23THRUST_200600_302600_NS4plusIlEEEEZZNS1_33reduce_by_key_impl_wrapped_configILNS1_25lookback_scan_determinismE0ES3_S9_PiNS6_17constant_iteratorIiNS6_11use_defaultESE_EENS6_10device_ptrIiEENSG_IlEEPmS8_NS6_8equal_toIiEEEE10hipError_tPvRmT2_T3_mT4_T5_T6_T7_T8_P12ihipStream_tbENKUlT_T0_E_clISt17integral_constantIbLb1EES12_IbLb0EEEEDaSY_SZ_EUlSY_E_NS1_11comp_targetILNS1_3genE10ELNS1_11target_archE1201ELNS1_3gpuE5ELNS1_3repE0EEENS1_30default_config_static_selectorELNS0_4arch9wavefront6targetE1EEEvT1_
                                        ; -- End function
	.section	.AMDGPU.csdata,"",@progbits
; Kernel info:
; codeLenInByte = 0
; NumSgprs: 4
; NumVgprs: 0
; NumAgprs: 0
; TotalNumVgprs: 0
; ScratchSize: 0
; MemoryBound: 0
; FloatMode: 240
; IeeeMode: 1
; LDSByteSize: 0 bytes/workgroup (compile time only)
; SGPRBlocks: 0
; VGPRBlocks: 0
; NumSGPRsForWavesPerEU: 4
; NumVGPRsForWavesPerEU: 1
; AccumOffset: 4
; Occupancy: 8
; WaveLimiterHint : 0
; COMPUTE_PGM_RSRC2:SCRATCH_EN: 0
; COMPUTE_PGM_RSRC2:USER_SGPR: 6
; COMPUTE_PGM_RSRC2:TRAP_HANDLER: 0
; COMPUTE_PGM_RSRC2:TGID_X_EN: 1
; COMPUTE_PGM_RSRC2:TGID_Y_EN: 0
; COMPUTE_PGM_RSRC2:TGID_Z_EN: 0
; COMPUTE_PGM_RSRC2:TIDIG_COMP_CNT: 0
; COMPUTE_PGM_RSRC3_GFX90A:ACCUM_OFFSET: 0
; COMPUTE_PGM_RSRC3_GFX90A:TG_SPLIT: 0
	.section	.text._ZN7rocprim17ROCPRIM_400000_NS6detail17trampoline_kernelINS0_14default_configENS1_29reduce_by_key_config_selectorIilN6thrust23THRUST_200600_302600_NS4plusIlEEEEZZNS1_33reduce_by_key_impl_wrapped_configILNS1_25lookback_scan_determinismE0ES3_S9_PiNS6_17constant_iteratorIiNS6_11use_defaultESE_EENS6_10device_ptrIiEENSG_IlEEPmS8_NS6_8equal_toIiEEEE10hipError_tPvRmT2_T3_mT4_T5_T6_T7_T8_P12ihipStream_tbENKUlT_T0_E_clISt17integral_constantIbLb1EES12_IbLb0EEEEDaSY_SZ_EUlSY_E_NS1_11comp_targetILNS1_3genE10ELNS1_11target_archE1200ELNS1_3gpuE4ELNS1_3repE0EEENS1_30default_config_static_selectorELNS0_4arch9wavefront6targetE1EEEvT1_,"axG",@progbits,_ZN7rocprim17ROCPRIM_400000_NS6detail17trampoline_kernelINS0_14default_configENS1_29reduce_by_key_config_selectorIilN6thrust23THRUST_200600_302600_NS4plusIlEEEEZZNS1_33reduce_by_key_impl_wrapped_configILNS1_25lookback_scan_determinismE0ES3_S9_PiNS6_17constant_iteratorIiNS6_11use_defaultESE_EENS6_10device_ptrIiEENSG_IlEEPmS8_NS6_8equal_toIiEEEE10hipError_tPvRmT2_T3_mT4_T5_T6_T7_T8_P12ihipStream_tbENKUlT_T0_E_clISt17integral_constantIbLb1EES12_IbLb0EEEEDaSY_SZ_EUlSY_E_NS1_11comp_targetILNS1_3genE10ELNS1_11target_archE1200ELNS1_3gpuE4ELNS1_3repE0EEENS1_30default_config_static_selectorELNS0_4arch9wavefront6targetE1EEEvT1_,comdat
	.protected	_ZN7rocprim17ROCPRIM_400000_NS6detail17trampoline_kernelINS0_14default_configENS1_29reduce_by_key_config_selectorIilN6thrust23THRUST_200600_302600_NS4plusIlEEEEZZNS1_33reduce_by_key_impl_wrapped_configILNS1_25lookback_scan_determinismE0ES3_S9_PiNS6_17constant_iteratorIiNS6_11use_defaultESE_EENS6_10device_ptrIiEENSG_IlEEPmS8_NS6_8equal_toIiEEEE10hipError_tPvRmT2_T3_mT4_T5_T6_T7_T8_P12ihipStream_tbENKUlT_T0_E_clISt17integral_constantIbLb1EES12_IbLb0EEEEDaSY_SZ_EUlSY_E_NS1_11comp_targetILNS1_3genE10ELNS1_11target_archE1200ELNS1_3gpuE4ELNS1_3repE0EEENS1_30default_config_static_selectorELNS0_4arch9wavefront6targetE1EEEvT1_ ; -- Begin function _ZN7rocprim17ROCPRIM_400000_NS6detail17trampoline_kernelINS0_14default_configENS1_29reduce_by_key_config_selectorIilN6thrust23THRUST_200600_302600_NS4plusIlEEEEZZNS1_33reduce_by_key_impl_wrapped_configILNS1_25lookback_scan_determinismE0ES3_S9_PiNS6_17constant_iteratorIiNS6_11use_defaultESE_EENS6_10device_ptrIiEENSG_IlEEPmS8_NS6_8equal_toIiEEEE10hipError_tPvRmT2_T3_mT4_T5_T6_T7_T8_P12ihipStream_tbENKUlT_T0_E_clISt17integral_constantIbLb1EES12_IbLb0EEEEDaSY_SZ_EUlSY_E_NS1_11comp_targetILNS1_3genE10ELNS1_11target_archE1200ELNS1_3gpuE4ELNS1_3repE0EEENS1_30default_config_static_selectorELNS0_4arch9wavefront6targetE1EEEvT1_
	.globl	_ZN7rocprim17ROCPRIM_400000_NS6detail17trampoline_kernelINS0_14default_configENS1_29reduce_by_key_config_selectorIilN6thrust23THRUST_200600_302600_NS4plusIlEEEEZZNS1_33reduce_by_key_impl_wrapped_configILNS1_25lookback_scan_determinismE0ES3_S9_PiNS6_17constant_iteratorIiNS6_11use_defaultESE_EENS6_10device_ptrIiEENSG_IlEEPmS8_NS6_8equal_toIiEEEE10hipError_tPvRmT2_T3_mT4_T5_T6_T7_T8_P12ihipStream_tbENKUlT_T0_E_clISt17integral_constantIbLb1EES12_IbLb0EEEEDaSY_SZ_EUlSY_E_NS1_11comp_targetILNS1_3genE10ELNS1_11target_archE1200ELNS1_3gpuE4ELNS1_3repE0EEENS1_30default_config_static_selectorELNS0_4arch9wavefront6targetE1EEEvT1_
	.p2align	8
	.type	_ZN7rocprim17ROCPRIM_400000_NS6detail17trampoline_kernelINS0_14default_configENS1_29reduce_by_key_config_selectorIilN6thrust23THRUST_200600_302600_NS4plusIlEEEEZZNS1_33reduce_by_key_impl_wrapped_configILNS1_25lookback_scan_determinismE0ES3_S9_PiNS6_17constant_iteratorIiNS6_11use_defaultESE_EENS6_10device_ptrIiEENSG_IlEEPmS8_NS6_8equal_toIiEEEE10hipError_tPvRmT2_T3_mT4_T5_T6_T7_T8_P12ihipStream_tbENKUlT_T0_E_clISt17integral_constantIbLb1EES12_IbLb0EEEEDaSY_SZ_EUlSY_E_NS1_11comp_targetILNS1_3genE10ELNS1_11target_archE1200ELNS1_3gpuE4ELNS1_3repE0EEENS1_30default_config_static_selectorELNS0_4arch9wavefront6targetE1EEEvT1_,@function
_ZN7rocprim17ROCPRIM_400000_NS6detail17trampoline_kernelINS0_14default_configENS1_29reduce_by_key_config_selectorIilN6thrust23THRUST_200600_302600_NS4plusIlEEEEZZNS1_33reduce_by_key_impl_wrapped_configILNS1_25lookback_scan_determinismE0ES3_S9_PiNS6_17constant_iteratorIiNS6_11use_defaultESE_EENS6_10device_ptrIiEENSG_IlEEPmS8_NS6_8equal_toIiEEEE10hipError_tPvRmT2_T3_mT4_T5_T6_T7_T8_P12ihipStream_tbENKUlT_T0_E_clISt17integral_constantIbLb1EES12_IbLb0EEEEDaSY_SZ_EUlSY_E_NS1_11comp_targetILNS1_3genE10ELNS1_11target_archE1200ELNS1_3gpuE4ELNS1_3repE0EEENS1_30default_config_static_selectorELNS0_4arch9wavefront6targetE1EEEvT1_: ; @_ZN7rocprim17ROCPRIM_400000_NS6detail17trampoline_kernelINS0_14default_configENS1_29reduce_by_key_config_selectorIilN6thrust23THRUST_200600_302600_NS4plusIlEEEEZZNS1_33reduce_by_key_impl_wrapped_configILNS1_25lookback_scan_determinismE0ES3_S9_PiNS6_17constant_iteratorIiNS6_11use_defaultESE_EENS6_10device_ptrIiEENSG_IlEEPmS8_NS6_8equal_toIiEEEE10hipError_tPvRmT2_T3_mT4_T5_T6_T7_T8_P12ihipStream_tbENKUlT_T0_E_clISt17integral_constantIbLb1EES12_IbLb0EEEEDaSY_SZ_EUlSY_E_NS1_11comp_targetILNS1_3genE10ELNS1_11target_archE1200ELNS1_3gpuE4ELNS1_3repE0EEENS1_30default_config_static_selectorELNS0_4arch9wavefront6targetE1EEEvT1_
; %bb.0:
	.section	.rodata,"a",@progbits
	.p2align	6, 0x0
	.amdhsa_kernel _ZN7rocprim17ROCPRIM_400000_NS6detail17trampoline_kernelINS0_14default_configENS1_29reduce_by_key_config_selectorIilN6thrust23THRUST_200600_302600_NS4plusIlEEEEZZNS1_33reduce_by_key_impl_wrapped_configILNS1_25lookback_scan_determinismE0ES3_S9_PiNS6_17constant_iteratorIiNS6_11use_defaultESE_EENS6_10device_ptrIiEENSG_IlEEPmS8_NS6_8equal_toIiEEEE10hipError_tPvRmT2_T3_mT4_T5_T6_T7_T8_P12ihipStream_tbENKUlT_T0_E_clISt17integral_constantIbLb1EES12_IbLb0EEEEDaSY_SZ_EUlSY_E_NS1_11comp_targetILNS1_3genE10ELNS1_11target_archE1200ELNS1_3gpuE4ELNS1_3repE0EEENS1_30default_config_static_selectorELNS0_4arch9wavefront6targetE1EEEvT1_
		.amdhsa_group_segment_fixed_size 0
		.amdhsa_private_segment_fixed_size 0
		.amdhsa_kernarg_size 144
		.amdhsa_user_sgpr_count 6
		.amdhsa_user_sgpr_private_segment_buffer 1
		.amdhsa_user_sgpr_dispatch_ptr 0
		.amdhsa_user_sgpr_queue_ptr 0
		.amdhsa_user_sgpr_kernarg_segment_ptr 1
		.amdhsa_user_sgpr_dispatch_id 0
		.amdhsa_user_sgpr_flat_scratch_init 0
		.amdhsa_user_sgpr_kernarg_preload_length 0
		.amdhsa_user_sgpr_kernarg_preload_offset 0
		.amdhsa_user_sgpr_private_segment_size 0
		.amdhsa_uses_dynamic_stack 0
		.amdhsa_system_sgpr_private_segment_wavefront_offset 0
		.amdhsa_system_sgpr_workgroup_id_x 1
		.amdhsa_system_sgpr_workgroup_id_y 0
		.amdhsa_system_sgpr_workgroup_id_z 0
		.amdhsa_system_sgpr_workgroup_info 0
		.amdhsa_system_vgpr_workitem_id 0
		.amdhsa_next_free_vgpr 1
		.amdhsa_next_free_sgpr 0
		.amdhsa_accum_offset 4
		.amdhsa_reserve_vcc 0
		.amdhsa_reserve_flat_scratch 0
		.amdhsa_float_round_mode_32 0
		.amdhsa_float_round_mode_16_64 0
		.amdhsa_float_denorm_mode_32 3
		.amdhsa_float_denorm_mode_16_64 3
		.amdhsa_dx10_clamp 1
		.amdhsa_ieee_mode 1
		.amdhsa_fp16_overflow 0
		.amdhsa_tg_split 0
		.amdhsa_exception_fp_ieee_invalid_op 0
		.amdhsa_exception_fp_denorm_src 0
		.amdhsa_exception_fp_ieee_div_zero 0
		.amdhsa_exception_fp_ieee_overflow 0
		.amdhsa_exception_fp_ieee_underflow 0
		.amdhsa_exception_fp_ieee_inexact 0
		.amdhsa_exception_int_div_zero 0
	.end_amdhsa_kernel
	.section	.text._ZN7rocprim17ROCPRIM_400000_NS6detail17trampoline_kernelINS0_14default_configENS1_29reduce_by_key_config_selectorIilN6thrust23THRUST_200600_302600_NS4plusIlEEEEZZNS1_33reduce_by_key_impl_wrapped_configILNS1_25lookback_scan_determinismE0ES3_S9_PiNS6_17constant_iteratorIiNS6_11use_defaultESE_EENS6_10device_ptrIiEENSG_IlEEPmS8_NS6_8equal_toIiEEEE10hipError_tPvRmT2_T3_mT4_T5_T6_T7_T8_P12ihipStream_tbENKUlT_T0_E_clISt17integral_constantIbLb1EES12_IbLb0EEEEDaSY_SZ_EUlSY_E_NS1_11comp_targetILNS1_3genE10ELNS1_11target_archE1200ELNS1_3gpuE4ELNS1_3repE0EEENS1_30default_config_static_selectorELNS0_4arch9wavefront6targetE1EEEvT1_,"axG",@progbits,_ZN7rocprim17ROCPRIM_400000_NS6detail17trampoline_kernelINS0_14default_configENS1_29reduce_by_key_config_selectorIilN6thrust23THRUST_200600_302600_NS4plusIlEEEEZZNS1_33reduce_by_key_impl_wrapped_configILNS1_25lookback_scan_determinismE0ES3_S9_PiNS6_17constant_iteratorIiNS6_11use_defaultESE_EENS6_10device_ptrIiEENSG_IlEEPmS8_NS6_8equal_toIiEEEE10hipError_tPvRmT2_T3_mT4_T5_T6_T7_T8_P12ihipStream_tbENKUlT_T0_E_clISt17integral_constantIbLb1EES12_IbLb0EEEEDaSY_SZ_EUlSY_E_NS1_11comp_targetILNS1_3genE10ELNS1_11target_archE1200ELNS1_3gpuE4ELNS1_3repE0EEENS1_30default_config_static_selectorELNS0_4arch9wavefront6targetE1EEEvT1_,comdat
.Lfunc_end962:
	.size	_ZN7rocprim17ROCPRIM_400000_NS6detail17trampoline_kernelINS0_14default_configENS1_29reduce_by_key_config_selectorIilN6thrust23THRUST_200600_302600_NS4plusIlEEEEZZNS1_33reduce_by_key_impl_wrapped_configILNS1_25lookback_scan_determinismE0ES3_S9_PiNS6_17constant_iteratorIiNS6_11use_defaultESE_EENS6_10device_ptrIiEENSG_IlEEPmS8_NS6_8equal_toIiEEEE10hipError_tPvRmT2_T3_mT4_T5_T6_T7_T8_P12ihipStream_tbENKUlT_T0_E_clISt17integral_constantIbLb1EES12_IbLb0EEEEDaSY_SZ_EUlSY_E_NS1_11comp_targetILNS1_3genE10ELNS1_11target_archE1200ELNS1_3gpuE4ELNS1_3repE0EEENS1_30default_config_static_selectorELNS0_4arch9wavefront6targetE1EEEvT1_, .Lfunc_end962-_ZN7rocprim17ROCPRIM_400000_NS6detail17trampoline_kernelINS0_14default_configENS1_29reduce_by_key_config_selectorIilN6thrust23THRUST_200600_302600_NS4plusIlEEEEZZNS1_33reduce_by_key_impl_wrapped_configILNS1_25lookback_scan_determinismE0ES3_S9_PiNS6_17constant_iteratorIiNS6_11use_defaultESE_EENS6_10device_ptrIiEENSG_IlEEPmS8_NS6_8equal_toIiEEEE10hipError_tPvRmT2_T3_mT4_T5_T6_T7_T8_P12ihipStream_tbENKUlT_T0_E_clISt17integral_constantIbLb1EES12_IbLb0EEEEDaSY_SZ_EUlSY_E_NS1_11comp_targetILNS1_3genE10ELNS1_11target_archE1200ELNS1_3gpuE4ELNS1_3repE0EEENS1_30default_config_static_selectorELNS0_4arch9wavefront6targetE1EEEvT1_
                                        ; -- End function
	.section	.AMDGPU.csdata,"",@progbits
; Kernel info:
; codeLenInByte = 0
; NumSgprs: 4
; NumVgprs: 0
; NumAgprs: 0
; TotalNumVgprs: 0
; ScratchSize: 0
; MemoryBound: 0
; FloatMode: 240
; IeeeMode: 1
; LDSByteSize: 0 bytes/workgroup (compile time only)
; SGPRBlocks: 0
; VGPRBlocks: 0
; NumSGPRsForWavesPerEU: 4
; NumVGPRsForWavesPerEU: 1
; AccumOffset: 4
; Occupancy: 8
; WaveLimiterHint : 0
; COMPUTE_PGM_RSRC2:SCRATCH_EN: 0
; COMPUTE_PGM_RSRC2:USER_SGPR: 6
; COMPUTE_PGM_RSRC2:TRAP_HANDLER: 0
; COMPUTE_PGM_RSRC2:TGID_X_EN: 1
; COMPUTE_PGM_RSRC2:TGID_Y_EN: 0
; COMPUTE_PGM_RSRC2:TGID_Z_EN: 0
; COMPUTE_PGM_RSRC2:TIDIG_COMP_CNT: 0
; COMPUTE_PGM_RSRC3_GFX90A:ACCUM_OFFSET: 0
; COMPUTE_PGM_RSRC3_GFX90A:TG_SPLIT: 0
	.section	.text._ZN7rocprim17ROCPRIM_400000_NS6detail17trampoline_kernelINS0_14default_configENS1_29reduce_by_key_config_selectorIilN6thrust23THRUST_200600_302600_NS4plusIlEEEEZZNS1_33reduce_by_key_impl_wrapped_configILNS1_25lookback_scan_determinismE0ES3_S9_PiNS6_17constant_iteratorIiNS6_11use_defaultESE_EENS6_10device_ptrIiEENSG_IlEEPmS8_NS6_8equal_toIiEEEE10hipError_tPvRmT2_T3_mT4_T5_T6_T7_T8_P12ihipStream_tbENKUlT_T0_E_clISt17integral_constantIbLb1EES12_IbLb0EEEEDaSY_SZ_EUlSY_E_NS1_11comp_targetILNS1_3genE9ELNS1_11target_archE1100ELNS1_3gpuE3ELNS1_3repE0EEENS1_30default_config_static_selectorELNS0_4arch9wavefront6targetE1EEEvT1_,"axG",@progbits,_ZN7rocprim17ROCPRIM_400000_NS6detail17trampoline_kernelINS0_14default_configENS1_29reduce_by_key_config_selectorIilN6thrust23THRUST_200600_302600_NS4plusIlEEEEZZNS1_33reduce_by_key_impl_wrapped_configILNS1_25lookback_scan_determinismE0ES3_S9_PiNS6_17constant_iteratorIiNS6_11use_defaultESE_EENS6_10device_ptrIiEENSG_IlEEPmS8_NS6_8equal_toIiEEEE10hipError_tPvRmT2_T3_mT4_T5_T6_T7_T8_P12ihipStream_tbENKUlT_T0_E_clISt17integral_constantIbLb1EES12_IbLb0EEEEDaSY_SZ_EUlSY_E_NS1_11comp_targetILNS1_3genE9ELNS1_11target_archE1100ELNS1_3gpuE3ELNS1_3repE0EEENS1_30default_config_static_selectorELNS0_4arch9wavefront6targetE1EEEvT1_,comdat
	.protected	_ZN7rocprim17ROCPRIM_400000_NS6detail17trampoline_kernelINS0_14default_configENS1_29reduce_by_key_config_selectorIilN6thrust23THRUST_200600_302600_NS4plusIlEEEEZZNS1_33reduce_by_key_impl_wrapped_configILNS1_25lookback_scan_determinismE0ES3_S9_PiNS6_17constant_iteratorIiNS6_11use_defaultESE_EENS6_10device_ptrIiEENSG_IlEEPmS8_NS6_8equal_toIiEEEE10hipError_tPvRmT2_T3_mT4_T5_T6_T7_T8_P12ihipStream_tbENKUlT_T0_E_clISt17integral_constantIbLb1EES12_IbLb0EEEEDaSY_SZ_EUlSY_E_NS1_11comp_targetILNS1_3genE9ELNS1_11target_archE1100ELNS1_3gpuE3ELNS1_3repE0EEENS1_30default_config_static_selectorELNS0_4arch9wavefront6targetE1EEEvT1_ ; -- Begin function _ZN7rocprim17ROCPRIM_400000_NS6detail17trampoline_kernelINS0_14default_configENS1_29reduce_by_key_config_selectorIilN6thrust23THRUST_200600_302600_NS4plusIlEEEEZZNS1_33reduce_by_key_impl_wrapped_configILNS1_25lookback_scan_determinismE0ES3_S9_PiNS6_17constant_iteratorIiNS6_11use_defaultESE_EENS6_10device_ptrIiEENSG_IlEEPmS8_NS6_8equal_toIiEEEE10hipError_tPvRmT2_T3_mT4_T5_T6_T7_T8_P12ihipStream_tbENKUlT_T0_E_clISt17integral_constantIbLb1EES12_IbLb0EEEEDaSY_SZ_EUlSY_E_NS1_11comp_targetILNS1_3genE9ELNS1_11target_archE1100ELNS1_3gpuE3ELNS1_3repE0EEENS1_30default_config_static_selectorELNS0_4arch9wavefront6targetE1EEEvT1_
	.globl	_ZN7rocprim17ROCPRIM_400000_NS6detail17trampoline_kernelINS0_14default_configENS1_29reduce_by_key_config_selectorIilN6thrust23THRUST_200600_302600_NS4plusIlEEEEZZNS1_33reduce_by_key_impl_wrapped_configILNS1_25lookback_scan_determinismE0ES3_S9_PiNS6_17constant_iteratorIiNS6_11use_defaultESE_EENS6_10device_ptrIiEENSG_IlEEPmS8_NS6_8equal_toIiEEEE10hipError_tPvRmT2_T3_mT4_T5_T6_T7_T8_P12ihipStream_tbENKUlT_T0_E_clISt17integral_constantIbLb1EES12_IbLb0EEEEDaSY_SZ_EUlSY_E_NS1_11comp_targetILNS1_3genE9ELNS1_11target_archE1100ELNS1_3gpuE3ELNS1_3repE0EEENS1_30default_config_static_selectorELNS0_4arch9wavefront6targetE1EEEvT1_
	.p2align	8
	.type	_ZN7rocprim17ROCPRIM_400000_NS6detail17trampoline_kernelINS0_14default_configENS1_29reduce_by_key_config_selectorIilN6thrust23THRUST_200600_302600_NS4plusIlEEEEZZNS1_33reduce_by_key_impl_wrapped_configILNS1_25lookback_scan_determinismE0ES3_S9_PiNS6_17constant_iteratorIiNS6_11use_defaultESE_EENS6_10device_ptrIiEENSG_IlEEPmS8_NS6_8equal_toIiEEEE10hipError_tPvRmT2_T3_mT4_T5_T6_T7_T8_P12ihipStream_tbENKUlT_T0_E_clISt17integral_constantIbLb1EES12_IbLb0EEEEDaSY_SZ_EUlSY_E_NS1_11comp_targetILNS1_3genE9ELNS1_11target_archE1100ELNS1_3gpuE3ELNS1_3repE0EEENS1_30default_config_static_selectorELNS0_4arch9wavefront6targetE1EEEvT1_,@function
_ZN7rocprim17ROCPRIM_400000_NS6detail17trampoline_kernelINS0_14default_configENS1_29reduce_by_key_config_selectorIilN6thrust23THRUST_200600_302600_NS4plusIlEEEEZZNS1_33reduce_by_key_impl_wrapped_configILNS1_25lookback_scan_determinismE0ES3_S9_PiNS6_17constant_iteratorIiNS6_11use_defaultESE_EENS6_10device_ptrIiEENSG_IlEEPmS8_NS6_8equal_toIiEEEE10hipError_tPvRmT2_T3_mT4_T5_T6_T7_T8_P12ihipStream_tbENKUlT_T0_E_clISt17integral_constantIbLb1EES12_IbLb0EEEEDaSY_SZ_EUlSY_E_NS1_11comp_targetILNS1_3genE9ELNS1_11target_archE1100ELNS1_3gpuE3ELNS1_3repE0EEENS1_30default_config_static_selectorELNS0_4arch9wavefront6targetE1EEEvT1_: ; @_ZN7rocprim17ROCPRIM_400000_NS6detail17trampoline_kernelINS0_14default_configENS1_29reduce_by_key_config_selectorIilN6thrust23THRUST_200600_302600_NS4plusIlEEEEZZNS1_33reduce_by_key_impl_wrapped_configILNS1_25lookback_scan_determinismE0ES3_S9_PiNS6_17constant_iteratorIiNS6_11use_defaultESE_EENS6_10device_ptrIiEENSG_IlEEPmS8_NS6_8equal_toIiEEEE10hipError_tPvRmT2_T3_mT4_T5_T6_T7_T8_P12ihipStream_tbENKUlT_T0_E_clISt17integral_constantIbLb1EES12_IbLb0EEEEDaSY_SZ_EUlSY_E_NS1_11comp_targetILNS1_3genE9ELNS1_11target_archE1100ELNS1_3gpuE3ELNS1_3repE0EEENS1_30default_config_static_selectorELNS0_4arch9wavefront6targetE1EEEvT1_
; %bb.0:
	.section	.rodata,"a",@progbits
	.p2align	6, 0x0
	.amdhsa_kernel _ZN7rocprim17ROCPRIM_400000_NS6detail17trampoline_kernelINS0_14default_configENS1_29reduce_by_key_config_selectorIilN6thrust23THRUST_200600_302600_NS4plusIlEEEEZZNS1_33reduce_by_key_impl_wrapped_configILNS1_25lookback_scan_determinismE0ES3_S9_PiNS6_17constant_iteratorIiNS6_11use_defaultESE_EENS6_10device_ptrIiEENSG_IlEEPmS8_NS6_8equal_toIiEEEE10hipError_tPvRmT2_T3_mT4_T5_T6_T7_T8_P12ihipStream_tbENKUlT_T0_E_clISt17integral_constantIbLb1EES12_IbLb0EEEEDaSY_SZ_EUlSY_E_NS1_11comp_targetILNS1_3genE9ELNS1_11target_archE1100ELNS1_3gpuE3ELNS1_3repE0EEENS1_30default_config_static_selectorELNS0_4arch9wavefront6targetE1EEEvT1_
		.amdhsa_group_segment_fixed_size 0
		.amdhsa_private_segment_fixed_size 0
		.amdhsa_kernarg_size 144
		.amdhsa_user_sgpr_count 6
		.amdhsa_user_sgpr_private_segment_buffer 1
		.amdhsa_user_sgpr_dispatch_ptr 0
		.amdhsa_user_sgpr_queue_ptr 0
		.amdhsa_user_sgpr_kernarg_segment_ptr 1
		.amdhsa_user_sgpr_dispatch_id 0
		.amdhsa_user_sgpr_flat_scratch_init 0
		.amdhsa_user_sgpr_kernarg_preload_length 0
		.amdhsa_user_sgpr_kernarg_preload_offset 0
		.amdhsa_user_sgpr_private_segment_size 0
		.amdhsa_uses_dynamic_stack 0
		.amdhsa_system_sgpr_private_segment_wavefront_offset 0
		.amdhsa_system_sgpr_workgroup_id_x 1
		.amdhsa_system_sgpr_workgroup_id_y 0
		.amdhsa_system_sgpr_workgroup_id_z 0
		.amdhsa_system_sgpr_workgroup_info 0
		.amdhsa_system_vgpr_workitem_id 0
		.amdhsa_next_free_vgpr 1
		.amdhsa_next_free_sgpr 0
		.amdhsa_accum_offset 4
		.amdhsa_reserve_vcc 0
		.amdhsa_reserve_flat_scratch 0
		.amdhsa_float_round_mode_32 0
		.amdhsa_float_round_mode_16_64 0
		.amdhsa_float_denorm_mode_32 3
		.amdhsa_float_denorm_mode_16_64 3
		.amdhsa_dx10_clamp 1
		.amdhsa_ieee_mode 1
		.amdhsa_fp16_overflow 0
		.amdhsa_tg_split 0
		.amdhsa_exception_fp_ieee_invalid_op 0
		.amdhsa_exception_fp_denorm_src 0
		.amdhsa_exception_fp_ieee_div_zero 0
		.amdhsa_exception_fp_ieee_overflow 0
		.amdhsa_exception_fp_ieee_underflow 0
		.amdhsa_exception_fp_ieee_inexact 0
		.amdhsa_exception_int_div_zero 0
	.end_amdhsa_kernel
	.section	.text._ZN7rocprim17ROCPRIM_400000_NS6detail17trampoline_kernelINS0_14default_configENS1_29reduce_by_key_config_selectorIilN6thrust23THRUST_200600_302600_NS4plusIlEEEEZZNS1_33reduce_by_key_impl_wrapped_configILNS1_25lookback_scan_determinismE0ES3_S9_PiNS6_17constant_iteratorIiNS6_11use_defaultESE_EENS6_10device_ptrIiEENSG_IlEEPmS8_NS6_8equal_toIiEEEE10hipError_tPvRmT2_T3_mT4_T5_T6_T7_T8_P12ihipStream_tbENKUlT_T0_E_clISt17integral_constantIbLb1EES12_IbLb0EEEEDaSY_SZ_EUlSY_E_NS1_11comp_targetILNS1_3genE9ELNS1_11target_archE1100ELNS1_3gpuE3ELNS1_3repE0EEENS1_30default_config_static_selectorELNS0_4arch9wavefront6targetE1EEEvT1_,"axG",@progbits,_ZN7rocprim17ROCPRIM_400000_NS6detail17trampoline_kernelINS0_14default_configENS1_29reduce_by_key_config_selectorIilN6thrust23THRUST_200600_302600_NS4plusIlEEEEZZNS1_33reduce_by_key_impl_wrapped_configILNS1_25lookback_scan_determinismE0ES3_S9_PiNS6_17constant_iteratorIiNS6_11use_defaultESE_EENS6_10device_ptrIiEENSG_IlEEPmS8_NS6_8equal_toIiEEEE10hipError_tPvRmT2_T3_mT4_T5_T6_T7_T8_P12ihipStream_tbENKUlT_T0_E_clISt17integral_constantIbLb1EES12_IbLb0EEEEDaSY_SZ_EUlSY_E_NS1_11comp_targetILNS1_3genE9ELNS1_11target_archE1100ELNS1_3gpuE3ELNS1_3repE0EEENS1_30default_config_static_selectorELNS0_4arch9wavefront6targetE1EEEvT1_,comdat
.Lfunc_end963:
	.size	_ZN7rocprim17ROCPRIM_400000_NS6detail17trampoline_kernelINS0_14default_configENS1_29reduce_by_key_config_selectorIilN6thrust23THRUST_200600_302600_NS4plusIlEEEEZZNS1_33reduce_by_key_impl_wrapped_configILNS1_25lookback_scan_determinismE0ES3_S9_PiNS6_17constant_iteratorIiNS6_11use_defaultESE_EENS6_10device_ptrIiEENSG_IlEEPmS8_NS6_8equal_toIiEEEE10hipError_tPvRmT2_T3_mT4_T5_T6_T7_T8_P12ihipStream_tbENKUlT_T0_E_clISt17integral_constantIbLb1EES12_IbLb0EEEEDaSY_SZ_EUlSY_E_NS1_11comp_targetILNS1_3genE9ELNS1_11target_archE1100ELNS1_3gpuE3ELNS1_3repE0EEENS1_30default_config_static_selectorELNS0_4arch9wavefront6targetE1EEEvT1_, .Lfunc_end963-_ZN7rocprim17ROCPRIM_400000_NS6detail17trampoline_kernelINS0_14default_configENS1_29reduce_by_key_config_selectorIilN6thrust23THRUST_200600_302600_NS4plusIlEEEEZZNS1_33reduce_by_key_impl_wrapped_configILNS1_25lookback_scan_determinismE0ES3_S9_PiNS6_17constant_iteratorIiNS6_11use_defaultESE_EENS6_10device_ptrIiEENSG_IlEEPmS8_NS6_8equal_toIiEEEE10hipError_tPvRmT2_T3_mT4_T5_T6_T7_T8_P12ihipStream_tbENKUlT_T0_E_clISt17integral_constantIbLb1EES12_IbLb0EEEEDaSY_SZ_EUlSY_E_NS1_11comp_targetILNS1_3genE9ELNS1_11target_archE1100ELNS1_3gpuE3ELNS1_3repE0EEENS1_30default_config_static_selectorELNS0_4arch9wavefront6targetE1EEEvT1_
                                        ; -- End function
	.section	.AMDGPU.csdata,"",@progbits
; Kernel info:
; codeLenInByte = 0
; NumSgprs: 4
; NumVgprs: 0
; NumAgprs: 0
; TotalNumVgprs: 0
; ScratchSize: 0
; MemoryBound: 0
; FloatMode: 240
; IeeeMode: 1
; LDSByteSize: 0 bytes/workgroup (compile time only)
; SGPRBlocks: 0
; VGPRBlocks: 0
; NumSGPRsForWavesPerEU: 4
; NumVGPRsForWavesPerEU: 1
; AccumOffset: 4
; Occupancy: 8
; WaveLimiterHint : 0
; COMPUTE_PGM_RSRC2:SCRATCH_EN: 0
; COMPUTE_PGM_RSRC2:USER_SGPR: 6
; COMPUTE_PGM_RSRC2:TRAP_HANDLER: 0
; COMPUTE_PGM_RSRC2:TGID_X_EN: 1
; COMPUTE_PGM_RSRC2:TGID_Y_EN: 0
; COMPUTE_PGM_RSRC2:TGID_Z_EN: 0
; COMPUTE_PGM_RSRC2:TIDIG_COMP_CNT: 0
; COMPUTE_PGM_RSRC3_GFX90A:ACCUM_OFFSET: 0
; COMPUTE_PGM_RSRC3_GFX90A:TG_SPLIT: 0
	.section	.text._ZN7rocprim17ROCPRIM_400000_NS6detail17trampoline_kernelINS0_14default_configENS1_29reduce_by_key_config_selectorIilN6thrust23THRUST_200600_302600_NS4plusIlEEEEZZNS1_33reduce_by_key_impl_wrapped_configILNS1_25lookback_scan_determinismE0ES3_S9_PiNS6_17constant_iteratorIiNS6_11use_defaultESE_EENS6_10device_ptrIiEENSG_IlEEPmS8_NS6_8equal_toIiEEEE10hipError_tPvRmT2_T3_mT4_T5_T6_T7_T8_P12ihipStream_tbENKUlT_T0_E_clISt17integral_constantIbLb1EES12_IbLb0EEEEDaSY_SZ_EUlSY_E_NS1_11comp_targetILNS1_3genE8ELNS1_11target_archE1030ELNS1_3gpuE2ELNS1_3repE0EEENS1_30default_config_static_selectorELNS0_4arch9wavefront6targetE1EEEvT1_,"axG",@progbits,_ZN7rocprim17ROCPRIM_400000_NS6detail17trampoline_kernelINS0_14default_configENS1_29reduce_by_key_config_selectorIilN6thrust23THRUST_200600_302600_NS4plusIlEEEEZZNS1_33reduce_by_key_impl_wrapped_configILNS1_25lookback_scan_determinismE0ES3_S9_PiNS6_17constant_iteratorIiNS6_11use_defaultESE_EENS6_10device_ptrIiEENSG_IlEEPmS8_NS6_8equal_toIiEEEE10hipError_tPvRmT2_T3_mT4_T5_T6_T7_T8_P12ihipStream_tbENKUlT_T0_E_clISt17integral_constantIbLb1EES12_IbLb0EEEEDaSY_SZ_EUlSY_E_NS1_11comp_targetILNS1_3genE8ELNS1_11target_archE1030ELNS1_3gpuE2ELNS1_3repE0EEENS1_30default_config_static_selectorELNS0_4arch9wavefront6targetE1EEEvT1_,comdat
	.protected	_ZN7rocprim17ROCPRIM_400000_NS6detail17trampoline_kernelINS0_14default_configENS1_29reduce_by_key_config_selectorIilN6thrust23THRUST_200600_302600_NS4plusIlEEEEZZNS1_33reduce_by_key_impl_wrapped_configILNS1_25lookback_scan_determinismE0ES3_S9_PiNS6_17constant_iteratorIiNS6_11use_defaultESE_EENS6_10device_ptrIiEENSG_IlEEPmS8_NS6_8equal_toIiEEEE10hipError_tPvRmT2_T3_mT4_T5_T6_T7_T8_P12ihipStream_tbENKUlT_T0_E_clISt17integral_constantIbLb1EES12_IbLb0EEEEDaSY_SZ_EUlSY_E_NS1_11comp_targetILNS1_3genE8ELNS1_11target_archE1030ELNS1_3gpuE2ELNS1_3repE0EEENS1_30default_config_static_selectorELNS0_4arch9wavefront6targetE1EEEvT1_ ; -- Begin function _ZN7rocprim17ROCPRIM_400000_NS6detail17trampoline_kernelINS0_14default_configENS1_29reduce_by_key_config_selectorIilN6thrust23THRUST_200600_302600_NS4plusIlEEEEZZNS1_33reduce_by_key_impl_wrapped_configILNS1_25lookback_scan_determinismE0ES3_S9_PiNS6_17constant_iteratorIiNS6_11use_defaultESE_EENS6_10device_ptrIiEENSG_IlEEPmS8_NS6_8equal_toIiEEEE10hipError_tPvRmT2_T3_mT4_T5_T6_T7_T8_P12ihipStream_tbENKUlT_T0_E_clISt17integral_constantIbLb1EES12_IbLb0EEEEDaSY_SZ_EUlSY_E_NS1_11comp_targetILNS1_3genE8ELNS1_11target_archE1030ELNS1_3gpuE2ELNS1_3repE0EEENS1_30default_config_static_selectorELNS0_4arch9wavefront6targetE1EEEvT1_
	.globl	_ZN7rocprim17ROCPRIM_400000_NS6detail17trampoline_kernelINS0_14default_configENS1_29reduce_by_key_config_selectorIilN6thrust23THRUST_200600_302600_NS4plusIlEEEEZZNS1_33reduce_by_key_impl_wrapped_configILNS1_25lookback_scan_determinismE0ES3_S9_PiNS6_17constant_iteratorIiNS6_11use_defaultESE_EENS6_10device_ptrIiEENSG_IlEEPmS8_NS6_8equal_toIiEEEE10hipError_tPvRmT2_T3_mT4_T5_T6_T7_T8_P12ihipStream_tbENKUlT_T0_E_clISt17integral_constantIbLb1EES12_IbLb0EEEEDaSY_SZ_EUlSY_E_NS1_11comp_targetILNS1_3genE8ELNS1_11target_archE1030ELNS1_3gpuE2ELNS1_3repE0EEENS1_30default_config_static_selectorELNS0_4arch9wavefront6targetE1EEEvT1_
	.p2align	8
	.type	_ZN7rocprim17ROCPRIM_400000_NS6detail17trampoline_kernelINS0_14default_configENS1_29reduce_by_key_config_selectorIilN6thrust23THRUST_200600_302600_NS4plusIlEEEEZZNS1_33reduce_by_key_impl_wrapped_configILNS1_25lookback_scan_determinismE0ES3_S9_PiNS6_17constant_iteratorIiNS6_11use_defaultESE_EENS6_10device_ptrIiEENSG_IlEEPmS8_NS6_8equal_toIiEEEE10hipError_tPvRmT2_T3_mT4_T5_T6_T7_T8_P12ihipStream_tbENKUlT_T0_E_clISt17integral_constantIbLb1EES12_IbLb0EEEEDaSY_SZ_EUlSY_E_NS1_11comp_targetILNS1_3genE8ELNS1_11target_archE1030ELNS1_3gpuE2ELNS1_3repE0EEENS1_30default_config_static_selectorELNS0_4arch9wavefront6targetE1EEEvT1_,@function
_ZN7rocprim17ROCPRIM_400000_NS6detail17trampoline_kernelINS0_14default_configENS1_29reduce_by_key_config_selectorIilN6thrust23THRUST_200600_302600_NS4plusIlEEEEZZNS1_33reduce_by_key_impl_wrapped_configILNS1_25lookback_scan_determinismE0ES3_S9_PiNS6_17constant_iteratorIiNS6_11use_defaultESE_EENS6_10device_ptrIiEENSG_IlEEPmS8_NS6_8equal_toIiEEEE10hipError_tPvRmT2_T3_mT4_T5_T6_T7_T8_P12ihipStream_tbENKUlT_T0_E_clISt17integral_constantIbLb1EES12_IbLb0EEEEDaSY_SZ_EUlSY_E_NS1_11comp_targetILNS1_3genE8ELNS1_11target_archE1030ELNS1_3gpuE2ELNS1_3repE0EEENS1_30default_config_static_selectorELNS0_4arch9wavefront6targetE1EEEvT1_: ; @_ZN7rocprim17ROCPRIM_400000_NS6detail17trampoline_kernelINS0_14default_configENS1_29reduce_by_key_config_selectorIilN6thrust23THRUST_200600_302600_NS4plusIlEEEEZZNS1_33reduce_by_key_impl_wrapped_configILNS1_25lookback_scan_determinismE0ES3_S9_PiNS6_17constant_iteratorIiNS6_11use_defaultESE_EENS6_10device_ptrIiEENSG_IlEEPmS8_NS6_8equal_toIiEEEE10hipError_tPvRmT2_T3_mT4_T5_T6_T7_T8_P12ihipStream_tbENKUlT_T0_E_clISt17integral_constantIbLb1EES12_IbLb0EEEEDaSY_SZ_EUlSY_E_NS1_11comp_targetILNS1_3genE8ELNS1_11target_archE1030ELNS1_3gpuE2ELNS1_3repE0EEENS1_30default_config_static_selectorELNS0_4arch9wavefront6targetE1EEEvT1_
; %bb.0:
	.section	.rodata,"a",@progbits
	.p2align	6, 0x0
	.amdhsa_kernel _ZN7rocprim17ROCPRIM_400000_NS6detail17trampoline_kernelINS0_14default_configENS1_29reduce_by_key_config_selectorIilN6thrust23THRUST_200600_302600_NS4plusIlEEEEZZNS1_33reduce_by_key_impl_wrapped_configILNS1_25lookback_scan_determinismE0ES3_S9_PiNS6_17constant_iteratorIiNS6_11use_defaultESE_EENS6_10device_ptrIiEENSG_IlEEPmS8_NS6_8equal_toIiEEEE10hipError_tPvRmT2_T3_mT4_T5_T6_T7_T8_P12ihipStream_tbENKUlT_T0_E_clISt17integral_constantIbLb1EES12_IbLb0EEEEDaSY_SZ_EUlSY_E_NS1_11comp_targetILNS1_3genE8ELNS1_11target_archE1030ELNS1_3gpuE2ELNS1_3repE0EEENS1_30default_config_static_selectorELNS0_4arch9wavefront6targetE1EEEvT1_
		.amdhsa_group_segment_fixed_size 0
		.amdhsa_private_segment_fixed_size 0
		.amdhsa_kernarg_size 144
		.amdhsa_user_sgpr_count 6
		.amdhsa_user_sgpr_private_segment_buffer 1
		.amdhsa_user_sgpr_dispatch_ptr 0
		.amdhsa_user_sgpr_queue_ptr 0
		.amdhsa_user_sgpr_kernarg_segment_ptr 1
		.amdhsa_user_sgpr_dispatch_id 0
		.amdhsa_user_sgpr_flat_scratch_init 0
		.amdhsa_user_sgpr_kernarg_preload_length 0
		.amdhsa_user_sgpr_kernarg_preload_offset 0
		.amdhsa_user_sgpr_private_segment_size 0
		.amdhsa_uses_dynamic_stack 0
		.amdhsa_system_sgpr_private_segment_wavefront_offset 0
		.amdhsa_system_sgpr_workgroup_id_x 1
		.amdhsa_system_sgpr_workgroup_id_y 0
		.amdhsa_system_sgpr_workgroup_id_z 0
		.amdhsa_system_sgpr_workgroup_info 0
		.amdhsa_system_vgpr_workitem_id 0
		.amdhsa_next_free_vgpr 1
		.amdhsa_next_free_sgpr 0
		.amdhsa_accum_offset 4
		.amdhsa_reserve_vcc 0
		.amdhsa_reserve_flat_scratch 0
		.amdhsa_float_round_mode_32 0
		.amdhsa_float_round_mode_16_64 0
		.amdhsa_float_denorm_mode_32 3
		.amdhsa_float_denorm_mode_16_64 3
		.amdhsa_dx10_clamp 1
		.amdhsa_ieee_mode 1
		.amdhsa_fp16_overflow 0
		.amdhsa_tg_split 0
		.amdhsa_exception_fp_ieee_invalid_op 0
		.amdhsa_exception_fp_denorm_src 0
		.amdhsa_exception_fp_ieee_div_zero 0
		.amdhsa_exception_fp_ieee_overflow 0
		.amdhsa_exception_fp_ieee_underflow 0
		.amdhsa_exception_fp_ieee_inexact 0
		.amdhsa_exception_int_div_zero 0
	.end_amdhsa_kernel
	.section	.text._ZN7rocprim17ROCPRIM_400000_NS6detail17trampoline_kernelINS0_14default_configENS1_29reduce_by_key_config_selectorIilN6thrust23THRUST_200600_302600_NS4plusIlEEEEZZNS1_33reduce_by_key_impl_wrapped_configILNS1_25lookback_scan_determinismE0ES3_S9_PiNS6_17constant_iteratorIiNS6_11use_defaultESE_EENS6_10device_ptrIiEENSG_IlEEPmS8_NS6_8equal_toIiEEEE10hipError_tPvRmT2_T3_mT4_T5_T6_T7_T8_P12ihipStream_tbENKUlT_T0_E_clISt17integral_constantIbLb1EES12_IbLb0EEEEDaSY_SZ_EUlSY_E_NS1_11comp_targetILNS1_3genE8ELNS1_11target_archE1030ELNS1_3gpuE2ELNS1_3repE0EEENS1_30default_config_static_selectorELNS0_4arch9wavefront6targetE1EEEvT1_,"axG",@progbits,_ZN7rocprim17ROCPRIM_400000_NS6detail17trampoline_kernelINS0_14default_configENS1_29reduce_by_key_config_selectorIilN6thrust23THRUST_200600_302600_NS4plusIlEEEEZZNS1_33reduce_by_key_impl_wrapped_configILNS1_25lookback_scan_determinismE0ES3_S9_PiNS6_17constant_iteratorIiNS6_11use_defaultESE_EENS6_10device_ptrIiEENSG_IlEEPmS8_NS6_8equal_toIiEEEE10hipError_tPvRmT2_T3_mT4_T5_T6_T7_T8_P12ihipStream_tbENKUlT_T0_E_clISt17integral_constantIbLb1EES12_IbLb0EEEEDaSY_SZ_EUlSY_E_NS1_11comp_targetILNS1_3genE8ELNS1_11target_archE1030ELNS1_3gpuE2ELNS1_3repE0EEENS1_30default_config_static_selectorELNS0_4arch9wavefront6targetE1EEEvT1_,comdat
.Lfunc_end964:
	.size	_ZN7rocprim17ROCPRIM_400000_NS6detail17trampoline_kernelINS0_14default_configENS1_29reduce_by_key_config_selectorIilN6thrust23THRUST_200600_302600_NS4plusIlEEEEZZNS1_33reduce_by_key_impl_wrapped_configILNS1_25lookback_scan_determinismE0ES3_S9_PiNS6_17constant_iteratorIiNS6_11use_defaultESE_EENS6_10device_ptrIiEENSG_IlEEPmS8_NS6_8equal_toIiEEEE10hipError_tPvRmT2_T3_mT4_T5_T6_T7_T8_P12ihipStream_tbENKUlT_T0_E_clISt17integral_constantIbLb1EES12_IbLb0EEEEDaSY_SZ_EUlSY_E_NS1_11comp_targetILNS1_3genE8ELNS1_11target_archE1030ELNS1_3gpuE2ELNS1_3repE0EEENS1_30default_config_static_selectorELNS0_4arch9wavefront6targetE1EEEvT1_, .Lfunc_end964-_ZN7rocprim17ROCPRIM_400000_NS6detail17trampoline_kernelINS0_14default_configENS1_29reduce_by_key_config_selectorIilN6thrust23THRUST_200600_302600_NS4plusIlEEEEZZNS1_33reduce_by_key_impl_wrapped_configILNS1_25lookback_scan_determinismE0ES3_S9_PiNS6_17constant_iteratorIiNS6_11use_defaultESE_EENS6_10device_ptrIiEENSG_IlEEPmS8_NS6_8equal_toIiEEEE10hipError_tPvRmT2_T3_mT4_T5_T6_T7_T8_P12ihipStream_tbENKUlT_T0_E_clISt17integral_constantIbLb1EES12_IbLb0EEEEDaSY_SZ_EUlSY_E_NS1_11comp_targetILNS1_3genE8ELNS1_11target_archE1030ELNS1_3gpuE2ELNS1_3repE0EEENS1_30default_config_static_selectorELNS0_4arch9wavefront6targetE1EEEvT1_
                                        ; -- End function
	.section	.AMDGPU.csdata,"",@progbits
; Kernel info:
; codeLenInByte = 0
; NumSgprs: 4
; NumVgprs: 0
; NumAgprs: 0
; TotalNumVgprs: 0
; ScratchSize: 0
; MemoryBound: 0
; FloatMode: 240
; IeeeMode: 1
; LDSByteSize: 0 bytes/workgroup (compile time only)
; SGPRBlocks: 0
; VGPRBlocks: 0
; NumSGPRsForWavesPerEU: 4
; NumVGPRsForWavesPerEU: 1
; AccumOffset: 4
; Occupancy: 8
; WaveLimiterHint : 0
; COMPUTE_PGM_RSRC2:SCRATCH_EN: 0
; COMPUTE_PGM_RSRC2:USER_SGPR: 6
; COMPUTE_PGM_RSRC2:TRAP_HANDLER: 0
; COMPUTE_PGM_RSRC2:TGID_X_EN: 1
; COMPUTE_PGM_RSRC2:TGID_Y_EN: 0
; COMPUTE_PGM_RSRC2:TGID_Z_EN: 0
; COMPUTE_PGM_RSRC2:TIDIG_COMP_CNT: 0
; COMPUTE_PGM_RSRC3_GFX90A:ACCUM_OFFSET: 0
; COMPUTE_PGM_RSRC3_GFX90A:TG_SPLIT: 0
	.section	.text._ZN7rocprim17ROCPRIM_400000_NS6detail17trampoline_kernelINS0_14default_configENS1_29reduce_by_key_config_selectorIilN6thrust23THRUST_200600_302600_NS4plusIlEEEEZZNS1_33reduce_by_key_impl_wrapped_configILNS1_25lookback_scan_determinismE0ES3_S9_PiNS6_17constant_iteratorIiNS6_11use_defaultESE_EENS6_10device_ptrIiEENSG_IlEEPmS8_NS6_8equal_toIiEEEE10hipError_tPvRmT2_T3_mT4_T5_T6_T7_T8_P12ihipStream_tbENKUlT_T0_E_clISt17integral_constantIbLb0EES12_IbLb1EEEEDaSY_SZ_EUlSY_E_NS1_11comp_targetILNS1_3genE0ELNS1_11target_archE4294967295ELNS1_3gpuE0ELNS1_3repE0EEENS1_30default_config_static_selectorELNS0_4arch9wavefront6targetE1EEEvT1_,"axG",@progbits,_ZN7rocprim17ROCPRIM_400000_NS6detail17trampoline_kernelINS0_14default_configENS1_29reduce_by_key_config_selectorIilN6thrust23THRUST_200600_302600_NS4plusIlEEEEZZNS1_33reduce_by_key_impl_wrapped_configILNS1_25lookback_scan_determinismE0ES3_S9_PiNS6_17constant_iteratorIiNS6_11use_defaultESE_EENS6_10device_ptrIiEENSG_IlEEPmS8_NS6_8equal_toIiEEEE10hipError_tPvRmT2_T3_mT4_T5_T6_T7_T8_P12ihipStream_tbENKUlT_T0_E_clISt17integral_constantIbLb0EES12_IbLb1EEEEDaSY_SZ_EUlSY_E_NS1_11comp_targetILNS1_3genE0ELNS1_11target_archE4294967295ELNS1_3gpuE0ELNS1_3repE0EEENS1_30default_config_static_selectorELNS0_4arch9wavefront6targetE1EEEvT1_,comdat
	.protected	_ZN7rocprim17ROCPRIM_400000_NS6detail17trampoline_kernelINS0_14default_configENS1_29reduce_by_key_config_selectorIilN6thrust23THRUST_200600_302600_NS4plusIlEEEEZZNS1_33reduce_by_key_impl_wrapped_configILNS1_25lookback_scan_determinismE0ES3_S9_PiNS6_17constant_iteratorIiNS6_11use_defaultESE_EENS6_10device_ptrIiEENSG_IlEEPmS8_NS6_8equal_toIiEEEE10hipError_tPvRmT2_T3_mT4_T5_T6_T7_T8_P12ihipStream_tbENKUlT_T0_E_clISt17integral_constantIbLb0EES12_IbLb1EEEEDaSY_SZ_EUlSY_E_NS1_11comp_targetILNS1_3genE0ELNS1_11target_archE4294967295ELNS1_3gpuE0ELNS1_3repE0EEENS1_30default_config_static_selectorELNS0_4arch9wavefront6targetE1EEEvT1_ ; -- Begin function _ZN7rocprim17ROCPRIM_400000_NS6detail17trampoline_kernelINS0_14default_configENS1_29reduce_by_key_config_selectorIilN6thrust23THRUST_200600_302600_NS4plusIlEEEEZZNS1_33reduce_by_key_impl_wrapped_configILNS1_25lookback_scan_determinismE0ES3_S9_PiNS6_17constant_iteratorIiNS6_11use_defaultESE_EENS6_10device_ptrIiEENSG_IlEEPmS8_NS6_8equal_toIiEEEE10hipError_tPvRmT2_T3_mT4_T5_T6_T7_T8_P12ihipStream_tbENKUlT_T0_E_clISt17integral_constantIbLb0EES12_IbLb1EEEEDaSY_SZ_EUlSY_E_NS1_11comp_targetILNS1_3genE0ELNS1_11target_archE4294967295ELNS1_3gpuE0ELNS1_3repE0EEENS1_30default_config_static_selectorELNS0_4arch9wavefront6targetE1EEEvT1_
	.globl	_ZN7rocprim17ROCPRIM_400000_NS6detail17trampoline_kernelINS0_14default_configENS1_29reduce_by_key_config_selectorIilN6thrust23THRUST_200600_302600_NS4plusIlEEEEZZNS1_33reduce_by_key_impl_wrapped_configILNS1_25lookback_scan_determinismE0ES3_S9_PiNS6_17constant_iteratorIiNS6_11use_defaultESE_EENS6_10device_ptrIiEENSG_IlEEPmS8_NS6_8equal_toIiEEEE10hipError_tPvRmT2_T3_mT4_T5_T6_T7_T8_P12ihipStream_tbENKUlT_T0_E_clISt17integral_constantIbLb0EES12_IbLb1EEEEDaSY_SZ_EUlSY_E_NS1_11comp_targetILNS1_3genE0ELNS1_11target_archE4294967295ELNS1_3gpuE0ELNS1_3repE0EEENS1_30default_config_static_selectorELNS0_4arch9wavefront6targetE1EEEvT1_
	.p2align	8
	.type	_ZN7rocprim17ROCPRIM_400000_NS6detail17trampoline_kernelINS0_14default_configENS1_29reduce_by_key_config_selectorIilN6thrust23THRUST_200600_302600_NS4plusIlEEEEZZNS1_33reduce_by_key_impl_wrapped_configILNS1_25lookback_scan_determinismE0ES3_S9_PiNS6_17constant_iteratorIiNS6_11use_defaultESE_EENS6_10device_ptrIiEENSG_IlEEPmS8_NS6_8equal_toIiEEEE10hipError_tPvRmT2_T3_mT4_T5_T6_T7_T8_P12ihipStream_tbENKUlT_T0_E_clISt17integral_constantIbLb0EES12_IbLb1EEEEDaSY_SZ_EUlSY_E_NS1_11comp_targetILNS1_3genE0ELNS1_11target_archE4294967295ELNS1_3gpuE0ELNS1_3repE0EEENS1_30default_config_static_selectorELNS0_4arch9wavefront6targetE1EEEvT1_,@function
_ZN7rocprim17ROCPRIM_400000_NS6detail17trampoline_kernelINS0_14default_configENS1_29reduce_by_key_config_selectorIilN6thrust23THRUST_200600_302600_NS4plusIlEEEEZZNS1_33reduce_by_key_impl_wrapped_configILNS1_25lookback_scan_determinismE0ES3_S9_PiNS6_17constant_iteratorIiNS6_11use_defaultESE_EENS6_10device_ptrIiEENSG_IlEEPmS8_NS6_8equal_toIiEEEE10hipError_tPvRmT2_T3_mT4_T5_T6_T7_T8_P12ihipStream_tbENKUlT_T0_E_clISt17integral_constantIbLb0EES12_IbLb1EEEEDaSY_SZ_EUlSY_E_NS1_11comp_targetILNS1_3genE0ELNS1_11target_archE4294967295ELNS1_3gpuE0ELNS1_3repE0EEENS1_30default_config_static_selectorELNS0_4arch9wavefront6targetE1EEEvT1_: ; @_ZN7rocprim17ROCPRIM_400000_NS6detail17trampoline_kernelINS0_14default_configENS1_29reduce_by_key_config_selectorIilN6thrust23THRUST_200600_302600_NS4plusIlEEEEZZNS1_33reduce_by_key_impl_wrapped_configILNS1_25lookback_scan_determinismE0ES3_S9_PiNS6_17constant_iteratorIiNS6_11use_defaultESE_EENS6_10device_ptrIiEENSG_IlEEPmS8_NS6_8equal_toIiEEEE10hipError_tPvRmT2_T3_mT4_T5_T6_T7_T8_P12ihipStream_tbENKUlT_T0_E_clISt17integral_constantIbLb0EES12_IbLb1EEEEDaSY_SZ_EUlSY_E_NS1_11comp_targetILNS1_3genE0ELNS1_11target_archE4294967295ELNS1_3gpuE0ELNS1_3repE0EEENS1_30default_config_static_selectorELNS0_4arch9wavefront6targetE1EEEvT1_
; %bb.0:
	.section	.rodata,"a",@progbits
	.p2align	6, 0x0
	.amdhsa_kernel _ZN7rocprim17ROCPRIM_400000_NS6detail17trampoline_kernelINS0_14default_configENS1_29reduce_by_key_config_selectorIilN6thrust23THRUST_200600_302600_NS4plusIlEEEEZZNS1_33reduce_by_key_impl_wrapped_configILNS1_25lookback_scan_determinismE0ES3_S9_PiNS6_17constant_iteratorIiNS6_11use_defaultESE_EENS6_10device_ptrIiEENSG_IlEEPmS8_NS6_8equal_toIiEEEE10hipError_tPvRmT2_T3_mT4_T5_T6_T7_T8_P12ihipStream_tbENKUlT_T0_E_clISt17integral_constantIbLb0EES12_IbLb1EEEEDaSY_SZ_EUlSY_E_NS1_11comp_targetILNS1_3genE0ELNS1_11target_archE4294967295ELNS1_3gpuE0ELNS1_3repE0EEENS1_30default_config_static_selectorELNS0_4arch9wavefront6targetE1EEEvT1_
		.amdhsa_group_segment_fixed_size 0
		.amdhsa_private_segment_fixed_size 0
		.amdhsa_kernarg_size 144
		.amdhsa_user_sgpr_count 6
		.amdhsa_user_sgpr_private_segment_buffer 1
		.amdhsa_user_sgpr_dispatch_ptr 0
		.amdhsa_user_sgpr_queue_ptr 0
		.amdhsa_user_sgpr_kernarg_segment_ptr 1
		.amdhsa_user_sgpr_dispatch_id 0
		.amdhsa_user_sgpr_flat_scratch_init 0
		.amdhsa_user_sgpr_kernarg_preload_length 0
		.amdhsa_user_sgpr_kernarg_preload_offset 0
		.amdhsa_user_sgpr_private_segment_size 0
		.amdhsa_uses_dynamic_stack 0
		.amdhsa_system_sgpr_private_segment_wavefront_offset 0
		.amdhsa_system_sgpr_workgroup_id_x 1
		.amdhsa_system_sgpr_workgroup_id_y 0
		.amdhsa_system_sgpr_workgroup_id_z 0
		.amdhsa_system_sgpr_workgroup_info 0
		.amdhsa_system_vgpr_workitem_id 0
		.amdhsa_next_free_vgpr 1
		.amdhsa_next_free_sgpr 0
		.amdhsa_accum_offset 4
		.amdhsa_reserve_vcc 0
		.amdhsa_reserve_flat_scratch 0
		.amdhsa_float_round_mode_32 0
		.amdhsa_float_round_mode_16_64 0
		.amdhsa_float_denorm_mode_32 3
		.amdhsa_float_denorm_mode_16_64 3
		.amdhsa_dx10_clamp 1
		.amdhsa_ieee_mode 1
		.amdhsa_fp16_overflow 0
		.amdhsa_tg_split 0
		.amdhsa_exception_fp_ieee_invalid_op 0
		.amdhsa_exception_fp_denorm_src 0
		.amdhsa_exception_fp_ieee_div_zero 0
		.amdhsa_exception_fp_ieee_overflow 0
		.amdhsa_exception_fp_ieee_underflow 0
		.amdhsa_exception_fp_ieee_inexact 0
		.amdhsa_exception_int_div_zero 0
	.end_amdhsa_kernel
	.section	.text._ZN7rocprim17ROCPRIM_400000_NS6detail17trampoline_kernelINS0_14default_configENS1_29reduce_by_key_config_selectorIilN6thrust23THRUST_200600_302600_NS4plusIlEEEEZZNS1_33reduce_by_key_impl_wrapped_configILNS1_25lookback_scan_determinismE0ES3_S9_PiNS6_17constant_iteratorIiNS6_11use_defaultESE_EENS6_10device_ptrIiEENSG_IlEEPmS8_NS6_8equal_toIiEEEE10hipError_tPvRmT2_T3_mT4_T5_T6_T7_T8_P12ihipStream_tbENKUlT_T0_E_clISt17integral_constantIbLb0EES12_IbLb1EEEEDaSY_SZ_EUlSY_E_NS1_11comp_targetILNS1_3genE0ELNS1_11target_archE4294967295ELNS1_3gpuE0ELNS1_3repE0EEENS1_30default_config_static_selectorELNS0_4arch9wavefront6targetE1EEEvT1_,"axG",@progbits,_ZN7rocprim17ROCPRIM_400000_NS6detail17trampoline_kernelINS0_14default_configENS1_29reduce_by_key_config_selectorIilN6thrust23THRUST_200600_302600_NS4plusIlEEEEZZNS1_33reduce_by_key_impl_wrapped_configILNS1_25lookback_scan_determinismE0ES3_S9_PiNS6_17constant_iteratorIiNS6_11use_defaultESE_EENS6_10device_ptrIiEENSG_IlEEPmS8_NS6_8equal_toIiEEEE10hipError_tPvRmT2_T3_mT4_T5_T6_T7_T8_P12ihipStream_tbENKUlT_T0_E_clISt17integral_constantIbLb0EES12_IbLb1EEEEDaSY_SZ_EUlSY_E_NS1_11comp_targetILNS1_3genE0ELNS1_11target_archE4294967295ELNS1_3gpuE0ELNS1_3repE0EEENS1_30default_config_static_selectorELNS0_4arch9wavefront6targetE1EEEvT1_,comdat
.Lfunc_end965:
	.size	_ZN7rocprim17ROCPRIM_400000_NS6detail17trampoline_kernelINS0_14default_configENS1_29reduce_by_key_config_selectorIilN6thrust23THRUST_200600_302600_NS4plusIlEEEEZZNS1_33reduce_by_key_impl_wrapped_configILNS1_25lookback_scan_determinismE0ES3_S9_PiNS6_17constant_iteratorIiNS6_11use_defaultESE_EENS6_10device_ptrIiEENSG_IlEEPmS8_NS6_8equal_toIiEEEE10hipError_tPvRmT2_T3_mT4_T5_T6_T7_T8_P12ihipStream_tbENKUlT_T0_E_clISt17integral_constantIbLb0EES12_IbLb1EEEEDaSY_SZ_EUlSY_E_NS1_11comp_targetILNS1_3genE0ELNS1_11target_archE4294967295ELNS1_3gpuE0ELNS1_3repE0EEENS1_30default_config_static_selectorELNS0_4arch9wavefront6targetE1EEEvT1_, .Lfunc_end965-_ZN7rocprim17ROCPRIM_400000_NS6detail17trampoline_kernelINS0_14default_configENS1_29reduce_by_key_config_selectorIilN6thrust23THRUST_200600_302600_NS4plusIlEEEEZZNS1_33reduce_by_key_impl_wrapped_configILNS1_25lookback_scan_determinismE0ES3_S9_PiNS6_17constant_iteratorIiNS6_11use_defaultESE_EENS6_10device_ptrIiEENSG_IlEEPmS8_NS6_8equal_toIiEEEE10hipError_tPvRmT2_T3_mT4_T5_T6_T7_T8_P12ihipStream_tbENKUlT_T0_E_clISt17integral_constantIbLb0EES12_IbLb1EEEEDaSY_SZ_EUlSY_E_NS1_11comp_targetILNS1_3genE0ELNS1_11target_archE4294967295ELNS1_3gpuE0ELNS1_3repE0EEENS1_30default_config_static_selectorELNS0_4arch9wavefront6targetE1EEEvT1_
                                        ; -- End function
	.section	.AMDGPU.csdata,"",@progbits
; Kernel info:
; codeLenInByte = 0
; NumSgprs: 4
; NumVgprs: 0
; NumAgprs: 0
; TotalNumVgprs: 0
; ScratchSize: 0
; MemoryBound: 0
; FloatMode: 240
; IeeeMode: 1
; LDSByteSize: 0 bytes/workgroup (compile time only)
; SGPRBlocks: 0
; VGPRBlocks: 0
; NumSGPRsForWavesPerEU: 4
; NumVGPRsForWavesPerEU: 1
; AccumOffset: 4
; Occupancy: 8
; WaveLimiterHint : 0
; COMPUTE_PGM_RSRC2:SCRATCH_EN: 0
; COMPUTE_PGM_RSRC2:USER_SGPR: 6
; COMPUTE_PGM_RSRC2:TRAP_HANDLER: 0
; COMPUTE_PGM_RSRC2:TGID_X_EN: 1
; COMPUTE_PGM_RSRC2:TGID_Y_EN: 0
; COMPUTE_PGM_RSRC2:TGID_Z_EN: 0
; COMPUTE_PGM_RSRC2:TIDIG_COMP_CNT: 0
; COMPUTE_PGM_RSRC3_GFX90A:ACCUM_OFFSET: 0
; COMPUTE_PGM_RSRC3_GFX90A:TG_SPLIT: 0
	.section	.text._ZN7rocprim17ROCPRIM_400000_NS6detail17trampoline_kernelINS0_14default_configENS1_29reduce_by_key_config_selectorIilN6thrust23THRUST_200600_302600_NS4plusIlEEEEZZNS1_33reduce_by_key_impl_wrapped_configILNS1_25lookback_scan_determinismE0ES3_S9_PiNS6_17constant_iteratorIiNS6_11use_defaultESE_EENS6_10device_ptrIiEENSG_IlEEPmS8_NS6_8equal_toIiEEEE10hipError_tPvRmT2_T3_mT4_T5_T6_T7_T8_P12ihipStream_tbENKUlT_T0_E_clISt17integral_constantIbLb0EES12_IbLb1EEEEDaSY_SZ_EUlSY_E_NS1_11comp_targetILNS1_3genE5ELNS1_11target_archE942ELNS1_3gpuE9ELNS1_3repE0EEENS1_30default_config_static_selectorELNS0_4arch9wavefront6targetE1EEEvT1_,"axG",@progbits,_ZN7rocprim17ROCPRIM_400000_NS6detail17trampoline_kernelINS0_14default_configENS1_29reduce_by_key_config_selectorIilN6thrust23THRUST_200600_302600_NS4plusIlEEEEZZNS1_33reduce_by_key_impl_wrapped_configILNS1_25lookback_scan_determinismE0ES3_S9_PiNS6_17constant_iteratorIiNS6_11use_defaultESE_EENS6_10device_ptrIiEENSG_IlEEPmS8_NS6_8equal_toIiEEEE10hipError_tPvRmT2_T3_mT4_T5_T6_T7_T8_P12ihipStream_tbENKUlT_T0_E_clISt17integral_constantIbLb0EES12_IbLb1EEEEDaSY_SZ_EUlSY_E_NS1_11comp_targetILNS1_3genE5ELNS1_11target_archE942ELNS1_3gpuE9ELNS1_3repE0EEENS1_30default_config_static_selectorELNS0_4arch9wavefront6targetE1EEEvT1_,comdat
	.protected	_ZN7rocprim17ROCPRIM_400000_NS6detail17trampoline_kernelINS0_14default_configENS1_29reduce_by_key_config_selectorIilN6thrust23THRUST_200600_302600_NS4plusIlEEEEZZNS1_33reduce_by_key_impl_wrapped_configILNS1_25lookback_scan_determinismE0ES3_S9_PiNS6_17constant_iteratorIiNS6_11use_defaultESE_EENS6_10device_ptrIiEENSG_IlEEPmS8_NS6_8equal_toIiEEEE10hipError_tPvRmT2_T3_mT4_T5_T6_T7_T8_P12ihipStream_tbENKUlT_T0_E_clISt17integral_constantIbLb0EES12_IbLb1EEEEDaSY_SZ_EUlSY_E_NS1_11comp_targetILNS1_3genE5ELNS1_11target_archE942ELNS1_3gpuE9ELNS1_3repE0EEENS1_30default_config_static_selectorELNS0_4arch9wavefront6targetE1EEEvT1_ ; -- Begin function _ZN7rocprim17ROCPRIM_400000_NS6detail17trampoline_kernelINS0_14default_configENS1_29reduce_by_key_config_selectorIilN6thrust23THRUST_200600_302600_NS4plusIlEEEEZZNS1_33reduce_by_key_impl_wrapped_configILNS1_25lookback_scan_determinismE0ES3_S9_PiNS6_17constant_iteratorIiNS6_11use_defaultESE_EENS6_10device_ptrIiEENSG_IlEEPmS8_NS6_8equal_toIiEEEE10hipError_tPvRmT2_T3_mT4_T5_T6_T7_T8_P12ihipStream_tbENKUlT_T0_E_clISt17integral_constantIbLb0EES12_IbLb1EEEEDaSY_SZ_EUlSY_E_NS1_11comp_targetILNS1_3genE5ELNS1_11target_archE942ELNS1_3gpuE9ELNS1_3repE0EEENS1_30default_config_static_selectorELNS0_4arch9wavefront6targetE1EEEvT1_
	.globl	_ZN7rocprim17ROCPRIM_400000_NS6detail17trampoline_kernelINS0_14default_configENS1_29reduce_by_key_config_selectorIilN6thrust23THRUST_200600_302600_NS4plusIlEEEEZZNS1_33reduce_by_key_impl_wrapped_configILNS1_25lookback_scan_determinismE0ES3_S9_PiNS6_17constant_iteratorIiNS6_11use_defaultESE_EENS6_10device_ptrIiEENSG_IlEEPmS8_NS6_8equal_toIiEEEE10hipError_tPvRmT2_T3_mT4_T5_T6_T7_T8_P12ihipStream_tbENKUlT_T0_E_clISt17integral_constantIbLb0EES12_IbLb1EEEEDaSY_SZ_EUlSY_E_NS1_11comp_targetILNS1_3genE5ELNS1_11target_archE942ELNS1_3gpuE9ELNS1_3repE0EEENS1_30default_config_static_selectorELNS0_4arch9wavefront6targetE1EEEvT1_
	.p2align	8
	.type	_ZN7rocprim17ROCPRIM_400000_NS6detail17trampoline_kernelINS0_14default_configENS1_29reduce_by_key_config_selectorIilN6thrust23THRUST_200600_302600_NS4plusIlEEEEZZNS1_33reduce_by_key_impl_wrapped_configILNS1_25lookback_scan_determinismE0ES3_S9_PiNS6_17constant_iteratorIiNS6_11use_defaultESE_EENS6_10device_ptrIiEENSG_IlEEPmS8_NS6_8equal_toIiEEEE10hipError_tPvRmT2_T3_mT4_T5_T6_T7_T8_P12ihipStream_tbENKUlT_T0_E_clISt17integral_constantIbLb0EES12_IbLb1EEEEDaSY_SZ_EUlSY_E_NS1_11comp_targetILNS1_3genE5ELNS1_11target_archE942ELNS1_3gpuE9ELNS1_3repE0EEENS1_30default_config_static_selectorELNS0_4arch9wavefront6targetE1EEEvT1_,@function
_ZN7rocprim17ROCPRIM_400000_NS6detail17trampoline_kernelINS0_14default_configENS1_29reduce_by_key_config_selectorIilN6thrust23THRUST_200600_302600_NS4plusIlEEEEZZNS1_33reduce_by_key_impl_wrapped_configILNS1_25lookback_scan_determinismE0ES3_S9_PiNS6_17constant_iteratorIiNS6_11use_defaultESE_EENS6_10device_ptrIiEENSG_IlEEPmS8_NS6_8equal_toIiEEEE10hipError_tPvRmT2_T3_mT4_T5_T6_T7_T8_P12ihipStream_tbENKUlT_T0_E_clISt17integral_constantIbLb0EES12_IbLb1EEEEDaSY_SZ_EUlSY_E_NS1_11comp_targetILNS1_3genE5ELNS1_11target_archE942ELNS1_3gpuE9ELNS1_3repE0EEENS1_30default_config_static_selectorELNS0_4arch9wavefront6targetE1EEEvT1_: ; @_ZN7rocprim17ROCPRIM_400000_NS6detail17trampoline_kernelINS0_14default_configENS1_29reduce_by_key_config_selectorIilN6thrust23THRUST_200600_302600_NS4plusIlEEEEZZNS1_33reduce_by_key_impl_wrapped_configILNS1_25lookback_scan_determinismE0ES3_S9_PiNS6_17constant_iteratorIiNS6_11use_defaultESE_EENS6_10device_ptrIiEENSG_IlEEPmS8_NS6_8equal_toIiEEEE10hipError_tPvRmT2_T3_mT4_T5_T6_T7_T8_P12ihipStream_tbENKUlT_T0_E_clISt17integral_constantIbLb0EES12_IbLb1EEEEDaSY_SZ_EUlSY_E_NS1_11comp_targetILNS1_3genE5ELNS1_11target_archE942ELNS1_3gpuE9ELNS1_3repE0EEENS1_30default_config_static_selectorELNS0_4arch9wavefront6targetE1EEEvT1_
; %bb.0:
	.section	.rodata,"a",@progbits
	.p2align	6, 0x0
	.amdhsa_kernel _ZN7rocprim17ROCPRIM_400000_NS6detail17trampoline_kernelINS0_14default_configENS1_29reduce_by_key_config_selectorIilN6thrust23THRUST_200600_302600_NS4plusIlEEEEZZNS1_33reduce_by_key_impl_wrapped_configILNS1_25lookback_scan_determinismE0ES3_S9_PiNS6_17constant_iteratorIiNS6_11use_defaultESE_EENS6_10device_ptrIiEENSG_IlEEPmS8_NS6_8equal_toIiEEEE10hipError_tPvRmT2_T3_mT4_T5_T6_T7_T8_P12ihipStream_tbENKUlT_T0_E_clISt17integral_constantIbLb0EES12_IbLb1EEEEDaSY_SZ_EUlSY_E_NS1_11comp_targetILNS1_3genE5ELNS1_11target_archE942ELNS1_3gpuE9ELNS1_3repE0EEENS1_30default_config_static_selectorELNS0_4arch9wavefront6targetE1EEEvT1_
		.amdhsa_group_segment_fixed_size 0
		.amdhsa_private_segment_fixed_size 0
		.amdhsa_kernarg_size 144
		.amdhsa_user_sgpr_count 6
		.amdhsa_user_sgpr_private_segment_buffer 1
		.amdhsa_user_sgpr_dispatch_ptr 0
		.amdhsa_user_sgpr_queue_ptr 0
		.amdhsa_user_sgpr_kernarg_segment_ptr 1
		.amdhsa_user_sgpr_dispatch_id 0
		.amdhsa_user_sgpr_flat_scratch_init 0
		.amdhsa_user_sgpr_kernarg_preload_length 0
		.amdhsa_user_sgpr_kernarg_preload_offset 0
		.amdhsa_user_sgpr_private_segment_size 0
		.amdhsa_uses_dynamic_stack 0
		.amdhsa_system_sgpr_private_segment_wavefront_offset 0
		.amdhsa_system_sgpr_workgroup_id_x 1
		.amdhsa_system_sgpr_workgroup_id_y 0
		.amdhsa_system_sgpr_workgroup_id_z 0
		.amdhsa_system_sgpr_workgroup_info 0
		.amdhsa_system_vgpr_workitem_id 0
		.amdhsa_next_free_vgpr 1
		.amdhsa_next_free_sgpr 0
		.amdhsa_accum_offset 4
		.amdhsa_reserve_vcc 0
		.amdhsa_reserve_flat_scratch 0
		.amdhsa_float_round_mode_32 0
		.amdhsa_float_round_mode_16_64 0
		.amdhsa_float_denorm_mode_32 3
		.amdhsa_float_denorm_mode_16_64 3
		.amdhsa_dx10_clamp 1
		.amdhsa_ieee_mode 1
		.amdhsa_fp16_overflow 0
		.amdhsa_tg_split 0
		.amdhsa_exception_fp_ieee_invalid_op 0
		.amdhsa_exception_fp_denorm_src 0
		.amdhsa_exception_fp_ieee_div_zero 0
		.amdhsa_exception_fp_ieee_overflow 0
		.amdhsa_exception_fp_ieee_underflow 0
		.amdhsa_exception_fp_ieee_inexact 0
		.amdhsa_exception_int_div_zero 0
	.end_amdhsa_kernel
	.section	.text._ZN7rocprim17ROCPRIM_400000_NS6detail17trampoline_kernelINS0_14default_configENS1_29reduce_by_key_config_selectorIilN6thrust23THRUST_200600_302600_NS4plusIlEEEEZZNS1_33reduce_by_key_impl_wrapped_configILNS1_25lookback_scan_determinismE0ES3_S9_PiNS6_17constant_iteratorIiNS6_11use_defaultESE_EENS6_10device_ptrIiEENSG_IlEEPmS8_NS6_8equal_toIiEEEE10hipError_tPvRmT2_T3_mT4_T5_T6_T7_T8_P12ihipStream_tbENKUlT_T0_E_clISt17integral_constantIbLb0EES12_IbLb1EEEEDaSY_SZ_EUlSY_E_NS1_11comp_targetILNS1_3genE5ELNS1_11target_archE942ELNS1_3gpuE9ELNS1_3repE0EEENS1_30default_config_static_selectorELNS0_4arch9wavefront6targetE1EEEvT1_,"axG",@progbits,_ZN7rocprim17ROCPRIM_400000_NS6detail17trampoline_kernelINS0_14default_configENS1_29reduce_by_key_config_selectorIilN6thrust23THRUST_200600_302600_NS4plusIlEEEEZZNS1_33reduce_by_key_impl_wrapped_configILNS1_25lookback_scan_determinismE0ES3_S9_PiNS6_17constant_iteratorIiNS6_11use_defaultESE_EENS6_10device_ptrIiEENSG_IlEEPmS8_NS6_8equal_toIiEEEE10hipError_tPvRmT2_T3_mT4_T5_T6_T7_T8_P12ihipStream_tbENKUlT_T0_E_clISt17integral_constantIbLb0EES12_IbLb1EEEEDaSY_SZ_EUlSY_E_NS1_11comp_targetILNS1_3genE5ELNS1_11target_archE942ELNS1_3gpuE9ELNS1_3repE0EEENS1_30default_config_static_selectorELNS0_4arch9wavefront6targetE1EEEvT1_,comdat
.Lfunc_end966:
	.size	_ZN7rocprim17ROCPRIM_400000_NS6detail17trampoline_kernelINS0_14default_configENS1_29reduce_by_key_config_selectorIilN6thrust23THRUST_200600_302600_NS4plusIlEEEEZZNS1_33reduce_by_key_impl_wrapped_configILNS1_25lookback_scan_determinismE0ES3_S9_PiNS6_17constant_iteratorIiNS6_11use_defaultESE_EENS6_10device_ptrIiEENSG_IlEEPmS8_NS6_8equal_toIiEEEE10hipError_tPvRmT2_T3_mT4_T5_T6_T7_T8_P12ihipStream_tbENKUlT_T0_E_clISt17integral_constantIbLb0EES12_IbLb1EEEEDaSY_SZ_EUlSY_E_NS1_11comp_targetILNS1_3genE5ELNS1_11target_archE942ELNS1_3gpuE9ELNS1_3repE0EEENS1_30default_config_static_selectorELNS0_4arch9wavefront6targetE1EEEvT1_, .Lfunc_end966-_ZN7rocprim17ROCPRIM_400000_NS6detail17trampoline_kernelINS0_14default_configENS1_29reduce_by_key_config_selectorIilN6thrust23THRUST_200600_302600_NS4plusIlEEEEZZNS1_33reduce_by_key_impl_wrapped_configILNS1_25lookback_scan_determinismE0ES3_S9_PiNS6_17constant_iteratorIiNS6_11use_defaultESE_EENS6_10device_ptrIiEENSG_IlEEPmS8_NS6_8equal_toIiEEEE10hipError_tPvRmT2_T3_mT4_T5_T6_T7_T8_P12ihipStream_tbENKUlT_T0_E_clISt17integral_constantIbLb0EES12_IbLb1EEEEDaSY_SZ_EUlSY_E_NS1_11comp_targetILNS1_3genE5ELNS1_11target_archE942ELNS1_3gpuE9ELNS1_3repE0EEENS1_30default_config_static_selectorELNS0_4arch9wavefront6targetE1EEEvT1_
                                        ; -- End function
	.section	.AMDGPU.csdata,"",@progbits
; Kernel info:
; codeLenInByte = 0
; NumSgprs: 4
; NumVgprs: 0
; NumAgprs: 0
; TotalNumVgprs: 0
; ScratchSize: 0
; MemoryBound: 0
; FloatMode: 240
; IeeeMode: 1
; LDSByteSize: 0 bytes/workgroup (compile time only)
; SGPRBlocks: 0
; VGPRBlocks: 0
; NumSGPRsForWavesPerEU: 4
; NumVGPRsForWavesPerEU: 1
; AccumOffset: 4
; Occupancy: 8
; WaveLimiterHint : 0
; COMPUTE_PGM_RSRC2:SCRATCH_EN: 0
; COMPUTE_PGM_RSRC2:USER_SGPR: 6
; COMPUTE_PGM_RSRC2:TRAP_HANDLER: 0
; COMPUTE_PGM_RSRC2:TGID_X_EN: 1
; COMPUTE_PGM_RSRC2:TGID_Y_EN: 0
; COMPUTE_PGM_RSRC2:TGID_Z_EN: 0
; COMPUTE_PGM_RSRC2:TIDIG_COMP_CNT: 0
; COMPUTE_PGM_RSRC3_GFX90A:ACCUM_OFFSET: 0
; COMPUTE_PGM_RSRC3_GFX90A:TG_SPLIT: 0
	.section	.text._ZN7rocprim17ROCPRIM_400000_NS6detail17trampoline_kernelINS0_14default_configENS1_29reduce_by_key_config_selectorIilN6thrust23THRUST_200600_302600_NS4plusIlEEEEZZNS1_33reduce_by_key_impl_wrapped_configILNS1_25lookback_scan_determinismE0ES3_S9_PiNS6_17constant_iteratorIiNS6_11use_defaultESE_EENS6_10device_ptrIiEENSG_IlEEPmS8_NS6_8equal_toIiEEEE10hipError_tPvRmT2_T3_mT4_T5_T6_T7_T8_P12ihipStream_tbENKUlT_T0_E_clISt17integral_constantIbLb0EES12_IbLb1EEEEDaSY_SZ_EUlSY_E_NS1_11comp_targetILNS1_3genE4ELNS1_11target_archE910ELNS1_3gpuE8ELNS1_3repE0EEENS1_30default_config_static_selectorELNS0_4arch9wavefront6targetE1EEEvT1_,"axG",@progbits,_ZN7rocprim17ROCPRIM_400000_NS6detail17trampoline_kernelINS0_14default_configENS1_29reduce_by_key_config_selectorIilN6thrust23THRUST_200600_302600_NS4plusIlEEEEZZNS1_33reduce_by_key_impl_wrapped_configILNS1_25lookback_scan_determinismE0ES3_S9_PiNS6_17constant_iteratorIiNS6_11use_defaultESE_EENS6_10device_ptrIiEENSG_IlEEPmS8_NS6_8equal_toIiEEEE10hipError_tPvRmT2_T3_mT4_T5_T6_T7_T8_P12ihipStream_tbENKUlT_T0_E_clISt17integral_constantIbLb0EES12_IbLb1EEEEDaSY_SZ_EUlSY_E_NS1_11comp_targetILNS1_3genE4ELNS1_11target_archE910ELNS1_3gpuE8ELNS1_3repE0EEENS1_30default_config_static_selectorELNS0_4arch9wavefront6targetE1EEEvT1_,comdat
	.protected	_ZN7rocprim17ROCPRIM_400000_NS6detail17trampoline_kernelINS0_14default_configENS1_29reduce_by_key_config_selectorIilN6thrust23THRUST_200600_302600_NS4plusIlEEEEZZNS1_33reduce_by_key_impl_wrapped_configILNS1_25lookback_scan_determinismE0ES3_S9_PiNS6_17constant_iteratorIiNS6_11use_defaultESE_EENS6_10device_ptrIiEENSG_IlEEPmS8_NS6_8equal_toIiEEEE10hipError_tPvRmT2_T3_mT4_T5_T6_T7_T8_P12ihipStream_tbENKUlT_T0_E_clISt17integral_constantIbLb0EES12_IbLb1EEEEDaSY_SZ_EUlSY_E_NS1_11comp_targetILNS1_3genE4ELNS1_11target_archE910ELNS1_3gpuE8ELNS1_3repE0EEENS1_30default_config_static_selectorELNS0_4arch9wavefront6targetE1EEEvT1_ ; -- Begin function _ZN7rocprim17ROCPRIM_400000_NS6detail17trampoline_kernelINS0_14default_configENS1_29reduce_by_key_config_selectorIilN6thrust23THRUST_200600_302600_NS4plusIlEEEEZZNS1_33reduce_by_key_impl_wrapped_configILNS1_25lookback_scan_determinismE0ES3_S9_PiNS6_17constant_iteratorIiNS6_11use_defaultESE_EENS6_10device_ptrIiEENSG_IlEEPmS8_NS6_8equal_toIiEEEE10hipError_tPvRmT2_T3_mT4_T5_T6_T7_T8_P12ihipStream_tbENKUlT_T0_E_clISt17integral_constantIbLb0EES12_IbLb1EEEEDaSY_SZ_EUlSY_E_NS1_11comp_targetILNS1_3genE4ELNS1_11target_archE910ELNS1_3gpuE8ELNS1_3repE0EEENS1_30default_config_static_selectorELNS0_4arch9wavefront6targetE1EEEvT1_
	.globl	_ZN7rocprim17ROCPRIM_400000_NS6detail17trampoline_kernelINS0_14default_configENS1_29reduce_by_key_config_selectorIilN6thrust23THRUST_200600_302600_NS4plusIlEEEEZZNS1_33reduce_by_key_impl_wrapped_configILNS1_25lookback_scan_determinismE0ES3_S9_PiNS6_17constant_iteratorIiNS6_11use_defaultESE_EENS6_10device_ptrIiEENSG_IlEEPmS8_NS6_8equal_toIiEEEE10hipError_tPvRmT2_T3_mT4_T5_T6_T7_T8_P12ihipStream_tbENKUlT_T0_E_clISt17integral_constantIbLb0EES12_IbLb1EEEEDaSY_SZ_EUlSY_E_NS1_11comp_targetILNS1_3genE4ELNS1_11target_archE910ELNS1_3gpuE8ELNS1_3repE0EEENS1_30default_config_static_selectorELNS0_4arch9wavefront6targetE1EEEvT1_
	.p2align	8
	.type	_ZN7rocprim17ROCPRIM_400000_NS6detail17trampoline_kernelINS0_14default_configENS1_29reduce_by_key_config_selectorIilN6thrust23THRUST_200600_302600_NS4plusIlEEEEZZNS1_33reduce_by_key_impl_wrapped_configILNS1_25lookback_scan_determinismE0ES3_S9_PiNS6_17constant_iteratorIiNS6_11use_defaultESE_EENS6_10device_ptrIiEENSG_IlEEPmS8_NS6_8equal_toIiEEEE10hipError_tPvRmT2_T3_mT4_T5_T6_T7_T8_P12ihipStream_tbENKUlT_T0_E_clISt17integral_constantIbLb0EES12_IbLb1EEEEDaSY_SZ_EUlSY_E_NS1_11comp_targetILNS1_3genE4ELNS1_11target_archE910ELNS1_3gpuE8ELNS1_3repE0EEENS1_30default_config_static_selectorELNS0_4arch9wavefront6targetE1EEEvT1_,@function
_ZN7rocprim17ROCPRIM_400000_NS6detail17trampoline_kernelINS0_14default_configENS1_29reduce_by_key_config_selectorIilN6thrust23THRUST_200600_302600_NS4plusIlEEEEZZNS1_33reduce_by_key_impl_wrapped_configILNS1_25lookback_scan_determinismE0ES3_S9_PiNS6_17constant_iteratorIiNS6_11use_defaultESE_EENS6_10device_ptrIiEENSG_IlEEPmS8_NS6_8equal_toIiEEEE10hipError_tPvRmT2_T3_mT4_T5_T6_T7_T8_P12ihipStream_tbENKUlT_T0_E_clISt17integral_constantIbLb0EES12_IbLb1EEEEDaSY_SZ_EUlSY_E_NS1_11comp_targetILNS1_3genE4ELNS1_11target_archE910ELNS1_3gpuE8ELNS1_3repE0EEENS1_30default_config_static_selectorELNS0_4arch9wavefront6targetE1EEEvT1_: ; @_ZN7rocprim17ROCPRIM_400000_NS6detail17trampoline_kernelINS0_14default_configENS1_29reduce_by_key_config_selectorIilN6thrust23THRUST_200600_302600_NS4plusIlEEEEZZNS1_33reduce_by_key_impl_wrapped_configILNS1_25lookback_scan_determinismE0ES3_S9_PiNS6_17constant_iteratorIiNS6_11use_defaultESE_EENS6_10device_ptrIiEENSG_IlEEPmS8_NS6_8equal_toIiEEEE10hipError_tPvRmT2_T3_mT4_T5_T6_T7_T8_P12ihipStream_tbENKUlT_T0_E_clISt17integral_constantIbLb0EES12_IbLb1EEEEDaSY_SZ_EUlSY_E_NS1_11comp_targetILNS1_3genE4ELNS1_11target_archE910ELNS1_3gpuE8ELNS1_3repE0EEENS1_30default_config_static_selectorELNS0_4arch9wavefront6targetE1EEEvT1_
; %bb.0:
	s_load_dwordx4 s[52:55], s[4:5], 0x20
	s_load_dwordx2 s[56:57], s[4:5], 0x30
	s_load_dwordx2 s[34:35], s[4:5], 0x80
	v_cmp_ne_u32_e64 s[2:3], 0, v0
	v_cmp_eq_u32_e64 s[0:1], 0, v0
	s_and_saveexec_b64 s[6:7], s[0:1]
	s_cbranch_execz .LBB967_4
; %bb.1:
	s_mov_b64 s[10:11], exec
	v_mbcnt_lo_u32_b32 v1, s10, 0
	v_mbcnt_hi_u32_b32 v1, s11, v1
	v_cmp_eq_u32_e32 vcc, 0, v1
                                        ; implicit-def: $vgpr2
	s_and_saveexec_b64 s[8:9], vcc
	s_cbranch_execz .LBB967_3
; %bb.2:
	s_load_dwordx2 s[12:13], s[4:5], 0x88
	s_bcnt1_i32_b64 s10, s[10:11]
	v_mov_b32_e32 v2, 0
	v_mov_b32_e32 v3, s10
	s_waitcnt lgkmcnt(0)
	global_atomic_add v2, v2, v3, s[12:13] glc
.LBB967_3:
	s_or_b64 exec, exec, s[8:9]
	s_waitcnt vmcnt(0)
	v_readfirstlane_b32 s8, v2
	v_add_u32_e32 v1, s8, v1
	v_mov_b32_e32 v2, 0
	ds_write_b32 v2, v1
.LBB967_4:
	s_or_b64 exec, exec, s[6:7]
	s_load_dwordx4 s[8:11], s[4:5], 0x0
	s_load_dword s12, s[4:5], 0x18
	s_load_dwordx16 s[36:51], s[4:5], 0x40
	v_mov_b32_e32 v3, 0
	s_waitcnt lgkmcnt(0)
	s_barrier
	ds_read_b32 v1, v3
	s_mul_i32 s4, s44, s43
	s_mul_hi_u32 s5, s44, s42
	s_add_i32 s4, s5, s4
	s_mul_i32 s5, s45, s42
	s_add_i32 s6, s4, s5
	s_lshl_b64 s[4:5], s[10:11], 2
	s_add_u32 s4, s8, s4
	s_movk_i32 s8, 0xf00
	s_waitcnt lgkmcnt(0)
	v_mul_lo_u32 v2, v1, s8
	s_mul_i32 s7, s44, s42
	s_addc_u32 s5, s9, s5
	v_readfirstlane_b32 s60, v1
	v_lshlrev_b64 v[2:3], 2, v[2:3]
	v_add_co_u32_e32 v74, vcc, s4, v2
	s_add_u32 s4, s7, s60
	v_mov_b32_e32 v1, s5
	s_addc_u32 s5, s6, 0
	s_add_u32 s10, s46, -1
	s_addc_u32 s11, s47, -1
	s_cmp_eq_u64 s[4:5], s[10:11]
	v_addc_co_u32_e32 v75, vcc, v1, v3, vcc
	s_cselect_b64 s[44:45], -1, 0
	s_cmp_lg_u64 s[4:5], s[10:11]
	s_mov_b64 s[8:9], -1
	s_cselect_b64 s[6:7], -1, 0
	s_mul_i32 s33, s10, 0xfffff100
	s_and_b64 vcc, exec, s[44:45]
	v_mad_u32_u24 v48, v0, 15, 1
	v_mad_u32_u24 v50, v0, 15, 2
	;; [unrolled: 1-line block ×14, first 2 shown]
	s_barrier
	s_cbranch_vccnz .LBB967_6
; %bb.5:
	v_lshlrev_b32_e32 v1, 2, v0
	v_add_co_u32_e32 v4, vcc, v74, v1
	v_addc_co_u32_e32 v5, vcc, 0, v75, vcc
	v_add_co_u32_e32 v2, vcc, 0x1000, v4
	v_readfirstlane_b32 s8, v74
	v_readfirstlane_b32 s9, v75
	v_addc_co_u32_e32 v3, vcc, 0, v5, vcc
	s_nop 3
	global_load_dword v6, v1, s[8:9]
	global_load_dword v7, v1, s[8:9] offset:1024
	global_load_dword v8, v1, s[8:9] offset:2048
	;; [unrolled: 1-line block ×3, first 2 shown]
	global_load_dword v10, v[2:3], off
	global_load_dword v11, v[2:3], off offset:1024
	global_load_dword v12, v[2:3], off offset:2048
	global_load_dword v13, v[2:3], off offset:3072
	v_add_co_u32_e32 v2, vcc, 0x2000, v4
	v_addc_co_u32_e32 v3, vcc, 0, v5, vcc
	v_add_co_u32_e32 v4, vcc, 0x3000, v4
	v_addc_co_u32_e32 v5, vcc, 0, v5, vcc
	global_load_dword v14, v[2:3], off
	global_load_dword v15, v[2:3], off offset:1024
	global_load_dword v16, v[2:3], off offset:2048
	;; [unrolled: 1-line block ×3, first 2 shown]
	global_load_dword v31, v[4:5], off
	global_load_dword v34, v[4:5], off offset:1024
	global_load_dword v35, v[4:5], off offset:2048
	v_mad_u32_u24 v36, v0, 56, v1
	s_ashr_i32 s13, s12, 31
	s_movk_i32 s8, 0xffcc
	v_mul_u32_u24_e32 v2, 15, v0
	v_mad_u32_u24 v30, v0, 15, 1
	v_mad_u32_u24 v29, v0, 15, 2
	;; [unrolled: 1-line block ×14, first 2 shown]
	v_pk_mov_b32 v[32:33], s[12:13], s[12:13] op_sel:[0,1]
	v_mad_i32_i24 v37, v0, s8, v36
	s_waitcnt vmcnt(13)
	ds_write2st64_b32 v1, v6, v7 offset1:4
	s_waitcnt vmcnt(11)
	ds_write2st64_b32 v1, v8, v9 offset0:8 offset1:12
	s_waitcnt vmcnt(9)
	ds_write2st64_b32 v1, v10, v11 offset0:16 offset1:20
	s_waitcnt vmcnt(7)
	ds_write2st64_b32 v1, v12, v13 offset0:24 offset1:28
	s_waitcnt vmcnt(5)
	ds_write2st64_b32 v1, v14, v15 offset0:32 offset1:36
	s_waitcnt vmcnt(3)
	ds_write2st64_b32 v1, v16, v17 offset0:40 offset1:44
	s_waitcnt vmcnt(1)
	ds_write2st64_b32 v1, v31, v34 offset0:48 offset1:52
	s_waitcnt vmcnt(0)
	ds_write_b32 v1, v35 offset:14336
	s_waitcnt lgkmcnt(0)
	s_barrier
	ds_read2_b32 v[16:17], v36 offset1:1
	ds_read2_b32 v[14:15], v36 offset0:2 offset1:3
	ds_read2_b32 v[12:13], v36 offset0:4 offset1:5
	;; [unrolled: 1-line block ×6, first 2 shown]
	ds_read_b32 v1, v36 offset:56
	s_waitcnt lgkmcnt(7)
	v_mov_b32_e32 v82, v16
	s_waitcnt lgkmcnt(6)
	v_mov_b32_e32 v83, v14
	;; [unrolled: 2-line block ×7, first 2 shown]
	s_waitcnt lgkmcnt(0)
	s_barrier
	ds_write2st64_b64 v37, v[32:33], v[32:33] offset1:4
	ds_write2st64_b64 v37, v[32:33], v[32:33] offset0:8 offset1:12
	ds_write2st64_b64 v37, v[32:33], v[32:33] offset0:16 offset1:20
	;; [unrolled: 1-line block ×6, first 2 shown]
	ds_write_b64 v37, v[32:33] offset:28672
	s_waitcnt lgkmcnt(0)
	s_barrier
	s_add_i32 s33, s33, s48
	s_cbranch_execz .LBB967_7
	s_branch .LBB967_38
.LBB967_6:
                                        ; implicit-def: $vgpr1
                                        ; implicit-def: $vgpr4
                                        ; implicit-def: $vgpr6
                                        ; implicit-def: $vgpr8
                                        ; implicit-def: $vgpr10
                                        ; implicit-def: $vgpr12
                                        ; implicit-def: $vgpr14
                                        ; implicit-def: $vgpr16
                                        ; implicit-def: $vgpr3
                                        ; implicit-def: $vgpr18
                                        ; implicit-def: $vgpr19
                                        ; implicit-def: $vgpr20
                                        ; implicit-def: $vgpr21
                                        ; implicit-def: $vgpr22
                                        ; implicit-def: $vgpr23
                                        ; implicit-def: $vgpr24
                                        ; implicit-def: $vgpr25
                                        ; implicit-def: $vgpr26
                                        ; implicit-def: $vgpr27
                                        ; implicit-def: $vgpr28
                                        ; implicit-def: $vgpr29
                                        ; implicit-def: $vgpr30
                                        ; implicit-def: $vgpr2
                                        ; implicit-def: $vgpr76_vgpr77
                                        ; implicit-def: $vgpr78_vgpr79
                                        ; implicit-def: $vgpr82_vgpr83
                                        ; implicit-def: $vgpr80_vgpr81
	s_andn2_b64 vcc, exec, s[8:9]
	s_add_i32 s33, s33, s48
	s_cbranch_vccnz .LBB967_38
.LBB967_7:
	v_cmp_gt_u32_e32 vcc, s33, v0
                                        ; implicit-def: $vgpr1
	s_and_saveexec_b64 s[8:9], vcc
	s_cbranch_execz .LBB967_9
; %bb.8:
	v_lshlrev_b32_e32 v1, 2, v0
	v_readfirstlane_b32 s10, v74
	v_readfirstlane_b32 s11, v75
	s_nop 4
	global_load_dword v1, v1, s[10:11]
.LBB967_9:
	s_or_b64 exec, exec, s[8:9]
	v_or_b32_e32 v2, 0x100, v0
	v_cmp_gt_u32_e32 vcc, s33, v2
                                        ; implicit-def: $vgpr2
	s_and_saveexec_b64 s[8:9], vcc
	s_cbranch_execz .LBB967_11
; %bb.10:
	v_lshlrev_b32_e32 v2, 2, v0
	v_readfirstlane_b32 s10, v74
	v_readfirstlane_b32 s11, v75
	s_nop 4
	global_load_dword v2, v2, s[10:11] offset:1024
.LBB967_11:
	s_or_b64 exec, exec, s[8:9]
	v_or_b32_e32 v3, 0x200, v0
	v_cmp_gt_u32_e32 vcc, s33, v3
                                        ; implicit-def: $vgpr3
	s_and_saveexec_b64 s[8:9], vcc
	s_cbranch_execz .LBB967_13
; %bb.12:
	v_lshlrev_b32_e32 v3, 2, v0
	v_readfirstlane_b32 s10, v74
	v_readfirstlane_b32 s11, v75
	s_nop 4
	global_load_dword v3, v3, s[10:11] offset:2048
.LBB967_13:
	s_or_b64 exec, exec, s[8:9]
	v_or_b32_e32 v4, 0x300, v0
	v_cmp_gt_u32_e32 vcc, s33, v4
                                        ; implicit-def: $vgpr4
	s_and_saveexec_b64 s[8:9], vcc
	s_cbranch_execz .LBB967_15
; %bb.14:
	v_lshlrev_b32_e32 v4, 2, v0
	v_readfirstlane_b32 s10, v74
	v_readfirstlane_b32 s11, v75
	s_nop 4
	global_load_dword v4, v4, s[10:11] offset:3072
.LBB967_15:
	s_or_b64 exec, exec, s[8:9]
	v_or_b32_e32 v6, 0x400, v0
	v_cmp_gt_u32_e32 vcc, s33, v6
                                        ; implicit-def: $vgpr5
	s_and_saveexec_b64 s[8:9], vcc
	s_cbranch_execz .LBB967_17
; %bb.16:
	v_lshlrev_b32_e32 v5, 2, v6
	v_readfirstlane_b32 s10, v74
	v_readfirstlane_b32 s11, v75
	s_nop 4
	global_load_dword v5, v5, s[10:11]
.LBB967_17:
	s_or_b64 exec, exec, s[8:9]
	v_or_b32_e32 v7, 0x500, v0
	v_cmp_gt_u32_e32 vcc, s33, v7
                                        ; implicit-def: $vgpr6
	s_and_saveexec_b64 s[8:9], vcc
	s_cbranch_execz .LBB967_19
; %bb.18:
	v_lshlrev_b32_e32 v6, 2, v7
	v_readfirstlane_b32 s10, v74
	v_readfirstlane_b32 s11, v75
	s_nop 4
	global_load_dword v6, v6, s[10:11]
.LBB967_19:
	s_or_b64 exec, exec, s[8:9]
	v_or_b32_e32 v8, 0x600, v0
	v_cmp_gt_u32_e32 vcc, s33, v8
                                        ; implicit-def: $vgpr7
	s_and_saveexec_b64 s[8:9], vcc
	s_cbranch_execz .LBB967_21
; %bb.20:
	v_lshlrev_b32_e32 v7, 2, v8
	v_readfirstlane_b32 s10, v74
	v_readfirstlane_b32 s11, v75
	s_nop 4
	global_load_dword v7, v7, s[10:11]
.LBB967_21:
	s_or_b64 exec, exec, s[8:9]
	v_or_b32_e32 v9, 0x700, v0
	v_cmp_gt_u32_e32 vcc, s33, v9
                                        ; implicit-def: $vgpr8
	s_and_saveexec_b64 s[8:9], vcc
	s_cbranch_execz .LBB967_23
; %bb.22:
	v_lshlrev_b32_e32 v8, 2, v9
	v_readfirstlane_b32 s10, v74
	v_readfirstlane_b32 s11, v75
	s_nop 4
	global_load_dword v8, v8, s[10:11]
.LBB967_23:
	s_or_b64 exec, exec, s[8:9]
	v_or_b32_e32 v10, 0x800, v0
	v_cmp_gt_u32_e32 vcc, s33, v10
                                        ; implicit-def: $vgpr9
	s_and_saveexec_b64 s[8:9], vcc
	s_cbranch_execz .LBB967_25
; %bb.24:
	v_lshlrev_b32_e32 v9, 2, v10
	v_readfirstlane_b32 s10, v74
	v_readfirstlane_b32 s11, v75
	s_nop 4
	global_load_dword v9, v9, s[10:11]
.LBB967_25:
	s_or_b64 exec, exec, s[8:9]
	v_or_b32_e32 v11, 0x900, v0
	v_cmp_gt_u32_e32 vcc, s33, v11
                                        ; implicit-def: $vgpr10
	s_and_saveexec_b64 s[8:9], vcc
	s_cbranch_execz .LBB967_27
; %bb.26:
	v_lshlrev_b32_e32 v10, 2, v11
	v_readfirstlane_b32 s10, v74
	v_readfirstlane_b32 s11, v75
	s_nop 4
	global_load_dword v10, v10, s[10:11]
.LBB967_27:
	s_or_b64 exec, exec, s[8:9]
	v_or_b32_e32 v12, 0xa00, v0
	v_cmp_gt_u32_e32 vcc, s33, v12
                                        ; implicit-def: $vgpr11
	s_and_saveexec_b64 s[8:9], vcc
	s_cbranch_execz .LBB967_29
; %bb.28:
	v_lshlrev_b32_e32 v11, 2, v12
	v_readfirstlane_b32 s10, v74
	v_readfirstlane_b32 s11, v75
	s_nop 4
	global_load_dword v11, v11, s[10:11]
.LBB967_29:
	s_or_b64 exec, exec, s[8:9]
	v_or_b32_e32 v13, 0xb00, v0
	v_cmp_gt_u32_e32 vcc, s33, v13
                                        ; implicit-def: $vgpr12
	s_and_saveexec_b64 s[8:9], vcc
	s_cbranch_execz .LBB967_31
; %bb.30:
	v_lshlrev_b32_e32 v12, 2, v13
	v_readfirstlane_b32 s10, v74
	v_readfirstlane_b32 s11, v75
	s_nop 4
	global_load_dword v12, v12, s[10:11]
.LBB967_31:
	s_or_b64 exec, exec, s[8:9]
	v_or_b32_e32 v14, 0xc00, v0
	v_cmp_gt_u32_e32 vcc, s33, v14
                                        ; implicit-def: $vgpr13
	s_and_saveexec_b64 s[8:9], vcc
	s_cbranch_execz .LBB967_33
; %bb.32:
	v_lshlrev_b32_e32 v13, 2, v14
	v_readfirstlane_b32 s10, v74
	v_readfirstlane_b32 s11, v75
	s_nop 4
	global_load_dword v13, v13, s[10:11]
.LBB967_33:
	s_or_b64 exec, exec, s[8:9]
	v_or_b32_e32 v15, 0xd00, v0
	v_cmp_gt_u32_e32 vcc, s33, v15
                                        ; implicit-def: $vgpr14
	s_and_saveexec_b64 s[8:9], vcc
	s_cbranch_execz .LBB967_35
; %bb.34:
	v_lshlrev_b32_e32 v14, 2, v15
	v_readfirstlane_b32 s10, v74
	v_readfirstlane_b32 s11, v75
	s_nop 4
	global_load_dword v14, v14, s[10:11]
.LBB967_35:
	s_or_b64 exec, exec, s[8:9]
	v_or_b32_e32 v16, 0xe00, v0
	v_cmp_gt_u32_e32 vcc, s33, v16
                                        ; implicit-def: $vgpr15
	s_and_saveexec_b64 s[8:9], vcc
	s_cbranch_execz .LBB967_37
; %bb.36:
	v_lshlrev_b32_e32 v15, 2, v16
	v_readfirstlane_b32 s10, v74
	v_readfirstlane_b32 s11, v75
	s_nop 4
	global_load_dword v15, v15, s[10:11]
.LBB967_37:
	s_or_b64 exec, exec, s[8:9]
	v_lshlrev_b32_e32 v16, 2, v0
	s_waitcnt vmcnt(0)
	ds_write2st64_b32 v16, v1, v2 offset1:4
	ds_write2st64_b32 v16, v3, v4 offset0:8 offset1:12
	ds_write2st64_b32 v16, v5, v6 offset0:16 offset1:20
	;; [unrolled: 1-line block ×6, first 2 shown]
	ds_write_b32 v16, v15 offset:14336
	v_mad_u32_u24 v3, v0, 56, v16
	s_waitcnt lgkmcnt(0)
	s_barrier
	ds_read2_b32 v[16:17], v3 offset1:1
	ds_read2_b32 v[14:15], v3 offset0:2 offset1:3
	ds_read2_b32 v[12:13], v3 offset0:4 offset1:5
	;; [unrolled: 1-line block ×6, first 2 shown]
	ds_read_b32 v1, v3 offset:56
	s_ashr_i32 s13, s12, 31
	s_movk_i32 s8, 0xffcc
	v_mad_i32_i24 v3, v0, s8, v3
	v_pk_mov_b32 v[18:19], s[12:13], s[12:13] op_sel:[0,1]
	v_mul_u32_u24_e32 v2, 15, v0
	s_waitcnt lgkmcnt(0)
	s_barrier
	ds_write2st64_b64 v3, v[18:19], v[18:19] offset1:4
	ds_write2st64_b64 v3, v[18:19], v[18:19] offset0:8 offset1:12
	ds_write2st64_b64 v3, v[18:19], v[18:19] offset0:16 offset1:20
	;; [unrolled: 1-line block ×6, first 2 shown]
	ds_write_b64 v3, v[18:19] offset:28672
	v_mov_b32_e32 v82, v16
	v_mov_b32_e32 v83, v14
	;; [unrolled: 1-line block ×21, first 2 shown]
	s_waitcnt lgkmcnt(0)
	s_barrier
.LBB967_38:
	v_lshlrev_b32_e32 v2, 3, v2
	v_lshlrev_b32_e32 v30, 3, v30
	v_lshlrev_b32_e32 v29, 3, v29
	v_lshlrev_b32_e32 v28, 3, v28
	ds_read_b64 v[42:43], v2
	ds_read_b64 v[40:41], v30
	ds_read_b64 v[38:39], v29
	ds_read_b64 v[34:35], v28
	v_lshlrev_b32_e32 v2, 3, v27
	v_lshlrev_b32_e32 v26, 3, v26
	v_lshlrev_b32_e32 v25, 3, v25
	v_lshlrev_b32_e32 v24, 3, v24
	ds_read_b64 v[36:37], v2
	ds_read_b64 v[32:33], v26
	ds_read_b64 v[30:31], v25
	ds_read_b64 v[26:27], v24
	;; [unrolled: 8-line block ×3, first 2 shown]
	v_lshlrev_b32_e32 v2, 3, v19
	v_lshlrev_b32_e32 v44, 3, v18
	;; [unrolled: 1-line block ×3, first 2 shown]
	ds_read_b64 v[18:19], v2
	ds_read_b64 v[2:3], v44
	ds_read_b64 v[44:45], v45
	s_cmp_eq_u64 s[4:5], 0
	s_cselect_b64 s[46:47], -1, 0
	s_cmp_lg_u64 s[4:5], 0
	s_mov_b64 s[58:59], 0
	s_cselect_b64 s[8:9], -1, 0
	s_and_b64 vcc, exec, s[6:7]
	s_waitcnt lgkmcnt(0)
	s_barrier
	s_cbranch_vccz .LBB967_44
; %bb.39:
	s_and_b64 vcc, exec, s[8:9]
	s_cbranch_vccz .LBB967_45
; %bb.40:
	global_load_dword v47, v[74:75], off offset:-4
	v_lshlrev_b32_e32 v49, 2, v0
	ds_write_b32 v49, v1
	s_waitcnt lgkmcnt(0)
	s_barrier
	s_and_saveexec_b64 s[6:7], s[2:3]
	s_cbranch_execz .LBB967_42
; %bb.41:
	s_waitcnt vmcnt(0)
	v_add_u32_e32 v47, -4, v49
	ds_read_b32 v47, v47
.LBB967_42:
	s_or_b64 exec, exec, s[6:7]
	v_cmp_ne_u32_e32 vcc, v82, v17
	v_cndmask_b32_e64 v97, 0, 1, vcc
	v_cmp_ne_u32_e32 vcc, v83, v17
	v_cndmask_b32_e64 v96, 0, 1, vcc
	;; [unrolled: 2-line block ×14, first 2 shown]
	s_waitcnt vmcnt(0) lgkmcnt(0)
	v_cmp_ne_u32_e64 s[6:7], v47, v16
	s_mov_b64 s[58:59], -1
.LBB967_43:
                                        ; implicit-def: $sgpr12
	s_branch .LBB967_57
.LBB967_44:
                                        ; implicit-def: $sgpr6_sgpr7
                                        ; implicit-def: $vgpr84
                                        ; implicit-def: $vgpr85
                                        ; implicit-def: $vgpr86
                                        ; implicit-def: $vgpr87
                                        ; implicit-def: $vgpr88
                                        ; implicit-def: $vgpr89
                                        ; implicit-def: $vgpr90
                                        ; implicit-def: $vgpr91
                                        ; implicit-def: $vgpr92
                                        ; implicit-def: $vgpr93
                                        ; implicit-def: $vgpr94
                                        ; implicit-def: $vgpr95
                                        ; implicit-def: $vgpr96
                                        ; implicit-def: $vgpr97
                                        ; implicit-def: $sgpr12
	s_cbranch_execnz .LBB967_49
	s_branch .LBB967_57
.LBB967_45:
                                        ; implicit-def: $sgpr6_sgpr7
                                        ; implicit-def: $vgpr84
                                        ; implicit-def: $vgpr85
                                        ; implicit-def: $vgpr86
                                        ; implicit-def: $vgpr87
                                        ; implicit-def: $vgpr88
                                        ; implicit-def: $vgpr89
                                        ; implicit-def: $vgpr90
                                        ; implicit-def: $vgpr91
                                        ; implicit-def: $vgpr92
                                        ; implicit-def: $vgpr93
                                        ; implicit-def: $vgpr94
                                        ; implicit-def: $vgpr95
                                        ; implicit-def: $vgpr96
                                        ; implicit-def: $vgpr97
	s_cbranch_execz .LBB967_43
; %bb.46:
	v_cmp_ne_u32_e32 vcc, v17, v82
	v_cndmask_b32_e64 v97, 0, 1, vcc
	v_cmp_ne_u32_e32 vcc, v17, v83
	v_cndmask_b32_e64 v96, 0, 1, vcc
	;; [unrolled: 2-line block ×13, first 2 shown]
	v_cmp_ne_u32_e32 vcc, v5, v1
	v_lshlrev_b32_e32 v47, 2, v0
	v_cndmask_b32_e64 v84, 0, 1, vcc
	ds_write_b32 v47, v1
	s_waitcnt lgkmcnt(0)
	s_barrier
	s_waitcnt lgkmcnt(0)
                                        ; implicit-def: $sgpr6_sgpr7
	s_and_saveexec_b64 s[10:11], s[2:3]
	s_xor_b64 s[10:11], exec, s[10:11]
	s_cbranch_execz .LBB967_48
; %bb.47:
	v_add_u32_e32 v47, -4, v47
	ds_read_b32 v47, v47
	s_or_b64 s[58:59], s[58:59], exec
	s_waitcnt lgkmcnt(0)
	v_cmp_ne_u32_e32 vcc, v47, v16
	s_and_b64 s[6:7], vcc, exec
.LBB967_48:
	s_or_b64 exec, exec, s[10:11]
	s_mov_b32 s12, 1
	s_branch .LBB967_57
.LBB967_49:
	s_mul_hi_u32 s6, s4, 0xfffff100
	s_mulk_i32 s5, 0xf100
	s_sub_i32 s6, s6, s4
	s_add_i32 s6, s6, s5
	s_mulk_i32 s4, 0xf100
	s_add_u32 s48, s4, s48
	s_addc_u32 s49, s6, s49
	s_and_b64 vcc, exec, s[8:9]
	v_cmp_ne_u32_e64 s[30:31], v5, v1
	v_cmp_ne_u32_e64 s[28:29], v4, v5
	;; [unrolled: 1-line block ×14, first 2 shown]
	s_cbranch_vccz .LBB967_54
; %bb.50:
	global_load_dword v76, v[74:75], off offset:-4
	v_mov_b32_e32 v47, 0
	v_cmp_gt_u64_e32 vcc, s[48:49], v[46:47]
	v_mov_b32_e32 v73, v47
	s_and_b64 s[30:31], vcc, s[30:31]
	v_cmp_gt_u64_e32 vcc, s[48:49], v[72:73]
	v_mov_b32_e32 v71, v47
	s_and_b64 s[28:29], vcc, s[28:29]
	;; [unrolled: 3-line block ×13, first 2 shown]
	v_cmp_gt_u64_e32 vcc, s[48:49], v[48:49]
	v_lshlrev_b32_e32 v75, 2, v0
	v_mul_u32_u24_e32 v74, 15, v0
	s_and_b64 s[4:5], vcc, s[4:5]
	ds_write_b32 v75, v1
	s_waitcnt lgkmcnt(0)
	s_barrier
	s_and_saveexec_b64 s[58:59], s[2:3]
	s_cbranch_execz .LBB967_52
; %bb.51:
	v_add_u32_e32 v49, -4, v75
	s_waitcnt vmcnt(0)
	ds_read_b32 v76, v49
.LBB967_52:
	s_or_b64 exec, exec, s[58:59]
	v_mov_b32_e32 v75, v47
	v_cndmask_b32_e64 v97, 0, 1, s[4:5]
	v_cmp_gt_u64_e32 vcc, s[48:49], v[74:75]
	s_waitcnt vmcnt(0) lgkmcnt(0)
	v_cmp_ne_u32_e64 s[4:5], v76, v16
	v_cndmask_b32_e64 v84, 0, 1, s[30:31]
	v_cndmask_b32_e64 v85, 0, 1, s[28:29]
	;; [unrolled: 1-line block ×13, first 2 shown]
	s_and_b64 s[6:7], vcc, s[4:5]
	s_mov_b64 s[58:59], -1
.LBB967_53:
                                        ; implicit-def: $sgpr12
	v_mov_b32_e32 v82, s12
	s_and_saveexec_b64 s[2:3], s[58:59]
	s_cbranch_execnz .LBB967_58
	s_branch .LBB967_59
.LBB967_54:
                                        ; implicit-def: $sgpr6_sgpr7
                                        ; implicit-def: $vgpr84
                                        ; implicit-def: $vgpr85
                                        ; implicit-def: $vgpr86
                                        ; implicit-def: $vgpr87
                                        ; implicit-def: $vgpr88
                                        ; implicit-def: $vgpr89
                                        ; implicit-def: $vgpr90
                                        ; implicit-def: $vgpr91
                                        ; implicit-def: $vgpr92
                                        ; implicit-def: $vgpr93
                                        ; implicit-def: $vgpr94
                                        ; implicit-def: $vgpr95
                                        ; implicit-def: $vgpr96
                                        ; implicit-def: $vgpr97
	s_cbranch_execz .LBB967_53
; %bb.55:
	v_mov_b32_e32 v47, 0
	v_cmp_gt_u64_e32 vcc, s[48:49], v[46:47]
	v_cmp_ne_u32_e64 s[4:5], v5, v1
	s_and_b64 s[4:5], vcc, s[4:5]
	v_mov_b32_e32 v73, v47
	v_cndmask_b32_e64 v84, 0, 1, s[4:5]
	v_cmp_gt_u64_e32 vcc, s[48:49], v[72:73]
	v_cmp_ne_u32_e64 s[4:5], v4, v5
	s_and_b64 s[4:5], vcc, s[4:5]
	v_mov_b32_e32 v71, v47
	v_cndmask_b32_e64 v85, 0, 1, s[4:5]
	;; [unrolled: 5-line block ×13, first 2 shown]
	v_cmp_gt_u64_e32 vcc, s[48:49], v[48:49]
	v_cmp_ne_u32_e64 s[4:5], v16, v17
	s_and_b64 s[4:5], vcc, s[4:5]
	v_lshlrev_b32_e32 v74, 2, v0
	s_mov_b32 s12, 1
	v_cndmask_b32_e64 v97, 0, 1, s[4:5]
	ds_write_b32 v74, v1
	s_waitcnt lgkmcnt(0)
	s_barrier
	s_waitcnt lgkmcnt(0)
                                        ; implicit-def: $sgpr6_sgpr7
	s_and_saveexec_b64 s[4:5], s[2:3]
	s_cbranch_execz .LBB967_206
; %bb.56:
	v_add_u32_e32 v46, -4, v74
	ds_read_b32 v48, v46
	v_mul_u32_u24_e32 v46, 15, v0
	v_cmp_gt_u64_e32 vcc, s[48:49], v[46:47]
	s_or_b64 s[58:59], s[58:59], exec
	s_waitcnt lgkmcnt(0)
	v_cmp_ne_u32_e64 s[2:3], v48, v16
	s_and_b64 s[2:3], vcc, s[2:3]
	s_and_b64 s[6:7], s[2:3], exec
	s_or_b64 exec, exec, s[4:5]
.LBB967_57:
	v_mov_b32_e32 v82, s12
	s_and_saveexec_b64 s[2:3], s[58:59]
.LBB967_58:
	v_cndmask_b32_e64 v82, 0, 1, s[6:7]
.LBB967_59:
	s_or_b64 exec, exec, s[2:3]
	s_cmp_eq_u64 s[42:43], 0
	v_add3_u32 v46, v97, v82, v96
	s_cselect_b64 s[30:31], -1, 0
	s_cmp_lg_u32 s60, 0
	v_cmp_eq_u32_e64 s[26:27], 0, v97
	v_cmp_eq_u32_e64 s[24:25], 0, v96
	;; [unrolled: 1-line block ×3, first 2 shown]
	v_add3_u32 v99, v46, v95, v94
	v_cmp_eq_u32_e64 s[20:21], 0, v94
	v_cmp_eq_u32_e64 s[18:19], 0, v93
	;; [unrolled: 1-line block ×10, first 2 shown]
	v_cmp_eq_u32_e32 vcc, 0, v84
	v_mbcnt_lo_u32_b32 v98, -1, 0
	s_cbranch_scc0 .LBB967_126
; %bb.60:
	v_cndmask_b32_e64 v47, 0, v42, s[26:27]
	v_cndmask_b32_e64 v46, 0, v43, s[26:27]
	v_add_co_u32_e64 v47, s[28:29], v47, v40
	v_addc_co_u32_e64 v46, s[28:29], v46, v41, s[28:29]
	v_cndmask_b32_e64 v47, 0, v47, s[24:25]
	v_cndmask_b32_e64 v46, 0, v46, s[24:25]
	v_add_co_u32_e64 v47, s[28:29], v47, v38
	v_addc_co_u32_e64 v46, s[28:29], v46, v39, s[28:29]
	;; [unrolled: 4-line block ×11, first 2 shown]
	v_cndmask_b32_e64 v47, 0, v47, s[4:5]
	v_add3_u32 v48, v99, v93, v92
	v_cndmask_b32_e64 v46, 0, v46, s[4:5]
	v_add_co_u32_e64 v47, s[28:29], v47, v18
	v_add3_u32 v48, v48, v91, v90
	v_addc_co_u32_e64 v46, s[28:29], v46, v19, s[28:29]
	v_cndmask_b32_e64 v47, 0, v47, s[2:3]
	v_add3_u32 v48, v48, v89, v88
	v_cndmask_b32_e64 v46, 0, v46, s[2:3]
	v_add_co_u32_e64 v47, s[28:29], v47, v2
	v_add3_u32 v48, v48, v87, v86
	v_addc_co_u32_e64 v46, s[28:29], v46, v3, s[28:29]
	v_cndmask_b32_e32 v47, 0, v47, vcc
	v_add3_u32 v50, v48, v85, v84
	v_cndmask_b32_e32 v46, 0, v46, vcc
	v_add_co_u32_e32 v48, vcc, v47, v44
	v_mbcnt_hi_u32_b32 v51, -1, v98
	v_addc_co_u32_e32 v49, vcc, v46, v45, vcc
	v_and_b32_e32 v46, 15, v51
	v_mov_b32_dpp v52, v50 row_shr:1 row_mask:0xf bank_mask:0xf
	v_mov_b32_dpp v47, v48 row_shr:1 row_mask:0xf bank_mask:0xf
	;; [unrolled: 1-line block ×3, first 2 shown]
	v_cmp_ne_u32_e32 vcc, 0, v46
	s_and_saveexec_b64 s[28:29], vcc
; %bb.61:
	v_cmp_eq_u32_e32 vcc, 0, v50
	v_cndmask_b32_e32 v47, 0, v47, vcc
	v_add_u32_e32 v52, v52, v50
	v_cndmask_b32_e32 v50, 0, v53, vcc
	v_add_co_u32_e32 v48, vcc, v47, v48
	v_addc_co_u32_e32 v49, vcc, v50, v49, vcc
	v_mov_b32_e32 v50, v52
; %bb.62:
	s_or_b64 exec, exec, s[28:29]
	s_nop 0
	v_mov_b32_dpp v52, v50 row_shr:2 row_mask:0xf bank_mask:0xf
	v_mov_b32_dpp v47, v48 row_shr:2 row_mask:0xf bank_mask:0xf
	v_mov_b32_dpp v53, v49 row_shr:2 row_mask:0xf bank_mask:0xf
	v_cmp_lt_u32_e32 vcc, 1, v46
	s_and_saveexec_b64 s[28:29], vcc
; %bb.63:
	v_cmp_eq_u32_e32 vcc, 0, v50
	v_cndmask_b32_e32 v47, 0, v47, vcc
	v_add_u32_e32 v52, v52, v50
	v_cndmask_b32_e32 v50, 0, v53, vcc
	v_add_co_u32_e32 v48, vcc, v47, v48
	v_addc_co_u32_e32 v49, vcc, v50, v49, vcc
	v_mov_b32_e32 v50, v52
; %bb.64:
	s_or_b64 exec, exec, s[28:29]
	s_nop 0
	v_mov_b32_dpp v52, v50 row_shr:4 row_mask:0xf bank_mask:0xf
	v_mov_b32_dpp v47, v48 row_shr:4 row_mask:0xf bank_mask:0xf
	v_mov_b32_dpp v53, v49 row_shr:4 row_mask:0xf bank_mask:0xf
	v_cmp_lt_u32_e32 vcc, 3, v46
	;; [unrolled: 16-line block ×3, first 2 shown]
	s_and_saveexec_b64 s[28:29], vcc
; %bb.67:
	v_cmp_eq_u32_e32 vcc, 0, v50
	v_cndmask_b32_e32 v47, 0, v47, vcc
	v_add_u32_e32 v46, v52, v50
	v_cndmask_b32_e32 v50, 0, v53, vcc
	v_add_co_u32_e32 v48, vcc, v47, v48
	v_addc_co_u32_e32 v49, vcc, v50, v49, vcc
	v_mov_b32_e32 v50, v46
; %bb.68:
	s_or_b64 exec, exec, s[28:29]
	v_and_b32_e32 v53, 16, v51
	v_mov_b32_dpp v47, v50 row_bcast:15 row_mask:0xf bank_mask:0xf
	v_mov_b32_dpp v46, v48 row_bcast:15 row_mask:0xf bank_mask:0xf
	;; [unrolled: 1-line block ×3, first 2 shown]
	v_cmp_ne_u32_e32 vcc, 0, v53
	s_and_saveexec_b64 s[28:29], vcc
; %bb.69:
	v_cmp_eq_u32_e32 vcc, 0, v50
	v_cndmask_b32_e32 v46, 0, v46, vcc
	v_add_u32_e32 v47, v47, v50
	v_cndmask_b32_e32 v50, 0, v52, vcc
	v_add_co_u32_e32 v48, vcc, v46, v48
	v_addc_co_u32_e32 v49, vcc, v50, v49, vcc
	v_mov_b32_e32 v50, v47
; %bb.70:
	s_or_b64 exec, exec, s[28:29]
	s_nop 0
	v_mov_b32_dpp v47, v50 row_bcast:31 row_mask:0xf bank_mask:0xf
	v_mov_b32_dpp v46, v48 row_bcast:31 row_mask:0xf bank_mask:0xf
	;; [unrolled: 1-line block ×3, first 2 shown]
	v_cmp_lt_u32_e32 vcc, 31, v51
	s_and_saveexec_b64 s[28:29], vcc
; %bb.71:
	v_cmp_eq_u32_e32 vcc, 0, v50
	v_cndmask_b32_e32 v46, 0, v46, vcc
	v_add_u32_e32 v47, v47, v50
	v_cndmask_b32_e32 v50, 0, v52, vcc
	v_add_co_u32_e32 v48, vcc, v46, v48
	v_addc_co_u32_e32 v49, vcc, v50, v49, vcc
	v_mov_b32_e32 v50, v47
; %bb.72:
	s_or_b64 exec, exec, s[28:29]
	v_lshrrev_b32_e32 v46, 6, v0
	v_or_b32_e32 v47, 63, v0
	v_cmp_eq_u32_e32 vcc, v47, v0
	v_lshlrev_b32_e32 v52, 4, v46
	s_and_saveexec_b64 s[28:29], vcc
	s_cbranch_execz .LBB967_74
; %bb.73:
	ds_write_b32 v52, v50 offset:2080
	ds_write_b64 v52, v[48:49] offset:2088
.LBB967_74:
	s_or_b64 exec, exec, s[28:29]
	v_cmp_gt_u32_e32 vcc, 4, v0
	s_waitcnt lgkmcnt(0)
	s_barrier
	s_and_saveexec_b64 s[28:29], vcc
	s_cbranch_execz .LBB967_80
; %bb.75:
	v_lshlrev_b32_e32 v53, 4, v0
	ds_read_b32 v54, v53 offset:2080
	ds_read_b64 v[46:47], v53 offset:2088
	v_and_b32_e32 v55, 3, v51
	v_cmp_ne_u32_e32 vcc, 0, v55
	s_waitcnt lgkmcnt(1)
	v_mov_b32_dpp v57, v54 row_shr:1 row_mask:0xf bank_mask:0xf
	s_waitcnt lgkmcnt(0)
	v_mov_b32_dpp v56, v46 row_shr:1 row_mask:0xf bank_mask:0xf
	v_mov_b32_dpp v58, v47 row_shr:1 row_mask:0xf bank_mask:0xf
	s_and_saveexec_b64 s[42:43], vcc
; %bb.76:
	v_cmp_eq_u32_e32 vcc, 0, v54
	v_cndmask_b32_e32 v56, 0, v56, vcc
	v_add_u32_e32 v57, v57, v54
	v_cndmask_b32_e32 v54, 0, v58, vcc
	v_add_co_u32_e32 v46, vcc, v56, v46
	v_addc_co_u32_e32 v47, vcc, v54, v47, vcc
	v_mov_b32_e32 v54, v57
; %bb.77:
	s_or_b64 exec, exec, s[42:43]
	s_nop 0
	v_mov_b32_dpp v57, v54 row_shr:2 row_mask:0xf bank_mask:0xf
	v_mov_b32_dpp v56, v46 row_shr:2 row_mask:0xf bank_mask:0xf
	;; [unrolled: 1-line block ×3, first 2 shown]
	v_cmp_lt_u32_e32 vcc, 1, v55
	s_and_saveexec_b64 s[42:43], vcc
; %bb.78:
	v_cmp_eq_u32_e32 vcc, 0, v54
	v_cndmask_b32_e32 v56, 0, v56, vcc
	v_add_u32_e32 v55, v57, v54
	v_cndmask_b32_e32 v54, 0, v58, vcc
	v_add_co_u32_e32 v46, vcc, v56, v46
	v_addc_co_u32_e32 v47, vcc, v54, v47, vcc
	v_mov_b32_e32 v54, v55
; %bb.79:
	s_or_b64 exec, exec, s[42:43]
	ds_write_b32 v53, v54 offset:2080
	ds_write_b64 v53, v[46:47] offset:2088
.LBB967_80:
	s_or_b64 exec, exec, s[28:29]
	v_cmp_gt_u32_e32 vcc, 64, v0
	v_cmp_lt_u32_e64 s[28:29], 63, v0
	v_pk_mov_b32 v[46:47], 0, 0
	v_mov_b32_e32 v58, 0
	s_waitcnt lgkmcnt(0)
	s_barrier
	s_and_saveexec_b64 s[42:43], s[28:29]
	s_cbranch_execz .LBB967_82
; %bb.81:
	ds_read_b32 v58, v52 offset:2064
	ds_read_b64 v[46:47], v52 offset:2072
	v_cmp_eq_u32_e64 s[28:29], 0, v50
	s_waitcnt lgkmcnt(1)
	v_add_u32_e32 v52, v58, v50
	s_waitcnt lgkmcnt(0)
	v_cndmask_b32_e64 v53, 0, v46, s[28:29]
	v_cndmask_b32_e64 v50, 0, v47, s[28:29]
	v_add_co_u32_e64 v48, s[28:29], v53, v48
	v_addc_co_u32_e64 v49, s[28:29], v50, v49, s[28:29]
	v_mov_b32_e32 v50, v52
.LBB967_82:
	s_or_b64 exec, exec, s[42:43]
	v_add_u32_e32 v52, -1, v51
	v_and_b32_e32 v53, 64, v51
	v_cmp_lt_i32_e64 s[28:29], v52, v53
	v_cndmask_b32_e64 v52, v52, v51, s[28:29]
	v_lshlrev_b32_e32 v52, 2, v52
	ds_bpermute_b32 v59, v52, v50
	ds_bpermute_b32 v60, v52, v48
	;; [unrolled: 1-line block ×3, first 2 shown]
	v_cmp_eq_u32_e64 s[28:29], 0, v51
	s_and_saveexec_b64 s[42:43], vcc
	s_cbranch_execz .LBB967_125
; %bb.83:
	v_mov_b32_e32 v53, 0
	ds_read_b32 v62, v53 offset:2128
	ds_read_b64 v[48:49], v53 offset:2136
	s_and_saveexec_b64 s[48:49], s[28:29]
	s_cbranch_execz .LBB967_85
; %bb.84:
	s_add_i32 s58, s60, 64
	s_mov_b32 s59, 0
	s_lshl_b64 s[62:63], s[58:59], 4
	s_add_u32 s62, s36, s62
	s_addc_u32 s63, s37, s63
	v_mov_b32_e32 v50, s58
	v_mov_b32_e32 v52, 1
	s_waitcnt lgkmcnt(1)
	global_store_dword v53, v62, s[62:63]
	s_waitcnt lgkmcnt(0)
	global_store_dwordx2 v53, v[48:49], s[62:63] offset:8
	s_waitcnt vmcnt(0)
	buffer_wbinvl1_vol
	global_store_byte v50, v52, s[40:41]
.LBB967_85:
	s_or_b64 exec, exec, s[48:49]
	v_xad_u32 v50, v51, -1, s60
	v_add_u32_e32 v52, 64, v50
	global_load_ubyte v63, v52, s[40:41] glc
	s_waitcnt vmcnt(0)
	v_cmp_eq_u16_e32 vcc, 0, v63
	s_and_saveexec_b64 s[48:49], vcc
	s_cbranch_execz .LBB967_89
; %bb.86:
	v_mov_b32_e32 v55, s41
	v_add_co_u32_e32 v54, vcc, s40, v52
	v_addc_co_u32_e32 v55, vcc, 0, v55, vcc
	s_mov_b64 s[58:59], 0
.LBB967_87:                             ; =>This Inner Loop Header: Depth=1
	global_load_ubyte v63, v[54:55], off glc
	s_waitcnt vmcnt(0)
	v_cmp_ne_u16_e32 vcc, 0, v63
	s_or_b64 s[58:59], vcc, s[58:59]
	s_andn2_b64 exec, exec, s[58:59]
	s_cbranch_execnz .LBB967_87
; %bb.88:
	s_or_b64 exec, exec, s[58:59]
.LBB967_89:
	s_or_b64 exec, exec, s[48:49]
	v_mov_b32_e32 v54, s39
	v_mov_b32_e32 v55, s37
	v_cmp_eq_u16_e32 vcc, 1, v63
	v_cndmask_b32_e32 v54, v54, v55, vcc
	v_mov_b32_e32 v55, s38
	v_mov_b32_e32 v56, s36
	v_cndmask_b32_e32 v55, v55, v56, vcc
	v_lshlrev_b64 v[52:53], 4, v[52:53]
	v_add_co_u32_e32 v52, vcc, v55, v52
	v_addc_co_u32_e32 v53, vcc, v54, v53, vcc
	s_waitcnt lgkmcnt(0)
	buffer_wbinvl1_vol
	global_load_dword v78, v[52:53], off
	global_load_dwordx2 v[56:57], v[52:53], off offset:8
	v_cmp_eq_u16_e32 vcc, 2, v63
	v_lshlrev_b64 v[52:53], v51, -1
	v_and_b32_e32 v64, 63, v51
	v_and_b32_e32 v54, vcc_hi, v53
	v_and_b32_e32 v68, vcc_lo, v52
	v_cmp_ne_u32_e32 vcc, 63, v64
	v_addc_co_u32_e32 v55, vcc, 0, v51, vcc
	v_lshlrev_b32_e32 v65, 2, v55
	v_or_b32_e32 v54, 0x80000000, v54
	v_ffbl_b32_e32 v54, v54
	v_add_u32_e32 v54, 32, v54
	v_ffbl_b32_e32 v68, v68
	v_min_u32_e32 v54, v68, v54
	v_cmp_lt_u32_e32 vcc, v64, v54
	s_waitcnt vmcnt(1)
	ds_bpermute_b32 v66, v65, v78
	s_waitcnt vmcnt(0)
	ds_bpermute_b32 v55, v65, v56
	ds_bpermute_b32 v67, v65, v57
	s_and_saveexec_b64 s[48:49], vcc
	s_cbranch_execz .LBB967_91
; %bb.90:
	v_cmp_eq_u32_e32 vcc, 0, v78
	s_waitcnt lgkmcnt(1)
	v_cndmask_b32_e32 v55, 0, v55, vcc
	v_add_u32_e32 v66, v66, v78
	s_waitcnt lgkmcnt(0)
	v_cndmask_b32_e32 v67, 0, v67, vcc
	v_add_co_u32_e32 v56, vcc, v55, v56
	v_addc_co_u32_e32 v57, vcc, v67, v57, vcc
	v_mov_b32_e32 v78, v66
.LBB967_91:
	s_or_b64 exec, exec, s[48:49]
	v_cmp_gt_u32_e32 vcc, 62, v64
	s_waitcnt lgkmcnt(1)
	v_cndmask_b32_e64 v55, 0, 1, vcc
	v_lshlrev_b32_e32 v55, 1, v55
	v_add_lshl_u32 v66, v55, v51, 2
	ds_bpermute_b32 v68, v66, v78
	ds_bpermute_b32 v55, v66, v56
	ds_bpermute_b32 v69, v66, v57
	s_waitcnt lgkmcnt(3)
	v_add_u32_e32 v67, 2, v64
	v_cmp_le_u32_e32 vcc, v67, v54
	s_and_saveexec_b64 s[48:49], vcc
	s_cbranch_execz .LBB967_93
; %bb.92:
	v_cmp_eq_u32_e32 vcc, 0, v78
	s_waitcnt lgkmcnt(1)
	v_cndmask_b32_e32 v55, 0, v55, vcc
	v_add_u32_e32 v68, v68, v78
	s_waitcnt lgkmcnt(0)
	v_cndmask_b32_e32 v69, 0, v69, vcc
	v_add_co_u32_e32 v56, vcc, v55, v56
	v_addc_co_u32_e32 v57, vcc, v69, v57, vcc
	v_mov_b32_e32 v78, v68
.LBB967_93:
	s_or_b64 exec, exec, s[48:49]
	v_cmp_gt_u32_e32 vcc, 60, v64
	s_waitcnt lgkmcnt(1)
	v_cndmask_b32_e64 v55, 0, 1, vcc
	v_lshlrev_b32_e32 v55, 2, v55
	v_add_lshl_u32 v68, v55, v51, 2
	ds_bpermute_b32 v70, v68, v78
	ds_bpermute_b32 v55, v68, v56
	ds_bpermute_b32 v71, v68, v57
	s_waitcnt lgkmcnt(3)
	v_add_u32_e32 v69, 4, v64
	v_cmp_le_u32_e32 vcc, v69, v54
	;; [unrolled: 25-line block ×4, first 2 shown]
	s_and_saveexec_b64 s[48:49], vcc
	s_cbranch_execz .LBB967_99
; %bb.98:
	v_cmp_eq_u32_e32 vcc, 0, v78
	s_waitcnt lgkmcnt(1)
	v_cndmask_b32_e32 v55, 0, v55, vcc
	v_add_u32_e32 v74, v74, v78
	s_waitcnt lgkmcnt(0)
	v_cndmask_b32_e32 v75, 0, v75, vcc
	v_add_co_u32_e32 v56, vcc, v55, v56
	v_addc_co_u32_e32 v57, vcc, v75, v57, vcc
	v_mov_b32_e32 v78, v74
.LBB967_99:
	s_or_b64 exec, exec, s[48:49]
	v_cmp_gt_u32_e32 vcc, 32, v64
	s_waitcnt lgkmcnt(1)
	v_cndmask_b32_e64 v55, 0, 1, vcc
	v_lshlrev_b32_e32 v55, 5, v55
	v_add_lshl_u32 v74, v55, v51, 2
	ds_bpermute_b32 v55, v74, v78
	ds_bpermute_b32 v51, v74, v56
	s_waitcnt lgkmcnt(2)
	ds_bpermute_b32 v75, v74, v57
	v_add_u32_e32 v76, 32, v64
	v_cmp_le_u32_e32 vcc, v76, v54
	s_and_saveexec_b64 s[48:49], vcc
	s_cbranch_execz .LBB967_101
; %bb.100:
	v_cmp_eq_u32_e32 vcc, 0, v78
	s_waitcnt lgkmcnt(1)
	v_cndmask_b32_e32 v51, 0, v51, vcc
	v_add_u32_e32 v54, v55, v78
	s_waitcnt lgkmcnt(0)
	v_cndmask_b32_e32 v55, 0, v75, vcc
	v_add_co_u32_e32 v56, vcc, v51, v56
	v_addc_co_u32_e32 v57, vcc, v55, v57, vcc
	v_mov_b32_e32 v78, v54
.LBB967_101:
	s_or_b64 exec, exec, s[48:49]
	s_waitcnt lgkmcnt(1)
	v_mov_b32_e32 v51, 0
	v_mov_b32_e32 v77, 2
	s_branch .LBB967_103
.LBB967_102:                            ;   in Loop: Header=BB967_103 Depth=1
	s_or_b64 exec, exec, s[48:49]
	v_cmp_eq_u32_e32 vcc, 0, v75
	v_cndmask_b32_e32 v56, 0, v56, vcc
	v_cndmask_b32_e32 v57, 0, v57, vcc
	v_add_co_u32_e32 v56, vcc, v56, v54
	v_subrev_u32_e32 v50, 64, v50
	v_add_u32_e32 v78, v79, v75
	v_addc_co_u32_e32 v57, vcc, v57, v55, vcc
.LBB967_103:                            ; =>This Loop Header: Depth=1
                                        ;     Child Loop BB967_106 Depth 2
	v_cmp_ne_u16_sdwa s[48:49], v63, v77 src0_sel:BYTE_0 src1_sel:DWORD
	v_pk_mov_b32 v[54:55], v[56:57], v[56:57] op_sel:[0,1]
	v_cndmask_b32_e64 v56, 0, 1, s[48:49]
	;;#ASMSTART
	;;#ASMEND
	v_cmp_ne_u32_e32 vcc, 0, v56
	s_cmp_lg_u64 vcc, exec
	s_waitcnt lgkmcnt(0)
	v_mov_b32_e32 v75, v78
	s_cbranch_scc1 .LBB967_120
; %bb.104:                              ;   in Loop: Header=BB967_103 Depth=1
	global_load_ubyte v63, v50, s[40:41] glc
	s_waitcnt vmcnt(0)
	v_cmp_eq_u16_e32 vcc, 0, v63
	s_and_saveexec_b64 s[48:49], vcc
	s_cbranch_execz .LBB967_108
; %bb.105:                              ;   in Loop: Header=BB967_103 Depth=1
	v_mov_b32_e32 v57, s41
	v_add_co_u32_e32 v56, vcc, s40, v50
	v_addc_co_u32_e32 v57, vcc, 0, v57, vcc
	s_mov_b64 s[58:59], 0
.LBB967_106:                            ;   Parent Loop BB967_103 Depth=1
                                        ; =>  This Inner Loop Header: Depth=2
	global_load_ubyte v63, v[56:57], off glc
	s_waitcnt vmcnt(0)
	v_cmp_ne_u16_e32 vcc, 0, v63
	s_or_b64 s[58:59], vcc, s[58:59]
	s_andn2_b64 exec, exec, s[58:59]
	s_cbranch_execnz .LBB967_106
; %bb.107:                              ;   in Loop: Header=BB967_103 Depth=1
	s_or_b64 exec, exec, s[58:59]
.LBB967_108:                            ;   in Loop: Header=BB967_103 Depth=1
	s_or_b64 exec, exec, s[48:49]
	v_mov_b32_e32 v56, s39
	v_mov_b32_e32 v57, s37
	v_cmp_eq_u16_e32 vcc, 1, v63
	v_cndmask_b32_e32 v78, v56, v57, vcc
	v_mov_b32_e32 v56, s38
	v_mov_b32_e32 v57, s36
	v_cndmask_b32_e32 v79, v56, v57, vcc
	v_lshlrev_b64 v[56:57], 4, v[50:51]
	v_add_co_u32_e32 v56, vcc, v79, v56
	v_addc_co_u32_e32 v57, vcc, v78, v57, vcc
	buffer_wbinvl1_vol
	global_load_dword v79, v[56:57], off
	s_nop 0
	global_load_dwordx2 v[56:57], v[56:57], off offset:8
	v_cmp_eq_u16_e32 vcc, 2, v63
	v_and_b32_e32 v78, vcc_hi, v53
	v_or_b32_e32 v78, 0x80000000, v78
	v_and_b32_e32 v100, vcc_lo, v52
	v_ffbl_b32_e32 v78, v78
	v_add_u32_e32 v78, 32, v78
	v_ffbl_b32_e32 v100, v100
	v_min_u32_e32 v78, v100, v78
	v_cmp_lt_u32_e32 vcc, v64, v78
	s_waitcnt vmcnt(1)
	ds_bpermute_b32 v81, v65, v79
	s_waitcnt vmcnt(0)
	ds_bpermute_b32 v80, v65, v56
	ds_bpermute_b32 v83, v65, v57
	s_and_saveexec_b64 s[48:49], vcc
	s_cbranch_execz .LBB967_110
; %bb.109:                              ;   in Loop: Header=BB967_103 Depth=1
	v_cmp_eq_u32_e32 vcc, 0, v79
	s_waitcnt lgkmcnt(1)
	v_cndmask_b32_e32 v80, 0, v80, vcc
	v_add_u32_e32 v81, v81, v79
	s_waitcnt lgkmcnt(0)
	v_cndmask_b32_e32 v79, 0, v83, vcc
	v_add_co_u32_e32 v56, vcc, v80, v56
	v_addc_co_u32_e32 v57, vcc, v79, v57, vcc
	v_mov_b32_e32 v79, v81
.LBB967_110:                            ;   in Loop: Header=BB967_103 Depth=1
	s_or_b64 exec, exec, s[48:49]
	s_waitcnt lgkmcnt(2)
	ds_bpermute_b32 v81, v66, v79
	s_waitcnt lgkmcnt(2)
	ds_bpermute_b32 v80, v66, v56
	s_waitcnt lgkmcnt(2)
	ds_bpermute_b32 v83, v66, v57
	v_cmp_le_u32_e32 vcc, v67, v78
	s_and_saveexec_b64 s[48:49], vcc
	s_cbranch_execz .LBB967_112
; %bb.111:                              ;   in Loop: Header=BB967_103 Depth=1
	v_cmp_eq_u32_e32 vcc, 0, v79
	s_waitcnt lgkmcnt(1)
	v_cndmask_b32_e32 v80, 0, v80, vcc
	v_add_u32_e32 v81, v81, v79
	s_waitcnt lgkmcnt(0)
	v_cndmask_b32_e32 v79, 0, v83, vcc
	v_add_co_u32_e32 v56, vcc, v80, v56
	v_addc_co_u32_e32 v57, vcc, v79, v57, vcc
	v_mov_b32_e32 v79, v81
.LBB967_112:                            ;   in Loop: Header=BB967_103 Depth=1
	s_or_b64 exec, exec, s[48:49]
	s_waitcnt lgkmcnt(2)
	ds_bpermute_b32 v81, v68, v79
	s_waitcnt lgkmcnt(2)
	ds_bpermute_b32 v80, v68, v56
	s_waitcnt lgkmcnt(2)
	ds_bpermute_b32 v83, v68, v57
	v_cmp_le_u32_e32 vcc, v69, v78
	;; [unrolled: 21-line block ×5, first 2 shown]
	s_and_saveexec_b64 s[48:49], vcc
	s_cbranch_execz .LBB967_102
; %bb.119:                              ;   in Loop: Header=BB967_103 Depth=1
	v_cmp_eq_u32_e32 vcc, 0, v79
	s_waitcnt lgkmcnt(1)
	v_cndmask_b32_e32 v80, 0, v80, vcc
	v_add_u32_e32 v78, v81, v79
	s_waitcnt lgkmcnt(0)
	v_cndmask_b32_e32 v79, 0, v83, vcc
	v_add_co_u32_e32 v56, vcc, v80, v56
	v_addc_co_u32_e32 v57, vcc, v79, v57, vcc
	v_mov_b32_e32 v79, v78
	s_branch .LBB967_102
.LBB967_120:                            ;   in Loop: Header=BB967_103 Depth=1
                                        ; implicit-def: $vgpr56_vgpr57
                                        ; implicit-def: $vgpr78
                                        ; implicit-def: $vgpr63
	s_cbranch_execz .LBB967_103
; %bb.121:
	s_and_saveexec_b64 s[36:37], s[28:29]
	s_cbranch_execz .LBB967_123
; %bb.122:
	s_mov_b32 s49, 0
	v_cmp_eq_u32_e32 vcc, 0, v62
	s_add_i32 s48, s60, 64
	v_cndmask_b32_e32 v50, 0, v54, vcc
	s_lshl_b64 s[58:59], s[48:49], 4
	v_cndmask_b32_e32 v51, 0, v55, vcc
	v_add_co_u32_e32 v50, vcc, v50, v48
	s_add_u32 s58, s38, s58
	v_add_u32_e32 v52, v75, v62
	v_addc_co_u32_e32 v51, vcc, v51, v49, vcc
	s_addc_u32 s59, s39, s59
	v_mov_b32_e32 v53, 0
	global_store_dword v53, v52, s[58:59]
	global_store_dwordx2 v53, v[50:51], s[58:59] offset:8
	v_mov_b32_e32 v50, s48
	v_mov_b32_e32 v51, 2
	s_waitcnt vmcnt(0) lgkmcnt(0)
	buffer_wbinvl1_vol
	global_store_byte v50, v51, s[40:41]
	ds_write_b32 v53, v62 offset:2048
	ds_write_b64 v53, v[48:49] offset:2056
	ds_write_b32 v53, v75 offset:2064
	ds_write_b64 v53, v[54:55] offset:2072
.LBB967_123:
	s_or_b64 exec, exec, s[36:37]
	s_and_b64 exec, exec, s[0:1]
	s_cbranch_execz .LBB967_125
; %bb.124:
	v_mov_b32_e32 v48, 0
	ds_write_b32 v48, v75 offset:2128
	ds_write_b64 v48, v[54:55] offset:2136
.LBB967_125:
	s_or_b64 exec, exec, s[42:43]
	v_mov_b32_e32 v51, 0
	s_waitcnt lgkmcnt(0)
	s_barrier
	ds_read_b32 v50, v51 offset:2128
	ds_read_b64 v[48:49], v51 offset:2136
	v_cndmask_b32_e64 v52, v59, v58, s[28:29]
	v_cmp_eq_u32_e32 vcc, 0, v52
	v_cndmask_b32_e64 v46, v60, v46, s[28:29]
	v_cndmask_b32_e64 v47, v61, v47, s[28:29]
	s_waitcnt lgkmcnt(0)
	v_cndmask_b32_e32 v54, 0, v48, vcc
	v_cndmask_b32_e32 v53, 0, v49, vcc
	v_add_co_u32_e32 v46, vcc, v54, v46
	v_addc_co_u32_e32 v47, vcc, v53, v47, vcc
	v_cndmask_b32_e64 v76, v46, v48, s[0:1]
	v_cmp_eq_u32_e32 vcc, 0, v82
	v_cndmask_b32_e64 v52, v52, 0, s[0:1]
	v_cndmask_b32_e64 v77, v47, v49, s[0:1]
	v_cndmask_b32_e32 v47, 0, v76, vcc
	v_add_u32_e32 v83, v50, v52
	v_cndmask_b32_e32 v46, 0, v77, vcc
	v_add_co_u32_e32 v52, vcc, v47, v42
	v_addc_co_u32_e32 v53, vcc, v46, v43, vcc
	v_cndmask_b32_e64 v47, 0, v52, s[26:27]
	v_cndmask_b32_e64 v46, 0, v53, s[26:27]
	v_add_co_u32_e32 v54, vcc, v47, v40
	v_addc_co_u32_e32 v55, vcc, v46, v41, vcc
	v_cndmask_b32_e64 v47, 0, v54, s[24:25]
	v_cndmask_b32_e64 v46, 0, v55, s[24:25]
	;; [unrolled: 4-line block ×11, first 2 shown]
	v_add_co_u32_e32 v74, vcc, v47, v20
	v_addc_co_u32_e32 v75, vcc, v46, v21, vcc
	s_barrier
	ds_read_b32 v46, v51 offset:2048
	ds_read_b64 v[48:49], v51 offset:2056
	ds_read_b32 v50, v51 offset:2064
	ds_read_b64 v[100:101], v51 offset:2072
	v_cndmask_b32_e64 v78, 0, v74, s[4:5]
	v_cndmask_b32_e64 v47, 0, v75, s[4:5]
	v_add_co_u32_e32 v78, vcc, v78, v18
	v_addc_co_u32_e32 v79, vcc, v47, v19, vcc
	s_waitcnt lgkmcnt(3)
	v_cmp_eq_u32_e32 vcc, 0, v46
	s_waitcnt lgkmcnt(0)
	v_cndmask_b32_e32 v51, 0, v100, vcc
	v_cndmask_b32_e32 v47, 0, v101, vcc
	v_add_co_u32_e32 v48, vcc, v51, v48
	v_cndmask_b32_e64 v81, 0, v79, s[2:3]
	v_cndmask_b32_e64 v80, 0, v78, s[2:3]
	v_addc_co_u32_e32 v49, vcc, v47, v49, vcc
	s_branch .LBB967_154
.LBB967_126:
                                        ; implicit-def: $vgpr46
                                        ; implicit-def: $vgpr48_vgpr49
                                        ; implicit-def: $vgpr50
                                        ; implicit-def: $vgpr76_vgpr77
                                        ; implicit-def: $vgpr52_vgpr53
                                        ; implicit-def: $vgpr54_vgpr55
                                        ; implicit-def: $vgpr56_vgpr57
                                        ; implicit-def: $vgpr58_vgpr59
                                        ; implicit-def: $vgpr60_vgpr61
                                        ; implicit-def: $vgpr62_vgpr63
                                        ; implicit-def: $vgpr64_vgpr65
                                        ; implicit-def: $vgpr66_vgpr67
                                        ; implicit-def: $vgpr68_vgpr69
                                        ; implicit-def: $vgpr70_vgpr71
                                        ; implicit-def: $vgpr72_vgpr73
                                        ; implicit-def: $vgpr74_vgpr75
                                        ; implicit-def: $vgpr78_vgpr79
                                        ; implicit-def: $vgpr80_vgpr81
                                        ; implicit-def: $vgpr83
	s_cbranch_execz .LBB967_154
; %bb.127:
	s_and_b64 s[2:3], s[30:31], exec
	s_cselect_b32 s3, 0, s35
	s_cselect_b32 s2, 0, s34
	s_cmp_eq_u64 s[2:3], 0
	v_pk_mov_b32 v[50:51], v[42:43], v[42:43] op_sel:[0,1]
	s_cbranch_scc1 .LBB967_129
; %bb.128:
	v_mov_b32_e32 v46, 0
	global_load_dwordx2 v[50:51], v46, s[2:3]
.LBB967_129:
	v_cmp_eq_u32_e64 s[24:25], 0, v97
	v_cndmask_b32_e64 v47, 0, v42, s[24:25]
	v_cndmask_b32_e64 v46, 0, v43, s[24:25]
	v_add_co_u32_e32 v47, vcc, v47, v40
	v_cmp_eq_u32_e64 s[22:23], 0, v96
	v_addc_co_u32_e32 v46, vcc, v46, v41, vcc
	v_cndmask_b32_e64 v47, 0, v47, s[22:23]
	v_cndmask_b32_e64 v46, 0, v46, s[22:23]
	v_add_co_u32_e32 v47, vcc, v47, v38
	v_cmp_eq_u32_e64 s[20:21], 0, v95
	v_addc_co_u32_e32 v46, vcc, v46, v39, vcc
	;; [unrolled: 5-line block ×11, first 2 shown]
	v_cndmask_b32_e64 v47, 0, v47, s[4:5]
	v_cndmask_b32_e64 v46, 0, v46, s[4:5]
	v_add_co_u32_e32 v47, vcc, v47, v18
	v_addc_co_u32_e32 v46, vcc, v46, v19, vcc
	v_cmp_eq_u32_e32 vcc, 0, v85
	v_cndmask_b32_e32 v47, 0, v47, vcc
	v_add3_u32 v48, v99, v93, v92
	v_cndmask_b32_e32 v46, 0, v46, vcc
	v_add_co_u32_e64 v47, s[26:27], v47, v2
	v_add3_u32 v48, v48, v91, v90
	v_addc_co_u32_e64 v46, s[26:27], v46, v3, s[26:27]
	v_add3_u32 v48, v48, v89, v88
	v_cmp_eq_u32_e64 s[26:27], 0, v84
	v_add3_u32 v48, v48, v87, v86
	v_cndmask_b32_e64 v47, 0, v47, s[26:27]
	v_add3_u32 v49, v48, v85, v84
	v_cndmask_b32_e64 v46, 0, v46, s[26:27]
	v_add_co_u32_e64 v44, s[26:27], v47, v44
	v_mbcnt_hi_u32_b32 v48, -1, v98
	v_addc_co_u32_e64 v45, s[26:27], v46, v45, s[26:27]
	v_and_b32_e32 v46, 15, v48
	v_mov_b32_dpp v52, v49 row_shr:1 row_mask:0xf bank_mask:0xf
	v_mov_b32_dpp v47, v44 row_shr:1 row_mask:0xf bank_mask:0xf
	;; [unrolled: 1-line block ×3, first 2 shown]
	v_cmp_ne_u32_e64 s[26:27], 0, v46
	s_and_saveexec_b64 s[28:29], s[26:27]
; %bb.130:
	v_cmp_eq_u32_e64 s[26:27], 0, v49
	v_cndmask_b32_e64 v47, 0, v47, s[26:27]
	v_add_u32_e32 v52, v52, v49
	v_cndmask_b32_e64 v49, 0, v53, s[26:27]
	v_add_co_u32_e64 v44, s[26:27], v47, v44
	v_addc_co_u32_e64 v45, s[26:27], v49, v45, s[26:27]
	v_mov_b32_e32 v49, v52
; %bb.131:
	s_or_b64 exec, exec, s[28:29]
	s_nop 0
	v_mov_b32_dpp v52, v49 row_shr:2 row_mask:0xf bank_mask:0xf
	v_mov_b32_dpp v47, v44 row_shr:2 row_mask:0xf bank_mask:0xf
	v_mov_b32_dpp v53, v45 row_shr:2 row_mask:0xf bank_mask:0xf
	v_cmp_lt_u32_e64 s[26:27], 1, v46
	s_and_saveexec_b64 s[28:29], s[26:27]
; %bb.132:
	v_cmp_eq_u32_e64 s[26:27], 0, v49
	v_cndmask_b32_e64 v47, 0, v47, s[26:27]
	v_add_u32_e32 v52, v52, v49
	v_cndmask_b32_e64 v49, 0, v53, s[26:27]
	v_add_co_u32_e64 v44, s[26:27], v47, v44
	v_addc_co_u32_e64 v45, s[26:27], v49, v45, s[26:27]
	v_mov_b32_e32 v49, v52
; %bb.133:
	s_or_b64 exec, exec, s[28:29]
	s_nop 0
	v_mov_b32_dpp v52, v49 row_shr:4 row_mask:0xf bank_mask:0xf
	v_mov_b32_dpp v47, v44 row_shr:4 row_mask:0xf bank_mask:0xf
	v_mov_b32_dpp v53, v45 row_shr:4 row_mask:0xf bank_mask:0xf
	v_cmp_lt_u32_e64 s[26:27], 3, v46
	s_and_saveexec_b64 s[28:29], s[26:27]
; %bb.134:
	v_cmp_eq_u32_e64 s[26:27], 0, v49
	v_cndmask_b32_e64 v47, 0, v47, s[26:27]
	v_add_u32_e32 v52, v52, v49
	v_cndmask_b32_e64 v49, 0, v53, s[26:27]
	v_add_co_u32_e64 v44, s[26:27], v47, v44
	v_addc_co_u32_e64 v45, s[26:27], v49, v45, s[26:27]
	v_mov_b32_e32 v49, v52
; %bb.135:
	s_or_b64 exec, exec, s[28:29]
	s_nop 0
	v_mov_b32_dpp v52, v49 row_shr:8 row_mask:0xf bank_mask:0xf
	v_mov_b32_dpp v47, v44 row_shr:8 row_mask:0xf bank_mask:0xf
	v_mov_b32_dpp v53, v45 row_shr:8 row_mask:0xf bank_mask:0xf
	v_cmp_lt_u32_e64 s[26:27], 7, v46
	s_and_saveexec_b64 s[28:29], s[26:27]
; %bb.136:
	v_cmp_eq_u32_e64 s[26:27], 0, v49
	v_cndmask_b32_e64 v47, 0, v47, s[26:27]
	v_add_u32_e32 v46, v52, v49
	v_cndmask_b32_e64 v49, 0, v53, s[26:27]
	v_add_co_u32_e64 v44, s[26:27], v47, v44
	v_addc_co_u32_e64 v45, s[26:27], v49, v45, s[26:27]
	v_mov_b32_e32 v49, v46
; %bb.137:
	s_or_b64 exec, exec, s[28:29]
	v_and_b32_e32 v53, 16, v48
	v_mov_b32_dpp v47, v49 row_bcast:15 row_mask:0xf bank_mask:0xf
	v_mov_b32_dpp v46, v44 row_bcast:15 row_mask:0xf bank_mask:0xf
	;; [unrolled: 1-line block ×3, first 2 shown]
	v_cmp_ne_u32_e64 s[26:27], 0, v53
	s_and_saveexec_b64 s[28:29], s[26:27]
; %bb.138:
	v_cmp_eq_u32_e64 s[26:27], 0, v49
	v_cndmask_b32_e64 v46, 0, v46, s[26:27]
	v_add_u32_e32 v47, v47, v49
	v_cndmask_b32_e64 v49, 0, v52, s[26:27]
	v_add_co_u32_e64 v44, s[26:27], v46, v44
	v_addc_co_u32_e64 v45, s[26:27], v49, v45, s[26:27]
	v_mov_b32_e32 v49, v47
; %bb.139:
	s_or_b64 exec, exec, s[28:29]
	s_nop 0
	v_mov_b32_dpp v47, v49 row_bcast:31 row_mask:0xf bank_mask:0xf
	v_mov_b32_dpp v46, v44 row_bcast:31 row_mask:0xf bank_mask:0xf
	;; [unrolled: 1-line block ×3, first 2 shown]
	v_cmp_lt_u32_e64 s[26:27], 31, v48
	s_and_saveexec_b64 s[28:29], s[26:27]
; %bb.140:
	v_cmp_eq_u32_e64 s[26:27], 0, v49
	v_cndmask_b32_e64 v46, 0, v46, s[26:27]
	v_add_u32_e32 v47, v47, v49
	v_cndmask_b32_e64 v49, 0, v52, s[26:27]
	v_add_co_u32_e64 v44, s[26:27], v46, v44
	v_addc_co_u32_e64 v45, s[26:27], v49, v45, s[26:27]
	v_mov_b32_e32 v49, v47
; %bb.141:
	s_or_b64 exec, exec, s[28:29]
	v_lshrrev_b32_e32 v46, 6, v0
	v_or_b32_e32 v47, 63, v0
	v_cmp_eq_u32_e64 s[26:27], v47, v0
	v_lshlrev_b32_e32 v52, 4, v46
	s_and_saveexec_b64 s[28:29], s[26:27]
	s_cbranch_execz .LBB967_143
; %bb.142:
	ds_write_b32 v52, v49 offset:2080
	ds_write_b64 v52, v[44:45] offset:2088
.LBB967_143:
	s_or_b64 exec, exec, s[28:29]
	v_cmp_gt_u32_e64 s[26:27], 4, v0
	s_waitcnt lgkmcnt(0)
	s_barrier
	s_and_saveexec_b64 s[28:29], s[26:27]
	s_cbranch_execz .LBB967_149
; %bb.144:
	v_lshlrev_b32_e32 v53, 4, v0
	ds_read_b32 v54, v53 offset:2080
	ds_read_b64 v[46:47], v53 offset:2088
	v_and_b32_e32 v55, 3, v48
	v_cmp_ne_u32_e64 s[26:27], 0, v55
	s_waitcnt lgkmcnt(1)
	v_mov_b32_dpp v57, v54 row_shr:1 row_mask:0xf bank_mask:0xf
	s_waitcnt lgkmcnt(0)
	v_mov_b32_dpp v56, v46 row_shr:1 row_mask:0xf bank_mask:0xf
	v_mov_b32_dpp v58, v47 row_shr:1 row_mask:0xf bank_mask:0xf
	s_and_saveexec_b64 s[34:35], s[26:27]
; %bb.145:
	v_cmp_eq_u32_e64 s[26:27], 0, v54
	v_cndmask_b32_e64 v56, 0, v56, s[26:27]
	v_add_u32_e32 v57, v57, v54
	v_cndmask_b32_e64 v54, 0, v58, s[26:27]
	v_add_co_u32_e64 v46, s[26:27], v56, v46
	v_addc_co_u32_e64 v47, s[26:27], v54, v47, s[26:27]
	v_mov_b32_e32 v54, v57
; %bb.146:
	s_or_b64 exec, exec, s[34:35]
	s_nop 0
	v_mov_b32_dpp v57, v54 row_shr:2 row_mask:0xf bank_mask:0xf
	v_mov_b32_dpp v56, v46 row_shr:2 row_mask:0xf bank_mask:0xf
	;; [unrolled: 1-line block ×3, first 2 shown]
	v_cmp_lt_u32_e64 s[26:27], 1, v55
	s_and_saveexec_b64 s[34:35], s[26:27]
; %bb.147:
	v_cmp_eq_u32_e64 s[26:27], 0, v54
	v_cndmask_b32_e64 v56, 0, v56, s[26:27]
	v_add_u32_e32 v55, v57, v54
	v_cndmask_b32_e64 v54, 0, v58, s[26:27]
	v_add_co_u32_e64 v46, s[26:27], v56, v46
	v_addc_co_u32_e64 v47, s[26:27], v54, v47, s[26:27]
	v_mov_b32_e32 v54, v55
; %bb.148:
	s_or_b64 exec, exec, s[34:35]
	ds_write_b32 v53, v54 offset:2080
	ds_write_b64 v53, v[46:47] offset:2088
.LBB967_149:
	s_or_b64 exec, exec, s[28:29]
	v_cmp_lt_u32_e64 s[26:27], 63, v0
	v_mov_b32_e32 v98, 0
	v_mov_b32_e32 v53, 0
	s_waitcnt vmcnt(0)
	v_pk_mov_b32 v[46:47], v[50:51], v[50:51] op_sel:[0,1]
	s_waitcnt lgkmcnt(0)
	s_barrier
	s_and_saveexec_b64 s[28:29], s[26:27]
	s_cbranch_execz .LBB967_151
; %bb.150:
	ds_read_b32 v53, v52 offset:2064
	ds_read_b64 v[46:47], v52 offset:2072
	s_waitcnt lgkmcnt(1)
	v_cmp_eq_u32_e64 s[26:27], 0, v53
	v_cndmask_b32_e64 v54, 0, v50, s[26:27]
	v_cndmask_b32_e64 v52, 0, v51, s[26:27]
	s_waitcnt lgkmcnt(0)
	v_add_co_u32_e64 v46, s[26:27], v54, v46
	v_addc_co_u32_e64 v47, s[26:27], v52, v47, s[26:27]
.LBB967_151:
	s_or_b64 exec, exec, s[28:29]
	v_cmp_eq_u32_e64 s[26:27], 0, v49
	v_cndmask_b32_e64 v54, 0, v46, s[26:27]
	v_add_u32_e32 v52, v53, v49
	v_cndmask_b32_e64 v49, 0, v47, s[26:27]
	v_add_co_u32_e64 v44, s[26:27], v54, v44
	v_addc_co_u32_e64 v45, s[26:27], v49, v45, s[26:27]
	v_add_u32_e32 v49, -1, v48
	v_and_b32_e32 v54, 64, v48
	v_cmp_lt_i32_e64 s[26:27], v49, v54
	v_cndmask_b32_e64 v49, v49, v48, s[26:27]
	v_lshlrev_b32_e32 v49, 2, v49
	ds_bpermute_b32 v44, v49, v44
	ds_bpermute_b32 v52, v49, v52
	;; [unrolled: 1-line block ×3, first 2 shown]
	v_cmp_eq_u32_e64 s[26:27], 0, v48
	s_waitcnt lgkmcnt(2)
	v_cndmask_b32_e64 v76, v44, v46, s[26:27]
	s_waitcnt lgkmcnt(1)
	v_cndmask_b32_e64 v83, v52, v53, s[26:27]
	;; [unrolled: 2-line block ×3, first 2 shown]
	v_cndmask_b32_e64 v44, v76, v50, s[0:1]
	v_cmp_eq_u32_e64 s[26:27], 0, v82
	v_cndmask_b32_e64 v45, v77, v51, s[0:1]
	v_cndmask_b32_e64 v44, 0, v44, s[26:27]
	;; [unrolled: 1-line block ×3, first 2 shown]
	v_add_co_u32_e64 v52, s[26:27], v44, v42
	v_addc_co_u32_e64 v53, s[26:27], v45, v43, s[26:27]
	v_cndmask_b32_e64 v43, 0, v52, s[24:25]
	v_cndmask_b32_e64 v42, 0, v53, s[24:25]
	v_add_co_u32_e64 v54, s[24:25], v43, v40
	v_addc_co_u32_e64 v55, s[24:25], v42, v41, s[24:25]
	v_cndmask_b32_e64 v41, 0, v54, s[22:23]
	v_cndmask_b32_e64 v40, 0, v55, s[22:23]
	;; [unrolled: 4-line block ×11, first 2 shown]
	v_add_co_u32_e64 v74, s[2:3], v23, v20
	v_addc_co_u32_e64 v75, s[2:3], v22, v21, s[2:3]
	v_cndmask_b32_e64 v21, 0, v74, s[4:5]
	ds_read_b32 v46, v98 offset:2128
	v_cndmask_b32_e64 v20, 0, v75, s[4:5]
	v_add_co_u32_e64 v78, s[2:3], v21, v18
	v_addc_co_u32_e64 v79, s[2:3], v20, v19, s[2:3]
	ds_read_b64 v[18:19], v98 offset:2136
	v_cndmask_b32_e32 v81, 0, v79, vcc
	v_cndmask_b32_e32 v80, 0, v78, vcc
	s_waitcnt lgkmcnt(1)
	v_cmp_eq_u32_e32 vcc, 0, v46
	v_cndmask_b32_e32 v21, 0, v50, vcc
	v_cndmask_b32_e32 v20, 0, v51, vcc
	s_waitcnt lgkmcnt(0)
	v_add_co_u32_e32 v48, vcc, v21, v18
	v_addc_co_u32_e32 v49, vcc, v20, v19, vcc
	s_and_saveexec_b64 s[2:3], s[0:1]
	s_cbranch_execz .LBB967_153
; %bb.152:
	v_mov_b32_e32 v83, 0
	v_mov_b32_e32 v18, 2
	v_pk_mov_b32 v[76:77], v[50:51], v[50:51] op_sel:[0,1]
	global_store_dword v83, v46, s[38:39] offset:1024
	global_store_dwordx2 v83, v[48:49], s[38:39] offset:1032
	s_waitcnt vmcnt(0)
	buffer_wbinvl1_vol
	global_store_byte v83, v18, s[40:41] offset:64
.LBB967_153:
	s_or_b64 exec, exec, s[2:3]
	v_mov_b32_e32 v50, 0
.LBB967_154:
	s_and_b64 s[2:3], s[30:31], exec
	s_cselect_b32 s3, 0, s51
	s_cselect_b32 s2, 0, s50
	s_cmp_eq_u64 s[2:3], 0
	v_pk_mov_b32 v[18:19], 0, 0
	s_barrier
	s_cbranch_scc1 .LBB967_156
; %bb.155:
	v_mov_b32_e32 v18, 0
	global_load_dwordx2 v[18:19], v18, s[2:3]
.LBB967_156:
	s_waitcnt vmcnt(0)
	v_lshlrev_b64 v[34:35], 2, v[18:19]
	v_mov_b32_e32 v36, s53
	v_add_co_u32_e32 v37, vcc, s52, v34
	v_mov_b32_e32 v51, 0
	v_addc_co_u32_e32 v36, vcc, v36, v35, vcc
	v_lshlrev_b64 v[34:35], 2, v[50:51]
	v_add_co_u32_e32 v34, vcc, v37, v34
	v_addc_co_u32_e32 v35, vcc, v36, v35, vcc
	v_cmp_eq_u32_e32 vcc, 0, v82
	v_cndmask_b32_e64 v36, 1, 2, vcc
	v_cmp_eq_u32_e32 vcc, 0, v97
	v_cndmask_b32_e64 v37, 1, 2, vcc
	v_cmp_eq_u32_e32 vcc, 0, v96
	v_and_b32_e32 v36, v37, v36
	v_cndmask_b32_e64 v37, 1, 2, vcc
	v_cmp_eq_u32_e32 vcc, 0, v95
	v_add_u32_e32 v33, v83, v82
	v_and_b32_e32 v36, v36, v37
	v_cndmask_b32_e64 v37, 1, 2, vcc
	v_cmp_eq_u32_e32 vcc, 0, v94
	v_add_u32_e32 v32, v33, v97
	;; [unrolled: 4-line block ×12, first 2 shown]
	v_and_b32_e32 v36, v36, v37
	v_cndmask_b32_e64 v37, 1, 2, vcc
	s_movk_i32 s34, 0x100
	v_add_u32_e32 v21, v22, v86
	v_and_b32_e32 v36, v36, v37
	v_cmp_gt_u32_e32 vcc, s34, v46
	v_add_u32_e32 v20, v21, v85
	v_cmp_ne_u32_e64 s[30:31], 0, v82
	v_cmp_ne_u32_e64 s[28:29], 0, v97
	;; [unrolled: 1-line block ×15, first 2 shown]
	s_mov_b64 s[36:37], -1
	v_cmp_gt_i16_e64 s[34:35], 2, v36
	s_cbranch_vccz .LBB967_163
; %bb.157:
	s_and_saveexec_b64 s[36:37], s[34:35]
	s_cbranch_execz .LBB967_162
; %bb.158:
	v_cmp_ne_u16_e32 vcc, 1, v36
	s_mov_b64 s[38:39], 0
	s_and_saveexec_b64 s[34:35], vcc
	s_xor_b64 s[34:35], exec, s[34:35]
	s_cbranch_execnz .LBB967_207
; %bb.159:
	s_andn2_saveexec_b64 s[34:35], s[34:35]
	s_cbranch_execnz .LBB967_223
.LBB967_160:
	s_or_b64 exec, exec, s[34:35]
	s_and_b64 exec, exec, s[38:39]
	s_cbranch_execz .LBB967_162
.LBB967_161:
	v_sub_u32_e32 v38, v20, v50
	v_mov_b32_e32 v39, 0
	v_lshlrev_b64 v[38:39], 2, v[38:39]
	v_add_co_u32_e32 v38, vcc, v34, v38
	v_addc_co_u32_e32 v39, vcc, v35, v39, vcc
	global_store_dword v[38:39], v1, off
.LBB967_162:
	s_or_b64 exec, exec, s[36:37]
	s_mov_b64 s[36:37], 0
.LBB967_163:
	s_and_b64 vcc, exec, s[36:37]
	s_cbranch_vccz .LBB967_185
; %bb.164:
	v_cmp_gt_i16_e32 vcc, 2, v36
	s_and_saveexec_b64 s[34:35], vcc
	s_cbranch_execz .LBB967_169
; %bb.165:
	v_cmp_ne_u16_e32 vcc, 1, v36
	s_mov_b64 s[38:39], 0
	s_and_saveexec_b64 s[36:37], vcc
	s_xor_b64 s[36:37], exec, s[36:37]
	s_cbranch_execnz .LBB967_224
; %bb.166:
	s_andn2_saveexec_b64 s[2:3], s[36:37]
	s_cbranch_execnz .LBB967_240
.LBB967_167:
	s_or_b64 exec, exec, s[2:3]
	s_and_b64 exec, exec, s[38:39]
	s_cbranch_execz .LBB967_169
.LBB967_168:
	v_sub_u32_e32 v4, v20, v50
	v_lshlrev_b32_e32 v4, 2, v4
	ds_write_b32 v4, v1
.LBB967_169:
	s_or_b64 exec, exec, s[34:35]
	v_cmp_lt_u32_e32 vcc, v0, v46
	s_waitcnt lgkmcnt(0)
	s_barrier
	s_and_saveexec_b64 s[4:5], vcc
	s_cbranch_execz .LBB967_184
; %bb.170:
	v_xad_u32 v1, v0, -1, v46
	s_movk_i32 s2, 0x1700
	v_cmp_gt_u32_e64 s[6:7], s2, v1
	s_movk_i32 s2, 0x16ff
	v_cmp_lt_u32_e32 vcc, s2, v1
	v_mov_b32_e32 v4, v0
	s_and_saveexec_b64 s[8:9], vcc
	s_cbranch_execz .LBB967_181
; %bb.171:
	v_sub_u32_e32 v4, v0, v46
	v_or_b32_e32 v4, 0xff, v4
	v_cmp_ge_u32_e32 vcc, v4, v0
	s_mov_b64 s[2:3], -1
	v_mov_b32_e32 v4, v0
	s_and_saveexec_b64 s[10:11], vcc
	s_cbranch_execz .LBB967_180
; %bb.172:
	v_lshrrev_b32_e32 v8, 8, v1
	v_add_u32_e32 v4, -1, v8
	v_or_b32_e32 v1, 0x100, v0
	v_lshrrev_b32_e32 v5, 1, v4
	v_add_u32_e32 v10, 1, v5
	v_cmp_lt_u32_e32 vcc, 13, v4
	v_mov_b32_e32 v13, 0
	v_lshlrev_b32_e32 v9, 2, v0
	v_pk_mov_b32 v[4:5], v[0:1], v[0:1] op_sel:[0,1]
	s_and_saveexec_b64 s[12:13], vcc
	s_cbranch_execz .LBB967_176
; %bb.173:
	v_and_b32_e32 v11, -8, v10
	s_mov_b32 s16, 0
	s_mov_b64 s[14:15], 0
	v_mov_b32_e32 v7, 0
	v_mov_b32_e32 v12, v9
	v_pk_mov_b32 v[4:5], v[0:1], v[0:1] op_sel:[0,1]
.LBB967_174:                            ; =>This Inner Loop Header: Depth=1
	v_mov_b32_e32 v6, v4
	v_add_u32_e32 v11, -8, v11
	v_lshlrev_b64 v[114:115], 2, v[6:7]
	v_mov_b32_e32 v6, v5
	ds_read2st64_b32 v[14:15], v12 offset1:4
	s_add_i32 s16, s16, 16
	v_cmp_eq_u32_e32 vcc, 0, v11
	v_lshlrev_b64 v[116:117], 2, v[6:7]
	v_add_u32_e32 v6, 0x200, v4
	s_or_b64 s[14:15], vcc, s[14:15]
	v_add_co_u32_e32 v116, vcc, v34, v116
	v_add_u32_e32 v16, 0x200, v5
	v_mov_b32_e32 v17, v7
	ds_read2st64_b32 v[36:37], v12 offset0:8 offset1:12
	ds_read2st64_b32 v[40:41], v12 offset0:16 offset1:20
	v_add_co_u32_e64 v114, s[2:3], v34, v114
	v_addc_co_u32_e32 v117, vcc, v35, v117, vcc
	v_lshlrev_b64 v[118:119], 2, v[6:7]
	v_lshlrev_b64 v[16:17], 2, v[16:17]
	v_addc_co_u32_e64 v115, s[2:3], v35, v115, s[2:3]
	v_add_u32_e32 v6, 0x400, v4
	v_add_co_u32_e32 v118, vcc, v34, v118
	v_add_u32_e32 v38, 0x400, v5
	v_mov_b32_e32 v39, v7
	ds_read2st64_b32 v[44:45], v12 offset0:24 offset1:28
	v_add_co_u32_e64 v16, s[2:3], v34, v16
	v_addc_co_u32_e32 v119, vcc, v35, v119, vcc
	v_lshlrev_b64 v[120:121], 2, v[6:7]
	ds_read2st64_b32 v[100:101], v12 offset0:32 offset1:36
	ds_read2st64_b32 v[104:105], v12 offset0:40 offset1:44
	;; [unrolled: 1-line block ×4, first 2 shown]
	v_lshlrev_b64 v[38:39], 2, v[38:39]
	v_addc_co_u32_e64 v17, s[2:3], v35, v17, s[2:3]
	v_add_u32_e32 v6, 0x600, v4
	s_waitcnt lgkmcnt(7)
	global_store_dword v[114:115], v14, off
	global_store_dword v[116:117], v15, off
	s_waitcnt lgkmcnt(6)
	global_store_dword v[118:119], v36, off
	global_store_dword v[16:17], v37, off
	v_add_co_u32_e32 v14, vcc, v34, v120
	v_add_u32_e32 v42, 0x600, v5
	v_mov_b32_e32 v43, v7
	v_add_co_u32_e64 v38, s[2:3], v34, v38
	v_addc_co_u32_e32 v15, vcc, v35, v121, vcc
	v_lshlrev_b64 v[16:17], 2, v[6:7]
	v_lshlrev_b64 v[42:43], 2, v[42:43]
	v_addc_co_u32_e64 v39, s[2:3], v35, v39, s[2:3]
	v_add_u32_e32 v6, 0x800, v4
	s_waitcnt lgkmcnt(5)
	global_store_dword v[14:15], v40, off
	global_store_dword v[38:39], v41, off
	v_add_co_u32_e32 v14, vcc, v34, v16
	v_add_u32_e32 v98, 0x800, v5
	v_mov_b32_e32 v99, v7
	v_add_co_u32_e64 v42, s[2:3], v34, v42
	v_addc_co_u32_e32 v15, vcc, v35, v17, vcc
	v_lshlrev_b64 v[16:17], 2, v[6:7]
	v_lshlrev_b64 v[98:99], 2, v[98:99]
	v_addc_co_u32_e64 v43, s[2:3], v35, v43, s[2:3]
	v_add_u32_e32 v6, 0xa00, v4
	;; [unrolled: 12-line block ×4, first 2 shown]
	s_waitcnt lgkmcnt(2)
	global_store_dword v[14:15], v104, off
	global_store_dword v[102:103], v105, off
	v_add_co_u32_e32 v14, vcc, v34, v16
	v_add_u32_e32 v110, 0xe00, v5
	v_mov_b32_e32 v111, v7
	v_add_co_u32_e64 v106, s[2:3], v34, v106
	v_addc_co_u32_e32 v15, vcc, v35, v17, vcc
	v_lshlrev_b64 v[16:17], 2, v[6:7]
	v_lshlrev_b64 v[110:111], 2, v[110:111]
	v_addc_co_u32_e64 v107, s[2:3], v35, v107, s[2:3]
	s_waitcnt lgkmcnt(1)
	global_store_dword v[14:15], v108, off
	global_store_dword v[106:107], v109, off
	v_add_co_u32_e32 v14, vcc, v34, v16
	v_add_u32_e32 v12, 0x4000, v12
	v_add_u32_e32 v5, 0x1000, v5
	v_mov_b32_e32 v13, s16
	v_add_co_u32_e64 v110, s[2:3], v34, v110
	v_add_u32_e32 v4, 0x1000, v4
	v_addc_co_u32_e32 v15, vcc, v35, v17, vcc
	v_addc_co_u32_e64 v111, s[2:3], v35, v111, s[2:3]
	s_waitcnt lgkmcnt(0)
	global_store_dword v[14:15], v112, off
	global_store_dword v[110:111], v113, off
	s_andn2_b64 exec, exec, s[14:15]
	s_cbranch_execnz .LBB967_174
; %bb.175:
	s_or_b64 exec, exec, s[14:15]
.LBB967_176:
	s_or_b64 exec, exec, s[12:13]
	v_and_b32_e32 v1, 7, v10
	v_cmp_ne_u32_e32 vcc, 0, v1
	s_and_saveexec_b64 s[12:13], vcc
	s_cbranch_execz .LBB967_179
; %bb.177:
	v_lshl_or_b32 v9, v13, 10, v9
	s_mov_b64 s[14:15], 0
	v_mov_b32_e32 v7, 0
.LBB967_178:                            ; =>This Inner Loop Header: Depth=1
	ds_read2st64_b32 v[10:11], v9 offset1:4
	v_mov_b32_e32 v6, v4
	v_add_u32_e32 v1, -1, v1
	v_lshlrev_b64 v[12:13], 2, v[6:7]
	v_mov_b32_e32 v6, v5
	v_cmp_eq_u32_e32 vcc, 0, v1
	v_add_co_u32_e64 v12, s[2:3], v34, v12
	v_lshlrev_b64 v[14:15], 2, v[6:7]
	v_add_u32_e32 v4, 0x200, v4
	v_add_u32_e32 v9, 0x800, v9
	;; [unrolled: 1-line block ×3, first 2 shown]
	v_addc_co_u32_e64 v13, s[2:3], v35, v13, s[2:3]
	s_or_b64 s[14:15], vcc, s[14:15]
	v_add_co_u32_e32 v14, vcc, v34, v14
	v_addc_co_u32_e32 v15, vcc, v35, v15, vcc
	s_waitcnt lgkmcnt(0)
	global_store_dword v[12:13], v10, off
	global_store_dword v[14:15], v11, off
	s_andn2_b64 exec, exec, s[14:15]
	s_cbranch_execnz .LBB967_178
.LBB967_179:
	s_or_b64 exec, exec, s[12:13]
	v_add_u32_e32 v1, 1, v8
	v_and_b32_e32 v5, 0x1fffffe, v1
	v_cmp_ne_u32_e32 vcc, v1, v5
	v_lshl_or_b32 v4, v5, 8, v0
	s_orn2_b64 s[2:3], vcc, exec
.LBB967_180:
	s_or_b64 exec, exec, s[10:11]
	s_andn2_b64 s[6:7], s[6:7], exec
	s_and_b64 s[2:3], s[2:3], exec
	s_or_b64 s[6:7], s[6:7], s[2:3]
.LBB967_181:
	s_or_b64 exec, exec, s[8:9]
	s_and_b64 exec, exec, s[6:7]
	s_cbranch_execz .LBB967_184
; %bb.182:
	v_lshlrev_b32_e32 v1, 2, v4
	s_mov_b64 s[2:3], 0
	v_mov_b32_e32 v5, 0
.LBB967_183:                            ; =>This Inner Loop Header: Depth=1
	v_lshlrev_b64 v[6:7], 2, v[4:5]
	ds_read_b32 v8, v1
	v_add_co_u32_e32 v6, vcc, v34, v6
	v_add_u32_e32 v4, 0x100, v4
	v_addc_co_u32_e32 v7, vcc, v35, v7, vcc
	v_cmp_ge_u32_e32 vcc, v4, v46
	v_add_u32_e32 v1, 0x400, v1
	s_or_b64 s[2:3], vcc, s[2:3]
	s_waitcnt lgkmcnt(0)
	global_store_dword v[6:7], v8, off
	s_andn2_b64 exec, exec, s[2:3]
	s_cbranch_execnz .LBB967_183
.LBB967_184:
	s_or_b64 exec, exec, s[4:5]
.LBB967_185:
	s_cmpk_lg_i32 s33, 0xf00
	s_cselect_b64 s[2:3], -1, 0
	v_cndmask_b32_e64 v8, 0, 1, s[46:47]
	s_and_b64 s[2:3], s[2:3], s[44:45]
	v_sub_u32_e32 v1, v46, v8
	v_cndmask_b32_e64 v4, 0, 1, s[2:3]
	s_and_b64 s[0:1], s[0:1], s[46:47]
	v_add_co_u32_e32 v2, vcc, v80, v2
	v_add_u32_e32 v1, v1, v4
	v_cndmask_b32_e64 v4, v82, 0, s[0:1]
	s_mul_hi_u32 s0, s33, 0x88888889
	v_addc_co_u32_e32 v3, vcc, v81, v3, vcc
	s_lshr_b32 s0, s0, 3
	v_mad_i32_i24 v5, v0, -15, s33
	v_cmp_eq_u32_e32 vcc, s0, v0
	v_cmp_ne_u32_e64 s[0:1], 0, v5
	v_cndmask_b32_e64 v6, 1, v4, s[0:1]
	v_cmp_ne_u32_e64 s[0:1], 1, v5
	v_cndmask_b32_e64 v7, 1, v97, s[0:1]
	v_cmp_ne_u32_e64 s[0:1], 2, v5
	v_cndmask_b32_e64 v9, 1, v96, s[0:1]
	v_cmp_ne_u32_e64 s[0:1], 3, v5
	v_cndmask_b32_e64 v10, 1, v95, s[0:1]
	v_cmp_ne_u32_e64 s[0:1], 4, v5
	v_cndmask_b32_e64 v11, 1, v94, s[0:1]
	v_cmp_ne_u32_e64 s[0:1], 5, v5
	v_cndmask_b32_e64 v12, 1, v93, s[0:1]
	v_cmp_ne_u32_e64 s[0:1], 6, v5
	v_cndmask_b32_e64 v13, 1, v92, s[0:1]
	v_cmp_ne_u32_e64 s[0:1], 7, v5
	v_cndmask_b32_e64 v14, 1, v91, s[0:1]
	v_cmp_ne_u32_e64 s[0:1], 8, v5
	v_cndmask_b32_e64 v15, 1, v90, s[0:1]
	v_cmp_ne_u32_e64 s[0:1], 9, v5
	v_cndmask_b32_e64 v16, 1, v89, s[0:1]
	v_cmp_ne_u32_e64 s[0:1], 10, v5
	v_cndmask_b32_e64 v17, 1, v88, s[0:1]
	v_cmp_ne_u32_e64 s[0:1], 11, v5
	v_cndmask_b32_e64 v34, 1, v87, s[0:1]
	v_cmp_ne_u32_e64 s[0:1], 12, v5
	v_cndmask_b32_e64 v35, 1, v86, s[0:1]
	v_cmp_ne_u32_e64 s[0:1], 13, v5
	v_cndmask_b32_e64 v36, 1, v85, s[0:1]
	v_cmp_ne_u32_e64 s[0:1], 14, v5
	v_cndmask_b32_e64 v5, 1, v84, s[0:1]
	s_and_b64 vcc, vcc, s[44:45]
	v_cndmask_b32_e32 v37, v84, v5, vcc
	v_cndmask_b32_e32 v39, v4, v6, vcc
	v_lshlrev_b64 v[4:5], 3, v[18:19]
	v_cndmask_b32_e32 v36, v85, v36, vcc
	v_cndmask_b32_e32 v35, v86, v35, vcc
	v_cndmask_b32_e32 v34, v87, v34, vcc
	v_cndmask_b32_e32 v17, v88, v17, vcc
	v_cndmask_b32_e32 v16, v89, v16, vcc
	v_cndmask_b32_e32 v15, v90, v15, vcc
	v_cndmask_b32_e32 v14, v91, v14, vcc
	v_cndmask_b32_e32 v13, v92, v13, vcc
	v_cndmask_b32_e32 v12, v93, v12, vcc
	v_cndmask_b32_e32 v11, v94, v11, vcc
	v_cndmask_b32_e32 v10, v95, v10, vcc
	v_cndmask_b32_e32 v9, v96, v9, vcc
	v_cndmask_b32_e32 v38, v97, v7, vcc
	v_mov_b32_e32 v6, s55
	v_add_co_u32_e32 v7, vcc, s54, v4
	v_addc_co_u32_e32 v6, vcc, v6, v5, vcc
	v_lshlrev_b64 v[4:5], 3, v[50:51]
	v_add_co_u32_e32 v4, vcc, v7, v4
	v_addc_co_u32_e32 v5, vcc, v6, v5, vcc
	v_lshlrev_b32_e32 v6, 3, v8
	v_add_co_u32_e32 v6, vcc, v6, v4
	v_addc_co_u32_e32 v7, vcc, 0, v5, vcc
	v_add_co_u32_e32 v6, vcc, -8, v6
	v_addc_co_u32_e32 v7, vcc, -1, v7, vcc
	v_cmp_eq_u32_e32 vcc, 0, v39
	v_cmp_ne_u32_e64 s[28:29], 0, v39
	v_cndmask_b32_e64 v39, 1, 2, vcc
	v_cmp_eq_u32_e32 vcc, 0, v38
	v_cmp_ne_u32_e64 s[26:27], 0, v38
	v_cndmask_b32_e64 v38, 1, 2, vcc
	v_cmp_eq_u32_e32 vcc, 0, v9
	v_and_b32_e32 v38, v38, v39
	v_cmp_ne_u32_e64 s[24:25], 0, v9
	v_cndmask_b32_e64 v9, 1, 2, vcc
	v_cmp_eq_u32_e32 vcc, 0, v10
	v_and_b32_e32 v9, v38, v9
	;; [unrolled: 4-line block ×3, first 2 shown]
	v_cndmask_b32_e64 v10, 1, 2, vcc
	v_cmp_eq_u32_e32 vcc, 0, v12
	v_and_b32_e32 v9, v9, v10
	v_cndmask_b32_e64 v10, 1, 2, vcc
	v_cmp_eq_u32_e32 vcc, 0, v13
	v_and_b32_e32 v9, v9, v10
	;; [unrolled: 3-line block ×10, first 2 shown]
	v_cndmask_b32_e64 v10, 1, 2, vcc
	s_movk_i32 s30, 0x100
	v_and_b32_e32 v9, v9, v10
	v_cmp_gt_u32_e32 vcc, s30, v1
	v_add_u32_e32 v8, v50, v8
	v_cmp_ne_u32_e64 s[20:21], 0, v11
	v_cmp_ne_u32_e64 s[18:19], 0, v12
	;; [unrolled: 1-line block ×11, first 2 shown]
	s_mov_b64 s[34:35], -1
	v_cmp_gt_i16_e64 s[30:31], 2, v9
	s_barrier
	s_cbranch_vccz .LBB967_192
; %bb.186:
	s_and_saveexec_b64 s[34:35], s[30:31]
	s_cbranch_execz .LBB967_191
; %bb.187:
	v_cmp_ne_u16_e32 vcc, 1, v9
	s_mov_b64 s[36:37], 0
	s_and_saveexec_b64 s[30:31], vcc
	s_xor_b64 s[30:31], exec, s[30:31]
	s_cbranch_execnz .LBB967_241
; %bb.188:
	s_andn2_saveexec_b64 s[30:31], s[30:31]
	s_cbranch_execnz .LBB967_257
.LBB967_189:
	s_or_b64 exec, exec, s[30:31]
	s_and_b64 exec, exec, s[36:37]
	s_cbranch_execz .LBB967_191
.LBB967_190:
	v_sub_u32_e32 v10, v20, v8
	v_mov_b32_e32 v11, 0
	v_lshlrev_b64 v[10:11], 3, v[10:11]
	v_add_co_u32_e32 v10, vcc, v6, v10
	v_addc_co_u32_e32 v11, vcc, v7, v11, vcc
	global_store_dwordx2 v[10:11], v[2:3], off
.LBB967_191:
	s_or_b64 exec, exec, s[34:35]
	s_mov_b64 s[34:35], 0
.LBB967_192:
	s_and_b64 vcc, exec, s[34:35]
	s_cbranch_vccz .LBB967_202
; %bb.193:
	v_cmp_gt_i16_e32 vcc, 2, v9
	s_and_saveexec_b64 s[30:31], vcc
	s_cbranch_execz .LBB967_198
; %bb.194:
	v_cmp_ne_u16_e32 vcc, 1, v9
	s_mov_b64 s[36:37], 0
	s_and_saveexec_b64 s[34:35], vcc
	s_xor_b64 s[34:35], exec, s[34:35]
	s_cbranch_execnz .LBB967_258
; %bb.195:
	s_andn2_saveexec_b64 s[0:1], s[34:35]
	s_cbranch_execnz .LBB967_274
.LBB967_196:
	s_or_b64 exec, exec, s[0:1]
	s_and_b64 exec, exec, s[36:37]
	s_cbranch_execz .LBB967_198
.LBB967_197:
	v_sub_u32_e32 v8, v20, v8
	v_lshlrev_b32_e32 v8, 3, v8
	ds_write_b64 v8, v[2:3]
.LBB967_198:
	s_or_b64 exec, exec, s[30:31]
	v_cmp_lt_u32_e32 vcc, v0, v1
	s_waitcnt lgkmcnt(0)
	s_barrier
	s_and_saveexec_b64 s[0:1], vcc
	s_cbranch_execz .LBB967_201
; %bb.199:
	v_lshlrev_b32_e32 v8, 3, v0
	s_mov_b64 s[2:3], 0
	v_mov_b32_e32 v3, 0
	v_mov_b32_e32 v2, v0
.LBB967_200:                            ; =>This Inner Loop Header: Depth=1
	v_lshlrev_b64 v[10:11], 3, v[2:3]
	ds_read_b64 v[12:13], v8
	v_add_co_u32_e32 v10, vcc, v6, v10
	v_add_u32_e32 v2, 0x100, v2
	v_addc_co_u32_e32 v11, vcc, v7, v11, vcc
	v_cmp_ge_u32_e32 vcc, v2, v1
	v_add_u32_e32 v8, 0x800, v8
	s_or_b64 s[2:3], vcc, s[2:3]
	s_waitcnt lgkmcnt(0)
	global_store_dwordx2 v[10:11], v[12:13], off
	s_andn2_b64 exec, exec, s[2:3]
	s_cbranch_execnz .LBB967_200
.LBB967_201:
	s_or_b64 exec, exec, s[0:1]
.LBB967_202:
	s_movk_i32 s0, 0xff
	v_cmp_eq_u32_e32 vcc, s0, v0
	s_and_b64 s[0:1], vcc, s[44:45]
	s_and_saveexec_b64 s[2:3], s[0:1]
	s_cbranch_execz .LBB967_205
; %bb.203:
	v_add_co_u32_e32 v0, vcc, v46, v50
	v_addc_co_u32_e64 v1, s[0:1], 0, 0, vcc
	v_add_co_u32_e32 v0, vcc, v0, v18
	v_mov_b32_e32 v47, 0
	v_addc_co_u32_e32 v1, vcc, v1, v19, vcc
	s_cmpk_lg_i32 s33, 0xf00
	global_store_dwordx2 v47, v[0:1], s[56:57]
	s_cbranch_scc1 .LBB967_205
; %bb.204:
	v_lshlrev_b64 v[0:1], 3, v[46:47]
	v_add_co_u32_e32 v0, vcc, v4, v0
	v_addc_co_u32_e32 v1, vcc, v5, v1, vcc
	global_store_dwordx2 v[0:1], v[48:49], off offset:-8
.LBB967_205:
	s_endpgm
.LBB967_206:
	s_or_b64 exec, exec, s[4:5]
	v_mov_b32_e32 v82, s12
	s_and_saveexec_b64 s[2:3], s[58:59]
	s_cbranch_execnz .LBB967_58
	s_branch .LBB967_59
.LBB967_207:
	s_and_saveexec_b64 s[38:39], s[30:31]
	s_cbranch_execnz .LBB967_275
; %bb.208:
	s_or_b64 exec, exec, s[38:39]
	s_and_saveexec_b64 s[38:39], s[28:29]
	s_cbranch_execnz .LBB967_276
.LBB967_209:
	s_or_b64 exec, exec, s[38:39]
	s_and_saveexec_b64 s[38:39], s[26:27]
	s_cbranch_execnz .LBB967_277
.LBB967_210:
	s_or_b64 exec, exec, s[38:39]
	s_and_saveexec_b64 s[38:39], s[24:25]
	s_cbranch_execnz .LBB967_278
.LBB967_211:
	s_or_b64 exec, exec, s[38:39]
	s_and_saveexec_b64 s[38:39], s[22:23]
	s_cbranch_execnz .LBB967_279
.LBB967_212:
	s_or_b64 exec, exec, s[38:39]
	s_and_saveexec_b64 s[38:39], s[20:21]
	s_cbranch_execnz .LBB967_280
.LBB967_213:
	s_or_b64 exec, exec, s[38:39]
	s_and_saveexec_b64 s[38:39], s[18:19]
	s_cbranch_execnz .LBB967_281
.LBB967_214:
	s_or_b64 exec, exec, s[38:39]
	s_and_saveexec_b64 s[38:39], s[16:17]
	s_cbranch_execnz .LBB967_282
.LBB967_215:
	s_or_b64 exec, exec, s[38:39]
	s_and_saveexec_b64 s[38:39], s[14:15]
	s_cbranch_execnz .LBB967_283
.LBB967_216:
	s_or_b64 exec, exec, s[38:39]
	s_and_saveexec_b64 s[38:39], s[12:13]
	s_cbranch_execnz .LBB967_284
.LBB967_217:
	s_or_b64 exec, exec, s[38:39]
	s_and_saveexec_b64 s[38:39], s[10:11]
	s_cbranch_execnz .LBB967_285
.LBB967_218:
	s_or_b64 exec, exec, s[38:39]
	s_and_saveexec_b64 s[38:39], s[8:9]
	s_cbranch_execnz .LBB967_286
.LBB967_219:
	s_or_b64 exec, exec, s[38:39]
	s_and_saveexec_b64 s[38:39], s[6:7]
	s_cbranch_execnz .LBB967_287
.LBB967_220:
	s_or_b64 exec, exec, s[38:39]
	s_and_saveexec_b64 s[38:39], s[4:5]
	s_cbranch_execz .LBB967_222
.LBB967_221:
	v_sub_u32_e32 v38, v21, v50
	v_mov_b32_e32 v39, 0
	v_lshlrev_b64 v[38:39], 2, v[38:39]
	v_add_co_u32_e32 v38, vcc, v34, v38
	v_addc_co_u32_e32 v39, vcc, v35, v39, vcc
	global_store_dword v[38:39], v5, off
.LBB967_222:
	s_or_b64 exec, exec, s[38:39]
	s_and_b64 s[38:39], s[2:3], exec
	s_andn2_saveexec_b64 s[34:35], s[34:35]
	s_cbranch_execz .LBB967_160
.LBB967_223:
	v_sub_u32_e32 v38, v83, v50
	v_mov_b32_e32 v39, 0
	v_lshlrev_b64 v[40:41], 2, v[38:39]
	v_add_co_u32_e32 v40, vcc, v34, v40
	v_addc_co_u32_e32 v41, vcc, v35, v41, vcc
	v_sub_u32_e32 v38, v33, v50
	global_store_dword v[40:41], v16, off
	v_lshlrev_b64 v[40:41], 2, v[38:39]
	v_add_co_u32_e32 v40, vcc, v34, v40
	v_addc_co_u32_e32 v41, vcc, v35, v41, vcc
	v_sub_u32_e32 v38, v32, v50
	global_store_dword v[40:41], v17, off
	;; [unrolled: 5-line block ×12, first 2 shown]
	v_lshlrev_b64 v[40:41], 2, v[38:39]
	v_add_co_u32_e32 v40, vcc, v34, v40
	v_sub_u32_e32 v38, v21, v50
	v_addc_co_u32_e32 v41, vcc, v35, v41, vcc
	v_lshlrev_b64 v[38:39], 2, v[38:39]
	v_add_co_u32_e32 v38, vcc, v34, v38
	v_addc_co_u32_e32 v39, vcc, v35, v39, vcc
	s_or_b64 s[38:39], s[38:39], exec
	global_store_dword v[40:41], v4, off
	global_store_dword v[38:39], v5, off
	s_or_b64 exec, exec, s[34:35]
	s_and_b64 exec, exec, s[38:39]
	s_cbranch_execnz .LBB967_161
	s_branch .LBB967_162
.LBB967_224:
	s_and_saveexec_b64 s[38:39], s[30:31]
	s_cbranch_execnz .LBB967_288
; %bb.225:
	s_or_b64 exec, exec, s[38:39]
	s_and_saveexec_b64 s[30:31], s[28:29]
	s_cbranch_execnz .LBB967_289
.LBB967_226:
	s_or_b64 exec, exec, s[30:31]
	s_and_saveexec_b64 s[28:29], s[26:27]
	s_cbranch_execnz .LBB967_290
.LBB967_227:
	s_or_b64 exec, exec, s[28:29]
	s_and_saveexec_b64 s[26:27], s[24:25]
	s_cbranch_execnz .LBB967_291
.LBB967_228:
	s_or_b64 exec, exec, s[26:27]
	s_and_saveexec_b64 s[24:25], s[22:23]
	s_cbranch_execnz .LBB967_292
.LBB967_229:
	s_or_b64 exec, exec, s[24:25]
	s_and_saveexec_b64 s[22:23], s[20:21]
	s_cbranch_execnz .LBB967_293
.LBB967_230:
	s_or_b64 exec, exec, s[22:23]
	s_and_saveexec_b64 s[20:21], s[18:19]
	s_cbranch_execnz .LBB967_294
.LBB967_231:
	s_or_b64 exec, exec, s[20:21]
	s_and_saveexec_b64 s[18:19], s[16:17]
	s_cbranch_execnz .LBB967_295
.LBB967_232:
	s_or_b64 exec, exec, s[18:19]
	s_and_saveexec_b64 s[16:17], s[14:15]
	s_cbranch_execnz .LBB967_296
.LBB967_233:
	s_or_b64 exec, exec, s[16:17]
	s_and_saveexec_b64 s[14:15], s[12:13]
	s_cbranch_execnz .LBB967_297
.LBB967_234:
	s_or_b64 exec, exec, s[14:15]
	s_and_saveexec_b64 s[12:13], s[10:11]
	s_cbranch_execnz .LBB967_298
.LBB967_235:
	s_or_b64 exec, exec, s[12:13]
	s_and_saveexec_b64 s[10:11], s[8:9]
	s_cbranch_execnz .LBB967_299
.LBB967_236:
	s_or_b64 exec, exec, s[10:11]
	s_and_saveexec_b64 s[8:9], s[6:7]
	s_cbranch_execnz .LBB967_300
.LBB967_237:
	s_or_b64 exec, exec, s[8:9]
	s_and_saveexec_b64 s[6:7], s[4:5]
	s_cbranch_execz .LBB967_239
.LBB967_238:
	v_sub_u32_e32 v4, v21, v50
	v_lshlrev_b32_e32 v4, 2, v4
	ds_write_b32 v4, v5
.LBB967_239:
	s_or_b64 exec, exec, s[6:7]
	s_and_b64 s[38:39], s[2:3], exec
                                        ; implicit-def: $vgpr4
                                        ; implicit-def: $vgpr6
                                        ; implicit-def: $vgpr8
                                        ; implicit-def: $vgpr10
                                        ; implicit-def: $vgpr12
                                        ; implicit-def: $vgpr14
                                        ; implicit-def: $vgpr16
	s_andn2_saveexec_b64 s[2:3], s[36:37]
	s_cbranch_execz .LBB967_167
.LBB967_240:
	v_sub_u32_e32 v36, v83, v50
	v_lshlrev_b32_e32 v36, 2, v36
	ds_write_b32 v36, v16
	v_sub_u32_e32 v16, v33, v50
	v_lshlrev_b32_e32 v16, 2, v16
	ds_write_b32 v16, v17
	;; [unrolled: 3-line block ×13, first 2 shown]
	v_sub_u32_e32 v4, v21, v50
	v_lshlrev_b32_e32 v4, 2, v4
	s_or_b64 s[38:39], s[38:39], exec
	ds_write_b32 v4, v5
	s_or_b64 exec, exec, s[2:3]
	s_and_b64 exec, exec, s[38:39]
	s_cbranch_execnz .LBB967_168
	s_branch .LBB967_169
.LBB967_241:
	s_and_saveexec_b64 s[36:37], s[28:29]
	s_cbranch_execnz .LBB967_301
; %bb.242:
	s_or_b64 exec, exec, s[36:37]
	s_and_saveexec_b64 s[36:37], s[26:27]
	s_cbranch_execnz .LBB967_302
.LBB967_243:
	s_or_b64 exec, exec, s[36:37]
	s_and_saveexec_b64 s[36:37], s[24:25]
	s_cbranch_execnz .LBB967_303
.LBB967_244:
	s_or_b64 exec, exec, s[36:37]
	s_and_saveexec_b64 s[36:37], s[22:23]
	s_cbranch_execnz .LBB967_304
.LBB967_245:
	s_or_b64 exec, exec, s[36:37]
	s_and_saveexec_b64 s[36:37], s[20:21]
	s_cbranch_execnz .LBB967_305
.LBB967_246:
	s_or_b64 exec, exec, s[36:37]
	s_and_saveexec_b64 s[36:37], s[18:19]
	s_cbranch_execnz .LBB967_306
.LBB967_247:
	s_or_b64 exec, exec, s[36:37]
	s_and_saveexec_b64 s[36:37], s[16:17]
	s_cbranch_execnz .LBB967_307
.LBB967_248:
	s_or_b64 exec, exec, s[36:37]
	s_and_saveexec_b64 s[36:37], s[14:15]
	s_cbranch_execnz .LBB967_308
.LBB967_249:
	s_or_b64 exec, exec, s[36:37]
	s_and_saveexec_b64 s[36:37], s[12:13]
	s_cbranch_execnz .LBB967_309
.LBB967_250:
	s_or_b64 exec, exec, s[36:37]
	s_and_saveexec_b64 s[36:37], s[10:11]
	s_cbranch_execnz .LBB967_310
.LBB967_251:
	s_or_b64 exec, exec, s[36:37]
	s_and_saveexec_b64 s[36:37], s[8:9]
	s_cbranch_execnz .LBB967_311
.LBB967_252:
	s_or_b64 exec, exec, s[36:37]
	s_and_saveexec_b64 s[36:37], s[6:7]
	s_cbranch_execnz .LBB967_312
.LBB967_253:
	s_or_b64 exec, exec, s[36:37]
	s_and_saveexec_b64 s[36:37], s[4:5]
	s_cbranch_execnz .LBB967_313
.LBB967_254:
	s_or_b64 exec, exec, s[36:37]
	s_and_saveexec_b64 s[36:37], s[2:3]
	s_cbranch_execz .LBB967_256
.LBB967_255:
	v_sub_u32_e32 v10, v21, v8
	v_mov_b32_e32 v11, 0
	v_lshlrev_b64 v[10:11], 3, v[10:11]
	v_add_co_u32_e32 v10, vcc, v6, v10
	v_addc_co_u32_e32 v11, vcc, v7, v11, vcc
	global_store_dwordx2 v[10:11], v[78:79], off
.LBB967_256:
	s_or_b64 exec, exec, s[36:37]
	s_and_b64 s[36:37], s[0:1], exec
	s_andn2_saveexec_b64 s[30:31], s[30:31]
	s_cbranch_execz .LBB967_189
.LBB967_257:
	v_sub_u32_e32 v10, v83, v8
	v_mov_b32_e32 v11, 0
	v_lshlrev_b64 v[12:13], 3, v[10:11]
	v_add_co_u32_e32 v12, vcc, v6, v12
	v_addc_co_u32_e32 v13, vcc, v7, v13, vcc
	v_sub_u32_e32 v10, v33, v8
	global_store_dwordx2 v[12:13], v[76:77], off
	v_lshlrev_b64 v[12:13], 3, v[10:11]
	v_add_co_u32_e32 v12, vcc, v6, v12
	v_addc_co_u32_e32 v13, vcc, v7, v13, vcc
	v_sub_u32_e32 v10, v32, v8
	global_store_dwordx2 v[12:13], v[52:53], off
	;; [unrolled: 5-line block ×12, first 2 shown]
	v_lshlrev_b64 v[12:13], 3, v[10:11]
	v_add_co_u32_e32 v12, vcc, v6, v12
	v_sub_u32_e32 v10, v21, v8
	v_addc_co_u32_e32 v13, vcc, v7, v13, vcc
	v_lshlrev_b64 v[10:11], 3, v[10:11]
	v_add_co_u32_e32 v10, vcc, v6, v10
	v_addc_co_u32_e32 v11, vcc, v7, v11, vcc
	s_or_b64 s[36:37], s[36:37], exec
	global_store_dwordx2 v[12:13], v[74:75], off
	global_store_dwordx2 v[10:11], v[78:79], off
	s_or_b64 exec, exec, s[30:31]
	s_and_b64 exec, exec, s[36:37]
	s_cbranch_execnz .LBB967_190
	s_branch .LBB967_191
.LBB967_258:
	s_and_saveexec_b64 s[36:37], s[28:29]
	s_cbranch_execnz .LBB967_314
; %bb.259:
	s_or_b64 exec, exec, s[36:37]
	s_and_saveexec_b64 s[28:29], s[26:27]
	s_cbranch_execnz .LBB967_315
.LBB967_260:
	s_or_b64 exec, exec, s[28:29]
	s_and_saveexec_b64 s[26:27], s[24:25]
	s_cbranch_execnz .LBB967_316
.LBB967_261:
	s_or_b64 exec, exec, s[26:27]
	s_and_saveexec_b64 s[24:25], s[22:23]
	s_cbranch_execnz .LBB967_317
.LBB967_262:
	s_or_b64 exec, exec, s[24:25]
	s_and_saveexec_b64 s[22:23], s[20:21]
	s_cbranch_execnz .LBB967_318
.LBB967_263:
	s_or_b64 exec, exec, s[22:23]
	s_and_saveexec_b64 s[20:21], s[18:19]
	s_cbranch_execnz .LBB967_319
.LBB967_264:
	s_or_b64 exec, exec, s[20:21]
	s_and_saveexec_b64 s[18:19], s[16:17]
	s_cbranch_execnz .LBB967_320
.LBB967_265:
	s_or_b64 exec, exec, s[18:19]
	s_and_saveexec_b64 s[16:17], s[14:15]
	s_cbranch_execnz .LBB967_321
.LBB967_266:
	s_or_b64 exec, exec, s[16:17]
	s_and_saveexec_b64 s[14:15], s[12:13]
	s_cbranch_execnz .LBB967_322
.LBB967_267:
	s_or_b64 exec, exec, s[14:15]
	s_and_saveexec_b64 s[12:13], s[10:11]
	s_cbranch_execnz .LBB967_323
.LBB967_268:
	s_or_b64 exec, exec, s[12:13]
	s_and_saveexec_b64 s[10:11], s[8:9]
	s_cbranch_execnz .LBB967_324
.LBB967_269:
	s_or_b64 exec, exec, s[10:11]
	s_and_saveexec_b64 s[8:9], s[6:7]
	s_cbranch_execnz .LBB967_325
.LBB967_270:
	s_or_b64 exec, exec, s[8:9]
	s_and_saveexec_b64 s[6:7], s[4:5]
	s_cbranch_execnz .LBB967_326
.LBB967_271:
	s_or_b64 exec, exec, s[6:7]
	s_and_saveexec_b64 s[4:5], s[2:3]
	s_cbranch_execz .LBB967_273
.LBB967_272:
	v_sub_u32_e32 v9, v21, v8
	v_lshlrev_b32_e32 v9, 3, v9
	ds_write_b64 v9, v[78:79]
.LBB967_273:
	s_or_b64 exec, exec, s[4:5]
	s_and_b64 s[36:37], s[0:1], exec
                                        ; implicit-def: $vgpr76_vgpr77
                                        ; implicit-def: $vgpr52_vgpr53
                                        ; implicit-def: $vgpr54_vgpr55
                                        ; implicit-def: $vgpr56_vgpr57
                                        ; implicit-def: $vgpr58_vgpr59
                                        ; implicit-def: $vgpr60_vgpr61
                                        ; implicit-def: $vgpr62_vgpr63
                                        ; implicit-def: $vgpr64_vgpr65
                                        ; implicit-def: $vgpr66_vgpr67
                                        ; implicit-def: $vgpr68_vgpr69
                                        ; implicit-def: $vgpr70_vgpr71
                                        ; implicit-def: $vgpr72_vgpr73
                                        ; implicit-def: $vgpr74_vgpr75
                                        ; implicit-def: $vgpr78_vgpr79
                                        ; implicit-def: $vgpr83
                                        ; implicit-def: $vgpr33
                                        ; implicit-def: $vgpr32
                                        ; implicit-def: $vgpr31
                                        ; implicit-def: $vgpr30
                                        ; implicit-def: $vgpr29
                                        ; implicit-def: $vgpr28
                                        ; implicit-def: $vgpr27
                                        ; implicit-def: $vgpr26
                                        ; implicit-def: $vgpr25
                                        ; implicit-def: $vgpr24
                                        ; implicit-def: $vgpr23
                                        ; implicit-def: $vgpr22
                                        ; implicit-def: $vgpr21
	s_andn2_saveexec_b64 s[0:1], s[34:35]
	s_cbranch_execz .LBB967_196
.LBB967_274:
	v_sub_u32_e32 v9, v83, v8
	v_lshlrev_b32_e32 v9, 3, v9
	ds_write_b64 v9, v[76:77]
	v_sub_u32_e32 v9, v33, v8
	v_lshlrev_b32_e32 v9, 3, v9
	ds_write_b64 v9, v[52:53]
	;; [unrolled: 3-line block ×13, first 2 shown]
	v_sub_u32_e32 v9, v21, v8
	v_lshlrev_b32_e32 v9, 3, v9
	s_or_b64 s[36:37], s[36:37], exec
	ds_write_b64 v9, v[78:79]
	s_or_b64 exec, exec, s[0:1]
	s_and_b64 exec, exec, s[36:37]
	s_cbranch_execnz .LBB967_197
	s_branch .LBB967_198
.LBB967_275:
	v_sub_u32_e32 v38, v83, v50
	v_mov_b32_e32 v39, 0
	v_lshlrev_b64 v[38:39], 2, v[38:39]
	v_add_co_u32_e32 v38, vcc, v34, v38
	v_addc_co_u32_e32 v39, vcc, v35, v39, vcc
	global_store_dword v[38:39], v16, off
	s_or_b64 exec, exec, s[38:39]
	s_and_saveexec_b64 s[38:39], s[28:29]
	s_cbranch_execz .LBB967_209
.LBB967_276:
	v_sub_u32_e32 v38, v33, v50
	v_mov_b32_e32 v39, 0
	v_lshlrev_b64 v[38:39], 2, v[38:39]
	v_add_co_u32_e32 v38, vcc, v34, v38
	v_addc_co_u32_e32 v39, vcc, v35, v39, vcc
	global_store_dword v[38:39], v17, off
	s_or_b64 exec, exec, s[38:39]
	s_and_saveexec_b64 s[38:39], s[26:27]
	s_cbranch_execz .LBB967_210
.LBB967_277:
	v_sub_u32_e32 v38, v32, v50
	v_mov_b32_e32 v39, 0
	v_lshlrev_b64 v[38:39], 2, v[38:39]
	v_add_co_u32_e32 v38, vcc, v34, v38
	v_addc_co_u32_e32 v39, vcc, v35, v39, vcc
	global_store_dword v[38:39], v14, off
	s_or_b64 exec, exec, s[38:39]
	s_and_saveexec_b64 s[38:39], s[24:25]
	s_cbranch_execz .LBB967_211
.LBB967_278:
	v_sub_u32_e32 v38, v31, v50
	v_mov_b32_e32 v39, 0
	v_lshlrev_b64 v[38:39], 2, v[38:39]
	v_add_co_u32_e32 v38, vcc, v34, v38
	v_addc_co_u32_e32 v39, vcc, v35, v39, vcc
	global_store_dword v[38:39], v15, off
	s_or_b64 exec, exec, s[38:39]
	s_and_saveexec_b64 s[38:39], s[22:23]
	s_cbranch_execz .LBB967_212
.LBB967_279:
	v_sub_u32_e32 v38, v30, v50
	v_mov_b32_e32 v39, 0
	v_lshlrev_b64 v[38:39], 2, v[38:39]
	v_add_co_u32_e32 v38, vcc, v34, v38
	v_addc_co_u32_e32 v39, vcc, v35, v39, vcc
	global_store_dword v[38:39], v12, off
	s_or_b64 exec, exec, s[38:39]
	s_and_saveexec_b64 s[38:39], s[20:21]
	s_cbranch_execz .LBB967_213
.LBB967_280:
	v_sub_u32_e32 v38, v29, v50
	v_mov_b32_e32 v39, 0
	v_lshlrev_b64 v[38:39], 2, v[38:39]
	v_add_co_u32_e32 v38, vcc, v34, v38
	v_addc_co_u32_e32 v39, vcc, v35, v39, vcc
	global_store_dword v[38:39], v13, off
	s_or_b64 exec, exec, s[38:39]
	s_and_saveexec_b64 s[38:39], s[18:19]
	s_cbranch_execz .LBB967_214
.LBB967_281:
	v_sub_u32_e32 v38, v28, v50
	v_mov_b32_e32 v39, 0
	v_lshlrev_b64 v[38:39], 2, v[38:39]
	v_add_co_u32_e32 v38, vcc, v34, v38
	v_addc_co_u32_e32 v39, vcc, v35, v39, vcc
	global_store_dword v[38:39], v10, off
	s_or_b64 exec, exec, s[38:39]
	s_and_saveexec_b64 s[38:39], s[16:17]
	s_cbranch_execz .LBB967_215
.LBB967_282:
	v_sub_u32_e32 v38, v27, v50
	v_mov_b32_e32 v39, 0
	v_lshlrev_b64 v[38:39], 2, v[38:39]
	v_add_co_u32_e32 v38, vcc, v34, v38
	v_addc_co_u32_e32 v39, vcc, v35, v39, vcc
	global_store_dword v[38:39], v11, off
	s_or_b64 exec, exec, s[38:39]
	s_and_saveexec_b64 s[38:39], s[14:15]
	s_cbranch_execz .LBB967_216
.LBB967_283:
	v_sub_u32_e32 v38, v26, v50
	v_mov_b32_e32 v39, 0
	v_lshlrev_b64 v[38:39], 2, v[38:39]
	v_add_co_u32_e32 v38, vcc, v34, v38
	v_addc_co_u32_e32 v39, vcc, v35, v39, vcc
	global_store_dword v[38:39], v8, off
	s_or_b64 exec, exec, s[38:39]
	s_and_saveexec_b64 s[38:39], s[12:13]
	s_cbranch_execz .LBB967_217
.LBB967_284:
	v_sub_u32_e32 v38, v25, v50
	v_mov_b32_e32 v39, 0
	v_lshlrev_b64 v[38:39], 2, v[38:39]
	v_add_co_u32_e32 v38, vcc, v34, v38
	v_addc_co_u32_e32 v39, vcc, v35, v39, vcc
	global_store_dword v[38:39], v9, off
	s_or_b64 exec, exec, s[38:39]
	s_and_saveexec_b64 s[38:39], s[10:11]
	s_cbranch_execz .LBB967_218
.LBB967_285:
	v_sub_u32_e32 v38, v24, v50
	v_mov_b32_e32 v39, 0
	v_lshlrev_b64 v[38:39], 2, v[38:39]
	v_add_co_u32_e32 v38, vcc, v34, v38
	v_addc_co_u32_e32 v39, vcc, v35, v39, vcc
	global_store_dword v[38:39], v6, off
	s_or_b64 exec, exec, s[38:39]
	s_and_saveexec_b64 s[38:39], s[8:9]
	s_cbranch_execz .LBB967_219
.LBB967_286:
	v_sub_u32_e32 v38, v23, v50
	v_mov_b32_e32 v39, 0
	v_lshlrev_b64 v[38:39], 2, v[38:39]
	v_add_co_u32_e32 v38, vcc, v34, v38
	v_addc_co_u32_e32 v39, vcc, v35, v39, vcc
	global_store_dword v[38:39], v7, off
	s_or_b64 exec, exec, s[38:39]
	s_and_saveexec_b64 s[38:39], s[6:7]
	s_cbranch_execz .LBB967_220
.LBB967_287:
	v_sub_u32_e32 v38, v22, v50
	v_mov_b32_e32 v39, 0
	v_lshlrev_b64 v[38:39], 2, v[38:39]
	v_add_co_u32_e32 v38, vcc, v34, v38
	v_addc_co_u32_e32 v39, vcc, v35, v39, vcc
	global_store_dword v[38:39], v4, off
	s_or_b64 exec, exec, s[38:39]
	s_and_saveexec_b64 s[38:39], s[4:5]
	s_cbranch_execnz .LBB967_221
	s_branch .LBB967_222
.LBB967_288:
	v_sub_u32_e32 v36, v83, v50
	v_lshlrev_b32_e32 v36, 2, v36
	ds_write_b32 v36, v16
	s_or_b64 exec, exec, s[38:39]
	s_and_saveexec_b64 s[30:31], s[28:29]
	s_cbranch_execz .LBB967_226
.LBB967_289:
	v_sub_u32_e32 v16, v33, v50
	v_lshlrev_b32_e32 v16, 2, v16
	ds_write_b32 v16, v17
	s_or_b64 exec, exec, s[30:31]
	s_and_saveexec_b64 s[28:29], s[26:27]
	s_cbranch_execz .LBB967_227
.LBB967_290:
	v_sub_u32_e32 v16, v32, v50
	v_lshlrev_b32_e32 v16, 2, v16
	ds_write_b32 v16, v14
	s_or_b64 exec, exec, s[28:29]
	s_and_saveexec_b64 s[26:27], s[24:25]
	s_cbranch_execz .LBB967_228
.LBB967_291:
	v_sub_u32_e32 v14, v31, v50
	v_lshlrev_b32_e32 v14, 2, v14
	ds_write_b32 v14, v15
	s_or_b64 exec, exec, s[26:27]
	s_and_saveexec_b64 s[24:25], s[22:23]
	s_cbranch_execz .LBB967_229
.LBB967_292:
	v_sub_u32_e32 v14, v30, v50
	v_lshlrev_b32_e32 v14, 2, v14
	ds_write_b32 v14, v12
	s_or_b64 exec, exec, s[24:25]
	s_and_saveexec_b64 s[22:23], s[20:21]
	s_cbranch_execz .LBB967_230
.LBB967_293:
	v_sub_u32_e32 v12, v29, v50
	v_lshlrev_b32_e32 v12, 2, v12
	ds_write_b32 v12, v13
	s_or_b64 exec, exec, s[22:23]
	s_and_saveexec_b64 s[20:21], s[18:19]
	s_cbranch_execz .LBB967_231
.LBB967_294:
	v_sub_u32_e32 v12, v28, v50
	v_lshlrev_b32_e32 v12, 2, v12
	ds_write_b32 v12, v10
	s_or_b64 exec, exec, s[20:21]
	s_and_saveexec_b64 s[18:19], s[16:17]
	s_cbranch_execz .LBB967_232
.LBB967_295:
	v_sub_u32_e32 v10, v27, v50
	v_lshlrev_b32_e32 v10, 2, v10
	ds_write_b32 v10, v11
	s_or_b64 exec, exec, s[18:19]
	s_and_saveexec_b64 s[16:17], s[14:15]
	s_cbranch_execz .LBB967_233
.LBB967_296:
	v_sub_u32_e32 v10, v26, v50
	v_lshlrev_b32_e32 v10, 2, v10
	ds_write_b32 v10, v8
	s_or_b64 exec, exec, s[16:17]
	s_and_saveexec_b64 s[14:15], s[12:13]
	s_cbranch_execz .LBB967_234
.LBB967_297:
	v_sub_u32_e32 v8, v25, v50
	v_lshlrev_b32_e32 v8, 2, v8
	ds_write_b32 v8, v9
	s_or_b64 exec, exec, s[14:15]
	s_and_saveexec_b64 s[12:13], s[10:11]
	s_cbranch_execz .LBB967_235
.LBB967_298:
	v_sub_u32_e32 v8, v24, v50
	v_lshlrev_b32_e32 v8, 2, v8
	ds_write_b32 v8, v6
	s_or_b64 exec, exec, s[12:13]
	s_and_saveexec_b64 s[10:11], s[8:9]
	s_cbranch_execz .LBB967_236
.LBB967_299:
	v_sub_u32_e32 v6, v23, v50
	v_lshlrev_b32_e32 v6, 2, v6
	ds_write_b32 v6, v7
	s_or_b64 exec, exec, s[10:11]
	s_and_saveexec_b64 s[8:9], s[6:7]
	s_cbranch_execz .LBB967_237
.LBB967_300:
	v_sub_u32_e32 v6, v22, v50
	v_lshlrev_b32_e32 v6, 2, v6
	ds_write_b32 v6, v4
	s_or_b64 exec, exec, s[8:9]
	s_and_saveexec_b64 s[6:7], s[4:5]
	s_cbranch_execnz .LBB967_238
	s_branch .LBB967_239
.LBB967_301:
	v_sub_u32_e32 v10, v83, v8
	v_mov_b32_e32 v11, 0
	v_lshlrev_b64 v[10:11], 3, v[10:11]
	v_add_co_u32_e32 v10, vcc, v6, v10
	v_addc_co_u32_e32 v11, vcc, v7, v11, vcc
	global_store_dwordx2 v[10:11], v[76:77], off
	s_or_b64 exec, exec, s[36:37]
	s_and_saveexec_b64 s[36:37], s[26:27]
	s_cbranch_execz .LBB967_243
.LBB967_302:
	v_sub_u32_e32 v10, v33, v8
	v_mov_b32_e32 v11, 0
	v_lshlrev_b64 v[10:11], 3, v[10:11]
	v_add_co_u32_e32 v10, vcc, v6, v10
	v_addc_co_u32_e32 v11, vcc, v7, v11, vcc
	global_store_dwordx2 v[10:11], v[52:53], off
	s_or_b64 exec, exec, s[36:37]
	s_and_saveexec_b64 s[36:37], s[24:25]
	s_cbranch_execz .LBB967_244
.LBB967_303:
	v_sub_u32_e32 v10, v32, v8
	v_mov_b32_e32 v11, 0
	v_lshlrev_b64 v[10:11], 3, v[10:11]
	v_add_co_u32_e32 v10, vcc, v6, v10
	v_addc_co_u32_e32 v11, vcc, v7, v11, vcc
	global_store_dwordx2 v[10:11], v[54:55], off
	s_or_b64 exec, exec, s[36:37]
	s_and_saveexec_b64 s[36:37], s[22:23]
	s_cbranch_execz .LBB967_245
.LBB967_304:
	v_sub_u32_e32 v10, v31, v8
	v_mov_b32_e32 v11, 0
	v_lshlrev_b64 v[10:11], 3, v[10:11]
	v_add_co_u32_e32 v10, vcc, v6, v10
	v_addc_co_u32_e32 v11, vcc, v7, v11, vcc
	global_store_dwordx2 v[10:11], v[56:57], off
	s_or_b64 exec, exec, s[36:37]
	s_and_saveexec_b64 s[36:37], s[20:21]
	s_cbranch_execz .LBB967_246
.LBB967_305:
	v_sub_u32_e32 v10, v30, v8
	v_mov_b32_e32 v11, 0
	v_lshlrev_b64 v[10:11], 3, v[10:11]
	v_add_co_u32_e32 v10, vcc, v6, v10
	v_addc_co_u32_e32 v11, vcc, v7, v11, vcc
	global_store_dwordx2 v[10:11], v[58:59], off
	s_or_b64 exec, exec, s[36:37]
	s_and_saveexec_b64 s[36:37], s[18:19]
	s_cbranch_execz .LBB967_247
.LBB967_306:
	v_sub_u32_e32 v10, v29, v8
	v_mov_b32_e32 v11, 0
	v_lshlrev_b64 v[10:11], 3, v[10:11]
	v_add_co_u32_e32 v10, vcc, v6, v10
	v_addc_co_u32_e32 v11, vcc, v7, v11, vcc
	global_store_dwordx2 v[10:11], v[60:61], off
	s_or_b64 exec, exec, s[36:37]
	s_and_saveexec_b64 s[36:37], s[16:17]
	s_cbranch_execz .LBB967_248
.LBB967_307:
	v_sub_u32_e32 v10, v28, v8
	v_mov_b32_e32 v11, 0
	v_lshlrev_b64 v[10:11], 3, v[10:11]
	v_add_co_u32_e32 v10, vcc, v6, v10
	v_addc_co_u32_e32 v11, vcc, v7, v11, vcc
	global_store_dwordx2 v[10:11], v[62:63], off
	s_or_b64 exec, exec, s[36:37]
	s_and_saveexec_b64 s[36:37], s[14:15]
	s_cbranch_execz .LBB967_249
.LBB967_308:
	v_sub_u32_e32 v10, v27, v8
	v_mov_b32_e32 v11, 0
	v_lshlrev_b64 v[10:11], 3, v[10:11]
	v_add_co_u32_e32 v10, vcc, v6, v10
	v_addc_co_u32_e32 v11, vcc, v7, v11, vcc
	global_store_dwordx2 v[10:11], v[64:65], off
	s_or_b64 exec, exec, s[36:37]
	s_and_saveexec_b64 s[36:37], s[12:13]
	s_cbranch_execz .LBB967_250
.LBB967_309:
	v_sub_u32_e32 v10, v26, v8
	v_mov_b32_e32 v11, 0
	v_lshlrev_b64 v[10:11], 3, v[10:11]
	v_add_co_u32_e32 v10, vcc, v6, v10
	v_addc_co_u32_e32 v11, vcc, v7, v11, vcc
	global_store_dwordx2 v[10:11], v[66:67], off
	s_or_b64 exec, exec, s[36:37]
	s_and_saveexec_b64 s[36:37], s[10:11]
	s_cbranch_execz .LBB967_251
.LBB967_310:
	v_sub_u32_e32 v10, v25, v8
	v_mov_b32_e32 v11, 0
	v_lshlrev_b64 v[10:11], 3, v[10:11]
	v_add_co_u32_e32 v10, vcc, v6, v10
	v_addc_co_u32_e32 v11, vcc, v7, v11, vcc
	global_store_dwordx2 v[10:11], v[68:69], off
	s_or_b64 exec, exec, s[36:37]
	s_and_saveexec_b64 s[36:37], s[8:9]
	s_cbranch_execz .LBB967_252
.LBB967_311:
	v_sub_u32_e32 v10, v24, v8
	v_mov_b32_e32 v11, 0
	v_lshlrev_b64 v[10:11], 3, v[10:11]
	v_add_co_u32_e32 v10, vcc, v6, v10
	v_addc_co_u32_e32 v11, vcc, v7, v11, vcc
	global_store_dwordx2 v[10:11], v[70:71], off
	s_or_b64 exec, exec, s[36:37]
	s_and_saveexec_b64 s[36:37], s[6:7]
	s_cbranch_execz .LBB967_253
.LBB967_312:
	v_sub_u32_e32 v10, v23, v8
	v_mov_b32_e32 v11, 0
	v_lshlrev_b64 v[10:11], 3, v[10:11]
	v_add_co_u32_e32 v10, vcc, v6, v10
	v_addc_co_u32_e32 v11, vcc, v7, v11, vcc
	global_store_dwordx2 v[10:11], v[72:73], off
	s_or_b64 exec, exec, s[36:37]
	s_and_saveexec_b64 s[36:37], s[4:5]
	s_cbranch_execz .LBB967_254
.LBB967_313:
	v_sub_u32_e32 v10, v22, v8
	v_mov_b32_e32 v11, 0
	v_lshlrev_b64 v[10:11], 3, v[10:11]
	v_add_co_u32_e32 v10, vcc, v6, v10
	v_addc_co_u32_e32 v11, vcc, v7, v11, vcc
	global_store_dwordx2 v[10:11], v[74:75], off
	s_or_b64 exec, exec, s[36:37]
	s_and_saveexec_b64 s[36:37], s[2:3]
	s_cbranch_execnz .LBB967_255
	s_branch .LBB967_256
.LBB967_314:
	v_sub_u32_e32 v9, v83, v8
	v_lshlrev_b32_e32 v9, 3, v9
	ds_write_b64 v9, v[76:77]
	s_or_b64 exec, exec, s[36:37]
	s_and_saveexec_b64 s[28:29], s[26:27]
	s_cbranch_execz .LBB967_260
.LBB967_315:
	v_sub_u32_e32 v9, v33, v8
	v_lshlrev_b32_e32 v9, 3, v9
	ds_write_b64 v9, v[52:53]
	s_or_b64 exec, exec, s[28:29]
	s_and_saveexec_b64 s[26:27], s[24:25]
	s_cbranch_execz .LBB967_261
.LBB967_316:
	v_sub_u32_e32 v9, v32, v8
	v_lshlrev_b32_e32 v9, 3, v9
	ds_write_b64 v9, v[54:55]
	s_or_b64 exec, exec, s[26:27]
	s_and_saveexec_b64 s[24:25], s[22:23]
	s_cbranch_execz .LBB967_262
.LBB967_317:
	v_sub_u32_e32 v9, v31, v8
	v_lshlrev_b32_e32 v9, 3, v9
	ds_write_b64 v9, v[56:57]
	s_or_b64 exec, exec, s[24:25]
	s_and_saveexec_b64 s[22:23], s[20:21]
	s_cbranch_execz .LBB967_263
.LBB967_318:
	v_sub_u32_e32 v9, v30, v8
	v_lshlrev_b32_e32 v9, 3, v9
	ds_write_b64 v9, v[58:59]
	s_or_b64 exec, exec, s[22:23]
	s_and_saveexec_b64 s[20:21], s[18:19]
	s_cbranch_execz .LBB967_264
.LBB967_319:
	v_sub_u32_e32 v9, v29, v8
	v_lshlrev_b32_e32 v9, 3, v9
	ds_write_b64 v9, v[60:61]
	s_or_b64 exec, exec, s[20:21]
	s_and_saveexec_b64 s[18:19], s[16:17]
	s_cbranch_execz .LBB967_265
.LBB967_320:
	v_sub_u32_e32 v9, v28, v8
	v_lshlrev_b32_e32 v9, 3, v9
	ds_write_b64 v9, v[62:63]
	s_or_b64 exec, exec, s[18:19]
	s_and_saveexec_b64 s[16:17], s[14:15]
	s_cbranch_execz .LBB967_266
.LBB967_321:
	v_sub_u32_e32 v9, v27, v8
	v_lshlrev_b32_e32 v9, 3, v9
	ds_write_b64 v9, v[64:65]
	s_or_b64 exec, exec, s[16:17]
	s_and_saveexec_b64 s[14:15], s[12:13]
	s_cbranch_execz .LBB967_267
.LBB967_322:
	v_sub_u32_e32 v9, v26, v8
	v_lshlrev_b32_e32 v9, 3, v9
	ds_write_b64 v9, v[66:67]
	s_or_b64 exec, exec, s[14:15]
	s_and_saveexec_b64 s[12:13], s[10:11]
	s_cbranch_execz .LBB967_268
.LBB967_323:
	v_sub_u32_e32 v9, v25, v8
	v_lshlrev_b32_e32 v9, 3, v9
	ds_write_b64 v9, v[68:69]
	s_or_b64 exec, exec, s[12:13]
	s_and_saveexec_b64 s[10:11], s[8:9]
	s_cbranch_execz .LBB967_269
.LBB967_324:
	v_sub_u32_e32 v9, v24, v8
	v_lshlrev_b32_e32 v9, 3, v9
	ds_write_b64 v9, v[70:71]
	s_or_b64 exec, exec, s[10:11]
	s_and_saveexec_b64 s[8:9], s[6:7]
	s_cbranch_execz .LBB967_270
.LBB967_325:
	v_sub_u32_e32 v9, v23, v8
	v_lshlrev_b32_e32 v9, 3, v9
	ds_write_b64 v9, v[72:73]
	s_or_b64 exec, exec, s[8:9]
	s_and_saveexec_b64 s[6:7], s[4:5]
	s_cbranch_execz .LBB967_271
.LBB967_326:
	v_sub_u32_e32 v9, v22, v8
	v_lshlrev_b32_e32 v9, 3, v9
	ds_write_b64 v9, v[74:75]
	s_or_b64 exec, exec, s[6:7]
	s_and_saveexec_b64 s[4:5], s[2:3]
	s_cbranch_execnz .LBB967_272
	s_branch .LBB967_273
	.section	.rodata,"a",@progbits
	.p2align	6, 0x0
	.amdhsa_kernel _ZN7rocprim17ROCPRIM_400000_NS6detail17trampoline_kernelINS0_14default_configENS1_29reduce_by_key_config_selectorIilN6thrust23THRUST_200600_302600_NS4plusIlEEEEZZNS1_33reduce_by_key_impl_wrapped_configILNS1_25lookback_scan_determinismE0ES3_S9_PiNS6_17constant_iteratorIiNS6_11use_defaultESE_EENS6_10device_ptrIiEENSG_IlEEPmS8_NS6_8equal_toIiEEEE10hipError_tPvRmT2_T3_mT4_T5_T6_T7_T8_P12ihipStream_tbENKUlT_T0_E_clISt17integral_constantIbLb0EES12_IbLb1EEEEDaSY_SZ_EUlSY_E_NS1_11comp_targetILNS1_3genE4ELNS1_11target_archE910ELNS1_3gpuE8ELNS1_3repE0EEENS1_30default_config_static_selectorELNS0_4arch9wavefront6targetE1EEEvT1_
		.amdhsa_group_segment_fixed_size 30720
		.amdhsa_private_segment_fixed_size 0
		.amdhsa_kernarg_size 144
		.amdhsa_user_sgpr_count 6
		.amdhsa_user_sgpr_private_segment_buffer 1
		.amdhsa_user_sgpr_dispatch_ptr 0
		.amdhsa_user_sgpr_queue_ptr 0
		.amdhsa_user_sgpr_kernarg_segment_ptr 1
		.amdhsa_user_sgpr_dispatch_id 0
		.amdhsa_user_sgpr_flat_scratch_init 0
		.amdhsa_user_sgpr_kernarg_preload_length 0
		.amdhsa_user_sgpr_kernarg_preload_offset 0
		.amdhsa_user_sgpr_private_segment_size 0
		.amdhsa_uses_dynamic_stack 0
		.amdhsa_system_sgpr_private_segment_wavefront_offset 0
		.amdhsa_system_sgpr_workgroup_id_x 1
		.amdhsa_system_sgpr_workgroup_id_y 0
		.amdhsa_system_sgpr_workgroup_id_z 0
		.amdhsa_system_sgpr_workgroup_info 0
		.amdhsa_system_vgpr_workitem_id 0
		.amdhsa_next_free_vgpr 122
		.amdhsa_next_free_sgpr 64
		.amdhsa_accum_offset 124
		.amdhsa_reserve_vcc 1
		.amdhsa_reserve_flat_scratch 0
		.amdhsa_float_round_mode_32 0
		.amdhsa_float_round_mode_16_64 0
		.amdhsa_float_denorm_mode_32 3
		.amdhsa_float_denorm_mode_16_64 3
		.amdhsa_dx10_clamp 1
		.amdhsa_ieee_mode 1
		.amdhsa_fp16_overflow 0
		.amdhsa_tg_split 0
		.amdhsa_exception_fp_ieee_invalid_op 0
		.amdhsa_exception_fp_denorm_src 0
		.amdhsa_exception_fp_ieee_div_zero 0
		.amdhsa_exception_fp_ieee_overflow 0
		.amdhsa_exception_fp_ieee_underflow 0
		.amdhsa_exception_fp_ieee_inexact 0
		.amdhsa_exception_int_div_zero 0
	.end_amdhsa_kernel
	.section	.text._ZN7rocprim17ROCPRIM_400000_NS6detail17trampoline_kernelINS0_14default_configENS1_29reduce_by_key_config_selectorIilN6thrust23THRUST_200600_302600_NS4plusIlEEEEZZNS1_33reduce_by_key_impl_wrapped_configILNS1_25lookback_scan_determinismE0ES3_S9_PiNS6_17constant_iteratorIiNS6_11use_defaultESE_EENS6_10device_ptrIiEENSG_IlEEPmS8_NS6_8equal_toIiEEEE10hipError_tPvRmT2_T3_mT4_T5_T6_T7_T8_P12ihipStream_tbENKUlT_T0_E_clISt17integral_constantIbLb0EES12_IbLb1EEEEDaSY_SZ_EUlSY_E_NS1_11comp_targetILNS1_3genE4ELNS1_11target_archE910ELNS1_3gpuE8ELNS1_3repE0EEENS1_30default_config_static_selectorELNS0_4arch9wavefront6targetE1EEEvT1_,"axG",@progbits,_ZN7rocprim17ROCPRIM_400000_NS6detail17trampoline_kernelINS0_14default_configENS1_29reduce_by_key_config_selectorIilN6thrust23THRUST_200600_302600_NS4plusIlEEEEZZNS1_33reduce_by_key_impl_wrapped_configILNS1_25lookback_scan_determinismE0ES3_S9_PiNS6_17constant_iteratorIiNS6_11use_defaultESE_EENS6_10device_ptrIiEENSG_IlEEPmS8_NS6_8equal_toIiEEEE10hipError_tPvRmT2_T3_mT4_T5_T6_T7_T8_P12ihipStream_tbENKUlT_T0_E_clISt17integral_constantIbLb0EES12_IbLb1EEEEDaSY_SZ_EUlSY_E_NS1_11comp_targetILNS1_3genE4ELNS1_11target_archE910ELNS1_3gpuE8ELNS1_3repE0EEENS1_30default_config_static_selectorELNS0_4arch9wavefront6targetE1EEEvT1_,comdat
.Lfunc_end967:
	.size	_ZN7rocprim17ROCPRIM_400000_NS6detail17trampoline_kernelINS0_14default_configENS1_29reduce_by_key_config_selectorIilN6thrust23THRUST_200600_302600_NS4plusIlEEEEZZNS1_33reduce_by_key_impl_wrapped_configILNS1_25lookback_scan_determinismE0ES3_S9_PiNS6_17constant_iteratorIiNS6_11use_defaultESE_EENS6_10device_ptrIiEENSG_IlEEPmS8_NS6_8equal_toIiEEEE10hipError_tPvRmT2_T3_mT4_T5_T6_T7_T8_P12ihipStream_tbENKUlT_T0_E_clISt17integral_constantIbLb0EES12_IbLb1EEEEDaSY_SZ_EUlSY_E_NS1_11comp_targetILNS1_3genE4ELNS1_11target_archE910ELNS1_3gpuE8ELNS1_3repE0EEENS1_30default_config_static_selectorELNS0_4arch9wavefront6targetE1EEEvT1_, .Lfunc_end967-_ZN7rocprim17ROCPRIM_400000_NS6detail17trampoline_kernelINS0_14default_configENS1_29reduce_by_key_config_selectorIilN6thrust23THRUST_200600_302600_NS4plusIlEEEEZZNS1_33reduce_by_key_impl_wrapped_configILNS1_25lookback_scan_determinismE0ES3_S9_PiNS6_17constant_iteratorIiNS6_11use_defaultESE_EENS6_10device_ptrIiEENSG_IlEEPmS8_NS6_8equal_toIiEEEE10hipError_tPvRmT2_T3_mT4_T5_T6_T7_T8_P12ihipStream_tbENKUlT_T0_E_clISt17integral_constantIbLb0EES12_IbLb1EEEEDaSY_SZ_EUlSY_E_NS1_11comp_targetILNS1_3genE4ELNS1_11target_archE910ELNS1_3gpuE8ELNS1_3repE0EEENS1_30default_config_static_selectorELNS0_4arch9wavefront6targetE1EEEvT1_
                                        ; -- End function
	.section	.AMDGPU.csdata,"",@progbits
; Kernel info:
; codeLenInByte = 17168
; NumSgprs: 68
; NumVgprs: 122
; NumAgprs: 0
; TotalNumVgprs: 122
; ScratchSize: 0
; MemoryBound: 0
; FloatMode: 240
; IeeeMode: 1
; LDSByteSize: 30720 bytes/workgroup (compile time only)
; SGPRBlocks: 8
; VGPRBlocks: 15
; NumSGPRsForWavesPerEU: 68
; NumVGPRsForWavesPerEU: 122
; AccumOffset: 124
; Occupancy: 2
; WaveLimiterHint : 1
; COMPUTE_PGM_RSRC2:SCRATCH_EN: 0
; COMPUTE_PGM_RSRC2:USER_SGPR: 6
; COMPUTE_PGM_RSRC2:TRAP_HANDLER: 0
; COMPUTE_PGM_RSRC2:TGID_X_EN: 1
; COMPUTE_PGM_RSRC2:TGID_Y_EN: 0
; COMPUTE_PGM_RSRC2:TGID_Z_EN: 0
; COMPUTE_PGM_RSRC2:TIDIG_COMP_CNT: 0
; COMPUTE_PGM_RSRC3_GFX90A:ACCUM_OFFSET: 30
; COMPUTE_PGM_RSRC3_GFX90A:TG_SPLIT: 0
	.section	.text._ZN7rocprim17ROCPRIM_400000_NS6detail17trampoline_kernelINS0_14default_configENS1_29reduce_by_key_config_selectorIilN6thrust23THRUST_200600_302600_NS4plusIlEEEEZZNS1_33reduce_by_key_impl_wrapped_configILNS1_25lookback_scan_determinismE0ES3_S9_PiNS6_17constant_iteratorIiNS6_11use_defaultESE_EENS6_10device_ptrIiEENSG_IlEEPmS8_NS6_8equal_toIiEEEE10hipError_tPvRmT2_T3_mT4_T5_T6_T7_T8_P12ihipStream_tbENKUlT_T0_E_clISt17integral_constantIbLb0EES12_IbLb1EEEEDaSY_SZ_EUlSY_E_NS1_11comp_targetILNS1_3genE3ELNS1_11target_archE908ELNS1_3gpuE7ELNS1_3repE0EEENS1_30default_config_static_selectorELNS0_4arch9wavefront6targetE1EEEvT1_,"axG",@progbits,_ZN7rocprim17ROCPRIM_400000_NS6detail17trampoline_kernelINS0_14default_configENS1_29reduce_by_key_config_selectorIilN6thrust23THRUST_200600_302600_NS4plusIlEEEEZZNS1_33reduce_by_key_impl_wrapped_configILNS1_25lookback_scan_determinismE0ES3_S9_PiNS6_17constant_iteratorIiNS6_11use_defaultESE_EENS6_10device_ptrIiEENSG_IlEEPmS8_NS6_8equal_toIiEEEE10hipError_tPvRmT2_T3_mT4_T5_T6_T7_T8_P12ihipStream_tbENKUlT_T0_E_clISt17integral_constantIbLb0EES12_IbLb1EEEEDaSY_SZ_EUlSY_E_NS1_11comp_targetILNS1_3genE3ELNS1_11target_archE908ELNS1_3gpuE7ELNS1_3repE0EEENS1_30default_config_static_selectorELNS0_4arch9wavefront6targetE1EEEvT1_,comdat
	.protected	_ZN7rocprim17ROCPRIM_400000_NS6detail17trampoline_kernelINS0_14default_configENS1_29reduce_by_key_config_selectorIilN6thrust23THRUST_200600_302600_NS4plusIlEEEEZZNS1_33reduce_by_key_impl_wrapped_configILNS1_25lookback_scan_determinismE0ES3_S9_PiNS6_17constant_iteratorIiNS6_11use_defaultESE_EENS6_10device_ptrIiEENSG_IlEEPmS8_NS6_8equal_toIiEEEE10hipError_tPvRmT2_T3_mT4_T5_T6_T7_T8_P12ihipStream_tbENKUlT_T0_E_clISt17integral_constantIbLb0EES12_IbLb1EEEEDaSY_SZ_EUlSY_E_NS1_11comp_targetILNS1_3genE3ELNS1_11target_archE908ELNS1_3gpuE7ELNS1_3repE0EEENS1_30default_config_static_selectorELNS0_4arch9wavefront6targetE1EEEvT1_ ; -- Begin function _ZN7rocprim17ROCPRIM_400000_NS6detail17trampoline_kernelINS0_14default_configENS1_29reduce_by_key_config_selectorIilN6thrust23THRUST_200600_302600_NS4plusIlEEEEZZNS1_33reduce_by_key_impl_wrapped_configILNS1_25lookback_scan_determinismE0ES3_S9_PiNS6_17constant_iteratorIiNS6_11use_defaultESE_EENS6_10device_ptrIiEENSG_IlEEPmS8_NS6_8equal_toIiEEEE10hipError_tPvRmT2_T3_mT4_T5_T6_T7_T8_P12ihipStream_tbENKUlT_T0_E_clISt17integral_constantIbLb0EES12_IbLb1EEEEDaSY_SZ_EUlSY_E_NS1_11comp_targetILNS1_3genE3ELNS1_11target_archE908ELNS1_3gpuE7ELNS1_3repE0EEENS1_30default_config_static_selectorELNS0_4arch9wavefront6targetE1EEEvT1_
	.globl	_ZN7rocprim17ROCPRIM_400000_NS6detail17trampoline_kernelINS0_14default_configENS1_29reduce_by_key_config_selectorIilN6thrust23THRUST_200600_302600_NS4plusIlEEEEZZNS1_33reduce_by_key_impl_wrapped_configILNS1_25lookback_scan_determinismE0ES3_S9_PiNS6_17constant_iteratorIiNS6_11use_defaultESE_EENS6_10device_ptrIiEENSG_IlEEPmS8_NS6_8equal_toIiEEEE10hipError_tPvRmT2_T3_mT4_T5_T6_T7_T8_P12ihipStream_tbENKUlT_T0_E_clISt17integral_constantIbLb0EES12_IbLb1EEEEDaSY_SZ_EUlSY_E_NS1_11comp_targetILNS1_3genE3ELNS1_11target_archE908ELNS1_3gpuE7ELNS1_3repE0EEENS1_30default_config_static_selectorELNS0_4arch9wavefront6targetE1EEEvT1_
	.p2align	8
	.type	_ZN7rocprim17ROCPRIM_400000_NS6detail17trampoline_kernelINS0_14default_configENS1_29reduce_by_key_config_selectorIilN6thrust23THRUST_200600_302600_NS4plusIlEEEEZZNS1_33reduce_by_key_impl_wrapped_configILNS1_25lookback_scan_determinismE0ES3_S9_PiNS6_17constant_iteratorIiNS6_11use_defaultESE_EENS6_10device_ptrIiEENSG_IlEEPmS8_NS6_8equal_toIiEEEE10hipError_tPvRmT2_T3_mT4_T5_T6_T7_T8_P12ihipStream_tbENKUlT_T0_E_clISt17integral_constantIbLb0EES12_IbLb1EEEEDaSY_SZ_EUlSY_E_NS1_11comp_targetILNS1_3genE3ELNS1_11target_archE908ELNS1_3gpuE7ELNS1_3repE0EEENS1_30default_config_static_selectorELNS0_4arch9wavefront6targetE1EEEvT1_,@function
_ZN7rocprim17ROCPRIM_400000_NS6detail17trampoline_kernelINS0_14default_configENS1_29reduce_by_key_config_selectorIilN6thrust23THRUST_200600_302600_NS4plusIlEEEEZZNS1_33reduce_by_key_impl_wrapped_configILNS1_25lookback_scan_determinismE0ES3_S9_PiNS6_17constant_iteratorIiNS6_11use_defaultESE_EENS6_10device_ptrIiEENSG_IlEEPmS8_NS6_8equal_toIiEEEE10hipError_tPvRmT2_T3_mT4_T5_T6_T7_T8_P12ihipStream_tbENKUlT_T0_E_clISt17integral_constantIbLb0EES12_IbLb1EEEEDaSY_SZ_EUlSY_E_NS1_11comp_targetILNS1_3genE3ELNS1_11target_archE908ELNS1_3gpuE7ELNS1_3repE0EEENS1_30default_config_static_selectorELNS0_4arch9wavefront6targetE1EEEvT1_: ; @_ZN7rocprim17ROCPRIM_400000_NS6detail17trampoline_kernelINS0_14default_configENS1_29reduce_by_key_config_selectorIilN6thrust23THRUST_200600_302600_NS4plusIlEEEEZZNS1_33reduce_by_key_impl_wrapped_configILNS1_25lookback_scan_determinismE0ES3_S9_PiNS6_17constant_iteratorIiNS6_11use_defaultESE_EENS6_10device_ptrIiEENSG_IlEEPmS8_NS6_8equal_toIiEEEE10hipError_tPvRmT2_T3_mT4_T5_T6_T7_T8_P12ihipStream_tbENKUlT_T0_E_clISt17integral_constantIbLb0EES12_IbLb1EEEEDaSY_SZ_EUlSY_E_NS1_11comp_targetILNS1_3genE3ELNS1_11target_archE908ELNS1_3gpuE7ELNS1_3repE0EEENS1_30default_config_static_selectorELNS0_4arch9wavefront6targetE1EEEvT1_
; %bb.0:
	.section	.rodata,"a",@progbits
	.p2align	6, 0x0
	.amdhsa_kernel _ZN7rocprim17ROCPRIM_400000_NS6detail17trampoline_kernelINS0_14default_configENS1_29reduce_by_key_config_selectorIilN6thrust23THRUST_200600_302600_NS4plusIlEEEEZZNS1_33reduce_by_key_impl_wrapped_configILNS1_25lookback_scan_determinismE0ES3_S9_PiNS6_17constant_iteratorIiNS6_11use_defaultESE_EENS6_10device_ptrIiEENSG_IlEEPmS8_NS6_8equal_toIiEEEE10hipError_tPvRmT2_T3_mT4_T5_T6_T7_T8_P12ihipStream_tbENKUlT_T0_E_clISt17integral_constantIbLb0EES12_IbLb1EEEEDaSY_SZ_EUlSY_E_NS1_11comp_targetILNS1_3genE3ELNS1_11target_archE908ELNS1_3gpuE7ELNS1_3repE0EEENS1_30default_config_static_selectorELNS0_4arch9wavefront6targetE1EEEvT1_
		.amdhsa_group_segment_fixed_size 0
		.amdhsa_private_segment_fixed_size 0
		.amdhsa_kernarg_size 144
		.amdhsa_user_sgpr_count 6
		.amdhsa_user_sgpr_private_segment_buffer 1
		.amdhsa_user_sgpr_dispatch_ptr 0
		.amdhsa_user_sgpr_queue_ptr 0
		.amdhsa_user_sgpr_kernarg_segment_ptr 1
		.amdhsa_user_sgpr_dispatch_id 0
		.amdhsa_user_sgpr_flat_scratch_init 0
		.amdhsa_user_sgpr_kernarg_preload_length 0
		.amdhsa_user_sgpr_kernarg_preload_offset 0
		.amdhsa_user_sgpr_private_segment_size 0
		.amdhsa_uses_dynamic_stack 0
		.amdhsa_system_sgpr_private_segment_wavefront_offset 0
		.amdhsa_system_sgpr_workgroup_id_x 1
		.amdhsa_system_sgpr_workgroup_id_y 0
		.amdhsa_system_sgpr_workgroup_id_z 0
		.amdhsa_system_sgpr_workgroup_info 0
		.amdhsa_system_vgpr_workitem_id 0
		.amdhsa_next_free_vgpr 1
		.amdhsa_next_free_sgpr 0
		.amdhsa_accum_offset 4
		.amdhsa_reserve_vcc 0
		.amdhsa_reserve_flat_scratch 0
		.amdhsa_float_round_mode_32 0
		.amdhsa_float_round_mode_16_64 0
		.amdhsa_float_denorm_mode_32 3
		.amdhsa_float_denorm_mode_16_64 3
		.amdhsa_dx10_clamp 1
		.amdhsa_ieee_mode 1
		.amdhsa_fp16_overflow 0
		.amdhsa_tg_split 0
		.amdhsa_exception_fp_ieee_invalid_op 0
		.amdhsa_exception_fp_denorm_src 0
		.amdhsa_exception_fp_ieee_div_zero 0
		.amdhsa_exception_fp_ieee_overflow 0
		.amdhsa_exception_fp_ieee_underflow 0
		.amdhsa_exception_fp_ieee_inexact 0
		.amdhsa_exception_int_div_zero 0
	.end_amdhsa_kernel
	.section	.text._ZN7rocprim17ROCPRIM_400000_NS6detail17trampoline_kernelINS0_14default_configENS1_29reduce_by_key_config_selectorIilN6thrust23THRUST_200600_302600_NS4plusIlEEEEZZNS1_33reduce_by_key_impl_wrapped_configILNS1_25lookback_scan_determinismE0ES3_S9_PiNS6_17constant_iteratorIiNS6_11use_defaultESE_EENS6_10device_ptrIiEENSG_IlEEPmS8_NS6_8equal_toIiEEEE10hipError_tPvRmT2_T3_mT4_T5_T6_T7_T8_P12ihipStream_tbENKUlT_T0_E_clISt17integral_constantIbLb0EES12_IbLb1EEEEDaSY_SZ_EUlSY_E_NS1_11comp_targetILNS1_3genE3ELNS1_11target_archE908ELNS1_3gpuE7ELNS1_3repE0EEENS1_30default_config_static_selectorELNS0_4arch9wavefront6targetE1EEEvT1_,"axG",@progbits,_ZN7rocprim17ROCPRIM_400000_NS6detail17trampoline_kernelINS0_14default_configENS1_29reduce_by_key_config_selectorIilN6thrust23THRUST_200600_302600_NS4plusIlEEEEZZNS1_33reduce_by_key_impl_wrapped_configILNS1_25lookback_scan_determinismE0ES3_S9_PiNS6_17constant_iteratorIiNS6_11use_defaultESE_EENS6_10device_ptrIiEENSG_IlEEPmS8_NS6_8equal_toIiEEEE10hipError_tPvRmT2_T3_mT4_T5_T6_T7_T8_P12ihipStream_tbENKUlT_T0_E_clISt17integral_constantIbLb0EES12_IbLb1EEEEDaSY_SZ_EUlSY_E_NS1_11comp_targetILNS1_3genE3ELNS1_11target_archE908ELNS1_3gpuE7ELNS1_3repE0EEENS1_30default_config_static_selectorELNS0_4arch9wavefront6targetE1EEEvT1_,comdat
.Lfunc_end968:
	.size	_ZN7rocprim17ROCPRIM_400000_NS6detail17trampoline_kernelINS0_14default_configENS1_29reduce_by_key_config_selectorIilN6thrust23THRUST_200600_302600_NS4plusIlEEEEZZNS1_33reduce_by_key_impl_wrapped_configILNS1_25lookback_scan_determinismE0ES3_S9_PiNS6_17constant_iteratorIiNS6_11use_defaultESE_EENS6_10device_ptrIiEENSG_IlEEPmS8_NS6_8equal_toIiEEEE10hipError_tPvRmT2_T3_mT4_T5_T6_T7_T8_P12ihipStream_tbENKUlT_T0_E_clISt17integral_constantIbLb0EES12_IbLb1EEEEDaSY_SZ_EUlSY_E_NS1_11comp_targetILNS1_3genE3ELNS1_11target_archE908ELNS1_3gpuE7ELNS1_3repE0EEENS1_30default_config_static_selectorELNS0_4arch9wavefront6targetE1EEEvT1_, .Lfunc_end968-_ZN7rocprim17ROCPRIM_400000_NS6detail17trampoline_kernelINS0_14default_configENS1_29reduce_by_key_config_selectorIilN6thrust23THRUST_200600_302600_NS4plusIlEEEEZZNS1_33reduce_by_key_impl_wrapped_configILNS1_25lookback_scan_determinismE0ES3_S9_PiNS6_17constant_iteratorIiNS6_11use_defaultESE_EENS6_10device_ptrIiEENSG_IlEEPmS8_NS6_8equal_toIiEEEE10hipError_tPvRmT2_T3_mT4_T5_T6_T7_T8_P12ihipStream_tbENKUlT_T0_E_clISt17integral_constantIbLb0EES12_IbLb1EEEEDaSY_SZ_EUlSY_E_NS1_11comp_targetILNS1_3genE3ELNS1_11target_archE908ELNS1_3gpuE7ELNS1_3repE0EEENS1_30default_config_static_selectorELNS0_4arch9wavefront6targetE1EEEvT1_
                                        ; -- End function
	.section	.AMDGPU.csdata,"",@progbits
; Kernel info:
; codeLenInByte = 0
; NumSgprs: 4
; NumVgprs: 0
; NumAgprs: 0
; TotalNumVgprs: 0
; ScratchSize: 0
; MemoryBound: 0
; FloatMode: 240
; IeeeMode: 1
; LDSByteSize: 0 bytes/workgroup (compile time only)
; SGPRBlocks: 0
; VGPRBlocks: 0
; NumSGPRsForWavesPerEU: 4
; NumVGPRsForWavesPerEU: 1
; AccumOffset: 4
; Occupancy: 8
; WaveLimiterHint : 0
; COMPUTE_PGM_RSRC2:SCRATCH_EN: 0
; COMPUTE_PGM_RSRC2:USER_SGPR: 6
; COMPUTE_PGM_RSRC2:TRAP_HANDLER: 0
; COMPUTE_PGM_RSRC2:TGID_X_EN: 1
; COMPUTE_PGM_RSRC2:TGID_Y_EN: 0
; COMPUTE_PGM_RSRC2:TGID_Z_EN: 0
; COMPUTE_PGM_RSRC2:TIDIG_COMP_CNT: 0
; COMPUTE_PGM_RSRC3_GFX90A:ACCUM_OFFSET: 0
; COMPUTE_PGM_RSRC3_GFX90A:TG_SPLIT: 0
	.section	.text._ZN7rocprim17ROCPRIM_400000_NS6detail17trampoline_kernelINS0_14default_configENS1_29reduce_by_key_config_selectorIilN6thrust23THRUST_200600_302600_NS4plusIlEEEEZZNS1_33reduce_by_key_impl_wrapped_configILNS1_25lookback_scan_determinismE0ES3_S9_PiNS6_17constant_iteratorIiNS6_11use_defaultESE_EENS6_10device_ptrIiEENSG_IlEEPmS8_NS6_8equal_toIiEEEE10hipError_tPvRmT2_T3_mT4_T5_T6_T7_T8_P12ihipStream_tbENKUlT_T0_E_clISt17integral_constantIbLb0EES12_IbLb1EEEEDaSY_SZ_EUlSY_E_NS1_11comp_targetILNS1_3genE2ELNS1_11target_archE906ELNS1_3gpuE6ELNS1_3repE0EEENS1_30default_config_static_selectorELNS0_4arch9wavefront6targetE1EEEvT1_,"axG",@progbits,_ZN7rocprim17ROCPRIM_400000_NS6detail17trampoline_kernelINS0_14default_configENS1_29reduce_by_key_config_selectorIilN6thrust23THRUST_200600_302600_NS4plusIlEEEEZZNS1_33reduce_by_key_impl_wrapped_configILNS1_25lookback_scan_determinismE0ES3_S9_PiNS6_17constant_iteratorIiNS6_11use_defaultESE_EENS6_10device_ptrIiEENSG_IlEEPmS8_NS6_8equal_toIiEEEE10hipError_tPvRmT2_T3_mT4_T5_T6_T7_T8_P12ihipStream_tbENKUlT_T0_E_clISt17integral_constantIbLb0EES12_IbLb1EEEEDaSY_SZ_EUlSY_E_NS1_11comp_targetILNS1_3genE2ELNS1_11target_archE906ELNS1_3gpuE6ELNS1_3repE0EEENS1_30default_config_static_selectorELNS0_4arch9wavefront6targetE1EEEvT1_,comdat
	.protected	_ZN7rocprim17ROCPRIM_400000_NS6detail17trampoline_kernelINS0_14default_configENS1_29reduce_by_key_config_selectorIilN6thrust23THRUST_200600_302600_NS4plusIlEEEEZZNS1_33reduce_by_key_impl_wrapped_configILNS1_25lookback_scan_determinismE0ES3_S9_PiNS6_17constant_iteratorIiNS6_11use_defaultESE_EENS6_10device_ptrIiEENSG_IlEEPmS8_NS6_8equal_toIiEEEE10hipError_tPvRmT2_T3_mT4_T5_T6_T7_T8_P12ihipStream_tbENKUlT_T0_E_clISt17integral_constantIbLb0EES12_IbLb1EEEEDaSY_SZ_EUlSY_E_NS1_11comp_targetILNS1_3genE2ELNS1_11target_archE906ELNS1_3gpuE6ELNS1_3repE0EEENS1_30default_config_static_selectorELNS0_4arch9wavefront6targetE1EEEvT1_ ; -- Begin function _ZN7rocprim17ROCPRIM_400000_NS6detail17trampoline_kernelINS0_14default_configENS1_29reduce_by_key_config_selectorIilN6thrust23THRUST_200600_302600_NS4plusIlEEEEZZNS1_33reduce_by_key_impl_wrapped_configILNS1_25lookback_scan_determinismE0ES3_S9_PiNS6_17constant_iteratorIiNS6_11use_defaultESE_EENS6_10device_ptrIiEENSG_IlEEPmS8_NS6_8equal_toIiEEEE10hipError_tPvRmT2_T3_mT4_T5_T6_T7_T8_P12ihipStream_tbENKUlT_T0_E_clISt17integral_constantIbLb0EES12_IbLb1EEEEDaSY_SZ_EUlSY_E_NS1_11comp_targetILNS1_3genE2ELNS1_11target_archE906ELNS1_3gpuE6ELNS1_3repE0EEENS1_30default_config_static_selectorELNS0_4arch9wavefront6targetE1EEEvT1_
	.globl	_ZN7rocprim17ROCPRIM_400000_NS6detail17trampoline_kernelINS0_14default_configENS1_29reduce_by_key_config_selectorIilN6thrust23THRUST_200600_302600_NS4plusIlEEEEZZNS1_33reduce_by_key_impl_wrapped_configILNS1_25lookback_scan_determinismE0ES3_S9_PiNS6_17constant_iteratorIiNS6_11use_defaultESE_EENS6_10device_ptrIiEENSG_IlEEPmS8_NS6_8equal_toIiEEEE10hipError_tPvRmT2_T3_mT4_T5_T6_T7_T8_P12ihipStream_tbENKUlT_T0_E_clISt17integral_constantIbLb0EES12_IbLb1EEEEDaSY_SZ_EUlSY_E_NS1_11comp_targetILNS1_3genE2ELNS1_11target_archE906ELNS1_3gpuE6ELNS1_3repE0EEENS1_30default_config_static_selectorELNS0_4arch9wavefront6targetE1EEEvT1_
	.p2align	8
	.type	_ZN7rocprim17ROCPRIM_400000_NS6detail17trampoline_kernelINS0_14default_configENS1_29reduce_by_key_config_selectorIilN6thrust23THRUST_200600_302600_NS4plusIlEEEEZZNS1_33reduce_by_key_impl_wrapped_configILNS1_25lookback_scan_determinismE0ES3_S9_PiNS6_17constant_iteratorIiNS6_11use_defaultESE_EENS6_10device_ptrIiEENSG_IlEEPmS8_NS6_8equal_toIiEEEE10hipError_tPvRmT2_T3_mT4_T5_T6_T7_T8_P12ihipStream_tbENKUlT_T0_E_clISt17integral_constantIbLb0EES12_IbLb1EEEEDaSY_SZ_EUlSY_E_NS1_11comp_targetILNS1_3genE2ELNS1_11target_archE906ELNS1_3gpuE6ELNS1_3repE0EEENS1_30default_config_static_selectorELNS0_4arch9wavefront6targetE1EEEvT1_,@function
_ZN7rocprim17ROCPRIM_400000_NS6detail17trampoline_kernelINS0_14default_configENS1_29reduce_by_key_config_selectorIilN6thrust23THRUST_200600_302600_NS4plusIlEEEEZZNS1_33reduce_by_key_impl_wrapped_configILNS1_25lookback_scan_determinismE0ES3_S9_PiNS6_17constant_iteratorIiNS6_11use_defaultESE_EENS6_10device_ptrIiEENSG_IlEEPmS8_NS6_8equal_toIiEEEE10hipError_tPvRmT2_T3_mT4_T5_T6_T7_T8_P12ihipStream_tbENKUlT_T0_E_clISt17integral_constantIbLb0EES12_IbLb1EEEEDaSY_SZ_EUlSY_E_NS1_11comp_targetILNS1_3genE2ELNS1_11target_archE906ELNS1_3gpuE6ELNS1_3repE0EEENS1_30default_config_static_selectorELNS0_4arch9wavefront6targetE1EEEvT1_: ; @_ZN7rocprim17ROCPRIM_400000_NS6detail17trampoline_kernelINS0_14default_configENS1_29reduce_by_key_config_selectorIilN6thrust23THRUST_200600_302600_NS4plusIlEEEEZZNS1_33reduce_by_key_impl_wrapped_configILNS1_25lookback_scan_determinismE0ES3_S9_PiNS6_17constant_iteratorIiNS6_11use_defaultESE_EENS6_10device_ptrIiEENSG_IlEEPmS8_NS6_8equal_toIiEEEE10hipError_tPvRmT2_T3_mT4_T5_T6_T7_T8_P12ihipStream_tbENKUlT_T0_E_clISt17integral_constantIbLb0EES12_IbLb1EEEEDaSY_SZ_EUlSY_E_NS1_11comp_targetILNS1_3genE2ELNS1_11target_archE906ELNS1_3gpuE6ELNS1_3repE0EEENS1_30default_config_static_selectorELNS0_4arch9wavefront6targetE1EEEvT1_
; %bb.0:
	.section	.rodata,"a",@progbits
	.p2align	6, 0x0
	.amdhsa_kernel _ZN7rocprim17ROCPRIM_400000_NS6detail17trampoline_kernelINS0_14default_configENS1_29reduce_by_key_config_selectorIilN6thrust23THRUST_200600_302600_NS4plusIlEEEEZZNS1_33reduce_by_key_impl_wrapped_configILNS1_25lookback_scan_determinismE0ES3_S9_PiNS6_17constant_iteratorIiNS6_11use_defaultESE_EENS6_10device_ptrIiEENSG_IlEEPmS8_NS6_8equal_toIiEEEE10hipError_tPvRmT2_T3_mT4_T5_T6_T7_T8_P12ihipStream_tbENKUlT_T0_E_clISt17integral_constantIbLb0EES12_IbLb1EEEEDaSY_SZ_EUlSY_E_NS1_11comp_targetILNS1_3genE2ELNS1_11target_archE906ELNS1_3gpuE6ELNS1_3repE0EEENS1_30default_config_static_selectorELNS0_4arch9wavefront6targetE1EEEvT1_
		.amdhsa_group_segment_fixed_size 0
		.amdhsa_private_segment_fixed_size 0
		.amdhsa_kernarg_size 144
		.amdhsa_user_sgpr_count 6
		.amdhsa_user_sgpr_private_segment_buffer 1
		.amdhsa_user_sgpr_dispatch_ptr 0
		.amdhsa_user_sgpr_queue_ptr 0
		.amdhsa_user_sgpr_kernarg_segment_ptr 1
		.amdhsa_user_sgpr_dispatch_id 0
		.amdhsa_user_sgpr_flat_scratch_init 0
		.amdhsa_user_sgpr_kernarg_preload_length 0
		.amdhsa_user_sgpr_kernarg_preload_offset 0
		.amdhsa_user_sgpr_private_segment_size 0
		.amdhsa_uses_dynamic_stack 0
		.amdhsa_system_sgpr_private_segment_wavefront_offset 0
		.amdhsa_system_sgpr_workgroup_id_x 1
		.amdhsa_system_sgpr_workgroup_id_y 0
		.amdhsa_system_sgpr_workgroup_id_z 0
		.amdhsa_system_sgpr_workgroup_info 0
		.amdhsa_system_vgpr_workitem_id 0
		.amdhsa_next_free_vgpr 1
		.amdhsa_next_free_sgpr 0
		.amdhsa_accum_offset 4
		.amdhsa_reserve_vcc 0
		.amdhsa_reserve_flat_scratch 0
		.amdhsa_float_round_mode_32 0
		.amdhsa_float_round_mode_16_64 0
		.amdhsa_float_denorm_mode_32 3
		.amdhsa_float_denorm_mode_16_64 3
		.amdhsa_dx10_clamp 1
		.amdhsa_ieee_mode 1
		.amdhsa_fp16_overflow 0
		.amdhsa_tg_split 0
		.amdhsa_exception_fp_ieee_invalid_op 0
		.amdhsa_exception_fp_denorm_src 0
		.amdhsa_exception_fp_ieee_div_zero 0
		.amdhsa_exception_fp_ieee_overflow 0
		.amdhsa_exception_fp_ieee_underflow 0
		.amdhsa_exception_fp_ieee_inexact 0
		.amdhsa_exception_int_div_zero 0
	.end_amdhsa_kernel
	.section	.text._ZN7rocprim17ROCPRIM_400000_NS6detail17trampoline_kernelINS0_14default_configENS1_29reduce_by_key_config_selectorIilN6thrust23THRUST_200600_302600_NS4plusIlEEEEZZNS1_33reduce_by_key_impl_wrapped_configILNS1_25lookback_scan_determinismE0ES3_S9_PiNS6_17constant_iteratorIiNS6_11use_defaultESE_EENS6_10device_ptrIiEENSG_IlEEPmS8_NS6_8equal_toIiEEEE10hipError_tPvRmT2_T3_mT4_T5_T6_T7_T8_P12ihipStream_tbENKUlT_T0_E_clISt17integral_constantIbLb0EES12_IbLb1EEEEDaSY_SZ_EUlSY_E_NS1_11comp_targetILNS1_3genE2ELNS1_11target_archE906ELNS1_3gpuE6ELNS1_3repE0EEENS1_30default_config_static_selectorELNS0_4arch9wavefront6targetE1EEEvT1_,"axG",@progbits,_ZN7rocprim17ROCPRIM_400000_NS6detail17trampoline_kernelINS0_14default_configENS1_29reduce_by_key_config_selectorIilN6thrust23THRUST_200600_302600_NS4plusIlEEEEZZNS1_33reduce_by_key_impl_wrapped_configILNS1_25lookback_scan_determinismE0ES3_S9_PiNS6_17constant_iteratorIiNS6_11use_defaultESE_EENS6_10device_ptrIiEENSG_IlEEPmS8_NS6_8equal_toIiEEEE10hipError_tPvRmT2_T3_mT4_T5_T6_T7_T8_P12ihipStream_tbENKUlT_T0_E_clISt17integral_constantIbLb0EES12_IbLb1EEEEDaSY_SZ_EUlSY_E_NS1_11comp_targetILNS1_3genE2ELNS1_11target_archE906ELNS1_3gpuE6ELNS1_3repE0EEENS1_30default_config_static_selectorELNS0_4arch9wavefront6targetE1EEEvT1_,comdat
.Lfunc_end969:
	.size	_ZN7rocprim17ROCPRIM_400000_NS6detail17trampoline_kernelINS0_14default_configENS1_29reduce_by_key_config_selectorIilN6thrust23THRUST_200600_302600_NS4plusIlEEEEZZNS1_33reduce_by_key_impl_wrapped_configILNS1_25lookback_scan_determinismE0ES3_S9_PiNS6_17constant_iteratorIiNS6_11use_defaultESE_EENS6_10device_ptrIiEENSG_IlEEPmS8_NS6_8equal_toIiEEEE10hipError_tPvRmT2_T3_mT4_T5_T6_T7_T8_P12ihipStream_tbENKUlT_T0_E_clISt17integral_constantIbLb0EES12_IbLb1EEEEDaSY_SZ_EUlSY_E_NS1_11comp_targetILNS1_3genE2ELNS1_11target_archE906ELNS1_3gpuE6ELNS1_3repE0EEENS1_30default_config_static_selectorELNS0_4arch9wavefront6targetE1EEEvT1_, .Lfunc_end969-_ZN7rocprim17ROCPRIM_400000_NS6detail17trampoline_kernelINS0_14default_configENS1_29reduce_by_key_config_selectorIilN6thrust23THRUST_200600_302600_NS4plusIlEEEEZZNS1_33reduce_by_key_impl_wrapped_configILNS1_25lookback_scan_determinismE0ES3_S9_PiNS6_17constant_iteratorIiNS6_11use_defaultESE_EENS6_10device_ptrIiEENSG_IlEEPmS8_NS6_8equal_toIiEEEE10hipError_tPvRmT2_T3_mT4_T5_T6_T7_T8_P12ihipStream_tbENKUlT_T0_E_clISt17integral_constantIbLb0EES12_IbLb1EEEEDaSY_SZ_EUlSY_E_NS1_11comp_targetILNS1_3genE2ELNS1_11target_archE906ELNS1_3gpuE6ELNS1_3repE0EEENS1_30default_config_static_selectorELNS0_4arch9wavefront6targetE1EEEvT1_
                                        ; -- End function
	.section	.AMDGPU.csdata,"",@progbits
; Kernel info:
; codeLenInByte = 0
; NumSgprs: 4
; NumVgprs: 0
; NumAgprs: 0
; TotalNumVgprs: 0
; ScratchSize: 0
; MemoryBound: 0
; FloatMode: 240
; IeeeMode: 1
; LDSByteSize: 0 bytes/workgroup (compile time only)
; SGPRBlocks: 0
; VGPRBlocks: 0
; NumSGPRsForWavesPerEU: 4
; NumVGPRsForWavesPerEU: 1
; AccumOffset: 4
; Occupancy: 8
; WaveLimiterHint : 0
; COMPUTE_PGM_RSRC2:SCRATCH_EN: 0
; COMPUTE_PGM_RSRC2:USER_SGPR: 6
; COMPUTE_PGM_RSRC2:TRAP_HANDLER: 0
; COMPUTE_PGM_RSRC2:TGID_X_EN: 1
; COMPUTE_PGM_RSRC2:TGID_Y_EN: 0
; COMPUTE_PGM_RSRC2:TGID_Z_EN: 0
; COMPUTE_PGM_RSRC2:TIDIG_COMP_CNT: 0
; COMPUTE_PGM_RSRC3_GFX90A:ACCUM_OFFSET: 0
; COMPUTE_PGM_RSRC3_GFX90A:TG_SPLIT: 0
	.section	.text._ZN7rocprim17ROCPRIM_400000_NS6detail17trampoline_kernelINS0_14default_configENS1_29reduce_by_key_config_selectorIilN6thrust23THRUST_200600_302600_NS4plusIlEEEEZZNS1_33reduce_by_key_impl_wrapped_configILNS1_25lookback_scan_determinismE0ES3_S9_PiNS6_17constant_iteratorIiNS6_11use_defaultESE_EENS6_10device_ptrIiEENSG_IlEEPmS8_NS6_8equal_toIiEEEE10hipError_tPvRmT2_T3_mT4_T5_T6_T7_T8_P12ihipStream_tbENKUlT_T0_E_clISt17integral_constantIbLb0EES12_IbLb1EEEEDaSY_SZ_EUlSY_E_NS1_11comp_targetILNS1_3genE10ELNS1_11target_archE1201ELNS1_3gpuE5ELNS1_3repE0EEENS1_30default_config_static_selectorELNS0_4arch9wavefront6targetE1EEEvT1_,"axG",@progbits,_ZN7rocprim17ROCPRIM_400000_NS6detail17trampoline_kernelINS0_14default_configENS1_29reduce_by_key_config_selectorIilN6thrust23THRUST_200600_302600_NS4plusIlEEEEZZNS1_33reduce_by_key_impl_wrapped_configILNS1_25lookback_scan_determinismE0ES3_S9_PiNS6_17constant_iteratorIiNS6_11use_defaultESE_EENS6_10device_ptrIiEENSG_IlEEPmS8_NS6_8equal_toIiEEEE10hipError_tPvRmT2_T3_mT4_T5_T6_T7_T8_P12ihipStream_tbENKUlT_T0_E_clISt17integral_constantIbLb0EES12_IbLb1EEEEDaSY_SZ_EUlSY_E_NS1_11comp_targetILNS1_3genE10ELNS1_11target_archE1201ELNS1_3gpuE5ELNS1_3repE0EEENS1_30default_config_static_selectorELNS0_4arch9wavefront6targetE1EEEvT1_,comdat
	.protected	_ZN7rocprim17ROCPRIM_400000_NS6detail17trampoline_kernelINS0_14default_configENS1_29reduce_by_key_config_selectorIilN6thrust23THRUST_200600_302600_NS4plusIlEEEEZZNS1_33reduce_by_key_impl_wrapped_configILNS1_25lookback_scan_determinismE0ES3_S9_PiNS6_17constant_iteratorIiNS6_11use_defaultESE_EENS6_10device_ptrIiEENSG_IlEEPmS8_NS6_8equal_toIiEEEE10hipError_tPvRmT2_T3_mT4_T5_T6_T7_T8_P12ihipStream_tbENKUlT_T0_E_clISt17integral_constantIbLb0EES12_IbLb1EEEEDaSY_SZ_EUlSY_E_NS1_11comp_targetILNS1_3genE10ELNS1_11target_archE1201ELNS1_3gpuE5ELNS1_3repE0EEENS1_30default_config_static_selectorELNS0_4arch9wavefront6targetE1EEEvT1_ ; -- Begin function _ZN7rocprim17ROCPRIM_400000_NS6detail17trampoline_kernelINS0_14default_configENS1_29reduce_by_key_config_selectorIilN6thrust23THRUST_200600_302600_NS4plusIlEEEEZZNS1_33reduce_by_key_impl_wrapped_configILNS1_25lookback_scan_determinismE0ES3_S9_PiNS6_17constant_iteratorIiNS6_11use_defaultESE_EENS6_10device_ptrIiEENSG_IlEEPmS8_NS6_8equal_toIiEEEE10hipError_tPvRmT2_T3_mT4_T5_T6_T7_T8_P12ihipStream_tbENKUlT_T0_E_clISt17integral_constantIbLb0EES12_IbLb1EEEEDaSY_SZ_EUlSY_E_NS1_11comp_targetILNS1_3genE10ELNS1_11target_archE1201ELNS1_3gpuE5ELNS1_3repE0EEENS1_30default_config_static_selectorELNS0_4arch9wavefront6targetE1EEEvT1_
	.globl	_ZN7rocprim17ROCPRIM_400000_NS6detail17trampoline_kernelINS0_14default_configENS1_29reduce_by_key_config_selectorIilN6thrust23THRUST_200600_302600_NS4plusIlEEEEZZNS1_33reduce_by_key_impl_wrapped_configILNS1_25lookback_scan_determinismE0ES3_S9_PiNS6_17constant_iteratorIiNS6_11use_defaultESE_EENS6_10device_ptrIiEENSG_IlEEPmS8_NS6_8equal_toIiEEEE10hipError_tPvRmT2_T3_mT4_T5_T6_T7_T8_P12ihipStream_tbENKUlT_T0_E_clISt17integral_constantIbLb0EES12_IbLb1EEEEDaSY_SZ_EUlSY_E_NS1_11comp_targetILNS1_3genE10ELNS1_11target_archE1201ELNS1_3gpuE5ELNS1_3repE0EEENS1_30default_config_static_selectorELNS0_4arch9wavefront6targetE1EEEvT1_
	.p2align	8
	.type	_ZN7rocprim17ROCPRIM_400000_NS6detail17trampoline_kernelINS0_14default_configENS1_29reduce_by_key_config_selectorIilN6thrust23THRUST_200600_302600_NS4plusIlEEEEZZNS1_33reduce_by_key_impl_wrapped_configILNS1_25lookback_scan_determinismE0ES3_S9_PiNS6_17constant_iteratorIiNS6_11use_defaultESE_EENS6_10device_ptrIiEENSG_IlEEPmS8_NS6_8equal_toIiEEEE10hipError_tPvRmT2_T3_mT4_T5_T6_T7_T8_P12ihipStream_tbENKUlT_T0_E_clISt17integral_constantIbLb0EES12_IbLb1EEEEDaSY_SZ_EUlSY_E_NS1_11comp_targetILNS1_3genE10ELNS1_11target_archE1201ELNS1_3gpuE5ELNS1_3repE0EEENS1_30default_config_static_selectorELNS0_4arch9wavefront6targetE1EEEvT1_,@function
_ZN7rocprim17ROCPRIM_400000_NS6detail17trampoline_kernelINS0_14default_configENS1_29reduce_by_key_config_selectorIilN6thrust23THRUST_200600_302600_NS4plusIlEEEEZZNS1_33reduce_by_key_impl_wrapped_configILNS1_25lookback_scan_determinismE0ES3_S9_PiNS6_17constant_iteratorIiNS6_11use_defaultESE_EENS6_10device_ptrIiEENSG_IlEEPmS8_NS6_8equal_toIiEEEE10hipError_tPvRmT2_T3_mT4_T5_T6_T7_T8_P12ihipStream_tbENKUlT_T0_E_clISt17integral_constantIbLb0EES12_IbLb1EEEEDaSY_SZ_EUlSY_E_NS1_11comp_targetILNS1_3genE10ELNS1_11target_archE1201ELNS1_3gpuE5ELNS1_3repE0EEENS1_30default_config_static_selectorELNS0_4arch9wavefront6targetE1EEEvT1_: ; @_ZN7rocprim17ROCPRIM_400000_NS6detail17trampoline_kernelINS0_14default_configENS1_29reduce_by_key_config_selectorIilN6thrust23THRUST_200600_302600_NS4plusIlEEEEZZNS1_33reduce_by_key_impl_wrapped_configILNS1_25lookback_scan_determinismE0ES3_S9_PiNS6_17constant_iteratorIiNS6_11use_defaultESE_EENS6_10device_ptrIiEENSG_IlEEPmS8_NS6_8equal_toIiEEEE10hipError_tPvRmT2_T3_mT4_T5_T6_T7_T8_P12ihipStream_tbENKUlT_T0_E_clISt17integral_constantIbLb0EES12_IbLb1EEEEDaSY_SZ_EUlSY_E_NS1_11comp_targetILNS1_3genE10ELNS1_11target_archE1201ELNS1_3gpuE5ELNS1_3repE0EEENS1_30default_config_static_selectorELNS0_4arch9wavefront6targetE1EEEvT1_
; %bb.0:
	.section	.rodata,"a",@progbits
	.p2align	6, 0x0
	.amdhsa_kernel _ZN7rocprim17ROCPRIM_400000_NS6detail17trampoline_kernelINS0_14default_configENS1_29reduce_by_key_config_selectorIilN6thrust23THRUST_200600_302600_NS4plusIlEEEEZZNS1_33reduce_by_key_impl_wrapped_configILNS1_25lookback_scan_determinismE0ES3_S9_PiNS6_17constant_iteratorIiNS6_11use_defaultESE_EENS6_10device_ptrIiEENSG_IlEEPmS8_NS6_8equal_toIiEEEE10hipError_tPvRmT2_T3_mT4_T5_T6_T7_T8_P12ihipStream_tbENKUlT_T0_E_clISt17integral_constantIbLb0EES12_IbLb1EEEEDaSY_SZ_EUlSY_E_NS1_11comp_targetILNS1_3genE10ELNS1_11target_archE1201ELNS1_3gpuE5ELNS1_3repE0EEENS1_30default_config_static_selectorELNS0_4arch9wavefront6targetE1EEEvT1_
		.amdhsa_group_segment_fixed_size 0
		.amdhsa_private_segment_fixed_size 0
		.amdhsa_kernarg_size 144
		.amdhsa_user_sgpr_count 6
		.amdhsa_user_sgpr_private_segment_buffer 1
		.amdhsa_user_sgpr_dispatch_ptr 0
		.amdhsa_user_sgpr_queue_ptr 0
		.amdhsa_user_sgpr_kernarg_segment_ptr 1
		.amdhsa_user_sgpr_dispatch_id 0
		.amdhsa_user_sgpr_flat_scratch_init 0
		.amdhsa_user_sgpr_kernarg_preload_length 0
		.amdhsa_user_sgpr_kernarg_preload_offset 0
		.amdhsa_user_sgpr_private_segment_size 0
		.amdhsa_uses_dynamic_stack 0
		.amdhsa_system_sgpr_private_segment_wavefront_offset 0
		.amdhsa_system_sgpr_workgroup_id_x 1
		.amdhsa_system_sgpr_workgroup_id_y 0
		.amdhsa_system_sgpr_workgroup_id_z 0
		.amdhsa_system_sgpr_workgroup_info 0
		.amdhsa_system_vgpr_workitem_id 0
		.amdhsa_next_free_vgpr 1
		.amdhsa_next_free_sgpr 0
		.amdhsa_accum_offset 4
		.amdhsa_reserve_vcc 0
		.amdhsa_reserve_flat_scratch 0
		.amdhsa_float_round_mode_32 0
		.amdhsa_float_round_mode_16_64 0
		.amdhsa_float_denorm_mode_32 3
		.amdhsa_float_denorm_mode_16_64 3
		.amdhsa_dx10_clamp 1
		.amdhsa_ieee_mode 1
		.amdhsa_fp16_overflow 0
		.amdhsa_tg_split 0
		.amdhsa_exception_fp_ieee_invalid_op 0
		.amdhsa_exception_fp_denorm_src 0
		.amdhsa_exception_fp_ieee_div_zero 0
		.amdhsa_exception_fp_ieee_overflow 0
		.amdhsa_exception_fp_ieee_underflow 0
		.amdhsa_exception_fp_ieee_inexact 0
		.amdhsa_exception_int_div_zero 0
	.end_amdhsa_kernel
	.section	.text._ZN7rocprim17ROCPRIM_400000_NS6detail17trampoline_kernelINS0_14default_configENS1_29reduce_by_key_config_selectorIilN6thrust23THRUST_200600_302600_NS4plusIlEEEEZZNS1_33reduce_by_key_impl_wrapped_configILNS1_25lookback_scan_determinismE0ES3_S9_PiNS6_17constant_iteratorIiNS6_11use_defaultESE_EENS6_10device_ptrIiEENSG_IlEEPmS8_NS6_8equal_toIiEEEE10hipError_tPvRmT2_T3_mT4_T5_T6_T7_T8_P12ihipStream_tbENKUlT_T0_E_clISt17integral_constantIbLb0EES12_IbLb1EEEEDaSY_SZ_EUlSY_E_NS1_11comp_targetILNS1_3genE10ELNS1_11target_archE1201ELNS1_3gpuE5ELNS1_3repE0EEENS1_30default_config_static_selectorELNS0_4arch9wavefront6targetE1EEEvT1_,"axG",@progbits,_ZN7rocprim17ROCPRIM_400000_NS6detail17trampoline_kernelINS0_14default_configENS1_29reduce_by_key_config_selectorIilN6thrust23THRUST_200600_302600_NS4plusIlEEEEZZNS1_33reduce_by_key_impl_wrapped_configILNS1_25lookback_scan_determinismE0ES3_S9_PiNS6_17constant_iteratorIiNS6_11use_defaultESE_EENS6_10device_ptrIiEENSG_IlEEPmS8_NS6_8equal_toIiEEEE10hipError_tPvRmT2_T3_mT4_T5_T6_T7_T8_P12ihipStream_tbENKUlT_T0_E_clISt17integral_constantIbLb0EES12_IbLb1EEEEDaSY_SZ_EUlSY_E_NS1_11comp_targetILNS1_3genE10ELNS1_11target_archE1201ELNS1_3gpuE5ELNS1_3repE0EEENS1_30default_config_static_selectorELNS0_4arch9wavefront6targetE1EEEvT1_,comdat
.Lfunc_end970:
	.size	_ZN7rocprim17ROCPRIM_400000_NS6detail17trampoline_kernelINS0_14default_configENS1_29reduce_by_key_config_selectorIilN6thrust23THRUST_200600_302600_NS4plusIlEEEEZZNS1_33reduce_by_key_impl_wrapped_configILNS1_25lookback_scan_determinismE0ES3_S9_PiNS6_17constant_iteratorIiNS6_11use_defaultESE_EENS6_10device_ptrIiEENSG_IlEEPmS8_NS6_8equal_toIiEEEE10hipError_tPvRmT2_T3_mT4_T5_T6_T7_T8_P12ihipStream_tbENKUlT_T0_E_clISt17integral_constantIbLb0EES12_IbLb1EEEEDaSY_SZ_EUlSY_E_NS1_11comp_targetILNS1_3genE10ELNS1_11target_archE1201ELNS1_3gpuE5ELNS1_3repE0EEENS1_30default_config_static_selectorELNS0_4arch9wavefront6targetE1EEEvT1_, .Lfunc_end970-_ZN7rocprim17ROCPRIM_400000_NS6detail17trampoline_kernelINS0_14default_configENS1_29reduce_by_key_config_selectorIilN6thrust23THRUST_200600_302600_NS4plusIlEEEEZZNS1_33reduce_by_key_impl_wrapped_configILNS1_25lookback_scan_determinismE0ES3_S9_PiNS6_17constant_iteratorIiNS6_11use_defaultESE_EENS6_10device_ptrIiEENSG_IlEEPmS8_NS6_8equal_toIiEEEE10hipError_tPvRmT2_T3_mT4_T5_T6_T7_T8_P12ihipStream_tbENKUlT_T0_E_clISt17integral_constantIbLb0EES12_IbLb1EEEEDaSY_SZ_EUlSY_E_NS1_11comp_targetILNS1_3genE10ELNS1_11target_archE1201ELNS1_3gpuE5ELNS1_3repE0EEENS1_30default_config_static_selectorELNS0_4arch9wavefront6targetE1EEEvT1_
                                        ; -- End function
	.section	.AMDGPU.csdata,"",@progbits
; Kernel info:
; codeLenInByte = 0
; NumSgprs: 4
; NumVgprs: 0
; NumAgprs: 0
; TotalNumVgprs: 0
; ScratchSize: 0
; MemoryBound: 0
; FloatMode: 240
; IeeeMode: 1
; LDSByteSize: 0 bytes/workgroup (compile time only)
; SGPRBlocks: 0
; VGPRBlocks: 0
; NumSGPRsForWavesPerEU: 4
; NumVGPRsForWavesPerEU: 1
; AccumOffset: 4
; Occupancy: 8
; WaveLimiterHint : 0
; COMPUTE_PGM_RSRC2:SCRATCH_EN: 0
; COMPUTE_PGM_RSRC2:USER_SGPR: 6
; COMPUTE_PGM_RSRC2:TRAP_HANDLER: 0
; COMPUTE_PGM_RSRC2:TGID_X_EN: 1
; COMPUTE_PGM_RSRC2:TGID_Y_EN: 0
; COMPUTE_PGM_RSRC2:TGID_Z_EN: 0
; COMPUTE_PGM_RSRC2:TIDIG_COMP_CNT: 0
; COMPUTE_PGM_RSRC3_GFX90A:ACCUM_OFFSET: 0
; COMPUTE_PGM_RSRC3_GFX90A:TG_SPLIT: 0
	.section	.text._ZN7rocprim17ROCPRIM_400000_NS6detail17trampoline_kernelINS0_14default_configENS1_29reduce_by_key_config_selectorIilN6thrust23THRUST_200600_302600_NS4plusIlEEEEZZNS1_33reduce_by_key_impl_wrapped_configILNS1_25lookback_scan_determinismE0ES3_S9_PiNS6_17constant_iteratorIiNS6_11use_defaultESE_EENS6_10device_ptrIiEENSG_IlEEPmS8_NS6_8equal_toIiEEEE10hipError_tPvRmT2_T3_mT4_T5_T6_T7_T8_P12ihipStream_tbENKUlT_T0_E_clISt17integral_constantIbLb0EES12_IbLb1EEEEDaSY_SZ_EUlSY_E_NS1_11comp_targetILNS1_3genE10ELNS1_11target_archE1200ELNS1_3gpuE4ELNS1_3repE0EEENS1_30default_config_static_selectorELNS0_4arch9wavefront6targetE1EEEvT1_,"axG",@progbits,_ZN7rocprim17ROCPRIM_400000_NS6detail17trampoline_kernelINS0_14default_configENS1_29reduce_by_key_config_selectorIilN6thrust23THRUST_200600_302600_NS4plusIlEEEEZZNS1_33reduce_by_key_impl_wrapped_configILNS1_25lookback_scan_determinismE0ES3_S9_PiNS6_17constant_iteratorIiNS6_11use_defaultESE_EENS6_10device_ptrIiEENSG_IlEEPmS8_NS6_8equal_toIiEEEE10hipError_tPvRmT2_T3_mT4_T5_T6_T7_T8_P12ihipStream_tbENKUlT_T0_E_clISt17integral_constantIbLb0EES12_IbLb1EEEEDaSY_SZ_EUlSY_E_NS1_11comp_targetILNS1_3genE10ELNS1_11target_archE1200ELNS1_3gpuE4ELNS1_3repE0EEENS1_30default_config_static_selectorELNS0_4arch9wavefront6targetE1EEEvT1_,comdat
	.protected	_ZN7rocprim17ROCPRIM_400000_NS6detail17trampoline_kernelINS0_14default_configENS1_29reduce_by_key_config_selectorIilN6thrust23THRUST_200600_302600_NS4plusIlEEEEZZNS1_33reduce_by_key_impl_wrapped_configILNS1_25lookback_scan_determinismE0ES3_S9_PiNS6_17constant_iteratorIiNS6_11use_defaultESE_EENS6_10device_ptrIiEENSG_IlEEPmS8_NS6_8equal_toIiEEEE10hipError_tPvRmT2_T3_mT4_T5_T6_T7_T8_P12ihipStream_tbENKUlT_T0_E_clISt17integral_constantIbLb0EES12_IbLb1EEEEDaSY_SZ_EUlSY_E_NS1_11comp_targetILNS1_3genE10ELNS1_11target_archE1200ELNS1_3gpuE4ELNS1_3repE0EEENS1_30default_config_static_selectorELNS0_4arch9wavefront6targetE1EEEvT1_ ; -- Begin function _ZN7rocprim17ROCPRIM_400000_NS6detail17trampoline_kernelINS0_14default_configENS1_29reduce_by_key_config_selectorIilN6thrust23THRUST_200600_302600_NS4plusIlEEEEZZNS1_33reduce_by_key_impl_wrapped_configILNS1_25lookback_scan_determinismE0ES3_S9_PiNS6_17constant_iteratorIiNS6_11use_defaultESE_EENS6_10device_ptrIiEENSG_IlEEPmS8_NS6_8equal_toIiEEEE10hipError_tPvRmT2_T3_mT4_T5_T6_T7_T8_P12ihipStream_tbENKUlT_T0_E_clISt17integral_constantIbLb0EES12_IbLb1EEEEDaSY_SZ_EUlSY_E_NS1_11comp_targetILNS1_3genE10ELNS1_11target_archE1200ELNS1_3gpuE4ELNS1_3repE0EEENS1_30default_config_static_selectorELNS0_4arch9wavefront6targetE1EEEvT1_
	.globl	_ZN7rocprim17ROCPRIM_400000_NS6detail17trampoline_kernelINS0_14default_configENS1_29reduce_by_key_config_selectorIilN6thrust23THRUST_200600_302600_NS4plusIlEEEEZZNS1_33reduce_by_key_impl_wrapped_configILNS1_25lookback_scan_determinismE0ES3_S9_PiNS6_17constant_iteratorIiNS6_11use_defaultESE_EENS6_10device_ptrIiEENSG_IlEEPmS8_NS6_8equal_toIiEEEE10hipError_tPvRmT2_T3_mT4_T5_T6_T7_T8_P12ihipStream_tbENKUlT_T0_E_clISt17integral_constantIbLb0EES12_IbLb1EEEEDaSY_SZ_EUlSY_E_NS1_11comp_targetILNS1_3genE10ELNS1_11target_archE1200ELNS1_3gpuE4ELNS1_3repE0EEENS1_30default_config_static_selectorELNS0_4arch9wavefront6targetE1EEEvT1_
	.p2align	8
	.type	_ZN7rocprim17ROCPRIM_400000_NS6detail17trampoline_kernelINS0_14default_configENS1_29reduce_by_key_config_selectorIilN6thrust23THRUST_200600_302600_NS4plusIlEEEEZZNS1_33reduce_by_key_impl_wrapped_configILNS1_25lookback_scan_determinismE0ES3_S9_PiNS6_17constant_iteratorIiNS6_11use_defaultESE_EENS6_10device_ptrIiEENSG_IlEEPmS8_NS6_8equal_toIiEEEE10hipError_tPvRmT2_T3_mT4_T5_T6_T7_T8_P12ihipStream_tbENKUlT_T0_E_clISt17integral_constantIbLb0EES12_IbLb1EEEEDaSY_SZ_EUlSY_E_NS1_11comp_targetILNS1_3genE10ELNS1_11target_archE1200ELNS1_3gpuE4ELNS1_3repE0EEENS1_30default_config_static_selectorELNS0_4arch9wavefront6targetE1EEEvT1_,@function
_ZN7rocprim17ROCPRIM_400000_NS6detail17trampoline_kernelINS0_14default_configENS1_29reduce_by_key_config_selectorIilN6thrust23THRUST_200600_302600_NS4plusIlEEEEZZNS1_33reduce_by_key_impl_wrapped_configILNS1_25lookback_scan_determinismE0ES3_S9_PiNS6_17constant_iteratorIiNS6_11use_defaultESE_EENS6_10device_ptrIiEENSG_IlEEPmS8_NS6_8equal_toIiEEEE10hipError_tPvRmT2_T3_mT4_T5_T6_T7_T8_P12ihipStream_tbENKUlT_T0_E_clISt17integral_constantIbLb0EES12_IbLb1EEEEDaSY_SZ_EUlSY_E_NS1_11comp_targetILNS1_3genE10ELNS1_11target_archE1200ELNS1_3gpuE4ELNS1_3repE0EEENS1_30default_config_static_selectorELNS0_4arch9wavefront6targetE1EEEvT1_: ; @_ZN7rocprim17ROCPRIM_400000_NS6detail17trampoline_kernelINS0_14default_configENS1_29reduce_by_key_config_selectorIilN6thrust23THRUST_200600_302600_NS4plusIlEEEEZZNS1_33reduce_by_key_impl_wrapped_configILNS1_25lookback_scan_determinismE0ES3_S9_PiNS6_17constant_iteratorIiNS6_11use_defaultESE_EENS6_10device_ptrIiEENSG_IlEEPmS8_NS6_8equal_toIiEEEE10hipError_tPvRmT2_T3_mT4_T5_T6_T7_T8_P12ihipStream_tbENKUlT_T0_E_clISt17integral_constantIbLb0EES12_IbLb1EEEEDaSY_SZ_EUlSY_E_NS1_11comp_targetILNS1_3genE10ELNS1_11target_archE1200ELNS1_3gpuE4ELNS1_3repE0EEENS1_30default_config_static_selectorELNS0_4arch9wavefront6targetE1EEEvT1_
; %bb.0:
	.section	.rodata,"a",@progbits
	.p2align	6, 0x0
	.amdhsa_kernel _ZN7rocprim17ROCPRIM_400000_NS6detail17trampoline_kernelINS0_14default_configENS1_29reduce_by_key_config_selectorIilN6thrust23THRUST_200600_302600_NS4plusIlEEEEZZNS1_33reduce_by_key_impl_wrapped_configILNS1_25lookback_scan_determinismE0ES3_S9_PiNS6_17constant_iteratorIiNS6_11use_defaultESE_EENS6_10device_ptrIiEENSG_IlEEPmS8_NS6_8equal_toIiEEEE10hipError_tPvRmT2_T3_mT4_T5_T6_T7_T8_P12ihipStream_tbENKUlT_T0_E_clISt17integral_constantIbLb0EES12_IbLb1EEEEDaSY_SZ_EUlSY_E_NS1_11comp_targetILNS1_3genE10ELNS1_11target_archE1200ELNS1_3gpuE4ELNS1_3repE0EEENS1_30default_config_static_selectorELNS0_4arch9wavefront6targetE1EEEvT1_
		.amdhsa_group_segment_fixed_size 0
		.amdhsa_private_segment_fixed_size 0
		.amdhsa_kernarg_size 144
		.amdhsa_user_sgpr_count 6
		.amdhsa_user_sgpr_private_segment_buffer 1
		.amdhsa_user_sgpr_dispatch_ptr 0
		.amdhsa_user_sgpr_queue_ptr 0
		.amdhsa_user_sgpr_kernarg_segment_ptr 1
		.amdhsa_user_sgpr_dispatch_id 0
		.amdhsa_user_sgpr_flat_scratch_init 0
		.amdhsa_user_sgpr_kernarg_preload_length 0
		.amdhsa_user_sgpr_kernarg_preload_offset 0
		.amdhsa_user_sgpr_private_segment_size 0
		.amdhsa_uses_dynamic_stack 0
		.amdhsa_system_sgpr_private_segment_wavefront_offset 0
		.amdhsa_system_sgpr_workgroup_id_x 1
		.amdhsa_system_sgpr_workgroup_id_y 0
		.amdhsa_system_sgpr_workgroup_id_z 0
		.amdhsa_system_sgpr_workgroup_info 0
		.amdhsa_system_vgpr_workitem_id 0
		.amdhsa_next_free_vgpr 1
		.amdhsa_next_free_sgpr 0
		.amdhsa_accum_offset 4
		.amdhsa_reserve_vcc 0
		.amdhsa_reserve_flat_scratch 0
		.amdhsa_float_round_mode_32 0
		.amdhsa_float_round_mode_16_64 0
		.amdhsa_float_denorm_mode_32 3
		.amdhsa_float_denorm_mode_16_64 3
		.amdhsa_dx10_clamp 1
		.amdhsa_ieee_mode 1
		.amdhsa_fp16_overflow 0
		.amdhsa_tg_split 0
		.amdhsa_exception_fp_ieee_invalid_op 0
		.amdhsa_exception_fp_denorm_src 0
		.amdhsa_exception_fp_ieee_div_zero 0
		.amdhsa_exception_fp_ieee_overflow 0
		.amdhsa_exception_fp_ieee_underflow 0
		.amdhsa_exception_fp_ieee_inexact 0
		.amdhsa_exception_int_div_zero 0
	.end_amdhsa_kernel
	.section	.text._ZN7rocprim17ROCPRIM_400000_NS6detail17trampoline_kernelINS0_14default_configENS1_29reduce_by_key_config_selectorIilN6thrust23THRUST_200600_302600_NS4plusIlEEEEZZNS1_33reduce_by_key_impl_wrapped_configILNS1_25lookback_scan_determinismE0ES3_S9_PiNS6_17constant_iteratorIiNS6_11use_defaultESE_EENS6_10device_ptrIiEENSG_IlEEPmS8_NS6_8equal_toIiEEEE10hipError_tPvRmT2_T3_mT4_T5_T6_T7_T8_P12ihipStream_tbENKUlT_T0_E_clISt17integral_constantIbLb0EES12_IbLb1EEEEDaSY_SZ_EUlSY_E_NS1_11comp_targetILNS1_3genE10ELNS1_11target_archE1200ELNS1_3gpuE4ELNS1_3repE0EEENS1_30default_config_static_selectorELNS0_4arch9wavefront6targetE1EEEvT1_,"axG",@progbits,_ZN7rocprim17ROCPRIM_400000_NS6detail17trampoline_kernelINS0_14default_configENS1_29reduce_by_key_config_selectorIilN6thrust23THRUST_200600_302600_NS4plusIlEEEEZZNS1_33reduce_by_key_impl_wrapped_configILNS1_25lookback_scan_determinismE0ES3_S9_PiNS6_17constant_iteratorIiNS6_11use_defaultESE_EENS6_10device_ptrIiEENSG_IlEEPmS8_NS6_8equal_toIiEEEE10hipError_tPvRmT2_T3_mT4_T5_T6_T7_T8_P12ihipStream_tbENKUlT_T0_E_clISt17integral_constantIbLb0EES12_IbLb1EEEEDaSY_SZ_EUlSY_E_NS1_11comp_targetILNS1_3genE10ELNS1_11target_archE1200ELNS1_3gpuE4ELNS1_3repE0EEENS1_30default_config_static_selectorELNS0_4arch9wavefront6targetE1EEEvT1_,comdat
.Lfunc_end971:
	.size	_ZN7rocprim17ROCPRIM_400000_NS6detail17trampoline_kernelINS0_14default_configENS1_29reduce_by_key_config_selectorIilN6thrust23THRUST_200600_302600_NS4plusIlEEEEZZNS1_33reduce_by_key_impl_wrapped_configILNS1_25lookback_scan_determinismE0ES3_S9_PiNS6_17constant_iteratorIiNS6_11use_defaultESE_EENS6_10device_ptrIiEENSG_IlEEPmS8_NS6_8equal_toIiEEEE10hipError_tPvRmT2_T3_mT4_T5_T6_T7_T8_P12ihipStream_tbENKUlT_T0_E_clISt17integral_constantIbLb0EES12_IbLb1EEEEDaSY_SZ_EUlSY_E_NS1_11comp_targetILNS1_3genE10ELNS1_11target_archE1200ELNS1_3gpuE4ELNS1_3repE0EEENS1_30default_config_static_selectorELNS0_4arch9wavefront6targetE1EEEvT1_, .Lfunc_end971-_ZN7rocprim17ROCPRIM_400000_NS6detail17trampoline_kernelINS0_14default_configENS1_29reduce_by_key_config_selectorIilN6thrust23THRUST_200600_302600_NS4plusIlEEEEZZNS1_33reduce_by_key_impl_wrapped_configILNS1_25lookback_scan_determinismE0ES3_S9_PiNS6_17constant_iteratorIiNS6_11use_defaultESE_EENS6_10device_ptrIiEENSG_IlEEPmS8_NS6_8equal_toIiEEEE10hipError_tPvRmT2_T3_mT4_T5_T6_T7_T8_P12ihipStream_tbENKUlT_T0_E_clISt17integral_constantIbLb0EES12_IbLb1EEEEDaSY_SZ_EUlSY_E_NS1_11comp_targetILNS1_3genE10ELNS1_11target_archE1200ELNS1_3gpuE4ELNS1_3repE0EEENS1_30default_config_static_selectorELNS0_4arch9wavefront6targetE1EEEvT1_
                                        ; -- End function
	.section	.AMDGPU.csdata,"",@progbits
; Kernel info:
; codeLenInByte = 0
; NumSgprs: 4
; NumVgprs: 0
; NumAgprs: 0
; TotalNumVgprs: 0
; ScratchSize: 0
; MemoryBound: 0
; FloatMode: 240
; IeeeMode: 1
; LDSByteSize: 0 bytes/workgroup (compile time only)
; SGPRBlocks: 0
; VGPRBlocks: 0
; NumSGPRsForWavesPerEU: 4
; NumVGPRsForWavesPerEU: 1
; AccumOffset: 4
; Occupancy: 8
; WaveLimiterHint : 0
; COMPUTE_PGM_RSRC2:SCRATCH_EN: 0
; COMPUTE_PGM_RSRC2:USER_SGPR: 6
; COMPUTE_PGM_RSRC2:TRAP_HANDLER: 0
; COMPUTE_PGM_RSRC2:TGID_X_EN: 1
; COMPUTE_PGM_RSRC2:TGID_Y_EN: 0
; COMPUTE_PGM_RSRC2:TGID_Z_EN: 0
; COMPUTE_PGM_RSRC2:TIDIG_COMP_CNT: 0
; COMPUTE_PGM_RSRC3_GFX90A:ACCUM_OFFSET: 0
; COMPUTE_PGM_RSRC3_GFX90A:TG_SPLIT: 0
	.section	.text._ZN7rocprim17ROCPRIM_400000_NS6detail17trampoline_kernelINS0_14default_configENS1_29reduce_by_key_config_selectorIilN6thrust23THRUST_200600_302600_NS4plusIlEEEEZZNS1_33reduce_by_key_impl_wrapped_configILNS1_25lookback_scan_determinismE0ES3_S9_PiNS6_17constant_iteratorIiNS6_11use_defaultESE_EENS6_10device_ptrIiEENSG_IlEEPmS8_NS6_8equal_toIiEEEE10hipError_tPvRmT2_T3_mT4_T5_T6_T7_T8_P12ihipStream_tbENKUlT_T0_E_clISt17integral_constantIbLb0EES12_IbLb1EEEEDaSY_SZ_EUlSY_E_NS1_11comp_targetILNS1_3genE9ELNS1_11target_archE1100ELNS1_3gpuE3ELNS1_3repE0EEENS1_30default_config_static_selectorELNS0_4arch9wavefront6targetE1EEEvT1_,"axG",@progbits,_ZN7rocprim17ROCPRIM_400000_NS6detail17trampoline_kernelINS0_14default_configENS1_29reduce_by_key_config_selectorIilN6thrust23THRUST_200600_302600_NS4plusIlEEEEZZNS1_33reduce_by_key_impl_wrapped_configILNS1_25lookback_scan_determinismE0ES3_S9_PiNS6_17constant_iteratorIiNS6_11use_defaultESE_EENS6_10device_ptrIiEENSG_IlEEPmS8_NS6_8equal_toIiEEEE10hipError_tPvRmT2_T3_mT4_T5_T6_T7_T8_P12ihipStream_tbENKUlT_T0_E_clISt17integral_constantIbLb0EES12_IbLb1EEEEDaSY_SZ_EUlSY_E_NS1_11comp_targetILNS1_3genE9ELNS1_11target_archE1100ELNS1_3gpuE3ELNS1_3repE0EEENS1_30default_config_static_selectorELNS0_4arch9wavefront6targetE1EEEvT1_,comdat
	.protected	_ZN7rocprim17ROCPRIM_400000_NS6detail17trampoline_kernelINS0_14default_configENS1_29reduce_by_key_config_selectorIilN6thrust23THRUST_200600_302600_NS4plusIlEEEEZZNS1_33reduce_by_key_impl_wrapped_configILNS1_25lookback_scan_determinismE0ES3_S9_PiNS6_17constant_iteratorIiNS6_11use_defaultESE_EENS6_10device_ptrIiEENSG_IlEEPmS8_NS6_8equal_toIiEEEE10hipError_tPvRmT2_T3_mT4_T5_T6_T7_T8_P12ihipStream_tbENKUlT_T0_E_clISt17integral_constantIbLb0EES12_IbLb1EEEEDaSY_SZ_EUlSY_E_NS1_11comp_targetILNS1_3genE9ELNS1_11target_archE1100ELNS1_3gpuE3ELNS1_3repE0EEENS1_30default_config_static_selectorELNS0_4arch9wavefront6targetE1EEEvT1_ ; -- Begin function _ZN7rocprim17ROCPRIM_400000_NS6detail17trampoline_kernelINS0_14default_configENS1_29reduce_by_key_config_selectorIilN6thrust23THRUST_200600_302600_NS4plusIlEEEEZZNS1_33reduce_by_key_impl_wrapped_configILNS1_25lookback_scan_determinismE0ES3_S9_PiNS6_17constant_iteratorIiNS6_11use_defaultESE_EENS6_10device_ptrIiEENSG_IlEEPmS8_NS6_8equal_toIiEEEE10hipError_tPvRmT2_T3_mT4_T5_T6_T7_T8_P12ihipStream_tbENKUlT_T0_E_clISt17integral_constantIbLb0EES12_IbLb1EEEEDaSY_SZ_EUlSY_E_NS1_11comp_targetILNS1_3genE9ELNS1_11target_archE1100ELNS1_3gpuE3ELNS1_3repE0EEENS1_30default_config_static_selectorELNS0_4arch9wavefront6targetE1EEEvT1_
	.globl	_ZN7rocprim17ROCPRIM_400000_NS6detail17trampoline_kernelINS0_14default_configENS1_29reduce_by_key_config_selectorIilN6thrust23THRUST_200600_302600_NS4plusIlEEEEZZNS1_33reduce_by_key_impl_wrapped_configILNS1_25lookback_scan_determinismE0ES3_S9_PiNS6_17constant_iteratorIiNS6_11use_defaultESE_EENS6_10device_ptrIiEENSG_IlEEPmS8_NS6_8equal_toIiEEEE10hipError_tPvRmT2_T3_mT4_T5_T6_T7_T8_P12ihipStream_tbENKUlT_T0_E_clISt17integral_constantIbLb0EES12_IbLb1EEEEDaSY_SZ_EUlSY_E_NS1_11comp_targetILNS1_3genE9ELNS1_11target_archE1100ELNS1_3gpuE3ELNS1_3repE0EEENS1_30default_config_static_selectorELNS0_4arch9wavefront6targetE1EEEvT1_
	.p2align	8
	.type	_ZN7rocprim17ROCPRIM_400000_NS6detail17trampoline_kernelINS0_14default_configENS1_29reduce_by_key_config_selectorIilN6thrust23THRUST_200600_302600_NS4plusIlEEEEZZNS1_33reduce_by_key_impl_wrapped_configILNS1_25lookback_scan_determinismE0ES3_S9_PiNS6_17constant_iteratorIiNS6_11use_defaultESE_EENS6_10device_ptrIiEENSG_IlEEPmS8_NS6_8equal_toIiEEEE10hipError_tPvRmT2_T3_mT4_T5_T6_T7_T8_P12ihipStream_tbENKUlT_T0_E_clISt17integral_constantIbLb0EES12_IbLb1EEEEDaSY_SZ_EUlSY_E_NS1_11comp_targetILNS1_3genE9ELNS1_11target_archE1100ELNS1_3gpuE3ELNS1_3repE0EEENS1_30default_config_static_selectorELNS0_4arch9wavefront6targetE1EEEvT1_,@function
_ZN7rocprim17ROCPRIM_400000_NS6detail17trampoline_kernelINS0_14default_configENS1_29reduce_by_key_config_selectorIilN6thrust23THRUST_200600_302600_NS4plusIlEEEEZZNS1_33reduce_by_key_impl_wrapped_configILNS1_25lookback_scan_determinismE0ES3_S9_PiNS6_17constant_iteratorIiNS6_11use_defaultESE_EENS6_10device_ptrIiEENSG_IlEEPmS8_NS6_8equal_toIiEEEE10hipError_tPvRmT2_T3_mT4_T5_T6_T7_T8_P12ihipStream_tbENKUlT_T0_E_clISt17integral_constantIbLb0EES12_IbLb1EEEEDaSY_SZ_EUlSY_E_NS1_11comp_targetILNS1_3genE9ELNS1_11target_archE1100ELNS1_3gpuE3ELNS1_3repE0EEENS1_30default_config_static_selectorELNS0_4arch9wavefront6targetE1EEEvT1_: ; @_ZN7rocprim17ROCPRIM_400000_NS6detail17trampoline_kernelINS0_14default_configENS1_29reduce_by_key_config_selectorIilN6thrust23THRUST_200600_302600_NS4plusIlEEEEZZNS1_33reduce_by_key_impl_wrapped_configILNS1_25lookback_scan_determinismE0ES3_S9_PiNS6_17constant_iteratorIiNS6_11use_defaultESE_EENS6_10device_ptrIiEENSG_IlEEPmS8_NS6_8equal_toIiEEEE10hipError_tPvRmT2_T3_mT4_T5_T6_T7_T8_P12ihipStream_tbENKUlT_T0_E_clISt17integral_constantIbLb0EES12_IbLb1EEEEDaSY_SZ_EUlSY_E_NS1_11comp_targetILNS1_3genE9ELNS1_11target_archE1100ELNS1_3gpuE3ELNS1_3repE0EEENS1_30default_config_static_selectorELNS0_4arch9wavefront6targetE1EEEvT1_
; %bb.0:
	.section	.rodata,"a",@progbits
	.p2align	6, 0x0
	.amdhsa_kernel _ZN7rocprim17ROCPRIM_400000_NS6detail17trampoline_kernelINS0_14default_configENS1_29reduce_by_key_config_selectorIilN6thrust23THRUST_200600_302600_NS4plusIlEEEEZZNS1_33reduce_by_key_impl_wrapped_configILNS1_25lookback_scan_determinismE0ES3_S9_PiNS6_17constant_iteratorIiNS6_11use_defaultESE_EENS6_10device_ptrIiEENSG_IlEEPmS8_NS6_8equal_toIiEEEE10hipError_tPvRmT2_T3_mT4_T5_T6_T7_T8_P12ihipStream_tbENKUlT_T0_E_clISt17integral_constantIbLb0EES12_IbLb1EEEEDaSY_SZ_EUlSY_E_NS1_11comp_targetILNS1_3genE9ELNS1_11target_archE1100ELNS1_3gpuE3ELNS1_3repE0EEENS1_30default_config_static_selectorELNS0_4arch9wavefront6targetE1EEEvT1_
		.amdhsa_group_segment_fixed_size 0
		.amdhsa_private_segment_fixed_size 0
		.amdhsa_kernarg_size 144
		.amdhsa_user_sgpr_count 6
		.amdhsa_user_sgpr_private_segment_buffer 1
		.amdhsa_user_sgpr_dispatch_ptr 0
		.amdhsa_user_sgpr_queue_ptr 0
		.amdhsa_user_sgpr_kernarg_segment_ptr 1
		.amdhsa_user_sgpr_dispatch_id 0
		.amdhsa_user_sgpr_flat_scratch_init 0
		.amdhsa_user_sgpr_kernarg_preload_length 0
		.amdhsa_user_sgpr_kernarg_preload_offset 0
		.amdhsa_user_sgpr_private_segment_size 0
		.amdhsa_uses_dynamic_stack 0
		.amdhsa_system_sgpr_private_segment_wavefront_offset 0
		.amdhsa_system_sgpr_workgroup_id_x 1
		.amdhsa_system_sgpr_workgroup_id_y 0
		.amdhsa_system_sgpr_workgroup_id_z 0
		.amdhsa_system_sgpr_workgroup_info 0
		.amdhsa_system_vgpr_workitem_id 0
		.amdhsa_next_free_vgpr 1
		.amdhsa_next_free_sgpr 0
		.amdhsa_accum_offset 4
		.amdhsa_reserve_vcc 0
		.amdhsa_reserve_flat_scratch 0
		.amdhsa_float_round_mode_32 0
		.amdhsa_float_round_mode_16_64 0
		.amdhsa_float_denorm_mode_32 3
		.amdhsa_float_denorm_mode_16_64 3
		.amdhsa_dx10_clamp 1
		.amdhsa_ieee_mode 1
		.amdhsa_fp16_overflow 0
		.amdhsa_tg_split 0
		.amdhsa_exception_fp_ieee_invalid_op 0
		.amdhsa_exception_fp_denorm_src 0
		.amdhsa_exception_fp_ieee_div_zero 0
		.amdhsa_exception_fp_ieee_overflow 0
		.amdhsa_exception_fp_ieee_underflow 0
		.amdhsa_exception_fp_ieee_inexact 0
		.amdhsa_exception_int_div_zero 0
	.end_amdhsa_kernel
	.section	.text._ZN7rocprim17ROCPRIM_400000_NS6detail17trampoline_kernelINS0_14default_configENS1_29reduce_by_key_config_selectorIilN6thrust23THRUST_200600_302600_NS4plusIlEEEEZZNS1_33reduce_by_key_impl_wrapped_configILNS1_25lookback_scan_determinismE0ES3_S9_PiNS6_17constant_iteratorIiNS6_11use_defaultESE_EENS6_10device_ptrIiEENSG_IlEEPmS8_NS6_8equal_toIiEEEE10hipError_tPvRmT2_T3_mT4_T5_T6_T7_T8_P12ihipStream_tbENKUlT_T0_E_clISt17integral_constantIbLb0EES12_IbLb1EEEEDaSY_SZ_EUlSY_E_NS1_11comp_targetILNS1_3genE9ELNS1_11target_archE1100ELNS1_3gpuE3ELNS1_3repE0EEENS1_30default_config_static_selectorELNS0_4arch9wavefront6targetE1EEEvT1_,"axG",@progbits,_ZN7rocprim17ROCPRIM_400000_NS6detail17trampoline_kernelINS0_14default_configENS1_29reduce_by_key_config_selectorIilN6thrust23THRUST_200600_302600_NS4plusIlEEEEZZNS1_33reduce_by_key_impl_wrapped_configILNS1_25lookback_scan_determinismE0ES3_S9_PiNS6_17constant_iteratorIiNS6_11use_defaultESE_EENS6_10device_ptrIiEENSG_IlEEPmS8_NS6_8equal_toIiEEEE10hipError_tPvRmT2_T3_mT4_T5_T6_T7_T8_P12ihipStream_tbENKUlT_T0_E_clISt17integral_constantIbLb0EES12_IbLb1EEEEDaSY_SZ_EUlSY_E_NS1_11comp_targetILNS1_3genE9ELNS1_11target_archE1100ELNS1_3gpuE3ELNS1_3repE0EEENS1_30default_config_static_selectorELNS0_4arch9wavefront6targetE1EEEvT1_,comdat
.Lfunc_end972:
	.size	_ZN7rocprim17ROCPRIM_400000_NS6detail17trampoline_kernelINS0_14default_configENS1_29reduce_by_key_config_selectorIilN6thrust23THRUST_200600_302600_NS4plusIlEEEEZZNS1_33reduce_by_key_impl_wrapped_configILNS1_25lookback_scan_determinismE0ES3_S9_PiNS6_17constant_iteratorIiNS6_11use_defaultESE_EENS6_10device_ptrIiEENSG_IlEEPmS8_NS6_8equal_toIiEEEE10hipError_tPvRmT2_T3_mT4_T5_T6_T7_T8_P12ihipStream_tbENKUlT_T0_E_clISt17integral_constantIbLb0EES12_IbLb1EEEEDaSY_SZ_EUlSY_E_NS1_11comp_targetILNS1_3genE9ELNS1_11target_archE1100ELNS1_3gpuE3ELNS1_3repE0EEENS1_30default_config_static_selectorELNS0_4arch9wavefront6targetE1EEEvT1_, .Lfunc_end972-_ZN7rocprim17ROCPRIM_400000_NS6detail17trampoline_kernelINS0_14default_configENS1_29reduce_by_key_config_selectorIilN6thrust23THRUST_200600_302600_NS4plusIlEEEEZZNS1_33reduce_by_key_impl_wrapped_configILNS1_25lookback_scan_determinismE0ES3_S9_PiNS6_17constant_iteratorIiNS6_11use_defaultESE_EENS6_10device_ptrIiEENSG_IlEEPmS8_NS6_8equal_toIiEEEE10hipError_tPvRmT2_T3_mT4_T5_T6_T7_T8_P12ihipStream_tbENKUlT_T0_E_clISt17integral_constantIbLb0EES12_IbLb1EEEEDaSY_SZ_EUlSY_E_NS1_11comp_targetILNS1_3genE9ELNS1_11target_archE1100ELNS1_3gpuE3ELNS1_3repE0EEENS1_30default_config_static_selectorELNS0_4arch9wavefront6targetE1EEEvT1_
                                        ; -- End function
	.section	.AMDGPU.csdata,"",@progbits
; Kernel info:
; codeLenInByte = 0
; NumSgprs: 4
; NumVgprs: 0
; NumAgprs: 0
; TotalNumVgprs: 0
; ScratchSize: 0
; MemoryBound: 0
; FloatMode: 240
; IeeeMode: 1
; LDSByteSize: 0 bytes/workgroup (compile time only)
; SGPRBlocks: 0
; VGPRBlocks: 0
; NumSGPRsForWavesPerEU: 4
; NumVGPRsForWavesPerEU: 1
; AccumOffset: 4
; Occupancy: 8
; WaveLimiterHint : 0
; COMPUTE_PGM_RSRC2:SCRATCH_EN: 0
; COMPUTE_PGM_RSRC2:USER_SGPR: 6
; COMPUTE_PGM_RSRC2:TRAP_HANDLER: 0
; COMPUTE_PGM_RSRC2:TGID_X_EN: 1
; COMPUTE_PGM_RSRC2:TGID_Y_EN: 0
; COMPUTE_PGM_RSRC2:TGID_Z_EN: 0
; COMPUTE_PGM_RSRC2:TIDIG_COMP_CNT: 0
; COMPUTE_PGM_RSRC3_GFX90A:ACCUM_OFFSET: 0
; COMPUTE_PGM_RSRC3_GFX90A:TG_SPLIT: 0
	.section	.text._ZN7rocprim17ROCPRIM_400000_NS6detail17trampoline_kernelINS0_14default_configENS1_29reduce_by_key_config_selectorIilN6thrust23THRUST_200600_302600_NS4plusIlEEEEZZNS1_33reduce_by_key_impl_wrapped_configILNS1_25lookback_scan_determinismE0ES3_S9_PiNS6_17constant_iteratorIiNS6_11use_defaultESE_EENS6_10device_ptrIiEENSG_IlEEPmS8_NS6_8equal_toIiEEEE10hipError_tPvRmT2_T3_mT4_T5_T6_T7_T8_P12ihipStream_tbENKUlT_T0_E_clISt17integral_constantIbLb0EES12_IbLb1EEEEDaSY_SZ_EUlSY_E_NS1_11comp_targetILNS1_3genE8ELNS1_11target_archE1030ELNS1_3gpuE2ELNS1_3repE0EEENS1_30default_config_static_selectorELNS0_4arch9wavefront6targetE1EEEvT1_,"axG",@progbits,_ZN7rocprim17ROCPRIM_400000_NS6detail17trampoline_kernelINS0_14default_configENS1_29reduce_by_key_config_selectorIilN6thrust23THRUST_200600_302600_NS4plusIlEEEEZZNS1_33reduce_by_key_impl_wrapped_configILNS1_25lookback_scan_determinismE0ES3_S9_PiNS6_17constant_iteratorIiNS6_11use_defaultESE_EENS6_10device_ptrIiEENSG_IlEEPmS8_NS6_8equal_toIiEEEE10hipError_tPvRmT2_T3_mT4_T5_T6_T7_T8_P12ihipStream_tbENKUlT_T0_E_clISt17integral_constantIbLb0EES12_IbLb1EEEEDaSY_SZ_EUlSY_E_NS1_11comp_targetILNS1_3genE8ELNS1_11target_archE1030ELNS1_3gpuE2ELNS1_3repE0EEENS1_30default_config_static_selectorELNS0_4arch9wavefront6targetE1EEEvT1_,comdat
	.protected	_ZN7rocprim17ROCPRIM_400000_NS6detail17trampoline_kernelINS0_14default_configENS1_29reduce_by_key_config_selectorIilN6thrust23THRUST_200600_302600_NS4plusIlEEEEZZNS1_33reduce_by_key_impl_wrapped_configILNS1_25lookback_scan_determinismE0ES3_S9_PiNS6_17constant_iteratorIiNS6_11use_defaultESE_EENS6_10device_ptrIiEENSG_IlEEPmS8_NS6_8equal_toIiEEEE10hipError_tPvRmT2_T3_mT4_T5_T6_T7_T8_P12ihipStream_tbENKUlT_T0_E_clISt17integral_constantIbLb0EES12_IbLb1EEEEDaSY_SZ_EUlSY_E_NS1_11comp_targetILNS1_3genE8ELNS1_11target_archE1030ELNS1_3gpuE2ELNS1_3repE0EEENS1_30default_config_static_selectorELNS0_4arch9wavefront6targetE1EEEvT1_ ; -- Begin function _ZN7rocprim17ROCPRIM_400000_NS6detail17trampoline_kernelINS0_14default_configENS1_29reduce_by_key_config_selectorIilN6thrust23THRUST_200600_302600_NS4plusIlEEEEZZNS1_33reduce_by_key_impl_wrapped_configILNS1_25lookback_scan_determinismE0ES3_S9_PiNS6_17constant_iteratorIiNS6_11use_defaultESE_EENS6_10device_ptrIiEENSG_IlEEPmS8_NS6_8equal_toIiEEEE10hipError_tPvRmT2_T3_mT4_T5_T6_T7_T8_P12ihipStream_tbENKUlT_T0_E_clISt17integral_constantIbLb0EES12_IbLb1EEEEDaSY_SZ_EUlSY_E_NS1_11comp_targetILNS1_3genE8ELNS1_11target_archE1030ELNS1_3gpuE2ELNS1_3repE0EEENS1_30default_config_static_selectorELNS0_4arch9wavefront6targetE1EEEvT1_
	.globl	_ZN7rocprim17ROCPRIM_400000_NS6detail17trampoline_kernelINS0_14default_configENS1_29reduce_by_key_config_selectorIilN6thrust23THRUST_200600_302600_NS4plusIlEEEEZZNS1_33reduce_by_key_impl_wrapped_configILNS1_25lookback_scan_determinismE0ES3_S9_PiNS6_17constant_iteratorIiNS6_11use_defaultESE_EENS6_10device_ptrIiEENSG_IlEEPmS8_NS6_8equal_toIiEEEE10hipError_tPvRmT2_T3_mT4_T5_T6_T7_T8_P12ihipStream_tbENKUlT_T0_E_clISt17integral_constantIbLb0EES12_IbLb1EEEEDaSY_SZ_EUlSY_E_NS1_11comp_targetILNS1_3genE8ELNS1_11target_archE1030ELNS1_3gpuE2ELNS1_3repE0EEENS1_30default_config_static_selectorELNS0_4arch9wavefront6targetE1EEEvT1_
	.p2align	8
	.type	_ZN7rocprim17ROCPRIM_400000_NS6detail17trampoline_kernelINS0_14default_configENS1_29reduce_by_key_config_selectorIilN6thrust23THRUST_200600_302600_NS4plusIlEEEEZZNS1_33reduce_by_key_impl_wrapped_configILNS1_25lookback_scan_determinismE0ES3_S9_PiNS6_17constant_iteratorIiNS6_11use_defaultESE_EENS6_10device_ptrIiEENSG_IlEEPmS8_NS6_8equal_toIiEEEE10hipError_tPvRmT2_T3_mT4_T5_T6_T7_T8_P12ihipStream_tbENKUlT_T0_E_clISt17integral_constantIbLb0EES12_IbLb1EEEEDaSY_SZ_EUlSY_E_NS1_11comp_targetILNS1_3genE8ELNS1_11target_archE1030ELNS1_3gpuE2ELNS1_3repE0EEENS1_30default_config_static_selectorELNS0_4arch9wavefront6targetE1EEEvT1_,@function
_ZN7rocprim17ROCPRIM_400000_NS6detail17trampoline_kernelINS0_14default_configENS1_29reduce_by_key_config_selectorIilN6thrust23THRUST_200600_302600_NS4plusIlEEEEZZNS1_33reduce_by_key_impl_wrapped_configILNS1_25lookback_scan_determinismE0ES3_S9_PiNS6_17constant_iteratorIiNS6_11use_defaultESE_EENS6_10device_ptrIiEENSG_IlEEPmS8_NS6_8equal_toIiEEEE10hipError_tPvRmT2_T3_mT4_T5_T6_T7_T8_P12ihipStream_tbENKUlT_T0_E_clISt17integral_constantIbLb0EES12_IbLb1EEEEDaSY_SZ_EUlSY_E_NS1_11comp_targetILNS1_3genE8ELNS1_11target_archE1030ELNS1_3gpuE2ELNS1_3repE0EEENS1_30default_config_static_selectorELNS0_4arch9wavefront6targetE1EEEvT1_: ; @_ZN7rocprim17ROCPRIM_400000_NS6detail17trampoline_kernelINS0_14default_configENS1_29reduce_by_key_config_selectorIilN6thrust23THRUST_200600_302600_NS4plusIlEEEEZZNS1_33reduce_by_key_impl_wrapped_configILNS1_25lookback_scan_determinismE0ES3_S9_PiNS6_17constant_iteratorIiNS6_11use_defaultESE_EENS6_10device_ptrIiEENSG_IlEEPmS8_NS6_8equal_toIiEEEE10hipError_tPvRmT2_T3_mT4_T5_T6_T7_T8_P12ihipStream_tbENKUlT_T0_E_clISt17integral_constantIbLb0EES12_IbLb1EEEEDaSY_SZ_EUlSY_E_NS1_11comp_targetILNS1_3genE8ELNS1_11target_archE1030ELNS1_3gpuE2ELNS1_3repE0EEENS1_30default_config_static_selectorELNS0_4arch9wavefront6targetE1EEEvT1_
; %bb.0:
	.section	.rodata,"a",@progbits
	.p2align	6, 0x0
	.amdhsa_kernel _ZN7rocprim17ROCPRIM_400000_NS6detail17trampoline_kernelINS0_14default_configENS1_29reduce_by_key_config_selectorIilN6thrust23THRUST_200600_302600_NS4plusIlEEEEZZNS1_33reduce_by_key_impl_wrapped_configILNS1_25lookback_scan_determinismE0ES3_S9_PiNS6_17constant_iteratorIiNS6_11use_defaultESE_EENS6_10device_ptrIiEENSG_IlEEPmS8_NS6_8equal_toIiEEEE10hipError_tPvRmT2_T3_mT4_T5_T6_T7_T8_P12ihipStream_tbENKUlT_T0_E_clISt17integral_constantIbLb0EES12_IbLb1EEEEDaSY_SZ_EUlSY_E_NS1_11comp_targetILNS1_3genE8ELNS1_11target_archE1030ELNS1_3gpuE2ELNS1_3repE0EEENS1_30default_config_static_selectorELNS0_4arch9wavefront6targetE1EEEvT1_
		.amdhsa_group_segment_fixed_size 0
		.amdhsa_private_segment_fixed_size 0
		.amdhsa_kernarg_size 144
		.amdhsa_user_sgpr_count 6
		.amdhsa_user_sgpr_private_segment_buffer 1
		.amdhsa_user_sgpr_dispatch_ptr 0
		.amdhsa_user_sgpr_queue_ptr 0
		.amdhsa_user_sgpr_kernarg_segment_ptr 1
		.amdhsa_user_sgpr_dispatch_id 0
		.amdhsa_user_sgpr_flat_scratch_init 0
		.amdhsa_user_sgpr_kernarg_preload_length 0
		.amdhsa_user_sgpr_kernarg_preload_offset 0
		.amdhsa_user_sgpr_private_segment_size 0
		.amdhsa_uses_dynamic_stack 0
		.amdhsa_system_sgpr_private_segment_wavefront_offset 0
		.amdhsa_system_sgpr_workgroup_id_x 1
		.amdhsa_system_sgpr_workgroup_id_y 0
		.amdhsa_system_sgpr_workgroup_id_z 0
		.amdhsa_system_sgpr_workgroup_info 0
		.amdhsa_system_vgpr_workitem_id 0
		.amdhsa_next_free_vgpr 1
		.amdhsa_next_free_sgpr 0
		.amdhsa_accum_offset 4
		.amdhsa_reserve_vcc 0
		.amdhsa_reserve_flat_scratch 0
		.amdhsa_float_round_mode_32 0
		.amdhsa_float_round_mode_16_64 0
		.amdhsa_float_denorm_mode_32 3
		.amdhsa_float_denorm_mode_16_64 3
		.amdhsa_dx10_clamp 1
		.amdhsa_ieee_mode 1
		.amdhsa_fp16_overflow 0
		.amdhsa_tg_split 0
		.amdhsa_exception_fp_ieee_invalid_op 0
		.amdhsa_exception_fp_denorm_src 0
		.amdhsa_exception_fp_ieee_div_zero 0
		.amdhsa_exception_fp_ieee_overflow 0
		.amdhsa_exception_fp_ieee_underflow 0
		.amdhsa_exception_fp_ieee_inexact 0
		.amdhsa_exception_int_div_zero 0
	.end_amdhsa_kernel
	.section	.text._ZN7rocprim17ROCPRIM_400000_NS6detail17trampoline_kernelINS0_14default_configENS1_29reduce_by_key_config_selectorIilN6thrust23THRUST_200600_302600_NS4plusIlEEEEZZNS1_33reduce_by_key_impl_wrapped_configILNS1_25lookback_scan_determinismE0ES3_S9_PiNS6_17constant_iteratorIiNS6_11use_defaultESE_EENS6_10device_ptrIiEENSG_IlEEPmS8_NS6_8equal_toIiEEEE10hipError_tPvRmT2_T3_mT4_T5_T6_T7_T8_P12ihipStream_tbENKUlT_T0_E_clISt17integral_constantIbLb0EES12_IbLb1EEEEDaSY_SZ_EUlSY_E_NS1_11comp_targetILNS1_3genE8ELNS1_11target_archE1030ELNS1_3gpuE2ELNS1_3repE0EEENS1_30default_config_static_selectorELNS0_4arch9wavefront6targetE1EEEvT1_,"axG",@progbits,_ZN7rocprim17ROCPRIM_400000_NS6detail17trampoline_kernelINS0_14default_configENS1_29reduce_by_key_config_selectorIilN6thrust23THRUST_200600_302600_NS4plusIlEEEEZZNS1_33reduce_by_key_impl_wrapped_configILNS1_25lookback_scan_determinismE0ES3_S9_PiNS6_17constant_iteratorIiNS6_11use_defaultESE_EENS6_10device_ptrIiEENSG_IlEEPmS8_NS6_8equal_toIiEEEE10hipError_tPvRmT2_T3_mT4_T5_T6_T7_T8_P12ihipStream_tbENKUlT_T0_E_clISt17integral_constantIbLb0EES12_IbLb1EEEEDaSY_SZ_EUlSY_E_NS1_11comp_targetILNS1_3genE8ELNS1_11target_archE1030ELNS1_3gpuE2ELNS1_3repE0EEENS1_30default_config_static_selectorELNS0_4arch9wavefront6targetE1EEEvT1_,comdat
.Lfunc_end973:
	.size	_ZN7rocprim17ROCPRIM_400000_NS6detail17trampoline_kernelINS0_14default_configENS1_29reduce_by_key_config_selectorIilN6thrust23THRUST_200600_302600_NS4plusIlEEEEZZNS1_33reduce_by_key_impl_wrapped_configILNS1_25lookback_scan_determinismE0ES3_S9_PiNS6_17constant_iteratorIiNS6_11use_defaultESE_EENS6_10device_ptrIiEENSG_IlEEPmS8_NS6_8equal_toIiEEEE10hipError_tPvRmT2_T3_mT4_T5_T6_T7_T8_P12ihipStream_tbENKUlT_T0_E_clISt17integral_constantIbLb0EES12_IbLb1EEEEDaSY_SZ_EUlSY_E_NS1_11comp_targetILNS1_3genE8ELNS1_11target_archE1030ELNS1_3gpuE2ELNS1_3repE0EEENS1_30default_config_static_selectorELNS0_4arch9wavefront6targetE1EEEvT1_, .Lfunc_end973-_ZN7rocprim17ROCPRIM_400000_NS6detail17trampoline_kernelINS0_14default_configENS1_29reduce_by_key_config_selectorIilN6thrust23THRUST_200600_302600_NS4plusIlEEEEZZNS1_33reduce_by_key_impl_wrapped_configILNS1_25lookback_scan_determinismE0ES3_S9_PiNS6_17constant_iteratorIiNS6_11use_defaultESE_EENS6_10device_ptrIiEENSG_IlEEPmS8_NS6_8equal_toIiEEEE10hipError_tPvRmT2_T3_mT4_T5_T6_T7_T8_P12ihipStream_tbENKUlT_T0_E_clISt17integral_constantIbLb0EES12_IbLb1EEEEDaSY_SZ_EUlSY_E_NS1_11comp_targetILNS1_3genE8ELNS1_11target_archE1030ELNS1_3gpuE2ELNS1_3repE0EEENS1_30default_config_static_selectorELNS0_4arch9wavefront6targetE1EEEvT1_
                                        ; -- End function
	.section	.AMDGPU.csdata,"",@progbits
; Kernel info:
; codeLenInByte = 0
; NumSgprs: 4
; NumVgprs: 0
; NumAgprs: 0
; TotalNumVgprs: 0
; ScratchSize: 0
; MemoryBound: 0
; FloatMode: 240
; IeeeMode: 1
; LDSByteSize: 0 bytes/workgroup (compile time only)
; SGPRBlocks: 0
; VGPRBlocks: 0
; NumSGPRsForWavesPerEU: 4
; NumVGPRsForWavesPerEU: 1
; AccumOffset: 4
; Occupancy: 8
; WaveLimiterHint : 0
; COMPUTE_PGM_RSRC2:SCRATCH_EN: 0
; COMPUTE_PGM_RSRC2:USER_SGPR: 6
; COMPUTE_PGM_RSRC2:TRAP_HANDLER: 0
; COMPUTE_PGM_RSRC2:TGID_X_EN: 1
; COMPUTE_PGM_RSRC2:TGID_Y_EN: 0
; COMPUTE_PGM_RSRC2:TGID_Z_EN: 0
; COMPUTE_PGM_RSRC2:TIDIG_COMP_CNT: 0
; COMPUTE_PGM_RSRC3_GFX90A:ACCUM_OFFSET: 0
; COMPUTE_PGM_RSRC3_GFX90A:TG_SPLIT: 0
	.section	.text._ZN7rocprim17ROCPRIM_400000_NS6detail17trampoline_kernelINS0_14default_configENS1_22reduce_config_selectorIN6thrust23THRUST_200600_302600_NS5tupleIblNS6_9null_typeES8_S8_S8_S8_S8_S8_S8_EEEEZNS1_11reduce_implILb1ES3_NS6_12zip_iteratorINS7_INS6_11hip_rocprim26transform_input_iterator_tIbPiNS6_6detail10functional5actorINSH_9compositeIJNSH_27transparent_binary_operatorINS6_8equal_toIvEEEENSI_INSH_8argumentILj0EEEEENSH_5valueIiEEEEEEEEENSD_19counting_iterator_tIlEES8_S8_S8_S8_S8_S8_S8_S8_EEEEPS9_S9_NSD_9__find_if7functorIS9_EEEE10hipError_tPvRmT1_T2_T3_mT4_P12ihipStream_tbEUlT_E0_NS1_11comp_targetILNS1_3genE0ELNS1_11target_archE4294967295ELNS1_3gpuE0ELNS1_3repE0EEENS1_30default_config_static_selectorELNS0_4arch9wavefront6targetE1EEEvS17_,"axG",@progbits,_ZN7rocprim17ROCPRIM_400000_NS6detail17trampoline_kernelINS0_14default_configENS1_22reduce_config_selectorIN6thrust23THRUST_200600_302600_NS5tupleIblNS6_9null_typeES8_S8_S8_S8_S8_S8_S8_EEEEZNS1_11reduce_implILb1ES3_NS6_12zip_iteratorINS7_INS6_11hip_rocprim26transform_input_iterator_tIbPiNS6_6detail10functional5actorINSH_9compositeIJNSH_27transparent_binary_operatorINS6_8equal_toIvEEEENSI_INSH_8argumentILj0EEEEENSH_5valueIiEEEEEEEEENSD_19counting_iterator_tIlEES8_S8_S8_S8_S8_S8_S8_S8_EEEEPS9_S9_NSD_9__find_if7functorIS9_EEEE10hipError_tPvRmT1_T2_T3_mT4_P12ihipStream_tbEUlT_E0_NS1_11comp_targetILNS1_3genE0ELNS1_11target_archE4294967295ELNS1_3gpuE0ELNS1_3repE0EEENS1_30default_config_static_selectorELNS0_4arch9wavefront6targetE1EEEvS17_,comdat
	.protected	_ZN7rocprim17ROCPRIM_400000_NS6detail17trampoline_kernelINS0_14default_configENS1_22reduce_config_selectorIN6thrust23THRUST_200600_302600_NS5tupleIblNS6_9null_typeES8_S8_S8_S8_S8_S8_S8_EEEEZNS1_11reduce_implILb1ES3_NS6_12zip_iteratorINS7_INS6_11hip_rocprim26transform_input_iterator_tIbPiNS6_6detail10functional5actorINSH_9compositeIJNSH_27transparent_binary_operatorINS6_8equal_toIvEEEENSI_INSH_8argumentILj0EEEEENSH_5valueIiEEEEEEEEENSD_19counting_iterator_tIlEES8_S8_S8_S8_S8_S8_S8_S8_EEEEPS9_S9_NSD_9__find_if7functorIS9_EEEE10hipError_tPvRmT1_T2_T3_mT4_P12ihipStream_tbEUlT_E0_NS1_11comp_targetILNS1_3genE0ELNS1_11target_archE4294967295ELNS1_3gpuE0ELNS1_3repE0EEENS1_30default_config_static_selectorELNS0_4arch9wavefront6targetE1EEEvS17_ ; -- Begin function _ZN7rocprim17ROCPRIM_400000_NS6detail17trampoline_kernelINS0_14default_configENS1_22reduce_config_selectorIN6thrust23THRUST_200600_302600_NS5tupleIblNS6_9null_typeES8_S8_S8_S8_S8_S8_S8_EEEEZNS1_11reduce_implILb1ES3_NS6_12zip_iteratorINS7_INS6_11hip_rocprim26transform_input_iterator_tIbPiNS6_6detail10functional5actorINSH_9compositeIJNSH_27transparent_binary_operatorINS6_8equal_toIvEEEENSI_INSH_8argumentILj0EEEEENSH_5valueIiEEEEEEEEENSD_19counting_iterator_tIlEES8_S8_S8_S8_S8_S8_S8_S8_EEEEPS9_S9_NSD_9__find_if7functorIS9_EEEE10hipError_tPvRmT1_T2_T3_mT4_P12ihipStream_tbEUlT_E0_NS1_11comp_targetILNS1_3genE0ELNS1_11target_archE4294967295ELNS1_3gpuE0ELNS1_3repE0EEENS1_30default_config_static_selectorELNS0_4arch9wavefront6targetE1EEEvS17_
	.globl	_ZN7rocprim17ROCPRIM_400000_NS6detail17trampoline_kernelINS0_14default_configENS1_22reduce_config_selectorIN6thrust23THRUST_200600_302600_NS5tupleIblNS6_9null_typeES8_S8_S8_S8_S8_S8_S8_EEEEZNS1_11reduce_implILb1ES3_NS6_12zip_iteratorINS7_INS6_11hip_rocprim26transform_input_iterator_tIbPiNS6_6detail10functional5actorINSH_9compositeIJNSH_27transparent_binary_operatorINS6_8equal_toIvEEEENSI_INSH_8argumentILj0EEEEENSH_5valueIiEEEEEEEEENSD_19counting_iterator_tIlEES8_S8_S8_S8_S8_S8_S8_S8_EEEEPS9_S9_NSD_9__find_if7functorIS9_EEEE10hipError_tPvRmT1_T2_T3_mT4_P12ihipStream_tbEUlT_E0_NS1_11comp_targetILNS1_3genE0ELNS1_11target_archE4294967295ELNS1_3gpuE0ELNS1_3repE0EEENS1_30default_config_static_selectorELNS0_4arch9wavefront6targetE1EEEvS17_
	.p2align	8
	.type	_ZN7rocprim17ROCPRIM_400000_NS6detail17trampoline_kernelINS0_14default_configENS1_22reduce_config_selectorIN6thrust23THRUST_200600_302600_NS5tupleIblNS6_9null_typeES8_S8_S8_S8_S8_S8_S8_EEEEZNS1_11reduce_implILb1ES3_NS6_12zip_iteratorINS7_INS6_11hip_rocprim26transform_input_iterator_tIbPiNS6_6detail10functional5actorINSH_9compositeIJNSH_27transparent_binary_operatorINS6_8equal_toIvEEEENSI_INSH_8argumentILj0EEEEENSH_5valueIiEEEEEEEEENSD_19counting_iterator_tIlEES8_S8_S8_S8_S8_S8_S8_S8_EEEEPS9_S9_NSD_9__find_if7functorIS9_EEEE10hipError_tPvRmT1_T2_T3_mT4_P12ihipStream_tbEUlT_E0_NS1_11comp_targetILNS1_3genE0ELNS1_11target_archE4294967295ELNS1_3gpuE0ELNS1_3repE0EEENS1_30default_config_static_selectorELNS0_4arch9wavefront6targetE1EEEvS17_,@function
_ZN7rocprim17ROCPRIM_400000_NS6detail17trampoline_kernelINS0_14default_configENS1_22reduce_config_selectorIN6thrust23THRUST_200600_302600_NS5tupleIblNS6_9null_typeES8_S8_S8_S8_S8_S8_S8_EEEEZNS1_11reduce_implILb1ES3_NS6_12zip_iteratorINS7_INS6_11hip_rocprim26transform_input_iterator_tIbPiNS6_6detail10functional5actorINSH_9compositeIJNSH_27transparent_binary_operatorINS6_8equal_toIvEEEENSI_INSH_8argumentILj0EEEEENSH_5valueIiEEEEEEEEENSD_19counting_iterator_tIlEES8_S8_S8_S8_S8_S8_S8_S8_EEEEPS9_S9_NSD_9__find_if7functorIS9_EEEE10hipError_tPvRmT1_T2_T3_mT4_P12ihipStream_tbEUlT_E0_NS1_11comp_targetILNS1_3genE0ELNS1_11target_archE4294967295ELNS1_3gpuE0ELNS1_3repE0EEENS1_30default_config_static_selectorELNS0_4arch9wavefront6targetE1EEEvS17_: ; @_ZN7rocprim17ROCPRIM_400000_NS6detail17trampoline_kernelINS0_14default_configENS1_22reduce_config_selectorIN6thrust23THRUST_200600_302600_NS5tupleIblNS6_9null_typeES8_S8_S8_S8_S8_S8_S8_EEEEZNS1_11reduce_implILb1ES3_NS6_12zip_iteratorINS7_INS6_11hip_rocprim26transform_input_iterator_tIbPiNS6_6detail10functional5actorINSH_9compositeIJNSH_27transparent_binary_operatorINS6_8equal_toIvEEEENSI_INSH_8argumentILj0EEEEENSH_5valueIiEEEEEEEEENSD_19counting_iterator_tIlEES8_S8_S8_S8_S8_S8_S8_S8_EEEEPS9_S9_NSD_9__find_if7functorIS9_EEEE10hipError_tPvRmT1_T2_T3_mT4_P12ihipStream_tbEUlT_E0_NS1_11comp_targetILNS1_3genE0ELNS1_11target_archE4294967295ELNS1_3gpuE0ELNS1_3repE0EEENS1_30default_config_static_selectorELNS0_4arch9wavefront6targetE1EEEvS17_
; %bb.0:
	.section	.rodata,"a",@progbits
	.p2align	6, 0x0
	.amdhsa_kernel _ZN7rocprim17ROCPRIM_400000_NS6detail17trampoline_kernelINS0_14default_configENS1_22reduce_config_selectorIN6thrust23THRUST_200600_302600_NS5tupleIblNS6_9null_typeES8_S8_S8_S8_S8_S8_S8_EEEEZNS1_11reduce_implILb1ES3_NS6_12zip_iteratorINS7_INS6_11hip_rocprim26transform_input_iterator_tIbPiNS6_6detail10functional5actorINSH_9compositeIJNSH_27transparent_binary_operatorINS6_8equal_toIvEEEENSI_INSH_8argumentILj0EEEEENSH_5valueIiEEEEEEEEENSD_19counting_iterator_tIlEES8_S8_S8_S8_S8_S8_S8_S8_EEEEPS9_S9_NSD_9__find_if7functorIS9_EEEE10hipError_tPvRmT1_T2_T3_mT4_P12ihipStream_tbEUlT_E0_NS1_11comp_targetILNS1_3genE0ELNS1_11target_archE4294967295ELNS1_3gpuE0ELNS1_3repE0EEENS1_30default_config_static_selectorELNS0_4arch9wavefront6targetE1EEEvS17_
		.amdhsa_group_segment_fixed_size 0
		.amdhsa_private_segment_fixed_size 0
		.amdhsa_kernarg_size 88
		.amdhsa_user_sgpr_count 6
		.amdhsa_user_sgpr_private_segment_buffer 1
		.amdhsa_user_sgpr_dispatch_ptr 0
		.amdhsa_user_sgpr_queue_ptr 0
		.amdhsa_user_sgpr_kernarg_segment_ptr 1
		.amdhsa_user_sgpr_dispatch_id 0
		.amdhsa_user_sgpr_flat_scratch_init 0
		.amdhsa_user_sgpr_kernarg_preload_length 0
		.amdhsa_user_sgpr_kernarg_preload_offset 0
		.amdhsa_user_sgpr_private_segment_size 0
		.amdhsa_uses_dynamic_stack 0
		.amdhsa_system_sgpr_private_segment_wavefront_offset 0
		.amdhsa_system_sgpr_workgroup_id_x 1
		.amdhsa_system_sgpr_workgroup_id_y 0
		.amdhsa_system_sgpr_workgroup_id_z 0
		.amdhsa_system_sgpr_workgroup_info 0
		.amdhsa_system_vgpr_workitem_id 0
		.amdhsa_next_free_vgpr 1
		.amdhsa_next_free_sgpr 0
		.amdhsa_accum_offset 4
		.amdhsa_reserve_vcc 0
		.amdhsa_reserve_flat_scratch 0
		.amdhsa_float_round_mode_32 0
		.amdhsa_float_round_mode_16_64 0
		.amdhsa_float_denorm_mode_32 3
		.amdhsa_float_denorm_mode_16_64 3
		.amdhsa_dx10_clamp 1
		.amdhsa_ieee_mode 1
		.amdhsa_fp16_overflow 0
		.amdhsa_tg_split 0
		.amdhsa_exception_fp_ieee_invalid_op 0
		.amdhsa_exception_fp_denorm_src 0
		.amdhsa_exception_fp_ieee_div_zero 0
		.amdhsa_exception_fp_ieee_overflow 0
		.amdhsa_exception_fp_ieee_underflow 0
		.amdhsa_exception_fp_ieee_inexact 0
		.amdhsa_exception_int_div_zero 0
	.end_amdhsa_kernel
	.section	.text._ZN7rocprim17ROCPRIM_400000_NS6detail17trampoline_kernelINS0_14default_configENS1_22reduce_config_selectorIN6thrust23THRUST_200600_302600_NS5tupleIblNS6_9null_typeES8_S8_S8_S8_S8_S8_S8_EEEEZNS1_11reduce_implILb1ES3_NS6_12zip_iteratorINS7_INS6_11hip_rocprim26transform_input_iterator_tIbPiNS6_6detail10functional5actorINSH_9compositeIJNSH_27transparent_binary_operatorINS6_8equal_toIvEEEENSI_INSH_8argumentILj0EEEEENSH_5valueIiEEEEEEEEENSD_19counting_iterator_tIlEES8_S8_S8_S8_S8_S8_S8_S8_EEEEPS9_S9_NSD_9__find_if7functorIS9_EEEE10hipError_tPvRmT1_T2_T3_mT4_P12ihipStream_tbEUlT_E0_NS1_11comp_targetILNS1_3genE0ELNS1_11target_archE4294967295ELNS1_3gpuE0ELNS1_3repE0EEENS1_30default_config_static_selectorELNS0_4arch9wavefront6targetE1EEEvS17_,"axG",@progbits,_ZN7rocprim17ROCPRIM_400000_NS6detail17trampoline_kernelINS0_14default_configENS1_22reduce_config_selectorIN6thrust23THRUST_200600_302600_NS5tupleIblNS6_9null_typeES8_S8_S8_S8_S8_S8_S8_EEEEZNS1_11reduce_implILb1ES3_NS6_12zip_iteratorINS7_INS6_11hip_rocprim26transform_input_iterator_tIbPiNS6_6detail10functional5actorINSH_9compositeIJNSH_27transparent_binary_operatorINS6_8equal_toIvEEEENSI_INSH_8argumentILj0EEEEENSH_5valueIiEEEEEEEEENSD_19counting_iterator_tIlEES8_S8_S8_S8_S8_S8_S8_S8_EEEEPS9_S9_NSD_9__find_if7functorIS9_EEEE10hipError_tPvRmT1_T2_T3_mT4_P12ihipStream_tbEUlT_E0_NS1_11comp_targetILNS1_3genE0ELNS1_11target_archE4294967295ELNS1_3gpuE0ELNS1_3repE0EEENS1_30default_config_static_selectorELNS0_4arch9wavefront6targetE1EEEvS17_,comdat
.Lfunc_end974:
	.size	_ZN7rocprim17ROCPRIM_400000_NS6detail17trampoline_kernelINS0_14default_configENS1_22reduce_config_selectorIN6thrust23THRUST_200600_302600_NS5tupleIblNS6_9null_typeES8_S8_S8_S8_S8_S8_S8_EEEEZNS1_11reduce_implILb1ES3_NS6_12zip_iteratorINS7_INS6_11hip_rocprim26transform_input_iterator_tIbPiNS6_6detail10functional5actorINSH_9compositeIJNSH_27transparent_binary_operatorINS6_8equal_toIvEEEENSI_INSH_8argumentILj0EEEEENSH_5valueIiEEEEEEEEENSD_19counting_iterator_tIlEES8_S8_S8_S8_S8_S8_S8_S8_EEEEPS9_S9_NSD_9__find_if7functorIS9_EEEE10hipError_tPvRmT1_T2_T3_mT4_P12ihipStream_tbEUlT_E0_NS1_11comp_targetILNS1_3genE0ELNS1_11target_archE4294967295ELNS1_3gpuE0ELNS1_3repE0EEENS1_30default_config_static_selectorELNS0_4arch9wavefront6targetE1EEEvS17_, .Lfunc_end974-_ZN7rocprim17ROCPRIM_400000_NS6detail17trampoline_kernelINS0_14default_configENS1_22reduce_config_selectorIN6thrust23THRUST_200600_302600_NS5tupleIblNS6_9null_typeES8_S8_S8_S8_S8_S8_S8_EEEEZNS1_11reduce_implILb1ES3_NS6_12zip_iteratorINS7_INS6_11hip_rocprim26transform_input_iterator_tIbPiNS6_6detail10functional5actorINSH_9compositeIJNSH_27transparent_binary_operatorINS6_8equal_toIvEEEENSI_INSH_8argumentILj0EEEEENSH_5valueIiEEEEEEEEENSD_19counting_iterator_tIlEES8_S8_S8_S8_S8_S8_S8_S8_EEEEPS9_S9_NSD_9__find_if7functorIS9_EEEE10hipError_tPvRmT1_T2_T3_mT4_P12ihipStream_tbEUlT_E0_NS1_11comp_targetILNS1_3genE0ELNS1_11target_archE4294967295ELNS1_3gpuE0ELNS1_3repE0EEENS1_30default_config_static_selectorELNS0_4arch9wavefront6targetE1EEEvS17_
                                        ; -- End function
	.section	.AMDGPU.csdata,"",@progbits
; Kernel info:
; codeLenInByte = 0
; NumSgprs: 4
; NumVgprs: 0
; NumAgprs: 0
; TotalNumVgprs: 0
; ScratchSize: 0
; MemoryBound: 0
; FloatMode: 240
; IeeeMode: 1
; LDSByteSize: 0 bytes/workgroup (compile time only)
; SGPRBlocks: 0
; VGPRBlocks: 0
; NumSGPRsForWavesPerEU: 4
; NumVGPRsForWavesPerEU: 1
; AccumOffset: 4
; Occupancy: 8
; WaveLimiterHint : 0
; COMPUTE_PGM_RSRC2:SCRATCH_EN: 0
; COMPUTE_PGM_RSRC2:USER_SGPR: 6
; COMPUTE_PGM_RSRC2:TRAP_HANDLER: 0
; COMPUTE_PGM_RSRC2:TGID_X_EN: 1
; COMPUTE_PGM_RSRC2:TGID_Y_EN: 0
; COMPUTE_PGM_RSRC2:TGID_Z_EN: 0
; COMPUTE_PGM_RSRC2:TIDIG_COMP_CNT: 0
; COMPUTE_PGM_RSRC3_GFX90A:ACCUM_OFFSET: 0
; COMPUTE_PGM_RSRC3_GFX90A:TG_SPLIT: 0
	.section	.text._ZN7rocprim17ROCPRIM_400000_NS6detail17trampoline_kernelINS0_14default_configENS1_22reduce_config_selectorIN6thrust23THRUST_200600_302600_NS5tupleIblNS6_9null_typeES8_S8_S8_S8_S8_S8_S8_EEEEZNS1_11reduce_implILb1ES3_NS6_12zip_iteratorINS7_INS6_11hip_rocprim26transform_input_iterator_tIbPiNS6_6detail10functional5actorINSH_9compositeIJNSH_27transparent_binary_operatorINS6_8equal_toIvEEEENSI_INSH_8argumentILj0EEEEENSH_5valueIiEEEEEEEEENSD_19counting_iterator_tIlEES8_S8_S8_S8_S8_S8_S8_S8_EEEEPS9_S9_NSD_9__find_if7functorIS9_EEEE10hipError_tPvRmT1_T2_T3_mT4_P12ihipStream_tbEUlT_E0_NS1_11comp_targetILNS1_3genE5ELNS1_11target_archE942ELNS1_3gpuE9ELNS1_3repE0EEENS1_30default_config_static_selectorELNS0_4arch9wavefront6targetE1EEEvS17_,"axG",@progbits,_ZN7rocprim17ROCPRIM_400000_NS6detail17trampoline_kernelINS0_14default_configENS1_22reduce_config_selectorIN6thrust23THRUST_200600_302600_NS5tupleIblNS6_9null_typeES8_S8_S8_S8_S8_S8_S8_EEEEZNS1_11reduce_implILb1ES3_NS6_12zip_iteratorINS7_INS6_11hip_rocprim26transform_input_iterator_tIbPiNS6_6detail10functional5actorINSH_9compositeIJNSH_27transparent_binary_operatorINS6_8equal_toIvEEEENSI_INSH_8argumentILj0EEEEENSH_5valueIiEEEEEEEEENSD_19counting_iterator_tIlEES8_S8_S8_S8_S8_S8_S8_S8_EEEEPS9_S9_NSD_9__find_if7functorIS9_EEEE10hipError_tPvRmT1_T2_T3_mT4_P12ihipStream_tbEUlT_E0_NS1_11comp_targetILNS1_3genE5ELNS1_11target_archE942ELNS1_3gpuE9ELNS1_3repE0EEENS1_30default_config_static_selectorELNS0_4arch9wavefront6targetE1EEEvS17_,comdat
	.protected	_ZN7rocprim17ROCPRIM_400000_NS6detail17trampoline_kernelINS0_14default_configENS1_22reduce_config_selectorIN6thrust23THRUST_200600_302600_NS5tupleIblNS6_9null_typeES8_S8_S8_S8_S8_S8_S8_EEEEZNS1_11reduce_implILb1ES3_NS6_12zip_iteratorINS7_INS6_11hip_rocprim26transform_input_iterator_tIbPiNS6_6detail10functional5actorINSH_9compositeIJNSH_27transparent_binary_operatorINS6_8equal_toIvEEEENSI_INSH_8argumentILj0EEEEENSH_5valueIiEEEEEEEEENSD_19counting_iterator_tIlEES8_S8_S8_S8_S8_S8_S8_S8_EEEEPS9_S9_NSD_9__find_if7functorIS9_EEEE10hipError_tPvRmT1_T2_T3_mT4_P12ihipStream_tbEUlT_E0_NS1_11comp_targetILNS1_3genE5ELNS1_11target_archE942ELNS1_3gpuE9ELNS1_3repE0EEENS1_30default_config_static_selectorELNS0_4arch9wavefront6targetE1EEEvS17_ ; -- Begin function _ZN7rocprim17ROCPRIM_400000_NS6detail17trampoline_kernelINS0_14default_configENS1_22reduce_config_selectorIN6thrust23THRUST_200600_302600_NS5tupleIblNS6_9null_typeES8_S8_S8_S8_S8_S8_S8_EEEEZNS1_11reduce_implILb1ES3_NS6_12zip_iteratorINS7_INS6_11hip_rocprim26transform_input_iterator_tIbPiNS6_6detail10functional5actorINSH_9compositeIJNSH_27transparent_binary_operatorINS6_8equal_toIvEEEENSI_INSH_8argumentILj0EEEEENSH_5valueIiEEEEEEEEENSD_19counting_iterator_tIlEES8_S8_S8_S8_S8_S8_S8_S8_EEEEPS9_S9_NSD_9__find_if7functorIS9_EEEE10hipError_tPvRmT1_T2_T3_mT4_P12ihipStream_tbEUlT_E0_NS1_11comp_targetILNS1_3genE5ELNS1_11target_archE942ELNS1_3gpuE9ELNS1_3repE0EEENS1_30default_config_static_selectorELNS0_4arch9wavefront6targetE1EEEvS17_
	.globl	_ZN7rocprim17ROCPRIM_400000_NS6detail17trampoline_kernelINS0_14default_configENS1_22reduce_config_selectorIN6thrust23THRUST_200600_302600_NS5tupleIblNS6_9null_typeES8_S8_S8_S8_S8_S8_S8_EEEEZNS1_11reduce_implILb1ES3_NS6_12zip_iteratorINS7_INS6_11hip_rocprim26transform_input_iterator_tIbPiNS6_6detail10functional5actorINSH_9compositeIJNSH_27transparent_binary_operatorINS6_8equal_toIvEEEENSI_INSH_8argumentILj0EEEEENSH_5valueIiEEEEEEEEENSD_19counting_iterator_tIlEES8_S8_S8_S8_S8_S8_S8_S8_EEEEPS9_S9_NSD_9__find_if7functorIS9_EEEE10hipError_tPvRmT1_T2_T3_mT4_P12ihipStream_tbEUlT_E0_NS1_11comp_targetILNS1_3genE5ELNS1_11target_archE942ELNS1_3gpuE9ELNS1_3repE0EEENS1_30default_config_static_selectorELNS0_4arch9wavefront6targetE1EEEvS17_
	.p2align	8
	.type	_ZN7rocprim17ROCPRIM_400000_NS6detail17trampoline_kernelINS0_14default_configENS1_22reduce_config_selectorIN6thrust23THRUST_200600_302600_NS5tupleIblNS6_9null_typeES8_S8_S8_S8_S8_S8_S8_EEEEZNS1_11reduce_implILb1ES3_NS6_12zip_iteratorINS7_INS6_11hip_rocprim26transform_input_iterator_tIbPiNS6_6detail10functional5actorINSH_9compositeIJNSH_27transparent_binary_operatorINS6_8equal_toIvEEEENSI_INSH_8argumentILj0EEEEENSH_5valueIiEEEEEEEEENSD_19counting_iterator_tIlEES8_S8_S8_S8_S8_S8_S8_S8_EEEEPS9_S9_NSD_9__find_if7functorIS9_EEEE10hipError_tPvRmT1_T2_T3_mT4_P12ihipStream_tbEUlT_E0_NS1_11comp_targetILNS1_3genE5ELNS1_11target_archE942ELNS1_3gpuE9ELNS1_3repE0EEENS1_30default_config_static_selectorELNS0_4arch9wavefront6targetE1EEEvS17_,@function
_ZN7rocprim17ROCPRIM_400000_NS6detail17trampoline_kernelINS0_14default_configENS1_22reduce_config_selectorIN6thrust23THRUST_200600_302600_NS5tupleIblNS6_9null_typeES8_S8_S8_S8_S8_S8_S8_EEEEZNS1_11reduce_implILb1ES3_NS6_12zip_iteratorINS7_INS6_11hip_rocprim26transform_input_iterator_tIbPiNS6_6detail10functional5actorINSH_9compositeIJNSH_27transparent_binary_operatorINS6_8equal_toIvEEEENSI_INSH_8argumentILj0EEEEENSH_5valueIiEEEEEEEEENSD_19counting_iterator_tIlEES8_S8_S8_S8_S8_S8_S8_S8_EEEEPS9_S9_NSD_9__find_if7functorIS9_EEEE10hipError_tPvRmT1_T2_T3_mT4_P12ihipStream_tbEUlT_E0_NS1_11comp_targetILNS1_3genE5ELNS1_11target_archE942ELNS1_3gpuE9ELNS1_3repE0EEENS1_30default_config_static_selectorELNS0_4arch9wavefront6targetE1EEEvS17_: ; @_ZN7rocprim17ROCPRIM_400000_NS6detail17trampoline_kernelINS0_14default_configENS1_22reduce_config_selectorIN6thrust23THRUST_200600_302600_NS5tupleIblNS6_9null_typeES8_S8_S8_S8_S8_S8_S8_EEEEZNS1_11reduce_implILb1ES3_NS6_12zip_iteratorINS7_INS6_11hip_rocprim26transform_input_iterator_tIbPiNS6_6detail10functional5actorINSH_9compositeIJNSH_27transparent_binary_operatorINS6_8equal_toIvEEEENSI_INSH_8argumentILj0EEEEENSH_5valueIiEEEEEEEEENSD_19counting_iterator_tIlEES8_S8_S8_S8_S8_S8_S8_S8_EEEEPS9_S9_NSD_9__find_if7functorIS9_EEEE10hipError_tPvRmT1_T2_T3_mT4_P12ihipStream_tbEUlT_E0_NS1_11comp_targetILNS1_3genE5ELNS1_11target_archE942ELNS1_3gpuE9ELNS1_3repE0EEENS1_30default_config_static_selectorELNS0_4arch9wavefront6targetE1EEEvS17_
; %bb.0:
	.section	.rodata,"a",@progbits
	.p2align	6, 0x0
	.amdhsa_kernel _ZN7rocprim17ROCPRIM_400000_NS6detail17trampoline_kernelINS0_14default_configENS1_22reduce_config_selectorIN6thrust23THRUST_200600_302600_NS5tupleIblNS6_9null_typeES8_S8_S8_S8_S8_S8_S8_EEEEZNS1_11reduce_implILb1ES3_NS6_12zip_iteratorINS7_INS6_11hip_rocprim26transform_input_iterator_tIbPiNS6_6detail10functional5actorINSH_9compositeIJNSH_27transparent_binary_operatorINS6_8equal_toIvEEEENSI_INSH_8argumentILj0EEEEENSH_5valueIiEEEEEEEEENSD_19counting_iterator_tIlEES8_S8_S8_S8_S8_S8_S8_S8_EEEEPS9_S9_NSD_9__find_if7functorIS9_EEEE10hipError_tPvRmT1_T2_T3_mT4_P12ihipStream_tbEUlT_E0_NS1_11comp_targetILNS1_3genE5ELNS1_11target_archE942ELNS1_3gpuE9ELNS1_3repE0EEENS1_30default_config_static_selectorELNS0_4arch9wavefront6targetE1EEEvS17_
		.amdhsa_group_segment_fixed_size 0
		.amdhsa_private_segment_fixed_size 0
		.amdhsa_kernarg_size 88
		.amdhsa_user_sgpr_count 6
		.amdhsa_user_sgpr_private_segment_buffer 1
		.amdhsa_user_sgpr_dispatch_ptr 0
		.amdhsa_user_sgpr_queue_ptr 0
		.amdhsa_user_sgpr_kernarg_segment_ptr 1
		.amdhsa_user_sgpr_dispatch_id 0
		.amdhsa_user_sgpr_flat_scratch_init 0
		.amdhsa_user_sgpr_kernarg_preload_length 0
		.amdhsa_user_sgpr_kernarg_preload_offset 0
		.amdhsa_user_sgpr_private_segment_size 0
		.amdhsa_uses_dynamic_stack 0
		.amdhsa_system_sgpr_private_segment_wavefront_offset 0
		.amdhsa_system_sgpr_workgroup_id_x 1
		.amdhsa_system_sgpr_workgroup_id_y 0
		.amdhsa_system_sgpr_workgroup_id_z 0
		.amdhsa_system_sgpr_workgroup_info 0
		.amdhsa_system_vgpr_workitem_id 0
		.amdhsa_next_free_vgpr 1
		.amdhsa_next_free_sgpr 0
		.amdhsa_accum_offset 4
		.amdhsa_reserve_vcc 0
		.amdhsa_reserve_flat_scratch 0
		.amdhsa_float_round_mode_32 0
		.amdhsa_float_round_mode_16_64 0
		.amdhsa_float_denorm_mode_32 3
		.amdhsa_float_denorm_mode_16_64 3
		.amdhsa_dx10_clamp 1
		.amdhsa_ieee_mode 1
		.amdhsa_fp16_overflow 0
		.amdhsa_tg_split 0
		.amdhsa_exception_fp_ieee_invalid_op 0
		.amdhsa_exception_fp_denorm_src 0
		.amdhsa_exception_fp_ieee_div_zero 0
		.amdhsa_exception_fp_ieee_overflow 0
		.amdhsa_exception_fp_ieee_underflow 0
		.amdhsa_exception_fp_ieee_inexact 0
		.amdhsa_exception_int_div_zero 0
	.end_amdhsa_kernel
	.section	.text._ZN7rocprim17ROCPRIM_400000_NS6detail17trampoline_kernelINS0_14default_configENS1_22reduce_config_selectorIN6thrust23THRUST_200600_302600_NS5tupleIblNS6_9null_typeES8_S8_S8_S8_S8_S8_S8_EEEEZNS1_11reduce_implILb1ES3_NS6_12zip_iteratorINS7_INS6_11hip_rocprim26transform_input_iterator_tIbPiNS6_6detail10functional5actorINSH_9compositeIJNSH_27transparent_binary_operatorINS6_8equal_toIvEEEENSI_INSH_8argumentILj0EEEEENSH_5valueIiEEEEEEEEENSD_19counting_iterator_tIlEES8_S8_S8_S8_S8_S8_S8_S8_EEEEPS9_S9_NSD_9__find_if7functorIS9_EEEE10hipError_tPvRmT1_T2_T3_mT4_P12ihipStream_tbEUlT_E0_NS1_11comp_targetILNS1_3genE5ELNS1_11target_archE942ELNS1_3gpuE9ELNS1_3repE0EEENS1_30default_config_static_selectorELNS0_4arch9wavefront6targetE1EEEvS17_,"axG",@progbits,_ZN7rocprim17ROCPRIM_400000_NS6detail17trampoline_kernelINS0_14default_configENS1_22reduce_config_selectorIN6thrust23THRUST_200600_302600_NS5tupleIblNS6_9null_typeES8_S8_S8_S8_S8_S8_S8_EEEEZNS1_11reduce_implILb1ES3_NS6_12zip_iteratorINS7_INS6_11hip_rocprim26transform_input_iterator_tIbPiNS6_6detail10functional5actorINSH_9compositeIJNSH_27transparent_binary_operatorINS6_8equal_toIvEEEENSI_INSH_8argumentILj0EEEEENSH_5valueIiEEEEEEEEENSD_19counting_iterator_tIlEES8_S8_S8_S8_S8_S8_S8_S8_EEEEPS9_S9_NSD_9__find_if7functorIS9_EEEE10hipError_tPvRmT1_T2_T3_mT4_P12ihipStream_tbEUlT_E0_NS1_11comp_targetILNS1_3genE5ELNS1_11target_archE942ELNS1_3gpuE9ELNS1_3repE0EEENS1_30default_config_static_selectorELNS0_4arch9wavefront6targetE1EEEvS17_,comdat
.Lfunc_end975:
	.size	_ZN7rocprim17ROCPRIM_400000_NS6detail17trampoline_kernelINS0_14default_configENS1_22reduce_config_selectorIN6thrust23THRUST_200600_302600_NS5tupleIblNS6_9null_typeES8_S8_S8_S8_S8_S8_S8_EEEEZNS1_11reduce_implILb1ES3_NS6_12zip_iteratorINS7_INS6_11hip_rocprim26transform_input_iterator_tIbPiNS6_6detail10functional5actorINSH_9compositeIJNSH_27transparent_binary_operatorINS6_8equal_toIvEEEENSI_INSH_8argumentILj0EEEEENSH_5valueIiEEEEEEEEENSD_19counting_iterator_tIlEES8_S8_S8_S8_S8_S8_S8_S8_EEEEPS9_S9_NSD_9__find_if7functorIS9_EEEE10hipError_tPvRmT1_T2_T3_mT4_P12ihipStream_tbEUlT_E0_NS1_11comp_targetILNS1_3genE5ELNS1_11target_archE942ELNS1_3gpuE9ELNS1_3repE0EEENS1_30default_config_static_selectorELNS0_4arch9wavefront6targetE1EEEvS17_, .Lfunc_end975-_ZN7rocprim17ROCPRIM_400000_NS6detail17trampoline_kernelINS0_14default_configENS1_22reduce_config_selectorIN6thrust23THRUST_200600_302600_NS5tupleIblNS6_9null_typeES8_S8_S8_S8_S8_S8_S8_EEEEZNS1_11reduce_implILb1ES3_NS6_12zip_iteratorINS7_INS6_11hip_rocprim26transform_input_iterator_tIbPiNS6_6detail10functional5actorINSH_9compositeIJNSH_27transparent_binary_operatorINS6_8equal_toIvEEEENSI_INSH_8argumentILj0EEEEENSH_5valueIiEEEEEEEEENSD_19counting_iterator_tIlEES8_S8_S8_S8_S8_S8_S8_S8_EEEEPS9_S9_NSD_9__find_if7functorIS9_EEEE10hipError_tPvRmT1_T2_T3_mT4_P12ihipStream_tbEUlT_E0_NS1_11comp_targetILNS1_3genE5ELNS1_11target_archE942ELNS1_3gpuE9ELNS1_3repE0EEENS1_30default_config_static_selectorELNS0_4arch9wavefront6targetE1EEEvS17_
                                        ; -- End function
	.section	.AMDGPU.csdata,"",@progbits
; Kernel info:
; codeLenInByte = 0
; NumSgprs: 4
; NumVgprs: 0
; NumAgprs: 0
; TotalNumVgprs: 0
; ScratchSize: 0
; MemoryBound: 0
; FloatMode: 240
; IeeeMode: 1
; LDSByteSize: 0 bytes/workgroup (compile time only)
; SGPRBlocks: 0
; VGPRBlocks: 0
; NumSGPRsForWavesPerEU: 4
; NumVGPRsForWavesPerEU: 1
; AccumOffset: 4
; Occupancy: 8
; WaveLimiterHint : 0
; COMPUTE_PGM_RSRC2:SCRATCH_EN: 0
; COMPUTE_PGM_RSRC2:USER_SGPR: 6
; COMPUTE_PGM_RSRC2:TRAP_HANDLER: 0
; COMPUTE_PGM_RSRC2:TGID_X_EN: 1
; COMPUTE_PGM_RSRC2:TGID_Y_EN: 0
; COMPUTE_PGM_RSRC2:TGID_Z_EN: 0
; COMPUTE_PGM_RSRC2:TIDIG_COMP_CNT: 0
; COMPUTE_PGM_RSRC3_GFX90A:ACCUM_OFFSET: 0
; COMPUTE_PGM_RSRC3_GFX90A:TG_SPLIT: 0
	.section	.text._ZN7rocprim17ROCPRIM_400000_NS6detail17trampoline_kernelINS0_14default_configENS1_22reduce_config_selectorIN6thrust23THRUST_200600_302600_NS5tupleIblNS6_9null_typeES8_S8_S8_S8_S8_S8_S8_EEEEZNS1_11reduce_implILb1ES3_NS6_12zip_iteratorINS7_INS6_11hip_rocprim26transform_input_iterator_tIbPiNS6_6detail10functional5actorINSH_9compositeIJNSH_27transparent_binary_operatorINS6_8equal_toIvEEEENSI_INSH_8argumentILj0EEEEENSH_5valueIiEEEEEEEEENSD_19counting_iterator_tIlEES8_S8_S8_S8_S8_S8_S8_S8_EEEEPS9_S9_NSD_9__find_if7functorIS9_EEEE10hipError_tPvRmT1_T2_T3_mT4_P12ihipStream_tbEUlT_E0_NS1_11comp_targetILNS1_3genE4ELNS1_11target_archE910ELNS1_3gpuE8ELNS1_3repE0EEENS1_30default_config_static_selectorELNS0_4arch9wavefront6targetE1EEEvS17_,"axG",@progbits,_ZN7rocprim17ROCPRIM_400000_NS6detail17trampoline_kernelINS0_14default_configENS1_22reduce_config_selectorIN6thrust23THRUST_200600_302600_NS5tupleIblNS6_9null_typeES8_S8_S8_S8_S8_S8_S8_EEEEZNS1_11reduce_implILb1ES3_NS6_12zip_iteratorINS7_INS6_11hip_rocprim26transform_input_iterator_tIbPiNS6_6detail10functional5actorINSH_9compositeIJNSH_27transparent_binary_operatorINS6_8equal_toIvEEEENSI_INSH_8argumentILj0EEEEENSH_5valueIiEEEEEEEEENSD_19counting_iterator_tIlEES8_S8_S8_S8_S8_S8_S8_S8_EEEEPS9_S9_NSD_9__find_if7functorIS9_EEEE10hipError_tPvRmT1_T2_T3_mT4_P12ihipStream_tbEUlT_E0_NS1_11comp_targetILNS1_3genE4ELNS1_11target_archE910ELNS1_3gpuE8ELNS1_3repE0EEENS1_30default_config_static_selectorELNS0_4arch9wavefront6targetE1EEEvS17_,comdat
	.protected	_ZN7rocprim17ROCPRIM_400000_NS6detail17trampoline_kernelINS0_14default_configENS1_22reduce_config_selectorIN6thrust23THRUST_200600_302600_NS5tupleIblNS6_9null_typeES8_S8_S8_S8_S8_S8_S8_EEEEZNS1_11reduce_implILb1ES3_NS6_12zip_iteratorINS7_INS6_11hip_rocprim26transform_input_iterator_tIbPiNS6_6detail10functional5actorINSH_9compositeIJNSH_27transparent_binary_operatorINS6_8equal_toIvEEEENSI_INSH_8argumentILj0EEEEENSH_5valueIiEEEEEEEEENSD_19counting_iterator_tIlEES8_S8_S8_S8_S8_S8_S8_S8_EEEEPS9_S9_NSD_9__find_if7functorIS9_EEEE10hipError_tPvRmT1_T2_T3_mT4_P12ihipStream_tbEUlT_E0_NS1_11comp_targetILNS1_3genE4ELNS1_11target_archE910ELNS1_3gpuE8ELNS1_3repE0EEENS1_30default_config_static_selectorELNS0_4arch9wavefront6targetE1EEEvS17_ ; -- Begin function _ZN7rocprim17ROCPRIM_400000_NS6detail17trampoline_kernelINS0_14default_configENS1_22reduce_config_selectorIN6thrust23THRUST_200600_302600_NS5tupleIblNS6_9null_typeES8_S8_S8_S8_S8_S8_S8_EEEEZNS1_11reduce_implILb1ES3_NS6_12zip_iteratorINS7_INS6_11hip_rocprim26transform_input_iterator_tIbPiNS6_6detail10functional5actorINSH_9compositeIJNSH_27transparent_binary_operatorINS6_8equal_toIvEEEENSI_INSH_8argumentILj0EEEEENSH_5valueIiEEEEEEEEENSD_19counting_iterator_tIlEES8_S8_S8_S8_S8_S8_S8_S8_EEEEPS9_S9_NSD_9__find_if7functorIS9_EEEE10hipError_tPvRmT1_T2_T3_mT4_P12ihipStream_tbEUlT_E0_NS1_11comp_targetILNS1_3genE4ELNS1_11target_archE910ELNS1_3gpuE8ELNS1_3repE0EEENS1_30default_config_static_selectorELNS0_4arch9wavefront6targetE1EEEvS17_
	.globl	_ZN7rocprim17ROCPRIM_400000_NS6detail17trampoline_kernelINS0_14default_configENS1_22reduce_config_selectorIN6thrust23THRUST_200600_302600_NS5tupleIblNS6_9null_typeES8_S8_S8_S8_S8_S8_S8_EEEEZNS1_11reduce_implILb1ES3_NS6_12zip_iteratorINS7_INS6_11hip_rocprim26transform_input_iterator_tIbPiNS6_6detail10functional5actorINSH_9compositeIJNSH_27transparent_binary_operatorINS6_8equal_toIvEEEENSI_INSH_8argumentILj0EEEEENSH_5valueIiEEEEEEEEENSD_19counting_iterator_tIlEES8_S8_S8_S8_S8_S8_S8_S8_EEEEPS9_S9_NSD_9__find_if7functorIS9_EEEE10hipError_tPvRmT1_T2_T3_mT4_P12ihipStream_tbEUlT_E0_NS1_11comp_targetILNS1_3genE4ELNS1_11target_archE910ELNS1_3gpuE8ELNS1_3repE0EEENS1_30default_config_static_selectorELNS0_4arch9wavefront6targetE1EEEvS17_
	.p2align	8
	.type	_ZN7rocprim17ROCPRIM_400000_NS6detail17trampoline_kernelINS0_14default_configENS1_22reduce_config_selectorIN6thrust23THRUST_200600_302600_NS5tupleIblNS6_9null_typeES8_S8_S8_S8_S8_S8_S8_EEEEZNS1_11reduce_implILb1ES3_NS6_12zip_iteratorINS7_INS6_11hip_rocprim26transform_input_iterator_tIbPiNS6_6detail10functional5actorINSH_9compositeIJNSH_27transparent_binary_operatorINS6_8equal_toIvEEEENSI_INSH_8argumentILj0EEEEENSH_5valueIiEEEEEEEEENSD_19counting_iterator_tIlEES8_S8_S8_S8_S8_S8_S8_S8_EEEEPS9_S9_NSD_9__find_if7functorIS9_EEEE10hipError_tPvRmT1_T2_T3_mT4_P12ihipStream_tbEUlT_E0_NS1_11comp_targetILNS1_3genE4ELNS1_11target_archE910ELNS1_3gpuE8ELNS1_3repE0EEENS1_30default_config_static_selectorELNS0_4arch9wavefront6targetE1EEEvS17_,@function
_ZN7rocprim17ROCPRIM_400000_NS6detail17trampoline_kernelINS0_14default_configENS1_22reduce_config_selectorIN6thrust23THRUST_200600_302600_NS5tupleIblNS6_9null_typeES8_S8_S8_S8_S8_S8_S8_EEEEZNS1_11reduce_implILb1ES3_NS6_12zip_iteratorINS7_INS6_11hip_rocprim26transform_input_iterator_tIbPiNS6_6detail10functional5actorINSH_9compositeIJNSH_27transparent_binary_operatorINS6_8equal_toIvEEEENSI_INSH_8argumentILj0EEEEENSH_5valueIiEEEEEEEEENSD_19counting_iterator_tIlEES8_S8_S8_S8_S8_S8_S8_S8_EEEEPS9_S9_NSD_9__find_if7functorIS9_EEEE10hipError_tPvRmT1_T2_T3_mT4_P12ihipStream_tbEUlT_E0_NS1_11comp_targetILNS1_3genE4ELNS1_11target_archE910ELNS1_3gpuE8ELNS1_3repE0EEENS1_30default_config_static_selectorELNS0_4arch9wavefront6targetE1EEEvS17_: ; @_ZN7rocprim17ROCPRIM_400000_NS6detail17trampoline_kernelINS0_14default_configENS1_22reduce_config_selectorIN6thrust23THRUST_200600_302600_NS5tupleIblNS6_9null_typeES8_S8_S8_S8_S8_S8_S8_EEEEZNS1_11reduce_implILb1ES3_NS6_12zip_iteratorINS7_INS6_11hip_rocprim26transform_input_iterator_tIbPiNS6_6detail10functional5actorINSH_9compositeIJNSH_27transparent_binary_operatorINS6_8equal_toIvEEEENSI_INSH_8argumentILj0EEEEENSH_5valueIiEEEEEEEEENSD_19counting_iterator_tIlEES8_S8_S8_S8_S8_S8_S8_S8_EEEEPS9_S9_NSD_9__find_if7functorIS9_EEEE10hipError_tPvRmT1_T2_T3_mT4_P12ihipStream_tbEUlT_E0_NS1_11comp_targetILNS1_3genE4ELNS1_11target_archE910ELNS1_3gpuE8ELNS1_3repE0EEENS1_30default_config_static_selectorELNS0_4arch9wavefront6targetE1EEEvS17_
; %bb.0:
	s_load_dwordx8 s[8:15], s[4:5], 0x10
	s_load_dwordx2 s[0:1], s[4:5], 0x0
	s_load_dword s24, s[4:5], 0xc
	s_load_dwordx4 s[16:19], s[4:5], 0x30
	s_mov_b32 s23, 0
	s_waitcnt lgkmcnt(0)
	s_lshl_b64 s[2:3], s[10:11], 2
	s_add_u32 s20, s0, s2
	s_addc_u32 s21, s1, s3
	s_lshl_b32 s22, s6, 9
	s_lshr_b64 s[0:1], s[12:13], 9
	s_lshl_b64 s[2:3], s[22:23], 2
	s_add_u32 s20, s20, s2
	s_addc_u32 s21, s21, s3
	s_add_u32 s2, s8, s22
	s_addc_u32 s3, s9, 0
	s_add_u32 s8, s2, s10
	s_mov_b32 s7, s23
	s_addc_u32 s9, s3, s11
	s_cmp_lg_u64 s[0:1], s[6:7]
	v_lshlrev_b32_e32 v1, 2, v0
	s_cbranch_scc0 .LBB976_18
; %bb.1:
	global_load_dword v2, v1, s[20:21] offset:1024
	global_load_dword v3, v1, s[20:21]
	v_mov_b32_e32 v4, s9
	v_add_co_u32_e32 v5, vcc, s8, v0
	v_addc_co_u32_e32 v4, vcc, 0, v4, vcc
	v_add_co_u32_e32 v6, vcc, 0x100, v5
	v_addc_co_u32_e32 v7, vcc, 0, v4, vcc
	s_waitcnt vmcnt(1)
	v_cmp_eq_u32_e32 vcc, s24, v2
	s_waitcnt vmcnt(0)
	v_cmp_eq_u32_e64 s[0:1], s24, v3
	v_cndmask_b32_e64 v3, v7, v4, s[0:1]
	v_cndmask_b32_e64 v2, v6, v5, s[0:1]
	s_or_b64 s[0:1], s[0:1], vcc
	v_cndmask_b32_e64 v6, 0, 1, s[0:1]
	v_mov_b32_dpp v4, v2 quad_perm:[1,0,3,2] row_mask:0xf bank_mask:0xf bound_ctrl:1
	v_mov_b32_dpp v5, v3 quad_perm:[1,0,3,2] row_mask:0xf bank_mask:0xf bound_ctrl:1
	;; [unrolled: 1-line block ×3, first 2 shown]
	v_and_b32_e32 v8, 1, v7
	v_cmp_eq_u32_e32 vcc, 1, v8
	s_and_saveexec_b64 s[2:3], vcc
; %bb.2:
	v_cmp_lt_i64_e32 vcc, v[2:3], v[4:5]
	v_cndmask_b32_e64 v7, v7, 1, s[0:1]
	s_and_b64 vcc, s[0:1], vcc
	v_cndmask_b32_e32 v2, v4, v2, vcc
	v_and_b32_e32 v4, 1, v7
	v_cndmask_b32_e32 v3, v5, v3, vcc
	v_cmp_eq_u32_e32 vcc, 1, v4
	s_andn2_b64 s[0:1], s[0:1], exec
	s_and_b64 s[10:11], vcc, exec
	v_and_b32_e32 v6, 0xff, v7
	s_or_b64 s[0:1], s[0:1], s[10:11]
; %bb.3:
	s_or_b64 exec, exec, s[2:3]
	v_mov_b32_dpp v7, v6 quad_perm:[2,3,0,1] row_mask:0xf bank_mask:0xf bound_ctrl:1
	v_and_b32_e32 v8, 1, v7
	v_mov_b32_dpp v4, v2 quad_perm:[2,3,0,1] row_mask:0xf bank_mask:0xf bound_ctrl:1
	v_mov_b32_dpp v5, v3 quad_perm:[2,3,0,1] row_mask:0xf bank_mask:0xf bound_ctrl:1
	v_cmp_eq_u32_e32 vcc, 1, v8
	s_and_saveexec_b64 s[2:3], vcc
; %bb.4:
	v_cmp_lt_i64_e32 vcc, v[2:3], v[4:5]
	v_cndmask_b32_e64 v7, v7, 1, s[0:1]
	s_and_b64 vcc, s[0:1], vcc
	v_cndmask_b32_e32 v2, v4, v2, vcc
	v_and_b32_e32 v4, 1, v7
	v_cndmask_b32_e32 v3, v5, v3, vcc
	v_cmp_eq_u32_e32 vcc, 1, v4
	s_andn2_b64 s[0:1], s[0:1], exec
	s_and_b64 s[10:11], vcc, exec
	v_and_b32_e32 v6, 0xff, v7
	s_or_b64 s[0:1], s[0:1], s[10:11]
; %bb.5:
	s_or_b64 exec, exec, s[2:3]
	v_mov_b32_dpp v7, v6 row_ror:4 row_mask:0xf bank_mask:0xf bound_ctrl:1
	v_and_b32_e32 v8, 1, v7
	v_mov_b32_dpp v4, v2 row_ror:4 row_mask:0xf bank_mask:0xf bound_ctrl:1
	v_mov_b32_dpp v5, v3 row_ror:4 row_mask:0xf bank_mask:0xf bound_ctrl:1
	v_cmp_eq_u32_e32 vcc, 1, v8
	s_and_saveexec_b64 s[2:3], vcc
; %bb.6:
	v_cmp_lt_i64_e32 vcc, v[2:3], v[4:5]
	v_cndmask_b32_e64 v7, v7, 1, s[0:1]
	s_and_b64 vcc, s[0:1], vcc
	v_cndmask_b32_e32 v2, v4, v2, vcc
	v_and_b32_e32 v4, 1, v7
	v_cndmask_b32_e32 v3, v5, v3, vcc
	v_cmp_eq_u32_e32 vcc, 1, v4
	s_andn2_b64 s[0:1], s[0:1], exec
	s_and_b64 s[10:11], vcc, exec
	v_and_b32_e32 v6, 0xff, v7
	s_or_b64 s[0:1], s[0:1], s[10:11]
; %bb.7:
	s_or_b64 exec, exec, s[2:3]
	v_mov_b32_dpp v7, v6 row_ror:8 row_mask:0xf bank_mask:0xf bound_ctrl:1
	v_and_b32_e32 v8, 1, v7
	v_mov_b32_dpp v4, v2 row_ror:8 row_mask:0xf bank_mask:0xf bound_ctrl:1
	v_mov_b32_dpp v5, v3 row_ror:8 row_mask:0xf bank_mask:0xf bound_ctrl:1
	v_cmp_eq_u32_e32 vcc, 1, v8
	s_and_saveexec_b64 s[2:3], vcc
; %bb.8:
	v_cmp_lt_i64_e32 vcc, v[2:3], v[4:5]
	v_cndmask_b32_e64 v7, v7, 1, s[0:1]
	s_and_b64 vcc, s[0:1], vcc
	v_cndmask_b32_e32 v2, v4, v2, vcc
	v_and_b32_e32 v4, 1, v7
	v_cndmask_b32_e32 v3, v5, v3, vcc
	v_cmp_eq_u32_e32 vcc, 1, v4
	s_andn2_b64 s[0:1], s[0:1], exec
	s_and_b64 s[10:11], vcc, exec
	v_and_b32_e32 v6, 0xff, v7
	s_or_b64 s[0:1], s[0:1], s[10:11]
; %bb.9:
	s_or_b64 exec, exec, s[2:3]
	v_mov_b32_dpp v7, v6 row_bcast:15 row_mask:0xf bank_mask:0xf bound_ctrl:1
	v_and_b32_e32 v8, 1, v7
	v_mov_b32_dpp v4, v2 row_bcast:15 row_mask:0xf bank_mask:0xf bound_ctrl:1
	v_mov_b32_dpp v5, v3 row_bcast:15 row_mask:0xf bank_mask:0xf bound_ctrl:1
	v_cmp_eq_u32_e32 vcc, 1, v8
	s_and_saveexec_b64 s[2:3], vcc
; %bb.10:
	v_cmp_lt_i64_e32 vcc, v[2:3], v[4:5]
	v_cndmask_b32_e64 v7, v7, 1, s[0:1]
	s_and_b64 vcc, s[0:1], vcc
	v_cndmask_b32_e32 v2, v4, v2, vcc
	v_and_b32_e32 v4, 1, v7
	v_cndmask_b32_e32 v3, v5, v3, vcc
	v_cmp_eq_u32_e32 vcc, 1, v4
	s_andn2_b64 s[0:1], s[0:1], exec
	s_and_b64 s[10:11], vcc, exec
	v_and_b32_e32 v6, 0xff, v7
	s_or_b64 s[0:1], s[0:1], s[10:11]
; %bb.11:
	s_or_b64 exec, exec, s[2:3]
	v_mov_b32_dpp v7, v6 row_bcast:31 row_mask:0xf bank_mask:0xf bound_ctrl:1
	v_and_b32_e32 v8, 1, v7
	v_mov_b32_dpp v4, v2 row_bcast:31 row_mask:0xf bank_mask:0xf bound_ctrl:1
	v_mov_b32_dpp v5, v3 row_bcast:31 row_mask:0xf bank_mask:0xf bound_ctrl:1
	v_cmp_eq_u32_e32 vcc, 1, v8
	s_and_saveexec_b64 s[2:3], vcc
; %bb.12:
	v_cmp_lt_i64_e32 vcc, v[2:3], v[4:5]
	v_and_b32_e32 v6, 0xff, v7
	s_and_b64 vcc, s[0:1], vcc
	v_cndmask_b32_e32 v2, v4, v2, vcc
	v_cndmask_b32_e32 v3, v5, v3, vcc
	v_cndmask_b32_e64 v6, v6, 1, s[0:1]
; %bb.13:
	s_or_b64 exec, exec, s[2:3]
	v_mbcnt_lo_u32_b32 v4, -1, 0
	v_mbcnt_hi_u32_b32 v4, -1, v4
	v_bfrev_b32_e32 v5, 0.5
	v_lshl_or_b32 v5, v4, 2, v5
	ds_bpermute_b32 v6, v5, v6
	ds_bpermute_b32 v2, v5, v2
	;; [unrolled: 1-line block ×3, first 2 shown]
	v_cmp_eq_u32_e32 vcc, 0, v4
	s_and_saveexec_b64 s[0:1], vcc
	s_cbranch_execz .LBB976_15
; %bb.14:
	v_lshrrev_b32_e32 v5, 2, v0
	v_and_b32_e32 v5, 48, v5
	s_waitcnt lgkmcnt(2)
	ds_write_b8 v5, v6
	s_waitcnt lgkmcnt(1)
	ds_write_b64 v5, v[2:3] offset:8
.LBB976_15:
	s_or_b64 exec, exec, s[0:1]
	v_cmp_gt_u32_e32 vcc, 64, v0
	s_waitcnt lgkmcnt(0)
	s_barrier
	s_and_saveexec_b64 s[2:3], vcc
	s_cbranch_execz .LBB976_17
; %bb.16:
	v_and_b32_e32 v5, 3, v4
	v_lshlrev_b32_e32 v2, 4, v5
	ds_read_u8 v8, v2
	ds_read_b64 v[2:3], v2 offset:8
	v_cmp_ne_u32_e32 vcc, 3, v5
	v_addc_co_u32_e32 v6, vcc, 0, v4, vcc
	s_waitcnt lgkmcnt(1)
	v_and_b32_e32 v7, 0xff, v8
	v_lshlrev_b32_e32 v9, 2, v6
	ds_bpermute_b32 v10, v9, v7
	s_waitcnt lgkmcnt(1)
	ds_bpermute_b32 v6, v9, v2
	ds_bpermute_b32 v7, v9, v3
	v_and_b32_e32 v9, 1, v8
	s_waitcnt lgkmcnt(2)
	v_and_b32_e32 v11, 1, v10
	v_cmp_eq_u32_e64 s[0:1], 1, v11
	s_waitcnt lgkmcnt(0)
	v_cmp_lt_i64_e32 vcc, v[6:7], v[2:3]
	s_and_b64 vcc, s[0:1], vcc
	v_cndmask_b32_e64 v8, v8, 1, s[0:1]
	v_cndmask_b32_e32 v2, v2, v6, vcc
	v_cndmask_b32_e32 v3, v3, v7, vcc
	v_cmp_eq_u32_e32 vcc, 1, v9
	v_cndmask_b32_e32 v8, v10, v8, vcc
	v_cndmask_b32_e32 v3, v7, v3, vcc
	;; [unrolled: 1-line block ×3, first 2 shown]
	v_cmp_gt_u32_e32 vcc, 2, v5
	v_cndmask_b32_e64 v5, 0, 1, vcc
	v_lshlrev_b32_e32 v5, 1, v5
	v_and_b32_e32 v6, 0xff, v8
	v_add_lshl_u32 v5, v5, v4, 2
	ds_bpermute_b32 v6, v5, v6
	ds_bpermute_b32 v4, v5, v2
	;; [unrolled: 1-line block ×3, first 2 shown]
	v_and_b32_e32 v7, 1, v8
	s_waitcnt lgkmcnt(2)
	v_and_b32_e32 v9, 1, v6
	v_cmp_eq_u32_e64 s[0:1], 1, v9
	s_waitcnt lgkmcnt(0)
	v_cmp_lt_i64_e32 vcc, v[4:5], v[2:3]
	s_and_b64 vcc, s[0:1], vcc
	v_cndmask_b32_e64 v8, v8, 1, s[0:1]
	v_cndmask_b32_e32 v2, v2, v4, vcc
	v_cndmask_b32_e32 v3, v3, v5, vcc
	v_cmp_eq_u32_e32 vcc, 1, v7
	v_cndmask_b32_e32 v6, v6, v8, vcc
	v_cndmask_b32_e32 v3, v5, v3, vcc
	;; [unrolled: 1-line block ×3, first 2 shown]
	v_and_b32_e32 v6, 0xff, v6
.LBB976_17:
	s_or_b64 exec, exec, s[2:3]
	s_load_dword s10, s[4:5], 0x40
	s_load_dwordx2 s[2:3], s[4:5], 0x48
	s_branch .LBB976_46
.LBB976_18:
                                        ; implicit-def: $vgpr2_vgpr3
                                        ; implicit-def: $vgpr6
	s_load_dword s10, s[4:5], 0x40
	s_load_dwordx2 s[2:3], s[4:5], 0x48
	s_cbranch_execz .LBB976_46
; %bb.19:
	s_sub_i32 s11, s12, s22
	v_pk_mov_b32 v[4:5], 0, 0
	v_cmp_gt_u32_e32 vcc, s11, v0
	v_mov_b32_e32 v6, 0
	v_pk_mov_b32 v[2:3], v[4:5], v[4:5] op_sel:[0,1]
	v_mov_b32_e32 v7, 0
	s_and_saveexec_b64 s[0:1], vcc
	s_cbranch_execz .LBB976_21
; %bb.20:
	global_load_dword v7, v1, s[20:21]
	v_mov_b32_e32 v3, s9
	v_add_co_u32_e32 v2, vcc, s8, v0
	v_addc_co_u32_e32 v3, vcc, 0, v3, vcc
	s_waitcnt vmcnt(0)
	v_cmp_eq_u32_e32 vcc, s24, v7
	v_cndmask_b32_e64 v7, 0, 1, vcc
.LBB976_21:
	s_or_b64 exec, exec, s[0:1]
	v_or_b32_e32 v8, 0x100, v0
	v_cmp_gt_u32_e32 vcc, s11, v8
	s_and_saveexec_b64 s[4:5], vcc
	s_cbranch_execz .LBB976_23
; %bb.22:
	global_load_dword v1, v1, s[20:21] offset:1024
	v_mov_b32_e32 v5, s9
	v_add_co_u32_e64 v4, s[0:1], s8, v8
	v_addc_co_u32_e64 v5, s[0:1], 0, v5, s[0:1]
	s_waitcnt vmcnt(0)
	v_cmp_eq_u32_e64 s[0:1], s24, v1
	v_cndmask_b32_e64 v6, 0, 1, s[0:1]
.LBB976_23:
	s_or_b64 exec, exec, s[4:5]
	s_and_saveexec_b64 s[4:5], vcc
	s_cbranch_execz .LBB976_25
; %bb.24:
	v_and_b32_e32 v8, 1, v6
	v_cmp_lt_i64_e32 vcc, v[4:5], v[2:3]
	v_cmp_eq_u32_e64 s[0:1], 1, v8
	v_and_b32_e32 v1, 1, v7
	s_and_b64 vcc, s[0:1], vcc
	v_cndmask_b32_e64 v7, v7, 1, s[0:1]
	v_cndmask_b32_e32 v2, v2, v4, vcc
	v_cndmask_b32_e32 v3, v3, v5, vcc
	v_cmp_eq_u32_e32 vcc, 1, v1
	v_cndmask_b32_e32 v7, v6, v7, vcc
	v_cndmask_b32_e32 v3, v5, v3, vcc
	;; [unrolled: 1-line block ×3, first 2 shown]
.LBB976_25:
	s_or_b64 exec, exec, s[4:5]
	v_mbcnt_lo_u32_b32 v1, -1, 0
	v_mbcnt_hi_u32_b32 v1, -1, v1
	v_and_b32_e32 v8, 63, v1
	v_cmp_ne_u32_e32 vcc, 63, v8
	v_addc_co_u32_e32 v4, vcc, 0, v1, vcc
	v_and_b32_e32 v6, 0xffff, v7
	v_lshlrev_b32_e32 v5, 2, v4
	ds_bpermute_b32 v10, v5, v6
	ds_bpermute_b32 v4, v5, v2
	;; [unrolled: 1-line block ×3, first 2 shown]
	s_min_u32 s8, s11, 0x100
	v_and_b32_e32 v9, 0xc0, v0
	v_sub_u32_e64 v9, s8, v9 clamp
	v_add_u32_e32 v11, 1, v8
	v_cmp_lt_u32_e32 vcc, v11, v9
	s_and_saveexec_b64 s[4:5], vcc
	s_cbranch_execz .LBB976_27
; %bb.26:
	s_waitcnt lgkmcnt(0)
	v_and_b32_e32 v11, 1, v10
	v_cmp_lt_i64_e32 vcc, v[4:5], v[2:3]
	v_cmp_eq_u32_e64 s[0:1], 1, v11
	v_and_b32_e32 v6, 1, v7
	s_and_b64 vcc, s[0:1], vcc
	v_cndmask_b32_e64 v7, v7, 1, s[0:1]
	v_cndmask_b32_e32 v2, v2, v4, vcc
	v_cndmask_b32_e32 v3, v3, v5, vcc
	v_cmp_eq_u32_e32 vcc, 1, v6
	v_cndmask_b32_e32 v7, v10, v7, vcc
	v_cndmask_b32_e32 v3, v5, v3, vcc
	;; [unrolled: 1-line block ×3, first 2 shown]
	v_and_b32_e32 v6, 0xff, v7
.LBB976_27:
	s_or_b64 exec, exec, s[4:5]
	v_cmp_gt_u32_e32 vcc, 62, v8
	s_waitcnt lgkmcnt(0)
	v_cndmask_b32_e64 v4, 0, 1, vcc
	v_lshlrev_b32_e32 v4, 1, v4
	v_add_lshl_u32 v5, v4, v1, 2
	ds_bpermute_b32 v10, v5, v6
	ds_bpermute_b32 v4, v5, v2
	ds_bpermute_b32 v5, v5, v3
	v_add_u32_e32 v11, 2, v8
	v_cmp_lt_u32_e32 vcc, v11, v9
	s_and_saveexec_b64 s[4:5], vcc
	s_cbranch_execz .LBB976_29
; %bb.28:
	s_waitcnt lgkmcnt(2)
	v_and_b32_e32 v11, 1, v10
	s_waitcnt lgkmcnt(0)
	v_cmp_lt_i64_e32 vcc, v[4:5], v[2:3]
	v_cmp_eq_u32_e64 s[0:1], 1, v11
	v_and_b32_e32 v6, 1, v7
	s_and_b64 vcc, s[0:1], vcc
	v_cndmask_b32_e64 v7, v7, 1, s[0:1]
	v_cndmask_b32_e32 v2, v2, v4, vcc
	v_cndmask_b32_e32 v3, v3, v5, vcc
	v_cmp_eq_u32_e32 vcc, 1, v6
	v_cndmask_b32_e32 v7, v10, v7, vcc
	v_cndmask_b32_e32 v3, v5, v3, vcc
	v_cndmask_b32_e32 v2, v4, v2, vcc
	v_and_b32_e32 v6, 0xff, v7
.LBB976_29:
	s_or_b64 exec, exec, s[4:5]
	v_cmp_gt_u32_e32 vcc, 60, v8
	s_waitcnt lgkmcnt(1)
	v_cndmask_b32_e64 v4, 0, 1, vcc
	v_lshlrev_b32_e32 v4, 2, v4
	s_waitcnt lgkmcnt(0)
	v_add_lshl_u32 v5, v4, v1, 2
	ds_bpermute_b32 v10, v5, v6
	ds_bpermute_b32 v4, v5, v2
	ds_bpermute_b32 v5, v5, v3
	v_add_u32_e32 v11, 4, v8
	v_cmp_lt_u32_e32 vcc, v11, v9
	s_and_saveexec_b64 s[4:5], vcc
	s_cbranch_execz .LBB976_31
; %bb.30:
	s_waitcnt lgkmcnt(2)
	v_and_b32_e32 v11, 1, v10
	s_waitcnt lgkmcnt(0)
	v_cmp_lt_i64_e32 vcc, v[4:5], v[2:3]
	v_cmp_eq_u32_e64 s[0:1], 1, v11
	v_and_b32_e32 v6, 1, v7
	s_and_b64 vcc, s[0:1], vcc
	v_cndmask_b32_e64 v7, v7, 1, s[0:1]
	v_cndmask_b32_e32 v2, v2, v4, vcc
	v_cndmask_b32_e32 v3, v3, v5, vcc
	v_cmp_eq_u32_e32 vcc, 1, v6
	v_cndmask_b32_e32 v7, v10, v7, vcc
	v_cndmask_b32_e32 v3, v5, v3, vcc
	v_cndmask_b32_e32 v2, v4, v2, vcc
	v_and_b32_e32 v6, 0xff, v7
.LBB976_31:
	s_or_b64 exec, exec, s[4:5]
	v_cmp_gt_u32_e32 vcc, 56, v8
	s_waitcnt lgkmcnt(1)
	v_cndmask_b32_e64 v4, 0, 1, vcc
	v_lshlrev_b32_e32 v4, 3, v4
	s_waitcnt lgkmcnt(0)
	;; [unrolled: 31-line block ×4, first 2 shown]
	v_add_lshl_u32 v5, v4, v1, 2
	ds_bpermute_b32 v10, v5, v6
	ds_bpermute_b32 v4, v5, v2
	;; [unrolled: 1-line block ×3, first 2 shown]
	v_add_u32_e32 v8, 32, v8
	v_cmp_lt_u32_e32 vcc, v8, v9
	s_and_saveexec_b64 s[4:5], vcc
	s_cbranch_execz .LBB976_37
; %bb.36:
	s_waitcnt lgkmcnt(2)
	v_and_b32_e32 v8, 1, v10
	s_waitcnt lgkmcnt(0)
	v_cmp_lt_i64_e32 vcc, v[4:5], v[2:3]
	v_cmp_eq_u32_e64 s[0:1], 1, v8
	v_and_b32_e32 v6, 1, v7
	s_and_b64 vcc, s[0:1], vcc
	v_cndmask_b32_e64 v7, v7, 1, s[0:1]
	v_cndmask_b32_e32 v2, v2, v4, vcc
	v_cndmask_b32_e32 v3, v3, v5, vcc
	v_cmp_eq_u32_e32 vcc, 1, v6
	v_cndmask_b32_e32 v7, v10, v7, vcc
	v_cndmask_b32_e32 v3, v5, v3, vcc
	;; [unrolled: 1-line block ×3, first 2 shown]
	v_and_b32_e32 v6, 0xff, v7
.LBB976_37:
	s_or_b64 exec, exec, s[4:5]
	v_cmp_eq_u32_e32 vcc, 0, v1
	s_and_saveexec_b64 s[0:1], vcc
	s_cbranch_execz .LBB976_39
; %bb.38:
	s_waitcnt lgkmcnt(1)
	v_lshrrev_b32_e32 v4, 2, v0
	v_and_b32_e32 v4, 48, v4
	ds_write_b8 v4, v7 offset:64
	ds_write_b64 v4, v[2:3] offset:72
.LBB976_39:
	s_or_b64 exec, exec, s[0:1]
	v_cmp_gt_u32_e32 vcc, 4, v0
	s_waitcnt lgkmcnt(0)
	s_barrier
	s_and_saveexec_b64 s[4:5], vcc
	s_cbranch_execz .LBB976_45
; %bb.40:
	v_lshlrev_b32_e32 v2, 4, v1
	ds_read_u8 v7, v2 offset:64
	ds_read_b64 v[2:3], v2 offset:72
	v_and_b32_e32 v8, 3, v1
	v_cmp_ne_u32_e32 vcc, 3, v8
	v_addc_co_u32_e32 v4, vcc, 0, v1, vcc
	s_waitcnt lgkmcnt(1)
	v_and_b32_e32 v6, 0xff, v7
	v_lshlrev_b32_e32 v5, 2, v4
	ds_bpermute_b32 v9, v5, v6
	s_waitcnt lgkmcnt(1)
	ds_bpermute_b32 v4, v5, v2
	ds_bpermute_b32 v5, v5, v3
	s_add_i32 s8, s8, 63
	s_lshr_b32 s11, s8, 6
	v_add_u32_e32 v10, 1, v8
	v_cmp_gt_u32_e32 vcc, s11, v10
	s_and_saveexec_b64 s[8:9], vcc
	s_cbranch_execz .LBB976_42
; %bb.41:
	s_waitcnt lgkmcnt(2)
	v_and_b32_e32 v10, 1, v9
	s_waitcnt lgkmcnt(0)
	v_cmp_lt_i64_e32 vcc, v[4:5], v[2:3]
	v_cmp_eq_u32_e64 s[0:1], 1, v10
	v_and_b32_e32 v6, 1, v7
	s_and_b64 vcc, s[0:1], vcc
	v_cndmask_b32_e64 v7, v7, 1, s[0:1]
	v_cndmask_b32_e32 v2, v2, v4, vcc
	v_cndmask_b32_e32 v3, v3, v5, vcc
	v_cmp_eq_u32_e32 vcc, 1, v6
	v_cndmask_b32_e32 v7, v9, v7, vcc
	v_cndmask_b32_e32 v3, v5, v3, vcc
	;; [unrolled: 1-line block ×3, first 2 shown]
	v_and_b32_e32 v6, 0xff, v7
.LBB976_42:
	s_or_b64 exec, exec, s[8:9]
	v_cmp_gt_u32_e32 vcc, 2, v8
	s_waitcnt lgkmcnt(1)
	v_cndmask_b32_e64 v4, 0, 1, vcc
	v_lshlrev_b32_e32 v4, 1, v4
	s_waitcnt lgkmcnt(0)
	v_add_lshl_u32 v5, v4, v1, 2
	ds_bpermute_b32 v1, v5, v6
	ds_bpermute_b32 v4, v5, v2
	;; [unrolled: 1-line block ×3, first 2 shown]
	v_add_u32_e32 v8, 2, v8
	v_cmp_gt_u32_e32 vcc, s11, v8
	s_and_saveexec_b64 s[8:9], vcc
	s_cbranch_execz .LBB976_44
; %bb.43:
	s_waitcnt lgkmcnt(2)
	v_and_b32_e32 v8, 1, v1
	s_waitcnt lgkmcnt(0)
	v_cmp_lt_i64_e32 vcc, v[4:5], v[2:3]
	v_cmp_eq_u32_e64 s[0:1], 1, v8
	v_and_b32_e32 v6, 1, v7
	s_and_b64 vcc, s[0:1], vcc
	v_cndmask_b32_e64 v7, v7, 1, s[0:1]
	v_cndmask_b32_e32 v2, v2, v4, vcc
	v_cndmask_b32_e32 v3, v3, v5, vcc
	v_cmp_eq_u32_e32 vcc, 1, v6
	v_cndmask_b32_e32 v1, v1, v7, vcc
	v_cndmask_b32_e32 v3, v5, v3, vcc
	;; [unrolled: 1-line block ×3, first 2 shown]
	v_and_b32_e32 v6, 0xff, v1
.LBB976_44:
	s_or_b64 exec, exec, s[8:9]
.LBB976_45:
	s_or_b64 exec, exec, s[4:5]
.LBB976_46:
	v_cmp_eq_u32_e32 vcc, 0, v0
	s_and_saveexec_b64 s[0:1], vcc
	s_cbranch_execnz .LBB976_48
; %bb.47:
	s_endpgm
.LBB976_48:
	s_mul_i32 s0, s18, s17
	s_mul_hi_u32 s1, s18, s16
	s_add_i32 s0, s1, s0
	s_mul_i32 s1, s19, s16
	s_add_i32 s1, s0, s1
	s_mul_i32 s0, s18, s16
	s_lshl_b64 s[0:1], s[0:1], 4
	s_add_u32 s4, s14, s0
	s_addc_u32 s5, s15, s1
	s_cmp_eq_u64 s[12:13], 0
	s_waitcnt lgkmcnt(0)
	v_mov_b32_e32 v0, s3
	s_cselect_b64 vcc, -1, 0
	v_cndmask_b32_e32 v1, v3, v0, vcc
	v_mov_b32_e32 v0, s2
	s_lshl_b64 s[0:1], s[6:7], 4
	v_cndmask_b32_e32 v0, v2, v0, vcc
	v_mov_b32_e32 v2, s10
	s_add_u32 s0, s4, s0
	v_cndmask_b32_e32 v2, v6, v2, vcc
	s_addc_u32 s1, s5, s1
	v_mov_b32_e32 v3, 0
	global_store_byte v3, v2, s[0:1]
	global_store_dwordx2 v3, v[0:1], s[0:1] offset:8
	s_endpgm
	.section	.rodata,"a",@progbits
	.p2align	6, 0x0
	.amdhsa_kernel _ZN7rocprim17ROCPRIM_400000_NS6detail17trampoline_kernelINS0_14default_configENS1_22reduce_config_selectorIN6thrust23THRUST_200600_302600_NS5tupleIblNS6_9null_typeES8_S8_S8_S8_S8_S8_S8_EEEEZNS1_11reduce_implILb1ES3_NS6_12zip_iteratorINS7_INS6_11hip_rocprim26transform_input_iterator_tIbPiNS6_6detail10functional5actorINSH_9compositeIJNSH_27transparent_binary_operatorINS6_8equal_toIvEEEENSI_INSH_8argumentILj0EEEEENSH_5valueIiEEEEEEEEENSD_19counting_iterator_tIlEES8_S8_S8_S8_S8_S8_S8_S8_EEEEPS9_S9_NSD_9__find_if7functorIS9_EEEE10hipError_tPvRmT1_T2_T3_mT4_P12ihipStream_tbEUlT_E0_NS1_11comp_targetILNS1_3genE4ELNS1_11target_archE910ELNS1_3gpuE8ELNS1_3repE0EEENS1_30default_config_static_selectorELNS0_4arch9wavefront6targetE1EEEvS17_
		.amdhsa_group_segment_fixed_size 128
		.amdhsa_private_segment_fixed_size 0
		.amdhsa_kernarg_size 88
		.amdhsa_user_sgpr_count 6
		.amdhsa_user_sgpr_private_segment_buffer 1
		.amdhsa_user_sgpr_dispatch_ptr 0
		.amdhsa_user_sgpr_queue_ptr 0
		.amdhsa_user_sgpr_kernarg_segment_ptr 1
		.amdhsa_user_sgpr_dispatch_id 0
		.amdhsa_user_sgpr_flat_scratch_init 0
		.amdhsa_user_sgpr_kernarg_preload_length 0
		.amdhsa_user_sgpr_kernarg_preload_offset 0
		.amdhsa_user_sgpr_private_segment_size 0
		.amdhsa_uses_dynamic_stack 0
		.amdhsa_system_sgpr_private_segment_wavefront_offset 0
		.amdhsa_system_sgpr_workgroup_id_x 1
		.amdhsa_system_sgpr_workgroup_id_y 0
		.amdhsa_system_sgpr_workgroup_id_z 0
		.amdhsa_system_sgpr_workgroup_info 0
		.amdhsa_system_vgpr_workitem_id 0
		.amdhsa_next_free_vgpr 12
		.amdhsa_next_free_sgpr 25
		.amdhsa_accum_offset 12
		.amdhsa_reserve_vcc 1
		.amdhsa_reserve_flat_scratch 0
		.amdhsa_float_round_mode_32 0
		.amdhsa_float_round_mode_16_64 0
		.amdhsa_float_denorm_mode_32 3
		.amdhsa_float_denorm_mode_16_64 3
		.amdhsa_dx10_clamp 1
		.amdhsa_ieee_mode 1
		.amdhsa_fp16_overflow 0
		.amdhsa_tg_split 0
		.amdhsa_exception_fp_ieee_invalid_op 0
		.amdhsa_exception_fp_denorm_src 0
		.amdhsa_exception_fp_ieee_div_zero 0
		.amdhsa_exception_fp_ieee_overflow 0
		.amdhsa_exception_fp_ieee_underflow 0
		.amdhsa_exception_fp_ieee_inexact 0
		.amdhsa_exception_int_div_zero 0
	.end_amdhsa_kernel
	.section	.text._ZN7rocprim17ROCPRIM_400000_NS6detail17trampoline_kernelINS0_14default_configENS1_22reduce_config_selectorIN6thrust23THRUST_200600_302600_NS5tupleIblNS6_9null_typeES8_S8_S8_S8_S8_S8_S8_EEEEZNS1_11reduce_implILb1ES3_NS6_12zip_iteratorINS7_INS6_11hip_rocprim26transform_input_iterator_tIbPiNS6_6detail10functional5actorINSH_9compositeIJNSH_27transparent_binary_operatorINS6_8equal_toIvEEEENSI_INSH_8argumentILj0EEEEENSH_5valueIiEEEEEEEEENSD_19counting_iterator_tIlEES8_S8_S8_S8_S8_S8_S8_S8_EEEEPS9_S9_NSD_9__find_if7functorIS9_EEEE10hipError_tPvRmT1_T2_T3_mT4_P12ihipStream_tbEUlT_E0_NS1_11comp_targetILNS1_3genE4ELNS1_11target_archE910ELNS1_3gpuE8ELNS1_3repE0EEENS1_30default_config_static_selectorELNS0_4arch9wavefront6targetE1EEEvS17_,"axG",@progbits,_ZN7rocprim17ROCPRIM_400000_NS6detail17trampoline_kernelINS0_14default_configENS1_22reduce_config_selectorIN6thrust23THRUST_200600_302600_NS5tupleIblNS6_9null_typeES8_S8_S8_S8_S8_S8_S8_EEEEZNS1_11reduce_implILb1ES3_NS6_12zip_iteratorINS7_INS6_11hip_rocprim26transform_input_iterator_tIbPiNS6_6detail10functional5actorINSH_9compositeIJNSH_27transparent_binary_operatorINS6_8equal_toIvEEEENSI_INSH_8argumentILj0EEEEENSH_5valueIiEEEEEEEEENSD_19counting_iterator_tIlEES8_S8_S8_S8_S8_S8_S8_S8_EEEEPS9_S9_NSD_9__find_if7functorIS9_EEEE10hipError_tPvRmT1_T2_T3_mT4_P12ihipStream_tbEUlT_E0_NS1_11comp_targetILNS1_3genE4ELNS1_11target_archE910ELNS1_3gpuE8ELNS1_3repE0EEENS1_30default_config_static_selectorELNS0_4arch9wavefront6targetE1EEEvS17_,comdat
.Lfunc_end976:
	.size	_ZN7rocprim17ROCPRIM_400000_NS6detail17trampoline_kernelINS0_14default_configENS1_22reduce_config_selectorIN6thrust23THRUST_200600_302600_NS5tupleIblNS6_9null_typeES8_S8_S8_S8_S8_S8_S8_EEEEZNS1_11reduce_implILb1ES3_NS6_12zip_iteratorINS7_INS6_11hip_rocprim26transform_input_iterator_tIbPiNS6_6detail10functional5actorINSH_9compositeIJNSH_27transparent_binary_operatorINS6_8equal_toIvEEEENSI_INSH_8argumentILj0EEEEENSH_5valueIiEEEEEEEEENSD_19counting_iterator_tIlEES8_S8_S8_S8_S8_S8_S8_S8_EEEEPS9_S9_NSD_9__find_if7functorIS9_EEEE10hipError_tPvRmT1_T2_T3_mT4_P12ihipStream_tbEUlT_E0_NS1_11comp_targetILNS1_3genE4ELNS1_11target_archE910ELNS1_3gpuE8ELNS1_3repE0EEENS1_30default_config_static_selectorELNS0_4arch9wavefront6targetE1EEEvS17_, .Lfunc_end976-_ZN7rocprim17ROCPRIM_400000_NS6detail17trampoline_kernelINS0_14default_configENS1_22reduce_config_selectorIN6thrust23THRUST_200600_302600_NS5tupleIblNS6_9null_typeES8_S8_S8_S8_S8_S8_S8_EEEEZNS1_11reduce_implILb1ES3_NS6_12zip_iteratorINS7_INS6_11hip_rocprim26transform_input_iterator_tIbPiNS6_6detail10functional5actorINSH_9compositeIJNSH_27transparent_binary_operatorINS6_8equal_toIvEEEENSI_INSH_8argumentILj0EEEEENSH_5valueIiEEEEEEEEENSD_19counting_iterator_tIlEES8_S8_S8_S8_S8_S8_S8_S8_EEEEPS9_S9_NSD_9__find_if7functorIS9_EEEE10hipError_tPvRmT1_T2_T3_mT4_P12ihipStream_tbEUlT_E0_NS1_11comp_targetILNS1_3genE4ELNS1_11target_archE910ELNS1_3gpuE8ELNS1_3repE0EEENS1_30default_config_static_selectorELNS0_4arch9wavefront6targetE1EEEvS17_
                                        ; -- End function
	.section	.AMDGPU.csdata,"",@progbits
; Kernel info:
; codeLenInByte = 2804
; NumSgprs: 29
; NumVgprs: 12
; NumAgprs: 0
; TotalNumVgprs: 12
; ScratchSize: 0
; MemoryBound: 0
; FloatMode: 240
; IeeeMode: 1
; LDSByteSize: 128 bytes/workgroup (compile time only)
; SGPRBlocks: 3
; VGPRBlocks: 1
; NumSGPRsForWavesPerEU: 29
; NumVGPRsForWavesPerEU: 12
; AccumOffset: 12
; Occupancy: 8
; WaveLimiterHint : 1
; COMPUTE_PGM_RSRC2:SCRATCH_EN: 0
; COMPUTE_PGM_RSRC2:USER_SGPR: 6
; COMPUTE_PGM_RSRC2:TRAP_HANDLER: 0
; COMPUTE_PGM_RSRC2:TGID_X_EN: 1
; COMPUTE_PGM_RSRC2:TGID_Y_EN: 0
; COMPUTE_PGM_RSRC2:TGID_Z_EN: 0
; COMPUTE_PGM_RSRC2:TIDIG_COMP_CNT: 0
; COMPUTE_PGM_RSRC3_GFX90A:ACCUM_OFFSET: 2
; COMPUTE_PGM_RSRC3_GFX90A:TG_SPLIT: 0
	.section	.text._ZN7rocprim17ROCPRIM_400000_NS6detail17trampoline_kernelINS0_14default_configENS1_22reduce_config_selectorIN6thrust23THRUST_200600_302600_NS5tupleIblNS6_9null_typeES8_S8_S8_S8_S8_S8_S8_EEEEZNS1_11reduce_implILb1ES3_NS6_12zip_iteratorINS7_INS6_11hip_rocprim26transform_input_iterator_tIbPiNS6_6detail10functional5actorINSH_9compositeIJNSH_27transparent_binary_operatorINS6_8equal_toIvEEEENSI_INSH_8argumentILj0EEEEENSH_5valueIiEEEEEEEEENSD_19counting_iterator_tIlEES8_S8_S8_S8_S8_S8_S8_S8_EEEEPS9_S9_NSD_9__find_if7functorIS9_EEEE10hipError_tPvRmT1_T2_T3_mT4_P12ihipStream_tbEUlT_E0_NS1_11comp_targetILNS1_3genE3ELNS1_11target_archE908ELNS1_3gpuE7ELNS1_3repE0EEENS1_30default_config_static_selectorELNS0_4arch9wavefront6targetE1EEEvS17_,"axG",@progbits,_ZN7rocprim17ROCPRIM_400000_NS6detail17trampoline_kernelINS0_14default_configENS1_22reduce_config_selectorIN6thrust23THRUST_200600_302600_NS5tupleIblNS6_9null_typeES8_S8_S8_S8_S8_S8_S8_EEEEZNS1_11reduce_implILb1ES3_NS6_12zip_iteratorINS7_INS6_11hip_rocprim26transform_input_iterator_tIbPiNS6_6detail10functional5actorINSH_9compositeIJNSH_27transparent_binary_operatorINS6_8equal_toIvEEEENSI_INSH_8argumentILj0EEEEENSH_5valueIiEEEEEEEEENSD_19counting_iterator_tIlEES8_S8_S8_S8_S8_S8_S8_S8_EEEEPS9_S9_NSD_9__find_if7functorIS9_EEEE10hipError_tPvRmT1_T2_T3_mT4_P12ihipStream_tbEUlT_E0_NS1_11comp_targetILNS1_3genE3ELNS1_11target_archE908ELNS1_3gpuE7ELNS1_3repE0EEENS1_30default_config_static_selectorELNS0_4arch9wavefront6targetE1EEEvS17_,comdat
	.protected	_ZN7rocprim17ROCPRIM_400000_NS6detail17trampoline_kernelINS0_14default_configENS1_22reduce_config_selectorIN6thrust23THRUST_200600_302600_NS5tupleIblNS6_9null_typeES8_S8_S8_S8_S8_S8_S8_EEEEZNS1_11reduce_implILb1ES3_NS6_12zip_iteratorINS7_INS6_11hip_rocprim26transform_input_iterator_tIbPiNS6_6detail10functional5actorINSH_9compositeIJNSH_27transparent_binary_operatorINS6_8equal_toIvEEEENSI_INSH_8argumentILj0EEEEENSH_5valueIiEEEEEEEEENSD_19counting_iterator_tIlEES8_S8_S8_S8_S8_S8_S8_S8_EEEEPS9_S9_NSD_9__find_if7functorIS9_EEEE10hipError_tPvRmT1_T2_T3_mT4_P12ihipStream_tbEUlT_E0_NS1_11comp_targetILNS1_3genE3ELNS1_11target_archE908ELNS1_3gpuE7ELNS1_3repE0EEENS1_30default_config_static_selectorELNS0_4arch9wavefront6targetE1EEEvS17_ ; -- Begin function _ZN7rocprim17ROCPRIM_400000_NS6detail17trampoline_kernelINS0_14default_configENS1_22reduce_config_selectorIN6thrust23THRUST_200600_302600_NS5tupleIblNS6_9null_typeES8_S8_S8_S8_S8_S8_S8_EEEEZNS1_11reduce_implILb1ES3_NS6_12zip_iteratorINS7_INS6_11hip_rocprim26transform_input_iterator_tIbPiNS6_6detail10functional5actorINSH_9compositeIJNSH_27transparent_binary_operatorINS6_8equal_toIvEEEENSI_INSH_8argumentILj0EEEEENSH_5valueIiEEEEEEEEENSD_19counting_iterator_tIlEES8_S8_S8_S8_S8_S8_S8_S8_EEEEPS9_S9_NSD_9__find_if7functorIS9_EEEE10hipError_tPvRmT1_T2_T3_mT4_P12ihipStream_tbEUlT_E0_NS1_11comp_targetILNS1_3genE3ELNS1_11target_archE908ELNS1_3gpuE7ELNS1_3repE0EEENS1_30default_config_static_selectorELNS0_4arch9wavefront6targetE1EEEvS17_
	.globl	_ZN7rocprim17ROCPRIM_400000_NS6detail17trampoline_kernelINS0_14default_configENS1_22reduce_config_selectorIN6thrust23THRUST_200600_302600_NS5tupleIblNS6_9null_typeES8_S8_S8_S8_S8_S8_S8_EEEEZNS1_11reduce_implILb1ES3_NS6_12zip_iteratorINS7_INS6_11hip_rocprim26transform_input_iterator_tIbPiNS6_6detail10functional5actorINSH_9compositeIJNSH_27transparent_binary_operatorINS6_8equal_toIvEEEENSI_INSH_8argumentILj0EEEEENSH_5valueIiEEEEEEEEENSD_19counting_iterator_tIlEES8_S8_S8_S8_S8_S8_S8_S8_EEEEPS9_S9_NSD_9__find_if7functorIS9_EEEE10hipError_tPvRmT1_T2_T3_mT4_P12ihipStream_tbEUlT_E0_NS1_11comp_targetILNS1_3genE3ELNS1_11target_archE908ELNS1_3gpuE7ELNS1_3repE0EEENS1_30default_config_static_selectorELNS0_4arch9wavefront6targetE1EEEvS17_
	.p2align	8
	.type	_ZN7rocprim17ROCPRIM_400000_NS6detail17trampoline_kernelINS0_14default_configENS1_22reduce_config_selectorIN6thrust23THRUST_200600_302600_NS5tupleIblNS6_9null_typeES8_S8_S8_S8_S8_S8_S8_EEEEZNS1_11reduce_implILb1ES3_NS6_12zip_iteratorINS7_INS6_11hip_rocprim26transform_input_iterator_tIbPiNS6_6detail10functional5actorINSH_9compositeIJNSH_27transparent_binary_operatorINS6_8equal_toIvEEEENSI_INSH_8argumentILj0EEEEENSH_5valueIiEEEEEEEEENSD_19counting_iterator_tIlEES8_S8_S8_S8_S8_S8_S8_S8_EEEEPS9_S9_NSD_9__find_if7functorIS9_EEEE10hipError_tPvRmT1_T2_T3_mT4_P12ihipStream_tbEUlT_E0_NS1_11comp_targetILNS1_3genE3ELNS1_11target_archE908ELNS1_3gpuE7ELNS1_3repE0EEENS1_30default_config_static_selectorELNS0_4arch9wavefront6targetE1EEEvS17_,@function
_ZN7rocprim17ROCPRIM_400000_NS6detail17trampoline_kernelINS0_14default_configENS1_22reduce_config_selectorIN6thrust23THRUST_200600_302600_NS5tupleIblNS6_9null_typeES8_S8_S8_S8_S8_S8_S8_EEEEZNS1_11reduce_implILb1ES3_NS6_12zip_iteratorINS7_INS6_11hip_rocprim26transform_input_iterator_tIbPiNS6_6detail10functional5actorINSH_9compositeIJNSH_27transparent_binary_operatorINS6_8equal_toIvEEEENSI_INSH_8argumentILj0EEEEENSH_5valueIiEEEEEEEEENSD_19counting_iterator_tIlEES8_S8_S8_S8_S8_S8_S8_S8_EEEEPS9_S9_NSD_9__find_if7functorIS9_EEEE10hipError_tPvRmT1_T2_T3_mT4_P12ihipStream_tbEUlT_E0_NS1_11comp_targetILNS1_3genE3ELNS1_11target_archE908ELNS1_3gpuE7ELNS1_3repE0EEENS1_30default_config_static_selectorELNS0_4arch9wavefront6targetE1EEEvS17_: ; @_ZN7rocprim17ROCPRIM_400000_NS6detail17trampoline_kernelINS0_14default_configENS1_22reduce_config_selectorIN6thrust23THRUST_200600_302600_NS5tupleIblNS6_9null_typeES8_S8_S8_S8_S8_S8_S8_EEEEZNS1_11reduce_implILb1ES3_NS6_12zip_iteratorINS7_INS6_11hip_rocprim26transform_input_iterator_tIbPiNS6_6detail10functional5actorINSH_9compositeIJNSH_27transparent_binary_operatorINS6_8equal_toIvEEEENSI_INSH_8argumentILj0EEEEENSH_5valueIiEEEEEEEEENSD_19counting_iterator_tIlEES8_S8_S8_S8_S8_S8_S8_S8_EEEEPS9_S9_NSD_9__find_if7functorIS9_EEEE10hipError_tPvRmT1_T2_T3_mT4_P12ihipStream_tbEUlT_E0_NS1_11comp_targetILNS1_3genE3ELNS1_11target_archE908ELNS1_3gpuE7ELNS1_3repE0EEENS1_30default_config_static_selectorELNS0_4arch9wavefront6targetE1EEEvS17_
; %bb.0:
	.section	.rodata,"a",@progbits
	.p2align	6, 0x0
	.amdhsa_kernel _ZN7rocprim17ROCPRIM_400000_NS6detail17trampoline_kernelINS0_14default_configENS1_22reduce_config_selectorIN6thrust23THRUST_200600_302600_NS5tupleIblNS6_9null_typeES8_S8_S8_S8_S8_S8_S8_EEEEZNS1_11reduce_implILb1ES3_NS6_12zip_iteratorINS7_INS6_11hip_rocprim26transform_input_iterator_tIbPiNS6_6detail10functional5actorINSH_9compositeIJNSH_27transparent_binary_operatorINS6_8equal_toIvEEEENSI_INSH_8argumentILj0EEEEENSH_5valueIiEEEEEEEEENSD_19counting_iterator_tIlEES8_S8_S8_S8_S8_S8_S8_S8_EEEEPS9_S9_NSD_9__find_if7functorIS9_EEEE10hipError_tPvRmT1_T2_T3_mT4_P12ihipStream_tbEUlT_E0_NS1_11comp_targetILNS1_3genE3ELNS1_11target_archE908ELNS1_3gpuE7ELNS1_3repE0EEENS1_30default_config_static_selectorELNS0_4arch9wavefront6targetE1EEEvS17_
		.amdhsa_group_segment_fixed_size 0
		.amdhsa_private_segment_fixed_size 0
		.amdhsa_kernarg_size 88
		.amdhsa_user_sgpr_count 6
		.amdhsa_user_sgpr_private_segment_buffer 1
		.amdhsa_user_sgpr_dispatch_ptr 0
		.amdhsa_user_sgpr_queue_ptr 0
		.amdhsa_user_sgpr_kernarg_segment_ptr 1
		.amdhsa_user_sgpr_dispatch_id 0
		.amdhsa_user_sgpr_flat_scratch_init 0
		.amdhsa_user_sgpr_kernarg_preload_length 0
		.amdhsa_user_sgpr_kernarg_preload_offset 0
		.amdhsa_user_sgpr_private_segment_size 0
		.amdhsa_uses_dynamic_stack 0
		.amdhsa_system_sgpr_private_segment_wavefront_offset 0
		.amdhsa_system_sgpr_workgroup_id_x 1
		.amdhsa_system_sgpr_workgroup_id_y 0
		.amdhsa_system_sgpr_workgroup_id_z 0
		.amdhsa_system_sgpr_workgroup_info 0
		.amdhsa_system_vgpr_workitem_id 0
		.amdhsa_next_free_vgpr 1
		.amdhsa_next_free_sgpr 0
		.amdhsa_accum_offset 4
		.amdhsa_reserve_vcc 0
		.amdhsa_reserve_flat_scratch 0
		.amdhsa_float_round_mode_32 0
		.amdhsa_float_round_mode_16_64 0
		.amdhsa_float_denorm_mode_32 3
		.amdhsa_float_denorm_mode_16_64 3
		.amdhsa_dx10_clamp 1
		.amdhsa_ieee_mode 1
		.amdhsa_fp16_overflow 0
		.amdhsa_tg_split 0
		.amdhsa_exception_fp_ieee_invalid_op 0
		.amdhsa_exception_fp_denorm_src 0
		.amdhsa_exception_fp_ieee_div_zero 0
		.amdhsa_exception_fp_ieee_overflow 0
		.amdhsa_exception_fp_ieee_underflow 0
		.amdhsa_exception_fp_ieee_inexact 0
		.amdhsa_exception_int_div_zero 0
	.end_amdhsa_kernel
	.section	.text._ZN7rocprim17ROCPRIM_400000_NS6detail17trampoline_kernelINS0_14default_configENS1_22reduce_config_selectorIN6thrust23THRUST_200600_302600_NS5tupleIblNS6_9null_typeES8_S8_S8_S8_S8_S8_S8_EEEEZNS1_11reduce_implILb1ES3_NS6_12zip_iteratorINS7_INS6_11hip_rocprim26transform_input_iterator_tIbPiNS6_6detail10functional5actorINSH_9compositeIJNSH_27transparent_binary_operatorINS6_8equal_toIvEEEENSI_INSH_8argumentILj0EEEEENSH_5valueIiEEEEEEEEENSD_19counting_iterator_tIlEES8_S8_S8_S8_S8_S8_S8_S8_EEEEPS9_S9_NSD_9__find_if7functorIS9_EEEE10hipError_tPvRmT1_T2_T3_mT4_P12ihipStream_tbEUlT_E0_NS1_11comp_targetILNS1_3genE3ELNS1_11target_archE908ELNS1_3gpuE7ELNS1_3repE0EEENS1_30default_config_static_selectorELNS0_4arch9wavefront6targetE1EEEvS17_,"axG",@progbits,_ZN7rocprim17ROCPRIM_400000_NS6detail17trampoline_kernelINS0_14default_configENS1_22reduce_config_selectorIN6thrust23THRUST_200600_302600_NS5tupleIblNS6_9null_typeES8_S8_S8_S8_S8_S8_S8_EEEEZNS1_11reduce_implILb1ES3_NS6_12zip_iteratorINS7_INS6_11hip_rocprim26transform_input_iterator_tIbPiNS6_6detail10functional5actorINSH_9compositeIJNSH_27transparent_binary_operatorINS6_8equal_toIvEEEENSI_INSH_8argumentILj0EEEEENSH_5valueIiEEEEEEEEENSD_19counting_iterator_tIlEES8_S8_S8_S8_S8_S8_S8_S8_EEEEPS9_S9_NSD_9__find_if7functorIS9_EEEE10hipError_tPvRmT1_T2_T3_mT4_P12ihipStream_tbEUlT_E0_NS1_11comp_targetILNS1_3genE3ELNS1_11target_archE908ELNS1_3gpuE7ELNS1_3repE0EEENS1_30default_config_static_selectorELNS0_4arch9wavefront6targetE1EEEvS17_,comdat
.Lfunc_end977:
	.size	_ZN7rocprim17ROCPRIM_400000_NS6detail17trampoline_kernelINS0_14default_configENS1_22reduce_config_selectorIN6thrust23THRUST_200600_302600_NS5tupleIblNS6_9null_typeES8_S8_S8_S8_S8_S8_S8_EEEEZNS1_11reduce_implILb1ES3_NS6_12zip_iteratorINS7_INS6_11hip_rocprim26transform_input_iterator_tIbPiNS6_6detail10functional5actorINSH_9compositeIJNSH_27transparent_binary_operatorINS6_8equal_toIvEEEENSI_INSH_8argumentILj0EEEEENSH_5valueIiEEEEEEEEENSD_19counting_iterator_tIlEES8_S8_S8_S8_S8_S8_S8_S8_EEEEPS9_S9_NSD_9__find_if7functorIS9_EEEE10hipError_tPvRmT1_T2_T3_mT4_P12ihipStream_tbEUlT_E0_NS1_11comp_targetILNS1_3genE3ELNS1_11target_archE908ELNS1_3gpuE7ELNS1_3repE0EEENS1_30default_config_static_selectorELNS0_4arch9wavefront6targetE1EEEvS17_, .Lfunc_end977-_ZN7rocprim17ROCPRIM_400000_NS6detail17trampoline_kernelINS0_14default_configENS1_22reduce_config_selectorIN6thrust23THRUST_200600_302600_NS5tupleIblNS6_9null_typeES8_S8_S8_S8_S8_S8_S8_EEEEZNS1_11reduce_implILb1ES3_NS6_12zip_iteratorINS7_INS6_11hip_rocprim26transform_input_iterator_tIbPiNS6_6detail10functional5actorINSH_9compositeIJNSH_27transparent_binary_operatorINS6_8equal_toIvEEEENSI_INSH_8argumentILj0EEEEENSH_5valueIiEEEEEEEEENSD_19counting_iterator_tIlEES8_S8_S8_S8_S8_S8_S8_S8_EEEEPS9_S9_NSD_9__find_if7functorIS9_EEEE10hipError_tPvRmT1_T2_T3_mT4_P12ihipStream_tbEUlT_E0_NS1_11comp_targetILNS1_3genE3ELNS1_11target_archE908ELNS1_3gpuE7ELNS1_3repE0EEENS1_30default_config_static_selectorELNS0_4arch9wavefront6targetE1EEEvS17_
                                        ; -- End function
	.section	.AMDGPU.csdata,"",@progbits
; Kernel info:
; codeLenInByte = 0
; NumSgprs: 4
; NumVgprs: 0
; NumAgprs: 0
; TotalNumVgprs: 0
; ScratchSize: 0
; MemoryBound: 0
; FloatMode: 240
; IeeeMode: 1
; LDSByteSize: 0 bytes/workgroup (compile time only)
; SGPRBlocks: 0
; VGPRBlocks: 0
; NumSGPRsForWavesPerEU: 4
; NumVGPRsForWavesPerEU: 1
; AccumOffset: 4
; Occupancy: 8
; WaveLimiterHint : 0
; COMPUTE_PGM_RSRC2:SCRATCH_EN: 0
; COMPUTE_PGM_RSRC2:USER_SGPR: 6
; COMPUTE_PGM_RSRC2:TRAP_HANDLER: 0
; COMPUTE_PGM_RSRC2:TGID_X_EN: 1
; COMPUTE_PGM_RSRC2:TGID_Y_EN: 0
; COMPUTE_PGM_RSRC2:TGID_Z_EN: 0
; COMPUTE_PGM_RSRC2:TIDIG_COMP_CNT: 0
; COMPUTE_PGM_RSRC3_GFX90A:ACCUM_OFFSET: 0
; COMPUTE_PGM_RSRC3_GFX90A:TG_SPLIT: 0
	.section	.text._ZN7rocprim17ROCPRIM_400000_NS6detail17trampoline_kernelINS0_14default_configENS1_22reduce_config_selectorIN6thrust23THRUST_200600_302600_NS5tupleIblNS6_9null_typeES8_S8_S8_S8_S8_S8_S8_EEEEZNS1_11reduce_implILb1ES3_NS6_12zip_iteratorINS7_INS6_11hip_rocprim26transform_input_iterator_tIbPiNS6_6detail10functional5actorINSH_9compositeIJNSH_27transparent_binary_operatorINS6_8equal_toIvEEEENSI_INSH_8argumentILj0EEEEENSH_5valueIiEEEEEEEEENSD_19counting_iterator_tIlEES8_S8_S8_S8_S8_S8_S8_S8_EEEEPS9_S9_NSD_9__find_if7functorIS9_EEEE10hipError_tPvRmT1_T2_T3_mT4_P12ihipStream_tbEUlT_E0_NS1_11comp_targetILNS1_3genE2ELNS1_11target_archE906ELNS1_3gpuE6ELNS1_3repE0EEENS1_30default_config_static_selectorELNS0_4arch9wavefront6targetE1EEEvS17_,"axG",@progbits,_ZN7rocprim17ROCPRIM_400000_NS6detail17trampoline_kernelINS0_14default_configENS1_22reduce_config_selectorIN6thrust23THRUST_200600_302600_NS5tupleIblNS6_9null_typeES8_S8_S8_S8_S8_S8_S8_EEEEZNS1_11reduce_implILb1ES3_NS6_12zip_iteratorINS7_INS6_11hip_rocprim26transform_input_iterator_tIbPiNS6_6detail10functional5actorINSH_9compositeIJNSH_27transparent_binary_operatorINS6_8equal_toIvEEEENSI_INSH_8argumentILj0EEEEENSH_5valueIiEEEEEEEEENSD_19counting_iterator_tIlEES8_S8_S8_S8_S8_S8_S8_S8_EEEEPS9_S9_NSD_9__find_if7functorIS9_EEEE10hipError_tPvRmT1_T2_T3_mT4_P12ihipStream_tbEUlT_E0_NS1_11comp_targetILNS1_3genE2ELNS1_11target_archE906ELNS1_3gpuE6ELNS1_3repE0EEENS1_30default_config_static_selectorELNS0_4arch9wavefront6targetE1EEEvS17_,comdat
	.protected	_ZN7rocprim17ROCPRIM_400000_NS6detail17trampoline_kernelINS0_14default_configENS1_22reduce_config_selectorIN6thrust23THRUST_200600_302600_NS5tupleIblNS6_9null_typeES8_S8_S8_S8_S8_S8_S8_EEEEZNS1_11reduce_implILb1ES3_NS6_12zip_iteratorINS7_INS6_11hip_rocprim26transform_input_iterator_tIbPiNS6_6detail10functional5actorINSH_9compositeIJNSH_27transparent_binary_operatorINS6_8equal_toIvEEEENSI_INSH_8argumentILj0EEEEENSH_5valueIiEEEEEEEEENSD_19counting_iterator_tIlEES8_S8_S8_S8_S8_S8_S8_S8_EEEEPS9_S9_NSD_9__find_if7functorIS9_EEEE10hipError_tPvRmT1_T2_T3_mT4_P12ihipStream_tbEUlT_E0_NS1_11comp_targetILNS1_3genE2ELNS1_11target_archE906ELNS1_3gpuE6ELNS1_3repE0EEENS1_30default_config_static_selectorELNS0_4arch9wavefront6targetE1EEEvS17_ ; -- Begin function _ZN7rocprim17ROCPRIM_400000_NS6detail17trampoline_kernelINS0_14default_configENS1_22reduce_config_selectorIN6thrust23THRUST_200600_302600_NS5tupleIblNS6_9null_typeES8_S8_S8_S8_S8_S8_S8_EEEEZNS1_11reduce_implILb1ES3_NS6_12zip_iteratorINS7_INS6_11hip_rocprim26transform_input_iterator_tIbPiNS6_6detail10functional5actorINSH_9compositeIJNSH_27transparent_binary_operatorINS6_8equal_toIvEEEENSI_INSH_8argumentILj0EEEEENSH_5valueIiEEEEEEEEENSD_19counting_iterator_tIlEES8_S8_S8_S8_S8_S8_S8_S8_EEEEPS9_S9_NSD_9__find_if7functorIS9_EEEE10hipError_tPvRmT1_T2_T3_mT4_P12ihipStream_tbEUlT_E0_NS1_11comp_targetILNS1_3genE2ELNS1_11target_archE906ELNS1_3gpuE6ELNS1_3repE0EEENS1_30default_config_static_selectorELNS0_4arch9wavefront6targetE1EEEvS17_
	.globl	_ZN7rocprim17ROCPRIM_400000_NS6detail17trampoline_kernelINS0_14default_configENS1_22reduce_config_selectorIN6thrust23THRUST_200600_302600_NS5tupleIblNS6_9null_typeES8_S8_S8_S8_S8_S8_S8_EEEEZNS1_11reduce_implILb1ES3_NS6_12zip_iteratorINS7_INS6_11hip_rocprim26transform_input_iterator_tIbPiNS6_6detail10functional5actorINSH_9compositeIJNSH_27transparent_binary_operatorINS6_8equal_toIvEEEENSI_INSH_8argumentILj0EEEEENSH_5valueIiEEEEEEEEENSD_19counting_iterator_tIlEES8_S8_S8_S8_S8_S8_S8_S8_EEEEPS9_S9_NSD_9__find_if7functorIS9_EEEE10hipError_tPvRmT1_T2_T3_mT4_P12ihipStream_tbEUlT_E0_NS1_11comp_targetILNS1_3genE2ELNS1_11target_archE906ELNS1_3gpuE6ELNS1_3repE0EEENS1_30default_config_static_selectorELNS0_4arch9wavefront6targetE1EEEvS17_
	.p2align	8
	.type	_ZN7rocprim17ROCPRIM_400000_NS6detail17trampoline_kernelINS0_14default_configENS1_22reduce_config_selectorIN6thrust23THRUST_200600_302600_NS5tupleIblNS6_9null_typeES8_S8_S8_S8_S8_S8_S8_EEEEZNS1_11reduce_implILb1ES3_NS6_12zip_iteratorINS7_INS6_11hip_rocprim26transform_input_iterator_tIbPiNS6_6detail10functional5actorINSH_9compositeIJNSH_27transparent_binary_operatorINS6_8equal_toIvEEEENSI_INSH_8argumentILj0EEEEENSH_5valueIiEEEEEEEEENSD_19counting_iterator_tIlEES8_S8_S8_S8_S8_S8_S8_S8_EEEEPS9_S9_NSD_9__find_if7functorIS9_EEEE10hipError_tPvRmT1_T2_T3_mT4_P12ihipStream_tbEUlT_E0_NS1_11comp_targetILNS1_3genE2ELNS1_11target_archE906ELNS1_3gpuE6ELNS1_3repE0EEENS1_30default_config_static_selectorELNS0_4arch9wavefront6targetE1EEEvS17_,@function
_ZN7rocprim17ROCPRIM_400000_NS6detail17trampoline_kernelINS0_14default_configENS1_22reduce_config_selectorIN6thrust23THRUST_200600_302600_NS5tupleIblNS6_9null_typeES8_S8_S8_S8_S8_S8_S8_EEEEZNS1_11reduce_implILb1ES3_NS6_12zip_iteratorINS7_INS6_11hip_rocprim26transform_input_iterator_tIbPiNS6_6detail10functional5actorINSH_9compositeIJNSH_27transparent_binary_operatorINS6_8equal_toIvEEEENSI_INSH_8argumentILj0EEEEENSH_5valueIiEEEEEEEEENSD_19counting_iterator_tIlEES8_S8_S8_S8_S8_S8_S8_S8_EEEEPS9_S9_NSD_9__find_if7functorIS9_EEEE10hipError_tPvRmT1_T2_T3_mT4_P12ihipStream_tbEUlT_E0_NS1_11comp_targetILNS1_3genE2ELNS1_11target_archE906ELNS1_3gpuE6ELNS1_3repE0EEENS1_30default_config_static_selectorELNS0_4arch9wavefront6targetE1EEEvS17_: ; @_ZN7rocprim17ROCPRIM_400000_NS6detail17trampoline_kernelINS0_14default_configENS1_22reduce_config_selectorIN6thrust23THRUST_200600_302600_NS5tupleIblNS6_9null_typeES8_S8_S8_S8_S8_S8_S8_EEEEZNS1_11reduce_implILb1ES3_NS6_12zip_iteratorINS7_INS6_11hip_rocprim26transform_input_iterator_tIbPiNS6_6detail10functional5actorINSH_9compositeIJNSH_27transparent_binary_operatorINS6_8equal_toIvEEEENSI_INSH_8argumentILj0EEEEENSH_5valueIiEEEEEEEEENSD_19counting_iterator_tIlEES8_S8_S8_S8_S8_S8_S8_S8_EEEEPS9_S9_NSD_9__find_if7functorIS9_EEEE10hipError_tPvRmT1_T2_T3_mT4_P12ihipStream_tbEUlT_E0_NS1_11comp_targetILNS1_3genE2ELNS1_11target_archE906ELNS1_3gpuE6ELNS1_3repE0EEENS1_30default_config_static_selectorELNS0_4arch9wavefront6targetE1EEEvS17_
; %bb.0:
	.section	.rodata,"a",@progbits
	.p2align	6, 0x0
	.amdhsa_kernel _ZN7rocprim17ROCPRIM_400000_NS6detail17trampoline_kernelINS0_14default_configENS1_22reduce_config_selectorIN6thrust23THRUST_200600_302600_NS5tupleIblNS6_9null_typeES8_S8_S8_S8_S8_S8_S8_EEEEZNS1_11reduce_implILb1ES3_NS6_12zip_iteratorINS7_INS6_11hip_rocprim26transform_input_iterator_tIbPiNS6_6detail10functional5actorINSH_9compositeIJNSH_27transparent_binary_operatorINS6_8equal_toIvEEEENSI_INSH_8argumentILj0EEEEENSH_5valueIiEEEEEEEEENSD_19counting_iterator_tIlEES8_S8_S8_S8_S8_S8_S8_S8_EEEEPS9_S9_NSD_9__find_if7functorIS9_EEEE10hipError_tPvRmT1_T2_T3_mT4_P12ihipStream_tbEUlT_E0_NS1_11comp_targetILNS1_3genE2ELNS1_11target_archE906ELNS1_3gpuE6ELNS1_3repE0EEENS1_30default_config_static_selectorELNS0_4arch9wavefront6targetE1EEEvS17_
		.amdhsa_group_segment_fixed_size 0
		.amdhsa_private_segment_fixed_size 0
		.amdhsa_kernarg_size 88
		.amdhsa_user_sgpr_count 6
		.amdhsa_user_sgpr_private_segment_buffer 1
		.amdhsa_user_sgpr_dispatch_ptr 0
		.amdhsa_user_sgpr_queue_ptr 0
		.amdhsa_user_sgpr_kernarg_segment_ptr 1
		.amdhsa_user_sgpr_dispatch_id 0
		.amdhsa_user_sgpr_flat_scratch_init 0
		.amdhsa_user_sgpr_kernarg_preload_length 0
		.amdhsa_user_sgpr_kernarg_preload_offset 0
		.amdhsa_user_sgpr_private_segment_size 0
		.amdhsa_uses_dynamic_stack 0
		.amdhsa_system_sgpr_private_segment_wavefront_offset 0
		.amdhsa_system_sgpr_workgroup_id_x 1
		.amdhsa_system_sgpr_workgroup_id_y 0
		.amdhsa_system_sgpr_workgroup_id_z 0
		.amdhsa_system_sgpr_workgroup_info 0
		.amdhsa_system_vgpr_workitem_id 0
		.amdhsa_next_free_vgpr 1
		.amdhsa_next_free_sgpr 0
		.amdhsa_accum_offset 4
		.amdhsa_reserve_vcc 0
		.amdhsa_reserve_flat_scratch 0
		.amdhsa_float_round_mode_32 0
		.amdhsa_float_round_mode_16_64 0
		.amdhsa_float_denorm_mode_32 3
		.amdhsa_float_denorm_mode_16_64 3
		.amdhsa_dx10_clamp 1
		.amdhsa_ieee_mode 1
		.amdhsa_fp16_overflow 0
		.amdhsa_tg_split 0
		.amdhsa_exception_fp_ieee_invalid_op 0
		.amdhsa_exception_fp_denorm_src 0
		.amdhsa_exception_fp_ieee_div_zero 0
		.amdhsa_exception_fp_ieee_overflow 0
		.amdhsa_exception_fp_ieee_underflow 0
		.amdhsa_exception_fp_ieee_inexact 0
		.amdhsa_exception_int_div_zero 0
	.end_amdhsa_kernel
	.section	.text._ZN7rocprim17ROCPRIM_400000_NS6detail17trampoline_kernelINS0_14default_configENS1_22reduce_config_selectorIN6thrust23THRUST_200600_302600_NS5tupleIblNS6_9null_typeES8_S8_S8_S8_S8_S8_S8_EEEEZNS1_11reduce_implILb1ES3_NS6_12zip_iteratorINS7_INS6_11hip_rocprim26transform_input_iterator_tIbPiNS6_6detail10functional5actorINSH_9compositeIJNSH_27transparent_binary_operatorINS6_8equal_toIvEEEENSI_INSH_8argumentILj0EEEEENSH_5valueIiEEEEEEEEENSD_19counting_iterator_tIlEES8_S8_S8_S8_S8_S8_S8_S8_EEEEPS9_S9_NSD_9__find_if7functorIS9_EEEE10hipError_tPvRmT1_T2_T3_mT4_P12ihipStream_tbEUlT_E0_NS1_11comp_targetILNS1_3genE2ELNS1_11target_archE906ELNS1_3gpuE6ELNS1_3repE0EEENS1_30default_config_static_selectorELNS0_4arch9wavefront6targetE1EEEvS17_,"axG",@progbits,_ZN7rocprim17ROCPRIM_400000_NS6detail17trampoline_kernelINS0_14default_configENS1_22reduce_config_selectorIN6thrust23THRUST_200600_302600_NS5tupleIblNS6_9null_typeES8_S8_S8_S8_S8_S8_S8_EEEEZNS1_11reduce_implILb1ES3_NS6_12zip_iteratorINS7_INS6_11hip_rocprim26transform_input_iterator_tIbPiNS6_6detail10functional5actorINSH_9compositeIJNSH_27transparent_binary_operatorINS6_8equal_toIvEEEENSI_INSH_8argumentILj0EEEEENSH_5valueIiEEEEEEEEENSD_19counting_iterator_tIlEES8_S8_S8_S8_S8_S8_S8_S8_EEEEPS9_S9_NSD_9__find_if7functorIS9_EEEE10hipError_tPvRmT1_T2_T3_mT4_P12ihipStream_tbEUlT_E0_NS1_11comp_targetILNS1_3genE2ELNS1_11target_archE906ELNS1_3gpuE6ELNS1_3repE0EEENS1_30default_config_static_selectorELNS0_4arch9wavefront6targetE1EEEvS17_,comdat
.Lfunc_end978:
	.size	_ZN7rocprim17ROCPRIM_400000_NS6detail17trampoline_kernelINS0_14default_configENS1_22reduce_config_selectorIN6thrust23THRUST_200600_302600_NS5tupleIblNS6_9null_typeES8_S8_S8_S8_S8_S8_S8_EEEEZNS1_11reduce_implILb1ES3_NS6_12zip_iteratorINS7_INS6_11hip_rocprim26transform_input_iterator_tIbPiNS6_6detail10functional5actorINSH_9compositeIJNSH_27transparent_binary_operatorINS6_8equal_toIvEEEENSI_INSH_8argumentILj0EEEEENSH_5valueIiEEEEEEEEENSD_19counting_iterator_tIlEES8_S8_S8_S8_S8_S8_S8_S8_EEEEPS9_S9_NSD_9__find_if7functorIS9_EEEE10hipError_tPvRmT1_T2_T3_mT4_P12ihipStream_tbEUlT_E0_NS1_11comp_targetILNS1_3genE2ELNS1_11target_archE906ELNS1_3gpuE6ELNS1_3repE0EEENS1_30default_config_static_selectorELNS0_4arch9wavefront6targetE1EEEvS17_, .Lfunc_end978-_ZN7rocprim17ROCPRIM_400000_NS6detail17trampoline_kernelINS0_14default_configENS1_22reduce_config_selectorIN6thrust23THRUST_200600_302600_NS5tupleIblNS6_9null_typeES8_S8_S8_S8_S8_S8_S8_EEEEZNS1_11reduce_implILb1ES3_NS6_12zip_iteratorINS7_INS6_11hip_rocprim26transform_input_iterator_tIbPiNS6_6detail10functional5actorINSH_9compositeIJNSH_27transparent_binary_operatorINS6_8equal_toIvEEEENSI_INSH_8argumentILj0EEEEENSH_5valueIiEEEEEEEEENSD_19counting_iterator_tIlEES8_S8_S8_S8_S8_S8_S8_S8_EEEEPS9_S9_NSD_9__find_if7functorIS9_EEEE10hipError_tPvRmT1_T2_T3_mT4_P12ihipStream_tbEUlT_E0_NS1_11comp_targetILNS1_3genE2ELNS1_11target_archE906ELNS1_3gpuE6ELNS1_3repE0EEENS1_30default_config_static_selectorELNS0_4arch9wavefront6targetE1EEEvS17_
                                        ; -- End function
	.section	.AMDGPU.csdata,"",@progbits
; Kernel info:
; codeLenInByte = 0
; NumSgprs: 4
; NumVgprs: 0
; NumAgprs: 0
; TotalNumVgprs: 0
; ScratchSize: 0
; MemoryBound: 0
; FloatMode: 240
; IeeeMode: 1
; LDSByteSize: 0 bytes/workgroup (compile time only)
; SGPRBlocks: 0
; VGPRBlocks: 0
; NumSGPRsForWavesPerEU: 4
; NumVGPRsForWavesPerEU: 1
; AccumOffset: 4
; Occupancy: 8
; WaveLimiterHint : 0
; COMPUTE_PGM_RSRC2:SCRATCH_EN: 0
; COMPUTE_PGM_RSRC2:USER_SGPR: 6
; COMPUTE_PGM_RSRC2:TRAP_HANDLER: 0
; COMPUTE_PGM_RSRC2:TGID_X_EN: 1
; COMPUTE_PGM_RSRC2:TGID_Y_EN: 0
; COMPUTE_PGM_RSRC2:TGID_Z_EN: 0
; COMPUTE_PGM_RSRC2:TIDIG_COMP_CNT: 0
; COMPUTE_PGM_RSRC3_GFX90A:ACCUM_OFFSET: 0
; COMPUTE_PGM_RSRC3_GFX90A:TG_SPLIT: 0
	.section	.text._ZN7rocprim17ROCPRIM_400000_NS6detail17trampoline_kernelINS0_14default_configENS1_22reduce_config_selectorIN6thrust23THRUST_200600_302600_NS5tupleIblNS6_9null_typeES8_S8_S8_S8_S8_S8_S8_EEEEZNS1_11reduce_implILb1ES3_NS6_12zip_iteratorINS7_INS6_11hip_rocprim26transform_input_iterator_tIbPiNS6_6detail10functional5actorINSH_9compositeIJNSH_27transparent_binary_operatorINS6_8equal_toIvEEEENSI_INSH_8argumentILj0EEEEENSH_5valueIiEEEEEEEEENSD_19counting_iterator_tIlEES8_S8_S8_S8_S8_S8_S8_S8_EEEEPS9_S9_NSD_9__find_if7functorIS9_EEEE10hipError_tPvRmT1_T2_T3_mT4_P12ihipStream_tbEUlT_E0_NS1_11comp_targetILNS1_3genE10ELNS1_11target_archE1201ELNS1_3gpuE5ELNS1_3repE0EEENS1_30default_config_static_selectorELNS0_4arch9wavefront6targetE1EEEvS17_,"axG",@progbits,_ZN7rocprim17ROCPRIM_400000_NS6detail17trampoline_kernelINS0_14default_configENS1_22reduce_config_selectorIN6thrust23THRUST_200600_302600_NS5tupleIblNS6_9null_typeES8_S8_S8_S8_S8_S8_S8_EEEEZNS1_11reduce_implILb1ES3_NS6_12zip_iteratorINS7_INS6_11hip_rocprim26transform_input_iterator_tIbPiNS6_6detail10functional5actorINSH_9compositeIJNSH_27transparent_binary_operatorINS6_8equal_toIvEEEENSI_INSH_8argumentILj0EEEEENSH_5valueIiEEEEEEEEENSD_19counting_iterator_tIlEES8_S8_S8_S8_S8_S8_S8_S8_EEEEPS9_S9_NSD_9__find_if7functorIS9_EEEE10hipError_tPvRmT1_T2_T3_mT4_P12ihipStream_tbEUlT_E0_NS1_11comp_targetILNS1_3genE10ELNS1_11target_archE1201ELNS1_3gpuE5ELNS1_3repE0EEENS1_30default_config_static_selectorELNS0_4arch9wavefront6targetE1EEEvS17_,comdat
	.protected	_ZN7rocprim17ROCPRIM_400000_NS6detail17trampoline_kernelINS0_14default_configENS1_22reduce_config_selectorIN6thrust23THRUST_200600_302600_NS5tupleIblNS6_9null_typeES8_S8_S8_S8_S8_S8_S8_EEEEZNS1_11reduce_implILb1ES3_NS6_12zip_iteratorINS7_INS6_11hip_rocprim26transform_input_iterator_tIbPiNS6_6detail10functional5actorINSH_9compositeIJNSH_27transparent_binary_operatorINS6_8equal_toIvEEEENSI_INSH_8argumentILj0EEEEENSH_5valueIiEEEEEEEEENSD_19counting_iterator_tIlEES8_S8_S8_S8_S8_S8_S8_S8_EEEEPS9_S9_NSD_9__find_if7functorIS9_EEEE10hipError_tPvRmT1_T2_T3_mT4_P12ihipStream_tbEUlT_E0_NS1_11comp_targetILNS1_3genE10ELNS1_11target_archE1201ELNS1_3gpuE5ELNS1_3repE0EEENS1_30default_config_static_selectorELNS0_4arch9wavefront6targetE1EEEvS17_ ; -- Begin function _ZN7rocprim17ROCPRIM_400000_NS6detail17trampoline_kernelINS0_14default_configENS1_22reduce_config_selectorIN6thrust23THRUST_200600_302600_NS5tupleIblNS6_9null_typeES8_S8_S8_S8_S8_S8_S8_EEEEZNS1_11reduce_implILb1ES3_NS6_12zip_iteratorINS7_INS6_11hip_rocprim26transform_input_iterator_tIbPiNS6_6detail10functional5actorINSH_9compositeIJNSH_27transparent_binary_operatorINS6_8equal_toIvEEEENSI_INSH_8argumentILj0EEEEENSH_5valueIiEEEEEEEEENSD_19counting_iterator_tIlEES8_S8_S8_S8_S8_S8_S8_S8_EEEEPS9_S9_NSD_9__find_if7functorIS9_EEEE10hipError_tPvRmT1_T2_T3_mT4_P12ihipStream_tbEUlT_E0_NS1_11comp_targetILNS1_3genE10ELNS1_11target_archE1201ELNS1_3gpuE5ELNS1_3repE0EEENS1_30default_config_static_selectorELNS0_4arch9wavefront6targetE1EEEvS17_
	.globl	_ZN7rocprim17ROCPRIM_400000_NS6detail17trampoline_kernelINS0_14default_configENS1_22reduce_config_selectorIN6thrust23THRUST_200600_302600_NS5tupleIblNS6_9null_typeES8_S8_S8_S8_S8_S8_S8_EEEEZNS1_11reduce_implILb1ES3_NS6_12zip_iteratorINS7_INS6_11hip_rocprim26transform_input_iterator_tIbPiNS6_6detail10functional5actorINSH_9compositeIJNSH_27transparent_binary_operatorINS6_8equal_toIvEEEENSI_INSH_8argumentILj0EEEEENSH_5valueIiEEEEEEEEENSD_19counting_iterator_tIlEES8_S8_S8_S8_S8_S8_S8_S8_EEEEPS9_S9_NSD_9__find_if7functorIS9_EEEE10hipError_tPvRmT1_T2_T3_mT4_P12ihipStream_tbEUlT_E0_NS1_11comp_targetILNS1_3genE10ELNS1_11target_archE1201ELNS1_3gpuE5ELNS1_3repE0EEENS1_30default_config_static_selectorELNS0_4arch9wavefront6targetE1EEEvS17_
	.p2align	8
	.type	_ZN7rocprim17ROCPRIM_400000_NS6detail17trampoline_kernelINS0_14default_configENS1_22reduce_config_selectorIN6thrust23THRUST_200600_302600_NS5tupleIblNS6_9null_typeES8_S8_S8_S8_S8_S8_S8_EEEEZNS1_11reduce_implILb1ES3_NS6_12zip_iteratorINS7_INS6_11hip_rocprim26transform_input_iterator_tIbPiNS6_6detail10functional5actorINSH_9compositeIJNSH_27transparent_binary_operatorINS6_8equal_toIvEEEENSI_INSH_8argumentILj0EEEEENSH_5valueIiEEEEEEEEENSD_19counting_iterator_tIlEES8_S8_S8_S8_S8_S8_S8_S8_EEEEPS9_S9_NSD_9__find_if7functorIS9_EEEE10hipError_tPvRmT1_T2_T3_mT4_P12ihipStream_tbEUlT_E0_NS1_11comp_targetILNS1_3genE10ELNS1_11target_archE1201ELNS1_3gpuE5ELNS1_3repE0EEENS1_30default_config_static_selectorELNS0_4arch9wavefront6targetE1EEEvS17_,@function
_ZN7rocprim17ROCPRIM_400000_NS6detail17trampoline_kernelINS0_14default_configENS1_22reduce_config_selectorIN6thrust23THRUST_200600_302600_NS5tupleIblNS6_9null_typeES8_S8_S8_S8_S8_S8_S8_EEEEZNS1_11reduce_implILb1ES3_NS6_12zip_iteratorINS7_INS6_11hip_rocprim26transform_input_iterator_tIbPiNS6_6detail10functional5actorINSH_9compositeIJNSH_27transparent_binary_operatorINS6_8equal_toIvEEEENSI_INSH_8argumentILj0EEEEENSH_5valueIiEEEEEEEEENSD_19counting_iterator_tIlEES8_S8_S8_S8_S8_S8_S8_S8_EEEEPS9_S9_NSD_9__find_if7functorIS9_EEEE10hipError_tPvRmT1_T2_T3_mT4_P12ihipStream_tbEUlT_E0_NS1_11comp_targetILNS1_3genE10ELNS1_11target_archE1201ELNS1_3gpuE5ELNS1_3repE0EEENS1_30default_config_static_selectorELNS0_4arch9wavefront6targetE1EEEvS17_: ; @_ZN7rocprim17ROCPRIM_400000_NS6detail17trampoline_kernelINS0_14default_configENS1_22reduce_config_selectorIN6thrust23THRUST_200600_302600_NS5tupleIblNS6_9null_typeES8_S8_S8_S8_S8_S8_S8_EEEEZNS1_11reduce_implILb1ES3_NS6_12zip_iteratorINS7_INS6_11hip_rocprim26transform_input_iterator_tIbPiNS6_6detail10functional5actorINSH_9compositeIJNSH_27transparent_binary_operatorINS6_8equal_toIvEEEENSI_INSH_8argumentILj0EEEEENSH_5valueIiEEEEEEEEENSD_19counting_iterator_tIlEES8_S8_S8_S8_S8_S8_S8_S8_EEEEPS9_S9_NSD_9__find_if7functorIS9_EEEE10hipError_tPvRmT1_T2_T3_mT4_P12ihipStream_tbEUlT_E0_NS1_11comp_targetILNS1_3genE10ELNS1_11target_archE1201ELNS1_3gpuE5ELNS1_3repE0EEENS1_30default_config_static_selectorELNS0_4arch9wavefront6targetE1EEEvS17_
; %bb.0:
	.section	.rodata,"a",@progbits
	.p2align	6, 0x0
	.amdhsa_kernel _ZN7rocprim17ROCPRIM_400000_NS6detail17trampoline_kernelINS0_14default_configENS1_22reduce_config_selectorIN6thrust23THRUST_200600_302600_NS5tupleIblNS6_9null_typeES8_S8_S8_S8_S8_S8_S8_EEEEZNS1_11reduce_implILb1ES3_NS6_12zip_iteratorINS7_INS6_11hip_rocprim26transform_input_iterator_tIbPiNS6_6detail10functional5actorINSH_9compositeIJNSH_27transparent_binary_operatorINS6_8equal_toIvEEEENSI_INSH_8argumentILj0EEEEENSH_5valueIiEEEEEEEEENSD_19counting_iterator_tIlEES8_S8_S8_S8_S8_S8_S8_S8_EEEEPS9_S9_NSD_9__find_if7functorIS9_EEEE10hipError_tPvRmT1_T2_T3_mT4_P12ihipStream_tbEUlT_E0_NS1_11comp_targetILNS1_3genE10ELNS1_11target_archE1201ELNS1_3gpuE5ELNS1_3repE0EEENS1_30default_config_static_selectorELNS0_4arch9wavefront6targetE1EEEvS17_
		.amdhsa_group_segment_fixed_size 0
		.amdhsa_private_segment_fixed_size 0
		.amdhsa_kernarg_size 88
		.amdhsa_user_sgpr_count 6
		.amdhsa_user_sgpr_private_segment_buffer 1
		.amdhsa_user_sgpr_dispatch_ptr 0
		.amdhsa_user_sgpr_queue_ptr 0
		.amdhsa_user_sgpr_kernarg_segment_ptr 1
		.amdhsa_user_sgpr_dispatch_id 0
		.amdhsa_user_sgpr_flat_scratch_init 0
		.amdhsa_user_sgpr_kernarg_preload_length 0
		.amdhsa_user_sgpr_kernarg_preload_offset 0
		.amdhsa_user_sgpr_private_segment_size 0
		.amdhsa_uses_dynamic_stack 0
		.amdhsa_system_sgpr_private_segment_wavefront_offset 0
		.amdhsa_system_sgpr_workgroup_id_x 1
		.amdhsa_system_sgpr_workgroup_id_y 0
		.amdhsa_system_sgpr_workgroup_id_z 0
		.amdhsa_system_sgpr_workgroup_info 0
		.amdhsa_system_vgpr_workitem_id 0
		.amdhsa_next_free_vgpr 1
		.amdhsa_next_free_sgpr 0
		.amdhsa_accum_offset 4
		.amdhsa_reserve_vcc 0
		.amdhsa_reserve_flat_scratch 0
		.amdhsa_float_round_mode_32 0
		.amdhsa_float_round_mode_16_64 0
		.amdhsa_float_denorm_mode_32 3
		.amdhsa_float_denorm_mode_16_64 3
		.amdhsa_dx10_clamp 1
		.amdhsa_ieee_mode 1
		.amdhsa_fp16_overflow 0
		.amdhsa_tg_split 0
		.amdhsa_exception_fp_ieee_invalid_op 0
		.amdhsa_exception_fp_denorm_src 0
		.amdhsa_exception_fp_ieee_div_zero 0
		.amdhsa_exception_fp_ieee_overflow 0
		.amdhsa_exception_fp_ieee_underflow 0
		.amdhsa_exception_fp_ieee_inexact 0
		.amdhsa_exception_int_div_zero 0
	.end_amdhsa_kernel
	.section	.text._ZN7rocprim17ROCPRIM_400000_NS6detail17trampoline_kernelINS0_14default_configENS1_22reduce_config_selectorIN6thrust23THRUST_200600_302600_NS5tupleIblNS6_9null_typeES8_S8_S8_S8_S8_S8_S8_EEEEZNS1_11reduce_implILb1ES3_NS6_12zip_iteratorINS7_INS6_11hip_rocprim26transform_input_iterator_tIbPiNS6_6detail10functional5actorINSH_9compositeIJNSH_27transparent_binary_operatorINS6_8equal_toIvEEEENSI_INSH_8argumentILj0EEEEENSH_5valueIiEEEEEEEEENSD_19counting_iterator_tIlEES8_S8_S8_S8_S8_S8_S8_S8_EEEEPS9_S9_NSD_9__find_if7functorIS9_EEEE10hipError_tPvRmT1_T2_T3_mT4_P12ihipStream_tbEUlT_E0_NS1_11comp_targetILNS1_3genE10ELNS1_11target_archE1201ELNS1_3gpuE5ELNS1_3repE0EEENS1_30default_config_static_selectorELNS0_4arch9wavefront6targetE1EEEvS17_,"axG",@progbits,_ZN7rocprim17ROCPRIM_400000_NS6detail17trampoline_kernelINS0_14default_configENS1_22reduce_config_selectorIN6thrust23THRUST_200600_302600_NS5tupleIblNS6_9null_typeES8_S8_S8_S8_S8_S8_S8_EEEEZNS1_11reduce_implILb1ES3_NS6_12zip_iteratorINS7_INS6_11hip_rocprim26transform_input_iterator_tIbPiNS6_6detail10functional5actorINSH_9compositeIJNSH_27transparent_binary_operatorINS6_8equal_toIvEEEENSI_INSH_8argumentILj0EEEEENSH_5valueIiEEEEEEEEENSD_19counting_iterator_tIlEES8_S8_S8_S8_S8_S8_S8_S8_EEEEPS9_S9_NSD_9__find_if7functorIS9_EEEE10hipError_tPvRmT1_T2_T3_mT4_P12ihipStream_tbEUlT_E0_NS1_11comp_targetILNS1_3genE10ELNS1_11target_archE1201ELNS1_3gpuE5ELNS1_3repE0EEENS1_30default_config_static_selectorELNS0_4arch9wavefront6targetE1EEEvS17_,comdat
.Lfunc_end979:
	.size	_ZN7rocprim17ROCPRIM_400000_NS6detail17trampoline_kernelINS0_14default_configENS1_22reduce_config_selectorIN6thrust23THRUST_200600_302600_NS5tupleIblNS6_9null_typeES8_S8_S8_S8_S8_S8_S8_EEEEZNS1_11reduce_implILb1ES3_NS6_12zip_iteratorINS7_INS6_11hip_rocprim26transform_input_iterator_tIbPiNS6_6detail10functional5actorINSH_9compositeIJNSH_27transparent_binary_operatorINS6_8equal_toIvEEEENSI_INSH_8argumentILj0EEEEENSH_5valueIiEEEEEEEEENSD_19counting_iterator_tIlEES8_S8_S8_S8_S8_S8_S8_S8_EEEEPS9_S9_NSD_9__find_if7functorIS9_EEEE10hipError_tPvRmT1_T2_T3_mT4_P12ihipStream_tbEUlT_E0_NS1_11comp_targetILNS1_3genE10ELNS1_11target_archE1201ELNS1_3gpuE5ELNS1_3repE0EEENS1_30default_config_static_selectorELNS0_4arch9wavefront6targetE1EEEvS17_, .Lfunc_end979-_ZN7rocprim17ROCPRIM_400000_NS6detail17trampoline_kernelINS0_14default_configENS1_22reduce_config_selectorIN6thrust23THRUST_200600_302600_NS5tupleIblNS6_9null_typeES8_S8_S8_S8_S8_S8_S8_EEEEZNS1_11reduce_implILb1ES3_NS6_12zip_iteratorINS7_INS6_11hip_rocprim26transform_input_iterator_tIbPiNS6_6detail10functional5actorINSH_9compositeIJNSH_27transparent_binary_operatorINS6_8equal_toIvEEEENSI_INSH_8argumentILj0EEEEENSH_5valueIiEEEEEEEEENSD_19counting_iterator_tIlEES8_S8_S8_S8_S8_S8_S8_S8_EEEEPS9_S9_NSD_9__find_if7functorIS9_EEEE10hipError_tPvRmT1_T2_T3_mT4_P12ihipStream_tbEUlT_E0_NS1_11comp_targetILNS1_3genE10ELNS1_11target_archE1201ELNS1_3gpuE5ELNS1_3repE0EEENS1_30default_config_static_selectorELNS0_4arch9wavefront6targetE1EEEvS17_
                                        ; -- End function
	.section	.AMDGPU.csdata,"",@progbits
; Kernel info:
; codeLenInByte = 0
; NumSgprs: 4
; NumVgprs: 0
; NumAgprs: 0
; TotalNumVgprs: 0
; ScratchSize: 0
; MemoryBound: 0
; FloatMode: 240
; IeeeMode: 1
; LDSByteSize: 0 bytes/workgroup (compile time only)
; SGPRBlocks: 0
; VGPRBlocks: 0
; NumSGPRsForWavesPerEU: 4
; NumVGPRsForWavesPerEU: 1
; AccumOffset: 4
; Occupancy: 8
; WaveLimiterHint : 0
; COMPUTE_PGM_RSRC2:SCRATCH_EN: 0
; COMPUTE_PGM_RSRC2:USER_SGPR: 6
; COMPUTE_PGM_RSRC2:TRAP_HANDLER: 0
; COMPUTE_PGM_RSRC2:TGID_X_EN: 1
; COMPUTE_PGM_RSRC2:TGID_Y_EN: 0
; COMPUTE_PGM_RSRC2:TGID_Z_EN: 0
; COMPUTE_PGM_RSRC2:TIDIG_COMP_CNT: 0
; COMPUTE_PGM_RSRC3_GFX90A:ACCUM_OFFSET: 0
; COMPUTE_PGM_RSRC3_GFX90A:TG_SPLIT: 0
	.section	.text._ZN7rocprim17ROCPRIM_400000_NS6detail17trampoline_kernelINS0_14default_configENS1_22reduce_config_selectorIN6thrust23THRUST_200600_302600_NS5tupleIblNS6_9null_typeES8_S8_S8_S8_S8_S8_S8_EEEEZNS1_11reduce_implILb1ES3_NS6_12zip_iteratorINS7_INS6_11hip_rocprim26transform_input_iterator_tIbPiNS6_6detail10functional5actorINSH_9compositeIJNSH_27transparent_binary_operatorINS6_8equal_toIvEEEENSI_INSH_8argumentILj0EEEEENSH_5valueIiEEEEEEEEENSD_19counting_iterator_tIlEES8_S8_S8_S8_S8_S8_S8_S8_EEEEPS9_S9_NSD_9__find_if7functorIS9_EEEE10hipError_tPvRmT1_T2_T3_mT4_P12ihipStream_tbEUlT_E0_NS1_11comp_targetILNS1_3genE10ELNS1_11target_archE1200ELNS1_3gpuE4ELNS1_3repE0EEENS1_30default_config_static_selectorELNS0_4arch9wavefront6targetE1EEEvS17_,"axG",@progbits,_ZN7rocprim17ROCPRIM_400000_NS6detail17trampoline_kernelINS0_14default_configENS1_22reduce_config_selectorIN6thrust23THRUST_200600_302600_NS5tupleIblNS6_9null_typeES8_S8_S8_S8_S8_S8_S8_EEEEZNS1_11reduce_implILb1ES3_NS6_12zip_iteratorINS7_INS6_11hip_rocprim26transform_input_iterator_tIbPiNS6_6detail10functional5actorINSH_9compositeIJNSH_27transparent_binary_operatorINS6_8equal_toIvEEEENSI_INSH_8argumentILj0EEEEENSH_5valueIiEEEEEEEEENSD_19counting_iterator_tIlEES8_S8_S8_S8_S8_S8_S8_S8_EEEEPS9_S9_NSD_9__find_if7functorIS9_EEEE10hipError_tPvRmT1_T2_T3_mT4_P12ihipStream_tbEUlT_E0_NS1_11comp_targetILNS1_3genE10ELNS1_11target_archE1200ELNS1_3gpuE4ELNS1_3repE0EEENS1_30default_config_static_selectorELNS0_4arch9wavefront6targetE1EEEvS17_,comdat
	.protected	_ZN7rocprim17ROCPRIM_400000_NS6detail17trampoline_kernelINS0_14default_configENS1_22reduce_config_selectorIN6thrust23THRUST_200600_302600_NS5tupleIblNS6_9null_typeES8_S8_S8_S8_S8_S8_S8_EEEEZNS1_11reduce_implILb1ES3_NS6_12zip_iteratorINS7_INS6_11hip_rocprim26transform_input_iterator_tIbPiNS6_6detail10functional5actorINSH_9compositeIJNSH_27transparent_binary_operatorINS6_8equal_toIvEEEENSI_INSH_8argumentILj0EEEEENSH_5valueIiEEEEEEEEENSD_19counting_iterator_tIlEES8_S8_S8_S8_S8_S8_S8_S8_EEEEPS9_S9_NSD_9__find_if7functorIS9_EEEE10hipError_tPvRmT1_T2_T3_mT4_P12ihipStream_tbEUlT_E0_NS1_11comp_targetILNS1_3genE10ELNS1_11target_archE1200ELNS1_3gpuE4ELNS1_3repE0EEENS1_30default_config_static_selectorELNS0_4arch9wavefront6targetE1EEEvS17_ ; -- Begin function _ZN7rocprim17ROCPRIM_400000_NS6detail17trampoline_kernelINS0_14default_configENS1_22reduce_config_selectorIN6thrust23THRUST_200600_302600_NS5tupleIblNS6_9null_typeES8_S8_S8_S8_S8_S8_S8_EEEEZNS1_11reduce_implILb1ES3_NS6_12zip_iteratorINS7_INS6_11hip_rocprim26transform_input_iterator_tIbPiNS6_6detail10functional5actorINSH_9compositeIJNSH_27transparent_binary_operatorINS6_8equal_toIvEEEENSI_INSH_8argumentILj0EEEEENSH_5valueIiEEEEEEEEENSD_19counting_iterator_tIlEES8_S8_S8_S8_S8_S8_S8_S8_EEEEPS9_S9_NSD_9__find_if7functorIS9_EEEE10hipError_tPvRmT1_T2_T3_mT4_P12ihipStream_tbEUlT_E0_NS1_11comp_targetILNS1_3genE10ELNS1_11target_archE1200ELNS1_3gpuE4ELNS1_3repE0EEENS1_30default_config_static_selectorELNS0_4arch9wavefront6targetE1EEEvS17_
	.globl	_ZN7rocprim17ROCPRIM_400000_NS6detail17trampoline_kernelINS0_14default_configENS1_22reduce_config_selectorIN6thrust23THRUST_200600_302600_NS5tupleIblNS6_9null_typeES8_S8_S8_S8_S8_S8_S8_EEEEZNS1_11reduce_implILb1ES3_NS6_12zip_iteratorINS7_INS6_11hip_rocprim26transform_input_iterator_tIbPiNS6_6detail10functional5actorINSH_9compositeIJNSH_27transparent_binary_operatorINS6_8equal_toIvEEEENSI_INSH_8argumentILj0EEEEENSH_5valueIiEEEEEEEEENSD_19counting_iterator_tIlEES8_S8_S8_S8_S8_S8_S8_S8_EEEEPS9_S9_NSD_9__find_if7functorIS9_EEEE10hipError_tPvRmT1_T2_T3_mT4_P12ihipStream_tbEUlT_E0_NS1_11comp_targetILNS1_3genE10ELNS1_11target_archE1200ELNS1_3gpuE4ELNS1_3repE0EEENS1_30default_config_static_selectorELNS0_4arch9wavefront6targetE1EEEvS17_
	.p2align	8
	.type	_ZN7rocprim17ROCPRIM_400000_NS6detail17trampoline_kernelINS0_14default_configENS1_22reduce_config_selectorIN6thrust23THRUST_200600_302600_NS5tupleIblNS6_9null_typeES8_S8_S8_S8_S8_S8_S8_EEEEZNS1_11reduce_implILb1ES3_NS6_12zip_iteratorINS7_INS6_11hip_rocprim26transform_input_iterator_tIbPiNS6_6detail10functional5actorINSH_9compositeIJNSH_27transparent_binary_operatorINS6_8equal_toIvEEEENSI_INSH_8argumentILj0EEEEENSH_5valueIiEEEEEEEEENSD_19counting_iterator_tIlEES8_S8_S8_S8_S8_S8_S8_S8_EEEEPS9_S9_NSD_9__find_if7functorIS9_EEEE10hipError_tPvRmT1_T2_T3_mT4_P12ihipStream_tbEUlT_E0_NS1_11comp_targetILNS1_3genE10ELNS1_11target_archE1200ELNS1_3gpuE4ELNS1_3repE0EEENS1_30default_config_static_selectorELNS0_4arch9wavefront6targetE1EEEvS17_,@function
_ZN7rocprim17ROCPRIM_400000_NS6detail17trampoline_kernelINS0_14default_configENS1_22reduce_config_selectorIN6thrust23THRUST_200600_302600_NS5tupleIblNS6_9null_typeES8_S8_S8_S8_S8_S8_S8_EEEEZNS1_11reduce_implILb1ES3_NS6_12zip_iteratorINS7_INS6_11hip_rocprim26transform_input_iterator_tIbPiNS6_6detail10functional5actorINSH_9compositeIJNSH_27transparent_binary_operatorINS6_8equal_toIvEEEENSI_INSH_8argumentILj0EEEEENSH_5valueIiEEEEEEEEENSD_19counting_iterator_tIlEES8_S8_S8_S8_S8_S8_S8_S8_EEEEPS9_S9_NSD_9__find_if7functorIS9_EEEE10hipError_tPvRmT1_T2_T3_mT4_P12ihipStream_tbEUlT_E0_NS1_11comp_targetILNS1_3genE10ELNS1_11target_archE1200ELNS1_3gpuE4ELNS1_3repE0EEENS1_30default_config_static_selectorELNS0_4arch9wavefront6targetE1EEEvS17_: ; @_ZN7rocprim17ROCPRIM_400000_NS6detail17trampoline_kernelINS0_14default_configENS1_22reduce_config_selectorIN6thrust23THRUST_200600_302600_NS5tupleIblNS6_9null_typeES8_S8_S8_S8_S8_S8_S8_EEEEZNS1_11reduce_implILb1ES3_NS6_12zip_iteratorINS7_INS6_11hip_rocprim26transform_input_iterator_tIbPiNS6_6detail10functional5actorINSH_9compositeIJNSH_27transparent_binary_operatorINS6_8equal_toIvEEEENSI_INSH_8argumentILj0EEEEENSH_5valueIiEEEEEEEEENSD_19counting_iterator_tIlEES8_S8_S8_S8_S8_S8_S8_S8_EEEEPS9_S9_NSD_9__find_if7functorIS9_EEEE10hipError_tPvRmT1_T2_T3_mT4_P12ihipStream_tbEUlT_E0_NS1_11comp_targetILNS1_3genE10ELNS1_11target_archE1200ELNS1_3gpuE4ELNS1_3repE0EEENS1_30default_config_static_selectorELNS0_4arch9wavefront6targetE1EEEvS17_
; %bb.0:
	.section	.rodata,"a",@progbits
	.p2align	6, 0x0
	.amdhsa_kernel _ZN7rocprim17ROCPRIM_400000_NS6detail17trampoline_kernelINS0_14default_configENS1_22reduce_config_selectorIN6thrust23THRUST_200600_302600_NS5tupleIblNS6_9null_typeES8_S8_S8_S8_S8_S8_S8_EEEEZNS1_11reduce_implILb1ES3_NS6_12zip_iteratorINS7_INS6_11hip_rocprim26transform_input_iterator_tIbPiNS6_6detail10functional5actorINSH_9compositeIJNSH_27transparent_binary_operatorINS6_8equal_toIvEEEENSI_INSH_8argumentILj0EEEEENSH_5valueIiEEEEEEEEENSD_19counting_iterator_tIlEES8_S8_S8_S8_S8_S8_S8_S8_EEEEPS9_S9_NSD_9__find_if7functorIS9_EEEE10hipError_tPvRmT1_T2_T3_mT4_P12ihipStream_tbEUlT_E0_NS1_11comp_targetILNS1_3genE10ELNS1_11target_archE1200ELNS1_3gpuE4ELNS1_3repE0EEENS1_30default_config_static_selectorELNS0_4arch9wavefront6targetE1EEEvS17_
		.amdhsa_group_segment_fixed_size 0
		.amdhsa_private_segment_fixed_size 0
		.amdhsa_kernarg_size 88
		.amdhsa_user_sgpr_count 6
		.amdhsa_user_sgpr_private_segment_buffer 1
		.amdhsa_user_sgpr_dispatch_ptr 0
		.amdhsa_user_sgpr_queue_ptr 0
		.amdhsa_user_sgpr_kernarg_segment_ptr 1
		.amdhsa_user_sgpr_dispatch_id 0
		.amdhsa_user_sgpr_flat_scratch_init 0
		.amdhsa_user_sgpr_kernarg_preload_length 0
		.amdhsa_user_sgpr_kernarg_preload_offset 0
		.amdhsa_user_sgpr_private_segment_size 0
		.amdhsa_uses_dynamic_stack 0
		.amdhsa_system_sgpr_private_segment_wavefront_offset 0
		.amdhsa_system_sgpr_workgroup_id_x 1
		.amdhsa_system_sgpr_workgroup_id_y 0
		.amdhsa_system_sgpr_workgroup_id_z 0
		.amdhsa_system_sgpr_workgroup_info 0
		.amdhsa_system_vgpr_workitem_id 0
		.amdhsa_next_free_vgpr 1
		.amdhsa_next_free_sgpr 0
		.amdhsa_accum_offset 4
		.amdhsa_reserve_vcc 0
		.amdhsa_reserve_flat_scratch 0
		.amdhsa_float_round_mode_32 0
		.amdhsa_float_round_mode_16_64 0
		.amdhsa_float_denorm_mode_32 3
		.amdhsa_float_denorm_mode_16_64 3
		.amdhsa_dx10_clamp 1
		.amdhsa_ieee_mode 1
		.amdhsa_fp16_overflow 0
		.amdhsa_tg_split 0
		.amdhsa_exception_fp_ieee_invalid_op 0
		.amdhsa_exception_fp_denorm_src 0
		.amdhsa_exception_fp_ieee_div_zero 0
		.amdhsa_exception_fp_ieee_overflow 0
		.amdhsa_exception_fp_ieee_underflow 0
		.amdhsa_exception_fp_ieee_inexact 0
		.amdhsa_exception_int_div_zero 0
	.end_amdhsa_kernel
	.section	.text._ZN7rocprim17ROCPRIM_400000_NS6detail17trampoline_kernelINS0_14default_configENS1_22reduce_config_selectorIN6thrust23THRUST_200600_302600_NS5tupleIblNS6_9null_typeES8_S8_S8_S8_S8_S8_S8_EEEEZNS1_11reduce_implILb1ES3_NS6_12zip_iteratorINS7_INS6_11hip_rocprim26transform_input_iterator_tIbPiNS6_6detail10functional5actorINSH_9compositeIJNSH_27transparent_binary_operatorINS6_8equal_toIvEEEENSI_INSH_8argumentILj0EEEEENSH_5valueIiEEEEEEEEENSD_19counting_iterator_tIlEES8_S8_S8_S8_S8_S8_S8_S8_EEEEPS9_S9_NSD_9__find_if7functorIS9_EEEE10hipError_tPvRmT1_T2_T3_mT4_P12ihipStream_tbEUlT_E0_NS1_11comp_targetILNS1_3genE10ELNS1_11target_archE1200ELNS1_3gpuE4ELNS1_3repE0EEENS1_30default_config_static_selectorELNS0_4arch9wavefront6targetE1EEEvS17_,"axG",@progbits,_ZN7rocprim17ROCPRIM_400000_NS6detail17trampoline_kernelINS0_14default_configENS1_22reduce_config_selectorIN6thrust23THRUST_200600_302600_NS5tupleIblNS6_9null_typeES8_S8_S8_S8_S8_S8_S8_EEEEZNS1_11reduce_implILb1ES3_NS6_12zip_iteratorINS7_INS6_11hip_rocprim26transform_input_iterator_tIbPiNS6_6detail10functional5actorINSH_9compositeIJNSH_27transparent_binary_operatorINS6_8equal_toIvEEEENSI_INSH_8argumentILj0EEEEENSH_5valueIiEEEEEEEEENSD_19counting_iterator_tIlEES8_S8_S8_S8_S8_S8_S8_S8_EEEEPS9_S9_NSD_9__find_if7functorIS9_EEEE10hipError_tPvRmT1_T2_T3_mT4_P12ihipStream_tbEUlT_E0_NS1_11comp_targetILNS1_3genE10ELNS1_11target_archE1200ELNS1_3gpuE4ELNS1_3repE0EEENS1_30default_config_static_selectorELNS0_4arch9wavefront6targetE1EEEvS17_,comdat
.Lfunc_end980:
	.size	_ZN7rocprim17ROCPRIM_400000_NS6detail17trampoline_kernelINS0_14default_configENS1_22reduce_config_selectorIN6thrust23THRUST_200600_302600_NS5tupleIblNS6_9null_typeES8_S8_S8_S8_S8_S8_S8_EEEEZNS1_11reduce_implILb1ES3_NS6_12zip_iteratorINS7_INS6_11hip_rocprim26transform_input_iterator_tIbPiNS6_6detail10functional5actorINSH_9compositeIJNSH_27transparent_binary_operatorINS6_8equal_toIvEEEENSI_INSH_8argumentILj0EEEEENSH_5valueIiEEEEEEEEENSD_19counting_iterator_tIlEES8_S8_S8_S8_S8_S8_S8_S8_EEEEPS9_S9_NSD_9__find_if7functorIS9_EEEE10hipError_tPvRmT1_T2_T3_mT4_P12ihipStream_tbEUlT_E0_NS1_11comp_targetILNS1_3genE10ELNS1_11target_archE1200ELNS1_3gpuE4ELNS1_3repE0EEENS1_30default_config_static_selectorELNS0_4arch9wavefront6targetE1EEEvS17_, .Lfunc_end980-_ZN7rocprim17ROCPRIM_400000_NS6detail17trampoline_kernelINS0_14default_configENS1_22reduce_config_selectorIN6thrust23THRUST_200600_302600_NS5tupleIblNS6_9null_typeES8_S8_S8_S8_S8_S8_S8_EEEEZNS1_11reduce_implILb1ES3_NS6_12zip_iteratorINS7_INS6_11hip_rocprim26transform_input_iterator_tIbPiNS6_6detail10functional5actorINSH_9compositeIJNSH_27transparent_binary_operatorINS6_8equal_toIvEEEENSI_INSH_8argumentILj0EEEEENSH_5valueIiEEEEEEEEENSD_19counting_iterator_tIlEES8_S8_S8_S8_S8_S8_S8_S8_EEEEPS9_S9_NSD_9__find_if7functorIS9_EEEE10hipError_tPvRmT1_T2_T3_mT4_P12ihipStream_tbEUlT_E0_NS1_11comp_targetILNS1_3genE10ELNS1_11target_archE1200ELNS1_3gpuE4ELNS1_3repE0EEENS1_30default_config_static_selectorELNS0_4arch9wavefront6targetE1EEEvS17_
                                        ; -- End function
	.section	.AMDGPU.csdata,"",@progbits
; Kernel info:
; codeLenInByte = 0
; NumSgprs: 4
; NumVgprs: 0
; NumAgprs: 0
; TotalNumVgprs: 0
; ScratchSize: 0
; MemoryBound: 0
; FloatMode: 240
; IeeeMode: 1
; LDSByteSize: 0 bytes/workgroup (compile time only)
; SGPRBlocks: 0
; VGPRBlocks: 0
; NumSGPRsForWavesPerEU: 4
; NumVGPRsForWavesPerEU: 1
; AccumOffset: 4
; Occupancy: 8
; WaveLimiterHint : 0
; COMPUTE_PGM_RSRC2:SCRATCH_EN: 0
; COMPUTE_PGM_RSRC2:USER_SGPR: 6
; COMPUTE_PGM_RSRC2:TRAP_HANDLER: 0
; COMPUTE_PGM_RSRC2:TGID_X_EN: 1
; COMPUTE_PGM_RSRC2:TGID_Y_EN: 0
; COMPUTE_PGM_RSRC2:TGID_Z_EN: 0
; COMPUTE_PGM_RSRC2:TIDIG_COMP_CNT: 0
; COMPUTE_PGM_RSRC3_GFX90A:ACCUM_OFFSET: 0
; COMPUTE_PGM_RSRC3_GFX90A:TG_SPLIT: 0
	.section	.text._ZN7rocprim17ROCPRIM_400000_NS6detail17trampoline_kernelINS0_14default_configENS1_22reduce_config_selectorIN6thrust23THRUST_200600_302600_NS5tupleIblNS6_9null_typeES8_S8_S8_S8_S8_S8_S8_EEEEZNS1_11reduce_implILb1ES3_NS6_12zip_iteratorINS7_INS6_11hip_rocprim26transform_input_iterator_tIbPiNS6_6detail10functional5actorINSH_9compositeIJNSH_27transparent_binary_operatorINS6_8equal_toIvEEEENSI_INSH_8argumentILj0EEEEENSH_5valueIiEEEEEEEEENSD_19counting_iterator_tIlEES8_S8_S8_S8_S8_S8_S8_S8_EEEEPS9_S9_NSD_9__find_if7functorIS9_EEEE10hipError_tPvRmT1_T2_T3_mT4_P12ihipStream_tbEUlT_E0_NS1_11comp_targetILNS1_3genE9ELNS1_11target_archE1100ELNS1_3gpuE3ELNS1_3repE0EEENS1_30default_config_static_selectorELNS0_4arch9wavefront6targetE1EEEvS17_,"axG",@progbits,_ZN7rocprim17ROCPRIM_400000_NS6detail17trampoline_kernelINS0_14default_configENS1_22reduce_config_selectorIN6thrust23THRUST_200600_302600_NS5tupleIblNS6_9null_typeES8_S8_S8_S8_S8_S8_S8_EEEEZNS1_11reduce_implILb1ES3_NS6_12zip_iteratorINS7_INS6_11hip_rocprim26transform_input_iterator_tIbPiNS6_6detail10functional5actorINSH_9compositeIJNSH_27transparent_binary_operatorINS6_8equal_toIvEEEENSI_INSH_8argumentILj0EEEEENSH_5valueIiEEEEEEEEENSD_19counting_iterator_tIlEES8_S8_S8_S8_S8_S8_S8_S8_EEEEPS9_S9_NSD_9__find_if7functorIS9_EEEE10hipError_tPvRmT1_T2_T3_mT4_P12ihipStream_tbEUlT_E0_NS1_11comp_targetILNS1_3genE9ELNS1_11target_archE1100ELNS1_3gpuE3ELNS1_3repE0EEENS1_30default_config_static_selectorELNS0_4arch9wavefront6targetE1EEEvS17_,comdat
	.protected	_ZN7rocprim17ROCPRIM_400000_NS6detail17trampoline_kernelINS0_14default_configENS1_22reduce_config_selectorIN6thrust23THRUST_200600_302600_NS5tupleIblNS6_9null_typeES8_S8_S8_S8_S8_S8_S8_EEEEZNS1_11reduce_implILb1ES3_NS6_12zip_iteratorINS7_INS6_11hip_rocprim26transform_input_iterator_tIbPiNS6_6detail10functional5actorINSH_9compositeIJNSH_27transparent_binary_operatorINS6_8equal_toIvEEEENSI_INSH_8argumentILj0EEEEENSH_5valueIiEEEEEEEEENSD_19counting_iterator_tIlEES8_S8_S8_S8_S8_S8_S8_S8_EEEEPS9_S9_NSD_9__find_if7functorIS9_EEEE10hipError_tPvRmT1_T2_T3_mT4_P12ihipStream_tbEUlT_E0_NS1_11comp_targetILNS1_3genE9ELNS1_11target_archE1100ELNS1_3gpuE3ELNS1_3repE0EEENS1_30default_config_static_selectorELNS0_4arch9wavefront6targetE1EEEvS17_ ; -- Begin function _ZN7rocprim17ROCPRIM_400000_NS6detail17trampoline_kernelINS0_14default_configENS1_22reduce_config_selectorIN6thrust23THRUST_200600_302600_NS5tupleIblNS6_9null_typeES8_S8_S8_S8_S8_S8_S8_EEEEZNS1_11reduce_implILb1ES3_NS6_12zip_iteratorINS7_INS6_11hip_rocprim26transform_input_iterator_tIbPiNS6_6detail10functional5actorINSH_9compositeIJNSH_27transparent_binary_operatorINS6_8equal_toIvEEEENSI_INSH_8argumentILj0EEEEENSH_5valueIiEEEEEEEEENSD_19counting_iterator_tIlEES8_S8_S8_S8_S8_S8_S8_S8_EEEEPS9_S9_NSD_9__find_if7functorIS9_EEEE10hipError_tPvRmT1_T2_T3_mT4_P12ihipStream_tbEUlT_E0_NS1_11comp_targetILNS1_3genE9ELNS1_11target_archE1100ELNS1_3gpuE3ELNS1_3repE0EEENS1_30default_config_static_selectorELNS0_4arch9wavefront6targetE1EEEvS17_
	.globl	_ZN7rocprim17ROCPRIM_400000_NS6detail17trampoline_kernelINS0_14default_configENS1_22reduce_config_selectorIN6thrust23THRUST_200600_302600_NS5tupleIblNS6_9null_typeES8_S8_S8_S8_S8_S8_S8_EEEEZNS1_11reduce_implILb1ES3_NS6_12zip_iteratorINS7_INS6_11hip_rocprim26transform_input_iterator_tIbPiNS6_6detail10functional5actorINSH_9compositeIJNSH_27transparent_binary_operatorINS6_8equal_toIvEEEENSI_INSH_8argumentILj0EEEEENSH_5valueIiEEEEEEEEENSD_19counting_iterator_tIlEES8_S8_S8_S8_S8_S8_S8_S8_EEEEPS9_S9_NSD_9__find_if7functorIS9_EEEE10hipError_tPvRmT1_T2_T3_mT4_P12ihipStream_tbEUlT_E0_NS1_11comp_targetILNS1_3genE9ELNS1_11target_archE1100ELNS1_3gpuE3ELNS1_3repE0EEENS1_30default_config_static_selectorELNS0_4arch9wavefront6targetE1EEEvS17_
	.p2align	8
	.type	_ZN7rocprim17ROCPRIM_400000_NS6detail17trampoline_kernelINS0_14default_configENS1_22reduce_config_selectorIN6thrust23THRUST_200600_302600_NS5tupleIblNS6_9null_typeES8_S8_S8_S8_S8_S8_S8_EEEEZNS1_11reduce_implILb1ES3_NS6_12zip_iteratorINS7_INS6_11hip_rocprim26transform_input_iterator_tIbPiNS6_6detail10functional5actorINSH_9compositeIJNSH_27transparent_binary_operatorINS6_8equal_toIvEEEENSI_INSH_8argumentILj0EEEEENSH_5valueIiEEEEEEEEENSD_19counting_iterator_tIlEES8_S8_S8_S8_S8_S8_S8_S8_EEEEPS9_S9_NSD_9__find_if7functorIS9_EEEE10hipError_tPvRmT1_T2_T3_mT4_P12ihipStream_tbEUlT_E0_NS1_11comp_targetILNS1_3genE9ELNS1_11target_archE1100ELNS1_3gpuE3ELNS1_3repE0EEENS1_30default_config_static_selectorELNS0_4arch9wavefront6targetE1EEEvS17_,@function
_ZN7rocprim17ROCPRIM_400000_NS6detail17trampoline_kernelINS0_14default_configENS1_22reduce_config_selectorIN6thrust23THRUST_200600_302600_NS5tupleIblNS6_9null_typeES8_S8_S8_S8_S8_S8_S8_EEEEZNS1_11reduce_implILb1ES3_NS6_12zip_iteratorINS7_INS6_11hip_rocprim26transform_input_iterator_tIbPiNS6_6detail10functional5actorINSH_9compositeIJNSH_27transparent_binary_operatorINS6_8equal_toIvEEEENSI_INSH_8argumentILj0EEEEENSH_5valueIiEEEEEEEEENSD_19counting_iterator_tIlEES8_S8_S8_S8_S8_S8_S8_S8_EEEEPS9_S9_NSD_9__find_if7functorIS9_EEEE10hipError_tPvRmT1_T2_T3_mT4_P12ihipStream_tbEUlT_E0_NS1_11comp_targetILNS1_3genE9ELNS1_11target_archE1100ELNS1_3gpuE3ELNS1_3repE0EEENS1_30default_config_static_selectorELNS0_4arch9wavefront6targetE1EEEvS17_: ; @_ZN7rocprim17ROCPRIM_400000_NS6detail17trampoline_kernelINS0_14default_configENS1_22reduce_config_selectorIN6thrust23THRUST_200600_302600_NS5tupleIblNS6_9null_typeES8_S8_S8_S8_S8_S8_S8_EEEEZNS1_11reduce_implILb1ES3_NS6_12zip_iteratorINS7_INS6_11hip_rocprim26transform_input_iterator_tIbPiNS6_6detail10functional5actorINSH_9compositeIJNSH_27transparent_binary_operatorINS6_8equal_toIvEEEENSI_INSH_8argumentILj0EEEEENSH_5valueIiEEEEEEEEENSD_19counting_iterator_tIlEES8_S8_S8_S8_S8_S8_S8_S8_EEEEPS9_S9_NSD_9__find_if7functorIS9_EEEE10hipError_tPvRmT1_T2_T3_mT4_P12ihipStream_tbEUlT_E0_NS1_11comp_targetILNS1_3genE9ELNS1_11target_archE1100ELNS1_3gpuE3ELNS1_3repE0EEENS1_30default_config_static_selectorELNS0_4arch9wavefront6targetE1EEEvS17_
; %bb.0:
	.section	.rodata,"a",@progbits
	.p2align	6, 0x0
	.amdhsa_kernel _ZN7rocprim17ROCPRIM_400000_NS6detail17trampoline_kernelINS0_14default_configENS1_22reduce_config_selectorIN6thrust23THRUST_200600_302600_NS5tupleIblNS6_9null_typeES8_S8_S8_S8_S8_S8_S8_EEEEZNS1_11reduce_implILb1ES3_NS6_12zip_iteratorINS7_INS6_11hip_rocprim26transform_input_iterator_tIbPiNS6_6detail10functional5actorINSH_9compositeIJNSH_27transparent_binary_operatorINS6_8equal_toIvEEEENSI_INSH_8argumentILj0EEEEENSH_5valueIiEEEEEEEEENSD_19counting_iterator_tIlEES8_S8_S8_S8_S8_S8_S8_S8_EEEEPS9_S9_NSD_9__find_if7functorIS9_EEEE10hipError_tPvRmT1_T2_T3_mT4_P12ihipStream_tbEUlT_E0_NS1_11comp_targetILNS1_3genE9ELNS1_11target_archE1100ELNS1_3gpuE3ELNS1_3repE0EEENS1_30default_config_static_selectorELNS0_4arch9wavefront6targetE1EEEvS17_
		.amdhsa_group_segment_fixed_size 0
		.amdhsa_private_segment_fixed_size 0
		.amdhsa_kernarg_size 88
		.amdhsa_user_sgpr_count 6
		.amdhsa_user_sgpr_private_segment_buffer 1
		.amdhsa_user_sgpr_dispatch_ptr 0
		.amdhsa_user_sgpr_queue_ptr 0
		.amdhsa_user_sgpr_kernarg_segment_ptr 1
		.amdhsa_user_sgpr_dispatch_id 0
		.amdhsa_user_sgpr_flat_scratch_init 0
		.amdhsa_user_sgpr_kernarg_preload_length 0
		.amdhsa_user_sgpr_kernarg_preload_offset 0
		.amdhsa_user_sgpr_private_segment_size 0
		.amdhsa_uses_dynamic_stack 0
		.amdhsa_system_sgpr_private_segment_wavefront_offset 0
		.amdhsa_system_sgpr_workgroup_id_x 1
		.amdhsa_system_sgpr_workgroup_id_y 0
		.amdhsa_system_sgpr_workgroup_id_z 0
		.amdhsa_system_sgpr_workgroup_info 0
		.amdhsa_system_vgpr_workitem_id 0
		.amdhsa_next_free_vgpr 1
		.amdhsa_next_free_sgpr 0
		.amdhsa_accum_offset 4
		.amdhsa_reserve_vcc 0
		.amdhsa_reserve_flat_scratch 0
		.amdhsa_float_round_mode_32 0
		.amdhsa_float_round_mode_16_64 0
		.amdhsa_float_denorm_mode_32 3
		.amdhsa_float_denorm_mode_16_64 3
		.amdhsa_dx10_clamp 1
		.amdhsa_ieee_mode 1
		.amdhsa_fp16_overflow 0
		.amdhsa_tg_split 0
		.amdhsa_exception_fp_ieee_invalid_op 0
		.amdhsa_exception_fp_denorm_src 0
		.amdhsa_exception_fp_ieee_div_zero 0
		.amdhsa_exception_fp_ieee_overflow 0
		.amdhsa_exception_fp_ieee_underflow 0
		.amdhsa_exception_fp_ieee_inexact 0
		.amdhsa_exception_int_div_zero 0
	.end_amdhsa_kernel
	.section	.text._ZN7rocprim17ROCPRIM_400000_NS6detail17trampoline_kernelINS0_14default_configENS1_22reduce_config_selectorIN6thrust23THRUST_200600_302600_NS5tupleIblNS6_9null_typeES8_S8_S8_S8_S8_S8_S8_EEEEZNS1_11reduce_implILb1ES3_NS6_12zip_iteratorINS7_INS6_11hip_rocprim26transform_input_iterator_tIbPiNS6_6detail10functional5actorINSH_9compositeIJNSH_27transparent_binary_operatorINS6_8equal_toIvEEEENSI_INSH_8argumentILj0EEEEENSH_5valueIiEEEEEEEEENSD_19counting_iterator_tIlEES8_S8_S8_S8_S8_S8_S8_S8_EEEEPS9_S9_NSD_9__find_if7functorIS9_EEEE10hipError_tPvRmT1_T2_T3_mT4_P12ihipStream_tbEUlT_E0_NS1_11comp_targetILNS1_3genE9ELNS1_11target_archE1100ELNS1_3gpuE3ELNS1_3repE0EEENS1_30default_config_static_selectorELNS0_4arch9wavefront6targetE1EEEvS17_,"axG",@progbits,_ZN7rocprim17ROCPRIM_400000_NS6detail17trampoline_kernelINS0_14default_configENS1_22reduce_config_selectorIN6thrust23THRUST_200600_302600_NS5tupleIblNS6_9null_typeES8_S8_S8_S8_S8_S8_S8_EEEEZNS1_11reduce_implILb1ES3_NS6_12zip_iteratorINS7_INS6_11hip_rocprim26transform_input_iterator_tIbPiNS6_6detail10functional5actorINSH_9compositeIJNSH_27transparent_binary_operatorINS6_8equal_toIvEEEENSI_INSH_8argumentILj0EEEEENSH_5valueIiEEEEEEEEENSD_19counting_iterator_tIlEES8_S8_S8_S8_S8_S8_S8_S8_EEEEPS9_S9_NSD_9__find_if7functorIS9_EEEE10hipError_tPvRmT1_T2_T3_mT4_P12ihipStream_tbEUlT_E0_NS1_11comp_targetILNS1_3genE9ELNS1_11target_archE1100ELNS1_3gpuE3ELNS1_3repE0EEENS1_30default_config_static_selectorELNS0_4arch9wavefront6targetE1EEEvS17_,comdat
.Lfunc_end981:
	.size	_ZN7rocprim17ROCPRIM_400000_NS6detail17trampoline_kernelINS0_14default_configENS1_22reduce_config_selectorIN6thrust23THRUST_200600_302600_NS5tupleIblNS6_9null_typeES8_S8_S8_S8_S8_S8_S8_EEEEZNS1_11reduce_implILb1ES3_NS6_12zip_iteratorINS7_INS6_11hip_rocprim26transform_input_iterator_tIbPiNS6_6detail10functional5actorINSH_9compositeIJNSH_27transparent_binary_operatorINS6_8equal_toIvEEEENSI_INSH_8argumentILj0EEEEENSH_5valueIiEEEEEEEEENSD_19counting_iterator_tIlEES8_S8_S8_S8_S8_S8_S8_S8_EEEEPS9_S9_NSD_9__find_if7functorIS9_EEEE10hipError_tPvRmT1_T2_T3_mT4_P12ihipStream_tbEUlT_E0_NS1_11comp_targetILNS1_3genE9ELNS1_11target_archE1100ELNS1_3gpuE3ELNS1_3repE0EEENS1_30default_config_static_selectorELNS0_4arch9wavefront6targetE1EEEvS17_, .Lfunc_end981-_ZN7rocprim17ROCPRIM_400000_NS6detail17trampoline_kernelINS0_14default_configENS1_22reduce_config_selectorIN6thrust23THRUST_200600_302600_NS5tupleIblNS6_9null_typeES8_S8_S8_S8_S8_S8_S8_EEEEZNS1_11reduce_implILb1ES3_NS6_12zip_iteratorINS7_INS6_11hip_rocprim26transform_input_iterator_tIbPiNS6_6detail10functional5actorINSH_9compositeIJNSH_27transparent_binary_operatorINS6_8equal_toIvEEEENSI_INSH_8argumentILj0EEEEENSH_5valueIiEEEEEEEEENSD_19counting_iterator_tIlEES8_S8_S8_S8_S8_S8_S8_S8_EEEEPS9_S9_NSD_9__find_if7functorIS9_EEEE10hipError_tPvRmT1_T2_T3_mT4_P12ihipStream_tbEUlT_E0_NS1_11comp_targetILNS1_3genE9ELNS1_11target_archE1100ELNS1_3gpuE3ELNS1_3repE0EEENS1_30default_config_static_selectorELNS0_4arch9wavefront6targetE1EEEvS17_
                                        ; -- End function
	.section	.AMDGPU.csdata,"",@progbits
; Kernel info:
; codeLenInByte = 0
; NumSgprs: 4
; NumVgprs: 0
; NumAgprs: 0
; TotalNumVgprs: 0
; ScratchSize: 0
; MemoryBound: 0
; FloatMode: 240
; IeeeMode: 1
; LDSByteSize: 0 bytes/workgroup (compile time only)
; SGPRBlocks: 0
; VGPRBlocks: 0
; NumSGPRsForWavesPerEU: 4
; NumVGPRsForWavesPerEU: 1
; AccumOffset: 4
; Occupancy: 8
; WaveLimiterHint : 0
; COMPUTE_PGM_RSRC2:SCRATCH_EN: 0
; COMPUTE_PGM_RSRC2:USER_SGPR: 6
; COMPUTE_PGM_RSRC2:TRAP_HANDLER: 0
; COMPUTE_PGM_RSRC2:TGID_X_EN: 1
; COMPUTE_PGM_RSRC2:TGID_Y_EN: 0
; COMPUTE_PGM_RSRC2:TGID_Z_EN: 0
; COMPUTE_PGM_RSRC2:TIDIG_COMP_CNT: 0
; COMPUTE_PGM_RSRC3_GFX90A:ACCUM_OFFSET: 0
; COMPUTE_PGM_RSRC3_GFX90A:TG_SPLIT: 0
	.section	.text._ZN7rocprim17ROCPRIM_400000_NS6detail17trampoline_kernelINS0_14default_configENS1_22reduce_config_selectorIN6thrust23THRUST_200600_302600_NS5tupleIblNS6_9null_typeES8_S8_S8_S8_S8_S8_S8_EEEEZNS1_11reduce_implILb1ES3_NS6_12zip_iteratorINS7_INS6_11hip_rocprim26transform_input_iterator_tIbPiNS6_6detail10functional5actorINSH_9compositeIJNSH_27transparent_binary_operatorINS6_8equal_toIvEEEENSI_INSH_8argumentILj0EEEEENSH_5valueIiEEEEEEEEENSD_19counting_iterator_tIlEES8_S8_S8_S8_S8_S8_S8_S8_EEEEPS9_S9_NSD_9__find_if7functorIS9_EEEE10hipError_tPvRmT1_T2_T3_mT4_P12ihipStream_tbEUlT_E0_NS1_11comp_targetILNS1_3genE8ELNS1_11target_archE1030ELNS1_3gpuE2ELNS1_3repE0EEENS1_30default_config_static_selectorELNS0_4arch9wavefront6targetE1EEEvS17_,"axG",@progbits,_ZN7rocprim17ROCPRIM_400000_NS6detail17trampoline_kernelINS0_14default_configENS1_22reduce_config_selectorIN6thrust23THRUST_200600_302600_NS5tupleIblNS6_9null_typeES8_S8_S8_S8_S8_S8_S8_EEEEZNS1_11reduce_implILb1ES3_NS6_12zip_iteratorINS7_INS6_11hip_rocprim26transform_input_iterator_tIbPiNS6_6detail10functional5actorINSH_9compositeIJNSH_27transparent_binary_operatorINS6_8equal_toIvEEEENSI_INSH_8argumentILj0EEEEENSH_5valueIiEEEEEEEEENSD_19counting_iterator_tIlEES8_S8_S8_S8_S8_S8_S8_S8_EEEEPS9_S9_NSD_9__find_if7functorIS9_EEEE10hipError_tPvRmT1_T2_T3_mT4_P12ihipStream_tbEUlT_E0_NS1_11comp_targetILNS1_3genE8ELNS1_11target_archE1030ELNS1_3gpuE2ELNS1_3repE0EEENS1_30default_config_static_selectorELNS0_4arch9wavefront6targetE1EEEvS17_,comdat
	.protected	_ZN7rocprim17ROCPRIM_400000_NS6detail17trampoline_kernelINS0_14default_configENS1_22reduce_config_selectorIN6thrust23THRUST_200600_302600_NS5tupleIblNS6_9null_typeES8_S8_S8_S8_S8_S8_S8_EEEEZNS1_11reduce_implILb1ES3_NS6_12zip_iteratorINS7_INS6_11hip_rocprim26transform_input_iterator_tIbPiNS6_6detail10functional5actorINSH_9compositeIJNSH_27transparent_binary_operatorINS6_8equal_toIvEEEENSI_INSH_8argumentILj0EEEEENSH_5valueIiEEEEEEEEENSD_19counting_iterator_tIlEES8_S8_S8_S8_S8_S8_S8_S8_EEEEPS9_S9_NSD_9__find_if7functorIS9_EEEE10hipError_tPvRmT1_T2_T3_mT4_P12ihipStream_tbEUlT_E0_NS1_11comp_targetILNS1_3genE8ELNS1_11target_archE1030ELNS1_3gpuE2ELNS1_3repE0EEENS1_30default_config_static_selectorELNS0_4arch9wavefront6targetE1EEEvS17_ ; -- Begin function _ZN7rocprim17ROCPRIM_400000_NS6detail17trampoline_kernelINS0_14default_configENS1_22reduce_config_selectorIN6thrust23THRUST_200600_302600_NS5tupleIblNS6_9null_typeES8_S8_S8_S8_S8_S8_S8_EEEEZNS1_11reduce_implILb1ES3_NS6_12zip_iteratorINS7_INS6_11hip_rocprim26transform_input_iterator_tIbPiNS6_6detail10functional5actorINSH_9compositeIJNSH_27transparent_binary_operatorINS6_8equal_toIvEEEENSI_INSH_8argumentILj0EEEEENSH_5valueIiEEEEEEEEENSD_19counting_iterator_tIlEES8_S8_S8_S8_S8_S8_S8_S8_EEEEPS9_S9_NSD_9__find_if7functorIS9_EEEE10hipError_tPvRmT1_T2_T3_mT4_P12ihipStream_tbEUlT_E0_NS1_11comp_targetILNS1_3genE8ELNS1_11target_archE1030ELNS1_3gpuE2ELNS1_3repE0EEENS1_30default_config_static_selectorELNS0_4arch9wavefront6targetE1EEEvS17_
	.globl	_ZN7rocprim17ROCPRIM_400000_NS6detail17trampoline_kernelINS0_14default_configENS1_22reduce_config_selectorIN6thrust23THRUST_200600_302600_NS5tupleIblNS6_9null_typeES8_S8_S8_S8_S8_S8_S8_EEEEZNS1_11reduce_implILb1ES3_NS6_12zip_iteratorINS7_INS6_11hip_rocprim26transform_input_iterator_tIbPiNS6_6detail10functional5actorINSH_9compositeIJNSH_27transparent_binary_operatorINS6_8equal_toIvEEEENSI_INSH_8argumentILj0EEEEENSH_5valueIiEEEEEEEEENSD_19counting_iterator_tIlEES8_S8_S8_S8_S8_S8_S8_S8_EEEEPS9_S9_NSD_9__find_if7functorIS9_EEEE10hipError_tPvRmT1_T2_T3_mT4_P12ihipStream_tbEUlT_E0_NS1_11comp_targetILNS1_3genE8ELNS1_11target_archE1030ELNS1_3gpuE2ELNS1_3repE0EEENS1_30default_config_static_selectorELNS0_4arch9wavefront6targetE1EEEvS17_
	.p2align	8
	.type	_ZN7rocprim17ROCPRIM_400000_NS6detail17trampoline_kernelINS0_14default_configENS1_22reduce_config_selectorIN6thrust23THRUST_200600_302600_NS5tupleIblNS6_9null_typeES8_S8_S8_S8_S8_S8_S8_EEEEZNS1_11reduce_implILb1ES3_NS6_12zip_iteratorINS7_INS6_11hip_rocprim26transform_input_iterator_tIbPiNS6_6detail10functional5actorINSH_9compositeIJNSH_27transparent_binary_operatorINS6_8equal_toIvEEEENSI_INSH_8argumentILj0EEEEENSH_5valueIiEEEEEEEEENSD_19counting_iterator_tIlEES8_S8_S8_S8_S8_S8_S8_S8_EEEEPS9_S9_NSD_9__find_if7functorIS9_EEEE10hipError_tPvRmT1_T2_T3_mT4_P12ihipStream_tbEUlT_E0_NS1_11comp_targetILNS1_3genE8ELNS1_11target_archE1030ELNS1_3gpuE2ELNS1_3repE0EEENS1_30default_config_static_selectorELNS0_4arch9wavefront6targetE1EEEvS17_,@function
_ZN7rocprim17ROCPRIM_400000_NS6detail17trampoline_kernelINS0_14default_configENS1_22reduce_config_selectorIN6thrust23THRUST_200600_302600_NS5tupleIblNS6_9null_typeES8_S8_S8_S8_S8_S8_S8_EEEEZNS1_11reduce_implILb1ES3_NS6_12zip_iteratorINS7_INS6_11hip_rocprim26transform_input_iterator_tIbPiNS6_6detail10functional5actorINSH_9compositeIJNSH_27transparent_binary_operatorINS6_8equal_toIvEEEENSI_INSH_8argumentILj0EEEEENSH_5valueIiEEEEEEEEENSD_19counting_iterator_tIlEES8_S8_S8_S8_S8_S8_S8_S8_EEEEPS9_S9_NSD_9__find_if7functorIS9_EEEE10hipError_tPvRmT1_T2_T3_mT4_P12ihipStream_tbEUlT_E0_NS1_11comp_targetILNS1_3genE8ELNS1_11target_archE1030ELNS1_3gpuE2ELNS1_3repE0EEENS1_30default_config_static_selectorELNS0_4arch9wavefront6targetE1EEEvS17_: ; @_ZN7rocprim17ROCPRIM_400000_NS6detail17trampoline_kernelINS0_14default_configENS1_22reduce_config_selectorIN6thrust23THRUST_200600_302600_NS5tupleIblNS6_9null_typeES8_S8_S8_S8_S8_S8_S8_EEEEZNS1_11reduce_implILb1ES3_NS6_12zip_iteratorINS7_INS6_11hip_rocprim26transform_input_iterator_tIbPiNS6_6detail10functional5actorINSH_9compositeIJNSH_27transparent_binary_operatorINS6_8equal_toIvEEEENSI_INSH_8argumentILj0EEEEENSH_5valueIiEEEEEEEEENSD_19counting_iterator_tIlEES8_S8_S8_S8_S8_S8_S8_S8_EEEEPS9_S9_NSD_9__find_if7functorIS9_EEEE10hipError_tPvRmT1_T2_T3_mT4_P12ihipStream_tbEUlT_E0_NS1_11comp_targetILNS1_3genE8ELNS1_11target_archE1030ELNS1_3gpuE2ELNS1_3repE0EEENS1_30default_config_static_selectorELNS0_4arch9wavefront6targetE1EEEvS17_
; %bb.0:
	.section	.rodata,"a",@progbits
	.p2align	6, 0x0
	.amdhsa_kernel _ZN7rocprim17ROCPRIM_400000_NS6detail17trampoline_kernelINS0_14default_configENS1_22reduce_config_selectorIN6thrust23THRUST_200600_302600_NS5tupleIblNS6_9null_typeES8_S8_S8_S8_S8_S8_S8_EEEEZNS1_11reduce_implILb1ES3_NS6_12zip_iteratorINS7_INS6_11hip_rocprim26transform_input_iterator_tIbPiNS6_6detail10functional5actorINSH_9compositeIJNSH_27transparent_binary_operatorINS6_8equal_toIvEEEENSI_INSH_8argumentILj0EEEEENSH_5valueIiEEEEEEEEENSD_19counting_iterator_tIlEES8_S8_S8_S8_S8_S8_S8_S8_EEEEPS9_S9_NSD_9__find_if7functorIS9_EEEE10hipError_tPvRmT1_T2_T3_mT4_P12ihipStream_tbEUlT_E0_NS1_11comp_targetILNS1_3genE8ELNS1_11target_archE1030ELNS1_3gpuE2ELNS1_3repE0EEENS1_30default_config_static_selectorELNS0_4arch9wavefront6targetE1EEEvS17_
		.amdhsa_group_segment_fixed_size 0
		.amdhsa_private_segment_fixed_size 0
		.amdhsa_kernarg_size 88
		.amdhsa_user_sgpr_count 6
		.amdhsa_user_sgpr_private_segment_buffer 1
		.amdhsa_user_sgpr_dispatch_ptr 0
		.amdhsa_user_sgpr_queue_ptr 0
		.amdhsa_user_sgpr_kernarg_segment_ptr 1
		.amdhsa_user_sgpr_dispatch_id 0
		.amdhsa_user_sgpr_flat_scratch_init 0
		.amdhsa_user_sgpr_kernarg_preload_length 0
		.amdhsa_user_sgpr_kernarg_preload_offset 0
		.amdhsa_user_sgpr_private_segment_size 0
		.amdhsa_uses_dynamic_stack 0
		.amdhsa_system_sgpr_private_segment_wavefront_offset 0
		.amdhsa_system_sgpr_workgroup_id_x 1
		.amdhsa_system_sgpr_workgroup_id_y 0
		.amdhsa_system_sgpr_workgroup_id_z 0
		.amdhsa_system_sgpr_workgroup_info 0
		.amdhsa_system_vgpr_workitem_id 0
		.amdhsa_next_free_vgpr 1
		.amdhsa_next_free_sgpr 0
		.amdhsa_accum_offset 4
		.amdhsa_reserve_vcc 0
		.amdhsa_reserve_flat_scratch 0
		.amdhsa_float_round_mode_32 0
		.amdhsa_float_round_mode_16_64 0
		.amdhsa_float_denorm_mode_32 3
		.amdhsa_float_denorm_mode_16_64 3
		.amdhsa_dx10_clamp 1
		.amdhsa_ieee_mode 1
		.amdhsa_fp16_overflow 0
		.amdhsa_tg_split 0
		.amdhsa_exception_fp_ieee_invalid_op 0
		.amdhsa_exception_fp_denorm_src 0
		.amdhsa_exception_fp_ieee_div_zero 0
		.amdhsa_exception_fp_ieee_overflow 0
		.amdhsa_exception_fp_ieee_underflow 0
		.amdhsa_exception_fp_ieee_inexact 0
		.amdhsa_exception_int_div_zero 0
	.end_amdhsa_kernel
	.section	.text._ZN7rocprim17ROCPRIM_400000_NS6detail17trampoline_kernelINS0_14default_configENS1_22reduce_config_selectorIN6thrust23THRUST_200600_302600_NS5tupleIblNS6_9null_typeES8_S8_S8_S8_S8_S8_S8_EEEEZNS1_11reduce_implILb1ES3_NS6_12zip_iteratorINS7_INS6_11hip_rocprim26transform_input_iterator_tIbPiNS6_6detail10functional5actorINSH_9compositeIJNSH_27transparent_binary_operatorINS6_8equal_toIvEEEENSI_INSH_8argumentILj0EEEEENSH_5valueIiEEEEEEEEENSD_19counting_iterator_tIlEES8_S8_S8_S8_S8_S8_S8_S8_EEEEPS9_S9_NSD_9__find_if7functorIS9_EEEE10hipError_tPvRmT1_T2_T3_mT4_P12ihipStream_tbEUlT_E0_NS1_11comp_targetILNS1_3genE8ELNS1_11target_archE1030ELNS1_3gpuE2ELNS1_3repE0EEENS1_30default_config_static_selectorELNS0_4arch9wavefront6targetE1EEEvS17_,"axG",@progbits,_ZN7rocprim17ROCPRIM_400000_NS6detail17trampoline_kernelINS0_14default_configENS1_22reduce_config_selectorIN6thrust23THRUST_200600_302600_NS5tupleIblNS6_9null_typeES8_S8_S8_S8_S8_S8_S8_EEEEZNS1_11reduce_implILb1ES3_NS6_12zip_iteratorINS7_INS6_11hip_rocprim26transform_input_iterator_tIbPiNS6_6detail10functional5actorINSH_9compositeIJNSH_27transparent_binary_operatorINS6_8equal_toIvEEEENSI_INSH_8argumentILj0EEEEENSH_5valueIiEEEEEEEEENSD_19counting_iterator_tIlEES8_S8_S8_S8_S8_S8_S8_S8_EEEEPS9_S9_NSD_9__find_if7functorIS9_EEEE10hipError_tPvRmT1_T2_T3_mT4_P12ihipStream_tbEUlT_E0_NS1_11comp_targetILNS1_3genE8ELNS1_11target_archE1030ELNS1_3gpuE2ELNS1_3repE0EEENS1_30default_config_static_selectorELNS0_4arch9wavefront6targetE1EEEvS17_,comdat
.Lfunc_end982:
	.size	_ZN7rocprim17ROCPRIM_400000_NS6detail17trampoline_kernelINS0_14default_configENS1_22reduce_config_selectorIN6thrust23THRUST_200600_302600_NS5tupleIblNS6_9null_typeES8_S8_S8_S8_S8_S8_S8_EEEEZNS1_11reduce_implILb1ES3_NS6_12zip_iteratorINS7_INS6_11hip_rocprim26transform_input_iterator_tIbPiNS6_6detail10functional5actorINSH_9compositeIJNSH_27transparent_binary_operatorINS6_8equal_toIvEEEENSI_INSH_8argumentILj0EEEEENSH_5valueIiEEEEEEEEENSD_19counting_iterator_tIlEES8_S8_S8_S8_S8_S8_S8_S8_EEEEPS9_S9_NSD_9__find_if7functorIS9_EEEE10hipError_tPvRmT1_T2_T3_mT4_P12ihipStream_tbEUlT_E0_NS1_11comp_targetILNS1_3genE8ELNS1_11target_archE1030ELNS1_3gpuE2ELNS1_3repE0EEENS1_30default_config_static_selectorELNS0_4arch9wavefront6targetE1EEEvS17_, .Lfunc_end982-_ZN7rocprim17ROCPRIM_400000_NS6detail17trampoline_kernelINS0_14default_configENS1_22reduce_config_selectorIN6thrust23THRUST_200600_302600_NS5tupleIblNS6_9null_typeES8_S8_S8_S8_S8_S8_S8_EEEEZNS1_11reduce_implILb1ES3_NS6_12zip_iteratorINS7_INS6_11hip_rocprim26transform_input_iterator_tIbPiNS6_6detail10functional5actorINSH_9compositeIJNSH_27transparent_binary_operatorINS6_8equal_toIvEEEENSI_INSH_8argumentILj0EEEEENSH_5valueIiEEEEEEEEENSD_19counting_iterator_tIlEES8_S8_S8_S8_S8_S8_S8_S8_EEEEPS9_S9_NSD_9__find_if7functorIS9_EEEE10hipError_tPvRmT1_T2_T3_mT4_P12ihipStream_tbEUlT_E0_NS1_11comp_targetILNS1_3genE8ELNS1_11target_archE1030ELNS1_3gpuE2ELNS1_3repE0EEENS1_30default_config_static_selectorELNS0_4arch9wavefront6targetE1EEEvS17_
                                        ; -- End function
	.section	.AMDGPU.csdata,"",@progbits
; Kernel info:
; codeLenInByte = 0
; NumSgprs: 4
; NumVgprs: 0
; NumAgprs: 0
; TotalNumVgprs: 0
; ScratchSize: 0
; MemoryBound: 0
; FloatMode: 240
; IeeeMode: 1
; LDSByteSize: 0 bytes/workgroup (compile time only)
; SGPRBlocks: 0
; VGPRBlocks: 0
; NumSGPRsForWavesPerEU: 4
; NumVGPRsForWavesPerEU: 1
; AccumOffset: 4
; Occupancy: 8
; WaveLimiterHint : 0
; COMPUTE_PGM_RSRC2:SCRATCH_EN: 0
; COMPUTE_PGM_RSRC2:USER_SGPR: 6
; COMPUTE_PGM_RSRC2:TRAP_HANDLER: 0
; COMPUTE_PGM_RSRC2:TGID_X_EN: 1
; COMPUTE_PGM_RSRC2:TGID_Y_EN: 0
; COMPUTE_PGM_RSRC2:TGID_Z_EN: 0
; COMPUTE_PGM_RSRC2:TIDIG_COMP_CNT: 0
; COMPUTE_PGM_RSRC3_GFX90A:ACCUM_OFFSET: 0
; COMPUTE_PGM_RSRC3_GFX90A:TG_SPLIT: 0
	.section	.text._ZN7rocprim17ROCPRIM_400000_NS6detail17trampoline_kernelINS0_14default_configENS1_22reduce_config_selectorIN6thrust23THRUST_200600_302600_NS5tupleIblNS6_9null_typeES8_S8_S8_S8_S8_S8_S8_EEEEZNS1_11reduce_implILb1ES3_NS6_12zip_iteratorINS7_INS6_11hip_rocprim26transform_input_iterator_tIbPiNS6_6detail10functional5actorINSH_9compositeIJNSH_27transparent_binary_operatorINS6_8equal_toIvEEEENSI_INSH_8argumentILj0EEEEENSH_5valueIiEEEEEEEEENSD_19counting_iterator_tIlEES8_S8_S8_S8_S8_S8_S8_S8_EEEEPS9_S9_NSD_9__find_if7functorIS9_EEEE10hipError_tPvRmT1_T2_T3_mT4_P12ihipStream_tbEUlT_E1_NS1_11comp_targetILNS1_3genE0ELNS1_11target_archE4294967295ELNS1_3gpuE0ELNS1_3repE0EEENS1_30default_config_static_selectorELNS0_4arch9wavefront6targetE1EEEvS17_,"axG",@progbits,_ZN7rocprim17ROCPRIM_400000_NS6detail17trampoline_kernelINS0_14default_configENS1_22reduce_config_selectorIN6thrust23THRUST_200600_302600_NS5tupleIblNS6_9null_typeES8_S8_S8_S8_S8_S8_S8_EEEEZNS1_11reduce_implILb1ES3_NS6_12zip_iteratorINS7_INS6_11hip_rocprim26transform_input_iterator_tIbPiNS6_6detail10functional5actorINSH_9compositeIJNSH_27transparent_binary_operatorINS6_8equal_toIvEEEENSI_INSH_8argumentILj0EEEEENSH_5valueIiEEEEEEEEENSD_19counting_iterator_tIlEES8_S8_S8_S8_S8_S8_S8_S8_EEEEPS9_S9_NSD_9__find_if7functorIS9_EEEE10hipError_tPvRmT1_T2_T3_mT4_P12ihipStream_tbEUlT_E1_NS1_11comp_targetILNS1_3genE0ELNS1_11target_archE4294967295ELNS1_3gpuE0ELNS1_3repE0EEENS1_30default_config_static_selectorELNS0_4arch9wavefront6targetE1EEEvS17_,comdat
	.protected	_ZN7rocprim17ROCPRIM_400000_NS6detail17trampoline_kernelINS0_14default_configENS1_22reduce_config_selectorIN6thrust23THRUST_200600_302600_NS5tupleIblNS6_9null_typeES8_S8_S8_S8_S8_S8_S8_EEEEZNS1_11reduce_implILb1ES3_NS6_12zip_iteratorINS7_INS6_11hip_rocprim26transform_input_iterator_tIbPiNS6_6detail10functional5actorINSH_9compositeIJNSH_27transparent_binary_operatorINS6_8equal_toIvEEEENSI_INSH_8argumentILj0EEEEENSH_5valueIiEEEEEEEEENSD_19counting_iterator_tIlEES8_S8_S8_S8_S8_S8_S8_S8_EEEEPS9_S9_NSD_9__find_if7functorIS9_EEEE10hipError_tPvRmT1_T2_T3_mT4_P12ihipStream_tbEUlT_E1_NS1_11comp_targetILNS1_3genE0ELNS1_11target_archE4294967295ELNS1_3gpuE0ELNS1_3repE0EEENS1_30default_config_static_selectorELNS0_4arch9wavefront6targetE1EEEvS17_ ; -- Begin function _ZN7rocprim17ROCPRIM_400000_NS6detail17trampoline_kernelINS0_14default_configENS1_22reduce_config_selectorIN6thrust23THRUST_200600_302600_NS5tupleIblNS6_9null_typeES8_S8_S8_S8_S8_S8_S8_EEEEZNS1_11reduce_implILb1ES3_NS6_12zip_iteratorINS7_INS6_11hip_rocprim26transform_input_iterator_tIbPiNS6_6detail10functional5actorINSH_9compositeIJNSH_27transparent_binary_operatorINS6_8equal_toIvEEEENSI_INSH_8argumentILj0EEEEENSH_5valueIiEEEEEEEEENSD_19counting_iterator_tIlEES8_S8_S8_S8_S8_S8_S8_S8_EEEEPS9_S9_NSD_9__find_if7functorIS9_EEEE10hipError_tPvRmT1_T2_T3_mT4_P12ihipStream_tbEUlT_E1_NS1_11comp_targetILNS1_3genE0ELNS1_11target_archE4294967295ELNS1_3gpuE0ELNS1_3repE0EEENS1_30default_config_static_selectorELNS0_4arch9wavefront6targetE1EEEvS17_
	.globl	_ZN7rocprim17ROCPRIM_400000_NS6detail17trampoline_kernelINS0_14default_configENS1_22reduce_config_selectorIN6thrust23THRUST_200600_302600_NS5tupleIblNS6_9null_typeES8_S8_S8_S8_S8_S8_S8_EEEEZNS1_11reduce_implILb1ES3_NS6_12zip_iteratorINS7_INS6_11hip_rocprim26transform_input_iterator_tIbPiNS6_6detail10functional5actorINSH_9compositeIJNSH_27transparent_binary_operatorINS6_8equal_toIvEEEENSI_INSH_8argumentILj0EEEEENSH_5valueIiEEEEEEEEENSD_19counting_iterator_tIlEES8_S8_S8_S8_S8_S8_S8_S8_EEEEPS9_S9_NSD_9__find_if7functorIS9_EEEE10hipError_tPvRmT1_T2_T3_mT4_P12ihipStream_tbEUlT_E1_NS1_11comp_targetILNS1_3genE0ELNS1_11target_archE4294967295ELNS1_3gpuE0ELNS1_3repE0EEENS1_30default_config_static_selectorELNS0_4arch9wavefront6targetE1EEEvS17_
	.p2align	8
	.type	_ZN7rocprim17ROCPRIM_400000_NS6detail17trampoline_kernelINS0_14default_configENS1_22reduce_config_selectorIN6thrust23THRUST_200600_302600_NS5tupleIblNS6_9null_typeES8_S8_S8_S8_S8_S8_S8_EEEEZNS1_11reduce_implILb1ES3_NS6_12zip_iteratorINS7_INS6_11hip_rocprim26transform_input_iterator_tIbPiNS6_6detail10functional5actorINSH_9compositeIJNSH_27transparent_binary_operatorINS6_8equal_toIvEEEENSI_INSH_8argumentILj0EEEEENSH_5valueIiEEEEEEEEENSD_19counting_iterator_tIlEES8_S8_S8_S8_S8_S8_S8_S8_EEEEPS9_S9_NSD_9__find_if7functorIS9_EEEE10hipError_tPvRmT1_T2_T3_mT4_P12ihipStream_tbEUlT_E1_NS1_11comp_targetILNS1_3genE0ELNS1_11target_archE4294967295ELNS1_3gpuE0ELNS1_3repE0EEENS1_30default_config_static_selectorELNS0_4arch9wavefront6targetE1EEEvS17_,@function
_ZN7rocprim17ROCPRIM_400000_NS6detail17trampoline_kernelINS0_14default_configENS1_22reduce_config_selectorIN6thrust23THRUST_200600_302600_NS5tupleIblNS6_9null_typeES8_S8_S8_S8_S8_S8_S8_EEEEZNS1_11reduce_implILb1ES3_NS6_12zip_iteratorINS7_INS6_11hip_rocprim26transform_input_iterator_tIbPiNS6_6detail10functional5actorINSH_9compositeIJNSH_27transparent_binary_operatorINS6_8equal_toIvEEEENSI_INSH_8argumentILj0EEEEENSH_5valueIiEEEEEEEEENSD_19counting_iterator_tIlEES8_S8_S8_S8_S8_S8_S8_S8_EEEEPS9_S9_NSD_9__find_if7functorIS9_EEEE10hipError_tPvRmT1_T2_T3_mT4_P12ihipStream_tbEUlT_E1_NS1_11comp_targetILNS1_3genE0ELNS1_11target_archE4294967295ELNS1_3gpuE0ELNS1_3repE0EEENS1_30default_config_static_selectorELNS0_4arch9wavefront6targetE1EEEvS17_: ; @_ZN7rocprim17ROCPRIM_400000_NS6detail17trampoline_kernelINS0_14default_configENS1_22reduce_config_selectorIN6thrust23THRUST_200600_302600_NS5tupleIblNS6_9null_typeES8_S8_S8_S8_S8_S8_S8_EEEEZNS1_11reduce_implILb1ES3_NS6_12zip_iteratorINS7_INS6_11hip_rocprim26transform_input_iterator_tIbPiNS6_6detail10functional5actorINSH_9compositeIJNSH_27transparent_binary_operatorINS6_8equal_toIvEEEENSI_INSH_8argumentILj0EEEEENSH_5valueIiEEEEEEEEENSD_19counting_iterator_tIlEES8_S8_S8_S8_S8_S8_S8_S8_EEEEPS9_S9_NSD_9__find_if7functorIS9_EEEE10hipError_tPvRmT1_T2_T3_mT4_P12ihipStream_tbEUlT_E1_NS1_11comp_targetILNS1_3genE0ELNS1_11target_archE4294967295ELNS1_3gpuE0ELNS1_3repE0EEENS1_30default_config_static_selectorELNS0_4arch9wavefront6targetE1EEEvS17_
; %bb.0:
	.section	.rodata,"a",@progbits
	.p2align	6, 0x0
	.amdhsa_kernel _ZN7rocprim17ROCPRIM_400000_NS6detail17trampoline_kernelINS0_14default_configENS1_22reduce_config_selectorIN6thrust23THRUST_200600_302600_NS5tupleIblNS6_9null_typeES8_S8_S8_S8_S8_S8_S8_EEEEZNS1_11reduce_implILb1ES3_NS6_12zip_iteratorINS7_INS6_11hip_rocprim26transform_input_iterator_tIbPiNS6_6detail10functional5actorINSH_9compositeIJNSH_27transparent_binary_operatorINS6_8equal_toIvEEEENSI_INSH_8argumentILj0EEEEENSH_5valueIiEEEEEEEEENSD_19counting_iterator_tIlEES8_S8_S8_S8_S8_S8_S8_S8_EEEEPS9_S9_NSD_9__find_if7functorIS9_EEEE10hipError_tPvRmT1_T2_T3_mT4_P12ihipStream_tbEUlT_E1_NS1_11comp_targetILNS1_3genE0ELNS1_11target_archE4294967295ELNS1_3gpuE0ELNS1_3repE0EEENS1_30default_config_static_selectorELNS0_4arch9wavefront6targetE1EEEvS17_
		.amdhsa_group_segment_fixed_size 0
		.amdhsa_private_segment_fixed_size 0
		.amdhsa_kernarg_size 72
		.amdhsa_user_sgpr_count 6
		.amdhsa_user_sgpr_private_segment_buffer 1
		.amdhsa_user_sgpr_dispatch_ptr 0
		.amdhsa_user_sgpr_queue_ptr 0
		.amdhsa_user_sgpr_kernarg_segment_ptr 1
		.amdhsa_user_sgpr_dispatch_id 0
		.amdhsa_user_sgpr_flat_scratch_init 0
		.amdhsa_user_sgpr_kernarg_preload_length 0
		.amdhsa_user_sgpr_kernarg_preload_offset 0
		.amdhsa_user_sgpr_private_segment_size 0
		.amdhsa_uses_dynamic_stack 0
		.amdhsa_system_sgpr_private_segment_wavefront_offset 0
		.amdhsa_system_sgpr_workgroup_id_x 1
		.amdhsa_system_sgpr_workgroup_id_y 0
		.amdhsa_system_sgpr_workgroup_id_z 0
		.amdhsa_system_sgpr_workgroup_info 0
		.amdhsa_system_vgpr_workitem_id 0
		.amdhsa_next_free_vgpr 1
		.amdhsa_next_free_sgpr 0
		.amdhsa_accum_offset 4
		.amdhsa_reserve_vcc 0
		.amdhsa_reserve_flat_scratch 0
		.amdhsa_float_round_mode_32 0
		.amdhsa_float_round_mode_16_64 0
		.amdhsa_float_denorm_mode_32 3
		.amdhsa_float_denorm_mode_16_64 3
		.amdhsa_dx10_clamp 1
		.amdhsa_ieee_mode 1
		.amdhsa_fp16_overflow 0
		.amdhsa_tg_split 0
		.amdhsa_exception_fp_ieee_invalid_op 0
		.amdhsa_exception_fp_denorm_src 0
		.amdhsa_exception_fp_ieee_div_zero 0
		.amdhsa_exception_fp_ieee_overflow 0
		.amdhsa_exception_fp_ieee_underflow 0
		.amdhsa_exception_fp_ieee_inexact 0
		.amdhsa_exception_int_div_zero 0
	.end_amdhsa_kernel
	.section	.text._ZN7rocprim17ROCPRIM_400000_NS6detail17trampoline_kernelINS0_14default_configENS1_22reduce_config_selectorIN6thrust23THRUST_200600_302600_NS5tupleIblNS6_9null_typeES8_S8_S8_S8_S8_S8_S8_EEEEZNS1_11reduce_implILb1ES3_NS6_12zip_iteratorINS7_INS6_11hip_rocprim26transform_input_iterator_tIbPiNS6_6detail10functional5actorINSH_9compositeIJNSH_27transparent_binary_operatorINS6_8equal_toIvEEEENSI_INSH_8argumentILj0EEEEENSH_5valueIiEEEEEEEEENSD_19counting_iterator_tIlEES8_S8_S8_S8_S8_S8_S8_S8_EEEEPS9_S9_NSD_9__find_if7functorIS9_EEEE10hipError_tPvRmT1_T2_T3_mT4_P12ihipStream_tbEUlT_E1_NS1_11comp_targetILNS1_3genE0ELNS1_11target_archE4294967295ELNS1_3gpuE0ELNS1_3repE0EEENS1_30default_config_static_selectorELNS0_4arch9wavefront6targetE1EEEvS17_,"axG",@progbits,_ZN7rocprim17ROCPRIM_400000_NS6detail17trampoline_kernelINS0_14default_configENS1_22reduce_config_selectorIN6thrust23THRUST_200600_302600_NS5tupleIblNS6_9null_typeES8_S8_S8_S8_S8_S8_S8_EEEEZNS1_11reduce_implILb1ES3_NS6_12zip_iteratorINS7_INS6_11hip_rocprim26transform_input_iterator_tIbPiNS6_6detail10functional5actorINSH_9compositeIJNSH_27transparent_binary_operatorINS6_8equal_toIvEEEENSI_INSH_8argumentILj0EEEEENSH_5valueIiEEEEEEEEENSD_19counting_iterator_tIlEES8_S8_S8_S8_S8_S8_S8_S8_EEEEPS9_S9_NSD_9__find_if7functorIS9_EEEE10hipError_tPvRmT1_T2_T3_mT4_P12ihipStream_tbEUlT_E1_NS1_11comp_targetILNS1_3genE0ELNS1_11target_archE4294967295ELNS1_3gpuE0ELNS1_3repE0EEENS1_30default_config_static_selectorELNS0_4arch9wavefront6targetE1EEEvS17_,comdat
.Lfunc_end983:
	.size	_ZN7rocprim17ROCPRIM_400000_NS6detail17trampoline_kernelINS0_14default_configENS1_22reduce_config_selectorIN6thrust23THRUST_200600_302600_NS5tupleIblNS6_9null_typeES8_S8_S8_S8_S8_S8_S8_EEEEZNS1_11reduce_implILb1ES3_NS6_12zip_iteratorINS7_INS6_11hip_rocprim26transform_input_iterator_tIbPiNS6_6detail10functional5actorINSH_9compositeIJNSH_27transparent_binary_operatorINS6_8equal_toIvEEEENSI_INSH_8argumentILj0EEEEENSH_5valueIiEEEEEEEEENSD_19counting_iterator_tIlEES8_S8_S8_S8_S8_S8_S8_S8_EEEEPS9_S9_NSD_9__find_if7functorIS9_EEEE10hipError_tPvRmT1_T2_T3_mT4_P12ihipStream_tbEUlT_E1_NS1_11comp_targetILNS1_3genE0ELNS1_11target_archE4294967295ELNS1_3gpuE0ELNS1_3repE0EEENS1_30default_config_static_selectorELNS0_4arch9wavefront6targetE1EEEvS17_, .Lfunc_end983-_ZN7rocprim17ROCPRIM_400000_NS6detail17trampoline_kernelINS0_14default_configENS1_22reduce_config_selectorIN6thrust23THRUST_200600_302600_NS5tupleIblNS6_9null_typeES8_S8_S8_S8_S8_S8_S8_EEEEZNS1_11reduce_implILb1ES3_NS6_12zip_iteratorINS7_INS6_11hip_rocprim26transform_input_iterator_tIbPiNS6_6detail10functional5actorINSH_9compositeIJNSH_27transparent_binary_operatorINS6_8equal_toIvEEEENSI_INSH_8argumentILj0EEEEENSH_5valueIiEEEEEEEEENSD_19counting_iterator_tIlEES8_S8_S8_S8_S8_S8_S8_S8_EEEEPS9_S9_NSD_9__find_if7functorIS9_EEEE10hipError_tPvRmT1_T2_T3_mT4_P12ihipStream_tbEUlT_E1_NS1_11comp_targetILNS1_3genE0ELNS1_11target_archE4294967295ELNS1_3gpuE0ELNS1_3repE0EEENS1_30default_config_static_selectorELNS0_4arch9wavefront6targetE1EEEvS17_
                                        ; -- End function
	.section	.AMDGPU.csdata,"",@progbits
; Kernel info:
; codeLenInByte = 0
; NumSgprs: 4
; NumVgprs: 0
; NumAgprs: 0
; TotalNumVgprs: 0
; ScratchSize: 0
; MemoryBound: 0
; FloatMode: 240
; IeeeMode: 1
; LDSByteSize: 0 bytes/workgroup (compile time only)
; SGPRBlocks: 0
; VGPRBlocks: 0
; NumSGPRsForWavesPerEU: 4
; NumVGPRsForWavesPerEU: 1
; AccumOffset: 4
; Occupancy: 8
; WaveLimiterHint : 0
; COMPUTE_PGM_RSRC2:SCRATCH_EN: 0
; COMPUTE_PGM_RSRC2:USER_SGPR: 6
; COMPUTE_PGM_RSRC2:TRAP_HANDLER: 0
; COMPUTE_PGM_RSRC2:TGID_X_EN: 1
; COMPUTE_PGM_RSRC2:TGID_Y_EN: 0
; COMPUTE_PGM_RSRC2:TGID_Z_EN: 0
; COMPUTE_PGM_RSRC2:TIDIG_COMP_CNT: 0
; COMPUTE_PGM_RSRC3_GFX90A:ACCUM_OFFSET: 0
; COMPUTE_PGM_RSRC3_GFX90A:TG_SPLIT: 0
	.section	.text._ZN7rocprim17ROCPRIM_400000_NS6detail17trampoline_kernelINS0_14default_configENS1_22reduce_config_selectorIN6thrust23THRUST_200600_302600_NS5tupleIblNS6_9null_typeES8_S8_S8_S8_S8_S8_S8_EEEEZNS1_11reduce_implILb1ES3_NS6_12zip_iteratorINS7_INS6_11hip_rocprim26transform_input_iterator_tIbPiNS6_6detail10functional5actorINSH_9compositeIJNSH_27transparent_binary_operatorINS6_8equal_toIvEEEENSI_INSH_8argumentILj0EEEEENSH_5valueIiEEEEEEEEENSD_19counting_iterator_tIlEES8_S8_S8_S8_S8_S8_S8_S8_EEEEPS9_S9_NSD_9__find_if7functorIS9_EEEE10hipError_tPvRmT1_T2_T3_mT4_P12ihipStream_tbEUlT_E1_NS1_11comp_targetILNS1_3genE5ELNS1_11target_archE942ELNS1_3gpuE9ELNS1_3repE0EEENS1_30default_config_static_selectorELNS0_4arch9wavefront6targetE1EEEvS17_,"axG",@progbits,_ZN7rocprim17ROCPRIM_400000_NS6detail17trampoline_kernelINS0_14default_configENS1_22reduce_config_selectorIN6thrust23THRUST_200600_302600_NS5tupleIblNS6_9null_typeES8_S8_S8_S8_S8_S8_S8_EEEEZNS1_11reduce_implILb1ES3_NS6_12zip_iteratorINS7_INS6_11hip_rocprim26transform_input_iterator_tIbPiNS6_6detail10functional5actorINSH_9compositeIJNSH_27transparent_binary_operatorINS6_8equal_toIvEEEENSI_INSH_8argumentILj0EEEEENSH_5valueIiEEEEEEEEENSD_19counting_iterator_tIlEES8_S8_S8_S8_S8_S8_S8_S8_EEEEPS9_S9_NSD_9__find_if7functorIS9_EEEE10hipError_tPvRmT1_T2_T3_mT4_P12ihipStream_tbEUlT_E1_NS1_11comp_targetILNS1_3genE5ELNS1_11target_archE942ELNS1_3gpuE9ELNS1_3repE0EEENS1_30default_config_static_selectorELNS0_4arch9wavefront6targetE1EEEvS17_,comdat
	.protected	_ZN7rocprim17ROCPRIM_400000_NS6detail17trampoline_kernelINS0_14default_configENS1_22reduce_config_selectorIN6thrust23THRUST_200600_302600_NS5tupleIblNS6_9null_typeES8_S8_S8_S8_S8_S8_S8_EEEEZNS1_11reduce_implILb1ES3_NS6_12zip_iteratorINS7_INS6_11hip_rocprim26transform_input_iterator_tIbPiNS6_6detail10functional5actorINSH_9compositeIJNSH_27transparent_binary_operatorINS6_8equal_toIvEEEENSI_INSH_8argumentILj0EEEEENSH_5valueIiEEEEEEEEENSD_19counting_iterator_tIlEES8_S8_S8_S8_S8_S8_S8_S8_EEEEPS9_S9_NSD_9__find_if7functorIS9_EEEE10hipError_tPvRmT1_T2_T3_mT4_P12ihipStream_tbEUlT_E1_NS1_11comp_targetILNS1_3genE5ELNS1_11target_archE942ELNS1_3gpuE9ELNS1_3repE0EEENS1_30default_config_static_selectorELNS0_4arch9wavefront6targetE1EEEvS17_ ; -- Begin function _ZN7rocprim17ROCPRIM_400000_NS6detail17trampoline_kernelINS0_14default_configENS1_22reduce_config_selectorIN6thrust23THRUST_200600_302600_NS5tupleIblNS6_9null_typeES8_S8_S8_S8_S8_S8_S8_EEEEZNS1_11reduce_implILb1ES3_NS6_12zip_iteratorINS7_INS6_11hip_rocprim26transform_input_iterator_tIbPiNS6_6detail10functional5actorINSH_9compositeIJNSH_27transparent_binary_operatorINS6_8equal_toIvEEEENSI_INSH_8argumentILj0EEEEENSH_5valueIiEEEEEEEEENSD_19counting_iterator_tIlEES8_S8_S8_S8_S8_S8_S8_S8_EEEEPS9_S9_NSD_9__find_if7functorIS9_EEEE10hipError_tPvRmT1_T2_T3_mT4_P12ihipStream_tbEUlT_E1_NS1_11comp_targetILNS1_3genE5ELNS1_11target_archE942ELNS1_3gpuE9ELNS1_3repE0EEENS1_30default_config_static_selectorELNS0_4arch9wavefront6targetE1EEEvS17_
	.globl	_ZN7rocprim17ROCPRIM_400000_NS6detail17trampoline_kernelINS0_14default_configENS1_22reduce_config_selectorIN6thrust23THRUST_200600_302600_NS5tupleIblNS6_9null_typeES8_S8_S8_S8_S8_S8_S8_EEEEZNS1_11reduce_implILb1ES3_NS6_12zip_iteratorINS7_INS6_11hip_rocprim26transform_input_iterator_tIbPiNS6_6detail10functional5actorINSH_9compositeIJNSH_27transparent_binary_operatorINS6_8equal_toIvEEEENSI_INSH_8argumentILj0EEEEENSH_5valueIiEEEEEEEEENSD_19counting_iterator_tIlEES8_S8_S8_S8_S8_S8_S8_S8_EEEEPS9_S9_NSD_9__find_if7functorIS9_EEEE10hipError_tPvRmT1_T2_T3_mT4_P12ihipStream_tbEUlT_E1_NS1_11comp_targetILNS1_3genE5ELNS1_11target_archE942ELNS1_3gpuE9ELNS1_3repE0EEENS1_30default_config_static_selectorELNS0_4arch9wavefront6targetE1EEEvS17_
	.p2align	8
	.type	_ZN7rocprim17ROCPRIM_400000_NS6detail17trampoline_kernelINS0_14default_configENS1_22reduce_config_selectorIN6thrust23THRUST_200600_302600_NS5tupleIblNS6_9null_typeES8_S8_S8_S8_S8_S8_S8_EEEEZNS1_11reduce_implILb1ES3_NS6_12zip_iteratorINS7_INS6_11hip_rocprim26transform_input_iterator_tIbPiNS6_6detail10functional5actorINSH_9compositeIJNSH_27transparent_binary_operatorINS6_8equal_toIvEEEENSI_INSH_8argumentILj0EEEEENSH_5valueIiEEEEEEEEENSD_19counting_iterator_tIlEES8_S8_S8_S8_S8_S8_S8_S8_EEEEPS9_S9_NSD_9__find_if7functorIS9_EEEE10hipError_tPvRmT1_T2_T3_mT4_P12ihipStream_tbEUlT_E1_NS1_11comp_targetILNS1_3genE5ELNS1_11target_archE942ELNS1_3gpuE9ELNS1_3repE0EEENS1_30default_config_static_selectorELNS0_4arch9wavefront6targetE1EEEvS17_,@function
_ZN7rocprim17ROCPRIM_400000_NS6detail17trampoline_kernelINS0_14default_configENS1_22reduce_config_selectorIN6thrust23THRUST_200600_302600_NS5tupleIblNS6_9null_typeES8_S8_S8_S8_S8_S8_S8_EEEEZNS1_11reduce_implILb1ES3_NS6_12zip_iteratorINS7_INS6_11hip_rocprim26transform_input_iterator_tIbPiNS6_6detail10functional5actorINSH_9compositeIJNSH_27transparent_binary_operatorINS6_8equal_toIvEEEENSI_INSH_8argumentILj0EEEEENSH_5valueIiEEEEEEEEENSD_19counting_iterator_tIlEES8_S8_S8_S8_S8_S8_S8_S8_EEEEPS9_S9_NSD_9__find_if7functorIS9_EEEE10hipError_tPvRmT1_T2_T3_mT4_P12ihipStream_tbEUlT_E1_NS1_11comp_targetILNS1_3genE5ELNS1_11target_archE942ELNS1_3gpuE9ELNS1_3repE0EEENS1_30default_config_static_selectorELNS0_4arch9wavefront6targetE1EEEvS17_: ; @_ZN7rocprim17ROCPRIM_400000_NS6detail17trampoline_kernelINS0_14default_configENS1_22reduce_config_selectorIN6thrust23THRUST_200600_302600_NS5tupleIblNS6_9null_typeES8_S8_S8_S8_S8_S8_S8_EEEEZNS1_11reduce_implILb1ES3_NS6_12zip_iteratorINS7_INS6_11hip_rocprim26transform_input_iterator_tIbPiNS6_6detail10functional5actorINSH_9compositeIJNSH_27transparent_binary_operatorINS6_8equal_toIvEEEENSI_INSH_8argumentILj0EEEEENSH_5valueIiEEEEEEEEENSD_19counting_iterator_tIlEES8_S8_S8_S8_S8_S8_S8_S8_EEEEPS9_S9_NSD_9__find_if7functorIS9_EEEE10hipError_tPvRmT1_T2_T3_mT4_P12ihipStream_tbEUlT_E1_NS1_11comp_targetILNS1_3genE5ELNS1_11target_archE942ELNS1_3gpuE9ELNS1_3repE0EEENS1_30default_config_static_selectorELNS0_4arch9wavefront6targetE1EEEvS17_
; %bb.0:
	.section	.rodata,"a",@progbits
	.p2align	6, 0x0
	.amdhsa_kernel _ZN7rocprim17ROCPRIM_400000_NS6detail17trampoline_kernelINS0_14default_configENS1_22reduce_config_selectorIN6thrust23THRUST_200600_302600_NS5tupleIblNS6_9null_typeES8_S8_S8_S8_S8_S8_S8_EEEEZNS1_11reduce_implILb1ES3_NS6_12zip_iteratorINS7_INS6_11hip_rocprim26transform_input_iterator_tIbPiNS6_6detail10functional5actorINSH_9compositeIJNSH_27transparent_binary_operatorINS6_8equal_toIvEEEENSI_INSH_8argumentILj0EEEEENSH_5valueIiEEEEEEEEENSD_19counting_iterator_tIlEES8_S8_S8_S8_S8_S8_S8_S8_EEEEPS9_S9_NSD_9__find_if7functorIS9_EEEE10hipError_tPvRmT1_T2_T3_mT4_P12ihipStream_tbEUlT_E1_NS1_11comp_targetILNS1_3genE5ELNS1_11target_archE942ELNS1_3gpuE9ELNS1_3repE0EEENS1_30default_config_static_selectorELNS0_4arch9wavefront6targetE1EEEvS17_
		.amdhsa_group_segment_fixed_size 0
		.amdhsa_private_segment_fixed_size 0
		.amdhsa_kernarg_size 72
		.amdhsa_user_sgpr_count 6
		.amdhsa_user_sgpr_private_segment_buffer 1
		.amdhsa_user_sgpr_dispatch_ptr 0
		.amdhsa_user_sgpr_queue_ptr 0
		.amdhsa_user_sgpr_kernarg_segment_ptr 1
		.amdhsa_user_sgpr_dispatch_id 0
		.amdhsa_user_sgpr_flat_scratch_init 0
		.amdhsa_user_sgpr_kernarg_preload_length 0
		.amdhsa_user_sgpr_kernarg_preload_offset 0
		.amdhsa_user_sgpr_private_segment_size 0
		.amdhsa_uses_dynamic_stack 0
		.amdhsa_system_sgpr_private_segment_wavefront_offset 0
		.amdhsa_system_sgpr_workgroup_id_x 1
		.amdhsa_system_sgpr_workgroup_id_y 0
		.amdhsa_system_sgpr_workgroup_id_z 0
		.amdhsa_system_sgpr_workgroup_info 0
		.amdhsa_system_vgpr_workitem_id 0
		.amdhsa_next_free_vgpr 1
		.amdhsa_next_free_sgpr 0
		.amdhsa_accum_offset 4
		.amdhsa_reserve_vcc 0
		.amdhsa_reserve_flat_scratch 0
		.amdhsa_float_round_mode_32 0
		.amdhsa_float_round_mode_16_64 0
		.amdhsa_float_denorm_mode_32 3
		.amdhsa_float_denorm_mode_16_64 3
		.amdhsa_dx10_clamp 1
		.amdhsa_ieee_mode 1
		.amdhsa_fp16_overflow 0
		.amdhsa_tg_split 0
		.amdhsa_exception_fp_ieee_invalid_op 0
		.amdhsa_exception_fp_denorm_src 0
		.amdhsa_exception_fp_ieee_div_zero 0
		.amdhsa_exception_fp_ieee_overflow 0
		.amdhsa_exception_fp_ieee_underflow 0
		.amdhsa_exception_fp_ieee_inexact 0
		.amdhsa_exception_int_div_zero 0
	.end_amdhsa_kernel
	.section	.text._ZN7rocprim17ROCPRIM_400000_NS6detail17trampoline_kernelINS0_14default_configENS1_22reduce_config_selectorIN6thrust23THRUST_200600_302600_NS5tupleIblNS6_9null_typeES8_S8_S8_S8_S8_S8_S8_EEEEZNS1_11reduce_implILb1ES3_NS6_12zip_iteratorINS7_INS6_11hip_rocprim26transform_input_iterator_tIbPiNS6_6detail10functional5actorINSH_9compositeIJNSH_27transparent_binary_operatorINS6_8equal_toIvEEEENSI_INSH_8argumentILj0EEEEENSH_5valueIiEEEEEEEEENSD_19counting_iterator_tIlEES8_S8_S8_S8_S8_S8_S8_S8_EEEEPS9_S9_NSD_9__find_if7functorIS9_EEEE10hipError_tPvRmT1_T2_T3_mT4_P12ihipStream_tbEUlT_E1_NS1_11comp_targetILNS1_3genE5ELNS1_11target_archE942ELNS1_3gpuE9ELNS1_3repE0EEENS1_30default_config_static_selectorELNS0_4arch9wavefront6targetE1EEEvS17_,"axG",@progbits,_ZN7rocprim17ROCPRIM_400000_NS6detail17trampoline_kernelINS0_14default_configENS1_22reduce_config_selectorIN6thrust23THRUST_200600_302600_NS5tupleIblNS6_9null_typeES8_S8_S8_S8_S8_S8_S8_EEEEZNS1_11reduce_implILb1ES3_NS6_12zip_iteratorINS7_INS6_11hip_rocprim26transform_input_iterator_tIbPiNS6_6detail10functional5actorINSH_9compositeIJNSH_27transparent_binary_operatorINS6_8equal_toIvEEEENSI_INSH_8argumentILj0EEEEENSH_5valueIiEEEEEEEEENSD_19counting_iterator_tIlEES8_S8_S8_S8_S8_S8_S8_S8_EEEEPS9_S9_NSD_9__find_if7functorIS9_EEEE10hipError_tPvRmT1_T2_T3_mT4_P12ihipStream_tbEUlT_E1_NS1_11comp_targetILNS1_3genE5ELNS1_11target_archE942ELNS1_3gpuE9ELNS1_3repE0EEENS1_30default_config_static_selectorELNS0_4arch9wavefront6targetE1EEEvS17_,comdat
.Lfunc_end984:
	.size	_ZN7rocprim17ROCPRIM_400000_NS6detail17trampoline_kernelINS0_14default_configENS1_22reduce_config_selectorIN6thrust23THRUST_200600_302600_NS5tupleIblNS6_9null_typeES8_S8_S8_S8_S8_S8_S8_EEEEZNS1_11reduce_implILb1ES3_NS6_12zip_iteratorINS7_INS6_11hip_rocprim26transform_input_iterator_tIbPiNS6_6detail10functional5actorINSH_9compositeIJNSH_27transparent_binary_operatorINS6_8equal_toIvEEEENSI_INSH_8argumentILj0EEEEENSH_5valueIiEEEEEEEEENSD_19counting_iterator_tIlEES8_S8_S8_S8_S8_S8_S8_S8_EEEEPS9_S9_NSD_9__find_if7functorIS9_EEEE10hipError_tPvRmT1_T2_T3_mT4_P12ihipStream_tbEUlT_E1_NS1_11comp_targetILNS1_3genE5ELNS1_11target_archE942ELNS1_3gpuE9ELNS1_3repE0EEENS1_30default_config_static_selectorELNS0_4arch9wavefront6targetE1EEEvS17_, .Lfunc_end984-_ZN7rocprim17ROCPRIM_400000_NS6detail17trampoline_kernelINS0_14default_configENS1_22reduce_config_selectorIN6thrust23THRUST_200600_302600_NS5tupleIblNS6_9null_typeES8_S8_S8_S8_S8_S8_S8_EEEEZNS1_11reduce_implILb1ES3_NS6_12zip_iteratorINS7_INS6_11hip_rocprim26transform_input_iterator_tIbPiNS6_6detail10functional5actorINSH_9compositeIJNSH_27transparent_binary_operatorINS6_8equal_toIvEEEENSI_INSH_8argumentILj0EEEEENSH_5valueIiEEEEEEEEENSD_19counting_iterator_tIlEES8_S8_S8_S8_S8_S8_S8_S8_EEEEPS9_S9_NSD_9__find_if7functorIS9_EEEE10hipError_tPvRmT1_T2_T3_mT4_P12ihipStream_tbEUlT_E1_NS1_11comp_targetILNS1_3genE5ELNS1_11target_archE942ELNS1_3gpuE9ELNS1_3repE0EEENS1_30default_config_static_selectorELNS0_4arch9wavefront6targetE1EEEvS17_
                                        ; -- End function
	.section	.AMDGPU.csdata,"",@progbits
; Kernel info:
; codeLenInByte = 0
; NumSgprs: 4
; NumVgprs: 0
; NumAgprs: 0
; TotalNumVgprs: 0
; ScratchSize: 0
; MemoryBound: 0
; FloatMode: 240
; IeeeMode: 1
; LDSByteSize: 0 bytes/workgroup (compile time only)
; SGPRBlocks: 0
; VGPRBlocks: 0
; NumSGPRsForWavesPerEU: 4
; NumVGPRsForWavesPerEU: 1
; AccumOffset: 4
; Occupancy: 8
; WaveLimiterHint : 0
; COMPUTE_PGM_RSRC2:SCRATCH_EN: 0
; COMPUTE_PGM_RSRC2:USER_SGPR: 6
; COMPUTE_PGM_RSRC2:TRAP_HANDLER: 0
; COMPUTE_PGM_RSRC2:TGID_X_EN: 1
; COMPUTE_PGM_RSRC2:TGID_Y_EN: 0
; COMPUTE_PGM_RSRC2:TGID_Z_EN: 0
; COMPUTE_PGM_RSRC2:TIDIG_COMP_CNT: 0
; COMPUTE_PGM_RSRC3_GFX90A:ACCUM_OFFSET: 0
; COMPUTE_PGM_RSRC3_GFX90A:TG_SPLIT: 0
	.section	.text._ZN7rocprim17ROCPRIM_400000_NS6detail17trampoline_kernelINS0_14default_configENS1_22reduce_config_selectorIN6thrust23THRUST_200600_302600_NS5tupleIblNS6_9null_typeES8_S8_S8_S8_S8_S8_S8_EEEEZNS1_11reduce_implILb1ES3_NS6_12zip_iteratorINS7_INS6_11hip_rocprim26transform_input_iterator_tIbPiNS6_6detail10functional5actorINSH_9compositeIJNSH_27transparent_binary_operatorINS6_8equal_toIvEEEENSI_INSH_8argumentILj0EEEEENSH_5valueIiEEEEEEEEENSD_19counting_iterator_tIlEES8_S8_S8_S8_S8_S8_S8_S8_EEEEPS9_S9_NSD_9__find_if7functorIS9_EEEE10hipError_tPvRmT1_T2_T3_mT4_P12ihipStream_tbEUlT_E1_NS1_11comp_targetILNS1_3genE4ELNS1_11target_archE910ELNS1_3gpuE8ELNS1_3repE0EEENS1_30default_config_static_selectorELNS0_4arch9wavefront6targetE1EEEvS17_,"axG",@progbits,_ZN7rocprim17ROCPRIM_400000_NS6detail17trampoline_kernelINS0_14default_configENS1_22reduce_config_selectorIN6thrust23THRUST_200600_302600_NS5tupleIblNS6_9null_typeES8_S8_S8_S8_S8_S8_S8_EEEEZNS1_11reduce_implILb1ES3_NS6_12zip_iteratorINS7_INS6_11hip_rocprim26transform_input_iterator_tIbPiNS6_6detail10functional5actorINSH_9compositeIJNSH_27transparent_binary_operatorINS6_8equal_toIvEEEENSI_INSH_8argumentILj0EEEEENSH_5valueIiEEEEEEEEENSD_19counting_iterator_tIlEES8_S8_S8_S8_S8_S8_S8_S8_EEEEPS9_S9_NSD_9__find_if7functorIS9_EEEE10hipError_tPvRmT1_T2_T3_mT4_P12ihipStream_tbEUlT_E1_NS1_11comp_targetILNS1_3genE4ELNS1_11target_archE910ELNS1_3gpuE8ELNS1_3repE0EEENS1_30default_config_static_selectorELNS0_4arch9wavefront6targetE1EEEvS17_,comdat
	.protected	_ZN7rocprim17ROCPRIM_400000_NS6detail17trampoline_kernelINS0_14default_configENS1_22reduce_config_selectorIN6thrust23THRUST_200600_302600_NS5tupleIblNS6_9null_typeES8_S8_S8_S8_S8_S8_S8_EEEEZNS1_11reduce_implILb1ES3_NS6_12zip_iteratorINS7_INS6_11hip_rocprim26transform_input_iterator_tIbPiNS6_6detail10functional5actorINSH_9compositeIJNSH_27transparent_binary_operatorINS6_8equal_toIvEEEENSI_INSH_8argumentILj0EEEEENSH_5valueIiEEEEEEEEENSD_19counting_iterator_tIlEES8_S8_S8_S8_S8_S8_S8_S8_EEEEPS9_S9_NSD_9__find_if7functorIS9_EEEE10hipError_tPvRmT1_T2_T3_mT4_P12ihipStream_tbEUlT_E1_NS1_11comp_targetILNS1_3genE4ELNS1_11target_archE910ELNS1_3gpuE8ELNS1_3repE0EEENS1_30default_config_static_selectorELNS0_4arch9wavefront6targetE1EEEvS17_ ; -- Begin function _ZN7rocprim17ROCPRIM_400000_NS6detail17trampoline_kernelINS0_14default_configENS1_22reduce_config_selectorIN6thrust23THRUST_200600_302600_NS5tupleIblNS6_9null_typeES8_S8_S8_S8_S8_S8_S8_EEEEZNS1_11reduce_implILb1ES3_NS6_12zip_iteratorINS7_INS6_11hip_rocprim26transform_input_iterator_tIbPiNS6_6detail10functional5actorINSH_9compositeIJNSH_27transparent_binary_operatorINS6_8equal_toIvEEEENSI_INSH_8argumentILj0EEEEENSH_5valueIiEEEEEEEEENSD_19counting_iterator_tIlEES8_S8_S8_S8_S8_S8_S8_S8_EEEEPS9_S9_NSD_9__find_if7functorIS9_EEEE10hipError_tPvRmT1_T2_T3_mT4_P12ihipStream_tbEUlT_E1_NS1_11comp_targetILNS1_3genE4ELNS1_11target_archE910ELNS1_3gpuE8ELNS1_3repE0EEENS1_30default_config_static_selectorELNS0_4arch9wavefront6targetE1EEEvS17_
	.globl	_ZN7rocprim17ROCPRIM_400000_NS6detail17trampoline_kernelINS0_14default_configENS1_22reduce_config_selectorIN6thrust23THRUST_200600_302600_NS5tupleIblNS6_9null_typeES8_S8_S8_S8_S8_S8_S8_EEEEZNS1_11reduce_implILb1ES3_NS6_12zip_iteratorINS7_INS6_11hip_rocprim26transform_input_iterator_tIbPiNS6_6detail10functional5actorINSH_9compositeIJNSH_27transparent_binary_operatorINS6_8equal_toIvEEEENSI_INSH_8argumentILj0EEEEENSH_5valueIiEEEEEEEEENSD_19counting_iterator_tIlEES8_S8_S8_S8_S8_S8_S8_S8_EEEEPS9_S9_NSD_9__find_if7functorIS9_EEEE10hipError_tPvRmT1_T2_T3_mT4_P12ihipStream_tbEUlT_E1_NS1_11comp_targetILNS1_3genE4ELNS1_11target_archE910ELNS1_3gpuE8ELNS1_3repE0EEENS1_30default_config_static_selectorELNS0_4arch9wavefront6targetE1EEEvS17_
	.p2align	8
	.type	_ZN7rocprim17ROCPRIM_400000_NS6detail17trampoline_kernelINS0_14default_configENS1_22reduce_config_selectorIN6thrust23THRUST_200600_302600_NS5tupleIblNS6_9null_typeES8_S8_S8_S8_S8_S8_S8_EEEEZNS1_11reduce_implILb1ES3_NS6_12zip_iteratorINS7_INS6_11hip_rocprim26transform_input_iterator_tIbPiNS6_6detail10functional5actorINSH_9compositeIJNSH_27transparent_binary_operatorINS6_8equal_toIvEEEENSI_INSH_8argumentILj0EEEEENSH_5valueIiEEEEEEEEENSD_19counting_iterator_tIlEES8_S8_S8_S8_S8_S8_S8_S8_EEEEPS9_S9_NSD_9__find_if7functorIS9_EEEE10hipError_tPvRmT1_T2_T3_mT4_P12ihipStream_tbEUlT_E1_NS1_11comp_targetILNS1_3genE4ELNS1_11target_archE910ELNS1_3gpuE8ELNS1_3repE0EEENS1_30default_config_static_selectorELNS0_4arch9wavefront6targetE1EEEvS17_,@function
_ZN7rocprim17ROCPRIM_400000_NS6detail17trampoline_kernelINS0_14default_configENS1_22reduce_config_selectorIN6thrust23THRUST_200600_302600_NS5tupleIblNS6_9null_typeES8_S8_S8_S8_S8_S8_S8_EEEEZNS1_11reduce_implILb1ES3_NS6_12zip_iteratorINS7_INS6_11hip_rocprim26transform_input_iterator_tIbPiNS6_6detail10functional5actorINSH_9compositeIJNSH_27transparent_binary_operatorINS6_8equal_toIvEEEENSI_INSH_8argumentILj0EEEEENSH_5valueIiEEEEEEEEENSD_19counting_iterator_tIlEES8_S8_S8_S8_S8_S8_S8_S8_EEEEPS9_S9_NSD_9__find_if7functorIS9_EEEE10hipError_tPvRmT1_T2_T3_mT4_P12ihipStream_tbEUlT_E1_NS1_11comp_targetILNS1_3genE4ELNS1_11target_archE910ELNS1_3gpuE8ELNS1_3repE0EEENS1_30default_config_static_selectorELNS0_4arch9wavefront6targetE1EEEvS17_: ; @_ZN7rocprim17ROCPRIM_400000_NS6detail17trampoline_kernelINS0_14default_configENS1_22reduce_config_selectorIN6thrust23THRUST_200600_302600_NS5tupleIblNS6_9null_typeES8_S8_S8_S8_S8_S8_S8_EEEEZNS1_11reduce_implILb1ES3_NS6_12zip_iteratorINS7_INS6_11hip_rocprim26transform_input_iterator_tIbPiNS6_6detail10functional5actorINSH_9compositeIJNSH_27transparent_binary_operatorINS6_8equal_toIvEEEENSI_INSH_8argumentILj0EEEEENSH_5valueIiEEEEEEEEENSD_19counting_iterator_tIlEES8_S8_S8_S8_S8_S8_S8_S8_EEEEPS9_S9_NSD_9__find_if7functorIS9_EEEE10hipError_tPvRmT1_T2_T3_mT4_P12ihipStream_tbEUlT_E1_NS1_11comp_targetILNS1_3genE4ELNS1_11target_archE910ELNS1_3gpuE8ELNS1_3repE0EEENS1_30default_config_static_selectorELNS0_4arch9wavefront6targetE1EEEvS17_
; %bb.0:
	s_load_dword s33, s[4:5], 0x4
	s_load_dwordx2 s[24:25], s[4:5], 0x8
	s_load_dword s31, s[4:5], 0x14
	s_load_dwordx4 s[20:23], s[4:5], 0x18
	s_load_dword s30, s[4:5], 0x30
	s_load_dwordx2 s[18:19], s[4:5], 0x38
	s_waitcnt lgkmcnt(0)
	s_cmp_lt_i32 s33, 4
	s_cbranch_scc1 .LBB985_21
; %bb.1:
	s_cmp_gt_i32 s33, 7
	s_cbranch_scc0 .LBB985_22
; %bb.2:
	s_cmp_eq_u32 s33, 8
	s_mov_b64 s[26:27], 0
	s_cbranch_scc0 .LBB985_23
; %bb.3:
	s_mov_b32 s7, 0
	s_lshl_b32 s12, s6, 11
	s_mov_b32 s13, s7
	s_lshr_b64 s[0:1], s[22:23], 11
	s_lshl_b64 s[2:3], s[12:13], 2
	s_add_u32 s16, s24, s2
	s_addc_u32 s17, s25, s3
	s_add_u32 s34, s20, s12
	s_addc_u32 s35, s21, 0
	s_cmp_lg_u64 s[0:1], s[6:7]
	s_cbranch_scc0 .LBB985_44
; %bb.4:
	v_lshlrev_b32_e32 v1, 2, v0
	v_mov_b32_e32 v2, s17
	global_load_dword v4, v1, s[16:17]
	global_load_dword v5, v1, s[16:17] offset:1024
	global_load_dword v6, v1, s[16:17] offset:2048
	;; [unrolled: 1-line block ×3, first 2 shown]
	v_add_co_u32_e32 v1, vcc, s16, v1
	v_addc_co_u32_e32 v3, vcc, 0, v2, vcc
	v_add_co_u32_e32 v2, vcc, 0x1000, v1
	v_addc_co_u32_e32 v3, vcc, 0, v3, vcc
	global_load_dword v1, v[2:3], off
	global_load_dword v8, v[2:3], off offset:2048
	global_load_dword v9, v[2:3], off offset:3072
	global_load_dword v10, v[2:3], off offset:1024
	v_mov_b32_e32 v2, s35
	v_add_co_u32_e32 v17, vcc, s34, v0
	v_mov_b32_e32 v3, 0x200
	v_mov_b32_e32 v11, 0x100
	v_addc_co_u32_e32 v18, vcc, 0, v2, vcc
	v_mov_b32_e32 v12, 0x400
	v_mov_b32_e32 v13, 0x300
	;; [unrolled: 1-line block ×5, first 2 shown]
	s_waitcnt vmcnt(7)
	v_cmp_eq_u32_e64 s[8:9], s31, v4
	s_waitcnt vmcnt(6)
	v_cmp_eq_u32_e64 s[0:1], s31, v5
	s_waitcnt vmcnt(5)
	v_cmp_eq_u32_e32 vcc, s31, v6
	v_cndmask_b32_e64 v2, v3, v11, s[0:1]
	s_waitcnt vmcnt(4)
	v_cmp_eq_u32_e64 s[2:3], s31, v7
	s_or_b64 s[0:1], s[8:9], s[0:1]
	v_cndmask_b32_e64 v3, v12, v13, s[2:3]
	v_cndmask_b32_e64 v2, v2, 0, s[8:9]
	s_or_b64 vcc, s[0:1], vcc
	v_cndmask_b32_e32 v2, v3, v2, vcc
	s_waitcnt vmcnt(3)
	v_cmp_eq_u32_e64 s[0:1], s31, v1
	s_or_b64 s[2:3], vcc, s[2:3]
	s_waitcnt vmcnt(0)
	v_cmp_eq_u32_e32 vcc, s31, v10
	v_cndmask_b32_e32 v1, v14, v15, vcc
	s_or_b64 s[0:1], s[2:3], s[0:1]
	v_cmp_eq_u32_e64 s[8:9], s31, v8
	v_cndmask_b32_e64 v1, v1, v2, s[0:1]
	s_or_b64 s[0:1], s[0:1], vcc
	s_or_b64 vcc, s[0:1], s[8:9]
	v_cndmask_b32_e32 v1, v16, v1, vcc
	v_add_co_u32_e64 v2, s[0:1], v17, v1
	v_cmp_eq_u32_e64 s[10:11], s31, v9
	v_addc_co_u32_e64 v3, s[0:1], 0, v18, s[0:1]
	s_or_b64 s[0:1], vcc, s[10:11]
	v_cndmask_b32_e64 v1, 0, 1, s[0:1]
	v_mov_b32_dpp v4, v2 quad_perm:[1,0,3,2] row_mask:0xf bank_mask:0xf bound_ctrl:1
	v_mov_b32_dpp v5, v3 quad_perm:[1,0,3,2] row_mask:0xf bank_mask:0xf bound_ctrl:1
	;; [unrolled: 1-line block ×3, first 2 shown]
	v_and_b32_e32 v7, 1, v6
	v_cmp_eq_u32_e32 vcc, 1, v7
	s_and_saveexec_b64 s[2:3], vcc
; %bb.5:
	v_cmp_lt_i64_e32 vcc, v[2:3], v[4:5]
	v_cndmask_b32_e64 v6, v6, 1, s[0:1]
	s_and_b64 vcc, s[0:1], vcc
	v_cndmask_b32_e32 v2, v4, v2, vcc
	v_and_b32_e32 v4, 1, v6
	v_cndmask_b32_e32 v3, v5, v3, vcc
	v_cmp_eq_u32_e32 vcc, 1, v4
	s_andn2_b64 s[0:1], s[0:1], exec
	s_and_b64 s[8:9], vcc, exec
	v_and_b32_e32 v1, 0xff, v6
	s_or_b64 s[0:1], s[0:1], s[8:9]
; %bb.6:
	s_or_b64 exec, exec, s[2:3]
	v_mov_b32_dpp v6, v1 quad_perm:[2,3,0,1] row_mask:0xf bank_mask:0xf bound_ctrl:1
	v_and_b32_e32 v7, 1, v6
	v_mov_b32_dpp v4, v2 quad_perm:[2,3,0,1] row_mask:0xf bank_mask:0xf bound_ctrl:1
	v_mov_b32_dpp v5, v3 quad_perm:[2,3,0,1] row_mask:0xf bank_mask:0xf bound_ctrl:1
	v_cmp_eq_u32_e32 vcc, 1, v7
	s_and_saveexec_b64 s[2:3], vcc
; %bb.7:
	v_cmp_lt_i64_e32 vcc, v[2:3], v[4:5]
	v_cndmask_b32_e64 v6, v6, 1, s[0:1]
	s_and_b64 vcc, s[0:1], vcc
	v_cndmask_b32_e32 v2, v4, v2, vcc
	v_and_b32_e32 v4, 1, v6
	v_cndmask_b32_e32 v3, v5, v3, vcc
	v_cmp_eq_u32_e32 vcc, 1, v4
	s_andn2_b64 s[0:1], s[0:1], exec
	s_and_b64 s[8:9], vcc, exec
	v_and_b32_e32 v1, 0xff, v6
	s_or_b64 s[0:1], s[0:1], s[8:9]
; %bb.8:
	s_or_b64 exec, exec, s[2:3]
	v_mov_b32_dpp v6, v1 row_ror:4 row_mask:0xf bank_mask:0xf bound_ctrl:1
	v_and_b32_e32 v7, 1, v6
	v_mov_b32_dpp v4, v2 row_ror:4 row_mask:0xf bank_mask:0xf bound_ctrl:1
	v_mov_b32_dpp v5, v3 row_ror:4 row_mask:0xf bank_mask:0xf bound_ctrl:1
	v_cmp_eq_u32_e32 vcc, 1, v7
	s_and_saveexec_b64 s[2:3], vcc
; %bb.9:
	v_cmp_lt_i64_e32 vcc, v[2:3], v[4:5]
	v_cndmask_b32_e64 v6, v6, 1, s[0:1]
	s_and_b64 vcc, s[0:1], vcc
	v_cndmask_b32_e32 v2, v4, v2, vcc
	v_and_b32_e32 v4, 1, v6
	v_cndmask_b32_e32 v3, v5, v3, vcc
	v_cmp_eq_u32_e32 vcc, 1, v4
	s_andn2_b64 s[0:1], s[0:1], exec
	s_and_b64 s[8:9], vcc, exec
	v_and_b32_e32 v1, 0xff, v6
	s_or_b64 s[0:1], s[0:1], s[8:9]
; %bb.10:
	s_or_b64 exec, exec, s[2:3]
	v_mov_b32_dpp v6, v1 row_ror:8 row_mask:0xf bank_mask:0xf bound_ctrl:1
	v_and_b32_e32 v7, 1, v6
	v_mov_b32_dpp v4, v2 row_ror:8 row_mask:0xf bank_mask:0xf bound_ctrl:1
	v_mov_b32_dpp v5, v3 row_ror:8 row_mask:0xf bank_mask:0xf bound_ctrl:1
	v_cmp_eq_u32_e32 vcc, 1, v7
	s_and_saveexec_b64 s[2:3], vcc
; %bb.11:
	v_cmp_lt_i64_e32 vcc, v[2:3], v[4:5]
	v_cndmask_b32_e64 v6, v6, 1, s[0:1]
	s_and_b64 vcc, s[0:1], vcc
	v_cndmask_b32_e32 v2, v4, v2, vcc
	v_and_b32_e32 v4, 1, v6
	v_cndmask_b32_e32 v3, v5, v3, vcc
	v_cmp_eq_u32_e32 vcc, 1, v4
	s_andn2_b64 s[0:1], s[0:1], exec
	s_and_b64 s[8:9], vcc, exec
	v_and_b32_e32 v1, 0xff, v6
	s_or_b64 s[0:1], s[0:1], s[8:9]
; %bb.12:
	s_or_b64 exec, exec, s[2:3]
	v_mov_b32_dpp v6, v1 row_bcast:15 row_mask:0xf bank_mask:0xf bound_ctrl:1
	v_and_b32_e32 v7, 1, v6
	v_mov_b32_dpp v4, v2 row_bcast:15 row_mask:0xf bank_mask:0xf bound_ctrl:1
	v_mov_b32_dpp v5, v3 row_bcast:15 row_mask:0xf bank_mask:0xf bound_ctrl:1
	v_cmp_eq_u32_e32 vcc, 1, v7
	s_and_saveexec_b64 s[2:3], vcc
; %bb.13:
	v_cmp_lt_i64_e32 vcc, v[2:3], v[4:5]
	v_cndmask_b32_e64 v6, v6, 1, s[0:1]
	s_and_b64 vcc, s[0:1], vcc
	v_cndmask_b32_e32 v2, v4, v2, vcc
	v_and_b32_e32 v4, 1, v6
	v_cndmask_b32_e32 v3, v5, v3, vcc
	v_cmp_eq_u32_e32 vcc, 1, v4
	s_andn2_b64 s[0:1], s[0:1], exec
	s_and_b64 s[8:9], vcc, exec
	v_and_b32_e32 v1, 0xff, v6
	s_or_b64 s[0:1], s[0:1], s[8:9]
; %bb.14:
	s_or_b64 exec, exec, s[2:3]
	v_mov_b32_dpp v6, v1 row_bcast:31 row_mask:0xf bank_mask:0xf bound_ctrl:1
	v_and_b32_e32 v7, 1, v6
	v_mov_b32_dpp v4, v2 row_bcast:31 row_mask:0xf bank_mask:0xf bound_ctrl:1
	v_mov_b32_dpp v5, v3 row_bcast:31 row_mask:0xf bank_mask:0xf bound_ctrl:1
	v_cmp_eq_u32_e32 vcc, 1, v7
	s_and_saveexec_b64 s[2:3], vcc
; %bb.15:
	v_cmp_lt_i64_e32 vcc, v[2:3], v[4:5]
	v_and_b32_e32 v1, 0xff, v6
	s_and_b64 vcc, s[0:1], vcc
	v_cndmask_b32_e32 v2, v4, v2, vcc
	v_cndmask_b32_e32 v3, v5, v3, vcc
	v_cndmask_b32_e64 v1, v1, 1, s[0:1]
; %bb.16:
	s_or_b64 exec, exec, s[2:3]
	v_mbcnt_lo_u32_b32 v4, -1, 0
	v_mbcnt_hi_u32_b32 v4, -1, v4
	v_bfrev_b32_e32 v5, 0.5
	v_lshl_or_b32 v5, v4, 2, v5
	ds_bpermute_b32 v7, v5, v1
	ds_bpermute_b32 v2, v5, v2
	;; [unrolled: 1-line block ×3, first 2 shown]
	v_cmp_eq_u32_e32 vcc, 0, v4
	s_and_saveexec_b64 s[0:1], vcc
	s_cbranch_execz .LBB985_18
; %bb.17:
	v_lshrrev_b32_e32 v1, 2, v0
	v_and_b32_e32 v1, 48, v1
	s_waitcnt lgkmcnt(2)
	ds_write_b8 v1, v7 offset:192
	s_waitcnt lgkmcnt(1)
	ds_write_b64 v1, v[2:3] offset:200
.LBB985_18:
	s_or_b64 exec, exec, s[0:1]
	v_cmp_gt_u32_e32 vcc, 64, v0
	s_waitcnt lgkmcnt(0)
	s_barrier
	s_and_saveexec_b64 s[2:3], vcc
	s_cbranch_execz .LBB985_20
; %bb.19:
	v_and_b32_e32 v1, 3, v4
	v_lshlrev_b32_e32 v2, 4, v1
	ds_read_u8 v5, v2 offset:192
	ds_read_b64 v[2:3], v2 offset:200
	v_cmp_ne_u32_e32 vcc, 3, v1
	v_addc_co_u32_e32 v6, vcc, 0, v4, vcc
	s_waitcnt lgkmcnt(1)
	v_and_b32_e32 v7, 0xff, v5
	v_lshlrev_b32_e32 v8, 2, v6
	ds_bpermute_b32 v9, v8, v7
	s_waitcnt lgkmcnt(1)
	ds_bpermute_b32 v6, v8, v2
	ds_bpermute_b32 v7, v8, v3
	v_and_b32_e32 v8, 1, v5
	s_waitcnt lgkmcnt(2)
	v_and_b32_e32 v10, 1, v9
	v_cmp_eq_u32_e64 s[0:1], 1, v10
	s_waitcnt lgkmcnt(0)
	v_cmp_lt_i64_e32 vcc, v[6:7], v[2:3]
	s_and_b64 vcc, s[0:1], vcc
	v_cndmask_b32_e64 v5, v5, 1, s[0:1]
	v_cndmask_b32_e32 v2, v2, v6, vcc
	v_cndmask_b32_e32 v3, v3, v7, vcc
	v_cmp_eq_u32_e32 vcc, 1, v8
	v_cndmask_b32_e32 v8, v9, v5, vcc
	v_cndmask_b32_e32 v3, v7, v3, vcc
	;; [unrolled: 1-line block ×3, first 2 shown]
	v_cmp_gt_u32_e32 vcc, 2, v1
	v_cndmask_b32_e64 v1, 0, 1, vcc
	v_lshlrev_b32_e32 v1, 1, v1
	v_and_b32_e32 v5, 0xff, v8
	v_add_lshl_u32 v1, v1, v4, 2
	ds_bpermute_b32 v6, v1, v5
	ds_bpermute_b32 v4, v1, v2
	ds_bpermute_b32 v5, v1, v3
	v_and_b32_e32 v1, 1, v8
	s_waitcnt lgkmcnt(2)
	v_and_b32_e32 v7, 1, v6
	v_cmp_eq_u32_e64 s[0:1], 1, v7
	s_waitcnt lgkmcnt(0)
	v_cmp_lt_i64_e32 vcc, v[4:5], v[2:3]
	s_and_b64 vcc, s[0:1], vcc
	v_cndmask_b32_e64 v7, v8, 1, s[0:1]
	v_cndmask_b32_e32 v2, v2, v4, vcc
	v_cndmask_b32_e32 v3, v3, v5, vcc
	v_cmp_eq_u32_e32 vcc, 1, v1
	v_cndmask_b32_e32 v1, v6, v7, vcc
	v_cndmask_b32_e32 v3, v5, v3, vcc
	;; [unrolled: 1-line block ×3, first 2 shown]
	v_and_b32_e32 v7, 0xff, v1
.LBB985_20:
	s_or_b64 exec, exec, s[2:3]
	s_branch .LBB985_89
.LBB985_21:
	s_mov_b64 s[10:11], 0
                                        ; implicit-def: $vgpr4_vgpr5
                                        ; implicit-def: $vgpr1
	s_cbranch_execnz .LBB985_133
	s_branch .LBB985_208
.LBB985_22:
	s_mov_b64 s[26:27], -1
.LBB985_23:
	s_mov_b64 s[10:11], 0
                                        ; implicit-def: $vgpr4_vgpr5
                                        ; implicit-def: $vgpr1
	s_and_b64 vcc, exec, s[26:27]
	s_cbranch_vccz .LBB985_94
.LBB985_24:
	s_cmp_eq_u32 s33, 4
	s_cbranch_scc0 .LBB985_43
; %bb.25:
	s_mov_b32 s7, 0
	s_lshl_b32 s14, s6, 10
	s_mov_b32 s15, s7
	s_lshr_b64 s[0:1], s[22:23], 10
	s_lshl_b64 s[2:3], s[14:15], 2
	s_add_u32 s12, s24, s2
	s_addc_u32 s13, s25, s3
	s_add_u32 s16, s20, s14
	s_addc_u32 s17, s21, 0
	s_cmp_lg_u64 s[0:1], s[6:7]
	s_cbranch_scc0 .LBB985_95
; %bb.26:
	v_lshlrev_b32_e32 v1, 2, v0
	global_load_dword v2, v1, s[12:13] offset:2048
	global_load_dword v3, v1, s[12:13] offset:3072
	s_waitcnt lgkmcnt(1)
	global_load_dword v4, v1, s[12:13] offset:1024
	s_waitcnt lgkmcnt(0)
	global_load_dword v5, v1, s[12:13]
	v_mov_b32_e32 v1, s17
	v_add_co_u32_e32 v9, vcc, s16, v0
	v_mov_b32_e32 v6, 0x200
	v_mov_b32_e32 v7, 0x100
	v_addc_co_u32_e32 v1, vcc, 0, v1, vcc
	v_mov_b32_e32 v8, 0x300
	s_waitcnt vmcnt(3)
	v_cmp_eq_u32_e32 vcc, s31, v2
	s_waitcnt vmcnt(2)
	v_cmp_eq_u32_e64 s[0:1], s31, v3
	s_waitcnt vmcnt(1)
	v_cmp_eq_u32_e64 s[2:3], s31, v4
	;; [unrolled: 2-line block ×3, first 2 shown]
	v_cndmask_b32_e64 v2, v6, v7, s[2:3]
	s_or_b64 s[2:3], s[8:9], s[2:3]
	v_cndmask_b32_e64 v2, v2, 0, s[8:9]
	s_or_b64 vcc, s[2:3], vcc
	v_cndmask_b32_e32 v2, v8, v2, vcc
	v_add_co_u32_e64 v2, s[2:3], v9, v2
	s_or_b64 s[0:1], vcc, s[0:1]
	v_addc_co_u32_e64 v3, s[2:3], 0, v1, s[2:3]
	v_cndmask_b32_e64 v1, 0, 1, s[0:1]
	v_mov_b32_dpp v4, v2 quad_perm:[1,0,3,2] row_mask:0xf bank_mask:0xf bound_ctrl:1
	v_mov_b32_dpp v5, v3 quad_perm:[1,0,3,2] row_mask:0xf bank_mask:0xf bound_ctrl:1
	;; [unrolled: 1-line block ×3, first 2 shown]
	v_and_b32_e32 v7, 1, v6
	v_cmp_eq_u32_e32 vcc, 1, v7
	s_and_saveexec_b64 s[2:3], vcc
; %bb.27:
	v_cmp_lt_i64_e32 vcc, v[2:3], v[4:5]
	v_cndmask_b32_e64 v6, v6, 1, s[0:1]
	s_and_b64 vcc, s[0:1], vcc
	v_cndmask_b32_e32 v2, v4, v2, vcc
	v_and_b32_e32 v4, 1, v6
	v_cndmask_b32_e32 v3, v5, v3, vcc
	v_cmp_eq_u32_e32 vcc, 1, v4
	s_andn2_b64 s[0:1], s[0:1], exec
	s_and_b64 s[8:9], vcc, exec
	v_and_b32_e32 v1, 0xff, v6
	s_or_b64 s[0:1], s[0:1], s[8:9]
; %bb.28:
	s_or_b64 exec, exec, s[2:3]
	v_mov_b32_dpp v6, v1 quad_perm:[2,3,0,1] row_mask:0xf bank_mask:0xf bound_ctrl:1
	v_and_b32_e32 v7, 1, v6
	v_mov_b32_dpp v4, v2 quad_perm:[2,3,0,1] row_mask:0xf bank_mask:0xf bound_ctrl:1
	v_mov_b32_dpp v5, v3 quad_perm:[2,3,0,1] row_mask:0xf bank_mask:0xf bound_ctrl:1
	v_cmp_eq_u32_e32 vcc, 1, v7
	s_and_saveexec_b64 s[2:3], vcc
; %bb.29:
	v_cmp_lt_i64_e32 vcc, v[2:3], v[4:5]
	v_cndmask_b32_e64 v6, v6, 1, s[0:1]
	s_and_b64 vcc, s[0:1], vcc
	v_cndmask_b32_e32 v2, v4, v2, vcc
	v_and_b32_e32 v4, 1, v6
	v_cndmask_b32_e32 v3, v5, v3, vcc
	v_cmp_eq_u32_e32 vcc, 1, v4
	s_andn2_b64 s[0:1], s[0:1], exec
	s_and_b64 s[8:9], vcc, exec
	v_and_b32_e32 v1, 0xff, v6
	s_or_b64 s[0:1], s[0:1], s[8:9]
; %bb.30:
	s_or_b64 exec, exec, s[2:3]
	v_mov_b32_dpp v6, v1 row_ror:4 row_mask:0xf bank_mask:0xf bound_ctrl:1
	v_and_b32_e32 v7, 1, v6
	v_mov_b32_dpp v4, v2 row_ror:4 row_mask:0xf bank_mask:0xf bound_ctrl:1
	v_mov_b32_dpp v5, v3 row_ror:4 row_mask:0xf bank_mask:0xf bound_ctrl:1
	v_cmp_eq_u32_e32 vcc, 1, v7
	s_and_saveexec_b64 s[2:3], vcc
; %bb.31:
	v_cmp_lt_i64_e32 vcc, v[2:3], v[4:5]
	v_cndmask_b32_e64 v6, v6, 1, s[0:1]
	s_and_b64 vcc, s[0:1], vcc
	v_cndmask_b32_e32 v2, v4, v2, vcc
	v_and_b32_e32 v4, 1, v6
	v_cndmask_b32_e32 v3, v5, v3, vcc
	v_cmp_eq_u32_e32 vcc, 1, v4
	s_andn2_b64 s[0:1], s[0:1], exec
	s_and_b64 s[8:9], vcc, exec
	v_and_b32_e32 v1, 0xff, v6
	s_or_b64 s[0:1], s[0:1], s[8:9]
; %bb.32:
	s_or_b64 exec, exec, s[2:3]
	v_mov_b32_dpp v6, v1 row_ror:8 row_mask:0xf bank_mask:0xf bound_ctrl:1
	v_and_b32_e32 v7, 1, v6
	v_mov_b32_dpp v4, v2 row_ror:8 row_mask:0xf bank_mask:0xf bound_ctrl:1
	v_mov_b32_dpp v5, v3 row_ror:8 row_mask:0xf bank_mask:0xf bound_ctrl:1
	v_cmp_eq_u32_e32 vcc, 1, v7
	s_and_saveexec_b64 s[2:3], vcc
; %bb.33:
	v_cmp_lt_i64_e32 vcc, v[2:3], v[4:5]
	v_cndmask_b32_e64 v6, v6, 1, s[0:1]
	s_and_b64 vcc, s[0:1], vcc
	v_cndmask_b32_e32 v2, v4, v2, vcc
	v_and_b32_e32 v4, 1, v6
	v_cndmask_b32_e32 v3, v5, v3, vcc
	v_cmp_eq_u32_e32 vcc, 1, v4
	s_andn2_b64 s[0:1], s[0:1], exec
	s_and_b64 s[8:9], vcc, exec
	v_and_b32_e32 v1, 0xff, v6
	s_or_b64 s[0:1], s[0:1], s[8:9]
; %bb.34:
	s_or_b64 exec, exec, s[2:3]
	v_mov_b32_dpp v6, v1 row_bcast:15 row_mask:0xf bank_mask:0xf bound_ctrl:1
	v_and_b32_e32 v7, 1, v6
	v_mov_b32_dpp v4, v2 row_bcast:15 row_mask:0xf bank_mask:0xf bound_ctrl:1
	v_mov_b32_dpp v5, v3 row_bcast:15 row_mask:0xf bank_mask:0xf bound_ctrl:1
	v_cmp_eq_u32_e32 vcc, 1, v7
	s_and_saveexec_b64 s[2:3], vcc
; %bb.35:
	v_cmp_lt_i64_e32 vcc, v[2:3], v[4:5]
	v_cndmask_b32_e64 v6, v6, 1, s[0:1]
	s_and_b64 vcc, s[0:1], vcc
	v_cndmask_b32_e32 v2, v4, v2, vcc
	v_and_b32_e32 v4, 1, v6
	v_cndmask_b32_e32 v3, v5, v3, vcc
	v_cmp_eq_u32_e32 vcc, 1, v4
	s_andn2_b64 s[0:1], s[0:1], exec
	s_and_b64 s[8:9], vcc, exec
	v_and_b32_e32 v1, 0xff, v6
	s_or_b64 s[0:1], s[0:1], s[8:9]
; %bb.36:
	s_or_b64 exec, exec, s[2:3]
	v_mov_b32_dpp v6, v1 row_bcast:31 row_mask:0xf bank_mask:0xf bound_ctrl:1
	v_and_b32_e32 v7, 1, v6
	v_mov_b32_dpp v4, v2 row_bcast:31 row_mask:0xf bank_mask:0xf bound_ctrl:1
	v_mov_b32_dpp v5, v3 row_bcast:31 row_mask:0xf bank_mask:0xf bound_ctrl:1
	v_cmp_eq_u32_e32 vcc, 1, v7
	s_and_saveexec_b64 s[2:3], vcc
; %bb.37:
	v_cmp_lt_i64_e32 vcc, v[2:3], v[4:5]
	v_and_b32_e32 v1, 0xff, v6
	s_and_b64 vcc, s[0:1], vcc
	v_cndmask_b32_e32 v2, v4, v2, vcc
	v_cndmask_b32_e32 v3, v5, v3, vcc
	v_cndmask_b32_e64 v1, v1, 1, s[0:1]
; %bb.38:
	s_or_b64 exec, exec, s[2:3]
	v_mbcnt_lo_u32_b32 v4, -1, 0
	v_mbcnt_hi_u32_b32 v4, -1, v4
	v_bfrev_b32_e32 v5, 0.5
	v_lshl_or_b32 v5, v4, 2, v5
	ds_bpermute_b32 v6, v5, v1
	ds_bpermute_b32 v2, v5, v2
	;; [unrolled: 1-line block ×3, first 2 shown]
	v_cmp_eq_u32_e32 vcc, 0, v4
	s_and_saveexec_b64 s[0:1], vcc
	s_cbranch_execz .LBB985_40
; %bb.39:
	v_lshrrev_b32_e32 v1, 2, v0
	v_and_b32_e32 v1, 48, v1
	s_waitcnt lgkmcnt(2)
	ds_write_b8 v1, v6 offset:128
	s_waitcnt lgkmcnt(1)
	ds_write_b64 v1, v[2:3] offset:136
.LBB985_40:
	s_or_b64 exec, exec, s[0:1]
	v_cmp_gt_u32_e32 vcc, 64, v0
	s_waitcnt lgkmcnt(0)
	s_barrier
	s_and_saveexec_b64 s[2:3], vcc
	s_cbranch_execz .LBB985_42
; %bb.41:
	v_and_b32_e32 v1, 3, v4
	v_lshlrev_b32_e32 v2, 4, v1
	ds_read_u8 v5, v2 offset:128
	ds_read_b64 v[2:3], v2 offset:136
	v_cmp_ne_u32_e32 vcc, 3, v1
	v_addc_co_u32_e32 v6, vcc, 0, v4, vcc
	s_waitcnt lgkmcnt(1)
	v_and_b32_e32 v7, 0xff, v5
	v_lshlrev_b32_e32 v8, 2, v6
	ds_bpermute_b32 v9, v8, v7
	s_waitcnt lgkmcnt(1)
	ds_bpermute_b32 v6, v8, v2
	ds_bpermute_b32 v7, v8, v3
	v_and_b32_e32 v8, 1, v5
	s_waitcnt lgkmcnt(2)
	v_and_b32_e32 v10, 1, v9
	v_cmp_eq_u32_e64 s[0:1], 1, v10
	s_waitcnt lgkmcnt(0)
	v_cmp_lt_i64_e32 vcc, v[6:7], v[2:3]
	s_and_b64 vcc, s[0:1], vcc
	v_cndmask_b32_e64 v5, v5, 1, s[0:1]
	v_cndmask_b32_e32 v2, v2, v6, vcc
	v_cndmask_b32_e32 v3, v3, v7, vcc
	v_cmp_eq_u32_e32 vcc, 1, v8
	v_cndmask_b32_e32 v8, v9, v5, vcc
	v_cndmask_b32_e32 v3, v7, v3, vcc
	v_cndmask_b32_e32 v2, v6, v2, vcc
	v_cmp_gt_u32_e32 vcc, 2, v1
	v_cndmask_b32_e64 v1, 0, 1, vcc
	v_lshlrev_b32_e32 v1, 1, v1
	v_and_b32_e32 v5, 0xff, v8
	v_add_lshl_u32 v1, v1, v4, 2
	ds_bpermute_b32 v6, v1, v5
	ds_bpermute_b32 v4, v1, v2
	;; [unrolled: 1-line block ×3, first 2 shown]
	v_and_b32_e32 v1, 1, v8
	s_waitcnt lgkmcnt(2)
	v_and_b32_e32 v7, 1, v6
	v_cmp_eq_u32_e64 s[0:1], 1, v7
	s_waitcnt lgkmcnt(0)
	v_cmp_lt_i64_e32 vcc, v[4:5], v[2:3]
	s_and_b64 vcc, s[0:1], vcc
	v_cndmask_b32_e64 v7, v8, 1, s[0:1]
	v_cndmask_b32_e32 v2, v2, v4, vcc
	v_cndmask_b32_e32 v3, v3, v5, vcc
	v_cmp_eq_u32_e32 vcc, 1, v1
	v_cndmask_b32_e32 v1, v6, v7, vcc
	v_cndmask_b32_e32 v3, v5, v3, vcc
	;; [unrolled: 1-line block ×3, first 2 shown]
	v_and_b32_e32 v6, 0xff, v1
.LBB985_42:
	s_or_b64 exec, exec, s[2:3]
	s_branch .LBB985_128
.LBB985_43:
                                        ; implicit-def: $vgpr4_vgpr5
                                        ; implicit-def: $vgpr1
	s_branch .LBB985_208
.LBB985_44:
                                        ; implicit-def: $vgpr2_vgpr3
                                        ; implicit-def: $vgpr7
	s_cbranch_execz .LBB985_89
; %bb.45:
	s_sub_i32 s36, s22, s12
	v_pk_mov_b32 v[10:11], 0, 0
	v_cmp_gt_u32_e32 vcc, s36, v0
	v_mov_b32_e32 v21, 0
	v_pk_mov_b32 v[2:3], v[10:11], v[10:11] op_sel:[0,1]
	v_mov_b32_e32 v1, 0
	s_and_saveexec_b64 s[0:1], vcc
	s_cbranch_execz .LBB985_47
; %bb.46:
	v_lshlrev_b32_e32 v1, 2, v0
	global_load_dword v1, v1, s[16:17]
	v_mov_b32_e32 v3, s35
	v_add_co_u32_e32 v2, vcc, s34, v0
	v_addc_co_u32_e32 v3, vcc, 0, v3, vcc
	s_waitcnt vmcnt(0)
	v_cmp_eq_u32_e32 vcc, s31, v1
	v_cndmask_b32_e64 v1, 0, 1, vcc
.LBB985_47:
	s_or_b64 exec, exec, s[0:1]
	v_or_b32_e32 v4, 0x100, v0
	v_cmp_gt_u32_e64 s[14:15], s36, v4
	s_and_saveexec_b64 s[0:1], s[14:15]
	s_cbranch_execz .LBB985_49
; %bb.48:
	v_lshlrev_b32_e32 v5, 2, v0
	global_load_dword v5, v5, s[16:17] offset:1024
	v_mov_b32_e32 v6, s35
	v_add_co_u32_e32 v10, vcc, s34, v4
	v_addc_co_u32_e32 v11, vcc, 0, v6, vcc
	s_waitcnt vmcnt(0)
	v_cmp_eq_u32_e32 vcc, s31, v5
	v_cndmask_b32_e64 v21, 0, 1, vcc
.LBB985_49:
	s_or_b64 exec, exec, s[0:1]
	v_or_b32_e32 v4, 0x200, v0
	v_pk_mov_b32 v[8:9], 0, 0
	v_cmp_gt_u32_e64 s[12:13], s36, v4
	v_mov_b32_e32 v20, 0
	v_pk_mov_b32 v[16:17], v[8:9], v[8:9] op_sel:[0,1]
	v_mov_b32_e32 v24, 0
	s_and_saveexec_b64 s[0:1], s[12:13]
	s_cbranch_execz .LBB985_51
; %bb.50:
	v_lshlrev_b32_e32 v5, 2, v0
	global_load_dword v5, v5, s[16:17] offset:2048
	v_mov_b32_e32 v6, s35
	v_add_co_u32_e32 v16, vcc, s34, v4
	v_addc_co_u32_e32 v17, vcc, 0, v6, vcc
	s_waitcnt vmcnt(0)
	v_cmp_eq_u32_e32 vcc, s31, v5
	v_cndmask_b32_e64 v24, 0, 1, vcc
.LBB985_51:
	s_or_b64 exec, exec, s[0:1]
	v_or_b32_e32 v4, 0x300, v0
	v_cmp_gt_u32_e64 s[10:11], s36, v4
	s_and_saveexec_b64 s[0:1], s[10:11]
	s_cbranch_execz .LBB985_53
; %bb.52:
	v_lshlrev_b32_e32 v5, 2, v0
	global_load_dword v5, v5, s[16:17] offset:3072
	v_mov_b32_e32 v6, s35
	v_add_co_u32_e32 v8, vcc, s34, v4
	v_addc_co_u32_e32 v9, vcc, 0, v6, vcc
	s_waitcnt vmcnt(0)
	v_cmp_eq_u32_e32 vcc, s31, v5
	v_cndmask_b32_e64 v20, 0, 1, vcc
.LBB985_53:
	s_or_b64 exec, exec, s[0:1]
	v_or_b32_e32 v4, 0x400, v0
	v_pk_mov_b32 v[6:7], 0, 0
	v_cmp_gt_u32_e64 s[8:9], s36, v4
	v_mov_b32_e32 v19, 0
	v_pk_mov_b32 v[14:15], v[6:7], v[6:7] op_sel:[0,1]
	v_mov_b32_e32 v23, 0
	s_and_saveexec_b64 s[0:1], s[8:9]
	s_cbranch_execz .LBB985_55
; %bb.54:
	v_lshlrev_b32_e32 v5, 2, v4
	global_load_dword v5, v5, s[16:17]
	v_mov_b32_e32 v12, s35
	v_add_co_u32_e32 v14, vcc, s34, v4
	v_addc_co_u32_e32 v15, vcc, 0, v12, vcc
	s_waitcnt vmcnt(0)
	v_cmp_eq_u32_e32 vcc, s31, v5
	v_cndmask_b32_e64 v23, 0, 1, vcc
.LBB985_55:
	s_or_b64 exec, exec, s[0:1]
	v_or_b32_e32 v4, 0x500, v0
	v_cmp_gt_u32_e64 s[2:3], s36, v4
	s_and_saveexec_b64 s[0:1], s[2:3]
	s_cbranch_execz .LBB985_57
; %bb.56:
	v_lshlrev_b32_e32 v5, 2, v4
	global_load_dword v5, v5, s[16:17]
	v_mov_b32_e32 v7, s35
	v_add_co_u32_e32 v6, vcc, s34, v4
	v_addc_co_u32_e32 v7, vcc, 0, v7, vcc
	s_waitcnt vmcnt(0)
	v_cmp_eq_u32_e32 vcc, s31, v5
	v_cndmask_b32_e64 v19, 0, 1, vcc
.LBB985_57:
	s_or_b64 exec, exec, s[0:1]
	v_or_b32_e32 v25, 0x600, v0
	v_pk_mov_b32 v[4:5], 0, 0
	v_cmp_gt_u32_e64 s[0:1], s36, v25
	v_mov_b32_e32 v18, 0
	v_mov_b32_e32 v22, 0
	v_pk_mov_b32 v[12:13], v[4:5], v[4:5] op_sel:[0,1]
	s_and_saveexec_b64 s[28:29], s[0:1]
	s_cbranch_execz .LBB985_59
; %bb.58:
	v_lshlrev_b32_e32 v12, 2, v25
	global_load_dword v22, v12, s[16:17]
	v_mov_b32_e32 v13, s35
	v_add_co_u32_e32 v12, vcc, s34, v25
	v_addc_co_u32_e32 v13, vcc, 0, v13, vcc
	s_waitcnt vmcnt(0)
	v_cmp_eq_u32_e32 vcc, s31, v22
	v_cndmask_b32_e64 v22, 0, 1, vcc
.LBB985_59:
	s_or_b64 exec, exec, s[28:29]
	v_or_b32_e32 v25, 0x700, v0
	v_cmp_gt_u32_e32 vcc, s36, v25
	s_and_saveexec_b64 s[28:29], vcc
	s_cbranch_execnz .LBB985_240
; %bb.60:
	s_or_b64 exec, exec, s[28:29]
	s_and_saveexec_b64 s[28:29], s[14:15]
	s_cbranch_execnz .LBB985_241
.LBB985_61:
	s_or_b64 exec, exec, s[28:29]
	s_and_saveexec_b64 s[16:17], s[12:13]
	s_cbranch_execnz .LBB985_242
.LBB985_62:
	s_or_b64 exec, exec, s[16:17]
	s_and_saveexec_b64 s[14:15], s[10:11]
	s_cbranch_execnz .LBB985_243
.LBB985_63:
	s_or_b64 exec, exec, s[14:15]
	s_and_saveexec_b64 s[12:13], s[8:9]
	s_cbranch_execnz .LBB985_244
.LBB985_64:
	s_or_b64 exec, exec, s[12:13]
	s_and_saveexec_b64 s[10:11], s[2:3]
	s_cbranch_execnz .LBB985_245
.LBB985_65:
	s_or_b64 exec, exec, s[10:11]
	s_and_saveexec_b64 s[8:9], s[0:1]
	s_cbranch_execnz .LBB985_246
.LBB985_66:
	s_or_b64 exec, exec, s[8:9]
	s_and_saveexec_b64 s[2:3], vcc
	s_cbranch_execz .LBB985_68
.LBB985_67:
	v_and_b32_e32 v7, 1, v18
	v_cmp_lt_i64_e32 vcc, v[4:5], v[2:3]
	v_cmp_eq_u32_e64 s[0:1], 1, v7
	v_and_b32_e32 v6, 1, v1
	s_and_b64 vcc, s[0:1], vcc
	v_cndmask_b32_e64 v1, v1, 1, s[0:1]
	v_cndmask_b32_e32 v2, v2, v4, vcc
	v_cndmask_b32_e32 v3, v3, v5, vcc
	v_cmp_eq_u32_e32 vcc, 1, v6
	v_cndmask_b32_e32 v1, v18, v1, vcc
	v_cndmask_b32_e32 v3, v5, v3, vcc
	;; [unrolled: 1-line block ×3, first 2 shown]
.LBB985_68:
	s_or_b64 exec, exec, s[2:3]
	v_mbcnt_lo_u32_b32 v4, -1, 0
	v_mbcnt_hi_u32_b32 v6, -1, v4
	v_and_b32_e32 v8, 63, v6
	v_cmp_ne_u32_e32 vcc, 63, v8
	v_addc_co_u32_e32 v4, vcc, 0, v6, vcc
	v_and_b32_e32 v7, 0xffff, v1
	v_lshlrev_b32_e32 v5, 2, v4
	ds_bpermute_b32 v11, v5, v7
	ds_bpermute_b32 v4, v5, v2
	;; [unrolled: 1-line block ×3, first 2 shown]
	s_min_u32 s8, s36, 0x100
	v_and_b32_e32 v9, 0xc0, v0
	v_sub_u32_e64 v10, s8, v9 clamp
	v_add_u32_e32 v9, 1, v8
	v_cmp_lt_u32_e32 vcc, v9, v10
	v_mov_b32_e32 v9, v7
	s_and_saveexec_b64 s[0:1], vcc
	s_xor_b64 s[2:3], exec, s[0:1]
	s_cbranch_execz .LBB985_70
; %bb.69:
	s_waitcnt lgkmcnt(2)
	v_and_b32_e32 v9, 1, v11
	s_waitcnt lgkmcnt(0)
	v_cmp_lt_i64_e32 vcc, v[4:5], v[2:3]
	v_cmp_eq_u32_e64 s[0:1], 1, v9
	v_and_b32_e32 v1, 1, v1
	s_and_b64 vcc, s[0:1], vcc
	v_cndmask_b32_e64 v7, v7, 1, s[0:1]
	v_cndmask_b32_e32 v2, v2, v4, vcc
	v_cndmask_b32_e32 v3, v3, v5, vcc
	v_cmp_eq_u32_e32 vcc, 1, v1
	v_cndmask_b32_e32 v9, v11, v7, vcc
	v_cndmask_b32_e32 v3, v5, v3, vcc
	v_cndmask_b32_e32 v2, v4, v2, vcc
	v_and_b32_e32 v7, 0xff, v9
.LBB985_70:
	s_or_b64 exec, exec, s[2:3]
	v_cmp_gt_u32_e32 vcc, 62, v8
	v_cndmask_b32_e64 v1, 0, 1, vcc
	v_lshlrev_b32_e32 v1, 1, v1
	s_waitcnt lgkmcnt(0)
	v_add_lshl_u32 v5, v1, v6, 2
	ds_bpermute_b32 v1, v5, v7
	ds_bpermute_b32 v4, v5, v2
	ds_bpermute_b32 v5, v5, v3
	v_add_u32_e32 v11, 2, v8
	v_cmp_lt_u32_e32 vcc, v11, v10
	s_and_saveexec_b64 s[2:3], vcc
	s_cbranch_execz .LBB985_72
; %bb.71:
	s_waitcnt lgkmcnt(2)
	v_and_b32_e32 v11, 1, v1
	s_waitcnt lgkmcnt(0)
	v_cmp_lt_i64_e32 vcc, v[4:5], v[2:3]
	v_cmp_eq_u32_e64 s[0:1], 1, v11
	v_and_b32_e32 v7, 1, v9
	s_and_b64 vcc, s[0:1], vcc
	v_cndmask_b32_e64 v9, v9, 1, s[0:1]
	v_cndmask_b32_e32 v2, v2, v4, vcc
	v_cndmask_b32_e32 v3, v3, v5, vcc
	v_cmp_eq_u32_e32 vcc, 1, v7
	v_cndmask_b32_e32 v9, v1, v9, vcc
	v_cndmask_b32_e32 v3, v5, v3, vcc
	v_cndmask_b32_e32 v2, v4, v2, vcc
	v_and_b32_e32 v7, 0xff, v9
.LBB985_72:
	s_or_b64 exec, exec, s[2:3]
	v_cmp_gt_u32_e32 vcc, 60, v8
	s_waitcnt lgkmcnt(2)
	v_cndmask_b32_e64 v1, 0, 1, vcc
	v_lshlrev_b32_e32 v1, 2, v1
	s_waitcnt lgkmcnt(0)
	v_add_lshl_u32 v5, v1, v6, 2
	ds_bpermute_b32 v1, v5, v7
	ds_bpermute_b32 v4, v5, v2
	ds_bpermute_b32 v5, v5, v3
	v_add_u32_e32 v11, 4, v8
	v_cmp_lt_u32_e32 vcc, v11, v10
	s_and_saveexec_b64 s[2:3], vcc
	s_cbranch_execz .LBB985_74
; %bb.73:
	s_waitcnt lgkmcnt(2)
	v_and_b32_e32 v11, 1, v1
	s_waitcnt lgkmcnt(0)
	v_cmp_lt_i64_e32 vcc, v[4:5], v[2:3]
	v_cmp_eq_u32_e64 s[0:1], 1, v11
	v_and_b32_e32 v7, 1, v9
	s_and_b64 vcc, s[0:1], vcc
	v_cndmask_b32_e64 v9, v9, 1, s[0:1]
	v_cndmask_b32_e32 v2, v2, v4, vcc
	v_cndmask_b32_e32 v3, v3, v5, vcc
	v_cmp_eq_u32_e32 vcc, 1, v7
	v_cndmask_b32_e32 v9, v1, v9, vcc
	v_cndmask_b32_e32 v3, v5, v3, vcc
	v_cndmask_b32_e32 v2, v4, v2, vcc
	v_and_b32_e32 v7, 0xff, v9
.LBB985_74:
	s_or_b64 exec, exec, s[2:3]
	v_cmp_gt_u32_e32 vcc, 56, v8
	s_waitcnt lgkmcnt(2)
	;; [unrolled: 31-line block ×4, first 2 shown]
	v_cndmask_b32_e64 v1, 0, 1, vcc
	v_lshlrev_b32_e32 v1, 5, v1
	s_waitcnt lgkmcnt(0)
	v_add_lshl_u32 v5, v1, v6, 2
	ds_bpermute_b32 v1, v5, v7
	ds_bpermute_b32 v4, v5, v2
	ds_bpermute_b32 v5, v5, v3
	v_add_u32_e32 v8, 32, v8
	v_cmp_lt_u32_e32 vcc, v8, v10
	s_and_saveexec_b64 s[2:3], vcc
	s_cbranch_execz .LBB985_80
; %bb.79:
	s_waitcnt lgkmcnt(2)
	v_and_b32_e32 v8, 1, v1
	s_waitcnt lgkmcnt(0)
	v_cmp_lt_i64_e32 vcc, v[4:5], v[2:3]
	v_cmp_eq_u32_e64 s[0:1], 1, v8
	v_and_b32_e32 v7, 1, v9
	s_and_b64 vcc, s[0:1], vcc
	v_cndmask_b32_e64 v8, v9, 1, s[0:1]
	v_cndmask_b32_e32 v2, v2, v4, vcc
	v_cndmask_b32_e32 v3, v3, v5, vcc
	v_cmp_eq_u32_e32 vcc, 1, v7
	v_cndmask_b32_e32 v9, v1, v8, vcc
	v_cndmask_b32_e32 v3, v5, v3, vcc
	;; [unrolled: 1-line block ×3, first 2 shown]
	v_and_b32_e32 v7, 0xff, v9
.LBB985_80:
	s_or_b64 exec, exec, s[2:3]
	v_cmp_eq_u32_e32 vcc, 0, v6
	s_and_saveexec_b64 s[0:1], vcc
	s_cbranch_execz .LBB985_82
; %bb.81:
	s_waitcnt lgkmcnt(2)
	v_lshrrev_b32_e32 v1, 2, v0
	v_and_b32_e32 v1, 48, v1
	ds_write_b8 v1, v9 offset:256
	ds_write_b64 v1, v[2:3] offset:264
.LBB985_82:
	s_or_b64 exec, exec, s[0:1]
	v_cmp_gt_u32_e32 vcc, 4, v0
	s_waitcnt lgkmcnt(0)
	s_barrier
	s_and_saveexec_b64 s[2:3], vcc
	s_cbranch_execz .LBB985_88
; %bb.83:
	v_lshlrev_b32_e32 v2, 4, v6
	ds_read_u8 v1, v2 offset:256
	ds_read_b64 v[2:3], v2 offset:264
	v_and_b32_e32 v8, 3, v6
	v_cmp_ne_u32_e32 vcc, 3, v8
	v_addc_co_u32_e32 v4, vcc, 0, v6, vcc
	s_waitcnt lgkmcnt(1)
	v_and_b32_e32 v7, 0xff, v1
	v_lshlrev_b32_e32 v5, 2, v4
	ds_bpermute_b32 v9, v5, v7
	s_waitcnt lgkmcnt(1)
	ds_bpermute_b32 v4, v5, v2
	ds_bpermute_b32 v5, v5, v3
	s_add_i32 s8, s8, 63
	s_lshr_b32 s10, s8, 6
	v_add_u32_e32 v10, 1, v8
	v_cmp_gt_u32_e32 vcc, s10, v10
	s_and_saveexec_b64 s[8:9], vcc
	s_cbranch_execz .LBB985_85
; %bb.84:
	s_waitcnt lgkmcnt(2)
	v_and_b32_e32 v10, 1, v9
	s_waitcnt lgkmcnt(0)
	v_cmp_lt_i64_e32 vcc, v[4:5], v[2:3]
	v_cmp_eq_u32_e64 s[0:1], 1, v10
	v_and_b32_e32 v7, 1, v1
	s_and_b64 vcc, s[0:1], vcc
	v_cndmask_b32_e64 v1, v1, 1, s[0:1]
	v_cndmask_b32_e32 v2, v2, v4, vcc
	v_cndmask_b32_e32 v3, v3, v5, vcc
	v_cmp_eq_u32_e32 vcc, 1, v7
	v_cndmask_b32_e32 v1, v9, v1, vcc
	v_cndmask_b32_e32 v3, v5, v3, vcc
	v_cndmask_b32_e32 v2, v4, v2, vcc
	v_and_b32_e32 v7, 0xff, v1
.LBB985_85:
	s_or_b64 exec, exec, s[8:9]
	v_cmp_gt_u32_e32 vcc, 2, v8
	s_waitcnt lgkmcnt(1)
	v_cndmask_b32_e64 v4, 0, 1, vcc
	v_lshlrev_b32_e32 v4, 1, v4
	s_waitcnt lgkmcnt(0)
	v_add_lshl_u32 v5, v4, v6, 2
	ds_bpermute_b32 v6, v5, v7
	ds_bpermute_b32 v4, v5, v2
	;; [unrolled: 1-line block ×3, first 2 shown]
	v_add_u32_e32 v8, 2, v8
	v_cmp_gt_u32_e32 vcc, s10, v8
	s_and_saveexec_b64 s[8:9], vcc
	s_cbranch_execz .LBB985_87
; %bb.86:
	s_waitcnt lgkmcnt(2)
	v_and_b32_e32 v8, 1, v6
	s_waitcnt lgkmcnt(0)
	v_cmp_lt_i64_e32 vcc, v[4:5], v[2:3]
	v_cmp_eq_u32_e64 s[0:1], 1, v8
	v_and_b32_e32 v7, 1, v1
	s_and_b64 vcc, s[0:1], vcc
	v_cndmask_b32_e64 v1, v1, 1, s[0:1]
	v_cndmask_b32_e32 v2, v2, v4, vcc
	v_cndmask_b32_e32 v3, v3, v5, vcc
	v_cmp_eq_u32_e32 vcc, 1, v7
	v_cndmask_b32_e32 v1, v6, v1, vcc
	v_cndmask_b32_e32 v3, v5, v3, vcc
	v_cndmask_b32_e32 v2, v4, v2, vcc
	v_and_b32_e32 v7, 0xff, v1
.LBB985_87:
	s_or_b64 exec, exec, s[8:9]
.LBB985_88:
	s_or_b64 exec, exec, s[2:3]
.LBB985_89:
	v_cmp_eq_u32_e32 vcc, 0, v0
	s_mov_b64 s[10:11], 0
                                        ; implicit-def: $vgpr4_vgpr5
                                        ; implicit-def: $vgpr1
	s_and_saveexec_b64 s[0:1], vcc
	s_xor_b64 s[8:9], exec, s[0:1]
	s_cbranch_execz .LBB985_93
; %bb.90:
	s_cmp_eq_u64 s[22:23], 0
	s_waitcnt lgkmcnt(0)
	v_pk_mov_b32 v[4:5], s[18:19], s[18:19] op_sel:[0,1]
	v_mov_b32_e32 v1, s30
	s_cbranch_scc1 .LBB985_92
; %bb.91:
	v_and_b32_e32 v1, 1, v7
	s_bitcmp1_b32 s30, 0
	v_mov_b32_e32 v4, s30
	v_cmp_eq_u32_e32 vcc, 1, v1
	v_cmp_gt_i64_e64 s[2:3], s[18:19], v[2:3]
	v_cndmask_b32_e64 v1, v4, 1, vcc
	s_cselect_b64 s[0:1], -1, 0
	v_mov_b32_e32 v4, s18
	s_and_b64 vcc, vcc, s[2:3]
	v_mov_b32_e32 v5, s19
	v_cndmask_b32_e32 v4, v4, v2, vcc
	v_cndmask_b32_e32 v5, v5, v3, vcc
	v_cndmask_b32_e64 v1, v7, v1, s[0:1]
	v_cndmask_b32_e64 v5, v3, v5, s[0:1]
	;; [unrolled: 1-line block ×3, first 2 shown]
.LBB985_92:
	s_mov_b64 s[10:11], exec
.LBB985_93:
	s_or_b64 exec, exec, s[8:9]
	s_and_b64 vcc, exec, s[26:27]
	s_cbranch_vccnz .LBB985_24
.LBB985_94:
	s_branch .LBB985_208
.LBB985_95:
                                        ; implicit-def: $vgpr2_vgpr3
                                        ; implicit-def: $vgpr6
	s_cbranch_execz .LBB985_128
; %bb.96:
	s_sub_i32 s26, s22, s14
	s_waitcnt lgkmcnt(2)
	v_pk_mov_b32 v[6:7], 0, 0
	v_cmp_gt_u32_e32 vcc, s26, v0
	v_mov_b32_e32 v11, 0
	v_pk_mov_b32 v[2:3], v[6:7], v[6:7] op_sel:[0,1]
	v_mov_b32_e32 v10, 0
	s_and_saveexec_b64 s[0:1], vcc
	s_cbranch_execz .LBB985_98
; %bb.97:
	v_lshlrev_b32_e32 v1, 2, v0
	global_load_dword v1, v1, s[12:13]
	v_mov_b32_e32 v3, s17
	v_add_co_u32_e32 v2, vcc, s16, v0
	v_addc_co_u32_e32 v3, vcc, 0, v3, vcc
	s_waitcnt vmcnt(0)
	v_cmp_eq_u32_e32 vcc, s31, v1
	v_cndmask_b32_e64 v10, 0, 1, vcc
.LBB985_98:
	s_or_b64 exec, exec, s[0:1]
	v_or_b32_e32 v1, 0x100, v0
	v_cmp_gt_u32_e64 s[2:3], s26, v1
	s_and_saveexec_b64 s[0:1], s[2:3]
	s_cbranch_execz .LBB985_100
; %bb.99:
	s_waitcnt lgkmcnt(1)
	v_lshlrev_b32_e32 v4, 2, v0
	global_load_dword v4, v4, s[12:13] offset:1024
	s_waitcnt lgkmcnt(0)
	v_mov_b32_e32 v5, s17
	v_add_co_u32_e32 v6, vcc, s16, v1
	v_addc_co_u32_e32 v7, vcc, 0, v5, vcc
	s_waitcnt vmcnt(0)
	v_cmp_eq_u32_e32 vcc, s31, v4
	v_cndmask_b32_e64 v11, 0, 1, vcc
.LBB985_100:
	s_or_b64 exec, exec, s[0:1]
	v_or_b32_e32 v13, 0x200, v0
	s_waitcnt lgkmcnt(0)
	v_pk_mov_b32 v[4:5], 0, 0
	v_cmp_gt_u32_e64 s[0:1], s26, v13
	v_mov_b32_e32 v1, 0
	v_pk_mov_b32 v[8:9], v[4:5], v[4:5] op_sel:[0,1]
	v_mov_b32_e32 v12, 0
	s_and_saveexec_b64 s[8:9], s[0:1]
	s_cbranch_execz .LBB985_102
; %bb.101:
	v_lshlrev_b32_e32 v8, 2, v0
	global_load_dword v12, v8, s[12:13] offset:2048
	v_mov_b32_e32 v9, s17
	v_add_co_u32_e32 v8, vcc, s16, v13
	v_addc_co_u32_e32 v9, vcc, 0, v9, vcc
	s_waitcnt vmcnt(0)
	v_cmp_eq_u32_e32 vcc, s31, v12
	v_cndmask_b32_e64 v12, 0, 1, vcc
.LBB985_102:
	s_or_b64 exec, exec, s[8:9]
	v_or_b32_e32 v13, 0x300, v0
	v_cmp_gt_u32_e32 vcc, s26, v13
	s_and_saveexec_b64 s[14:15], vcc
	s_cbranch_execnz .LBB985_247
; %bb.103:
	s_or_b64 exec, exec, s[14:15]
	s_and_saveexec_b64 s[12:13], s[2:3]
	s_cbranch_execnz .LBB985_248
.LBB985_104:
	s_or_b64 exec, exec, s[12:13]
	s_and_saveexec_b64 s[8:9], s[0:1]
	s_cbranch_execnz .LBB985_249
.LBB985_105:
	s_or_b64 exec, exec, s[8:9]
	s_and_saveexec_b64 s[2:3], vcc
	s_cbranch_execz .LBB985_107
.LBB985_106:
	v_and_b32_e32 v7, 1, v1
	v_cmp_lt_i64_e32 vcc, v[4:5], v[2:3]
	v_cmp_eq_u32_e64 s[0:1], 1, v7
	v_and_b32_e32 v6, 1, v10
	s_and_b64 vcc, s[0:1], vcc
	v_cndmask_b32_e64 v7, v10, 1, s[0:1]
	v_cndmask_b32_e32 v2, v2, v4, vcc
	v_cndmask_b32_e32 v3, v3, v5, vcc
	v_cmp_eq_u32_e32 vcc, 1, v6
	v_cndmask_b32_e32 v10, v1, v7, vcc
	v_cndmask_b32_e32 v3, v5, v3, vcc
	;; [unrolled: 1-line block ×3, first 2 shown]
.LBB985_107:
	s_or_b64 exec, exec, s[2:3]
	v_mbcnt_lo_u32_b32 v1, -1, 0
	v_mbcnt_hi_u32_b32 v1, -1, v1
	v_and_b32_e32 v7, 63, v1
	v_cmp_ne_u32_e32 vcc, 63, v7
	v_addc_co_u32_e32 v4, vcc, 0, v1, vcc
	v_and_b32_e32 v6, 0xffff, v10
	v_lshlrev_b32_e32 v5, 2, v4
	ds_bpermute_b32 v11, v5, v6
	ds_bpermute_b32 v4, v5, v2
	ds_bpermute_b32 v5, v5, v3
	s_min_u32 s8, s26, 0x100
	v_and_b32_e32 v8, 0xc0, v0
	v_sub_u32_e64 v9, s8, v8 clamp
	v_add_u32_e32 v8, 1, v7
	v_cmp_lt_u32_e32 vcc, v8, v9
	v_mov_b32_e32 v8, v6
	s_and_saveexec_b64 s[0:1], vcc
	s_xor_b64 s[2:3], exec, s[0:1]
	s_cbranch_execz .LBB985_109
; %bb.108:
	v_and_b32_e32 v8, 1, v10
	s_waitcnt lgkmcnt(2)
	v_and_b32_e32 v10, 1, v11
	s_waitcnt lgkmcnt(0)
	v_cmp_lt_i64_e32 vcc, v[4:5], v[2:3]
	v_cmp_eq_u32_e64 s[0:1], 1, v10
	s_and_b64 vcc, s[0:1], vcc
	v_cndmask_b32_e64 v6, v6, 1, s[0:1]
	v_cndmask_b32_e32 v2, v2, v4, vcc
	v_cndmask_b32_e32 v3, v3, v5, vcc
	v_cmp_eq_u32_e32 vcc, 1, v8
	v_cndmask_b32_e32 v8, v11, v6, vcc
	v_cndmask_b32_e32 v3, v5, v3, vcc
	;; [unrolled: 1-line block ×3, first 2 shown]
	v_and_b32_e32 v6, 0xff, v8
.LBB985_109:
	s_or_b64 exec, exec, s[2:3]
	v_cmp_gt_u32_e32 vcc, 62, v7
	s_waitcnt lgkmcnt(1)
	v_cndmask_b32_e64 v4, 0, 1, vcc
	v_lshlrev_b32_e32 v4, 1, v4
	s_waitcnt lgkmcnt(0)
	v_add_lshl_u32 v5, v4, v1, 2
	ds_bpermute_b32 v10, v5, v6
	ds_bpermute_b32 v4, v5, v2
	ds_bpermute_b32 v5, v5, v3
	v_add_u32_e32 v11, 2, v7
	v_cmp_lt_u32_e32 vcc, v11, v9
	s_and_saveexec_b64 s[2:3], vcc
	s_cbranch_execz .LBB985_111
; %bb.110:
	s_waitcnt lgkmcnt(2)
	v_and_b32_e32 v11, 1, v10
	s_waitcnt lgkmcnt(0)
	v_cmp_lt_i64_e32 vcc, v[4:5], v[2:3]
	v_cmp_eq_u32_e64 s[0:1], 1, v11
	v_and_b32_e32 v6, 1, v8
	s_and_b64 vcc, s[0:1], vcc
	v_cndmask_b32_e64 v8, v8, 1, s[0:1]
	v_cndmask_b32_e32 v2, v2, v4, vcc
	v_cndmask_b32_e32 v3, v3, v5, vcc
	v_cmp_eq_u32_e32 vcc, 1, v6
	v_cndmask_b32_e32 v8, v10, v8, vcc
	v_cndmask_b32_e32 v3, v5, v3, vcc
	v_cndmask_b32_e32 v2, v4, v2, vcc
	v_and_b32_e32 v6, 0xff, v8
.LBB985_111:
	s_or_b64 exec, exec, s[2:3]
	v_cmp_gt_u32_e32 vcc, 60, v7
	s_waitcnt lgkmcnt(1)
	v_cndmask_b32_e64 v4, 0, 1, vcc
	v_lshlrev_b32_e32 v4, 2, v4
	s_waitcnt lgkmcnt(0)
	v_add_lshl_u32 v5, v4, v1, 2
	ds_bpermute_b32 v10, v5, v6
	ds_bpermute_b32 v4, v5, v2
	ds_bpermute_b32 v5, v5, v3
	v_add_u32_e32 v11, 4, v7
	v_cmp_lt_u32_e32 vcc, v11, v9
	s_and_saveexec_b64 s[2:3], vcc
	s_cbranch_execz .LBB985_113
; %bb.112:
	s_waitcnt lgkmcnt(2)
	v_and_b32_e32 v11, 1, v10
	s_waitcnt lgkmcnt(0)
	v_cmp_lt_i64_e32 vcc, v[4:5], v[2:3]
	v_cmp_eq_u32_e64 s[0:1], 1, v11
	v_and_b32_e32 v6, 1, v8
	s_and_b64 vcc, s[0:1], vcc
	v_cndmask_b32_e64 v8, v8, 1, s[0:1]
	v_cndmask_b32_e32 v2, v2, v4, vcc
	v_cndmask_b32_e32 v3, v3, v5, vcc
	v_cmp_eq_u32_e32 vcc, 1, v6
	v_cndmask_b32_e32 v8, v10, v8, vcc
	v_cndmask_b32_e32 v3, v5, v3, vcc
	v_cndmask_b32_e32 v2, v4, v2, vcc
	v_and_b32_e32 v6, 0xff, v8
.LBB985_113:
	;; [unrolled: 31-line block ×5, first 2 shown]
	s_or_b64 exec, exec, s[2:3]
	v_cmp_eq_u32_e32 vcc, 0, v1
	s_and_saveexec_b64 s[0:1], vcc
	s_cbranch_execz .LBB985_121
; %bb.120:
	s_waitcnt lgkmcnt(1)
	v_lshrrev_b32_e32 v4, 2, v0
	v_and_b32_e32 v4, 48, v4
	ds_write_b8 v4, v8 offset:256
	ds_write_b64 v4, v[2:3] offset:264
.LBB985_121:
	s_or_b64 exec, exec, s[0:1]
	v_cmp_gt_u32_e32 vcc, 4, v0
	s_waitcnt lgkmcnt(0)
	s_barrier
	s_and_saveexec_b64 s[2:3], vcc
	s_cbranch_execz .LBB985_127
; %bb.122:
	v_lshlrev_b32_e32 v2, 4, v1
	ds_read_u8 v7, v2 offset:256
	ds_read_b64 v[2:3], v2 offset:264
	v_and_b32_e32 v8, 3, v1
	v_cmp_ne_u32_e32 vcc, 3, v8
	v_addc_co_u32_e32 v4, vcc, 0, v1, vcc
	s_waitcnt lgkmcnt(1)
	v_and_b32_e32 v6, 0xff, v7
	v_lshlrev_b32_e32 v5, 2, v4
	ds_bpermute_b32 v9, v5, v6
	s_waitcnt lgkmcnt(1)
	ds_bpermute_b32 v4, v5, v2
	ds_bpermute_b32 v5, v5, v3
	s_add_i32 s8, s8, 63
	s_lshr_b32 s12, s8, 6
	v_add_u32_e32 v10, 1, v8
	v_cmp_gt_u32_e32 vcc, s12, v10
	s_and_saveexec_b64 s[8:9], vcc
	s_cbranch_execz .LBB985_124
; %bb.123:
	s_waitcnt lgkmcnt(2)
	v_and_b32_e32 v10, 1, v9
	s_waitcnt lgkmcnt(0)
	v_cmp_lt_i64_e32 vcc, v[4:5], v[2:3]
	v_cmp_eq_u32_e64 s[0:1], 1, v10
	v_and_b32_e32 v6, 1, v7
	s_and_b64 vcc, s[0:1], vcc
	v_cndmask_b32_e64 v7, v7, 1, s[0:1]
	v_cndmask_b32_e32 v2, v2, v4, vcc
	v_cndmask_b32_e32 v3, v3, v5, vcc
	v_cmp_eq_u32_e32 vcc, 1, v6
	v_cndmask_b32_e32 v7, v9, v7, vcc
	v_cndmask_b32_e32 v3, v5, v3, vcc
	v_cndmask_b32_e32 v2, v4, v2, vcc
	v_and_b32_e32 v6, 0xff, v7
.LBB985_124:
	s_or_b64 exec, exec, s[8:9]
	v_cmp_gt_u32_e32 vcc, 2, v8
	s_waitcnt lgkmcnt(1)
	v_cndmask_b32_e64 v4, 0, 1, vcc
	v_lshlrev_b32_e32 v4, 1, v4
	s_waitcnt lgkmcnt(0)
	v_add_lshl_u32 v5, v4, v1, 2
	ds_bpermute_b32 v1, v5, v6
	ds_bpermute_b32 v4, v5, v2
	;; [unrolled: 1-line block ×3, first 2 shown]
	v_add_u32_e32 v8, 2, v8
	v_cmp_gt_u32_e32 vcc, s12, v8
	s_and_saveexec_b64 s[8:9], vcc
	s_cbranch_execz .LBB985_126
; %bb.125:
	s_waitcnt lgkmcnt(2)
	v_and_b32_e32 v8, 1, v1
	s_waitcnt lgkmcnt(0)
	v_cmp_lt_i64_e32 vcc, v[4:5], v[2:3]
	v_cmp_eq_u32_e64 s[0:1], 1, v8
	v_and_b32_e32 v6, 1, v7
	s_and_b64 vcc, s[0:1], vcc
	v_cndmask_b32_e64 v7, v7, 1, s[0:1]
	v_cndmask_b32_e32 v2, v2, v4, vcc
	v_cndmask_b32_e32 v3, v3, v5, vcc
	v_cmp_eq_u32_e32 vcc, 1, v6
	v_cndmask_b32_e32 v1, v1, v7, vcc
	v_cndmask_b32_e32 v3, v5, v3, vcc
	;; [unrolled: 1-line block ×3, first 2 shown]
	v_and_b32_e32 v6, 0xff, v1
.LBB985_126:
	s_or_b64 exec, exec, s[8:9]
.LBB985_127:
	s_or_b64 exec, exec, s[2:3]
.LBB985_128:
	v_cmp_eq_u32_e32 vcc, 0, v0
                                        ; implicit-def: $vgpr4_vgpr5
                                        ; implicit-def: $vgpr1
	s_and_saveexec_b64 s[0:1], vcc
	s_xor_b64 s[8:9], exec, s[0:1]
	s_cbranch_execz .LBB985_132
; %bb.129:
	s_cmp_eq_u64 s[22:23], 0
	s_waitcnt lgkmcnt(0)
	v_pk_mov_b32 v[4:5], s[18:19], s[18:19] op_sel:[0,1]
	v_mov_b32_e32 v1, s30
	s_cbranch_scc1 .LBB985_131
; %bb.130:
	v_and_b32_e32 v1, 1, v6
	s_bitcmp1_b32 s30, 0
	v_mov_b32_e32 v4, s30
	v_cmp_eq_u32_e32 vcc, 1, v1
	v_cmp_gt_i64_e64 s[2:3], s[18:19], v[2:3]
	v_cndmask_b32_e64 v1, v4, 1, vcc
	s_cselect_b64 s[0:1], -1, 0
	v_mov_b32_e32 v4, s18
	s_and_b64 vcc, vcc, s[2:3]
	v_mov_b32_e32 v5, s19
	v_cndmask_b32_e32 v4, v4, v2, vcc
	v_cndmask_b32_e32 v5, v5, v3, vcc
	v_cndmask_b32_e64 v1, v6, v1, s[0:1]
	v_cndmask_b32_e64 v5, v3, v5, s[0:1]
	;; [unrolled: 1-line block ×3, first 2 shown]
.LBB985_131:
	s_or_b64 s[10:11], s[10:11], exec
.LBB985_132:
	s_or_b64 exec, exec, s[8:9]
	s_branch .LBB985_208
.LBB985_133:
	s_cmp_gt_i32 s33, 1
	s_cbranch_scc0 .LBB985_153
; %bb.134:
	s_cmp_eq_u32 s33, 2
	s_cbranch_scc0 .LBB985_154
; %bb.135:
	s_mov_b32 s7, 0
	s_lshl_b32 s8, s6, 9
	s_mov_b32 s9, s7
	s_lshr_b64 s[0:1], s[22:23], 9
	s_lshl_b64 s[2:3], s[8:9], 2
	s_add_u32 s2, s24, s2
	s_addc_u32 s3, s25, s3
	s_add_u32 s14, s20, s8
	s_addc_u32 s15, s21, 0
	s_cmp_lg_u64 s[0:1], s[6:7]
	s_cbranch_scc0 .LBB985_155
; %bb.136:
	s_waitcnt lgkmcnt(2)
	v_lshlrev_b32_e32 v1, 2, v0
	global_load_dword v2, v1, s[2:3] offset:1024
	global_load_dword v3, v1, s[2:3]
	v_mov_b32_e32 v1, s15
	s_waitcnt lgkmcnt(1)
	v_add_co_u32_e32 v4, vcc, s14, v0
	v_addc_co_u32_e32 v1, vcc, 0, v1, vcc
	s_waitcnt lgkmcnt(0)
	v_add_co_u32_e32 v5, vcc, 0x100, v4
	v_addc_co_u32_e32 v6, vcc, 0, v1, vcc
	s_waitcnt vmcnt(1)
	v_cmp_eq_u32_e32 vcc, s31, v2
	s_waitcnt vmcnt(0)
	v_cmp_eq_u32_e64 s[0:1], s31, v3
	v_cndmask_b32_e64 v3, v6, v1, s[0:1]
	v_cndmask_b32_e64 v2, v5, v4, s[0:1]
	s_or_b64 s[0:1], s[0:1], vcc
	v_cndmask_b32_e64 v1, 0, 1, s[0:1]
	v_mov_b32_dpp v4, v2 quad_perm:[1,0,3,2] row_mask:0xf bank_mask:0xf bound_ctrl:1
	v_mov_b32_dpp v5, v3 quad_perm:[1,0,3,2] row_mask:0xf bank_mask:0xf bound_ctrl:1
	;; [unrolled: 1-line block ×3, first 2 shown]
	v_and_b32_e32 v7, 1, v6
	v_cmp_eq_u32_e32 vcc, 1, v7
	s_and_saveexec_b64 s[12:13], vcc
; %bb.137:
	v_cmp_lt_i64_e32 vcc, v[2:3], v[4:5]
	v_cndmask_b32_e64 v6, v6, 1, s[0:1]
	s_and_b64 vcc, s[0:1], vcc
	v_cndmask_b32_e32 v2, v4, v2, vcc
	v_and_b32_e32 v4, 1, v6
	v_cndmask_b32_e32 v3, v5, v3, vcc
	v_cmp_eq_u32_e32 vcc, 1, v4
	s_andn2_b64 s[0:1], s[0:1], exec
	s_and_b64 s[16:17], vcc, exec
	v_and_b32_e32 v1, 0xff, v6
	s_or_b64 s[0:1], s[0:1], s[16:17]
; %bb.138:
	s_or_b64 exec, exec, s[12:13]
	v_mov_b32_dpp v6, v1 quad_perm:[2,3,0,1] row_mask:0xf bank_mask:0xf bound_ctrl:1
	v_and_b32_e32 v7, 1, v6
	v_mov_b32_dpp v4, v2 quad_perm:[2,3,0,1] row_mask:0xf bank_mask:0xf bound_ctrl:1
	v_mov_b32_dpp v5, v3 quad_perm:[2,3,0,1] row_mask:0xf bank_mask:0xf bound_ctrl:1
	v_cmp_eq_u32_e32 vcc, 1, v7
	s_and_saveexec_b64 s[12:13], vcc
; %bb.139:
	v_cmp_lt_i64_e32 vcc, v[2:3], v[4:5]
	v_cndmask_b32_e64 v6, v6, 1, s[0:1]
	s_and_b64 vcc, s[0:1], vcc
	v_cndmask_b32_e32 v2, v4, v2, vcc
	v_and_b32_e32 v4, 1, v6
	v_cndmask_b32_e32 v3, v5, v3, vcc
	v_cmp_eq_u32_e32 vcc, 1, v4
	s_andn2_b64 s[0:1], s[0:1], exec
	s_and_b64 s[16:17], vcc, exec
	v_and_b32_e32 v1, 0xff, v6
	s_or_b64 s[0:1], s[0:1], s[16:17]
; %bb.140:
	s_or_b64 exec, exec, s[12:13]
	v_mov_b32_dpp v6, v1 row_ror:4 row_mask:0xf bank_mask:0xf bound_ctrl:1
	v_and_b32_e32 v7, 1, v6
	v_mov_b32_dpp v4, v2 row_ror:4 row_mask:0xf bank_mask:0xf bound_ctrl:1
	v_mov_b32_dpp v5, v3 row_ror:4 row_mask:0xf bank_mask:0xf bound_ctrl:1
	v_cmp_eq_u32_e32 vcc, 1, v7
	s_and_saveexec_b64 s[12:13], vcc
; %bb.141:
	v_cmp_lt_i64_e32 vcc, v[2:3], v[4:5]
	v_cndmask_b32_e64 v6, v6, 1, s[0:1]
	s_and_b64 vcc, s[0:1], vcc
	v_cndmask_b32_e32 v2, v4, v2, vcc
	v_and_b32_e32 v4, 1, v6
	v_cndmask_b32_e32 v3, v5, v3, vcc
	v_cmp_eq_u32_e32 vcc, 1, v4
	s_andn2_b64 s[0:1], s[0:1], exec
	s_and_b64 s[16:17], vcc, exec
	v_and_b32_e32 v1, 0xff, v6
	s_or_b64 s[0:1], s[0:1], s[16:17]
; %bb.142:
	s_or_b64 exec, exec, s[12:13]
	v_mov_b32_dpp v6, v1 row_ror:8 row_mask:0xf bank_mask:0xf bound_ctrl:1
	v_and_b32_e32 v7, 1, v6
	v_mov_b32_dpp v4, v2 row_ror:8 row_mask:0xf bank_mask:0xf bound_ctrl:1
	v_mov_b32_dpp v5, v3 row_ror:8 row_mask:0xf bank_mask:0xf bound_ctrl:1
	v_cmp_eq_u32_e32 vcc, 1, v7
	s_and_saveexec_b64 s[12:13], vcc
; %bb.143:
	v_cmp_lt_i64_e32 vcc, v[2:3], v[4:5]
	v_cndmask_b32_e64 v6, v6, 1, s[0:1]
	s_and_b64 vcc, s[0:1], vcc
	v_cndmask_b32_e32 v2, v4, v2, vcc
	v_and_b32_e32 v4, 1, v6
	v_cndmask_b32_e32 v3, v5, v3, vcc
	v_cmp_eq_u32_e32 vcc, 1, v4
	s_andn2_b64 s[0:1], s[0:1], exec
	s_and_b64 s[16:17], vcc, exec
	v_and_b32_e32 v1, 0xff, v6
	s_or_b64 s[0:1], s[0:1], s[16:17]
; %bb.144:
	s_or_b64 exec, exec, s[12:13]
	v_mov_b32_dpp v6, v1 row_bcast:15 row_mask:0xf bank_mask:0xf bound_ctrl:1
	v_and_b32_e32 v7, 1, v6
	v_mov_b32_dpp v4, v2 row_bcast:15 row_mask:0xf bank_mask:0xf bound_ctrl:1
	v_mov_b32_dpp v5, v3 row_bcast:15 row_mask:0xf bank_mask:0xf bound_ctrl:1
	v_cmp_eq_u32_e32 vcc, 1, v7
	s_and_saveexec_b64 s[12:13], vcc
; %bb.145:
	v_cmp_lt_i64_e32 vcc, v[2:3], v[4:5]
	v_cndmask_b32_e64 v6, v6, 1, s[0:1]
	s_and_b64 vcc, s[0:1], vcc
	v_cndmask_b32_e32 v2, v4, v2, vcc
	v_and_b32_e32 v4, 1, v6
	v_cndmask_b32_e32 v3, v5, v3, vcc
	v_cmp_eq_u32_e32 vcc, 1, v4
	s_andn2_b64 s[0:1], s[0:1], exec
	s_and_b64 s[16:17], vcc, exec
	v_and_b32_e32 v1, 0xff, v6
	s_or_b64 s[0:1], s[0:1], s[16:17]
; %bb.146:
	s_or_b64 exec, exec, s[12:13]
	v_mov_b32_dpp v6, v1 row_bcast:31 row_mask:0xf bank_mask:0xf bound_ctrl:1
	v_and_b32_e32 v7, 1, v6
	v_mov_b32_dpp v4, v2 row_bcast:31 row_mask:0xf bank_mask:0xf bound_ctrl:1
	v_mov_b32_dpp v5, v3 row_bcast:31 row_mask:0xf bank_mask:0xf bound_ctrl:1
	v_cmp_eq_u32_e32 vcc, 1, v7
	s_and_saveexec_b64 s[12:13], vcc
; %bb.147:
	v_cmp_lt_i64_e32 vcc, v[2:3], v[4:5]
	v_and_b32_e32 v1, 0xff, v6
	s_and_b64 vcc, s[0:1], vcc
	v_cndmask_b32_e32 v2, v4, v2, vcc
	v_cndmask_b32_e32 v3, v5, v3, vcc
	v_cndmask_b32_e64 v1, v1, 1, s[0:1]
; %bb.148:
	s_or_b64 exec, exec, s[12:13]
	v_mbcnt_lo_u32_b32 v4, -1, 0
	v_mbcnt_hi_u32_b32 v4, -1, v4
	v_bfrev_b32_e32 v5, 0.5
	v_lshl_or_b32 v5, v4, 2, v5
	ds_bpermute_b32 v6, v5, v1
	ds_bpermute_b32 v2, v5, v2
	;; [unrolled: 1-line block ×3, first 2 shown]
	v_cmp_eq_u32_e32 vcc, 0, v4
	s_and_saveexec_b64 s[0:1], vcc
	s_cbranch_execz .LBB985_150
; %bb.149:
	v_lshrrev_b32_e32 v1, 2, v0
	v_and_b32_e32 v1, 48, v1
	s_waitcnt lgkmcnt(2)
	ds_write_b8 v1, v6 offset:64
	s_waitcnt lgkmcnt(1)
	ds_write_b64 v1, v[2:3] offset:72
.LBB985_150:
	s_or_b64 exec, exec, s[0:1]
	v_cmp_gt_u32_e32 vcc, 64, v0
	s_waitcnt lgkmcnt(0)
	s_barrier
	s_and_saveexec_b64 s[12:13], vcc
	s_cbranch_execz .LBB985_152
; %bb.151:
	v_and_b32_e32 v1, 3, v4
	v_lshlrev_b32_e32 v2, 4, v1
	ds_read_u8 v5, v2 offset:64
	ds_read_b64 v[2:3], v2 offset:72
	v_cmp_ne_u32_e32 vcc, 3, v1
	v_addc_co_u32_e32 v6, vcc, 0, v4, vcc
	s_waitcnt lgkmcnt(1)
	v_and_b32_e32 v7, 0xff, v5
	v_lshlrev_b32_e32 v8, 2, v6
	ds_bpermute_b32 v9, v8, v7
	s_waitcnt lgkmcnt(1)
	ds_bpermute_b32 v6, v8, v2
	ds_bpermute_b32 v7, v8, v3
	v_and_b32_e32 v8, 1, v5
	s_waitcnt lgkmcnt(2)
	v_and_b32_e32 v10, 1, v9
	v_cmp_eq_u32_e64 s[0:1], 1, v10
	s_waitcnt lgkmcnt(0)
	v_cmp_lt_i64_e32 vcc, v[6:7], v[2:3]
	s_and_b64 vcc, s[0:1], vcc
	v_cndmask_b32_e64 v5, v5, 1, s[0:1]
	v_cndmask_b32_e32 v2, v2, v6, vcc
	v_cndmask_b32_e32 v3, v3, v7, vcc
	v_cmp_eq_u32_e32 vcc, 1, v8
	v_cndmask_b32_e32 v8, v9, v5, vcc
	v_cndmask_b32_e32 v3, v7, v3, vcc
	;; [unrolled: 1-line block ×3, first 2 shown]
	v_cmp_gt_u32_e32 vcc, 2, v1
	v_cndmask_b32_e64 v1, 0, 1, vcc
	v_lshlrev_b32_e32 v1, 1, v1
	v_and_b32_e32 v5, 0xff, v8
	v_add_lshl_u32 v1, v1, v4, 2
	ds_bpermute_b32 v6, v1, v5
	ds_bpermute_b32 v4, v1, v2
	;; [unrolled: 1-line block ×3, first 2 shown]
	v_and_b32_e32 v1, 1, v8
	s_waitcnt lgkmcnt(2)
	v_and_b32_e32 v7, 1, v6
	v_cmp_eq_u32_e64 s[0:1], 1, v7
	s_waitcnt lgkmcnt(0)
	v_cmp_lt_i64_e32 vcc, v[4:5], v[2:3]
	s_and_b64 vcc, s[0:1], vcc
	v_cndmask_b32_e64 v7, v8, 1, s[0:1]
	v_cndmask_b32_e32 v2, v2, v4, vcc
	v_cndmask_b32_e32 v3, v3, v5, vcc
	v_cmp_eq_u32_e32 vcc, 1, v1
	v_cndmask_b32_e32 v1, v6, v7, vcc
	v_cndmask_b32_e32 v3, v5, v3, vcc
	;; [unrolled: 1-line block ×3, first 2 shown]
	v_and_b32_e32 v6, 0xff, v1
.LBB985_152:
	s_or_b64 exec, exec, s[12:13]
	s_branch .LBB985_183
.LBB985_153:
                                        ; implicit-def: $vgpr4_vgpr5
                                        ; implicit-def: $vgpr1
	s_cbranch_execnz .LBB985_188
	s_branch .LBB985_208
.LBB985_154:
                                        ; implicit-def: $vgpr4_vgpr5
                                        ; implicit-def: $vgpr1
	s_branch .LBB985_208
.LBB985_155:
                                        ; implicit-def: $vgpr2_vgpr3
                                        ; implicit-def: $vgpr6
	s_cbranch_execz .LBB985_183
; %bb.156:
	s_sub_i32 s12, s22, s8
	s_waitcnt lgkmcnt(0)
	v_pk_mov_b32 v[4:5], 0, 0
	v_cmp_gt_u32_e32 vcc, s12, v0
	v_mov_b32_e32 v1, 0
	v_pk_mov_b32 v[2:3], v[4:5], v[4:5] op_sel:[0,1]
	v_mov_b32_e32 v7, 0
	s_and_saveexec_b64 s[0:1], vcc
	s_cbranch_execz .LBB985_158
; %bb.157:
	v_lshlrev_b32_e32 v2, 2, v0
	global_load_dword v6, v2, s[2:3]
	v_mov_b32_e32 v3, s15
	v_add_co_u32_e32 v2, vcc, s14, v0
	v_addc_co_u32_e32 v3, vcc, 0, v3, vcc
	s_waitcnt vmcnt(0)
	v_cmp_eq_u32_e32 vcc, s31, v6
	v_cndmask_b32_e64 v7, 0, 1, vcc
.LBB985_158:
	s_or_b64 exec, exec, s[0:1]
	v_or_b32_e32 v6, 0x100, v0
	v_cmp_gt_u32_e32 vcc, s12, v6
	s_and_saveexec_b64 s[8:9], vcc
	s_cbranch_execz .LBB985_160
; %bb.159:
	v_lshlrev_b32_e32 v1, 2, v0
	global_load_dword v1, v1, s[2:3] offset:1024
	v_mov_b32_e32 v5, s15
	v_add_co_u32_e64 v4, s[0:1], s14, v6
	v_addc_co_u32_e64 v5, s[0:1], 0, v5, s[0:1]
	s_waitcnt vmcnt(0)
	v_cmp_eq_u32_e64 s[0:1], s31, v1
	v_cndmask_b32_e64 v1, 0, 1, s[0:1]
.LBB985_160:
	s_or_b64 exec, exec, s[8:9]
	s_and_saveexec_b64 s[2:3], vcc
	s_cbranch_execz .LBB985_162
; %bb.161:
	v_and_b32_e32 v8, 1, v1
	v_cmp_lt_i64_e32 vcc, v[4:5], v[2:3]
	v_cmp_eq_u32_e64 s[0:1], 1, v8
	v_and_b32_e32 v6, 1, v7
	s_and_b64 vcc, s[0:1], vcc
	v_cndmask_b32_e64 v7, v7, 1, s[0:1]
	v_cndmask_b32_e32 v2, v2, v4, vcc
	v_cndmask_b32_e32 v3, v3, v5, vcc
	v_cmp_eq_u32_e32 vcc, 1, v6
	v_cndmask_b32_e32 v7, v1, v7, vcc
	v_cndmask_b32_e32 v3, v5, v3, vcc
	;; [unrolled: 1-line block ×3, first 2 shown]
.LBB985_162:
	s_or_b64 exec, exec, s[2:3]
	v_mbcnt_lo_u32_b32 v1, -1, 0
	v_mbcnt_hi_u32_b32 v1, -1, v1
	v_and_b32_e32 v8, 63, v1
	v_cmp_ne_u32_e32 vcc, 63, v8
	v_addc_co_u32_e32 v4, vcc, 0, v1, vcc
	v_and_b32_e32 v6, 0xffff, v7
	v_lshlrev_b32_e32 v5, 2, v4
	ds_bpermute_b32 v10, v5, v6
	ds_bpermute_b32 v4, v5, v2
	;; [unrolled: 1-line block ×3, first 2 shown]
	s_min_u32 s8, s12, 0x100
	v_and_b32_e32 v9, 0xc0, v0
	v_sub_u32_e64 v9, s8, v9 clamp
	v_add_u32_e32 v11, 1, v8
	v_cmp_lt_u32_e32 vcc, v11, v9
	s_and_saveexec_b64 s[2:3], vcc
	s_cbranch_execz .LBB985_164
; %bb.163:
	s_waitcnt lgkmcnt(2)
	v_and_b32_e32 v11, 1, v10
	s_waitcnt lgkmcnt(0)
	v_cmp_lt_i64_e32 vcc, v[4:5], v[2:3]
	v_cmp_eq_u32_e64 s[0:1], 1, v11
	v_and_b32_e32 v6, 1, v7
	s_and_b64 vcc, s[0:1], vcc
	v_cndmask_b32_e64 v7, v7, 1, s[0:1]
	v_cndmask_b32_e32 v2, v2, v4, vcc
	v_cndmask_b32_e32 v3, v3, v5, vcc
	v_cmp_eq_u32_e32 vcc, 1, v6
	v_cndmask_b32_e32 v7, v10, v7, vcc
	v_cndmask_b32_e32 v3, v5, v3, vcc
	v_cndmask_b32_e32 v2, v4, v2, vcc
	v_and_b32_e32 v6, 0xff, v7
.LBB985_164:
	s_or_b64 exec, exec, s[2:3]
	v_cmp_gt_u32_e32 vcc, 62, v8
	s_waitcnt lgkmcnt(1)
	v_cndmask_b32_e64 v4, 0, 1, vcc
	v_lshlrev_b32_e32 v4, 1, v4
	s_waitcnt lgkmcnt(0)
	v_add_lshl_u32 v5, v4, v1, 2
	ds_bpermute_b32 v10, v5, v6
	ds_bpermute_b32 v4, v5, v2
	ds_bpermute_b32 v5, v5, v3
	v_add_u32_e32 v11, 2, v8
	v_cmp_lt_u32_e32 vcc, v11, v9
	s_and_saveexec_b64 s[2:3], vcc
	s_cbranch_execz .LBB985_166
; %bb.165:
	s_waitcnt lgkmcnt(2)
	v_and_b32_e32 v11, 1, v10
	s_waitcnt lgkmcnt(0)
	v_cmp_lt_i64_e32 vcc, v[4:5], v[2:3]
	v_cmp_eq_u32_e64 s[0:1], 1, v11
	v_and_b32_e32 v6, 1, v7
	s_and_b64 vcc, s[0:1], vcc
	v_cndmask_b32_e64 v7, v7, 1, s[0:1]
	v_cndmask_b32_e32 v2, v2, v4, vcc
	v_cndmask_b32_e32 v3, v3, v5, vcc
	v_cmp_eq_u32_e32 vcc, 1, v6
	v_cndmask_b32_e32 v7, v10, v7, vcc
	v_cndmask_b32_e32 v3, v5, v3, vcc
	v_cndmask_b32_e32 v2, v4, v2, vcc
	v_and_b32_e32 v6, 0xff, v7
.LBB985_166:
	s_or_b64 exec, exec, s[2:3]
	v_cmp_gt_u32_e32 vcc, 60, v8
	s_waitcnt lgkmcnt(1)
	v_cndmask_b32_e64 v4, 0, 1, vcc
	v_lshlrev_b32_e32 v4, 2, v4
	s_waitcnt lgkmcnt(0)
	v_add_lshl_u32 v5, v4, v1, 2
	ds_bpermute_b32 v10, v5, v6
	ds_bpermute_b32 v4, v5, v2
	ds_bpermute_b32 v5, v5, v3
	;; [unrolled: 31-line block ×5, first 2 shown]
	v_add_u32_e32 v8, 32, v8
	v_cmp_lt_u32_e32 vcc, v8, v9
	s_and_saveexec_b64 s[2:3], vcc
	s_cbranch_execz .LBB985_174
; %bb.173:
	s_waitcnt lgkmcnt(2)
	v_and_b32_e32 v8, 1, v10
	s_waitcnt lgkmcnt(0)
	v_cmp_lt_i64_e32 vcc, v[4:5], v[2:3]
	v_cmp_eq_u32_e64 s[0:1], 1, v8
	v_and_b32_e32 v6, 1, v7
	s_and_b64 vcc, s[0:1], vcc
	v_cndmask_b32_e64 v7, v7, 1, s[0:1]
	v_cndmask_b32_e32 v2, v2, v4, vcc
	v_cndmask_b32_e32 v3, v3, v5, vcc
	v_cmp_eq_u32_e32 vcc, 1, v6
	v_cndmask_b32_e32 v7, v10, v7, vcc
	v_cndmask_b32_e32 v3, v5, v3, vcc
	;; [unrolled: 1-line block ×3, first 2 shown]
	v_and_b32_e32 v6, 0xff, v7
.LBB985_174:
	s_or_b64 exec, exec, s[2:3]
	v_cmp_eq_u32_e32 vcc, 0, v1
	s_and_saveexec_b64 s[0:1], vcc
	s_cbranch_execz .LBB985_176
; %bb.175:
	s_waitcnt lgkmcnt(1)
	v_lshrrev_b32_e32 v4, 2, v0
	v_and_b32_e32 v4, 48, v4
	ds_write_b8 v4, v7 offset:256
	ds_write_b64 v4, v[2:3] offset:264
.LBB985_176:
	s_or_b64 exec, exec, s[0:1]
	v_cmp_gt_u32_e32 vcc, 4, v0
	s_waitcnt lgkmcnt(0)
	s_barrier
	s_and_saveexec_b64 s[2:3], vcc
	s_cbranch_execz .LBB985_182
; %bb.177:
	v_lshlrev_b32_e32 v2, 4, v1
	ds_read_u8 v7, v2 offset:256
	ds_read_b64 v[2:3], v2 offset:264
	v_and_b32_e32 v8, 3, v1
	v_cmp_ne_u32_e32 vcc, 3, v8
	v_addc_co_u32_e32 v4, vcc, 0, v1, vcc
	s_waitcnt lgkmcnt(1)
	v_and_b32_e32 v6, 0xff, v7
	v_lshlrev_b32_e32 v5, 2, v4
	ds_bpermute_b32 v9, v5, v6
	s_waitcnt lgkmcnt(1)
	ds_bpermute_b32 v4, v5, v2
	ds_bpermute_b32 v5, v5, v3
	s_add_i32 s8, s8, 63
	s_lshr_b32 s12, s8, 6
	v_add_u32_e32 v10, 1, v8
	v_cmp_gt_u32_e32 vcc, s12, v10
	s_and_saveexec_b64 s[8:9], vcc
	s_cbranch_execz .LBB985_179
; %bb.178:
	s_waitcnt lgkmcnt(2)
	v_and_b32_e32 v10, 1, v9
	s_waitcnt lgkmcnt(0)
	v_cmp_lt_i64_e32 vcc, v[4:5], v[2:3]
	v_cmp_eq_u32_e64 s[0:1], 1, v10
	v_and_b32_e32 v6, 1, v7
	s_and_b64 vcc, s[0:1], vcc
	v_cndmask_b32_e64 v7, v7, 1, s[0:1]
	v_cndmask_b32_e32 v2, v2, v4, vcc
	v_cndmask_b32_e32 v3, v3, v5, vcc
	v_cmp_eq_u32_e32 vcc, 1, v6
	v_cndmask_b32_e32 v7, v9, v7, vcc
	v_cndmask_b32_e32 v3, v5, v3, vcc
	;; [unrolled: 1-line block ×3, first 2 shown]
	v_and_b32_e32 v6, 0xff, v7
.LBB985_179:
	s_or_b64 exec, exec, s[8:9]
	v_cmp_gt_u32_e32 vcc, 2, v8
	s_waitcnt lgkmcnt(1)
	v_cndmask_b32_e64 v4, 0, 1, vcc
	v_lshlrev_b32_e32 v4, 1, v4
	s_waitcnt lgkmcnt(0)
	v_add_lshl_u32 v5, v4, v1, 2
	ds_bpermute_b32 v1, v5, v6
	ds_bpermute_b32 v4, v5, v2
	;; [unrolled: 1-line block ×3, first 2 shown]
	v_add_u32_e32 v8, 2, v8
	v_cmp_gt_u32_e32 vcc, s12, v8
	s_and_saveexec_b64 s[8:9], vcc
	s_cbranch_execz .LBB985_181
; %bb.180:
	s_waitcnt lgkmcnt(2)
	v_and_b32_e32 v8, 1, v1
	s_waitcnt lgkmcnt(0)
	v_cmp_lt_i64_e32 vcc, v[4:5], v[2:3]
	v_cmp_eq_u32_e64 s[0:1], 1, v8
	v_and_b32_e32 v6, 1, v7
	s_and_b64 vcc, s[0:1], vcc
	v_cndmask_b32_e64 v7, v7, 1, s[0:1]
	v_cndmask_b32_e32 v2, v2, v4, vcc
	v_cndmask_b32_e32 v3, v3, v5, vcc
	v_cmp_eq_u32_e32 vcc, 1, v6
	v_cndmask_b32_e32 v1, v1, v7, vcc
	v_cndmask_b32_e32 v3, v5, v3, vcc
	;; [unrolled: 1-line block ×3, first 2 shown]
	v_and_b32_e32 v6, 0xff, v1
.LBB985_181:
	s_or_b64 exec, exec, s[8:9]
.LBB985_182:
	s_or_b64 exec, exec, s[2:3]
.LBB985_183:
	v_cmp_eq_u32_e32 vcc, 0, v0
                                        ; implicit-def: $vgpr4_vgpr5
                                        ; implicit-def: $vgpr1
	s_and_saveexec_b64 s[0:1], vcc
	s_xor_b64 s[8:9], exec, s[0:1]
	s_cbranch_execz .LBB985_187
; %bb.184:
	s_cmp_eq_u64 s[22:23], 0
	s_waitcnt lgkmcnt(0)
	v_pk_mov_b32 v[4:5], s[18:19], s[18:19] op_sel:[0,1]
	v_mov_b32_e32 v1, s30
	s_cbranch_scc1 .LBB985_186
; %bb.185:
	v_and_b32_e32 v1, 1, v6
	s_bitcmp1_b32 s30, 0
	v_mov_b32_e32 v4, s30
	v_cmp_eq_u32_e32 vcc, 1, v1
	v_cmp_gt_i64_e64 s[2:3], s[18:19], v[2:3]
	v_cndmask_b32_e64 v1, v4, 1, vcc
	s_cselect_b64 s[0:1], -1, 0
	v_mov_b32_e32 v4, s18
	s_and_b64 vcc, vcc, s[2:3]
	v_mov_b32_e32 v5, s19
	v_cndmask_b32_e32 v4, v4, v2, vcc
	v_cndmask_b32_e32 v5, v5, v3, vcc
	v_cndmask_b32_e64 v1, v6, v1, s[0:1]
	v_cndmask_b32_e64 v5, v3, v5, s[0:1]
	;; [unrolled: 1-line block ×3, first 2 shown]
.LBB985_186:
	s_or_b64 s[10:11], s[10:11], exec
.LBB985_187:
	s_or_b64 exec, exec, s[8:9]
	s_branch .LBB985_208
.LBB985_188:
	s_cmp_eq_u32 s33, 1
	s_cbranch_scc0 .LBB985_207
; %bb.189:
	s_mov_b32 s3, 0
	s_lshl_b32 s2, s6, 8
	s_mov_b32 s7, s3
	s_lshr_b64 s[0:1], s[22:23], 8
	s_cmp_lg_u64 s[0:1], s[6:7]
	s_cbranch_scc0 .LBB985_211
; %bb.190:
	s_lshl_b64 s[0:1], s[2:3], 2
	s_add_u32 s0, s24, s0
	s_addc_u32 s1, s25, s1
	s_waitcnt lgkmcnt(2)
	v_lshlrev_b32_e32 v1, 2, v0
	global_load_dword v1, v1, s[0:1]
	s_add_u32 s0, s20, s2
	s_addc_u32 s1, s21, 0
	v_mov_b32_e32 v3, s1
	v_add_co_u32_e32 v2, vcc, s0, v0
	v_addc_co_u32_e32 v3, vcc, 0, v3, vcc
	s_waitcnt lgkmcnt(1)
	v_mov_b32_dpp v4, v2 quad_perm:[1,0,3,2] row_mask:0xf bank_mask:0xf bound_ctrl:1
	s_waitcnt lgkmcnt(0)
	v_mov_b32_dpp v5, v3 quad_perm:[1,0,3,2] row_mask:0xf bank_mask:0xf bound_ctrl:1
	s_waitcnt vmcnt(0)
	v_cmp_eq_u32_e32 vcc, s31, v1
	v_cndmask_b32_e64 v1, 0, 1, vcc
	v_cndmask_b32_e64 v6, 0, 1, vcc
	s_nop 0
	v_mov_b32_dpp v1, v1 quad_perm:[1,0,3,2] row_mask:0xf bank_mask:0xf bound_ctrl:1
	v_and_b32_e32 v7, 1, v1
	v_cmp_eq_u32_e64 s[0:1], 1, v7
	s_and_saveexec_b64 s[8:9], s[0:1]
; %bb.191:
	v_cmp_lt_i64_e64 s[0:1], v[2:3], v[4:5]
	v_cndmask_b32_e64 v6, v1, 1, vcc
	s_and_b64 vcc, vcc, s[0:1]
	v_cndmask_b32_e32 v3, v5, v3, vcc
	v_cndmask_b32_e32 v2, v4, v2, vcc
; %bb.192:
	s_or_b64 exec, exec, s[8:9]
	v_and_b32_e32 v1, 0xff, v6
	v_and_b32_e32 v6, 1, v6
	v_mov_b32_dpp v4, v2 quad_perm:[2,3,0,1] row_mask:0xf bank_mask:0xf bound_ctrl:1
	v_mov_b32_dpp v7, v1 quad_perm:[2,3,0,1] row_mask:0xf bank_mask:0xf bound_ctrl:1
	v_and_b32_e32 v8, 1, v7
	v_mov_b32_dpp v5, v3 quad_perm:[2,3,0,1] row_mask:0xf bank_mask:0xf bound_ctrl:1
	v_cmp_eq_u32_e32 vcc, 1, v8
	v_cmp_eq_u32_e64 s[0:1], 1, v6
	s_and_saveexec_b64 s[8:9], vcc
; %bb.193:
	v_cmp_lt_i64_e32 vcc, v[2:3], v[4:5]
	v_cndmask_b32_e64 v6, v7, 1, s[0:1]
	s_and_b64 vcc, s[0:1], vcc
	v_cndmask_b32_e32 v2, v4, v2, vcc
	v_and_b32_e32 v4, 1, v6
	v_cndmask_b32_e32 v3, v5, v3, vcc
	v_cmp_eq_u32_e32 vcc, 1, v4
	s_andn2_b64 s[0:1], s[0:1], exec
	s_and_b64 s[12:13], vcc, exec
	v_and_b32_e32 v1, 0xff, v6
	s_or_b64 s[0:1], s[0:1], s[12:13]
; %bb.194:
	s_or_b64 exec, exec, s[8:9]
	v_mov_b32_dpp v6, v1 row_ror:4 row_mask:0xf bank_mask:0xf bound_ctrl:1
	v_and_b32_e32 v7, 1, v6
	v_mov_b32_dpp v4, v2 row_ror:4 row_mask:0xf bank_mask:0xf bound_ctrl:1
	v_mov_b32_dpp v5, v3 row_ror:4 row_mask:0xf bank_mask:0xf bound_ctrl:1
	v_cmp_eq_u32_e32 vcc, 1, v7
	s_and_saveexec_b64 s[8:9], vcc
; %bb.195:
	v_cmp_lt_i64_e32 vcc, v[2:3], v[4:5]
	v_cndmask_b32_e64 v6, v6, 1, s[0:1]
	s_and_b64 vcc, s[0:1], vcc
	v_cndmask_b32_e32 v2, v4, v2, vcc
	v_and_b32_e32 v4, 1, v6
	v_cndmask_b32_e32 v3, v5, v3, vcc
	v_cmp_eq_u32_e32 vcc, 1, v4
	s_andn2_b64 s[0:1], s[0:1], exec
	s_and_b64 s[12:13], vcc, exec
	v_and_b32_e32 v1, 0xff, v6
	s_or_b64 s[0:1], s[0:1], s[12:13]
; %bb.196:
	s_or_b64 exec, exec, s[8:9]
	v_mov_b32_dpp v6, v1 row_ror:8 row_mask:0xf bank_mask:0xf bound_ctrl:1
	v_and_b32_e32 v7, 1, v6
	v_mov_b32_dpp v4, v2 row_ror:8 row_mask:0xf bank_mask:0xf bound_ctrl:1
	v_mov_b32_dpp v5, v3 row_ror:8 row_mask:0xf bank_mask:0xf bound_ctrl:1
	v_cmp_eq_u32_e32 vcc, 1, v7
	s_and_saveexec_b64 s[8:9], vcc
; %bb.197:
	v_cmp_lt_i64_e32 vcc, v[2:3], v[4:5]
	v_cndmask_b32_e64 v6, v6, 1, s[0:1]
	s_and_b64 vcc, s[0:1], vcc
	v_cndmask_b32_e32 v2, v4, v2, vcc
	v_and_b32_e32 v4, 1, v6
	v_cndmask_b32_e32 v3, v5, v3, vcc
	v_cmp_eq_u32_e32 vcc, 1, v4
	s_andn2_b64 s[0:1], s[0:1], exec
	s_and_b64 s[12:13], vcc, exec
	v_and_b32_e32 v1, 0xff, v6
	s_or_b64 s[0:1], s[0:1], s[12:13]
; %bb.198:
	s_or_b64 exec, exec, s[8:9]
	v_mov_b32_dpp v6, v1 row_bcast:15 row_mask:0xf bank_mask:0xf bound_ctrl:1
	v_and_b32_e32 v7, 1, v6
	v_mov_b32_dpp v4, v2 row_bcast:15 row_mask:0xf bank_mask:0xf bound_ctrl:1
	v_mov_b32_dpp v5, v3 row_bcast:15 row_mask:0xf bank_mask:0xf bound_ctrl:1
	v_cmp_eq_u32_e32 vcc, 1, v7
	s_and_saveexec_b64 s[8:9], vcc
; %bb.199:
	v_cmp_lt_i64_e32 vcc, v[2:3], v[4:5]
	v_cndmask_b32_e64 v6, v6, 1, s[0:1]
	s_and_b64 vcc, s[0:1], vcc
	v_cndmask_b32_e32 v2, v4, v2, vcc
	v_and_b32_e32 v4, 1, v6
	v_cndmask_b32_e32 v3, v5, v3, vcc
	v_cmp_eq_u32_e32 vcc, 1, v4
	s_andn2_b64 s[0:1], s[0:1], exec
	s_and_b64 s[12:13], vcc, exec
	v_and_b32_e32 v1, 0xff, v6
	s_or_b64 s[0:1], s[0:1], s[12:13]
; %bb.200:
	s_or_b64 exec, exec, s[8:9]
	v_mov_b32_dpp v6, v1 row_bcast:31 row_mask:0xf bank_mask:0xf bound_ctrl:1
	v_and_b32_e32 v7, 1, v6
	v_mov_b32_dpp v4, v2 row_bcast:31 row_mask:0xf bank_mask:0xf bound_ctrl:1
	v_mov_b32_dpp v5, v3 row_bcast:31 row_mask:0xf bank_mask:0xf bound_ctrl:1
	v_cmp_eq_u32_e32 vcc, 1, v7
	s_and_saveexec_b64 s[8:9], vcc
; %bb.201:
	v_cmp_lt_i64_e32 vcc, v[2:3], v[4:5]
	v_and_b32_e32 v1, 0xff, v6
	s_and_b64 vcc, s[0:1], vcc
	v_cndmask_b32_e32 v2, v4, v2, vcc
	v_cndmask_b32_e32 v3, v5, v3, vcc
	v_cndmask_b32_e64 v1, v1, 1, s[0:1]
; %bb.202:
	s_or_b64 exec, exec, s[8:9]
	v_mbcnt_lo_u32_b32 v4, -1, 0
	v_mbcnt_hi_u32_b32 v4, -1, v4
	v_bfrev_b32_e32 v5, 0.5
	v_lshl_or_b32 v5, v4, 2, v5
	ds_bpermute_b32 v6, v5, v1
	ds_bpermute_b32 v2, v5, v2
	;; [unrolled: 1-line block ×3, first 2 shown]
	v_cmp_eq_u32_e32 vcc, 0, v4
	s_and_saveexec_b64 s[0:1], vcc
	s_cbranch_execz .LBB985_204
; %bb.203:
	v_lshrrev_b32_e32 v1, 2, v0
	v_and_b32_e32 v1, 48, v1
	s_waitcnt lgkmcnt(2)
	ds_write_b8 v1, v6
	s_waitcnt lgkmcnt(1)
	ds_write_b64 v1, v[2:3] offset:8
.LBB985_204:
	s_or_b64 exec, exec, s[0:1]
	v_cmp_gt_u32_e32 vcc, 64, v0
	s_waitcnt lgkmcnt(0)
	s_barrier
	s_and_saveexec_b64 s[8:9], vcc
	s_cbranch_execz .LBB985_206
; %bb.205:
	v_and_b32_e32 v1, 3, v4
	v_lshlrev_b32_e32 v2, 4, v1
	ds_read_u8 v5, v2
	ds_read_b64 v[2:3], v2 offset:8
	v_cmp_ne_u32_e32 vcc, 3, v1
	v_addc_co_u32_e32 v6, vcc, 0, v4, vcc
	s_waitcnt lgkmcnt(1)
	v_and_b32_e32 v7, 0xff, v5
	v_lshlrev_b32_e32 v8, 2, v6
	ds_bpermute_b32 v9, v8, v7
	s_waitcnt lgkmcnt(1)
	ds_bpermute_b32 v6, v8, v2
	ds_bpermute_b32 v7, v8, v3
	v_and_b32_e32 v8, 1, v5
	s_waitcnt lgkmcnt(2)
	v_and_b32_e32 v10, 1, v9
	v_cmp_eq_u32_e64 s[0:1], 1, v10
	s_waitcnt lgkmcnt(0)
	v_cmp_lt_i64_e32 vcc, v[6:7], v[2:3]
	s_and_b64 vcc, s[0:1], vcc
	v_cndmask_b32_e64 v5, v5, 1, s[0:1]
	v_cndmask_b32_e32 v2, v2, v6, vcc
	v_cndmask_b32_e32 v3, v3, v7, vcc
	v_cmp_eq_u32_e32 vcc, 1, v8
	v_cndmask_b32_e32 v8, v9, v5, vcc
	v_cndmask_b32_e32 v3, v7, v3, vcc
	;; [unrolled: 1-line block ×3, first 2 shown]
	v_cmp_gt_u32_e32 vcc, 2, v1
	v_cndmask_b32_e64 v1, 0, 1, vcc
	v_lshlrev_b32_e32 v1, 1, v1
	v_and_b32_e32 v5, 0xff, v8
	v_add_lshl_u32 v1, v1, v4, 2
	ds_bpermute_b32 v6, v1, v5
	ds_bpermute_b32 v4, v1, v2
	;; [unrolled: 1-line block ×3, first 2 shown]
	v_and_b32_e32 v1, 1, v8
	s_waitcnt lgkmcnt(2)
	v_and_b32_e32 v7, 1, v6
	v_cmp_eq_u32_e64 s[0:1], 1, v7
	s_waitcnt lgkmcnt(0)
	v_cmp_lt_i64_e32 vcc, v[4:5], v[2:3]
	s_and_b64 vcc, s[0:1], vcc
	v_cndmask_b32_e64 v7, v8, 1, s[0:1]
	v_cndmask_b32_e32 v2, v2, v4, vcc
	v_cndmask_b32_e32 v3, v3, v5, vcc
	v_cmp_eq_u32_e32 vcc, 1, v1
	v_cndmask_b32_e32 v1, v6, v7, vcc
	v_cndmask_b32_e32 v3, v5, v3, vcc
	;; [unrolled: 1-line block ×3, first 2 shown]
	v_and_b32_e32 v6, 0xff, v1
.LBB985_206:
	s_or_b64 exec, exec, s[8:9]
	s_branch .LBB985_235
.LBB985_207:
                                        ; implicit-def: $vgpr4_vgpr5
                                        ; implicit-def: $vgpr1
                                        ; implicit-def: $sgpr6_sgpr7
.LBB985_208:
	s_and_saveexec_b64 s[0:1], s[10:11]
	s_cbranch_execz .LBB985_210
.LBB985_209:
	s_load_dwordx2 s[0:1], s[4:5], 0x28
	s_lshl_b64 s[2:3], s[6:7], 4
	v_mov_b32_e32 v0, 0
	s_waitcnt lgkmcnt(0)
	s_add_u32 s0, s0, s2
	s_addc_u32 s1, s1, s3
	global_store_byte v0, v1, s[0:1]
	global_store_dwordx2 v0, v[4:5], s[0:1] offset:8
.LBB985_210:
	s_endpgm
.LBB985_211:
                                        ; implicit-def: $vgpr2_vgpr3
                                        ; implicit-def: $vgpr6
	s_cbranch_execz .LBB985_235
; %bb.212:
	s_sub_i32 s8, s22, s2
	v_cmp_gt_u32_e32 vcc, s8, v0
	v_pk_mov_b32 v[2:3], 0, 0
	v_mov_b32_e32 v7, 0
	s_and_saveexec_b64 s[0:1], vcc
	s_cbranch_execz .LBB985_214
; %bb.213:
	s_add_u32 s9, s20, s2
	s_addc_u32 s12, s21, 0
	s_lshl_b64 s[2:3], s[2:3], 2
	s_add_u32 s2, s24, s2
	s_addc_u32 s3, s25, s3
	s_waitcnt lgkmcnt(2)
	v_lshlrev_b32_e32 v1, 2, v0
	global_load_dword v1, v1, s[2:3]
	v_mov_b32_e32 v3, s12
	v_add_co_u32_e32 v2, vcc, s9, v0
	v_addc_co_u32_e32 v3, vcc, 0, v3, vcc
	s_waitcnt vmcnt(0)
	v_cmp_eq_u32_e32 vcc, s31, v1
	v_cndmask_b32_e64 v7, 0, 1, vcc
.LBB985_214:
	s_or_b64 exec, exec, s[0:1]
	s_waitcnt lgkmcnt(2)
	v_mbcnt_lo_u32_b32 v1, -1, 0
	v_mbcnt_hi_u32_b32 v1, -1, v1
	v_and_b32_e32 v8, 63, v1
	v_cmp_ne_u32_e32 vcc, 63, v8
	s_waitcnt lgkmcnt(1)
	v_addc_co_u32_e32 v4, vcc, 0, v1, vcc
	v_and_b32_e32 v6, 0xffff, v7
	s_waitcnt lgkmcnt(0)
	v_lshlrev_b32_e32 v5, 2, v4
	ds_bpermute_b32 v10, v5, v6
	ds_bpermute_b32 v4, v5, v2
	;; [unrolled: 1-line block ×3, first 2 shown]
	s_min_u32 s8, s8, 0x100
	v_and_b32_e32 v9, 0xc0, v0
	v_sub_u32_e64 v9, s8, v9 clamp
	v_add_u32_e32 v11, 1, v8
	v_cmp_lt_u32_e32 vcc, v11, v9
	s_and_saveexec_b64 s[2:3], vcc
	s_cbranch_execz .LBB985_216
; %bb.215:
	s_waitcnt lgkmcnt(2)
	v_and_b32_e32 v11, 1, v10
	s_waitcnt lgkmcnt(0)
	v_cmp_lt_i64_e32 vcc, v[4:5], v[2:3]
	v_cmp_eq_u32_e64 s[0:1], 1, v11
	v_and_b32_e32 v6, 1, v7
	s_and_b64 vcc, s[0:1], vcc
	v_cndmask_b32_e64 v7, v7, 1, s[0:1]
	v_cndmask_b32_e32 v2, v2, v4, vcc
	v_cndmask_b32_e32 v3, v3, v5, vcc
	v_cmp_eq_u32_e32 vcc, 1, v6
	v_cndmask_b32_e32 v7, v10, v7, vcc
	v_cndmask_b32_e32 v3, v5, v3, vcc
	v_cndmask_b32_e32 v2, v4, v2, vcc
	v_and_b32_e32 v6, 0xff, v7
.LBB985_216:
	s_or_b64 exec, exec, s[2:3]
	v_cmp_gt_u32_e32 vcc, 62, v8
	s_waitcnt lgkmcnt(1)
	v_cndmask_b32_e64 v4, 0, 1, vcc
	v_lshlrev_b32_e32 v4, 1, v4
	s_waitcnt lgkmcnt(0)
	v_add_lshl_u32 v5, v4, v1, 2
	ds_bpermute_b32 v10, v5, v6
	ds_bpermute_b32 v4, v5, v2
	ds_bpermute_b32 v5, v5, v3
	v_add_u32_e32 v11, 2, v8
	v_cmp_lt_u32_e32 vcc, v11, v9
	s_and_saveexec_b64 s[2:3], vcc
	s_cbranch_execz .LBB985_218
; %bb.217:
	s_waitcnt lgkmcnt(2)
	v_and_b32_e32 v11, 1, v10
	s_waitcnt lgkmcnt(0)
	v_cmp_lt_i64_e32 vcc, v[4:5], v[2:3]
	v_cmp_eq_u32_e64 s[0:1], 1, v11
	v_and_b32_e32 v6, 1, v7
	s_and_b64 vcc, s[0:1], vcc
	v_cndmask_b32_e64 v7, v7, 1, s[0:1]
	v_cndmask_b32_e32 v2, v2, v4, vcc
	v_cndmask_b32_e32 v3, v3, v5, vcc
	v_cmp_eq_u32_e32 vcc, 1, v6
	v_cndmask_b32_e32 v7, v10, v7, vcc
	v_cndmask_b32_e32 v3, v5, v3, vcc
	v_cndmask_b32_e32 v2, v4, v2, vcc
	v_and_b32_e32 v6, 0xff, v7
.LBB985_218:
	s_or_b64 exec, exec, s[2:3]
	v_cmp_gt_u32_e32 vcc, 60, v8
	s_waitcnt lgkmcnt(1)
	v_cndmask_b32_e64 v4, 0, 1, vcc
	v_lshlrev_b32_e32 v4, 2, v4
	s_waitcnt lgkmcnt(0)
	v_add_lshl_u32 v5, v4, v1, 2
	ds_bpermute_b32 v10, v5, v6
	ds_bpermute_b32 v4, v5, v2
	ds_bpermute_b32 v5, v5, v3
	;; [unrolled: 31-line block ×5, first 2 shown]
	v_add_u32_e32 v8, 32, v8
	v_cmp_lt_u32_e32 vcc, v8, v9
	s_and_saveexec_b64 s[2:3], vcc
	s_cbranch_execz .LBB985_226
; %bb.225:
	s_waitcnt lgkmcnt(2)
	v_and_b32_e32 v8, 1, v10
	s_waitcnt lgkmcnt(0)
	v_cmp_lt_i64_e32 vcc, v[4:5], v[2:3]
	v_cmp_eq_u32_e64 s[0:1], 1, v8
	v_and_b32_e32 v6, 1, v7
	s_and_b64 vcc, s[0:1], vcc
	v_cndmask_b32_e64 v7, v7, 1, s[0:1]
	v_cndmask_b32_e32 v2, v2, v4, vcc
	v_cndmask_b32_e32 v3, v3, v5, vcc
	v_cmp_eq_u32_e32 vcc, 1, v6
	v_cndmask_b32_e32 v7, v10, v7, vcc
	v_cndmask_b32_e32 v3, v5, v3, vcc
	;; [unrolled: 1-line block ×3, first 2 shown]
	v_and_b32_e32 v6, 0xff, v7
.LBB985_226:
	s_or_b64 exec, exec, s[2:3]
	v_cmp_eq_u32_e32 vcc, 0, v1
	s_and_saveexec_b64 s[0:1], vcc
	s_cbranch_execz .LBB985_228
; %bb.227:
	s_waitcnt lgkmcnt(1)
	v_lshrrev_b32_e32 v4, 2, v0
	v_and_b32_e32 v4, 48, v4
	ds_write_b8 v4, v7 offset:256
	ds_write_b64 v4, v[2:3] offset:264
.LBB985_228:
	s_or_b64 exec, exec, s[0:1]
	v_cmp_gt_u32_e32 vcc, 4, v0
	s_waitcnt lgkmcnt(0)
	s_barrier
	s_and_saveexec_b64 s[2:3], vcc
	s_cbranch_execz .LBB985_234
; %bb.229:
	v_lshlrev_b32_e32 v2, 4, v1
	ds_read_u8 v7, v2 offset:256
	ds_read_b64 v[2:3], v2 offset:264
	v_and_b32_e32 v8, 3, v1
	v_cmp_ne_u32_e32 vcc, 3, v8
	v_addc_co_u32_e32 v4, vcc, 0, v1, vcc
	s_waitcnt lgkmcnt(1)
	v_and_b32_e32 v6, 0xff, v7
	v_lshlrev_b32_e32 v5, 2, v4
	ds_bpermute_b32 v9, v5, v6
	s_waitcnt lgkmcnt(1)
	ds_bpermute_b32 v4, v5, v2
	ds_bpermute_b32 v5, v5, v3
	s_add_i32 s8, s8, 63
	s_lshr_b32 s12, s8, 6
	v_add_u32_e32 v10, 1, v8
	v_cmp_gt_u32_e32 vcc, s12, v10
	s_and_saveexec_b64 s[8:9], vcc
	s_cbranch_execz .LBB985_231
; %bb.230:
	s_waitcnt lgkmcnt(2)
	v_and_b32_e32 v10, 1, v9
	s_waitcnt lgkmcnt(0)
	v_cmp_lt_i64_e32 vcc, v[4:5], v[2:3]
	v_cmp_eq_u32_e64 s[0:1], 1, v10
	v_and_b32_e32 v6, 1, v7
	s_and_b64 vcc, s[0:1], vcc
	v_cndmask_b32_e64 v7, v7, 1, s[0:1]
	v_cndmask_b32_e32 v2, v2, v4, vcc
	v_cndmask_b32_e32 v3, v3, v5, vcc
	v_cmp_eq_u32_e32 vcc, 1, v6
	v_cndmask_b32_e32 v7, v9, v7, vcc
	v_cndmask_b32_e32 v3, v5, v3, vcc
	;; [unrolled: 1-line block ×3, first 2 shown]
	v_and_b32_e32 v6, 0xff, v7
.LBB985_231:
	s_or_b64 exec, exec, s[8:9]
	v_cmp_gt_u32_e32 vcc, 2, v8
	s_waitcnt lgkmcnt(1)
	v_cndmask_b32_e64 v4, 0, 1, vcc
	v_lshlrev_b32_e32 v4, 1, v4
	s_waitcnt lgkmcnt(0)
	v_add_lshl_u32 v5, v4, v1, 2
	ds_bpermute_b32 v1, v5, v6
	ds_bpermute_b32 v4, v5, v2
	;; [unrolled: 1-line block ×3, first 2 shown]
	v_add_u32_e32 v8, 2, v8
	v_cmp_gt_u32_e32 vcc, s12, v8
	s_and_saveexec_b64 s[8:9], vcc
	s_cbranch_execz .LBB985_233
; %bb.232:
	s_waitcnt lgkmcnt(2)
	v_and_b32_e32 v8, 1, v1
	s_waitcnt lgkmcnt(0)
	v_cmp_lt_i64_e32 vcc, v[4:5], v[2:3]
	v_cmp_eq_u32_e64 s[0:1], 1, v8
	v_and_b32_e32 v6, 1, v7
	s_and_b64 vcc, s[0:1], vcc
	v_cndmask_b32_e64 v7, v7, 1, s[0:1]
	v_cndmask_b32_e32 v2, v2, v4, vcc
	v_cndmask_b32_e32 v3, v3, v5, vcc
	v_cmp_eq_u32_e32 vcc, 1, v6
	v_cndmask_b32_e32 v1, v1, v7, vcc
	v_cndmask_b32_e32 v3, v5, v3, vcc
	;; [unrolled: 1-line block ×3, first 2 shown]
	v_and_b32_e32 v6, 0xff, v1
.LBB985_233:
	s_or_b64 exec, exec, s[8:9]
.LBB985_234:
	s_or_b64 exec, exec, s[2:3]
.LBB985_235:
	v_cmp_eq_u32_e32 vcc, 0, v0
                                        ; implicit-def: $vgpr4_vgpr5
                                        ; implicit-def: $vgpr1
	s_and_saveexec_b64 s[8:9], vcc
	s_cbranch_execz .LBB985_239
; %bb.236:
	s_cmp_eq_u64 s[22:23], 0
	s_waitcnt lgkmcnt(0)
	v_pk_mov_b32 v[4:5], s[18:19], s[18:19] op_sel:[0,1]
	v_mov_b32_e32 v1, s30
	s_cbranch_scc1 .LBB985_238
; %bb.237:
	v_and_b32_e32 v0, 1, v6
	s_bitcmp1_b32 s30, 0
	v_mov_b32_e32 v1, s30
	v_cmp_eq_u32_e32 vcc, 1, v0
	v_cmp_gt_i64_e64 s[2:3], s[18:19], v[2:3]
	v_cndmask_b32_e64 v0, v1, 1, vcc
	s_cselect_b64 s[0:1], -1, 0
	v_mov_b32_e32 v1, s18
	s_and_b64 vcc, vcc, s[2:3]
	v_cndmask_b32_e32 v4, v1, v2, vcc
	v_mov_b32_e32 v1, s19
	v_cndmask_b32_e32 v5, v1, v3, vcc
	v_cndmask_b32_e64 v1, v6, v0, s[0:1]
	v_cndmask_b32_e64 v5, v3, v5, s[0:1]
	;; [unrolled: 1-line block ×3, first 2 shown]
.LBB985_238:
	s_or_b64 s[10:11], s[10:11], exec
.LBB985_239:
	s_or_b64 exec, exec, s[8:9]
	s_and_saveexec_b64 s[0:1], s[10:11]
	s_cbranch_execnz .LBB985_209
	s_branch .LBB985_210
.LBB985_240:
	v_lshlrev_b32_e32 v4, 2, v25
	global_load_dword v18, v4, s[16:17]
	v_mov_b32_e32 v5, s35
	v_add_co_u32_e64 v4, s[16:17], s34, v25
	v_addc_co_u32_e64 v5, s[16:17], 0, v5, s[16:17]
	s_waitcnt vmcnt(0)
	v_cmp_eq_u32_e64 s[16:17], s31, v18
	v_cndmask_b32_e64 v18, 0, 1, s[16:17]
	s_or_b64 exec, exec, s[28:29]
	s_and_saveexec_b64 s[28:29], s[14:15]
	s_cbranch_execz .LBB985_61
.LBB985_241:
	v_and_b32_e32 v26, 1, v21
	v_cmp_lt_i64_e64 s[14:15], v[10:11], v[2:3]
	v_cmp_eq_u32_e64 s[16:17], 1, v26
	v_and_b32_e32 v25, 1, v1
	s_and_b64 s[14:15], s[16:17], s[14:15]
	v_cndmask_b32_e64 v1, v1, 1, s[16:17]
	v_cndmask_b32_e64 v2, v2, v10, s[14:15]
	;; [unrolled: 1-line block ×3, first 2 shown]
	v_cmp_eq_u32_e64 s[14:15], 1, v25
	v_cndmask_b32_e64 v1, v21, v1, s[14:15]
	v_cndmask_b32_e64 v3, v11, v3, s[14:15]
	;; [unrolled: 1-line block ×3, first 2 shown]
	s_or_b64 exec, exec, s[28:29]
	s_and_saveexec_b64 s[16:17], s[12:13]
	s_cbranch_execz .LBB985_62
.LBB985_242:
	v_and_b32_e32 v11, 1, v24
	v_cmp_lt_i64_e64 s[12:13], v[16:17], v[2:3]
	v_cmp_eq_u32_e64 s[14:15], 1, v11
	v_and_b32_e32 v10, 1, v1
	s_and_b64 s[12:13], s[14:15], s[12:13]
	v_cndmask_b32_e64 v1, v1, 1, s[14:15]
	v_cndmask_b32_e64 v2, v2, v16, s[12:13]
	v_cndmask_b32_e64 v3, v3, v17, s[12:13]
	v_cmp_eq_u32_e64 s[12:13], 1, v10
	v_cndmask_b32_e64 v1, v24, v1, s[12:13]
	v_cndmask_b32_e64 v3, v17, v3, s[12:13]
	v_cndmask_b32_e64 v2, v16, v2, s[12:13]
	s_or_b64 exec, exec, s[16:17]
	s_and_saveexec_b64 s[14:15], s[10:11]
	s_cbranch_execz .LBB985_63
.LBB985_243:
	v_and_b32_e32 v11, 1, v20
	v_cmp_lt_i64_e64 s[10:11], v[8:9], v[2:3]
	v_cmp_eq_u32_e64 s[12:13], 1, v11
	v_and_b32_e32 v10, 1, v1
	s_and_b64 s[10:11], s[12:13], s[10:11]
	v_cndmask_b32_e64 v1, v1, 1, s[12:13]
	v_cndmask_b32_e64 v2, v2, v8, s[10:11]
	;; [unrolled: 1-line block ×3, first 2 shown]
	v_cmp_eq_u32_e64 s[10:11], 1, v10
	v_cndmask_b32_e64 v1, v20, v1, s[10:11]
	v_cndmask_b32_e64 v3, v9, v3, s[10:11]
	;; [unrolled: 1-line block ×3, first 2 shown]
	s_or_b64 exec, exec, s[14:15]
	s_and_saveexec_b64 s[12:13], s[8:9]
	s_cbranch_execz .LBB985_64
.LBB985_244:
	v_and_b32_e32 v9, 1, v23
	v_cmp_lt_i64_e64 s[8:9], v[14:15], v[2:3]
	v_cmp_eq_u32_e64 s[10:11], 1, v9
	v_and_b32_e32 v8, 1, v1
	s_and_b64 s[8:9], s[10:11], s[8:9]
	v_cndmask_b32_e64 v1, v1, 1, s[10:11]
	v_cndmask_b32_e64 v2, v2, v14, s[8:9]
	;; [unrolled: 1-line block ×3, first 2 shown]
	v_cmp_eq_u32_e64 s[8:9], 1, v8
	v_cndmask_b32_e64 v1, v23, v1, s[8:9]
	v_cndmask_b32_e64 v3, v15, v3, s[8:9]
	;; [unrolled: 1-line block ×3, first 2 shown]
	s_or_b64 exec, exec, s[12:13]
	s_and_saveexec_b64 s[10:11], s[2:3]
	s_cbranch_execz .LBB985_65
.LBB985_245:
	v_and_b32_e32 v9, 1, v19
	v_cmp_lt_i64_e64 s[2:3], v[6:7], v[2:3]
	v_cmp_eq_u32_e64 s[8:9], 1, v9
	v_and_b32_e32 v8, 1, v1
	s_and_b64 s[2:3], s[8:9], s[2:3]
	v_cndmask_b32_e64 v1, v1, 1, s[8:9]
	v_cndmask_b32_e64 v2, v2, v6, s[2:3]
	;; [unrolled: 1-line block ×3, first 2 shown]
	v_cmp_eq_u32_e64 s[2:3], 1, v8
	v_cndmask_b32_e64 v1, v19, v1, s[2:3]
	v_cndmask_b32_e64 v3, v7, v3, s[2:3]
	;; [unrolled: 1-line block ×3, first 2 shown]
	s_or_b64 exec, exec, s[10:11]
	s_and_saveexec_b64 s[8:9], s[0:1]
	s_cbranch_execz .LBB985_66
.LBB985_246:
	v_and_b32_e32 v7, 1, v22
	v_cmp_lt_i64_e64 s[0:1], v[12:13], v[2:3]
	v_cmp_eq_u32_e64 s[2:3], 1, v7
	v_and_b32_e32 v6, 1, v1
	s_and_b64 s[0:1], s[2:3], s[0:1]
	v_cndmask_b32_e64 v1, v1, 1, s[2:3]
	v_cndmask_b32_e64 v2, v2, v12, s[0:1]
	;; [unrolled: 1-line block ×3, first 2 shown]
	v_cmp_eq_u32_e64 s[0:1], 1, v6
	v_cndmask_b32_e64 v1, v22, v1, s[0:1]
	v_cndmask_b32_e64 v3, v13, v3, s[0:1]
	v_cndmask_b32_e64 v2, v12, v2, s[0:1]
	s_or_b64 exec, exec, s[8:9]
	s_and_saveexec_b64 s[2:3], vcc
	s_cbranch_execnz .LBB985_67
	s_branch .LBB985_68
.LBB985_247:
	v_lshlrev_b32_e32 v1, 2, v0
	global_load_dword v1, v1, s[12:13] offset:3072
	v_mov_b32_e32 v5, s17
	v_add_co_u32_e64 v4, s[8:9], s16, v13
	v_addc_co_u32_e64 v5, s[8:9], 0, v5, s[8:9]
	s_waitcnt vmcnt(0)
	v_cmp_eq_u32_e64 s[8:9], s31, v1
	v_cndmask_b32_e64 v1, 0, 1, s[8:9]
	s_or_b64 exec, exec, s[14:15]
	s_and_saveexec_b64 s[12:13], s[2:3]
	s_cbranch_execz .LBB985_104
.LBB985_248:
	v_and_b32_e32 v14, 1, v11
	v_cmp_lt_i64_e64 s[2:3], v[6:7], v[2:3]
	v_cmp_eq_u32_e64 s[8:9], 1, v14
	v_and_b32_e32 v13, 1, v10
	s_and_b64 s[2:3], s[8:9], s[2:3]
	v_cndmask_b32_e64 v10, v10, 1, s[8:9]
	v_cndmask_b32_e64 v2, v2, v6, s[2:3]
	;; [unrolled: 1-line block ×3, first 2 shown]
	v_cmp_eq_u32_e64 s[2:3], 1, v13
	v_cndmask_b32_e64 v10, v11, v10, s[2:3]
	v_cndmask_b32_e64 v3, v7, v3, s[2:3]
	;; [unrolled: 1-line block ×3, first 2 shown]
	s_or_b64 exec, exec, s[12:13]
	s_and_saveexec_b64 s[8:9], s[0:1]
	s_cbranch_execz .LBB985_105
.LBB985_249:
	v_and_b32_e32 v7, 1, v12
	v_cmp_lt_i64_e64 s[0:1], v[8:9], v[2:3]
	v_cmp_eq_u32_e64 s[2:3], 1, v7
	v_and_b32_e32 v6, 1, v10
	s_and_b64 s[0:1], s[2:3], s[0:1]
	v_cndmask_b32_e64 v7, v10, 1, s[2:3]
	v_cndmask_b32_e64 v2, v2, v8, s[0:1]
	;; [unrolled: 1-line block ×3, first 2 shown]
	v_cmp_eq_u32_e64 s[0:1], 1, v6
	v_cndmask_b32_e64 v10, v12, v7, s[0:1]
	v_cndmask_b32_e64 v3, v9, v3, s[0:1]
	;; [unrolled: 1-line block ×3, first 2 shown]
	s_or_b64 exec, exec, s[8:9]
	s_and_saveexec_b64 s[2:3], vcc
	s_cbranch_execnz .LBB985_106
	s_branch .LBB985_107
	.section	.rodata,"a",@progbits
	.p2align	6, 0x0
	.amdhsa_kernel _ZN7rocprim17ROCPRIM_400000_NS6detail17trampoline_kernelINS0_14default_configENS1_22reduce_config_selectorIN6thrust23THRUST_200600_302600_NS5tupleIblNS6_9null_typeES8_S8_S8_S8_S8_S8_S8_EEEEZNS1_11reduce_implILb1ES3_NS6_12zip_iteratorINS7_INS6_11hip_rocprim26transform_input_iterator_tIbPiNS6_6detail10functional5actorINSH_9compositeIJNSH_27transparent_binary_operatorINS6_8equal_toIvEEEENSI_INSH_8argumentILj0EEEEENSH_5valueIiEEEEEEEEENSD_19counting_iterator_tIlEES8_S8_S8_S8_S8_S8_S8_S8_EEEEPS9_S9_NSD_9__find_if7functorIS9_EEEE10hipError_tPvRmT1_T2_T3_mT4_P12ihipStream_tbEUlT_E1_NS1_11comp_targetILNS1_3genE4ELNS1_11target_archE910ELNS1_3gpuE8ELNS1_3repE0EEENS1_30default_config_static_selectorELNS0_4arch9wavefront6targetE1EEEvS17_
		.amdhsa_group_segment_fixed_size 320
		.amdhsa_private_segment_fixed_size 0
		.amdhsa_kernarg_size 72
		.amdhsa_user_sgpr_count 6
		.amdhsa_user_sgpr_private_segment_buffer 1
		.amdhsa_user_sgpr_dispatch_ptr 0
		.amdhsa_user_sgpr_queue_ptr 0
		.amdhsa_user_sgpr_kernarg_segment_ptr 1
		.amdhsa_user_sgpr_dispatch_id 0
		.amdhsa_user_sgpr_flat_scratch_init 0
		.amdhsa_user_sgpr_kernarg_preload_length 0
		.amdhsa_user_sgpr_kernarg_preload_offset 0
		.amdhsa_user_sgpr_private_segment_size 0
		.amdhsa_uses_dynamic_stack 0
		.amdhsa_system_sgpr_private_segment_wavefront_offset 0
		.amdhsa_system_sgpr_workgroup_id_x 1
		.amdhsa_system_sgpr_workgroup_id_y 0
		.amdhsa_system_sgpr_workgroup_id_z 0
		.amdhsa_system_sgpr_workgroup_info 0
		.amdhsa_system_vgpr_workitem_id 0
		.amdhsa_next_free_vgpr 27
		.amdhsa_next_free_sgpr 37
		.amdhsa_accum_offset 28
		.amdhsa_reserve_vcc 1
		.amdhsa_reserve_flat_scratch 0
		.amdhsa_float_round_mode_32 0
		.amdhsa_float_round_mode_16_64 0
		.amdhsa_float_denorm_mode_32 3
		.amdhsa_float_denorm_mode_16_64 3
		.amdhsa_dx10_clamp 1
		.amdhsa_ieee_mode 1
		.amdhsa_fp16_overflow 0
		.amdhsa_tg_split 0
		.amdhsa_exception_fp_ieee_invalid_op 0
		.amdhsa_exception_fp_denorm_src 0
		.amdhsa_exception_fp_ieee_div_zero 0
		.amdhsa_exception_fp_ieee_overflow 0
		.amdhsa_exception_fp_ieee_underflow 0
		.amdhsa_exception_fp_ieee_inexact 0
		.amdhsa_exception_int_div_zero 0
	.end_amdhsa_kernel
	.section	.text._ZN7rocprim17ROCPRIM_400000_NS6detail17trampoline_kernelINS0_14default_configENS1_22reduce_config_selectorIN6thrust23THRUST_200600_302600_NS5tupleIblNS6_9null_typeES8_S8_S8_S8_S8_S8_S8_EEEEZNS1_11reduce_implILb1ES3_NS6_12zip_iteratorINS7_INS6_11hip_rocprim26transform_input_iterator_tIbPiNS6_6detail10functional5actorINSH_9compositeIJNSH_27transparent_binary_operatorINS6_8equal_toIvEEEENSI_INSH_8argumentILj0EEEEENSH_5valueIiEEEEEEEEENSD_19counting_iterator_tIlEES8_S8_S8_S8_S8_S8_S8_S8_EEEEPS9_S9_NSD_9__find_if7functorIS9_EEEE10hipError_tPvRmT1_T2_T3_mT4_P12ihipStream_tbEUlT_E1_NS1_11comp_targetILNS1_3genE4ELNS1_11target_archE910ELNS1_3gpuE8ELNS1_3repE0EEENS1_30default_config_static_selectorELNS0_4arch9wavefront6targetE1EEEvS17_,"axG",@progbits,_ZN7rocprim17ROCPRIM_400000_NS6detail17trampoline_kernelINS0_14default_configENS1_22reduce_config_selectorIN6thrust23THRUST_200600_302600_NS5tupleIblNS6_9null_typeES8_S8_S8_S8_S8_S8_S8_EEEEZNS1_11reduce_implILb1ES3_NS6_12zip_iteratorINS7_INS6_11hip_rocprim26transform_input_iterator_tIbPiNS6_6detail10functional5actorINSH_9compositeIJNSH_27transparent_binary_operatorINS6_8equal_toIvEEEENSI_INSH_8argumentILj0EEEEENSH_5valueIiEEEEEEEEENSD_19counting_iterator_tIlEES8_S8_S8_S8_S8_S8_S8_S8_EEEEPS9_S9_NSD_9__find_if7functorIS9_EEEE10hipError_tPvRmT1_T2_T3_mT4_P12ihipStream_tbEUlT_E1_NS1_11comp_targetILNS1_3genE4ELNS1_11target_archE910ELNS1_3gpuE8ELNS1_3repE0EEENS1_30default_config_static_selectorELNS0_4arch9wavefront6targetE1EEEvS17_,comdat
.Lfunc_end985:
	.size	_ZN7rocprim17ROCPRIM_400000_NS6detail17trampoline_kernelINS0_14default_configENS1_22reduce_config_selectorIN6thrust23THRUST_200600_302600_NS5tupleIblNS6_9null_typeES8_S8_S8_S8_S8_S8_S8_EEEEZNS1_11reduce_implILb1ES3_NS6_12zip_iteratorINS7_INS6_11hip_rocprim26transform_input_iterator_tIbPiNS6_6detail10functional5actorINSH_9compositeIJNSH_27transparent_binary_operatorINS6_8equal_toIvEEEENSI_INSH_8argumentILj0EEEEENSH_5valueIiEEEEEEEEENSD_19counting_iterator_tIlEES8_S8_S8_S8_S8_S8_S8_S8_EEEEPS9_S9_NSD_9__find_if7functorIS9_EEEE10hipError_tPvRmT1_T2_T3_mT4_P12ihipStream_tbEUlT_E1_NS1_11comp_targetILNS1_3genE4ELNS1_11target_archE910ELNS1_3gpuE8ELNS1_3repE0EEENS1_30default_config_static_selectorELNS0_4arch9wavefront6targetE1EEEvS17_, .Lfunc_end985-_ZN7rocprim17ROCPRIM_400000_NS6detail17trampoline_kernelINS0_14default_configENS1_22reduce_config_selectorIN6thrust23THRUST_200600_302600_NS5tupleIblNS6_9null_typeES8_S8_S8_S8_S8_S8_S8_EEEEZNS1_11reduce_implILb1ES3_NS6_12zip_iteratorINS7_INS6_11hip_rocprim26transform_input_iterator_tIbPiNS6_6detail10functional5actorINSH_9compositeIJNSH_27transparent_binary_operatorINS6_8equal_toIvEEEENSI_INSH_8argumentILj0EEEEENSH_5valueIiEEEEEEEEENSD_19counting_iterator_tIlEES8_S8_S8_S8_S8_S8_S8_S8_EEEEPS9_S9_NSD_9__find_if7functorIS9_EEEE10hipError_tPvRmT1_T2_T3_mT4_P12ihipStream_tbEUlT_E1_NS1_11comp_targetILNS1_3genE4ELNS1_11target_archE910ELNS1_3gpuE8ELNS1_3repE0EEENS1_30default_config_static_selectorELNS0_4arch9wavefront6targetE1EEEvS17_
                                        ; -- End function
	.section	.AMDGPU.csdata,"",@progbits
; Kernel info:
; codeLenInByte = 12952
; NumSgprs: 41
; NumVgprs: 27
; NumAgprs: 0
; TotalNumVgprs: 27
; ScratchSize: 0
; MemoryBound: 0
; FloatMode: 240
; IeeeMode: 1
; LDSByteSize: 320 bytes/workgroup (compile time only)
; SGPRBlocks: 5
; VGPRBlocks: 3
; NumSGPRsForWavesPerEU: 41
; NumVGPRsForWavesPerEU: 27
; AccumOffset: 28
; Occupancy: 8
; WaveLimiterHint : 1
; COMPUTE_PGM_RSRC2:SCRATCH_EN: 0
; COMPUTE_PGM_RSRC2:USER_SGPR: 6
; COMPUTE_PGM_RSRC2:TRAP_HANDLER: 0
; COMPUTE_PGM_RSRC2:TGID_X_EN: 1
; COMPUTE_PGM_RSRC2:TGID_Y_EN: 0
; COMPUTE_PGM_RSRC2:TGID_Z_EN: 0
; COMPUTE_PGM_RSRC2:TIDIG_COMP_CNT: 0
; COMPUTE_PGM_RSRC3_GFX90A:ACCUM_OFFSET: 6
; COMPUTE_PGM_RSRC3_GFX90A:TG_SPLIT: 0
	.section	.text._ZN7rocprim17ROCPRIM_400000_NS6detail17trampoline_kernelINS0_14default_configENS1_22reduce_config_selectorIN6thrust23THRUST_200600_302600_NS5tupleIblNS6_9null_typeES8_S8_S8_S8_S8_S8_S8_EEEEZNS1_11reduce_implILb1ES3_NS6_12zip_iteratorINS7_INS6_11hip_rocprim26transform_input_iterator_tIbPiNS6_6detail10functional5actorINSH_9compositeIJNSH_27transparent_binary_operatorINS6_8equal_toIvEEEENSI_INSH_8argumentILj0EEEEENSH_5valueIiEEEEEEEEENSD_19counting_iterator_tIlEES8_S8_S8_S8_S8_S8_S8_S8_EEEEPS9_S9_NSD_9__find_if7functorIS9_EEEE10hipError_tPvRmT1_T2_T3_mT4_P12ihipStream_tbEUlT_E1_NS1_11comp_targetILNS1_3genE3ELNS1_11target_archE908ELNS1_3gpuE7ELNS1_3repE0EEENS1_30default_config_static_selectorELNS0_4arch9wavefront6targetE1EEEvS17_,"axG",@progbits,_ZN7rocprim17ROCPRIM_400000_NS6detail17trampoline_kernelINS0_14default_configENS1_22reduce_config_selectorIN6thrust23THRUST_200600_302600_NS5tupleIblNS6_9null_typeES8_S8_S8_S8_S8_S8_S8_EEEEZNS1_11reduce_implILb1ES3_NS6_12zip_iteratorINS7_INS6_11hip_rocprim26transform_input_iterator_tIbPiNS6_6detail10functional5actorINSH_9compositeIJNSH_27transparent_binary_operatorINS6_8equal_toIvEEEENSI_INSH_8argumentILj0EEEEENSH_5valueIiEEEEEEEEENSD_19counting_iterator_tIlEES8_S8_S8_S8_S8_S8_S8_S8_EEEEPS9_S9_NSD_9__find_if7functorIS9_EEEE10hipError_tPvRmT1_T2_T3_mT4_P12ihipStream_tbEUlT_E1_NS1_11comp_targetILNS1_3genE3ELNS1_11target_archE908ELNS1_3gpuE7ELNS1_3repE0EEENS1_30default_config_static_selectorELNS0_4arch9wavefront6targetE1EEEvS17_,comdat
	.protected	_ZN7rocprim17ROCPRIM_400000_NS6detail17trampoline_kernelINS0_14default_configENS1_22reduce_config_selectorIN6thrust23THRUST_200600_302600_NS5tupleIblNS6_9null_typeES8_S8_S8_S8_S8_S8_S8_EEEEZNS1_11reduce_implILb1ES3_NS6_12zip_iteratorINS7_INS6_11hip_rocprim26transform_input_iterator_tIbPiNS6_6detail10functional5actorINSH_9compositeIJNSH_27transparent_binary_operatorINS6_8equal_toIvEEEENSI_INSH_8argumentILj0EEEEENSH_5valueIiEEEEEEEEENSD_19counting_iterator_tIlEES8_S8_S8_S8_S8_S8_S8_S8_EEEEPS9_S9_NSD_9__find_if7functorIS9_EEEE10hipError_tPvRmT1_T2_T3_mT4_P12ihipStream_tbEUlT_E1_NS1_11comp_targetILNS1_3genE3ELNS1_11target_archE908ELNS1_3gpuE7ELNS1_3repE0EEENS1_30default_config_static_selectorELNS0_4arch9wavefront6targetE1EEEvS17_ ; -- Begin function _ZN7rocprim17ROCPRIM_400000_NS6detail17trampoline_kernelINS0_14default_configENS1_22reduce_config_selectorIN6thrust23THRUST_200600_302600_NS5tupleIblNS6_9null_typeES8_S8_S8_S8_S8_S8_S8_EEEEZNS1_11reduce_implILb1ES3_NS6_12zip_iteratorINS7_INS6_11hip_rocprim26transform_input_iterator_tIbPiNS6_6detail10functional5actorINSH_9compositeIJNSH_27transparent_binary_operatorINS6_8equal_toIvEEEENSI_INSH_8argumentILj0EEEEENSH_5valueIiEEEEEEEEENSD_19counting_iterator_tIlEES8_S8_S8_S8_S8_S8_S8_S8_EEEEPS9_S9_NSD_9__find_if7functorIS9_EEEE10hipError_tPvRmT1_T2_T3_mT4_P12ihipStream_tbEUlT_E1_NS1_11comp_targetILNS1_3genE3ELNS1_11target_archE908ELNS1_3gpuE7ELNS1_3repE0EEENS1_30default_config_static_selectorELNS0_4arch9wavefront6targetE1EEEvS17_
	.globl	_ZN7rocprim17ROCPRIM_400000_NS6detail17trampoline_kernelINS0_14default_configENS1_22reduce_config_selectorIN6thrust23THRUST_200600_302600_NS5tupleIblNS6_9null_typeES8_S8_S8_S8_S8_S8_S8_EEEEZNS1_11reduce_implILb1ES3_NS6_12zip_iteratorINS7_INS6_11hip_rocprim26transform_input_iterator_tIbPiNS6_6detail10functional5actorINSH_9compositeIJNSH_27transparent_binary_operatorINS6_8equal_toIvEEEENSI_INSH_8argumentILj0EEEEENSH_5valueIiEEEEEEEEENSD_19counting_iterator_tIlEES8_S8_S8_S8_S8_S8_S8_S8_EEEEPS9_S9_NSD_9__find_if7functorIS9_EEEE10hipError_tPvRmT1_T2_T3_mT4_P12ihipStream_tbEUlT_E1_NS1_11comp_targetILNS1_3genE3ELNS1_11target_archE908ELNS1_3gpuE7ELNS1_3repE0EEENS1_30default_config_static_selectorELNS0_4arch9wavefront6targetE1EEEvS17_
	.p2align	8
	.type	_ZN7rocprim17ROCPRIM_400000_NS6detail17trampoline_kernelINS0_14default_configENS1_22reduce_config_selectorIN6thrust23THRUST_200600_302600_NS5tupleIblNS6_9null_typeES8_S8_S8_S8_S8_S8_S8_EEEEZNS1_11reduce_implILb1ES3_NS6_12zip_iteratorINS7_INS6_11hip_rocprim26transform_input_iterator_tIbPiNS6_6detail10functional5actorINSH_9compositeIJNSH_27transparent_binary_operatorINS6_8equal_toIvEEEENSI_INSH_8argumentILj0EEEEENSH_5valueIiEEEEEEEEENSD_19counting_iterator_tIlEES8_S8_S8_S8_S8_S8_S8_S8_EEEEPS9_S9_NSD_9__find_if7functorIS9_EEEE10hipError_tPvRmT1_T2_T3_mT4_P12ihipStream_tbEUlT_E1_NS1_11comp_targetILNS1_3genE3ELNS1_11target_archE908ELNS1_3gpuE7ELNS1_3repE0EEENS1_30default_config_static_selectorELNS0_4arch9wavefront6targetE1EEEvS17_,@function
_ZN7rocprim17ROCPRIM_400000_NS6detail17trampoline_kernelINS0_14default_configENS1_22reduce_config_selectorIN6thrust23THRUST_200600_302600_NS5tupleIblNS6_9null_typeES8_S8_S8_S8_S8_S8_S8_EEEEZNS1_11reduce_implILb1ES3_NS6_12zip_iteratorINS7_INS6_11hip_rocprim26transform_input_iterator_tIbPiNS6_6detail10functional5actorINSH_9compositeIJNSH_27transparent_binary_operatorINS6_8equal_toIvEEEENSI_INSH_8argumentILj0EEEEENSH_5valueIiEEEEEEEEENSD_19counting_iterator_tIlEES8_S8_S8_S8_S8_S8_S8_S8_EEEEPS9_S9_NSD_9__find_if7functorIS9_EEEE10hipError_tPvRmT1_T2_T3_mT4_P12ihipStream_tbEUlT_E1_NS1_11comp_targetILNS1_3genE3ELNS1_11target_archE908ELNS1_3gpuE7ELNS1_3repE0EEENS1_30default_config_static_selectorELNS0_4arch9wavefront6targetE1EEEvS17_: ; @_ZN7rocprim17ROCPRIM_400000_NS6detail17trampoline_kernelINS0_14default_configENS1_22reduce_config_selectorIN6thrust23THRUST_200600_302600_NS5tupleIblNS6_9null_typeES8_S8_S8_S8_S8_S8_S8_EEEEZNS1_11reduce_implILb1ES3_NS6_12zip_iteratorINS7_INS6_11hip_rocprim26transform_input_iterator_tIbPiNS6_6detail10functional5actorINSH_9compositeIJNSH_27transparent_binary_operatorINS6_8equal_toIvEEEENSI_INSH_8argumentILj0EEEEENSH_5valueIiEEEEEEEEENSD_19counting_iterator_tIlEES8_S8_S8_S8_S8_S8_S8_S8_EEEEPS9_S9_NSD_9__find_if7functorIS9_EEEE10hipError_tPvRmT1_T2_T3_mT4_P12ihipStream_tbEUlT_E1_NS1_11comp_targetILNS1_3genE3ELNS1_11target_archE908ELNS1_3gpuE7ELNS1_3repE0EEENS1_30default_config_static_selectorELNS0_4arch9wavefront6targetE1EEEvS17_
; %bb.0:
	.section	.rodata,"a",@progbits
	.p2align	6, 0x0
	.amdhsa_kernel _ZN7rocprim17ROCPRIM_400000_NS6detail17trampoline_kernelINS0_14default_configENS1_22reduce_config_selectorIN6thrust23THRUST_200600_302600_NS5tupleIblNS6_9null_typeES8_S8_S8_S8_S8_S8_S8_EEEEZNS1_11reduce_implILb1ES3_NS6_12zip_iteratorINS7_INS6_11hip_rocprim26transform_input_iterator_tIbPiNS6_6detail10functional5actorINSH_9compositeIJNSH_27transparent_binary_operatorINS6_8equal_toIvEEEENSI_INSH_8argumentILj0EEEEENSH_5valueIiEEEEEEEEENSD_19counting_iterator_tIlEES8_S8_S8_S8_S8_S8_S8_S8_EEEEPS9_S9_NSD_9__find_if7functorIS9_EEEE10hipError_tPvRmT1_T2_T3_mT4_P12ihipStream_tbEUlT_E1_NS1_11comp_targetILNS1_3genE3ELNS1_11target_archE908ELNS1_3gpuE7ELNS1_3repE0EEENS1_30default_config_static_selectorELNS0_4arch9wavefront6targetE1EEEvS17_
		.amdhsa_group_segment_fixed_size 0
		.amdhsa_private_segment_fixed_size 0
		.amdhsa_kernarg_size 72
		.amdhsa_user_sgpr_count 6
		.amdhsa_user_sgpr_private_segment_buffer 1
		.amdhsa_user_sgpr_dispatch_ptr 0
		.amdhsa_user_sgpr_queue_ptr 0
		.amdhsa_user_sgpr_kernarg_segment_ptr 1
		.amdhsa_user_sgpr_dispatch_id 0
		.amdhsa_user_sgpr_flat_scratch_init 0
		.amdhsa_user_sgpr_kernarg_preload_length 0
		.amdhsa_user_sgpr_kernarg_preload_offset 0
		.amdhsa_user_sgpr_private_segment_size 0
		.amdhsa_uses_dynamic_stack 0
		.amdhsa_system_sgpr_private_segment_wavefront_offset 0
		.amdhsa_system_sgpr_workgroup_id_x 1
		.amdhsa_system_sgpr_workgroup_id_y 0
		.amdhsa_system_sgpr_workgroup_id_z 0
		.amdhsa_system_sgpr_workgroup_info 0
		.amdhsa_system_vgpr_workitem_id 0
		.amdhsa_next_free_vgpr 1
		.amdhsa_next_free_sgpr 0
		.amdhsa_accum_offset 4
		.amdhsa_reserve_vcc 0
		.amdhsa_reserve_flat_scratch 0
		.amdhsa_float_round_mode_32 0
		.amdhsa_float_round_mode_16_64 0
		.amdhsa_float_denorm_mode_32 3
		.amdhsa_float_denorm_mode_16_64 3
		.amdhsa_dx10_clamp 1
		.amdhsa_ieee_mode 1
		.amdhsa_fp16_overflow 0
		.amdhsa_tg_split 0
		.amdhsa_exception_fp_ieee_invalid_op 0
		.amdhsa_exception_fp_denorm_src 0
		.amdhsa_exception_fp_ieee_div_zero 0
		.amdhsa_exception_fp_ieee_overflow 0
		.amdhsa_exception_fp_ieee_underflow 0
		.amdhsa_exception_fp_ieee_inexact 0
		.amdhsa_exception_int_div_zero 0
	.end_amdhsa_kernel
	.section	.text._ZN7rocprim17ROCPRIM_400000_NS6detail17trampoline_kernelINS0_14default_configENS1_22reduce_config_selectorIN6thrust23THRUST_200600_302600_NS5tupleIblNS6_9null_typeES8_S8_S8_S8_S8_S8_S8_EEEEZNS1_11reduce_implILb1ES3_NS6_12zip_iteratorINS7_INS6_11hip_rocprim26transform_input_iterator_tIbPiNS6_6detail10functional5actorINSH_9compositeIJNSH_27transparent_binary_operatorINS6_8equal_toIvEEEENSI_INSH_8argumentILj0EEEEENSH_5valueIiEEEEEEEEENSD_19counting_iterator_tIlEES8_S8_S8_S8_S8_S8_S8_S8_EEEEPS9_S9_NSD_9__find_if7functorIS9_EEEE10hipError_tPvRmT1_T2_T3_mT4_P12ihipStream_tbEUlT_E1_NS1_11comp_targetILNS1_3genE3ELNS1_11target_archE908ELNS1_3gpuE7ELNS1_3repE0EEENS1_30default_config_static_selectorELNS0_4arch9wavefront6targetE1EEEvS17_,"axG",@progbits,_ZN7rocprim17ROCPRIM_400000_NS6detail17trampoline_kernelINS0_14default_configENS1_22reduce_config_selectorIN6thrust23THRUST_200600_302600_NS5tupleIblNS6_9null_typeES8_S8_S8_S8_S8_S8_S8_EEEEZNS1_11reduce_implILb1ES3_NS6_12zip_iteratorINS7_INS6_11hip_rocprim26transform_input_iterator_tIbPiNS6_6detail10functional5actorINSH_9compositeIJNSH_27transparent_binary_operatorINS6_8equal_toIvEEEENSI_INSH_8argumentILj0EEEEENSH_5valueIiEEEEEEEEENSD_19counting_iterator_tIlEES8_S8_S8_S8_S8_S8_S8_S8_EEEEPS9_S9_NSD_9__find_if7functorIS9_EEEE10hipError_tPvRmT1_T2_T3_mT4_P12ihipStream_tbEUlT_E1_NS1_11comp_targetILNS1_3genE3ELNS1_11target_archE908ELNS1_3gpuE7ELNS1_3repE0EEENS1_30default_config_static_selectorELNS0_4arch9wavefront6targetE1EEEvS17_,comdat
.Lfunc_end986:
	.size	_ZN7rocprim17ROCPRIM_400000_NS6detail17trampoline_kernelINS0_14default_configENS1_22reduce_config_selectorIN6thrust23THRUST_200600_302600_NS5tupleIblNS6_9null_typeES8_S8_S8_S8_S8_S8_S8_EEEEZNS1_11reduce_implILb1ES3_NS6_12zip_iteratorINS7_INS6_11hip_rocprim26transform_input_iterator_tIbPiNS6_6detail10functional5actorINSH_9compositeIJNSH_27transparent_binary_operatorINS6_8equal_toIvEEEENSI_INSH_8argumentILj0EEEEENSH_5valueIiEEEEEEEEENSD_19counting_iterator_tIlEES8_S8_S8_S8_S8_S8_S8_S8_EEEEPS9_S9_NSD_9__find_if7functorIS9_EEEE10hipError_tPvRmT1_T2_T3_mT4_P12ihipStream_tbEUlT_E1_NS1_11comp_targetILNS1_3genE3ELNS1_11target_archE908ELNS1_3gpuE7ELNS1_3repE0EEENS1_30default_config_static_selectorELNS0_4arch9wavefront6targetE1EEEvS17_, .Lfunc_end986-_ZN7rocprim17ROCPRIM_400000_NS6detail17trampoline_kernelINS0_14default_configENS1_22reduce_config_selectorIN6thrust23THRUST_200600_302600_NS5tupleIblNS6_9null_typeES8_S8_S8_S8_S8_S8_S8_EEEEZNS1_11reduce_implILb1ES3_NS6_12zip_iteratorINS7_INS6_11hip_rocprim26transform_input_iterator_tIbPiNS6_6detail10functional5actorINSH_9compositeIJNSH_27transparent_binary_operatorINS6_8equal_toIvEEEENSI_INSH_8argumentILj0EEEEENSH_5valueIiEEEEEEEEENSD_19counting_iterator_tIlEES8_S8_S8_S8_S8_S8_S8_S8_EEEEPS9_S9_NSD_9__find_if7functorIS9_EEEE10hipError_tPvRmT1_T2_T3_mT4_P12ihipStream_tbEUlT_E1_NS1_11comp_targetILNS1_3genE3ELNS1_11target_archE908ELNS1_3gpuE7ELNS1_3repE0EEENS1_30default_config_static_selectorELNS0_4arch9wavefront6targetE1EEEvS17_
                                        ; -- End function
	.section	.AMDGPU.csdata,"",@progbits
; Kernel info:
; codeLenInByte = 0
; NumSgprs: 4
; NumVgprs: 0
; NumAgprs: 0
; TotalNumVgprs: 0
; ScratchSize: 0
; MemoryBound: 0
; FloatMode: 240
; IeeeMode: 1
; LDSByteSize: 0 bytes/workgroup (compile time only)
; SGPRBlocks: 0
; VGPRBlocks: 0
; NumSGPRsForWavesPerEU: 4
; NumVGPRsForWavesPerEU: 1
; AccumOffset: 4
; Occupancy: 8
; WaveLimiterHint : 0
; COMPUTE_PGM_RSRC2:SCRATCH_EN: 0
; COMPUTE_PGM_RSRC2:USER_SGPR: 6
; COMPUTE_PGM_RSRC2:TRAP_HANDLER: 0
; COMPUTE_PGM_RSRC2:TGID_X_EN: 1
; COMPUTE_PGM_RSRC2:TGID_Y_EN: 0
; COMPUTE_PGM_RSRC2:TGID_Z_EN: 0
; COMPUTE_PGM_RSRC2:TIDIG_COMP_CNT: 0
; COMPUTE_PGM_RSRC3_GFX90A:ACCUM_OFFSET: 0
; COMPUTE_PGM_RSRC3_GFX90A:TG_SPLIT: 0
	.section	.text._ZN7rocprim17ROCPRIM_400000_NS6detail17trampoline_kernelINS0_14default_configENS1_22reduce_config_selectorIN6thrust23THRUST_200600_302600_NS5tupleIblNS6_9null_typeES8_S8_S8_S8_S8_S8_S8_EEEEZNS1_11reduce_implILb1ES3_NS6_12zip_iteratorINS7_INS6_11hip_rocprim26transform_input_iterator_tIbPiNS6_6detail10functional5actorINSH_9compositeIJNSH_27transparent_binary_operatorINS6_8equal_toIvEEEENSI_INSH_8argumentILj0EEEEENSH_5valueIiEEEEEEEEENSD_19counting_iterator_tIlEES8_S8_S8_S8_S8_S8_S8_S8_EEEEPS9_S9_NSD_9__find_if7functorIS9_EEEE10hipError_tPvRmT1_T2_T3_mT4_P12ihipStream_tbEUlT_E1_NS1_11comp_targetILNS1_3genE2ELNS1_11target_archE906ELNS1_3gpuE6ELNS1_3repE0EEENS1_30default_config_static_selectorELNS0_4arch9wavefront6targetE1EEEvS17_,"axG",@progbits,_ZN7rocprim17ROCPRIM_400000_NS6detail17trampoline_kernelINS0_14default_configENS1_22reduce_config_selectorIN6thrust23THRUST_200600_302600_NS5tupleIblNS6_9null_typeES8_S8_S8_S8_S8_S8_S8_EEEEZNS1_11reduce_implILb1ES3_NS6_12zip_iteratorINS7_INS6_11hip_rocprim26transform_input_iterator_tIbPiNS6_6detail10functional5actorINSH_9compositeIJNSH_27transparent_binary_operatorINS6_8equal_toIvEEEENSI_INSH_8argumentILj0EEEEENSH_5valueIiEEEEEEEEENSD_19counting_iterator_tIlEES8_S8_S8_S8_S8_S8_S8_S8_EEEEPS9_S9_NSD_9__find_if7functorIS9_EEEE10hipError_tPvRmT1_T2_T3_mT4_P12ihipStream_tbEUlT_E1_NS1_11comp_targetILNS1_3genE2ELNS1_11target_archE906ELNS1_3gpuE6ELNS1_3repE0EEENS1_30default_config_static_selectorELNS0_4arch9wavefront6targetE1EEEvS17_,comdat
	.protected	_ZN7rocprim17ROCPRIM_400000_NS6detail17trampoline_kernelINS0_14default_configENS1_22reduce_config_selectorIN6thrust23THRUST_200600_302600_NS5tupleIblNS6_9null_typeES8_S8_S8_S8_S8_S8_S8_EEEEZNS1_11reduce_implILb1ES3_NS6_12zip_iteratorINS7_INS6_11hip_rocprim26transform_input_iterator_tIbPiNS6_6detail10functional5actorINSH_9compositeIJNSH_27transparent_binary_operatorINS6_8equal_toIvEEEENSI_INSH_8argumentILj0EEEEENSH_5valueIiEEEEEEEEENSD_19counting_iterator_tIlEES8_S8_S8_S8_S8_S8_S8_S8_EEEEPS9_S9_NSD_9__find_if7functorIS9_EEEE10hipError_tPvRmT1_T2_T3_mT4_P12ihipStream_tbEUlT_E1_NS1_11comp_targetILNS1_3genE2ELNS1_11target_archE906ELNS1_3gpuE6ELNS1_3repE0EEENS1_30default_config_static_selectorELNS0_4arch9wavefront6targetE1EEEvS17_ ; -- Begin function _ZN7rocprim17ROCPRIM_400000_NS6detail17trampoline_kernelINS0_14default_configENS1_22reduce_config_selectorIN6thrust23THRUST_200600_302600_NS5tupleIblNS6_9null_typeES8_S8_S8_S8_S8_S8_S8_EEEEZNS1_11reduce_implILb1ES3_NS6_12zip_iteratorINS7_INS6_11hip_rocprim26transform_input_iterator_tIbPiNS6_6detail10functional5actorINSH_9compositeIJNSH_27transparent_binary_operatorINS6_8equal_toIvEEEENSI_INSH_8argumentILj0EEEEENSH_5valueIiEEEEEEEEENSD_19counting_iterator_tIlEES8_S8_S8_S8_S8_S8_S8_S8_EEEEPS9_S9_NSD_9__find_if7functorIS9_EEEE10hipError_tPvRmT1_T2_T3_mT4_P12ihipStream_tbEUlT_E1_NS1_11comp_targetILNS1_3genE2ELNS1_11target_archE906ELNS1_3gpuE6ELNS1_3repE0EEENS1_30default_config_static_selectorELNS0_4arch9wavefront6targetE1EEEvS17_
	.globl	_ZN7rocprim17ROCPRIM_400000_NS6detail17trampoline_kernelINS0_14default_configENS1_22reduce_config_selectorIN6thrust23THRUST_200600_302600_NS5tupleIblNS6_9null_typeES8_S8_S8_S8_S8_S8_S8_EEEEZNS1_11reduce_implILb1ES3_NS6_12zip_iteratorINS7_INS6_11hip_rocprim26transform_input_iterator_tIbPiNS6_6detail10functional5actorINSH_9compositeIJNSH_27transparent_binary_operatorINS6_8equal_toIvEEEENSI_INSH_8argumentILj0EEEEENSH_5valueIiEEEEEEEEENSD_19counting_iterator_tIlEES8_S8_S8_S8_S8_S8_S8_S8_EEEEPS9_S9_NSD_9__find_if7functorIS9_EEEE10hipError_tPvRmT1_T2_T3_mT4_P12ihipStream_tbEUlT_E1_NS1_11comp_targetILNS1_3genE2ELNS1_11target_archE906ELNS1_3gpuE6ELNS1_3repE0EEENS1_30default_config_static_selectorELNS0_4arch9wavefront6targetE1EEEvS17_
	.p2align	8
	.type	_ZN7rocprim17ROCPRIM_400000_NS6detail17trampoline_kernelINS0_14default_configENS1_22reduce_config_selectorIN6thrust23THRUST_200600_302600_NS5tupleIblNS6_9null_typeES8_S8_S8_S8_S8_S8_S8_EEEEZNS1_11reduce_implILb1ES3_NS6_12zip_iteratorINS7_INS6_11hip_rocprim26transform_input_iterator_tIbPiNS6_6detail10functional5actorINSH_9compositeIJNSH_27transparent_binary_operatorINS6_8equal_toIvEEEENSI_INSH_8argumentILj0EEEEENSH_5valueIiEEEEEEEEENSD_19counting_iterator_tIlEES8_S8_S8_S8_S8_S8_S8_S8_EEEEPS9_S9_NSD_9__find_if7functorIS9_EEEE10hipError_tPvRmT1_T2_T3_mT4_P12ihipStream_tbEUlT_E1_NS1_11comp_targetILNS1_3genE2ELNS1_11target_archE906ELNS1_3gpuE6ELNS1_3repE0EEENS1_30default_config_static_selectorELNS0_4arch9wavefront6targetE1EEEvS17_,@function
_ZN7rocprim17ROCPRIM_400000_NS6detail17trampoline_kernelINS0_14default_configENS1_22reduce_config_selectorIN6thrust23THRUST_200600_302600_NS5tupleIblNS6_9null_typeES8_S8_S8_S8_S8_S8_S8_EEEEZNS1_11reduce_implILb1ES3_NS6_12zip_iteratorINS7_INS6_11hip_rocprim26transform_input_iterator_tIbPiNS6_6detail10functional5actorINSH_9compositeIJNSH_27transparent_binary_operatorINS6_8equal_toIvEEEENSI_INSH_8argumentILj0EEEEENSH_5valueIiEEEEEEEEENSD_19counting_iterator_tIlEES8_S8_S8_S8_S8_S8_S8_S8_EEEEPS9_S9_NSD_9__find_if7functorIS9_EEEE10hipError_tPvRmT1_T2_T3_mT4_P12ihipStream_tbEUlT_E1_NS1_11comp_targetILNS1_3genE2ELNS1_11target_archE906ELNS1_3gpuE6ELNS1_3repE0EEENS1_30default_config_static_selectorELNS0_4arch9wavefront6targetE1EEEvS17_: ; @_ZN7rocprim17ROCPRIM_400000_NS6detail17trampoline_kernelINS0_14default_configENS1_22reduce_config_selectorIN6thrust23THRUST_200600_302600_NS5tupleIblNS6_9null_typeES8_S8_S8_S8_S8_S8_S8_EEEEZNS1_11reduce_implILb1ES3_NS6_12zip_iteratorINS7_INS6_11hip_rocprim26transform_input_iterator_tIbPiNS6_6detail10functional5actorINSH_9compositeIJNSH_27transparent_binary_operatorINS6_8equal_toIvEEEENSI_INSH_8argumentILj0EEEEENSH_5valueIiEEEEEEEEENSD_19counting_iterator_tIlEES8_S8_S8_S8_S8_S8_S8_S8_EEEEPS9_S9_NSD_9__find_if7functorIS9_EEEE10hipError_tPvRmT1_T2_T3_mT4_P12ihipStream_tbEUlT_E1_NS1_11comp_targetILNS1_3genE2ELNS1_11target_archE906ELNS1_3gpuE6ELNS1_3repE0EEENS1_30default_config_static_selectorELNS0_4arch9wavefront6targetE1EEEvS17_
; %bb.0:
	.section	.rodata,"a",@progbits
	.p2align	6, 0x0
	.amdhsa_kernel _ZN7rocprim17ROCPRIM_400000_NS6detail17trampoline_kernelINS0_14default_configENS1_22reduce_config_selectorIN6thrust23THRUST_200600_302600_NS5tupleIblNS6_9null_typeES8_S8_S8_S8_S8_S8_S8_EEEEZNS1_11reduce_implILb1ES3_NS6_12zip_iteratorINS7_INS6_11hip_rocprim26transform_input_iterator_tIbPiNS6_6detail10functional5actorINSH_9compositeIJNSH_27transparent_binary_operatorINS6_8equal_toIvEEEENSI_INSH_8argumentILj0EEEEENSH_5valueIiEEEEEEEEENSD_19counting_iterator_tIlEES8_S8_S8_S8_S8_S8_S8_S8_EEEEPS9_S9_NSD_9__find_if7functorIS9_EEEE10hipError_tPvRmT1_T2_T3_mT4_P12ihipStream_tbEUlT_E1_NS1_11comp_targetILNS1_3genE2ELNS1_11target_archE906ELNS1_3gpuE6ELNS1_3repE0EEENS1_30default_config_static_selectorELNS0_4arch9wavefront6targetE1EEEvS17_
		.amdhsa_group_segment_fixed_size 0
		.amdhsa_private_segment_fixed_size 0
		.amdhsa_kernarg_size 72
		.amdhsa_user_sgpr_count 6
		.amdhsa_user_sgpr_private_segment_buffer 1
		.amdhsa_user_sgpr_dispatch_ptr 0
		.amdhsa_user_sgpr_queue_ptr 0
		.amdhsa_user_sgpr_kernarg_segment_ptr 1
		.amdhsa_user_sgpr_dispatch_id 0
		.amdhsa_user_sgpr_flat_scratch_init 0
		.amdhsa_user_sgpr_kernarg_preload_length 0
		.amdhsa_user_sgpr_kernarg_preload_offset 0
		.amdhsa_user_sgpr_private_segment_size 0
		.amdhsa_uses_dynamic_stack 0
		.amdhsa_system_sgpr_private_segment_wavefront_offset 0
		.amdhsa_system_sgpr_workgroup_id_x 1
		.amdhsa_system_sgpr_workgroup_id_y 0
		.amdhsa_system_sgpr_workgroup_id_z 0
		.amdhsa_system_sgpr_workgroup_info 0
		.amdhsa_system_vgpr_workitem_id 0
		.amdhsa_next_free_vgpr 1
		.amdhsa_next_free_sgpr 0
		.amdhsa_accum_offset 4
		.amdhsa_reserve_vcc 0
		.amdhsa_reserve_flat_scratch 0
		.amdhsa_float_round_mode_32 0
		.amdhsa_float_round_mode_16_64 0
		.amdhsa_float_denorm_mode_32 3
		.amdhsa_float_denorm_mode_16_64 3
		.amdhsa_dx10_clamp 1
		.amdhsa_ieee_mode 1
		.amdhsa_fp16_overflow 0
		.amdhsa_tg_split 0
		.amdhsa_exception_fp_ieee_invalid_op 0
		.amdhsa_exception_fp_denorm_src 0
		.amdhsa_exception_fp_ieee_div_zero 0
		.amdhsa_exception_fp_ieee_overflow 0
		.amdhsa_exception_fp_ieee_underflow 0
		.amdhsa_exception_fp_ieee_inexact 0
		.amdhsa_exception_int_div_zero 0
	.end_amdhsa_kernel
	.section	.text._ZN7rocprim17ROCPRIM_400000_NS6detail17trampoline_kernelINS0_14default_configENS1_22reduce_config_selectorIN6thrust23THRUST_200600_302600_NS5tupleIblNS6_9null_typeES8_S8_S8_S8_S8_S8_S8_EEEEZNS1_11reduce_implILb1ES3_NS6_12zip_iteratorINS7_INS6_11hip_rocprim26transform_input_iterator_tIbPiNS6_6detail10functional5actorINSH_9compositeIJNSH_27transparent_binary_operatorINS6_8equal_toIvEEEENSI_INSH_8argumentILj0EEEEENSH_5valueIiEEEEEEEEENSD_19counting_iterator_tIlEES8_S8_S8_S8_S8_S8_S8_S8_EEEEPS9_S9_NSD_9__find_if7functorIS9_EEEE10hipError_tPvRmT1_T2_T3_mT4_P12ihipStream_tbEUlT_E1_NS1_11comp_targetILNS1_3genE2ELNS1_11target_archE906ELNS1_3gpuE6ELNS1_3repE0EEENS1_30default_config_static_selectorELNS0_4arch9wavefront6targetE1EEEvS17_,"axG",@progbits,_ZN7rocprim17ROCPRIM_400000_NS6detail17trampoline_kernelINS0_14default_configENS1_22reduce_config_selectorIN6thrust23THRUST_200600_302600_NS5tupleIblNS6_9null_typeES8_S8_S8_S8_S8_S8_S8_EEEEZNS1_11reduce_implILb1ES3_NS6_12zip_iteratorINS7_INS6_11hip_rocprim26transform_input_iterator_tIbPiNS6_6detail10functional5actorINSH_9compositeIJNSH_27transparent_binary_operatorINS6_8equal_toIvEEEENSI_INSH_8argumentILj0EEEEENSH_5valueIiEEEEEEEEENSD_19counting_iterator_tIlEES8_S8_S8_S8_S8_S8_S8_S8_EEEEPS9_S9_NSD_9__find_if7functorIS9_EEEE10hipError_tPvRmT1_T2_T3_mT4_P12ihipStream_tbEUlT_E1_NS1_11comp_targetILNS1_3genE2ELNS1_11target_archE906ELNS1_3gpuE6ELNS1_3repE0EEENS1_30default_config_static_selectorELNS0_4arch9wavefront6targetE1EEEvS17_,comdat
.Lfunc_end987:
	.size	_ZN7rocprim17ROCPRIM_400000_NS6detail17trampoline_kernelINS0_14default_configENS1_22reduce_config_selectorIN6thrust23THRUST_200600_302600_NS5tupleIblNS6_9null_typeES8_S8_S8_S8_S8_S8_S8_EEEEZNS1_11reduce_implILb1ES3_NS6_12zip_iteratorINS7_INS6_11hip_rocprim26transform_input_iterator_tIbPiNS6_6detail10functional5actorINSH_9compositeIJNSH_27transparent_binary_operatorINS6_8equal_toIvEEEENSI_INSH_8argumentILj0EEEEENSH_5valueIiEEEEEEEEENSD_19counting_iterator_tIlEES8_S8_S8_S8_S8_S8_S8_S8_EEEEPS9_S9_NSD_9__find_if7functorIS9_EEEE10hipError_tPvRmT1_T2_T3_mT4_P12ihipStream_tbEUlT_E1_NS1_11comp_targetILNS1_3genE2ELNS1_11target_archE906ELNS1_3gpuE6ELNS1_3repE0EEENS1_30default_config_static_selectorELNS0_4arch9wavefront6targetE1EEEvS17_, .Lfunc_end987-_ZN7rocprim17ROCPRIM_400000_NS6detail17trampoline_kernelINS0_14default_configENS1_22reduce_config_selectorIN6thrust23THRUST_200600_302600_NS5tupleIblNS6_9null_typeES8_S8_S8_S8_S8_S8_S8_EEEEZNS1_11reduce_implILb1ES3_NS6_12zip_iteratorINS7_INS6_11hip_rocprim26transform_input_iterator_tIbPiNS6_6detail10functional5actorINSH_9compositeIJNSH_27transparent_binary_operatorINS6_8equal_toIvEEEENSI_INSH_8argumentILj0EEEEENSH_5valueIiEEEEEEEEENSD_19counting_iterator_tIlEES8_S8_S8_S8_S8_S8_S8_S8_EEEEPS9_S9_NSD_9__find_if7functorIS9_EEEE10hipError_tPvRmT1_T2_T3_mT4_P12ihipStream_tbEUlT_E1_NS1_11comp_targetILNS1_3genE2ELNS1_11target_archE906ELNS1_3gpuE6ELNS1_3repE0EEENS1_30default_config_static_selectorELNS0_4arch9wavefront6targetE1EEEvS17_
                                        ; -- End function
	.section	.AMDGPU.csdata,"",@progbits
; Kernel info:
; codeLenInByte = 0
; NumSgprs: 4
; NumVgprs: 0
; NumAgprs: 0
; TotalNumVgprs: 0
; ScratchSize: 0
; MemoryBound: 0
; FloatMode: 240
; IeeeMode: 1
; LDSByteSize: 0 bytes/workgroup (compile time only)
; SGPRBlocks: 0
; VGPRBlocks: 0
; NumSGPRsForWavesPerEU: 4
; NumVGPRsForWavesPerEU: 1
; AccumOffset: 4
; Occupancy: 8
; WaveLimiterHint : 0
; COMPUTE_PGM_RSRC2:SCRATCH_EN: 0
; COMPUTE_PGM_RSRC2:USER_SGPR: 6
; COMPUTE_PGM_RSRC2:TRAP_HANDLER: 0
; COMPUTE_PGM_RSRC2:TGID_X_EN: 1
; COMPUTE_PGM_RSRC2:TGID_Y_EN: 0
; COMPUTE_PGM_RSRC2:TGID_Z_EN: 0
; COMPUTE_PGM_RSRC2:TIDIG_COMP_CNT: 0
; COMPUTE_PGM_RSRC3_GFX90A:ACCUM_OFFSET: 0
; COMPUTE_PGM_RSRC3_GFX90A:TG_SPLIT: 0
	.section	.text._ZN7rocprim17ROCPRIM_400000_NS6detail17trampoline_kernelINS0_14default_configENS1_22reduce_config_selectorIN6thrust23THRUST_200600_302600_NS5tupleIblNS6_9null_typeES8_S8_S8_S8_S8_S8_S8_EEEEZNS1_11reduce_implILb1ES3_NS6_12zip_iteratorINS7_INS6_11hip_rocprim26transform_input_iterator_tIbPiNS6_6detail10functional5actorINSH_9compositeIJNSH_27transparent_binary_operatorINS6_8equal_toIvEEEENSI_INSH_8argumentILj0EEEEENSH_5valueIiEEEEEEEEENSD_19counting_iterator_tIlEES8_S8_S8_S8_S8_S8_S8_S8_EEEEPS9_S9_NSD_9__find_if7functorIS9_EEEE10hipError_tPvRmT1_T2_T3_mT4_P12ihipStream_tbEUlT_E1_NS1_11comp_targetILNS1_3genE10ELNS1_11target_archE1201ELNS1_3gpuE5ELNS1_3repE0EEENS1_30default_config_static_selectorELNS0_4arch9wavefront6targetE1EEEvS17_,"axG",@progbits,_ZN7rocprim17ROCPRIM_400000_NS6detail17trampoline_kernelINS0_14default_configENS1_22reduce_config_selectorIN6thrust23THRUST_200600_302600_NS5tupleIblNS6_9null_typeES8_S8_S8_S8_S8_S8_S8_EEEEZNS1_11reduce_implILb1ES3_NS6_12zip_iteratorINS7_INS6_11hip_rocprim26transform_input_iterator_tIbPiNS6_6detail10functional5actorINSH_9compositeIJNSH_27transparent_binary_operatorINS6_8equal_toIvEEEENSI_INSH_8argumentILj0EEEEENSH_5valueIiEEEEEEEEENSD_19counting_iterator_tIlEES8_S8_S8_S8_S8_S8_S8_S8_EEEEPS9_S9_NSD_9__find_if7functorIS9_EEEE10hipError_tPvRmT1_T2_T3_mT4_P12ihipStream_tbEUlT_E1_NS1_11comp_targetILNS1_3genE10ELNS1_11target_archE1201ELNS1_3gpuE5ELNS1_3repE0EEENS1_30default_config_static_selectorELNS0_4arch9wavefront6targetE1EEEvS17_,comdat
	.protected	_ZN7rocprim17ROCPRIM_400000_NS6detail17trampoline_kernelINS0_14default_configENS1_22reduce_config_selectorIN6thrust23THRUST_200600_302600_NS5tupleIblNS6_9null_typeES8_S8_S8_S8_S8_S8_S8_EEEEZNS1_11reduce_implILb1ES3_NS6_12zip_iteratorINS7_INS6_11hip_rocprim26transform_input_iterator_tIbPiNS6_6detail10functional5actorINSH_9compositeIJNSH_27transparent_binary_operatorINS6_8equal_toIvEEEENSI_INSH_8argumentILj0EEEEENSH_5valueIiEEEEEEEEENSD_19counting_iterator_tIlEES8_S8_S8_S8_S8_S8_S8_S8_EEEEPS9_S9_NSD_9__find_if7functorIS9_EEEE10hipError_tPvRmT1_T2_T3_mT4_P12ihipStream_tbEUlT_E1_NS1_11comp_targetILNS1_3genE10ELNS1_11target_archE1201ELNS1_3gpuE5ELNS1_3repE0EEENS1_30default_config_static_selectorELNS0_4arch9wavefront6targetE1EEEvS17_ ; -- Begin function _ZN7rocprim17ROCPRIM_400000_NS6detail17trampoline_kernelINS0_14default_configENS1_22reduce_config_selectorIN6thrust23THRUST_200600_302600_NS5tupleIblNS6_9null_typeES8_S8_S8_S8_S8_S8_S8_EEEEZNS1_11reduce_implILb1ES3_NS6_12zip_iteratorINS7_INS6_11hip_rocprim26transform_input_iterator_tIbPiNS6_6detail10functional5actorINSH_9compositeIJNSH_27transparent_binary_operatorINS6_8equal_toIvEEEENSI_INSH_8argumentILj0EEEEENSH_5valueIiEEEEEEEEENSD_19counting_iterator_tIlEES8_S8_S8_S8_S8_S8_S8_S8_EEEEPS9_S9_NSD_9__find_if7functorIS9_EEEE10hipError_tPvRmT1_T2_T3_mT4_P12ihipStream_tbEUlT_E1_NS1_11comp_targetILNS1_3genE10ELNS1_11target_archE1201ELNS1_3gpuE5ELNS1_3repE0EEENS1_30default_config_static_selectorELNS0_4arch9wavefront6targetE1EEEvS17_
	.globl	_ZN7rocprim17ROCPRIM_400000_NS6detail17trampoline_kernelINS0_14default_configENS1_22reduce_config_selectorIN6thrust23THRUST_200600_302600_NS5tupleIblNS6_9null_typeES8_S8_S8_S8_S8_S8_S8_EEEEZNS1_11reduce_implILb1ES3_NS6_12zip_iteratorINS7_INS6_11hip_rocprim26transform_input_iterator_tIbPiNS6_6detail10functional5actorINSH_9compositeIJNSH_27transparent_binary_operatorINS6_8equal_toIvEEEENSI_INSH_8argumentILj0EEEEENSH_5valueIiEEEEEEEEENSD_19counting_iterator_tIlEES8_S8_S8_S8_S8_S8_S8_S8_EEEEPS9_S9_NSD_9__find_if7functorIS9_EEEE10hipError_tPvRmT1_T2_T3_mT4_P12ihipStream_tbEUlT_E1_NS1_11comp_targetILNS1_3genE10ELNS1_11target_archE1201ELNS1_3gpuE5ELNS1_3repE0EEENS1_30default_config_static_selectorELNS0_4arch9wavefront6targetE1EEEvS17_
	.p2align	8
	.type	_ZN7rocprim17ROCPRIM_400000_NS6detail17trampoline_kernelINS0_14default_configENS1_22reduce_config_selectorIN6thrust23THRUST_200600_302600_NS5tupleIblNS6_9null_typeES8_S8_S8_S8_S8_S8_S8_EEEEZNS1_11reduce_implILb1ES3_NS6_12zip_iteratorINS7_INS6_11hip_rocprim26transform_input_iterator_tIbPiNS6_6detail10functional5actorINSH_9compositeIJNSH_27transparent_binary_operatorINS6_8equal_toIvEEEENSI_INSH_8argumentILj0EEEEENSH_5valueIiEEEEEEEEENSD_19counting_iterator_tIlEES8_S8_S8_S8_S8_S8_S8_S8_EEEEPS9_S9_NSD_9__find_if7functorIS9_EEEE10hipError_tPvRmT1_T2_T3_mT4_P12ihipStream_tbEUlT_E1_NS1_11comp_targetILNS1_3genE10ELNS1_11target_archE1201ELNS1_3gpuE5ELNS1_3repE0EEENS1_30default_config_static_selectorELNS0_4arch9wavefront6targetE1EEEvS17_,@function
_ZN7rocprim17ROCPRIM_400000_NS6detail17trampoline_kernelINS0_14default_configENS1_22reduce_config_selectorIN6thrust23THRUST_200600_302600_NS5tupleIblNS6_9null_typeES8_S8_S8_S8_S8_S8_S8_EEEEZNS1_11reduce_implILb1ES3_NS6_12zip_iteratorINS7_INS6_11hip_rocprim26transform_input_iterator_tIbPiNS6_6detail10functional5actorINSH_9compositeIJNSH_27transparent_binary_operatorINS6_8equal_toIvEEEENSI_INSH_8argumentILj0EEEEENSH_5valueIiEEEEEEEEENSD_19counting_iterator_tIlEES8_S8_S8_S8_S8_S8_S8_S8_EEEEPS9_S9_NSD_9__find_if7functorIS9_EEEE10hipError_tPvRmT1_T2_T3_mT4_P12ihipStream_tbEUlT_E1_NS1_11comp_targetILNS1_3genE10ELNS1_11target_archE1201ELNS1_3gpuE5ELNS1_3repE0EEENS1_30default_config_static_selectorELNS0_4arch9wavefront6targetE1EEEvS17_: ; @_ZN7rocprim17ROCPRIM_400000_NS6detail17trampoline_kernelINS0_14default_configENS1_22reduce_config_selectorIN6thrust23THRUST_200600_302600_NS5tupleIblNS6_9null_typeES8_S8_S8_S8_S8_S8_S8_EEEEZNS1_11reduce_implILb1ES3_NS6_12zip_iteratorINS7_INS6_11hip_rocprim26transform_input_iterator_tIbPiNS6_6detail10functional5actorINSH_9compositeIJNSH_27transparent_binary_operatorINS6_8equal_toIvEEEENSI_INSH_8argumentILj0EEEEENSH_5valueIiEEEEEEEEENSD_19counting_iterator_tIlEES8_S8_S8_S8_S8_S8_S8_S8_EEEEPS9_S9_NSD_9__find_if7functorIS9_EEEE10hipError_tPvRmT1_T2_T3_mT4_P12ihipStream_tbEUlT_E1_NS1_11comp_targetILNS1_3genE10ELNS1_11target_archE1201ELNS1_3gpuE5ELNS1_3repE0EEENS1_30default_config_static_selectorELNS0_4arch9wavefront6targetE1EEEvS17_
; %bb.0:
	.section	.rodata,"a",@progbits
	.p2align	6, 0x0
	.amdhsa_kernel _ZN7rocprim17ROCPRIM_400000_NS6detail17trampoline_kernelINS0_14default_configENS1_22reduce_config_selectorIN6thrust23THRUST_200600_302600_NS5tupleIblNS6_9null_typeES8_S8_S8_S8_S8_S8_S8_EEEEZNS1_11reduce_implILb1ES3_NS6_12zip_iteratorINS7_INS6_11hip_rocprim26transform_input_iterator_tIbPiNS6_6detail10functional5actorINSH_9compositeIJNSH_27transparent_binary_operatorINS6_8equal_toIvEEEENSI_INSH_8argumentILj0EEEEENSH_5valueIiEEEEEEEEENSD_19counting_iterator_tIlEES8_S8_S8_S8_S8_S8_S8_S8_EEEEPS9_S9_NSD_9__find_if7functorIS9_EEEE10hipError_tPvRmT1_T2_T3_mT4_P12ihipStream_tbEUlT_E1_NS1_11comp_targetILNS1_3genE10ELNS1_11target_archE1201ELNS1_3gpuE5ELNS1_3repE0EEENS1_30default_config_static_selectorELNS0_4arch9wavefront6targetE1EEEvS17_
		.amdhsa_group_segment_fixed_size 0
		.amdhsa_private_segment_fixed_size 0
		.amdhsa_kernarg_size 72
		.amdhsa_user_sgpr_count 6
		.amdhsa_user_sgpr_private_segment_buffer 1
		.amdhsa_user_sgpr_dispatch_ptr 0
		.amdhsa_user_sgpr_queue_ptr 0
		.amdhsa_user_sgpr_kernarg_segment_ptr 1
		.amdhsa_user_sgpr_dispatch_id 0
		.amdhsa_user_sgpr_flat_scratch_init 0
		.amdhsa_user_sgpr_kernarg_preload_length 0
		.amdhsa_user_sgpr_kernarg_preload_offset 0
		.amdhsa_user_sgpr_private_segment_size 0
		.amdhsa_uses_dynamic_stack 0
		.amdhsa_system_sgpr_private_segment_wavefront_offset 0
		.amdhsa_system_sgpr_workgroup_id_x 1
		.amdhsa_system_sgpr_workgroup_id_y 0
		.amdhsa_system_sgpr_workgroup_id_z 0
		.amdhsa_system_sgpr_workgroup_info 0
		.amdhsa_system_vgpr_workitem_id 0
		.amdhsa_next_free_vgpr 1
		.amdhsa_next_free_sgpr 0
		.amdhsa_accum_offset 4
		.amdhsa_reserve_vcc 0
		.amdhsa_reserve_flat_scratch 0
		.amdhsa_float_round_mode_32 0
		.amdhsa_float_round_mode_16_64 0
		.amdhsa_float_denorm_mode_32 3
		.amdhsa_float_denorm_mode_16_64 3
		.amdhsa_dx10_clamp 1
		.amdhsa_ieee_mode 1
		.amdhsa_fp16_overflow 0
		.amdhsa_tg_split 0
		.amdhsa_exception_fp_ieee_invalid_op 0
		.amdhsa_exception_fp_denorm_src 0
		.amdhsa_exception_fp_ieee_div_zero 0
		.amdhsa_exception_fp_ieee_overflow 0
		.amdhsa_exception_fp_ieee_underflow 0
		.amdhsa_exception_fp_ieee_inexact 0
		.amdhsa_exception_int_div_zero 0
	.end_amdhsa_kernel
	.section	.text._ZN7rocprim17ROCPRIM_400000_NS6detail17trampoline_kernelINS0_14default_configENS1_22reduce_config_selectorIN6thrust23THRUST_200600_302600_NS5tupleIblNS6_9null_typeES8_S8_S8_S8_S8_S8_S8_EEEEZNS1_11reduce_implILb1ES3_NS6_12zip_iteratorINS7_INS6_11hip_rocprim26transform_input_iterator_tIbPiNS6_6detail10functional5actorINSH_9compositeIJNSH_27transparent_binary_operatorINS6_8equal_toIvEEEENSI_INSH_8argumentILj0EEEEENSH_5valueIiEEEEEEEEENSD_19counting_iterator_tIlEES8_S8_S8_S8_S8_S8_S8_S8_EEEEPS9_S9_NSD_9__find_if7functorIS9_EEEE10hipError_tPvRmT1_T2_T3_mT4_P12ihipStream_tbEUlT_E1_NS1_11comp_targetILNS1_3genE10ELNS1_11target_archE1201ELNS1_3gpuE5ELNS1_3repE0EEENS1_30default_config_static_selectorELNS0_4arch9wavefront6targetE1EEEvS17_,"axG",@progbits,_ZN7rocprim17ROCPRIM_400000_NS6detail17trampoline_kernelINS0_14default_configENS1_22reduce_config_selectorIN6thrust23THRUST_200600_302600_NS5tupleIblNS6_9null_typeES8_S8_S8_S8_S8_S8_S8_EEEEZNS1_11reduce_implILb1ES3_NS6_12zip_iteratorINS7_INS6_11hip_rocprim26transform_input_iterator_tIbPiNS6_6detail10functional5actorINSH_9compositeIJNSH_27transparent_binary_operatorINS6_8equal_toIvEEEENSI_INSH_8argumentILj0EEEEENSH_5valueIiEEEEEEEEENSD_19counting_iterator_tIlEES8_S8_S8_S8_S8_S8_S8_S8_EEEEPS9_S9_NSD_9__find_if7functorIS9_EEEE10hipError_tPvRmT1_T2_T3_mT4_P12ihipStream_tbEUlT_E1_NS1_11comp_targetILNS1_3genE10ELNS1_11target_archE1201ELNS1_3gpuE5ELNS1_3repE0EEENS1_30default_config_static_selectorELNS0_4arch9wavefront6targetE1EEEvS17_,comdat
.Lfunc_end988:
	.size	_ZN7rocprim17ROCPRIM_400000_NS6detail17trampoline_kernelINS0_14default_configENS1_22reduce_config_selectorIN6thrust23THRUST_200600_302600_NS5tupleIblNS6_9null_typeES8_S8_S8_S8_S8_S8_S8_EEEEZNS1_11reduce_implILb1ES3_NS6_12zip_iteratorINS7_INS6_11hip_rocprim26transform_input_iterator_tIbPiNS6_6detail10functional5actorINSH_9compositeIJNSH_27transparent_binary_operatorINS6_8equal_toIvEEEENSI_INSH_8argumentILj0EEEEENSH_5valueIiEEEEEEEEENSD_19counting_iterator_tIlEES8_S8_S8_S8_S8_S8_S8_S8_EEEEPS9_S9_NSD_9__find_if7functorIS9_EEEE10hipError_tPvRmT1_T2_T3_mT4_P12ihipStream_tbEUlT_E1_NS1_11comp_targetILNS1_3genE10ELNS1_11target_archE1201ELNS1_3gpuE5ELNS1_3repE0EEENS1_30default_config_static_selectorELNS0_4arch9wavefront6targetE1EEEvS17_, .Lfunc_end988-_ZN7rocprim17ROCPRIM_400000_NS6detail17trampoline_kernelINS0_14default_configENS1_22reduce_config_selectorIN6thrust23THRUST_200600_302600_NS5tupleIblNS6_9null_typeES8_S8_S8_S8_S8_S8_S8_EEEEZNS1_11reduce_implILb1ES3_NS6_12zip_iteratorINS7_INS6_11hip_rocprim26transform_input_iterator_tIbPiNS6_6detail10functional5actorINSH_9compositeIJNSH_27transparent_binary_operatorINS6_8equal_toIvEEEENSI_INSH_8argumentILj0EEEEENSH_5valueIiEEEEEEEEENSD_19counting_iterator_tIlEES8_S8_S8_S8_S8_S8_S8_S8_EEEEPS9_S9_NSD_9__find_if7functorIS9_EEEE10hipError_tPvRmT1_T2_T3_mT4_P12ihipStream_tbEUlT_E1_NS1_11comp_targetILNS1_3genE10ELNS1_11target_archE1201ELNS1_3gpuE5ELNS1_3repE0EEENS1_30default_config_static_selectorELNS0_4arch9wavefront6targetE1EEEvS17_
                                        ; -- End function
	.section	.AMDGPU.csdata,"",@progbits
; Kernel info:
; codeLenInByte = 0
; NumSgprs: 4
; NumVgprs: 0
; NumAgprs: 0
; TotalNumVgprs: 0
; ScratchSize: 0
; MemoryBound: 0
; FloatMode: 240
; IeeeMode: 1
; LDSByteSize: 0 bytes/workgroup (compile time only)
; SGPRBlocks: 0
; VGPRBlocks: 0
; NumSGPRsForWavesPerEU: 4
; NumVGPRsForWavesPerEU: 1
; AccumOffset: 4
; Occupancy: 8
; WaveLimiterHint : 0
; COMPUTE_PGM_RSRC2:SCRATCH_EN: 0
; COMPUTE_PGM_RSRC2:USER_SGPR: 6
; COMPUTE_PGM_RSRC2:TRAP_HANDLER: 0
; COMPUTE_PGM_RSRC2:TGID_X_EN: 1
; COMPUTE_PGM_RSRC2:TGID_Y_EN: 0
; COMPUTE_PGM_RSRC2:TGID_Z_EN: 0
; COMPUTE_PGM_RSRC2:TIDIG_COMP_CNT: 0
; COMPUTE_PGM_RSRC3_GFX90A:ACCUM_OFFSET: 0
; COMPUTE_PGM_RSRC3_GFX90A:TG_SPLIT: 0
	.section	.text._ZN7rocprim17ROCPRIM_400000_NS6detail17trampoline_kernelINS0_14default_configENS1_22reduce_config_selectorIN6thrust23THRUST_200600_302600_NS5tupleIblNS6_9null_typeES8_S8_S8_S8_S8_S8_S8_EEEEZNS1_11reduce_implILb1ES3_NS6_12zip_iteratorINS7_INS6_11hip_rocprim26transform_input_iterator_tIbPiNS6_6detail10functional5actorINSH_9compositeIJNSH_27transparent_binary_operatorINS6_8equal_toIvEEEENSI_INSH_8argumentILj0EEEEENSH_5valueIiEEEEEEEEENSD_19counting_iterator_tIlEES8_S8_S8_S8_S8_S8_S8_S8_EEEEPS9_S9_NSD_9__find_if7functorIS9_EEEE10hipError_tPvRmT1_T2_T3_mT4_P12ihipStream_tbEUlT_E1_NS1_11comp_targetILNS1_3genE10ELNS1_11target_archE1200ELNS1_3gpuE4ELNS1_3repE0EEENS1_30default_config_static_selectorELNS0_4arch9wavefront6targetE1EEEvS17_,"axG",@progbits,_ZN7rocprim17ROCPRIM_400000_NS6detail17trampoline_kernelINS0_14default_configENS1_22reduce_config_selectorIN6thrust23THRUST_200600_302600_NS5tupleIblNS6_9null_typeES8_S8_S8_S8_S8_S8_S8_EEEEZNS1_11reduce_implILb1ES3_NS6_12zip_iteratorINS7_INS6_11hip_rocprim26transform_input_iterator_tIbPiNS6_6detail10functional5actorINSH_9compositeIJNSH_27transparent_binary_operatorINS6_8equal_toIvEEEENSI_INSH_8argumentILj0EEEEENSH_5valueIiEEEEEEEEENSD_19counting_iterator_tIlEES8_S8_S8_S8_S8_S8_S8_S8_EEEEPS9_S9_NSD_9__find_if7functorIS9_EEEE10hipError_tPvRmT1_T2_T3_mT4_P12ihipStream_tbEUlT_E1_NS1_11comp_targetILNS1_3genE10ELNS1_11target_archE1200ELNS1_3gpuE4ELNS1_3repE0EEENS1_30default_config_static_selectorELNS0_4arch9wavefront6targetE1EEEvS17_,comdat
	.protected	_ZN7rocprim17ROCPRIM_400000_NS6detail17trampoline_kernelINS0_14default_configENS1_22reduce_config_selectorIN6thrust23THRUST_200600_302600_NS5tupleIblNS6_9null_typeES8_S8_S8_S8_S8_S8_S8_EEEEZNS1_11reduce_implILb1ES3_NS6_12zip_iteratorINS7_INS6_11hip_rocprim26transform_input_iterator_tIbPiNS6_6detail10functional5actorINSH_9compositeIJNSH_27transparent_binary_operatorINS6_8equal_toIvEEEENSI_INSH_8argumentILj0EEEEENSH_5valueIiEEEEEEEEENSD_19counting_iterator_tIlEES8_S8_S8_S8_S8_S8_S8_S8_EEEEPS9_S9_NSD_9__find_if7functorIS9_EEEE10hipError_tPvRmT1_T2_T3_mT4_P12ihipStream_tbEUlT_E1_NS1_11comp_targetILNS1_3genE10ELNS1_11target_archE1200ELNS1_3gpuE4ELNS1_3repE0EEENS1_30default_config_static_selectorELNS0_4arch9wavefront6targetE1EEEvS17_ ; -- Begin function _ZN7rocprim17ROCPRIM_400000_NS6detail17trampoline_kernelINS0_14default_configENS1_22reduce_config_selectorIN6thrust23THRUST_200600_302600_NS5tupleIblNS6_9null_typeES8_S8_S8_S8_S8_S8_S8_EEEEZNS1_11reduce_implILb1ES3_NS6_12zip_iteratorINS7_INS6_11hip_rocprim26transform_input_iterator_tIbPiNS6_6detail10functional5actorINSH_9compositeIJNSH_27transparent_binary_operatorINS6_8equal_toIvEEEENSI_INSH_8argumentILj0EEEEENSH_5valueIiEEEEEEEEENSD_19counting_iterator_tIlEES8_S8_S8_S8_S8_S8_S8_S8_EEEEPS9_S9_NSD_9__find_if7functorIS9_EEEE10hipError_tPvRmT1_T2_T3_mT4_P12ihipStream_tbEUlT_E1_NS1_11comp_targetILNS1_3genE10ELNS1_11target_archE1200ELNS1_3gpuE4ELNS1_3repE0EEENS1_30default_config_static_selectorELNS0_4arch9wavefront6targetE1EEEvS17_
	.globl	_ZN7rocprim17ROCPRIM_400000_NS6detail17trampoline_kernelINS0_14default_configENS1_22reduce_config_selectorIN6thrust23THRUST_200600_302600_NS5tupleIblNS6_9null_typeES8_S8_S8_S8_S8_S8_S8_EEEEZNS1_11reduce_implILb1ES3_NS6_12zip_iteratorINS7_INS6_11hip_rocprim26transform_input_iterator_tIbPiNS6_6detail10functional5actorINSH_9compositeIJNSH_27transparent_binary_operatorINS6_8equal_toIvEEEENSI_INSH_8argumentILj0EEEEENSH_5valueIiEEEEEEEEENSD_19counting_iterator_tIlEES8_S8_S8_S8_S8_S8_S8_S8_EEEEPS9_S9_NSD_9__find_if7functorIS9_EEEE10hipError_tPvRmT1_T2_T3_mT4_P12ihipStream_tbEUlT_E1_NS1_11comp_targetILNS1_3genE10ELNS1_11target_archE1200ELNS1_3gpuE4ELNS1_3repE0EEENS1_30default_config_static_selectorELNS0_4arch9wavefront6targetE1EEEvS17_
	.p2align	8
	.type	_ZN7rocprim17ROCPRIM_400000_NS6detail17trampoline_kernelINS0_14default_configENS1_22reduce_config_selectorIN6thrust23THRUST_200600_302600_NS5tupleIblNS6_9null_typeES8_S8_S8_S8_S8_S8_S8_EEEEZNS1_11reduce_implILb1ES3_NS6_12zip_iteratorINS7_INS6_11hip_rocprim26transform_input_iterator_tIbPiNS6_6detail10functional5actorINSH_9compositeIJNSH_27transparent_binary_operatorINS6_8equal_toIvEEEENSI_INSH_8argumentILj0EEEEENSH_5valueIiEEEEEEEEENSD_19counting_iterator_tIlEES8_S8_S8_S8_S8_S8_S8_S8_EEEEPS9_S9_NSD_9__find_if7functorIS9_EEEE10hipError_tPvRmT1_T2_T3_mT4_P12ihipStream_tbEUlT_E1_NS1_11comp_targetILNS1_3genE10ELNS1_11target_archE1200ELNS1_3gpuE4ELNS1_3repE0EEENS1_30default_config_static_selectorELNS0_4arch9wavefront6targetE1EEEvS17_,@function
_ZN7rocprim17ROCPRIM_400000_NS6detail17trampoline_kernelINS0_14default_configENS1_22reduce_config_selectorIN6thrust23THRUST_200600_302600_NS5tupleIblNS6_9null_typeES8_S8_S8_S8_S8_S8_S8_EEEEZNS1_11reduce_implILb1ES3_NS6_12zip_iteratorINS7_INS6_11hip_rocprim26transform_input_iterator_tIbPiNS6_6detail10functional5actorINSH_9compositeIJNSH_27transparent_binary_operatorINS6_8equal_toIvEEEENSI_INSH_8argumentILj0EEEEENSH_5valueIiEEEEEEEEENSD_19counting_iterator_tIlEES8_S8_S8_S8_S8_S8_S8_S8_EEEEPS9_S9_NSD_9__find_if7functorIS9_EEEE10hipError_tPvRmT1_T2_T3_mT4_P12ihipStream_tbEUlT_E1_NS1_11comp_targetILNS1_3genE10ELNS1_11target_archE1200ELNS1_3gpuE4ELNS1_3repE0EEENS1_30default_config_static_selectorELNS0_4arch9wavefront6targetE1EEEvS17_: ; @_ZN7rocprim17ROCPRIM_400000_NS6detail17trampoline_kernelINS0_14default_configENS1_22reduce_config_selectorIN6thrust23THRUST_200600_302600_NS5tupleIblNS6_9null_typeES8_S8_S8_S8_S8_S8_S8_EEEEZNS1_11reduce_implILb1ES3_NS6_12zip_iteratorINS7_INS6_11hip_rocprim26transform_input_iterator_tIbPiNS6_6detail10functional5actorINSH_9compositeIJNSH_27transparent_binary_operatorINS6_8equal_toIvEEEENSI_INSH_8argumentILj0EEEEENSH_5valueIiEEEEEEEEENSD_19counting_iterator_tIlEES8_S8_S8_S8_S8_S8_S8_S8_EEEEPS9_S9_NSD_9__find_if7functorIS9_EEEE10hipError_tPvRmT1_T2_T3_mT4_P12ihipStream_tbEUlT_E1_NS1_11comp_targetILNS1_3genE10ELNS1_11target_archE1200ELNS1_3gpuE4ELNS1_3repE0EEENS1_30default_config_static_selectorELNS0_4arch9wavefront6targetE1EEEvS17_
; %bb.0:
	.section	.rodata,"a",@progbits
	.p2align	6, 0x0
	.amdhsa_kernel _ZN7rocprim17ROCPRIM_400000_NS6detail17trampoline_kernelINS0_14default_configENS1_22reduce_config_selectorIN6thrust23THRUST_200600_302600_NS5tupleIblNS6_9null_typeES8_S8_S8_S8_S8_S8_S8_EEEEZNS1_11reduce_implILb1ES3_NS6_12zip_iteratorINS7_INS6_11hip_rocprim26transform_input_iterator_tIbPiNS6_6detail10functional5actorINSH_9compositeIJNSH_27transparent_binary_operatorINS6_8equal_toIvEEEENSI_INSH_8argumentILj0EEEEENSH_5valueIiEEEEEEEEENSD_19counting_iterator_tIlEES8_S8_S8_S8_S8_S8_S8_S8_EEEEPS9_S9_NSD_9__find_if7functorIS9_EEEE10hipError_tPvRmT1_T2_T3_mT4_P12ihipStream_tbEUlT_E1_NS1_11comp_targetILNS1_3genE10ELNS1_11target_archE1200ELNS1_3gpuE4ELNS1_3repE0EEENS1_30default_config_static_selectorELNS0_4arch9wavefront6targetE1EEEvS17_
		.amdhsa_group_segment_fixed_size 0
		.amdhsa_private_segment_fixed_size 0
		.amdhsa_kernarg_size 72
		.amdhsa_user_sgpr_count 6
		.amdhsa_user_sgpr_private_segment_buffer 1
		.amdhsa_user_sgpr_dispatch_ptr 0
		.amdhsa_user_sgpr_queue_ptr 0
		.amdhsa_user_sgpr_kernarg_segment_ptr 1
		.amdhsa_user_sgpr_dispatch_id 0
		.amdhsa_user_sgpr_flat_scratch_init 0
		.amdhsa_user_sgpr_kernarg_preload_length 0
		.amdhsa_user_sgpr_kernarg_preload_offset 0
		.amdhsa_user_sgpr_private_segment_size 0
		.amdhsa_uses_dynamic_stack 0
		.amdhsa_system_sgpr_private_segment_wavefront_offset 0
		.amdhsa_system_sgpr_workgroup_id_x 1
		.amdhsa_system_sgpr_workgroup_id_y 0
		.amdhsa_system_sgpr_workgroup_id_z 0
		.amdhsa_system_sgpr_workgroup_info 0
		.amdhsa_system_vgpr_workitem_id 0
		.amdhsa_next_free_vgpr 1
		.amdhsa_next_free_sgpr 0
		.amdhsa_accum_offset 4
		.amdhsa_reserve_vcc 0
		.amdhsa_reserve_flat_scratch 0
		.amdhsa_float_round_mode_32 0
		.amdhsa_float_round_mode_16_64 0
		.amdhsa_float_denorm_mode_32 3
		.amdhsa_float_denorm_mode_16_64 3
		.amdhsa_dx10_clamp 1
		.amdhsa_ieee_mode 1
		.amdhsa_fp16_overflow 0
		.amdhsa_tg_split 0
		.amdhsa_exception_fp_ieee_invalid_op 0
		.amdhsa_exception_fp_denorm_src 0
		.amdhsa_exception_fp_ieee_div_zero 0
		.amdhsa_exception_fp_ieee_overflow 0
		.amdhsa_exception_fp_ieee_underflow 0
		.amdhsa_exception_fp_ieee_inexact 0
		.amdhsa_exception_int_div_zero 0
	.end_amdhsa_kernel
	.section	.text._ZN7rocprim17ROCPRIM_400000_NS6detail17trampoline_kernelINS0_14default_configENS1_22reduce_config_selectorIN6thrust23THRUST_200600_302600_NS5tupleIblNS6_9null_typeES8_S8_S8_S8_S8_S8_S8_EEEEZNS1_11reduce_implILb1ES3_NS6_12zip_iteratorINS7_INS6_11hip_rocprim26transform_input_iterator_tIbPiNS6_6detail10functional5actorINSH_9compositeIJNSH_27transparent_binary_operatorINS6_8equal_toIvEEEENSI_INSH_8argumentILj0EEEEENSH_5valueIiEEEEEEEEENSD_19counting_iterator_tIlEES8_S8_S8_S8_S8_S8_S8_S8_EEEEPS9_S9_NSD_9__find_if7functorIS9_EEEE10hipError_tPvRmT1_T2_T3_mT4_P12ihipStream_tbEUlT_E1_NS1_11comp_targetILNS1_3genE10ELNS1_11target_archE1200ELNS1_3gpuE4ELNS1_3repE0EEENS1_30default_config_static_selectorELNS0_4arch9wavefront6targetE1EEEvS17_,"axG",@progbits,_ZN7rocprim17ROCPRIM_400000_NS6detail17trampoline_kernelINS0_14default_configENS1_22reduce_config_selectorIN6thrust23THRUST_200600_302600_NS5tupleIblNS6_9null_typeES8_S8_S8_S8_S8_S8_S8_EEEEZNS1_11reduce_implILb1ES3_NS6_12zip_iteratorINS7_INS6_11hip_rocprim26transform_input_iterator_tIbPiNS6_6detail10functional5actorINSH_9compositeIJNSH_27transparent_binary_operatorINS6_8equal_toIvEEEENSI_INSH_8argumentILj0EEEEENSH_5valueIiEEEEEEEEENSD_19counting_iterator_tIlEES8_S8_S8_S8_S8_S8_S8_S8_EEEEPS9_S9_NSD_9__find_if7functorIS9_EEEE10hipError_tPvRmT1_T2_T3_mT4_P12ihipStream_tbEUlT_E1_NS1_11comp_targetILNS1_3genE10ELNS1_11target_archE1200ELNS1_3gpuE4ELNS1_3repE0EEENS1_30default_config_static_selectorELNS0_4arch9wavefront6targetE1EEEvS17_,comdat
.Lfunc_end989:
	.size	_ZN7rocprim17ROCPRIM_400000_NS6detail17trampoline_kernelINS0_14default_configENS1_22reduce_config_selectorIN6thrust23THRUST_200600_302600_NS5tupleIblNS6_9null_typeES8_S8_S8_S8_S8_S8_S8_EEEEZNS1_11reduce_implILb1ES3_NS6_12zip_iteratorINS7_INS6_11hip_rocprim26transform_input_iterator_tIbPiNS6_6detail10functional5actorINSH_9compositeIJNSH_27transparent_binary_operatorINS6_8equal_toIvEEEENSI_INSH_8argumentILj0EEEEENSH_5valueIiEEEEEEEEENSD_19counting_iterator_tIlEES8_S8_S8_S8_S8_S8_S8_S8_EEEEPS9_S9_NSD_9__find_if7functorIS9_EEEE10hipError_tPvRmT1_T2_T3_mT4_P12ihipStream_tbEUlT_E1_NS1_11comp_targetILNS1_3genE10ELNS1_11target_archE1200ELNS1_3gpuE4ELNS1_3repE0EEENS1_30default_config_static_selectorELNS0_4arch9wavefront6targetE1EEEvS17_, .Lfunc_end989-_ZN7rocprim17ROCPRIM_400000_NS6detail17trampoline_kernelINS0_14default_configENS1_22reduce_config_selectorIN6thrust23THRUST_200600_302600_NS5tupleIblNS6_9null_typeES8_S8_S8_S8_S8_S8_S8_EEEEZNS1_11reduce_implILb1ES3_NS6_12zip_iteratorINS7_INS6_11hip_rocprim26transform_input_iterator_tIbPiNS6_6detail10functional5actorINSH_9compositeIJNSH_27transparent_binary_operatorINS6_8equal_toIvEEEENSI_INSH_8argumentILj0EEEEENSH_5valueIiEEEEEEEEENSD_19counting_iterator_tIlEES8_S8_S8_S8_S8_S8_S8_S8_EEEEPS9_S9_NSD_9__find_if7functorIS9_EEEE10hipError_tPvRmT1_T2_T3_mT4_P12ihipStream_tbEUlT_E1_NS1_11comp_targetILNS1_3genE10ELNS1_11target_archE1200ELNS1_3gpuE4ELNS1_3repE0EEENS1_30default_config_static_selectorELNS0_4arch9wavefront6targetE1EEEvS17_
                                        ; -- End function
	.section	.AMDGPU.csdata,"",@progbits
; Kernel info:
; codeLenInByte = 0
; NumSgprs: 4
; NumVgprs: 0
; NumAgprs: 0
; TotalNumVgprs: 0
; ScratchSize: 0
; MemoryBound: 0
; FloatMode: 240
; IeeeMode: 1
; LDSByteSize: 0 bytes/workgroup (compile time only)
; SGPRBlocks: 0
; VGPRBlocks: 0
; NumSGPRsForWavesPerEU: 4
; NumVGPRsForWavesPerEU: 1
; AccumOffset: 4
; Occupancy: 8
; WaveLimiterHint : 0
; COMPUTE_PGM_RSRC2:SCRATCH_EN: 0
; COMPUTE_PGM_RSRC2:USER_SGPR: 6
; COMPUTE_PGM_RSRC2:TRAP_HANDLER: 0
; COMPUTE_PGM_RSRC2:TGID_X_EN: 1
; COMPUTE_PGM_RSRC2:TGID_Y_EN: 0
; COMPUTE_PGM_RSRC2:TGID_Z_EN: 0
; COMPUTE_PGM_RSRC2:TIDIG_COMP_CNT: 0
; COMPUTE_PGM_RSRC3_GFX90A:ACCUM_OFFSET: 0
; COMPUTE_PGM_RSRC3_GFX90A:TG_SPLIT: 0
	.section	.text._ZN7rocprim17ROCPRIM_400000_NS6detail17trampoline_kernelINS0_14default_configENS1_22reduce_config_selectorIN6thrust23THRUST_200600_302600_NS5tupleIblNS6_9null_typeES8_S8_S8_S8_S8_S8_S8_EEEEZNS1_11reduce_implILb1ES3_NS6_12zip_iteratorINS7_INS6_11hip_rocprim26transform_input_iterator_tIbPiNS6_6detail10functional5actorINSH_9compositeIJNSH_27transparent_binary_operatorINS6_8equal_toIvEEEENSI_INSH_8argumentILj0EEEEENSH_5valueIiEEEEEEEEENSD_19counting_iterator_tIlEES8_S8_S8_S8_S8_S8_S8_S8_EEEEPS9_S9_NSD_9__find_if7functorIS9_EEEE10hipError_tPvRmT1_T2_T3_mT4_P12ihipStream_tbEUlT_E1_NS1_11comp_targetILNS1_3genE9ELNS1_11target_archE1100ELNS1_3gpuE3ELNS1_3repE0EEENS1_30default_config_static_selectorELNS0_4arch9wavefront6targetE1EEEvS17_,"axG",@progbits,_ZN7rocprim17ROCPRIM_400000_NS6detail17trampoline_kernelINS0_14default_configENS1_22reduce_config_selectorIN6thrust23THRUST_200600_302600_NS5tupleIblNS6_9null_typeES8_S8_S8_S8_S8_S8_S8_EEEEZNS1_11reduce_implILb1ES3_NS6_12zip_iteratorINS7_INS6_11hip_rocprim26transform_input_iterator_tIbPiNS6_6detail10functional5actorINSH_9compositeIJNSH_27transparent_binary_operatorINS6_8equal_toIvEEEENSI_INSH_8argumentILj0EEEEENSH_5valueIiEEEEEEEEENSD_19counting_iterator_tIlEES8_S8_S8_S8_S8_S8_S8_S8_EEEEPS9_S9_NSD_9__find_if7functorIS9_EEEE10hipError_tPvRmT1_T2_T3_mT4_P12ihipStream_tbEUlT_E1_NS1_11comp_targetILNS1_3genE9ELNS1_11target_archE1100ELNS1_3gpuE3ELNS1_3repE0EEENS1_30default_config_static_selectorELNS0_4arch9wavefront6targetE1EEEvS17_,comdat
	.protected	_ZN7rocprim17ROCPRIM_400000_NS6detail17trampoline_kernelINS0_14default_configENS1_22reduce_config_selectorIN6thrust23THRUST_200600_302600_NS5tupleIblNS6_9null_typeES8_S8_S8_S8_S8_S8_S8_EEEEZNS1_11reduce_implILb1ES3_NS6_12zip_iteratorINS7_INS6_11hip_rocprim26transform_input_iterator_tIbPiNS6_6detail10functional5actorINSH_9compositeIJNSH_27transparent_binary_operatorINS6_8equal_toIvEEEENSI_INSH_8argumentILj0EEEEENSH_5valueIiEEEEEEEEENSD_19counting_iterator_tIlEES8_S8_S8_S8_S8_S8_S8_S8_EEEEPS9_S9_NSD_9__find_if7functorIS9_EEEE10hipError_tPvRmT1_T2_T3_mT4_P12ihipStream_tbEUlT_E1_NS1_11comp_targetILNS1_3genE9ELNS1_11target_archE1100ELNS1_3gpuE3ELNS1_3repE0EEENS1_30default_config_static_selectorELNS0_4arch9wavefront6targetE1EEEvS17_ ; -- Begin function _ZN7rocprim17ROCPRIM_400000_NS6detail17trampoline_kernelINS0_14default_configENS1_22reduce_config_selectorIN6thrust23THRUST_200600_302600_NS5tupleIblNS6_9null_typeES8_S8_S8_S8_S8_S8_S8_EEEEZNS1_11reduce_implILb1ES3_NS6_12zip_iteratorINS7_INS6_11hip_rocprim26transform_input_iterator_tIbPiNS6_6detail10functional5actorINSH_9compositeIJNSH_27transparent_binary_operatorINS6_8equal_toIvEEEENSI_INSH_8argumentILj0EEEEENSH_5valueIiEEEEEEEEENSD_19counting_iterator_tIlEES8_S8_S8_S8_S8_S8_S8_S8_EEEEPS9_S9_NSD_9__find_if7functorIS9_EEEE10hipError_tPvRmT1_T2_T3_mT4_P12ihipStream_tbEUlT_E1_NS1_11comp_targetILNS1_3genE9ELNS1_11target_archE1100ELNS1_3gpuE3ELNS1_3repE0EEENS1_30default_config_static_selectorELNS0_4arch9wavefront6targetE1EEEvS17_
	.globl	_ZN7rocprim17ROCPRIM_400000_NS6detail17trampoline_kernelINS0_14default_configENS1_22reduce_config_selectorIN6thrust23THRUST_200600_302600_NS5tupleIblNS6_9null_typeES8_S8_S8_S8_S8_S8_S8_EEEEZNS1_11reduce_implILb1ES3_NS6_12zip_iteratorINS7_INS6_11hip_rocprim26transform_input_iterator_tIbPiNS6_6detail10functional5actorINSH_9compositeIJNSH_27transparent_binary_operatorINS6_8equal_toIvEEEENSI_INSH_8argumentILj0EEEEENSH_5valueIiEEEEEEEEENSD_19counting_iterator_tIlEES8_S8_S8_S8_S8_S8_S8_S8_EEEEPS9_S9_NSD_9__find_if7functorIS9_EEEE10hipError_tPvRmT1_T2_T3_mT4_P12ihipStream_tbEUlT_E1_NS1_11comp_targetILNS1_3genE9ELNS1_11target_archE1100ELNS1_3gpuE3ELNS1_3repE0EEENS1_30default_config_static_selectorELNS0_4arch9wavefront6targetE1EEEvS17_
	.p2align	8
	.type	_ZN7rocprim17ROCPRIM_400000_NS6detail17trampoline_kernelINS0_14default_configENS1_22reduce_config_selectorIN6thrust23THRUST_200600_302600_NS5tupleIblNS6_9null_typeES8_S8_S8_S8_S8_S8_S8_EEEEZNS1_11reduce_implILb1ES3_NS6_12zip_iteratorINS7_INS6_11hip_rocprim26transform_input_iterator_tIbPiNS6_6detail10functional5actorINSH_9compositeIJNSH_27transparent_binary_operatorINS6_8equal_toIvEEEENSI_INSH_8argumentILj0EEEEENSH_5valueIiEEEEEEEEENSD_19counting_iterator_tIlEES8_S8_S8_S8_S8_S8_S8_S8_EEEEPS9_S9_NSD_9__find_if7functorIS9_EEEE10hipError_tPvRmT1_T2_T3_mT4_P12ihipStream_tbEUlT_E1_NS1_11comp_targetILNS1_3genE9ELNS1_11target_archE1100ELNS1_3gpuE3ELNS1_3repE0EEENS1_30default_config_static_selectorELNS0_4arch9wavefront6targetE1EEEvS17_,@function
_ZN7rocprim17ROCPRIM_400000_NS6detail17trampoline_kernelINS0_14default_configENS1_22reduce_config_selectorIN6thrust23THRUST_200600_302600_NS5tupleIblNS6_9null_typeES8_S8_S8_S8_S8_S8_S8_EEEEZNS1_11reduce_implILb1ES3_NS6_12zip_iteratorINS7_INS6_11hip_rocprim26transform_input_iterator_tIbPiNS6_6detail10functional5actorINSH_9compositeIJNSH_27transparent_binary_operatorINS6_8equal_toIvEEEENSI_INSH_8argumentILj0EEEEENSH_5valueIiEEEEEEEEENSD_19counting_iterator_tIlEES8_S8_S8_S8_S8_S8_S8_S8_EEEEPS9_S9_NSD_9__find_if7functorIS9_EEEE10hipError_tPvRmT1_T2_T3_mT4_P12ihipStream_tbEUlT_E1_NS1_11comp_targetILNS1_3genE9ELNS1_11target_archE1100ELNS1_3gpuE3ELNS1_3repE0EEENS1_30default_config_static_selectorELNS0_4arch9wavefront6targetE1EEEvS17_: ; @_ZN7rocprim17ROCPRIM_400000_NS6detail17trampoline_kernelINS0_14default_configENS1_22reduce_config_selectorIN6thrust23THRUST_200600_302600_NS5tupleIblNS6_9null_typeES8_S8_S8_S8_S8_S8_S8_EEEEZNS1_11reduce_implILb1ES3_NS6_12zip_iteratorINS7_INS6_11hip_rocprim26transform_input_iterator_tIbPiNS6_6detail10functional5actorINSH_9compositeIJNSH_27transparent_binary_operatorINS6_8equal_toIvEEEENSI_INSH_8argumentILj0EEEEENSH_5valueIiEEEEEEEEENSD_19counting_iterator_tIlEES8_S8_S8_S8_S8_S8_S8_S8_EEEEPS9_S9_NSD_9__find_if7functorIS9_EEEE10hipError_tPvRmT1_T2_T3_mT4_P12ihipStream_tbEUlT_E1_NS1_11comp_targetILNS1_3genE9ELNS1_11target_archE1100ELNS1_3gpuE3ELNS1_3repE0EEENS1_30default_config_static_selectorELNS0_4arch9wavefront6targetE1EEEvS17_
; %bb.0:
	.section	.rodata,"a",@progbits
	.p2align	6, 0x0
	.amdhsa_kernel _ZN7rocprim17ROCPRIM_400000_NS6detail17trampoline_kernelINS0_14default_configENS1_22reduce_config_selectorIN6thrust23THRUST_200600_302600_NS5tupleIblNS6_9null_typeES8_S8_S8_S8_S8_S8_S8_EEEEZNS1_11reduce_implILb1ES3_NS6_12zip_iteratorINS7_INS6_11hip_rocprim26transform_input_iterator_tIbPiNS6_6detail10functional5actorINSH_9compositeIJNSH_27transparent_binary_operatorINS6_8equal_toIvEEEENSI_INSH_8argumentILj0EEEEENSH_5valueIiEEEEEEEEENSD_19counting_iterator_tIlEES8_S8_S8_S8_S8_S8_S8_S8_EEEEPS9_S9_NSD_9__find_if7functorIS9_EEEE10hipError_tPvRmT1_T2_T3_mT4_P12ihipStream_tbEUlT_E1_NS1_11comp_targetILNS1_3genE9ELNS1_11target_archE1100ELNS1_3gpuE3ELNS1_3repE0EEENS1_30default_config_static_selectorELNS0_4arch9wavefront6targetE1EEEvS17_
		.amdhsa_group_segment_fixed_size 0
		.amdhsa_private_segment_fixed_size 0
		.amdhsa_kernarg_size 72
		.amdhsa_user_sgpr_count 6
		.amdhsa_user_sgpr_private_segment_buffer 1
		.amdhsa_user_sgpr_dispatch_ptr 0
		.amdhsa_user_sgpr_queue_ptr 0
		.amdhsa_user_sgpr_kernarg_segment_ptr 1
		.amdhsa_user_sgpr_dispatch_id 0
		.amdhsa_user_sgpr_flat_scratch_init 0
		.amdhsa_user_sgpr_kernarg_preload_length 0
		.amdhsa_user_sgpr_kernarg_preload_offset 0
		.amdhsa_user_sgpr_private_segment_size 0
		.amdhsa_uses_dynamic_stack 0
		.amdhsa_system_sgpr_private_segment_wavefront_offset 0
		.amdhsa_system_sgpr_workgroup_id_x 1
		.amdhsa_system_sgpr_workgroup_id_y 0
		.amdhsa_system_sgpr_workgroup_id_z 0
		.amdhsa_system_sgpr_workgroup_info 0
		.amdhsa_system_vgpr_workitem_id 0
		.amdhsa_next_free_vgpr 1
		.amdhsa_next_free_sgpr 0
		.amdhsa_accum_offset 4
		.amdhsa_reserve_vcc 0
		.amdhsa_reserve_flat_scratch 0
		.amdhsa_float_round_mode_32 0
		.amdhsa_float_round_mode_16_64 0
		.amdhsa_float_denorm_mode_32 3
		.amdhsa_float_denorm_mode_16_64 3
		.amdhsa_dx10_clamp 1
		.amdhsa_ieee_mode 1
		.amdhsa_fp16_overflow 0
		.amdhsa_tg_split 0
		.amdhsa_exception_fp_ieee_invalid_op 0
		.amdhsa_exception_fp_denorm_src 0
		.amdhsa_exception_fp_ieee_div_zero 0
		.amdhsa_exception_fp_ieee_overflow 0
		.amdhsa_exception_fp_ieee_underflow 0
		.amdhsa_exception_fp_ieee_inexact 0
		.amdhsa_exception_int_div_zero 0
	.end_amdhsa_kernel
	.section	.text._ZN7rocprim17ROCPRIM_400000_NS6detail17trampoline_kernelINS0_14default_configENS1_22reduce_config_selectorIN6thrust23THRUST_200600_302600_NS5tupleIblNS6_9null_typeES8_S8_S8_S8_S8_S8_S8_EEEEZNS1_11reduce_implILb1ES3_NS6_12zip_iteratorINS7_INS6_11hip_rocprim26transform_input_iterator_tIbPiNS6_6detail10functional5actorINSH_9compositeIJNSH_27transparent_binary_operatorINS6_8equal_toIvEEEENSI_INSH_8argumentILj0EEEEENSH_5valueIiEEEEEEEEENSD_19counting_iterator_tIlEES8_S8_S8_S8_S8_S8_S8_S8_EEEEPS9_S9_NSD_9__find_if7functorIS9_EEEE10hipError_tPvRmT1_T2_T3_mT4_P12ihipStream_tbEUlT_E1_NS1_11comp_targetILNS1_3genE9ELNS1_11target_archE1100ELNS1_3gpuE3ELNS1_3repE0EEENS1_30default_config_static_selectorELNS0_4arch9wavefront6targetE1EEEvS17_,"axG",@progbits,_ZN7rocprim17ROCPRIM_400000_NS6detail17trampoline_kernelINS0_14default_configENS1_22reduce_config_selectorIN6thrust23THRUST_200600_302600_NS5tupleIblNS6_9null_typeES8_S8_S8_S8_S8_S8_S8_EEEEZNS1_11reduce_implILb1ES3_NS6_12zip_iteratorINS7_INS6_11hip_rocprim26transform_input_iterator_tIbPiNS6_6detail10functional5actorINSH_9compositeIJNSH_27transparent_binary_operatorINS6_8equal_toIvEEEENSI_INSH_8argumentILj0EEEEENSH_5valueIiEEEEEEEEENSD_19counting_iterator_tIlEES8_S8_S8_S8_S8_S8_S8_S8_EEEEPS9_S9_NSD_9__find_if7functorIS9_EEEE10hipError_tPvRmT1_T2_T3_mT4_P12ihipStream_tbEUlT_E1_NS1_11comp_targetILNS1_3genE9ELNS1_11target_archE1100ELNS1_3gpuE3ELNS1_3repE0EEENS1_30default_config_static_selectorELNS0_4arch9wavefront6targetE1EEEvS17_,comdat
.Lfunc_end990:
	.size	_ZN7rocprim17ROCPRIM_400000_NS6detail17trampoline_kernelINS0_14default_configENS1_22reduce_config_selectorIN6thrust23THRUST_200600_302600_NS5tupleIblNS6_9null_typeES8_S8_S8_S8_S8_S8_S8_EEEEZNS1_11reduce_implILb1ES3_NS6_12zip_iteratorINS7_INS6_11hip_rocprim26transform_input_iterator_tIbPiNS6_6detail10functional5actorINSH_9compositeIJNSH_27transparent_binary_operatorINS6_8equal_toIvEEEENSI_INSH_8argumentILj0EEEEENSH_5valueIiEEEEEEEEENSD_19counting_iterator_tIlEES8_S8_S8_S8_S8_S8_S8_S8_EEEEPS9_S9_NSD_9__find_if7functorIS9_EEEE10hipError_tPvRmT1_T2_T3_mT4_P12ihipStream_tbEUlT_E1_NS1_11comp_targetILNS1_3genE9ELNS1_11target_archE1100ELNS1_3gpuE3ELNS1_3repE0EEENS1_30default_config_static_selectorELNS0_4arch9wavefront6targetE1EEEvS17_, .Lfunc_end990-_ZN7rocprim17ROCPRIM_400000_NS6detail17trampoline_kernelINS0_14default_configENS1_22reduce_config_selectorIN6thrust23THRUST_200600_302600_NS5tupleIblNS6_9null_typeES8_S8_S8_S8_S8_S8_S8_EEEEZNS1_11reduce_implILb1ES3_NS6_12zip_iteratorINS7_INS6_11hip_rocprim26transform_input_iterator_tIbPiNS6_6detail10functional5actorINSH_9compositeIJNSH_27transparent_binary_operatorINS6_8equal_toIvEEEENSI_INSH_8argumentILj0EEEEENSH_5valueIiEEEEEEEEENSD_19counting_iterator_tIlEES8_S8_S8_S8_S8_S8_S8_S8_EEEEPS9_S9_NSD_9__find_if7functorIS9_EEEE10hipError_tPvRmT1_T2_T3_mT4_P12ihipStream_tbEUlT_E1_NS1_11comp_targetILNS1_3genE9ELNS1_11target_archE1100ELNS1_3gpuE3ELNS1_3repE0EEENS1_30default_config_static_selectorELNS0_4arch9wavefront6targetE1EEEvS17_
                                        ; -- End function
	.section	.AMDGPU.csdata,"",@progbits
; Kernel info:
; codeLenInByte = 0
; NumSgprs: 4
; NumVgprs: 0
; NumAgprs: 0
; TotalNumVgprs: 0
; ScratchSize: 0
; MemoryBound: 0
; FloatMode: 240
; IeeeMode: 1
; LDSByteSize: 0 bytes/workgroup (compile time only)
; SGPRBlocks: 0
; VGPRBlocks: 0
; NumSGPRsForWavesPerEU: 4
; NumVGPRsForWavesPerEU: 1
; AccumOffset: 4
; Occupancy: 8
; WaveLimiterHint : 0
; COMPUTE_PGM_RSRC2:SCRATCH_EN: 0
; COMPUTE_PGM_RSRC2:USER_SGPR: 6
; COMPUTE_PGM_RSRC2:TRAP_HANDLER: 0
; COMPUTE_PGM_RSRC2:TGID_X_EN: 1
; COMPUTE_PGM_RSRC2:TGID_Y_EN: 0
; COMPUTE_PGM_RSRC2:TGID_Z_EN: 0
; COMPUTE_PGM_RSRC2:TIDIG_COMP_CNT: 0
; COMPUTE_PGM_RSRC3_GFX90A:ACCUM_OFFSET: 0
; COMPUTE_PGM_RSRC3_GFX90A:TG_SPLIT: 0
	.section	.text._ZN7rocprim17ROCPRIM_400000_NS6detail17trampoline_kernelINS0_14default_configENS1_22reduce_config_selectorIN6thrust23THRUST_200600_302600_NS5tupleIblNS6_9null_typeES8_S8_S8_S8_S8_S8_S8_EEEEZNS1_11reduce_implILb1ES3_NS6_12zip_iteratorINS7_INS6_11hip_rocprim26transform_input_iterator_tIbPiNS6_6detail10functional5actorINSH_9compositeIJNSH_27transparent_binary_operatorINS6_8equal_toIvEEEENSI_INSH_8argumentILj0EEEEENSH_5valueIiEEEEEEEEENSD_19counting_iterator_tIlEES8_S8_S8_S8_S8_S8_S8_S8_EEEEPS9_S9_NSD_9__find_if7functorIS9_EEEE10hipError_tPvRmT1_T2_T3_mT4_P12ihipStream_tbEUlT_E1_NS1_11comp_targetILNS1_3genE8ELNS1_11target_archE1030ELNS1_3gpuE2ELNS1_3repE0EEENS1_30default_config_static_selectorELNS0_4arch9wavefront6targetE1EEEvS17_,"axG",@progbits,_ZN7rocprim17ROCPRIM_400000_NS6detail17trampoline_kernelINS0_14default_configENS1_22reduce_config_selectorIN6thrust23THRUST_200600_302600_NS5tupleIblNS6_9null_typeES8_S8_S8_S8_S8_S8_S8_EEEEZNS1_11reduce_implILb1ES3_NS6_12zip_iteratorINS7_INS6_11hip_rocprim26transform_input_iterator_tIbPiNS6_6detail10functional5actorINSH_9compositeIJNSH_27transparent_binary_operatorINS6_8equal_toIvEEEENSI_INSH_8argumentILj0EEEEENSH_5valueIiEEEEEEEEENSD_19counting_iterator_tIlEES8_S8_S8_S8_S8_S8_S8_S8_EEEEPS9_S9_NSD_9__find_if7functorIS9_EEEE10hipError_tPvRmT1_T2_T3_mT4_P12ihipStream_tbEUlT_E1_NS1_11comp_targetILNS1_3genE8ELNS1_11target_archE1030ELNS1_3gpuE2ELNS1_3repE0EEENS1_30default_config_static_selectorELNS0_4arch9wavefront6targetE1EEEvS17_,comdat
	.protected	_ZN7rocprim17ROCPRIM_400000_NS6detail17trampoline_kernelINS0_14default_configENS1_22reduce_config_selectorIN6thrust23THRUST_200600_302600_NS5tupleIblNS6_9null_typeES8_S8_S8_S8_S8_S8_S8_EEEEZNS1_11reduce_implILb1ES3_NS6_12zip_iteratorINS7_INS6_11hip_rocprim26transform_input_iterator_tIbPiNS6_6detail10functional5actorINSH_9compositeIJNSH_27transparent_binary_operatorINS6_8equal_toIvEEEENSI_INSH_8argumentILj0EEEEENSH_5valueIiEEEEEEEEENSD_19counting_iterator_tIlEES8_S8_S8_S8_S8_S8_S8_S8_EEEEPS9_S9_NSD_9__find_if7functorIS9_EEEE10hipError_tPvRmT1_T2_T3_mT4_P12ihipStream_tbEUlT_E1_NS1_11comp_targetILNS1_3genE8ELNS1_11target_archE1030ELNS1_3gpuE2ELNS1_3repE0EEENS1_30default_config_static_selectorELNS0_4arch9wavefront6targetE1EEEvS17_ ; -- Begin function _ZN7rocprim17ROCPRIM_400000_NS6detail17trampoline_kernelINS0_14default_configENS1_22reduce_config_selectorIN6thrust23THRUST_200600_302600_NS5tupleIblNS6_9null_typeES8_S8_S8_S8_S8_S8_S8_EEEEZNS1_11reduce_implILb1ES3_NS6_12zip_iteratorINS7_INS6_11hip_rocprim26transform_input_iterator_tIbPiNS6_6detail10functional5actorINSH_9compositeIJNSH_27transparent_binary_operatorINS6_8equal_toIvEEEENSI_INSH_8argumentILj0EEEEENSH_5valueIiEEEEEEEEENSD_19counting_iterator_tIlEES8_S8_S8_S8_S8_S8_S8_S8_EEEEPS9_S9_NSD_9__find_if7functorIS9_EEEE10hipError_tPvRmT1_T2_T3_mT4_P12ihipStream_tbEUlT_E1_NS1_11comp_targetILNS1_3genE8ELNS1_11target_archE1030ELNS1_3gpuE2ELNS1_3repE0EEENS1_30default_config_static_selectorELNS0_4arch9wavefront6targetE1EEEvS17_
	.globl	_ZN7rocprim17ROCPRIM_400000_NS6detail17trampoline_kernelINS0_14default_configENS1_22reduce_config_selectorIN6thrust23THRUST_200600_302600_NS5tupleIblNS6_9null_typeES8_S8_S8_S8_S8_S8_S8_EEEEZNS1_11reduce_implILb1ES3_NS6_12zip_iteratorINS7_INS6_11hip_rocprim26transform_input_iterator_tIbPiNS6_6detail10functional5actorINSH_9compositeIJNSH_27transparent_binary_operatorINS6_8equal_toIvEEEENSI_INSH_8argumentILj0EEEEENSH_5valueIiEEEEEEEEENSD_19counting_iterator_tIlEES8_S8_S8_S8_S8_S8_S8_S8_EEEEPS9_S9_NSD_9__find_if7functorIS9_EEEE10hipError_tPvRmT1_T2_T3_mT4_P12ihipStream_tbEUlT_E1_NS1_11comp_targetILNS1_3genE8ELNS1_11target_archE1030ELNS1_3gpuE2ELNS1_3repE0EEENS1_30default_config_static_selectorELNS0_4arch9wavefront6targetE1EEEvS17_
	.p2align	8
	.type	_ZN7rocprim17ROCPRIM_400000_NS6detail17trampoline_kernelINS0_14default_configENS1_22reduce_config_selectorIN6thrust23THRUST_200600_302600_NS5tupleIblNS6_9null_typeES8_S8_S8_S8_S8_S8_S8_EEEEZNS1_11reduce_implILb1ES3_NS6_12zip_iteratorINS7_INS6_11hip_rocprim26transform_input_iterator_tIbPiNS6_6detail10functional5actorINSH_9compositeIJNSH_27transparent_binary_operatorINS6_8equal_toIvEEEENSI_INSH_8argumentILj0EEEEENSH_5valueIiEEEEEEEEENSD_19counting_iterator_tIlEES8_S8_S8_S8_S8_S8_S8_S8_EEEEPS9_S9_NSD_9__find_if7functorIS9_EEEE10hipError_tPvRmT1_T2_T3_mT4_P12ihipStream_tbEUlT_E1_NS1_11comp_targetILNS1_3genE8ELNS1_11target_archE1030ELNS1_3gpuE2ELNS1_3repE0EEENS1_30default_config_static_selectorELNS0_4arch9wavefront6targetE1EEEvS17_,@function
_ZN7rocprim17ROCPRIM_400000_NS6detail17trampoline_kernelINS0_14default_configENS1_22reduce_config_selectorIN6thrust23THRUST_200600_302600_NS5tupleIblNS6_9null_typeES8_S8_S8_S8_S8_S8_S8_EEEEZNS1_11reduce_implILb1ES3_NS6_12zip_iteratorINS7_INS6_11hip_rocprim26transform_input_iterator_tIbPiNS6_6detail10functional5actorINSH_9compositeIJNSH_27transparent_binary_operatorINS6_8equal_toIvEEEENSI_INSH_8argumentILj0EEEEENSH_5valueIiEEEEEEEEENSD_19counting_iterator_tIlEES8_S8_S8_S8_S8_S8_S8_S8_EEEEPS9_S9_NSD_9__find_if7functorIS9_EEEE10hipError_tPvRmT1_T2_T3_mT4_P12ihipStream_tbEUlT_E1_NS1_11comp_targetILNS1_3genE8ELNS1_11target_archE1030ELNS1_3gpuE2ELNS1_3repE0EEENS1_30default_config_static_selectorELNS0_4arch9wavefront6targetE1EEEvS17_: ; @_ZN7rocprim17ROCPRIM_400000_NS6detail17trampoline_kernelINS0_14default_configENS1_22reduce_config_selectorIN6thrust23THRUST_200600_302600_NS5tupleIblNS6_9null_typeES8_S8_S8_S8_S8_S8_S8_EEEEZNS1_11reduce_implILb1ES3_NS6_12zip_iteratorINS7_INS6_11hip_rocprim26transform_input_iterator_tIbPiNS6_6detail10functional5actorINSH_9compositeIJNSH_27transparent_binary_operatorINS6_8equal_toIvEEEENSI_INSH_8argumentILj0EEEEENSH_5valueIiEEEEEEEEENSD_19counting_iterator_tIlEES8_S8_S8_S8_S8_S8_S8_S8_EEEEPS9_S9_NSD_9__find_if7functorIS9_EEEE10hipError_tPvRmT1_T2_T3_mT4_P12ihipStream_tbEUlT_E1_NS1_11comp_targetILNS1_3genE8ELNS1_11target_archE1030ELNS1_3gpuE2ELNS1_3repE0EEENS1_30default_config_static_selectorELNS0_4arch9wavefront6targetE1EEEvS17_
; %bb.0:
	.section	.rodata,"a",@progbits
	.p2align	6, 0x0
	.amdhsa_kernel _ZN7rocprim17ROCPRIM_400000_NS6detail17trampoline_kernelINS0_14default_configENS1_22reduce_config_selectorIN6thrust23THRUST_200600_302600_NS5tupleIblNS6_9null_typeES8_S8_S8_S8_S8_S8_S8_EEEEZNS1_11reduce_implILb1ES3_NS6_12zip_iteratorINS7_INS6_11hip_rocprim26transform_input_iterator_tIbPiNS6_6detail10functional5actorINSH_9compositeIJNSH_27transparent_binary_operatorINS6_8equal_toIvEEEENSI_INSH_8argumentILj0EEEEENSH_5valueIiEEEEEEEEENSD_19counting_iterator_tIlEES8_S8_S8_S8_S8_S8_S8_S8_EEEEPS9_S9_NSD_9__find_if7functorIS9_EEEE10hipError_tPvRmT1_T2_T3_mT4_P12ihipStream_tbEUlT_E1_NS1_11comp_targetILNS1_3genE8ELNS1_11target_archE1030ELNS1_3gpuE2ELNS1_3repE0EEENS1_30default_config_static_selectorELNS0_4arch9wavefront6targetE1EEEvS17_
		.amdhsa_group_segment_fixed_size 0
		.amdhsa_private_segment_fixed_size 0
		.amdhsa_kernarg_size 72
		.amdhsa_user_sgpr_count 6
		.amdhsa_user_sgpr_private_segment_buffer 1
		.amdhsa_user_sgpr_dispatch_ptr 0
		.amdhsa_user_sgpr_queue_ptr 0
		.amdhsa_user_sgpr_kernarg_segment_ptr 1
		.amdhsa_user_sgpr_dispatch_id 0
		.amdhsa_user_sgpr_flat_scratch_init 0
		.amdhsa_user_sgpr_kernarg_preload_length 0
		.amdhsa_user_sgpr_kernarg_preload_offset 0
		.amdhsa_user_sgpr_private_segment_size 0
		.amdhsa_uses_dynamic_stack 0
		.amdhsa_system_sgpr_private_segment_wavefront_offset 0
		.amdhsa_system_sgpr_workgroup_id_x 1
		.amdhsa_system_sgpr_workgroup_id_y 0
		.amdhsa_system_sgpr_workgroup_id_z 0
		.amdhsa_system_sgpr_workgroup_info 0
		.amdhsa_system_vgpr_workitem_id 0
		.amdhsa_next_free_vgpr 1
		.amdhsa_next_free_sgpr 0
		.amdhsa_accum_offset 4
		.amdhsa_reserve_vcc 0
		.amdhsa_reserve_flat_scratch 0
		.amdhsa_float_round_mode_32 0
		.amdhsa_float_round_mode_16_64 0
		.amdhsa_float_denorm_mode_32 3
		.amdhsa_float_denorm_mode_16_64 3
		.amdhsa_dx10_clamp 1
		.amdhsa_ieee_mode 1
		.amdhsa_fp16_overflow 0
		.amdhsa_tg_split 0
		.amdhsa_exception_fp_ieee_invalid_op 0
		.amdhsa_exception_fp_denorm_src 0
		.amdhsa_exception_fp_ieee_div_zero 0
		.amdhsa_exception_fp_ieee_overflow 0
		.amdhsa_exception_fp_ieee_underflow 0
		.amdhsa_exception_fp_ieee_inexact 0
		.amdhsa_exception_int_div_zero 0
	.end_amdhsa_kernel
	.section	.text._ZN7rocprim17ROCPRIM_400000_NS6detail17trampoline_kernelINS0_14default_configENS1_22reduce_config_selectorIN6thrust23THRUST_200600_302600_NS5tupleIblNS6_9null_typeES8_S8_S8_S8_S8_S8_S8_EEEEZNS1_11reduce_implILb1ES3_NS6_12zip_iteratorINS7_INS6_11hip_rocprim26transform_input_iterator_tIbPiNS6_6detail10functional5actorINSH_9compositeIJNSH_27transparent_binary_operatorINS6_8equal_toIvEEEENSI_INSH_8argumentILj0EEEEENSH_5valueIiEEEEEEEEENSD_19counting_iterator_tIlEES8_S8_S8_S8_S8_S8_S8_S8_EEEEPS9_S9_NSD_9__find_if7functorIS9_EEEE10hipError_tPvRmT1_T2_T3_mT4_P12ihipStream_tbEUlT_E1_NS1_11comp_targetILNS1_3genE8ELNS1_11target_archE1030ELNS1_3gpuE2ELNS1_3repE0EEENS1_30default_config_static_selectorELNS0_4arch9wavefront6targetE1EEEvS17_,"axG",@progbits,_ZN7rocprim17ROCPRIM_400000_NS6detail17trampoline_kernelINS0_14default_configENS1_22reduce_config_selectorIN6thrust23THRUST_200600_302600_NS5tupleIblNS6_9null_typeES8_S8_S8_S8_S8_S8_S8_EEEEZNS1_11reduce_implILb1ES3_NS6_12zip_iteratorINS7_INS6_11hip_rocprim26transform_input_iterator_tIbPiNS6_6detail10functional5actorINSH_9compositeIJNSH_27transparent_binary_operatorINS6_8equal_toIvEEEENSI_INSH_8argumentILj0EEEEENSH_5valueIiEEEEEEEEENSD_19counting_iterator_tIlEES8_S8_S8_S8_S8_S8_S8_S8_EEEEPS9_S9_NSD_9__find_if7functorIS9_EEEE10hipError_tPvRmT1_T2_T3_mT4_P12ihipStream_tbEUlT_E1_NS1_11comp_targetILNS1_3genE8ELNS1_11target_archE1030ELNS1_3gpuE2ELNS1_3repE0EEENS1_30default_config_static_selectorELNS0_4arch9wavefront6targetE1EEEvS17_,comdat
.Lfunc_end991:
	.size	_ZN7rocprim17ROCPRIM_400000_NS6detail17trampoline_kernelINS0_14default_configENS1_22reduce_config_selectorIN6thrust23THRUST_200600_302600_NS5tupleIblNS6_9null_typeES8_S8_S8_S8_S8_S8_S8_EEEEZNS1_11reduce_implILb1ES3_NS6_12zip_iteratorINS7_INS6_11hip_rocprim26transform_input_iterator_tIbPiNS6_6detail10functional5actorINSH_9compositeIJNSH_27transparent_binary_operatorINS6_8equal_toIvEEEENSI_INSH_8argumentILj0EEEEENSH_5valueIiEEEEEEEEENSD_19counting_iterator_tIlEES8_S8_S8_S8_S8_S8_S8_S8_EEEEPS9_S9_NSD_9__find_if7functorIS9_EEEE10hipError_tPvRmT1_T2_T3_mT4_P12ihipStream_tbEUlT_E1_NS1_11comp_targetILNS1_3genE8ELNS1_11target_archE1030ELNS1_3gpuE2ELNS1_3repE0EEENS1_30default_config_static_selectorELNS0_4arch9wavefront6targetE1EEEvS17_, .Lfunc_end991-_ZN7rocprim17ROCPRIM_400000_NS6detail17trampoline_kernelINS0_14default_configENS1_22reduce_config_selectorIN6thrust23THRUST_200600_302600_NS5tupleIblNS6_9null_typeES8_S8_S8_S8_S8_S8_S8_EEEEZNS1_11reduce_implILb1ES3_NS6_12zip_iteratorINS7_INS6_11hip_rocprim26transform_input_iterator_tIbPiNS6_6detail10functional5actorINSH_9compositeIJNSH_27transparent_binary_operatorINS6_8equal_toIvEEEENSI_INSH_8argumentILj0EEEEENSH_5valueIiEEEEEEEEENSD_19counting_iterator_tIlEES8_S8_S8_S8_S8_S8_S8_S8_EEEEPS9_S9_NSD_9__find_if7functorIS9_EEEE10hipError_tPvRmT1_T2_T3_mT4_P12ihipStream_tbEUlT_E1_NS1_11comp_targetILNS1_3genE8ELNS1_11target_archE1030ELNS1_3gpuE2ELNS1_3repE0EEENS1_30default_config_static_selectorELNS0_4arch9wavefront6targetE1EEEvS17_
                                        ; -- End function
	.section	.AMDGPU.csdata,"",@progbits
; Kernel info:
; codeLenInByte = 0
; NumSgprs: 4
; NumVgprs: 0
; NumAgprs: 0
; TotalNumVgprs: 0
; ScratchSize: 0
; MemoryBound: 0
; FloatMode: 240
; IeeeMode: 1
; LDSByteSize: 0 bytes/workgroup (compile time only)
; SGPRBlocks: 0
; VGPRBlocks: 0
; NumSGPRsForWavesPerEU: 4
; NumVGPRsForWavesPerEU: 1
; AccumOffset: 4
; Occupancy: 8
; WaveLimiterHint : 0
; COMPUTE_PGM_RSRC2:SCRATCH_EN: 0
; COMPUTE_PGM_RSRC2:USER_SGPR: 6
; COMPUTE_PGM_RSRC2:TRAP_HANDLER: 0
; COMPUTE_PGM_RSRC2:TGID_X_EN: 1
; COMPUTE_PGM_RSRC2:TGID_Y_EN: 0
; COMPUTE_PGM_RSRC2:TGID_Z_EN: 0
; COMPUTE_PGM_RSRC2:TIDIG_COMP_CNT: 0
; COMPUTE_PGM_RSRC3_GFX90A:ACCUM_OFFSET: 0
; COMPUTE_PGM_RSRC3_GFX90A:TG_SPLIT: 0
	.section	.text._ZN7rocprim17ROCPRIM_400000_NS6detail17trampoline_kernelINS0_13kernel_configILj256ELj4ELj4294967295EEENS1_37radix_sort_block_sort_config_selectorIllEEZNS1_21radix_sort_block_sortIS4_Lb0EPlS8_N6thrust23THRUST_200600_302600_NS10device_ptrIlEESC_NS0_19identity_decomposerEEE10hipError_tT1_T2_T3_T4_jRjT5_jjP12ihipStream_tbEUlT_E_NS1_11comp_targetILNS1_3genE0ELNS1_11target_archE4294967295ELNS1_3gpuE0ELNS1_3repE0EEENS1_44radix_sort_block_sort_config_static_selectorELNS0_4arch9wavefront6targetE1EEEvSF_,"axG",@progbits,_ZN7rocprim17ROCPRIM_400000_NS6detail17trampoline_kernelINS0_13kernel_configILj256ELj4ELj4294967295EEENS1_37radix_sort_block_sort_config_selectorIllEEZNS1_21radix_sort_block_sortIS4_Lb0EPlS8_N6thrust23THRUST_200600_302600_NS10device_ptrIlEESC_NS0_19identity_decomposerEEE10hipError_tT1_T2_T3_T4_jRjT5_jjP12ihipStream_tbEUlT_E_NS1_11comp_targetILNS1_3genE0ELNS1_11target_archE4294967295ELNS1_3gpuE0ELNS1_3repE0EEENS1_44radix_sort_block_sort_config_static_selectorELNS0_4arch9wavefront6targetE1EEEvSF_,comdat
	.protected	_ZN7rocprim17ROCPRIM_400000_NS6detail17trampoline_kernelINS0_13kernel_configILj256ELj4ELj4294967295EEENS1_37radix_sort_block_sort_config_selectorIllEEZNS1_21radix_sort_block_sortIS4_Lb0EPlS8_N6thrust23THRUST_200600_302600_NS10device_ptrIlEESC_NS0_19identity_decomposerEEE10hipError_tT1_T2_T3_T4_jRjT5_jjP12ihipStream_tbEUlT_E_NS1_11comp_targetILNS1_3genE0ELNS1_11target_archE4294967295ELNS1_3gpuE0ELNS1_3repE0EEENS1_44radix_sort_block_sort_config_static_selectorELNS0_4arch9wavefront6targetE1EEEvSF_ ; -- Begin function _ZN7rocprim17ROCPRIM_400000_NS6detail17trampoline_kernelINS0_13kernel_configILj256ELj4ELj4294967295EEENS1_37radix_sort_block_sort_config_selectorIllEEZNS1_21radix_sort_block_sortIS4_Lb0EPlS8_N6thrust23THRUST_200600_302600_NS10device_ptrIlEESC_NS0_19identity_decomposerEEE10hipError_tT1_T2_T3_T4_jRjT5_jjP12ihipStream_tbEUlT_E_NS1_11comp_targetILNS1_3genE0ELNS1_11target_archE4294967295ELNS1_3gpuE0ELNS1_3repE0EEENS1_44radix_sort_block_sort_config_static_selectorELNS0_4arch9wavefront6targetE1EEEvSF_
	.globl	_ZN7rocprim17ROCPRIM_400000_NS6detail17trampoline_kernelINS0_13kernel_configILj256ELj4ELj4294967295EEENS1_37radix_sort_block_sort_config_selectorIllEEZNS1_21radix_sort_block_sortIS4_Lb0EPlS8_N6thrust23THRUST_200600_302600_NS10device_ptrIlEESC_NS0_19identity_decomposerEEE10hipError_tT1_T2_T3_T4_jRjT5_jjP12ihipStream_tbEUlT_E_NS1_11comp_targetILNS1_3genE0ELNS1_11target_archE4294967295ELNS1_3gpuE0ELNS1_3repE0EEENS1_44radix_sort_block_sort_config_static_selectorELNS0_4arch9wavefront6targetE1EEEvSF_
	.p2align	8
	.type	_ZN7rocprim17ROCPRIM_400000_NS6detail17trampoline_kernelINS0_13kernel_configILj256ELj4ELj4294967295EEENS1_37radix_sort_block_sort_config_selectorIllEEZNS1_21radix_sort_block_sortIS4_Lb0EPlS8_N6thrust23THRUST_200600_302600_NS10device_ptrIlEESC_NS0_19identity_decomposerEEE10hipError_tT1_T2_T3_T4_jRjT5_jjP12ihipStream_tbEUlT_E_NS1_11comp_targetILNS1_3genE0ELNS1_11target_archE4294967295ELNS1_3gpuE0ELNS1_3repE0EEENS1_44radix_sort_block_sort_config_static_selectorELNS0_4arch9wavefront6targetE1EEEvSF_,@function
_ZN7rocprim17ROCPRIM_400000_NS6detail17trampoline_kernelINS0_13kernel_configILj256ELj4ELj4294967295EEENS1_37radix_sort_block_sort_config_selectorIllEEZNS1_21radix_sort_block_sortIS4_Lb0EPlS8_N6thrust23THRUST_200600_302600_NS10device_ptrIlEESC_NS0_19identity_decomposerEEE10hipError_tT1_T2_T3_T4_jRjT5_jjP12ihipStream_tbEUlT_E_NS1_11comp_targetILNS1_3genE0ELNS1_11target_archE4294967295ELNS1_3gpuE0ELNS1_3repE0EEENS1_44radix_sort_block_sort_config_static_selectorELNS0_4arch9wavefront6targetE1EEEvSF_: ; @_ZN7rocprim17ROCPRIM_400000_NS6detail17trampoline_kernelINS0_13kernel_configILj256ELj4ELj4294967295EEENS1_37radix_sort_block_sort_config_selectorIllEEZNS1_21radix_sort_block_sortIS4_Lb0EPlS8_N6thrust23THRUST_200600_302600_NS10device_ptrIlEESC_NS0_19identity_decomposerEEE10hipError_tT1_T2_T3_T4_jRjT5_jjP12ihipStream_tbEUlT_E_NS1_11comp_targetILNS1_3genE0ELNS1_11target_archE4294967295ELNS1_3gpuE0ELNS1_3repE0EEENS1_44radix_sort_block_sort_config_static_selectorELNS0_4arch9wavefront6targetE1EEEvSF_
; %bb.0:
	.section	.rodata,"a",@progbits
	.p2align	6, 0x0
	.amdhsa_kernel _ZN7rocprim17ROCPRIM_400000_NS6detail17trampoline_kernelINS0_13kernel_configILj256ELj4ELj4294967295EEENS1_37radix_sort_block_sort_config_selectorIllEEZNS1_21radix_sort_block_sortIS4_Lb0EPlS8_N6thrust23THRUST_200600_302600_NS10device_ptrIlEESC_NS0_19identity_decomposerEEE10hipError_tT1_T2_T3_T4_jRjT5_jjP12ihipStream_tbEUlT_E_NS1_11comp_targetILNS1_3genE0ELNS1_11target_archE4294967295ELNS1_3gpuE0ELNS1_3repE0EEENS1_44radix_sort_block_sort_config_static_selectorELNS0_4arch9wavefront6targetE1EEEvSF_
		.amdhsa_group_segment_fixed_size 0
		.amdhsa_private_segment_fixed_size 0
		.amdhsa_kernarg_size 48
		.amdhsa_user_sgpr_count 6
		.amdhsa_user_sgpr_private_segment_buffer 1
		.amdhsa_user_sgpr_dispatch_ptr 0
		.amdhsa_user_sgpr_queue_ptr 0
		.amdhsa_user_sgpr_kernarg_segment_ptr 1
		.amdhsa_user_sgpr_dispatch_id 0
		.amdhsa_user_sgpr_flat_scratch_init 0
		.amdhsa_user_sgpr_kernarg_preload_length 0
		.amdhsa_user_sgpr_kernarg_preload_offset 0
		.amdhsa_user_sgpr_private_segment_size 0
		.amdhsa_uses_dynamic_stack 0
		.amdhsa_system_sgpr_private_segment_wavefront_offset 0
		.amdhsa_system_sgpr_workgroup_id_x 1
		.amdhsa_system_sgpr_workgroup_id_y 0
		.amdhsa_system_sgpr_workgroup_id_z 0
		.amdhsa_system_sgpr_workgroup_info 0
		.amdhsa_system_vgpr_workitem_id 0
		.amdhsa_next_free_vgpr 1
		.amdhsa_next_free_sgpr 0
		.amdhsa_accum_offset 4
		.amdhsa_reserve_vcc 0
		.amdhsa_reserve_flat_scratch 0
		.amdhsa_float_round_mode_32 0
		.amdhsa_float_round_mode_16_64 0
		.amdhsa_float_denorm_mode_32 3
		.amdhsa_float_denorm_mode_16_64 3
		.amdhsa_dx10_clamp 1
		.amdhsa_ieee_mode 1
		.amdhsa_fp16_overflow 0
		.amdhsa_tg_split 0
		.amdhsa_exception_fp_ieee_invalid_op 0
		.amdhsa_exception_fp_denorm_src 0
		.amdhsa_exception_fp_ieee_div_zero 0
		.amdhsa_exception_fp_ieee_overflow 0
		.amdhsa_exception_fp_ieee_underflow 0
		.amdhsa_exception_fp_ieee_inexact 0
		.amdhsa_exception_int_div_zero 0
	.end_amdhsa_kernel
	.section	.text._ZN7rocprim17ROCPRIM_400000_NS6detail17trampoline_kernelINS0_13kernel_configILj256ELj4ELj4294967295EEENS1_37radix_sort_block_sort_config_selectorIllEEZNS1_21radix_sort_block_sortIS4_Lb0EPlS8_N6thrust23THRUST_200600_302600_NS10device_ptrIlEESC_NS0_19identity_decomposerEEE10hipError_tT1_T2_T3_T4_jRjT5_jjP12ihipStream_tbEUlT_E_NS1_11comp_targetILNS1_3genE0ELNS1_11target_archE4294967295ELNS1_3gpuE0ELNS1_3repE0EEENS1_44radix_sort_block_sort_config_static_selectorELNS0_4arch9wavefront6targetE1EEEvSF_,"axG",@progbits,_ZN7rocprim17ROCPRIM_400000_NS6detail17trampoline_kernelINS0_13kernel_configILj256ELj4ELj4294967295EEENS1_37radix_sort_block_sort_config_selectorIllEEZNS1_21radix_sort_block_sortIS4_Lb0EPlS8_N6thrust23THRUST_200600_302600_NS10device_ptrIlEESC_NS0_19identity_decomposerEEE10hipError_tT1_T2_T3_T4_jRjT5_jjP12ihipStream_tbEUlT_E_NS1_11comp_targetILNS1_3genE0ELNS1_11target_archE4294967295ELNS1_3gpuE0ELNS1_3repE0EEENS1_44radix_sort_block_sort_config_static_selectorELNS0_4arch9wavefront6targetE1EEEvSF_,comdat
.Lfunc_end992:
	.size	_ZN7rocprim17ROCPRIM_400000_NS6detail17trampoline_kernelINS0_13kernel_configILj256ELj4ELj4294967295EEENS1_37radix_sort_block_sort_config_selectorIllEEZNS1_21radix_sort_block_sortIS4_Lb0EPlS8_N6thrust23THRUST_200600_302600_NS10device_ptrIlEESC_NS0_19identity_decomposerEEE10hipError_tT1_T2_T3_T4_jRjT5_jjP12ihipStream_tbEUlT_E_NS1_11comp_targetILNS1_3genE0ELNS1_11target_archE4294967295ELNS1_3gpuE0ELNS1_3repE0EEENS1_44radix_sort_block_sort_config_static_selectorELNS0_4arch9wavefront6targetE1EEEvSF_, .Lfunc_end992-_ZN7rocprim17ROCPRIM_400000_NS6detail17trampoline_kernelINS0_13kernel_configILj256ELj4ELj4294967295EEENS1_37radix_sort_block_sort_config_selectorIllEEZNS1_21radix_sort_block_sortIS4_Lb0EPlS8_N6thrust23THRUST_200600_302600_NS10device_ptrIlEESC_NS0_19identity_decomposerEEE10hipError_tT1_T2_T3_T4_jRjT5_jjP12ihipStream_tbEUlT_E_NS1_11comp_targetILNS1_3genE0ELNS1_11target_archE4294967295ELNS1_3gpuE0ELNS1_3repE0EEENS1_44radix_sort_block_sort_config_static_selectorELNS0_4arch9wavefront6targetE1EEEvSF_
                                        ; -- End function
	.section	.AMDGPU.csdata,"",@progbits
; Kernel info:
; codeLenInByte = 0
; NumSgprs: 4
; NumVgprs: 0
; NumAgprs: 0
; TotalNumVgprs: 0
; ScratchSize: 0
; MemoryBound: 0
; FloatMode: 240
; IeeeMode: 1
; LDSByteSize: 0 bytes/workgroup (compile time only)
; SGPRBlocks: 0
; VGPRBlocks: 0
; NumSGPRsForWavesPerEU: 4
; NumVGPRsForWavesPerEU: 1
; AccumOffset: 4
; Occupancy: 8
; WaveLimiterHint : 0
; COMPUTE_PGM_RSRC2:SCRATCH_EN: 0
; COMPUTE_PGM_RSRC2:USER_SGPR: 6
; COMPUTE_PGM_RSRC2:TRAP_HANDLER: 0
; COMPUTE_PGM_RSRC2:TGID_X_EN: 1
; COMPUTE_PGM_RSRC2:TGID_Y_EN: 0
; COMPUTE_PGM_RSRC2:TGID_Z_EN: 0
; COMPUTE_PGM_RSRC2:TIDIG_COMP_CNT: 0
; COMPUTE_PGM_RSRC3_GFX90A:ACCUM_OFFSET: 0
; COMPUTE_PGM_RSRC3_GFX90A:TG_SPLIT: 0
	.section	.text._ZN7rocprim17ROCPRIM_400000_NS6detail17trampoline_kernelINS0_13kernel_configILj256ELj4ELj4294967295EEENS1_37radix_sort_block_sort_config_selectorIllEEZNS1_21radix_sort_block_sortIS4_Lb0EPlS8_N6thrust23THRUST_200600_302600_NS10device_ptrIlEESC_NS0_19identity_decomposerEEE10hipError_tT1_T2_T3_T4_jRjT5_jjP12ihipStream_tbEUlT_E_NS1_11comp_targetILNS1_3genE5ELNS1_11target_archE942ELNS1_3gpuE9ELNS1_3repE0EEENS1_44radix_sort_block_sort_config_static_selectorELNS0_4arch9wavefront6targetE1EEEvSF_,"axG",@progbits,_ZN7rocprim17ROCPRIM_400000_NS6detail17trampoline_kernelINS0_13kernel_configILj256ELj4ELj4294967295EEENS1_37radix_sort_block_sort_config_selectorIllEEZNS1_21radix_sort_block_sortIS4_Lb0EPlS8_N6thrust23THRUST_200600_302600_NS10device_ptrIlEESC_NS0_19identity_decomposerEEE10hipError_tT1_T2_T3_T4_jRjT5_jjP12ihipStream_tbEUlT_E_NS1_11comp_targetILNS1_3genE5ELNS1_11target_archE942ELNS1_3gpuE9ELNS1_3repE0EEENS1_44radix_sort_block_sort_config_static_selectorELNS0_4arch9wavefront6targetE1EEEvSF_,comdat
	.protected	_ZN7rocprim17ROCPRIM_400000_NS6detail17trampoline_kernelINS0_13kernel_configILj256ELj4ELj4294967295EEENS1_37radix_sort_block_sort_config_selectorIllEEZNS1_21radix_sort_block_sortIS4_Lb0EPlS8_N6thrust23THRUST_200600_302600_NS10device_ptrIlEESC_NS0_19identity_decomposerEEE10hipError_tT1_T2_T3_T4_jRjT5_jjP12ihipStream_tbEUlT_E_NS1_11comp_targetILNS1_3genE5ELNS1_11target_archE942ELNS1_3gpuE9ELNS1_3repE0EEENS1_44radix_sort_block_sort_config_static_selectorELNS0_4arch9wavefront6targetE1EEEvSF_ ; -- Begin function _ZN7rocprim17ROCPRIM_400000_NS6detail17trampoline_kernelINS0_13kernel_configILj256ELj4ELj4294967295EEENS1_37radix_sort_block_sort_config_selectorIllEEZNS1_21radix_sort_block_sortIS4_Lb0EPlS8_N6thrust23THRUST_200600_302600_NS10device_ptrIlEESC_NS0_19identity_decomposerEEE10hipError_tT1_T2_T3_T4_jRjT5_jjP12ihipStream_tbEUlT_E_NS1_11comp_targetILNS1_3genE5ELNS1_11target_archE942ELNS1_3gpuE9ELNS1_3repE0EEENS1_44radix_sort_block_sort_config_static_selectorELNS0_4arch9wavefront6targetE1EEEvSF_
	.globl	_ZN7rocprim17ROCPRIM_400000_NS6detail17trampoline_kernelINS0_13kernel_configILj256ELj4ELj4294967295EEENS1_37radix_sort_block_sort_config_selectorIllEEZNS1_21radix_sort_block_sortIS4_Lb0EPlS8_N6thrust23THRUST_200600_302600_NS10device_ptrIlEESC_NS0_19identity_decomposerEEE10hipError_tT1_T2_T3_T4_jRjT5_jjP12ihipStream_tbEUlT_E_NS1_11comp_targetILNS1_3genE5ELNS1_11target_archE942ELNS1_3gpuE9ELNS1_3repE0EEENS1_44radix_sort_block_sort_config_static_selectorELNS0_4arch9wavefront6targetE1EEEvSF_
	.p2align	8
	.type	_ZN7rocprim17ROCPRIM_400000_NS6detail17trampoline_kernelINS0_13kernel_configILj256ELj4ELj4294967295EEENS1_37radix_sort_block_sort_config_selectorIllEEZNS1_21radix_sort_block_sortIS4_Lb0EPlS8_N6thrust23THRUST_200600_302600_NS10device_ptrIlEESC_NS0_19identity_decomposerEEE10hipError_tT1_T2_T3_T4_jRjT5_jjP12ihipStream_tbEUlT_E_NS1_11comp_targetILNS1_3genE5ELNS1_11target_archE942ELNS1_3gpuE9ELNS1_3repE0EEENS1_44radix_sort_block_sort_config_static_selectorELNS0_4arch9wavefront6targetE1EEEvSF_,@function
_ZN7rocprim17ROCPRIM_400000_NS6detail17trampoline_kernelINS0_13kernel_configILj256ELj4ELj4294967295EEENS1_37radix_sort_block_sort_config_selectorIllEEZNS1_21radix_sort_block_sortIS4_Lb0EPlS8_N6thrust23THRUST_200600_302600_NS10device_ptrIlEESC_NS0_19identity_decomposerEEE10hipError_tT1_T2_T3_T4_jRjT5_jjP12ihipStream_tbEUlT_E_NS1_11comp_targetILNS1_3genE5ELNS1_11target_archE942ELNS1_3gpuE9ELNS1_3repE0EEENS1_44radix_sort_block_sort_config_static_selectorELNS0_4arch9wavefront6targetE1EEEvSF_: ; @_ZN7rocprim17ROCPRIM_400000_NS6detail17trampoline_kernelINS0_13kernel_configILj256ELj4ELj4294967295EEENS1_37radix_sort_block_sort_config_selectorIllEEZNS1_21radix_sort_block_sortIS4_Lb0EPlS8_N6thrust23THRUST_200600_302600_NS10device_ptrIlEESC_NS0_19identity_decomposerEEE10hipError_tT1_T2_T3_T4_jRjT5_jjP12ihipStream_tbEUlT_E_NS1_11comp_targetILNS1_3genE5ELNS1_11target_archE942ELNS1_3gpuE9ELNS1_3repE0EEENS1_44radix_sort_block_sort_config_static_selectorELNS0_4arch9wavefront6targetE1EEEvSF_
; %bb.0:
	.section	.rodata,"a",@progbits
	.p2align	6, 0x0
	.amdhsa_kernel _ZN7rocprim17ROCPRIM_400000_NS6detail17trampoline_kernelINS0_13kernel_configILj256ELj4ELj4294967295EEENS1_37radix_sort_block_sort_config_selectorIllEEZNS1_21radix_sort_block_sortIS4_Lb0EPlS8_N6thrust23THRUST_200600_302600_NS10device_ptrIlEESC_NS0_19identity_decomposerEEE10hipError_tT1_T2_T3_T4_jRjT5_jjP12ihipStream_tbEUlT_E_NS1_11comp_targetILNS1_3genE5ELNS1_11target_archE942ELNS1_3gpuE9ELNS1_3repE0EEENS1_44radix_sort_block_sort_config_static_selectorELNS0_4arch9wavefront6targetE1EEEvSF_
		.amdhsa_group_segment_fixed_size 0
		.amdhsa_private_segment_fixed_size 0
		.amdhsa_kernarg_size 48
		.amdhsa_user_sgpr_count 6
		.amdhsa_user_sgpr_private_segment_buffer 1
		.amdhsa_user_sgpr_dispatch_ptr 0
		.amdhsa_user_sgpr_queue_ptr 0
		.amdhsa_user_sgpr_kernarg_segment_ptr 1
		.amdhsa_user_sgpr_dispatch_id 0
		.amdhsa_user_sgpr_flat_scratch_init 0
		.amdhsa_user_sgpr_kernarg_preload_length 0
		.amdhsa_user_sgpr_kernarg_preload_offset 0
		.amdhsa_user_sgpr_private_segment_size 0
		.amdhsa_uses_dynamic_stack 0
		.amdhsa_system_sgpr_private_segment_wavefront_offset 0
		.amdhsa_system_sgpr_workgroup_id_x 1
		.amdhsa_system_sgpr_workgroup_id_y 0
		.amdhsa_system_sgpr_workgroup_id_z 0
		.amdhsa_system_sgpr_workgroup_info 0
		.amdhsa_system_vgpr_workitem_id 0
		.amdhsa_next_free_vgpr 1
		.amdhsa_next_free_sgpr 0
		.amdhsa_accum_offset 4
		.amdhsa_reserve_vcc 0
		.amdhsa_reserve_flat_scratch 0
		.amdhsa_float_round_mode_32 0
		.amdhsa_float_round_mode_16_64 0
		.amdhsa_float_denorm_mode_32 3
		.amdhsa_float_denorm_mode_16_64 3
		.amdhsa_dx10_clamp 1
		.amdhsa_ieee_mode 1
		.amdhsa_fp16_overflow 0
		.amdhsa_tg_split 0
		.amdhsa_exception_fp_ieee_invalid_op 0
		.amdhsa_exception_fp_denorm_src 0
		.amdhsa_exception_fp_ieee_div_zero 0
		.amdhsa_exception_fp_ieee_overflow 0
		.amdhsa_exception_fp_ieee_underflow 0
		.amdhsa_exception_fp_ieee_inexact 0
		.amdhsa_exception_int_div_zero 0
	.end_amdhsa_kernel
	.section	.text._ZN7rocprim17ROCPRIM_400000_NS6detail17trampoline_kernelINS0_13kernel_configILj256ELj4ELj4294967295EEENS1_37radix_sort_block_sort_config_selectorIllEEZNS1_21radix_sort_block_sortIS4_Lb0EPlS8_N6thrust23THRUST_200600_302600_NS10device_ptrIlEESC_NS0_19identity_decomposerEEE10hipError_tT1_T2_T3_T4_jRjT5_jjP12ihipStream_tbEUlT_E_NS1_11comp_targetILNS1_3genE5ELNS1_11target_archE942ELNS1_3gpuE9ELNS1_3repE0EEENS1_44radix_sort_block_sort_config_static_selectorELNS0_4arch9wavefront6targetE1EEEvSF_,"axG",@progbits,_ZN7rocprim17ROCPRIM_400000_NS6detail17trampoline_kernelINS0_13kernel_configILj256ELj4ELj4294967295EEENS1_37radix_sort_block_sort_config_selectorIllEEZNS1_21radix_sort_block_sortIS4_Lb0EPlS8_N6thrust23THRUST_200600_302600_NS10device_ptrIlEESC_NS0_19identity_decomposerEEE10hipError_tT1_T2_T3_T4_jRjT5_jjP12ihipStream_tbEUlT_E_NS1_11comp_targetILNS1_3genE5ELNS1_11target_archE942ELNS1_3gpuE9ELNS1_3repE0EEENS1_44radix_sort_block_sort_config_static_selectorELNS0_4arch9wavefront6targetE1EEEvSF_,comdat
.Lfunc_end993:
	.size	_ZN7rocprim17ROCPRIM_400000_NS6detail17trampoline_kernelINS0_13kernel_configILj256ELj4ELj4294967295EEENS1_37radix_sort_block_sort_config_selectorIllEEZNS1_21radix_sort_block_sortIS4_Lb0EPlS8_N6thrust23THRUST_200600_302600_NS10device_ptrIlEESC_NS0_19identity_decomposerEEE10hipError_tT1_T2_T3_T4_jRjT5_jjP12ihipStream_tbEUlT_E_NS1_11comp_targetILNS1_3genE5ELNS1_11target_archE942ELNS1_3gpuE9ELNS1_3repE0EEENS1_44radix_sort_block_sort_config_static_selectorELNS0_4arch9wavefront6targetE1EEEvSF_, .Lfunc_end993-_ZN7rocprim17ROCPRIM_400000_NS6detail17trampoline_kernelINS0_13kernel_configILj256ELj4ELj4294967295EEENS1_37radix_sort_block_sort_config_selectorIllEEZNS1_21radix_sort_block_sortIS4_Lb0EPlS8_N6thrust23THRUST_200600_302600_NS10device_ptrIlEESC_NS0_19identity_decomposerEEE10hipError_tT1_T2_T3_T4_jRjT5_jjP12ihipStream_tbEUlT_E_NS1_11comp_targetILNS1_3genE5ELNS1_11target_archE942ELNS1_3gpuE9ELNS1_3repE0EEENS1_44radix_sort_block_sort_config_static_selectorELNS0_4arch9wavefront6targetE1EEEvSF_
                                        ; -- End function
	.section	.AMDGPU.csdata,"",@progbits
; Kernel info:
; codeLenInByte = 0
; NumSgprs: 4
; NumVgprs: 0
; NumAgprs: 0
; TotalNumVgprs: 0
; ScratchSize: 0
; MemoryBound: 0
; FloatMode: 240
; IeeeMode: 1
; LDSByteSize: 0 bytes/workgroup (compile time only)
; SGPRBlocks: 0
; VGPRBlocks: 0
; NumSGPRsForWavesPerEU: 4
; NumVGPRsForWavesPerEU: 1
; AccumOffset: 4
; Occupancy: 8
; WaveLimiterHint : 0
; COMPUTE_PGM_RSRC2:SCRATCH_EN: 0
; COMPUTE_PGM_RSRC2:USER_SGPR: 6
; COMPUTE_PGM_RSRC2:TRAP_HANDLER: 0
; COMPUTE_PGM_RSRC2:TGID_X_EN: 1
; COMPUTE_PGM_RSRC2:TGID_Y_EN: 0
; COMPUTE_PGM_RSRC2:TGID_Z_EN: 0
; COMPUTE_PGM_RSRC2:TIDIG_COMP_CNT: 0
; COMPUTE_PGM_RSRC3_GFX90A:ACCUM_OFFSET: 0
; COMPUTE_PGM_RSRC3_GFX90A:TG_SPLIT: 0
	.section	.text._ZN7rocprim17ROCPRIM_400000_NS6detail17trampoline_kernelINS0_13kernel_configILj256ELj4ELj4294967295EEENS1_37radix_sort_block_sort_config_selectorIllEEZNS1_21radix_sort_block_sortIS4_Lb0EPlS8_N6thrust23THRUST_200600_302600_NS10device_ptrIlEESC_NS0_19identity_decomposerEEE10hipError_tT1_T2_T3_T4_jRjT5_jjP12ihipStream_tbEUlT_E_NS1_11comp_targetILNS1_3genE4ELNS1_11target_archE910ELNS1_3gpuE8ELNS1_3repE0EEENS1_44radix_sort_block_sort_config_static_selectorELNS0_4arch9wavefront6targetE1EEEvSF_,"axG",@progbits,_ZN7rocprim17ROCPRIM_400000_NS6detail17trampoline_kernelINS0_13kernel_configILj256ELj4ELj4294967295EEENS1_37radix_sort_block_sort_config_selectorIllEEZNS1_21radix_sort_block_sortIS4_Lb0EPlS8_N6thrust23THRUST_200600_302600_NS10device_ptrIlEESC_NS0_19identity_decomposerEEE10hipError_tT1_T2_T3_T4_jRjT5_jjP12ihipStream_tbEUlT_E_NS1_11comp_targetILNS1_3genE4ELNS1_11target_archE910ELNS1_3gpuE8ELNS1_3repE0EEENS1_44radix_sort_block_sort_config_static_selectorELNS0_4arch9wavefront6targetE1EEEvSF_,comdat
	.protected	_ZN7rocprim17ROCPRIM_400000_NS6detail17trampoline_kernelINS0_13kernel_configILj256ELj4ELj4294967295EEENS1_37radix_sort_block_sort_config_selectorIllEEZNS1_21radix_sort_block_sortIS4_Lb0EPlS8_N6thrust23THRUST_200600_302600_NS10device_ptrIlEESC_NS0_19identity_decomposerEEE10hipError_tT1_T2_T3_T4_jRjT5_jjP12ihipStream_tbEUlT_E_NS1_11comp_targetILNS1_3genE4ELNS1_11target_archE910ELNS1_3gpuE8ELNS1_3repE0EEENS1_44radix_sort_block_sort_config_static_selectorELNS0_4arch9wavefront6targetE1EEEvSF_ ; -- Begin function _ZN7rocprim17ROCPRIM_400000_NS6detail17trampoline_kernelINS0_13kernel_configILj256ELj4ELj4294967295EEENS1_37radix_sort_block_sort_config_selectorIllEEZNS1_21radix_sort_block_sortIS4_Lb0EPlS8_N6thrust23THRUST_200600_302600_NS10device_ptrIlEESC_NS0_19identity_decomposerEEE10hipError_tT1_T2_T3_T4_jRjT5_jjP12ihipStream_tbEUlT_E_NS1_11comp_targetILNS1_3genE4ELNS1_11target_archE910ELNS1_3gpuE8ELNS1_3repE0EEENS1_44radix_sort_block_sort_config_static_selectorELNS0_4arch9wavefront6targetE1EEEvSF_
	.globl	_ZN7rocprim17ROCPRIM_400000_NS6detail17trampoline_kernelINS0_13kernel_configILj256ELj4ELj4294967295EEENS1_37radix_sort_block_sort_config_selectorIllEEZNS1_21radix_sort_block_sortIS4_Lb0EPlS8_N6thrust23THRUST_200600_302600_NS10device_ptrIlEESC_NS0_19identity_decomposerEEE10hipError_tT1_T2_T3_T4_jRjT5_jjP12ihipStream_tbEUlT_E_NS1_11comp_targetILNS1_3genE4ELNS1_11target_archE910ELNS1_3gpuE8ELNS1_3repE0EEENS1_44radix_sort_block_sort_config_static_selectorELNS0_4arch9wavefront6targetE1EEEvSF_
	.p2align	8
	.type	_ZN7rocprim17ROCPRIM_400000_NS6detail17trampoline_kernelINS0_13kernel_configILj256ELj4ELj4294967295EEENS1_37radix_sort_block_sort_config_selectorIllEEZNS1_21radix_sort_block_sortIS4_Lb0EPlS8_N6thrust23THRUST_200600_302600_NS10device_ptrIlEESC_NS0_19identity_decomposerEEE10hipError_tT1_T2_T3_T4_jRjT5_jjP12ihipStream_tbEUlT_E_NS1_11comp_targetILNS1_3genE4ELNS1_11target_archE910ELNS1_3gpuE8ELNS1_3repE0EEENS1_44radix_sort_block_sort_config_static_selectorELNS0_4arch9wavefront6targetE1EEEvSF_,@function
_ZN7rocprim17ROCPRIM_400000_NS6detail17trampoline_kernelINS0_13kernel_configILj256ELj4ELj4294967295EEENS1_37radix_sort_block_sort_config_selectorIllEEZNS1_21radix_sort_block_sortIS4_Lb0EPlS8_N6thrust23THRUST_200600_302600_NS10device_ptrIlEESC_NS0_19identity_decomposerEEE10hipError_tT1_T2_T3_T4_jRjT5_jjP12ihipStream_tbEUlT_E_NS1_11comp_targetILNS1_3genE4ELNS1_11target_archE910ELNS1_3gpuE8ELNS1_3repE0EEENS1_44radix_sort_block_sort_config_static_selectorELNS0_4arch9wavefront6targetE1EEEvSF_: ; @_ZN7rocprim17ROCPRIM_400000_NS6detail17trampoline_kernelINS0_13kernel_configILj256ELj4ELj4294967295EEENS1_37radix_sort_block_sort_config_selectorIllEEZNS1_21radix_sort_block_sortIS4_Lb0EPlS8_N6thrust23THRUST_200600_302600_NS10device_ptrIlEESC_NS0_19identity_decomposerEEE10hipError_tT1_T2_T3_T4_jRjT5_jjP12ihipStream_tbEUlT_E_NS1_11comp_targetILNS1_3genE4ELNS1_11target_archE910ELNS1_3gpuE8ELNS1_3repE0EEENS1_44radix_sort_block_sort_config_static_selectorELNS0_4arch9wavefront6targetE1EEEvSF_
; %bb.0:
	s_load_dword s7, s[4:5], 0x20
	s_load_dwordx8 s[36:43], s[4:5], 0x0
	s_lshl_b32 s0, s6, 10
	s_mov_b32 s1, 0
	v_mbcnt_lo_u32_b32 v1, -1, 0
	s_waitcnt lgkmcnt(0)
	s_lshr_b32 s2, s7, 10
	s_cmp_lg_u32 s6, s2
	s_cselect_b64 s[30:31], -1, 0
	s_lshl_b64 s[28:29], s[0:1], 3
	v_mbcnt_hi_u32_b32 v1, -1, v1
	v_and_b32_e32 v16, 0x3ff, v0
	s_add_u32 s1, s36, s28
	v_and_b32_e32 v14, 63, v1
	s_addc_u32 s3, s37, s29
	v_lshlrev_b32_e32 v12, 2, v16
	v_lshlrev_b32_e32 v17, 3, v14
	v_and_b32_e32 v15, 0x300, v12
	v_mov_b32_e32 v2, s3
	v_add_co_u32_e32 v3, vcc, s1, v17
	v_addc_co_u32_e32 v2, vcc, 0, v2, vcc
	v_lshlrev_b32_e32 v19, 3, v15
	v_add_co_u32_e32 v10, vcc, v3, v19
	s_cmp_eq_u32 s6, s2
	v_addc_co_u32_e32 v11, vcc, 0, v2, vcc
	v_or_b32_e32 v13, v14, v15
	s_cbranch_scc1 .LBB994_2
; %bb.1:
	s_add_u32 s1, s40, s28
	s_addc_u32 s2, s41, s29
	v_mov_b32_e32 v18, s2
	v_add_co_u32_e32 v20, vcc, s1, v17
	v_addc_co_u32_e32 v18, vcc, 0, v18, vcc
	v_add_co_u32_e32 v20, vcc, v20, v19
	v_addc_co_u32_e32 v21, vcc, 0, v18, vcc
	global_load_dwordx2 v[2:3], v[10:11], off
	global_load_dwordx2 v[4:5], v[10:11], off offset:512
	global_load_dwordx2 v[6:7], v[10:11], off offset:1024
	;; [unrolled: 1-line block ×3, first 2 shown]
	global_load_dwordx2 v[34:35], v[20:21], off
	global_load_dwordx2 v[36:37], v[20:21], off offset:512
	global_load_dwordx2 v[38:39], v[20:21], off offset:1024
	;; [unrolled: 1-line block ×3, first 2 shown]
	v_or_b32_e32 v20, v14, v15
	v_or_b32_e32 v14, 64, v20
	;; [unrolled: 1-line block ×4, first 2 shown]
	s_load_dwordx2 s[34:35], s[4:5], 0x28
	s_sub_i32 s33, s7, s0
	s_cbranch_execz .LBB994_3
	s_branch .LBB994_17
.LBB994_2:
                                        ; implicit-def: $vgpr2_vgpr3_vgpr4_vgpr5_vgpr6_vgpr7_vgpr8_vgpr9
                                        ; implicit-def: $vgpr34_vgpr35
                                        ; implicit-def: $vgpr36_vgpr37
                                        ; implicit-def: $vgpr38_vgpr39
                                        ; implicit-def: $vgpr40_vgpr41
                                        ; implicit-def: $vgpr20
                                        ; implicit-def: $vgpr14
                                        ; implicit-def: $vgpr15
                                        ; implicit-def: $vgpr18
	s_load_dwordx2 s[34:35], s[4:5], 0x28
	s_sub_i32 s33, s7, s0
.LBB994_3:
	s_brev_b32 s9, -2
	s_mov_b32 s8, -1
	s_mov_b32 s10, s8
	s_mov_b32 s11, s9
	;; [unrolled: 1-line block ×6, first 2 shown]
	s_waitcnt vmcnt(4)
	v_pk_mov_b32 v[2:3], s[8:9], s[8:9] op_sel:[0,1]
	v_cmp_gt_u32_e32 vcc, s33, v13
	v_pk_mov_b32 v[4:5], s[10:11], s[10:11] op_sel:[0,1]
	v_pk_mov_b32 v[6:7], s[12:13], s[12:13] op_sel:[0,1]
	;; [unrolled: 1-line block ×3, first 2 shown]
	s_and_saveexec_b64 s[0:1], vcc
	s_cbranch_execz .LBB994_5
; %bb.4:
	global_load_dwordx2 v[2:3], v[10:11], off
	v_mov_b32_e32 v4, -1
	v_bfrev_b32_e32 v5, -2
	v_mov_b32_e32 v6, v4
	v_mov_b32_e32 v7, v5
	;; [unrolled: 1-line block ×4, first 2 shown]
.LBB994_5:
	s_or_b64 exec, exec, s[0:1]
	v_or_b32_e32 v14, 64, v13
	v_cmp_gt_u32_e64 s[0:1], s33, v14
	s_and_saveexec_b64 s[2:3], s[0:1]
	s_cbranch_execz .LBB994_7
; %bb.6:
	global_load_dwordx2 v[4:5], v[10:11], off offset:512
.LBB994_7:
	s_or_b64 exec, exec, s[2:3]
	v_or_b32_e32 v15, 0x80, v13
	v_cmp_gt_u32_e64 s[2:3], s33, v15
	s_and_saveexec_b64 s[6:7], s[2:3]
	s_cbranch_execz .LBB994_9
; %bb.8:
	global_load_dwordx2 v[6:7], v[10:11], off offset:1024
.LBB994_9:
	;; [unrolled: 8-line block ×3, first 2 shown]
	s_or_b64 exec, exec, s[8:9]
	s_add_u32 s8, s40, s28
	s_addc_u32 s9, s41, s29
	v_mov_b32_e32 v10, s9
	v_add_co_u32_e64 v11, s[8:9], s8, v17
	v_addc_co_u32_e64 v17, s[8:9], 0, v10, s[8:9]
	v_add_co_u32_e64 v10, s[8:9], v11, v19
	v_addc_co_u32_e64 v11, s[8:9], 0, v17, s[8:9]
                                        ; implicit-def: $vgpr34_vgpr35
	s_and_saveexec_b64 s[8:9], vcc
	s_cbranch_execnz .LBB994_54
; %bb.12:
	s_or_b64 exec, exec, s[8:9]
                                        ; implicit-def: $vgpr36_vgpr37
	s_and_saveexec_b64 s[8:9], s[0:1]
	s_cbranch_execnz .LBB994_55
.LBB994_13:
	s_or_b64 exec, exec, s[8:9]
                                        ; implicit-def: $vgpr38_vgpr39
	s_and_saveexec_b64 s[0:1], s[2:3]
	s_cbranch_execnz .LBB994_56
.LBB994_14:
	s_or_b64 exec, exec, s[0:1]
                                        ; implicit-def: $vgpr40_vgpr41
	s_and_saveexec_b64 s[0:1], s[6:7]
	s_cbranch_execz .LBB994_16
.LBB994_15:
	global_load_dwordx2 v[40:41], v[10:11], off offset:1536
.LBB994_16:
	s_or_b64 exec, exec, s[0:1]
	v_mov_b32_e32 v20, v13
.LBB994_17:
	s_load_dword s2, s[4:5], 0x3c
	s_waitcnt lgkmcnt(0)
	s_add_i32 s36, s35, s34
	s_getpc_b64 s[0:1]
	s_add_u32 s0, s0, _ZN7rocprim17ROCPRIM_400000_NS16block_radix_sortIlLj256ELj4ElLj1ELj1ELj0ELNS0_26block_radix_rank_algorithmE1ELNS0_18block_padding_hintE2ELNS0_4arch9wavefront6targetE1EE19radix_bits_per_passE@rel32@lo+4
	s_addc_u32 s1, s1, _ZN7rocprim17ROCPRIM_400000_NS16block_radix_sortIlLj256ELj4ElLj1ELj1ELj0ELNS0_26block_radix_rank_algorithmE1ELNS0_18block_padding_hintE2ELNS0_4arch9wavefront6targetE1EE19radix_bits_per_passE@rel32@hi+12
	s_load_dword s37, s[0:1], 0x0
	v_bfe_u32 v10, v0, 10, 10
	s_lshr_b32 s0, s2, 16
	v_bfe_u32 v0, v0, 20, 10
	s_and_b32 s1, s2, 0xffff
	v_mad_u32_u24 v0, v0, s0, v10
	v_mad_u64_u32 v[10:11], s[0:1], v0, s1, v[16:17]
	v_and_b32_e32 v0, 15, v1
	v_cmp_eq_u32_e64 s[0:1], 0, v0
	v_cmp_lt_u32_e64 s[2:3], 1, v0
	v_cmp_lt_u32_e64 s[4:5], 3, v0
	;; [unrolled: 1-line block ×3, first 2 shown]
	v_and_b32_e32 v0, 16, v1
	v_cmp_eq_u32_e64 s[8:9], 0, v0
	v_and_b32_e32 v0, 0x3c0, v16
	v_min_u32_e32 v0, 0xc0, v0
	v_or_b32_e32 v0, 63, v0
	v_lshrrev_b32_e32 v42, 6, v10
	v_cmp_eq_u32_e64 s[12:13], v0, v16
	v_add_u32_e32 v0, -1, v1
	v_and_b32_e32 v10, 64, v1
	v_cmp_lt_i32_e32 vcc, v0, v10
	v_cndmask_b32_e32 v0, v0, v1, vcc
	s_mov_b32 s26, 0
	v_lshlrev_b32_e32 v43, 2, v0
	v_lshrrev_b32_e32 v0, 4, v16
	v_lshlrev_b32_e32 v17, 2, v12
	v_cmp_lt_u32_e64 s[10:11], 31, v1
	v_cmp_eq_u32_e64 s[18:19], 0, v1
	v_and_b32_e32 v44, 60, v0
	v_mul_i32_i24_e32 v0, -12, v16
	v_and_b32_e32 v1, 3, v1
	s_mov_b32 s27, s26
	s_mov_b32 s40, s26
	;; [unrolled: 1-line block ×3, first 2 shown]
	s_waitcnt vmcnt(0)
	v_xor_b32_e32 v3, 0x80000000, v3
	v_xor_b32_e32 v5, 0x80000000, v5
	;; [unrolled: 1-line block ×4, first 2 shown]
	v_cmp_gt_u32_e64 s[14:15], 4, v16
	v_cmp_lt_u32_e64 s[16:17], 63, v16
	v_cmp_eq_u32_e64 s[20:21], 0, v16
	v_cmp_eq_u32_e64 s[22:23], 0, v1
	v_cmp_lt_u32_e64 s[24:25], 1, v1
	v_add_u32_e32 v45, -4, v44
	v_lshlrev_b32_e32 v46, 3, v20
	v_lshlrev_b32_e32 v47, 3, v14
	;; [unrolled: 1-line block ×4, first 2 shown]
	v_pk_mov_b32 v[10:11], s[26:27], s[26:27] op_sel:[0,1]
	v_pk_mov_b32 v[12:13], s[40:41], s[40:41] op_sel:[0,1]
	v_add_u32_e32 v50, v17, v0
	v_mov_b32_e32 v14, 0
	s_branch .LBB994_19
.LBB994_18:                             ;   in Loop: Header=BB994_19 Depth=1
	s_barrier
	ds_write_b64 v0, v[32:33]
	ds_write_b64 v1, v[30:31]
	;; [unrolled: 1-line block ×4, first 2 shown]
	s_waitcnt lgkmcnt(0)
	s_barrier
	ds_read_b64 v[2:3], v46
	ds_read_b64 v[4:5], v47
	;; [unrolled: 1-line block ×4, first 2 shown]
	s_waitcnt lgkmcnt(0)
	s_barrier
	ds_write_b64 v0, v[24:25]
	ds_write_b64 v1, v[22:23]
	;; [unrolled: 1-line block ×4, first 2 shown]
	s_waitcnt lgkmcnt(0)
	s_barrier
	ds_read_b64 v[34:35], v46
	ds_read_b64 v[36:37], v47
	;; [unrolled: 1-line block ×4, first 2 shown]
	s_add_i32 s35, s35, -8
	s_waitcnt lgkmcnt(0)
	s_barrier
	s_cbranch_execz .LBB994_35
.LBB994_19:                             ; =>This Inner Loop Header: Depth=1
	s_waitcnt lgkmcnt(0)
	s_min_u32 s26, s37, s35
	v_pk_mov_b32 v[32:33], v[2:3], v[2:3] op_sel:[0,1]
	s_lshl_b32 s26, -1, s26
	s_not_b32 s40, s26
	v_lshrrev_b64 v[0:1], s34, v[32:33]
	v_and_b32_e32 v0, s40, v0
	v_lshl_add_u32 v1, v0, 2, v42
	v_pk_mov_b32 v[30:31], v[4:5], v[4:5] op_sel:[0,1]
	v_lshl_add_u32 v4, v1, 2, 16
	v_and_b32_e32 v1, 1, v0
	v_add_co_u32_e32 v2, vcc, -1, v1
	v_addc_co_u32_e64 v3, s[26:27], 0, -1, vcc
	v_cmp_ne_u32_e32 vcc, 0, v1
	v_lshlrev_b32_e32 v15, 30, v0
	v_xor_b32_e32 v1, vcc_hi, v3
	v_not_b32_e32 v3, v15
	v_xor_b32_e32 v2, vcc_lo, v2
	v_cmp_gt_i64_e32 vcc, 0, v[14:15]
	v_ashrrev_i32_e32 v3, 31, v3
	v_and_b32_e32 v2, exec_lo, v2
	v_xor_b32_e32 v5, vcc_hi, v3
	v_xor_b32_e32 v3, vcc_lo, v3
	v_lshlrev_b32_e32 v15, 29, v0
	v_and_b32_e32 v2, v2, v3
	v_not_b32_e32 v3, v15
	v_and_b32_e32 v1, exec_hi, v1
	v_cmp_gt_i64_e32 vcc, 0, v[14:15]
	v_ashrrev_i32_e32 v3, 31, v3
	v_and_b32_e32 v1, v1, v5
	v_xor_b32_e32 v5, vcc_hi, v3
	v_xor_b32_e32 v3, vcc_lo, v3
	v_lshlrev_b32_e32 v15, 28, v0
	v_and_b32_e32 v2, v2, v3
	v_not_b32_e32 v3, v15
	v_cmp_gt_i64_e32 vcc, 0, v[14:15]
	v_ashrrev_i32_e32 v3, 31, v3
	v_and_b32_e32 v1, v1, v5
	v_xor_b32_e32 v5, vcc_hi, v3
	v_xor_b32_e32 v3, vcc_lo, v3
	v_lshlrev_b32_e32 v15, 27, v0
	v_and_b32_e32 v2, v2, v3
	v_not_b32_e32 v3, v15
	v_cmp_gt_i64_e32 vcc, 0, v[14:15]
	v_ashrrev_i32_e32 v3, 31, v3
	v_and_b32_e32 v1, v1, v5
	v_xor_b32_e32 v5, vcc_hi, v3
	v_xor_b32_e32 v3, vcc_lo, v3
	v_lshlrev_b32_e32 v15, 26, v0
	v_and_b32_e32 v2, v2, v3
	v_not_b32_e32 v3, v15
	v_cmp_gt_i64_e32 vcc, 0, v[14:15]
	v_ashrrev_i32_e32 v3, 31, v3
	v_and_b32_e32 v1, v1, v5
	v_xor_b32_e32 v5, vcc_hi, v3
	v_xor_b32_e32 v3, vcc_lo, v3
	v_lshlrev_b32_e32 v15, 25, v0
	v_and_b32_e32 v2, v2, v3
	v_cmp_gt_i64_e32 vcc, 0, v[14:15]
	v_not_b32_e32 v3, v15
	v_lshlrev_b32_e32 v15, 24, v0
	v_ashrrev_i32_e32 v3, 31, v3
	v_not_b32_e32 v0, v15
	v_and_b32_e32 v1, v1, v5
	v_xor_b32_e32 v5, vcc_hi, v3
	v_xor_b32_e32 v3, vcc_lo, v3
	v_cmp_gt_i64_e32 vcc, 0, v[14:15]
	v_ashrrev_i32_e32 v0, 31, v0
	v_and_b32_e32 v2, v2, v3
	v_xor_b32_e32 v3, vcc_hi, v0
	v_xor_b32_e32 v0, vcc_lo, v0
	v_and_b32_e32 v1, v1, v5
	v_and_b32_e32 v0, v2, v0
	;; [unrolled: 1-line block ×3, first 2 shown]
	v_mbcnt_lo_u32_b32 v2, v0, 0
	v_mbcnt_hi_u32_b32 v5, v1, v2
	v_cmp_eq_u32_e32 vcc, 0, v5
	v_cmp_ne_u64_e64 s[26:27], 0, v[0:1]
	v_pk_mov_b32 v[26:27], v[8:9], v[8:9] op_sel:[0,1]
	v_pk_mov_b32 v[28:29], v[6:7], v[6:7] op_sel:[0,1]
	v_pk_mov_b32 v[24:25], v[34:35], v[34:35] op_sel:[0,1]
	v_pk_mov_b32 v[22:23], v[36:37], v[36:37] op_sel:[0,1]
	v_pk_mov_b32 v[20:21], v[38:39], v[38:39] op_sel:[0,1]
	v_pk_mov_b32 v[18:19], v[40:41], v[40:41] op_sel:[0,1]
	s_and_b64 s[44:45], s[26:27], vcc
	ds_write2_b64 v17, v[10:11], v[12:13] offset0:2 offset1:3
	s_waitcnt lgkmcnt(0)
	s_barrier
	s_waitcnt lgkmcnt(0)
	; wave barrier
	s_and_saveexec_b64 s[26:27], s[44:45]
	s_cbranch_execz .LBB994_21
; %bb.20:                               ;   in Loop: Header=BB994_19 Depth=1
	v_bcnt_u32_b32 v0, v0, 0
	v_bcnt_u32_b32 v0, v1, v0
	ds_write_b32 v4, v0
.LBB994_21:                             ;   in Loop: Header=BB994_19 Depth=1
	s_or_b64 exec, exec, s[26:27]
	v_lshrrev_b64 v[0:1], s34, v[30:31]
	v_and_b32_e32 v0, s40, v0
	v_lshlrev_b32_e32 v1, 2, v0
	v_add_lshl_u32 v1, v1, v42, 2
	; wave barrier
	v_add_u32_e32 v7, 16, v1
	ds_read_b32 v6, v1 offset:16
	v_and_b32_e32 v1, 1, v0
	v_add_co_u32_e32 v2, vcc, -1, v1
	v_addc_co_u32_e64 v3, s[26:27], 0, -1, vcc
	v_cmp_ne_u32_e32 vcc, 0, v1
	v_lshlrev_b32_e32 v15, 30, v0
	v_xor_b32_e32 v1, vcc_hi, v3
	v_not_b32_e32 v3, v15
	v_xor_b32_e32 v2, vcc_lo, v2
	v_cmp_gt_i64_e32 vcc, 0, v[14:15]
	v_ashrrev_i32_e32 v3, 31, v3
	v_and_b32_e32 v2, exec_lo, v2
	v_xor_b32_e32 v8, vcc_hi, v3
	v_xor_b32_e32 v3, vcc_lo, v3
	v_lshlrev_b32_e32 v15, 29, v0
	v_and_b32_e32 v2, v2, v3
	v_not_b32_e32 v3, v15
	v_and_b32_e32 v1, exec_hi, v1
	v_cmp_gt_i64_e32 vcc, 0, v[14:15]
	v_ashrrev_i32_e32 v3, 31, v3
	v_and_b32_e32 v1, v1, v8
	v_xor_b32_e32 v8, vcc_hi, v3
	v_xor_b32_e32 v3, vcc_lo, v3
	v_lshlrev_b32_e32 v15, 28, v0
	v_and_b32_e32 v2, v2, v3
	v_not_b32_e32 v3, v15
	v_cmp_gt_i64_e32 vcc, 0, v[14:15]
	v_ashrrev_i32_e32 v3, 31, v3
	v_and_b32_e32 v1, v1, v8
	v_xor_b32_e32 v8, vcc_hi, v3
	v_xor_b32_e32 v3, vcc_lo, v3
	v_lshlrev_b32_e32 v15, 27, v0
	v_and_b32_e32 v2, v2, v3
	v_not_b32_e32 v3, v15
	;; [unrolled: 8-line block ×3, first 2 shown]
	v_cmp_gt_i64_e32 vcc, 0, v[14:15]
	v_ashrrev_i32_e32 v3, 31, v3
	v_and_b32_e32 v1, v1, v8
	v_xor_b32_e32 v8, vcc_hi, v3
	v_xor_b32_e32 v3, vcc_lo, v3
	v_lshlrev_b32_e32 v15, 25, v0
	v_and_b32_e32 v2, v2, v3
	v_cmp_gt_i64_e32 vcc, 0, v[14:15]
	v_not_b32_e32 v3, v15
	v_lshlrev_b32_e32 v15, 24, v0
	v_ashrrev_i32_e32 v3, 31, v3
	v_not_b32_e32 v0, v15
	v_and_b32_e32 v1, v1, v8
	v_xor_b32_e32 v8, vcc_hi, v3
	v_xor_b32_e32 v3, vcc_lo, v3
	v_cmp_gt_i64_e32 vcc, 0, v[14:15]
	v_ashrrev_i32_e32 v0, 31, v0
	v_and_b32_e32 v2, v2, v3
	v_xor_b32_e32 v3, vcc_hi, v0
	v_xor_b32_e32 v0, vcc_lo, v0
	v_and_b32_e32 v1, v1, v8
	v_and_b32_e32 v0, v2, v0
	;; [unrolled: 1-line block ×3, first 2 shown]
	v_mbcnt_lo_u32_b32 v2, v0, 0
	v_mbcnt_hi_u32_b32 v8, v1, v2
	v_cmp_eq_u32_e32 vcc, 0, v8
	v_cmp_ne_u64_e64 s[26:27], 0, v[0:1]
	s_and_b64 s[44:45], s[26:27], vcc
	; wave barrier
	s_and_saveexec_b64 s[26:27], s[44:45]
	s_cbranch_execz .LBB994_23
; %bb.22:                               ;   in Loop: Header=BB994_19 Depth=1
	v_bcnt_u32_b32 v0, v0, 0
	v_bcnt_u32_b32 v0, v1, v0
	s_waitcnt lgkmcnt(0)
	v_add_u32_e32 v0, v6, v0
	ds_write_b32 v7, v0
.LBB994_23:                             ;   in Loop: Header=BB994_19 Depth=1
	s_or_b64 exec, exec, s[26:27]
	v_lshrrev_b64 v[0:1], s34, v[28:29]
	v_and_b32_e32 v0, s40, v0
	v_lshlrev_b32_e32 v1, 2, v0
	v_add_lshl_u32 v1, v1, v42, 2
	; wave barrier
	v_add_u32_e32 v34, 16, v1
	ds_read_b32 v9, v1 offset:16
	v_and_b32_e32 v1, 1, v0
	v_add_co_u32_e32 v2, vcc, -1, v1
	v_addc_co_u32_e64 v3, s[26:27], 0, -1, vcc
	v_cmp_ne_u32_e32 vcc, 0, v1
	v_lshlrev_b32_e32 v15, 30, v0
	v_xor_b32_e32 v1, vcc_hi, v3
	v_not_b32_e32 v3, v15
	v_xor_b32_e32 v2, vcc_lo, v2
	v_cmp_gt_i64_e32 vcc, 0, v[14:15]
	v_ashrrev_i32_e32 v3, 31, v3
	v_and_b32_e32 v1, exec_hi, v1
	v_xor_b32_e32 v15, vcc_hi, v3
	v_and_b32_e32 v2, exec_lo, v2
	v_xor_b32_e32 v3, vcc_lo, v3
	v_and_b32_e32 v1, v1, v15
	v_lshlrev_b32_e32 v15, 29, v0
	v_and_b32_e32 v2, v2, v3
	v_not_b32_e32 v3, v15
	v_cmp_gt_i64_e32 vcc, 0, v[14:15]
	v_ashrrev_i32_e32 v3, 31, v3
	v_xor_b32_e32 v15, vcc_hi, v3
	v_xor_b32_e32 v3, vcc_lo, v3
	v_and_b32_e32 v1, v1, v15
	v_lshlrev_b32_e32 v15, 28, v0
	v_and_b32_e32 v2, v2, v3
	v_not_b32_e32 v3, v15
	v_cmp_gt_i64_e32 vcc, 0, v[14:15]
	v_ashrrev_i32_e32 v3, 31, v3
	v_xor_b32_e32 v15, vcc_hi, v3
	;; [unrolled: 8-line block ×5, first 2 shown]
	v_and_b32_e32 v1, v1, v15
	v_lshlrev_b32_e32 v15, 24, v0
	v_not_b32_e32 v0, v15
	v_xor_b32_e32 v3, vcc_lo, v3
	v_cmp_gt_i64_e32 vcc, 0, v[14:15]
	v_ashrrev_i32_e32 v0, 31, v0
	v_and_b32_e32 v2, v2, v3
	v_xor_b32_e32 v3, vcc_hi, v0
	v_xor_b32_e32 v0, vcc_lo, v0
	v_and_b32_e32 v0, v2, v0
	v_and_b32_e32 v1, v1, v3
	v_mbcnt_lo_u32_b32 v2, v0, 0
	v_mbcnt_hi_u32_b32 v35, v1, v2
	v_cmp_eq_u32_e32 vcc, 0, v35
	v_cmp_ne_u64_e64 s[26:27], 0, v[0:1]
	s_and_b64 s[44:45], s[26:27], vcc
	; wave barrier
	s_and_saveexec_b64 s[26:27], s[44:45]
	s_cbranch_execz .LBB994_25
; %bb.24:                               ;   in Loop: Header=BB994_19 Depth=1
	v_bcnt_u32_b32 v0, v0, 0
	v_bcnt_u32_b32 v0, v1, v0
	s_waitcnt lgkmcnt(0)
	v_add_u32_e32 v0, v9, v0
	ds_write_b32 v34, v0
.LBB994_25:                             ;   in Loop: Header=BB994_19 Depth=1
	s_or_b64 exec, exec, s[26:27]
	v_lshrrev_b64 v[0:1], s34, v[26:27]
	v_and_b32_e32 v0, s40, v0
	v_lshlrev_b32_e32 v1, 2, v0
	v_add_lshl_u32 v1, v1, v42, 2
	; wave barrier
	v_add_u32_e32 v37, 16, v1
	ds_read_b32 v36, v1 offset:16
	v_and_b32_e32 v1, 1, v0
	v_add_co_u32_e32 v2, vcc, -1, v1
	v_addc_co_u32_e64 v3, s[26:27], 0, -1, vcc
	v_cmp_ne_u32_e32 vcc, 0, v1
	v_lshlrev_b32_e32 v15, 30, v0
	v_xor_b32_e32 v1, vcc_hi, v3
	v_not_b32_e32 v3, v15
	v_xor_b32_e32 v2, vcc_lo, v2
	v_cmp_gt_i64_e32 vcc, 0, v[14:15]
	v_ashrrev_i32_e32 v3, 31, v3
	v_and_b32_e32 v1, exec_hi, v1
	v_xor_b32_e32 v15, vcc_hi, v3
	v_and_b32_e32 v2, exec_lo, v2
	v_xor_b32_e32 v3, vcc_lo, v3
	v_and_b32_e32 v1, v1, v15
	v_lshlrev_b32_e32 v15, 29, v0
	v_and_b32_e32 v2, v2, v3
	v_not_b32_e32 v3, v15
	v_cmp_gt_i64_e32 vcc, 0, v[14:15]
	v_ashrrev_i32_e32 v3, 31, v3
	v_xor_b32_e32 v15, vcc_hi, v3
	v_xor_b32_e32 v3, vcc_lo, v3
	v_and_b32_e32 v1, v1, v15
	v_lshlrev_b32_e32 v15, 28, v0
	v_and_b32_e32 v2, v2, v3
	v_not_b32_e32 v3, v15
	v_cmp_gt_i64_e32 vcc, 0, v[14:15]
	v_ashrrev_i32_e32 v3, 31, v3
	v_xor_b32_e32 v15, vcc_hi, v3
	;; [unrolled: 8-line block ×5, first 2 shown]
	v_and_b32_e32 v1, v1, v15
	v_lshlrev_b32_e32 v15, 24, v0
	v_not_b32_e32 v0, v15
	v_xor_b32_e32 v3, vcc_lo, v3
	v_cmp_gt_i64_e32 vcc, 0, v[14:15]
	v_ashrrev_i32_e32 v0, 31, v0
	v_and_b32_e32 v2, v2, v3
	v_xor_b32_e32 v3, vcc_hi, v0
	v_xor_b32_e32 v0, vcc_lo, v0
	v_and_b32_e32 v0, v2, v0
	v_and_b32_e32 v1, v1, v3
	v_mbcnt_lo_u32_b32 v2, v0, 0
	v_mbcnt_hi_u32_b32 v15, v1, v2
	v_cmp_eq_u32_e32 vcc, 0, v15
	v_cmp_ne_u64_e64 s[26:27], 0, v[0:1]
	s_and_b64 s[40:41], s[26:27], vcc
	; wave barrier
	s_and_saveexec_b64 s[26:27], s[40:41]
	s_cbranch_execz .LBB994_27
; %bb.26:                               ;   in Loop: Header=BB994_19 Depth=1
	v_bcnt_u32_b32 v0, v0, 0
	v_bcnt_u32_b32 v0, v1, v0
	s_waitcnt lgkmcnt(0)
	v_add_u32_e32 v0, v36, v0
	ds_write_b32 v37, v0
.LBB994_27:                             ;   in Loop: Header=BB994_19 Depth=1
	s_or_b64 exec, exec, s[26:27]
	; wave barrier
	s_waitcnt lgkmcnt(0)
	s_barrier
	ds_read2_b64 v[0:3], v17 offset0:2 offset1:3
	s_waitcnt lgkmcnt(0)
	v_add_u32_e32 v38, v1, v0
	v_add3_u32 v3, v38, v2, v3
	s_nop 1
	v_mov_b32_dpp v38, v3 row_shr:1 row_mask:0xf bank_mask:0xf
	v_cndmask_b32_e64 v38, v38, 0, s[0:1]
	v_add_u32_e32 v3, v38, v3
	s_nop 1
	v_mov_b32_dpp v38, v3 row_shr:2 row_mask:0xf bank_mask:0xf
	v_cndmask_b32_e64 v38, 0, v38, s[2:3]
	v_add_u32_e32 v3, v3, v38
	;; [unrolled: 4-line block ×4, first 2 shown]
	s_nop 1
	v_mov_b32_dpp v38, v3 row_bcast:15 row_mask:0xf bank_mask:0xf
	v_cndmask_b32_e64 v38, v38, 0, s[8:9]
	v_add_u32_e32 v3, v3, v38
	s_nop 1
	v_mov_b32_dpp v38, v3 row_bcast:31 row_mask:0xf bank_mask:0xf
	v_cndmask_b32_e64 v38, 0, v38, s[10:11]
	v_add_u32_e32 v3, v3, v38
	s_and_saveexec_b64 s[26:27], s[12:13]
	s_cbranch_execz .LBB994_29
; %bb.28:                               ;   in Loop: Header=BB994_19 Depth=1
	ds_write_b32 v44, v3
.LBB994_29:                             ;   in Loop: Header=BB994_19 Depth=1
	s_or_b64 exec, exec, s[26:27]
	s_waitcnt lgkmcnt(0)
	s_barrier
	s_and_saveexec_b64 s[26:27], s[14:15]
	s_cbranch_execz .LBB994_31
; %bb.30:                               ;   in Loop: Header=BB994_19 Depth=1
	ds_read_b32 v38, v50
	s_waitcnt lgkmcnt(0)
	s_nop 0
	v_mov_b32_dpp v39, v38 row_shr:1 row_mask:0xf bank_mask:0xf
	v_cndmask_b32_e64 v39, v39, 0, s[22:23]
	v_add_u32_e32 v38, v39, v38
	s_nop 1
	v_mov_b32_dpp v39, v38 row_shr:2 row_mask:0xf bank_mask:0xf
	v_cndmask_b32_e64 v39, 0, v39, s[24:25]
	v_add_u32_e32 v38, v38, v39
	ds_write_b32 v50, v38
.LBB994_31:                             ;   in Loop: Header=BB994_19 Depth=1
	s_or_b64 exec, exec, s[26:27]
	v_mov_b32_e32 v38, 0
	s_waitcnt lgkmcnt(0)
	s_barrier
	s_and_saveexec_b64 s[26:27], s[16:17]
	s_cbranch_execz .LBB994_33
; %bb.32:                               ;   in Loop: Header=BB994_19 Depth=1
	ds_read_b32 v38, v45
.LBB994_33:                             ;   in Loop: Header=BB994_19 Depth=1
	s_or_b64 exec, exec, s[26:27]
	s_waitcnt lgkmcnt(0)
	v_add_u32_e32 v3, v38, v3
	ds_bpermute_b32 v3, v43, v3
	s_add_i32 s34, s34, 8
	s_cmp_ge_u32 s34, s36
	s_waitcnt lgkmcnt(0)
	v_cndmask_b32_e64 v3, v3, v38, s[18:19]
	v_cndmask_b32_e64 v38, v3, 0, s[20:21]
	v_add_u32_e32 v39, v38, v0
	v_add_u32_e32 v0, v39, v1
	;; [unrolled: 1-line block ×3, first 2 shown]
	ds_write2_b64 v17, v[38:39], v[0:1] offset0:2 offset1:3
	s_waitcnt lgkmcnt(0)
	s_barrier
	ds_read_b32 v0, v4
	ds_read_b32 v1, v7
	;; [unrolled: 1-line block ×4, first 2 shown]
	v_lshlrev_b32_e32 v4, 3, v5
	s_waitcnt lgkmcnt(3)
	v_lshl_add_u32 v0, v0, 3, v4
	v_lshlrev_b32_e32 v4, 3, v8
	v_lshlrev_b32_e32 v5, 3, v6
	s_waitcnt lgkmcnt(2)
	v_lshlrev_b32_e32 v1, 3, v1
	v_add3_u32 v1, v4, v5, v1
	v_lshlrev_b32_e32 v4, 3, v35
	v_lshlrev_b32_e32 v5, 3, v9
	s_waitcnt lgkmcnt(1)
	v_lshlrev_b32_e32 v2, 3, v2
	v_add3_u32 v51, v4, v5, v2
	;; [unrolled: 5-line block ×3, first 2 shown]
	s_cbranch_scc0 .LBB994_18
; %bb.34:
                                        ; implicit-def: $vgpr8_vgpr9
                                        ; implicit-def: $sgpr34
                                        ; implicit-def: $vgpr34_vgpr35
                                        ; implicit-def: $vgpr36_vgpr37
                                        ; implicit-def: $vgpr38_vgpr39
                                        ; implicit-def: $vgpr40_vgpr41
.LBB994_35:
	v_lshlrev_b32_e32 v17, 3, v16
	s_barrier
	ds_write_b64 v0, v[32:33]
	ds_write_b64 v1, v[30:31]
	;; [unrolled: 1-line block ×4, first 2 shown]
	s_waitcnt lgkmcnt(0)
	s_barrier
	ds_read2st64_b64 v[12:15], v17 offset1:4
	ds_read2st64_b64 v[8:11], v17 offset0:8 offset1:12
	s_waitcnt lgkmcnt(0)
	s_barrier
	ds_write_b64 v0, v[24:25]
	ds_write_b64 v1, v[22:23]
	;; [unrolled: 1-line block ×4, first 2 shown]
	s_waitcnt lgkmcnt(0)
	s_barrier
	ds_read2st64_b64 v[4:7], v17 offset1:4
	ds_read2st64_b64 v[0:3], v17 offset0:8 offset1:12
	s_add_u32 s0, s38, s28
	s_addc_u32 s1, s39, s29
	v_mov_b32_e32 v19, s1
	v_add_co_u32_e64 v18, s[0:1], s0, v17
	v_xor_b32_e32 v13, 0x80000000, v13
	v_xor_b32_e32 v15, 0x80000000, v15
	;; [unrolled: 1-line block ×4, first 2 shown]
	s_andn2_b64 vcc, exec, s[30:31]
	v_addc_co_u32_e64 v19, s[0:1], 0, v19, s[0:1]
	s_cbranch_vccnz .LBB994_37
; %bb.36:
	v_add_co_u32_e32 v20, vcc, 0x1000, v18
	s_add_u32 s0, s42, s28
	v_addc_co_u32_e32 v21, vcc, 0, v19, vcc
	s_addc_u32 s1, s43, s29
	global_store_dwordx2 v[18:19], v[12:13], off
	global_store_dwordx2 v[18:19], v[14:15], off offset:2048
	global_store_dwordx2 v[20:21], v[8:9], off
	global_store_dwordx2 v[20:21], v[10:11], off offset:2048
	v_mov_b32_e32 v20, s1
	v_add_co_u32_e32 v21, vcc, s0, v17
	v_addc_co_u32_e32 v22, vcc, 0, v20, vcc
	v_add_co_u32_e32 v20, vcc, 0x1000, v21
	s_waitcnt lgkmcnt(1)
	global_store_dwordx2 v17, v[4:5], s[0:1]
	global_store_dwordx2 v17, v[6:7], s[0:1] offset:2048
	v_addc_co_u32_e32 v21, vcc, 0, v22, vcc
	s_mov_b64 s[6:7], -1
	s_waitcnt lgkmcnt(0)
	global_store_dwordx2 v[20:21], v[0:1], off
	s_cbranch_execz .LBB994_38
	s_branch .LBB994_51
.LBB994_37:
	s_mov_b64 s[6:7], 0
.LBB994_38:
	v_cmp_gt_u32_e64 s[0:1], s33, v16
	s_and_saveexec_b64 s[2:3], s[0:1]
	s_cbranch_execz .LBB994_40
; %bb.39:
	global_store_dwordx2 v[18:19], v[12:13], off
.LBB994_40:
	s_or_b64 exec, exec, s[2:3]
	v_add_u32_e32 v12, 0x100, v16
	v_cmp_gt_u32_e64 s[2:3], s33, v12
	s_and_saveexec_b64 s[4:5], s[2:3]
	s_cbranch_execz .LBB994_42
; %bb.41:
	global_store_dwordx2 v[18:19], v[14:15], off offset:2048
.LBB994_42:
	s_or_b64 exec, exec, s[4:5]
	v_add_u32_e32 v12, 0x200, v16
	v_cmp_gt_u32_e64 s[4:5], s33, v12
	s_and_saveexec_b64 s[6:7], s[4:5]
	s_cbranch_execz .LBB994_44
; %bb.43:
	v_add_co_u32_e32 v12, vcc, 0x1000, v18
	v_addc_co_u32_e32 v13, vcc, 0, v19, vcc
	global_store_dwordx2 v[12:13], v[8:9], off
.LBB994_44:
	s_or_b64 exec, exec, s[6:7]
	v_add_u32_e32 v8, 0x300, v16
	v_cmp_gt_u32_e64 s[6:7], s33, v8
	s_and_saveexec_b64 s[8:9], s[6:7]
	s_cbranch_execz .LBB994_46
; %bb.45:
	v_add_co_u32_e32 v8, vcc, 0x1000, v18
	v_addc_co_u32_e32 v9, vcc, 0, v19, vcc
	global_store_dwordx2 v[8:9], v[10:11], off offset:2048
.LBB994_46:
	s_or_b64 exec, exec, s[8:9]
	s_add_u32 s8, s42, s28
	s_addc_u32 s9, s43, s29
	v_mov_b32_e32 v9, s9
	v_add_co_u32_e32 v8, vcc, s8, v17
	v_addc_co_u32_e32 v9, vcc, 0, v9, vcc
	s_and_saveexec_b64 s[8:9], s[0:1]
	s_cbranch_execnz .LBB994_57
; %bb.47:
	s_or_b64 exec, exec, s[8:9]
	s_and_saveexec_b64 s[0:1], s[2:3]
	s_cbranch_execnz .LBB994_58
.LBB994_48:
	s_or_b64 exec, exec, s[0:1]
	s_and_saveexec_b64 s[0:1], s[4:5]
	s_cbranch_execz .LBB994_50
.LBB994_49:
	s_waitcnt lgkmcnt(1)
	v_add_co_u32_e32 v4, vcc, 0x1000, v8
	v_addc_co_u32_e32 v5, vcc, 0, v9, vcc
	s_waitcnt lgkmcnt(0)
	global_store_dwordx2 v[4:5], v[0:1], off
.LBB994_50:
	s_or_b64 exec, exec, s[0:1]
.LBB994_51:
	s_and_saveexec_b64 s[0:1], s[6:7]
	s_cbranch_execnz .LBB994_53
; %bb.52:
	s_endpgm
.LBB994_53:
	s_add_u32 s0, s42, s28
	s_addc_u32 s1, s43, s29
	s_waitcnt lgkmcnt(0)
	v_mov_b32_e32 v0, s1
	v_add_co_u32_e32 v1, vcc, s0, v17
	v_addc_co_u32_e32 v4, vcc, 0, v0, vcc
	v_add_co_u32_e32 v0, vcc, 0x1000, v1
	v_addc_co_u32_e32 v1, vcc, 0, v4, vcc
	global_store_dwordx2 v[0:1], v[2:3], off offset:2048
	s_endpgm
.LBB994_54:
	global_load_dwordx2 v[34:35], v[10:11], off
	s_or_b64 exec, exec, s[8:9]
                                        ; implicit-def: $vgpr36_vgpr37
	s_and_saveexec_b64 s[8:9], s[0:1]
	s_cbranch_execz .LBB994_13
.LBB994_55:
	global_load_dwordx2 v[36:37], v[10:11], off offset:512
	s_or_b64 exec, exec, s[8:9]
                                        ; implicit-def: $vgpr38_vgpr39
	s_and_saveexec_b64 s[0:1], s[2:3]
	s_cbranch_execz .LBB994_14
.LBB994_56:
	global_load_dwordx2 v[38:39], v[10:11], off offset:1024
	s_or_b64 exec, exec, s[0:1]
                                        ; implicit-def: $vgpr40_vgpr41
	s_and_saveexec_b64 s[0:1], s[6:7]
	s_cbranch_execnz .LBB994_15
	s_branch .LBB994_16
.LBB994_57:
	s_waitcnt lgkmcnt(1)
	global_store_dwordx2 v[8:9], v[4:5], off
	s_or_b64 exec, exec, s[8:9]
	s_and_saveexec_b64 s[0:1], s[2:3]
	s_cbranch_execz .LBB994_48
.LBB994_58:
	s_waitcnt lgkmcnt(1)
	global_store_dwordx2 v[8:9], v[6:7], off offset:2048
	s_or_b64 exec, exec, s[0:1]
	s_and_saveexec_b64 s[0:1], s[4:5]
	s_cbranch_execnz .LBB994_49
	s_branch .LBB994_50
	.section	.rodata,"a",@progbits
	.p2align	6, 0x0
	.amdhsa_kernel _ZN7rocprim17ROCPRIM_400000_NS6detail17trampoline_kernelINS0_13kernel_configILj256ELj4ELj4294967295EEENS1_37radix_sort_block_sort_config_selectorIllEEZNS1_21radix_sort_block_sortIS4_Lb0EPlS8_N6thrust23THRUST_200600_302600_NS10device_ptrIlEESC_NS0_19identity_decomposerEEE10hipError_tT1_T2_T3_T4_jRjT5_jjP12ihipStream_tbEUlT_E_NS1_11comp_targetILNS1_3genE4ELNS1_11target_archE910ELNS1_3gpuE8ELNS1_3repE0EEENS1_44radix_sort_block_sort_config_static_selectorELNS0_4arch9wavefront6targetE1EEEvSF_
		.amdhsa_group_segment_fixed_size 8192
		.amdhsa_private_segment_fixed_size 0
		.amdhsa_kernarg_size 304
		.amdhsa_user_sgpr_count 6
		.amdhsa_user_sgpr_private_segment_buffer 1
		.amdhsa_user_sgpr_dispatch_ptr 0
		.amdhsa_user_sgpr_queue_ptr 0
		.amdhsa_user_sgpr_kernarg_segment_ptr 1
		.amdhsa_user_sgpr_dispatch_id 0
		.amdhsa_user_sgpr_flat_scratch_init 0
		.amdhsa_user_sgpr_kernarg_preload_length 0
		.amdhsa_user_sgpr_kernarg_preload_offset 0
		.amdhsa_user_sgpr_private_segment_size 0
		.amdhsa_uses_dynamic_stack 0
		.amdhsa_system_sgpr_private_segment_wavefront_offset 0
		.amdhsa_system_sgpr_workgroup_id_x 1
		.amdhsa_system_sgpr_workgroup_id_y 0
		.amdhsa_system_sgpr_workgroup_id_z 0
		.amdhsa_system_sgpr_workgroup_info 0
		.amdhsa_system_vgpr_workitem_id 2
		.amdhsa_next_free_vgpr 53
		.amdhsa_next_free_sgpr 46
		.amdhsa_accum_offset 56
		.amdhsa_reserve_vcc 1
		.amdhsa_reserve_flat_scratch 0
		.amdhsa_float_round_mode_32 0
		.amdhsa_float_round_mode_16_64 0
		.amdhsa_float_denorm_mode_32 3
		.amdhsa_float_denorm_mode_16_64 3
		.amdhsa_dx10_clamp 1
		.amdhsa_ieee_mode 1
		.amdhsa_fp16_overflow 0
		.amdhsa_tg_split 0
		.amdhsa_exception_fp_ieee_invalid_op 0
		.amdhsa_exception_fp_denorm_src 0
		.amdhsa_exception_fp_ieee_div_zero 0
		.amdhsa_exception_fp_ieee_overflow 0
		.amdhsa_exception_fp_ieee_underflow 0
		.amdhsa_exception_fp_ieee_inexact 0
		.amdhsa_exception_int_div_zero 0
	.end_amdhsa_kernel
	.section	.text._ZN7rocprim17ROCPRIM_400000_NS6detail17trampoline_kernelINS0_13kernel_configILj256ELj4ELj4294967295EEENS1_37radix_sort_block_sort_config_selectorIllEEZNS1_21radix_sort_block_sortIS4_Lb0EPlS8_N6thrust23THRUST_200600_302600_NS10device_ptrIlEESC_NS0_19identity_decomposerEEE10hipError_tT1_T2_T3_T4_jRjT5_jjP12ihipStream_tbEUlT_E_NS1_11comp_targetILNS1_3genE4ELNS1_11target_archE910ELNS1_3gpuE8ELNS1_3repE0EEENS1_44radix_sort_block_sort_config_static_selectorELNS0_4arch9wavefront6targetE1EEEvSF_,"axG",@progbits,_ZN7rocprim17ROCPRIM_400000_NS6detail17trampoline_kernelINS0_13kernel_configILj256ELj4ELj4294967295EEENS1_37radix_sort_block_sort_config_selectorIllEEZNS1_21radix_sort_block_sortIS4_Lb0EPlS8_N6thrust23THRUST_200600_302600_NS10device_ptrIlEESC_NS0_19identity_decomposerEEE10hipError_tT1_T2_T3_T4_jRjT5_jjP12ihipStream_tbEUlT_E_NS1_11comp_targetILNS1_3genE4ELNS1_11target_archE910ELNS1_3gpuE8ELNS1_3repE0EEENS1_44radix_sort_block_sort_config_static_selectorELNS0_4arch9wavefront6targetE1EEEvSF_,comdat
.Lfunc_end994:
	.size	_ZN7rocprim17ROCPRIM_400000_NS6detail17trampoline_kernelINS0_13kernel_configILj256ELj4ELj4294967295EEENS1_37radix_sort_block_sort_config_selectorIllEEZNS1_21radix_sort_block_sortIS4_Lb0EPlS8_N6thrust23THRUST_200600_302600_NS10device_ptrIlEESC_NS0_19identity_decomposerEEE10hipError_tT1_T2_T3_T4_jRjT5_jjP12ihipStream_tbEUlT_E_NS1_11comp_targetILNS1_3genE4ELNS1_11target_archE910ELNS1_3gpuE8ELNS1_3repE0EEENS1_44radix_sort_block_sort_config_static_selectorELNS0_4arch9wavefront6targetE1EEEvSF_, .Lfunc_end994-_ZN7rocprim17ROCPRIM_400000_NS6detail17trampoline_kernelINS0_13kernel_configILj256ELj4ELj4294967295EEENS1_37radix_sort_block_sort_config_selectorIllEEZNS1_21radix_sort_block_sortIS4_Lb0EPlS8_N6thrust23THRUST_200600_302600_NS10device_ptrIlEESC_NS0_19identity_decomposerEEE10hipError_tT1_T2_T3_T4_jRjT5_jjP12ihipStream_tbEUlT_E_NS1_11comp_targetILNS1_3genE4ELNS1_11target_archE910ELNS1_3gpuE8ELNS1_3repE0EEENS1_44radix_sort_block_sort_config_static_selectorELNS0_4arch9wavefront6targetE1EEEvSF_
                                        ; -- End function
	.section	.AMDGPU.csdata,"",@progbits
; Kernel info:
; codeLenInByte = 3964
; NumSgprs: 50
; NumVgprs: 53
; NumAgprs: 0
; TotalNumVgprs: 53
; ScratchSize: 0
; MemoryBound: 1
; FloatMode: 240
; IeeeMode: 1
; LDSByteSize: 8192 bytes/workgroup (compile time only)
; SGPRBlocks: 6
; VGPRBlocks: 6
; NumSGPRsForWavesPerEU: 50
; NumVGPRsForWavesPerEU: 53
; AccumOffset: 56
; Occupancy: 8
; WaveLimiterHint : 1
; COMPUTE_PGM_RSRC2:SCRATCH_EN: 0
; COMPUTE_PGM_RSRC2:USER_SGPR: 6
; COMPUTE_PGM_RSRC2:TRAP_HANDLER: 0
; COMPUTE_PGM_RSRC2:TGID_X_EN: 1
; COMPUTE_PGM_RSRC2:TGID_Y_EN: 0
; COMPUTE_PGM_RSRC2:TGID_Z_EN: 0
; COMPUTE_PGM_RSRC2:TIDIG_COMP_CNT: 2
; COMPUTE_PGM_RSRC3_GFX90A:ACCUM_OFFSET: 13
; COMPUTE_PGM_RSRC3_GFX90A:TG_SPLIT: 0
	.section	.text._ZN7rocprim17ROCPRIM_400000_NS6detail17trampoline_kernelINS0_13kernel_configILj256ELj4ELj4294967295EEENS1_37radix_sort_block_sort_config_selectorIllEEZNS1_21radix_sort_block_sortIS4_Lb0EPlS8_N6thrust23THRUST_200600_302600_NS10device_ptrIlEESC_NS0_19identity_decomposerEEE10hipError_tT1_T2_T3_T4_jRjT5_jjP12ihipStream_tbEUlT_E_NS1_11comp_targetILNS1_3genE3ELNS1_11target_archE908ELNS1_3gpuE7ELNS1_3repE0EEENS1_44radix_sort_block_sort_config_static_selectorELNS0_4arch9wavefront6targetE1EEEvSF_,"axG",@progbits,_ZN7rocprim17ROCPRIM_400000_NS6detail17trampoline_kernelINS0_13kernel_configILj256ELj4ELj4294967295EEENS1_37radix_sort_block_sort_config_selectorIllEEZNS1_21radix_sort_block_sortIS4_Lb0EPlS8_N6thrust23THRUST_200600_302600_NS10device_ptrIlEESC_NS0_19identity_decomposerEEE10hipError_tT1_T2_T3_T4_jRjT5_jjP12ihipStream_tbEUlT_E_NS1_11comp_targetILNS1_3genE3ELNS1_11target_archE908ELNS1_3gpuE7ELNS1_3repE0EEENS1_44radix_sort_block_sort_config_static_selectorELNS0_4arch9wavefront6targetE1EEEvSF_,comdat
	.protected	_ZN7rocprim17ROCPRIM_400000_NS6detail17trampoline_kernelINS0_13kernel_configILj256ELj4ELj4294967295EEENS1_37radix_sort_block_sort_config_selectorIllEEZNS1_21radix_sort_block_sortIS4_Lb0EPlS8_N6thrust23THRUST_200600_302600_NS10device_ptrIlEESC_NS0_19identity_decomposerEEE10hipError_tT1_T2_T3_T4_jRjT5_jjP12ihipStream_tbEUlT_E_NS1_11comp_targetILNS1_3genE3ELNS1_11target_archE908ELNS1_3gpuE7ELNS1_3repE0EEENS1_44radix_sort_block_sort_config_static_selectorELNS0_4arch9wavefront6targetE1EEEvSF_ ; -- Begin function _ZN7rocprim17ROCPRIM_400000_NS6detail17trampoline_kernelINS0_13kernel_configILj256ELj4ELj4294967295EEENS1_37radix_sort_block_sort_config_selectorIllEEZNS1_21radix_sort_block_sortIS4_Lb0EPlS8_N6thrust23THRUST_200600_302600_NS10device_ptrIlEESC_NS0_19identity_decomposerEEE10hipError_tT1_T2_T3_T4_jRjT5_jjP12ihipStream_tbEUlT_E_NS1_11comp_targetILNS1_3genE3ELNS1_11target_archE908ELNS1_3gpuE7ELNS1_3repE0EEENS1_44radix_sort_block_sort_config_static_selectorELNS0_4arch9wavefront6targetE1EEEvSF_
	.globl	_ZN7rocprim17ROCPRIM_400000_NS6detail17trampoline_kernelINS0_13kernel_configILj256ELj4ELj4294967295EEENS1_37radix_sort_block_sort_config_selectorIllEEZNS1_21radix_sort_block_sortIS4_Lb0EPlS8_N6thrust23THRUST_200600_302600_NS10device_ptrIlEESC_NS0_19identity_decomposerEEE10hipError_tT1_T2_T3_T4_jRjT5_jjP12ihipStream_tbEUlT_E_NS1_11comp_targetILNS1_3genE3ELNS1_11target_archE908ELNS1_3gpuE7ELNS1_3repE0EEENS1_44radix_sort_block_sort_config_static_selectorELNS0_4arch9wavefront6targetE1EEEvSF_
	.p2align	8
	.type	_ZN7rocprim17ROCPRIM_400000_NS6detail17trampoline_kernelINS0_13kernel_configILj256ELj4ELj4294967295EEENS1_37radix_sort_block_sort_config_selectorIllEEZNS1_21radix_sort_block_sortIS4_Lb0EPlS8_N6thrust23THRUST_200600_302600_NS10device_ptrIlEESC_NS0_19identity_decomposerEEE10hipError_tT1_T2_T3_T4_jRjT5_jjP12ihipStream_tbEUlT_E_NS1_11comp_targetILNS1_3genE3ELNS1_11target_archE908ELNS1_3gpuE7ELNS1_3repE0EEENS1_44radix_sort_block_sort_config_static_selectorELNS0_4arch9wavefront6targetE1EEEvSF_,@function
_ZN7rocprim17ROCPRIM_400000_NS6detail17trampoline_kernelINS0_13kernel_configILj256ELj4ELj4294967295EEENS1_37radix_sort_block_sort_config_selectorIllEEZNS1_21radix_sort_block_sortIS4_Lb0EPlS8_N6thrust23THRUST_200600_302600_NS10device_ptrIlEESC_NS0_19identity_decomposerEEE10hipError_tT1_T2_T3_T4_jRjT5_jjP12ihipStream_tbEUlT_E_NS1_11comp_targetILNS1_3genE3ELNS1_11target_archE908ELNS1_3gpuE7ELNS1_3repE0EEENS1_44radix_sort_block_sort_config_static_selectorELNS0_4arch9wavefront6targetE1EEEvSF_: ; @_ZN7rocprim17ROCPRIM_400000_NS6detail17trampoline_kernelINS0_13kernel_configILj256ELj4ELj4294967295EEENS1_37radix_sort_block_sort_config_selectorIllEEZNS1_21radix_sort_block_sortIS4_Lb0EPlS8_N6thrust23THRUST_200600_302600_NS10device_ptrIlEESC_NS0_19identity_decomposerEEE10hipError_tT1_T2_T3_T4_jRjT5_jjP12ihipStream_tbEUlT_E_NS1_11comp_targetILNS1_3genE3ELNS1_11target_archE908ELNS1_3gpuE7ELNS1_3repE0EEENS1_44radix_sort_block_sort_config_static_selectorELNS0_4arch9wavefront6targetE1EEEvSF_
; %bb.0:
	.section	.rodata,"a",@progbits
	.p2align	6, 0x0
	.amdhsa_kernel _ZN7rocprim17ROCPRIM_400000_NS6detail17trampoline_kernelINS0_13kernel_configILj256ELj4ELj4294967295EEENS1_37radix_sort_block_sort_config_selectorIllEEZNS1_21radix_sort_block_sortIS4_Lb0EPlS8_N6thrust23THRUST_200600_302600_NS10device_ptrIlEESC_NS0_19identity_decomposerEEE10hipError_tT1_T2_T3_T4_jRjT5_jjP12ihipStream_tbEUlT_E_NS1_11comp_targetILNS1_3genE3ELNS1_11target_archE908ELNS1_3gpuE7ELNS1_3repE0EEENS1_44radix_sort_block_sort_config_static_selectorELNS0_4arch9wavefront6targetE1EEEvSF_
		.amdhsa_group_segment_fixed_size 0
		.amdhsa_private_segment_fixed_size 0
		.amdhsa_kernarg_size 48
		.amdhsa_user_sgpr_count 6
		.amdhsa_user_sgpr_private_segment_buffer 1
		.amdhsa_user_sgpr_dispatch_ptr 0
		.amdhsa_user_sgpr_queue_ptr 0
		.amdhsa_user_sgpr_kernarg_segment_ptr 1
		.amdhsa_user_sgpr_dispatch_id 0
		.amdhsa_user_sgpr_flat_scratch_init 0
		.amdhsa_user_sgpr_kernarg_preload_length 0
		.amdhsa_user_sgpr_kernarg_preload_offset 0
		.amdhsa_user_sgpr_private_segment_size 0
		.amdhsa_uses_dynamic_stack 0
		.amdhsa_system_sgpr_private_segment_wavefront_offset 0
		.amdhsa_system_sgpr_workgroup_id_x 1
		.amdhsa_system_sgpr_workgroup_id_y 0
		.amdhsa_system_sgpr_workgroup_id_z 0
		.amdhsa_system_sgpr_workgroup_info 0
		.amdhsa_system_vgpr_workitem_id 0
		.amdhsa_next_free_vgpr 1
		.amdhsa_next_free_sgpr 0
		.amdhsa_accum_offset 4
		.amdhsa_reserve_vcc 0
		.amdhsa_reserve_flat_scratch 0
		.amdhsa_float_round_mode_32 0
		.amdhsa_float_round_mode_16_64 0
		.amdhsa_float_denorm_mode_32 3
		.amdhsa_float_denorm_mode_16_64 3
		.amdhsa_dx10_clamp 1
		.amdhsa_ieee_mode 1
		.amdhsa_fp16_overflow 0
		.amdhsa_tg_split 0
		.amdhsa_exception_fp_ieee_invalid_op 0
		.amdhsa_exception_fp_denorm_src 0
		.amdhsa_exception_fp_ieee_div_zero 0
		.amdhsa_exception_fp_ieee_overflow 0
		.amdhsa_exception_fp_ieee_underflow 0
		.amdhsa_exception_fp_ieee_inexact 0
		.amdhsa_exception_int_div_zero 0
	.end_amdhsa_kernel
	.section	.text._ZN7rocprim17ROCPRIM_400000_NS6detail17trampoline_kernelINS0_13kernel_configILj256ELj4ELj4294967295EEENS1_37radix_sort_block_sort_config_selectorIllEEZNS1_21radix_sort_block_sortIS4_Lb0EPlS8_N6thrust23THRUST_200600_302600_NS10device_ptrIlEESC_NS0_19identity_decomposerEEE10hipError_tT1_T2_T3_T4_jRjT5_jjP12ihipStream_tbEUlT_E_NS1_11comp_targetILNS1_3genE3ELNS1_11target_archE908ELNS1_3gpuE7ELNS1_3repE0EEENS1_44radix_sort_block_sort_config_static_selectorELNS0_4arch9wavefront6targetE1EEEvSF_,"axG",@progbits,_ZN7rocprim17ROCPRIM_400000_NS6detail17trampoline_kernelINS0_13kernel_configILj256ELj4ELj4294967295EEENS1_37radix_sort_block_sort_config_selectorIllEEZNS1_21radix_sort_block_sortIS4_Lb0EPlS8_N6thrust23THRUST_200600_302600_NS10device_ptrIlEESC_NS0_19identity_decomposerEEE10hipError_tT1_T2_T3_T4_jRjT5_jjP12ihipStream_tbEUlT_E_NS1_11comp_targetILNS1_3genE3ELNS1_11target_archE908ELNS1_3gpuE7ELNS1_3repE0EEENS1_44radix_sort_block_sort_config_static_selectorELNS0_4arch9wavefront6targetE1EEEvSF_,comdat
.Lfunc_end995:
	.size	_ZN7rocprim17ROCPRIM_400000_NS6detail17trampoline_kernelINS0_13kernel_configILj256ELj4ELj4294967295EEENS1_37radix_sort_block_sort_config_selectorIllEEZNS1_21radix_sort_block_sortIS4_Lb0EPlS8_N6thrust23THRUST_200600_302600_NS10device_ptrIlEESC_NS0_19identity_decomposerEEE10hipError_tT1_T2_T3_T4_jRjT5_jjP12ihipStream_tbEUlT_E_NS1_11comp_targetILNS1_3genE3ELNS1_11target_archE908ELNS1_3gpuE7ELNS1_3repE0EEENS1_44radix_sort_block_sort_config_static_selectorELNS0_4arch9wavefront6targetE1EEEvSF_, .Lfunc_end995-_ZN7rocprim17ROCPRIM_400000_NS6detail17trampoline_kernelINS0_13kernel_configILj256ELj4ELj4294967295EEENS1_37radix_sort_block_sort_config_selectorIllEEZNS1_21radix_sort_block_sortIS4_Lb0EPlS8_N6thrust23THRUST_200600_302600_NS10device_ptrIlEESC_NS0_19identity_decomposerEEE10hipError_tT1_T2_T3_T4_jRjT5_jjP12ihipStream_tbEUlT_E_NS1_11comp_targetILNS1_3genE3ELNS1_11target_archE908ELNS1_3gpuE7ELNS1_3repE0EEENS1_44radix_sort_block_sort_config_static_selectorELNS0_4arch9wavefront6targetE1EEEvSF_
                                        ; -- End function
	.section	.AMDGPU.csdata,"",@progbits
; Kernel info:
; codeLenInByte = 0
; NumSgprs: 4
; NumVgprs: 0
; NumAgprs: 0
; TotalNumVgprs: 0
; ScratchSize: 0
; MemoryBound: 0
; FloatMode: 240
; IeeeMode: 1
; LDSByteSize: 0 bytes/workgroup (compile time only)
; SGPRBlocks: 0
; VGPRBlocks: 0
; NumSGPRsForWavesPerEU: 4
; NumVGPRsForWavesPerEU: 1
; AccumOffset: 4
; Occupancy: 8
; WaveLimiterHint : 0
; COMPUTE_PGM_RSRC2:SCRATCH_EN: 0
; COMPUTE_PGM_RSRC2:USER_SGPR: 6
; COMPUTE_PGM_RSRC2:TRAP_HANDLER: 0
; COMPUTE_PGM_RSRC2:TGID_X_EN: 1
; COMPUTE_PGM_RSRC2:TGID_Y_EN: 0
; COMPUTE_PGM_RSRC2:TGID_Z_EN: 0
; COMPUTE_PGM_RSRC2:TIDIG_COMP_CNT: 0
; COMPUTE_PGM_RSRC3_GFX90A:ACCUM_OFFSET: 0
; COMPUTE_PGM_RSRC3_GFX90A:TG_SPLIT: 0
	.section	.text._ZN7rocprim17ROCPRIM_400000_NS6detail17trampoline_kernelINS0_13kernel_configILj256ELj4ELj4294967295EEENS1_37radix_sort_block_sort_config_selectorIllEEZNS1_21radix_sort_block_sortIS4_Lb0EPlS8_N6thrust23THRUST_200600_302600_NS10device_ptrIlEESC_NS0_19identity_decomposerEEE10hipError_tT1_T2_T3_T4_jRjT5_jjP12ihipStream_tbEUlT_E_NS1_11comp_targetILNS1_3genE2ELNS1_11target_archE906ELNS1_3gpuE6ELNS1_3repE0EEENS1_44radix_sort_block_sort_config_static_selectorELNS0_4arch9wavefront6targetE1EEEvSF_,"axG",@progbits,_ZN7rocprim17ROCPRIM_400000_NS6detail17trampoline_kernelINS0_13kernel_configILj256ELj4ELj4294967295EEENS1_37radix_sort_block_sort_config_selectorIllEEZNS1_21radix_sort_block_sortIS4_Lb0EPlS8_N6thrust23THRUST_200600_302600_NS10device_ptrIlEESC_NS0_19identity_decomposerEEE10hipError_tT1_T2_T3_T4_jRjT5_jjP12ihipStream_tbEUlT_E_NS1_11comp_targetILNS1_3genE2ELNS1_11target_archE906ELNS1_3gpuE6ELNS1_3repE0EEENS1_44radix_sort_block_sort_config_static_selectorELNS0_4arch9wavefront6targetE1EEEvSF_,comdat
	.protected	_ZN7rocprim17ROCPRIM_400000_NS6detail17trampoline_kernelINS0_13kernel_configILj256ELj4ELj4294967295EEENS1_37radix_sort_block_sort_config_selectorIllEEZNS1_21radix_sort_block_sortIS4_Lb0EPlS8_N6thrust23THRUST_200600_302600_NS10device_ptrIlEESC_NS0_19identity_decomposerEEE10hipError_tT1_T2_T3_T4_jRjT5_jjP12ihipStream_tbEUlT_E_NS1_11comp_targetILNS1_3genE2ELNS1_11target_archE906ELNS1_3gpuE6ELNS1_3repE0EEENS1_44radix_sort_block_sort_config_static_selectorELNS0_4arch9wavefront6targetE1EEEvSF_ ; -- Begin function _ZN7rocprim17ROCPRIM_400000_NS6detail17trampoline_kernelINS0_13kernel_configILj256ELj4ELj4294967295EEENS1_37radix_sort_block_sort_config_selectorIllEEZNS1_21radix_sort_block_sortIS4_Lb0EPlS8_N6thrust23THRUST_200600_302600_NS10device_ptrIlEESC_NS0_19identity_decomposerEEE10hipError_tT1_T2_T3_T4_jRjT5_jjP12ihipStream_tbEUlT_E_NS1_11comp_targetILNS1_3genE2ELNS1_11target_archE906ELNS1_3gpuE6ELNS1_3repE0EEENS1_44radix_sort_block_sort_config_static_selectorELNS0_4arch9wavefront6targetE1EEEvSF_
	.globl	_ZN7rocprim17ROCPRIM_400000_NS6detail17trampoline_kernelINS0_13kernel_configILj256ELj4ELj4294967295EEENS1_37radix_sort_block_sort_config_selectorIllEEZNS1_21radix_sort_block_sortIS4_Lb0EPlS8_N6thrust23THRUST_200600_302600_NS10device_ptrIlEESC_NS0_19identity_decomposerEEE10hipError_tT1_T2_T3_T4_jRjT5_jjP12ihipStream_tbEUlT_E_NS1_11comp_targetILNS1_3genE2ELNS1_11target_archE906ELNS1_3gpuE6ELNS1_3repE0EEENS1_44radix_sort_block_sort_config_static_selectorELNS0_4arch9wavefront6targetE1EEEvSF_
	.p2align	8
	.type	_ZN7rocprim17ROCPRIM_400000_NS6detail17trampoline_kernelINS0_13kernel_configILj256ELj4ELj4294967295EEENS1_37radix_sort_block_sort_config_selectorIllEEZNS1_21radix_sort_block_sortIS4_Lb0EPlS8_N6thrust23THRUST_200600_302600_NS10device_ptrIlEESC_NS0_19identity_decomposerEEE10hipError_tT1_T2_T3_T4_jRjT5_jjP12ihipStream_tbEUlT_E_NS1_11comp_targetILNS1_3genE2ELNS1_11target_archE906ELNS1_3gpuE6ELNS1_3repE0EEENS1_44radix_sort_block_sort_config_static_selectorELNS0_4arch9wavefront6targetE1EEEvSF_,@function
_ZN7rocprim17ROCPRIM_400000_NS6detail17trampoline_kernelINS0_13kernel_configILj256ELj4ELj4294967295EEENS1_37radix_sort_block_sort_config_selectorIllEEZNS1_21radix_sort_block_sortIS4_Lb0EPlS8_N6thrust23THRUST_200600_302600_NS10device_ptrIlEESC_NS0_19identity_decomposerEEE10hipError_tT1_T2_T3_T4_jRjT5_jjP12ihipStream_tbEUlT_E_NS1_11comp_targetILNS1_3genE2ELNS1_11target_archE906ELNS1_3gpuE6ELNS1_3repE0EEENS1_44radix_sort_block_sort_config_static_selectorELNS0_4arch9wavefront6targetE1EEEvSF_: ; @_ZN7rocprim17ROCPRIM_400000_NS6detail17trampoline_kernelINS0_13kernel_configILj256ELj4ELj4294967295EEENS1_37radix_sort_block_sort_config_selectorIllEEZNS1_21radix_sort_block_sortIS4_Lb0EPlS8_N6thrust23THRUST_200600_302600_NS10device_ptrIlEESC_NS0_19identity_decomposerEEE10hipError_tT1_T2_T3_T4_jRjT5_jjP12ihipStream_tbEUlT_E_NS1_11comp_targetILNS1_3genE2ELNS1_11target_archE906ELNS1_3gpuE6ELNS1_3repE0EEENS1_44radix_sort_block_sort_config_static_selectorELNS0_4arch9wavefront6targetE1EEEvSF_
; %bb.0:
	.section	.rodata,"a",@progbits
	.p2align	6, 0x0
	.amdhsa_kernel _ZN7rocprim17ROCPRIM_400000_NS6detail17trampoline_kernelINS0_13kernel_configILj256ELj4ELj4294967295EEENS1_37radix_sort_block_sort_config_selectorIllEEZNS1_21radix_sort_block_sortIS4_Lb0EPlS8_N6thrust23THRUST_200600_302600_NS10device_ptrIlEESC_NS0_19identity_decomposerEEE10hipError_tT1_T2_T3_T4_jRjT5_jjP12ihipStream_tbEUlT_E_NS1_11comp_targetILNS1_3genE2ELNS1_11target_archE906ELNS1_3gpuE6ELNS1_3repE0EEENS1_44radix_sort_block_sort_config_static_selectorELNS0_4arch9wavefront6targetE1EEEvSF_
		.amdhsa_group_segment_fixed_size 0
		.amdhsa_private_segment_fixed_size 0
		.amdhsa_kernarg_size 48
		.amdhsa_user_sgpr_count 6
		.amdhsa_user_sgpr_private_segment_buffer 1
		.amdhsa_user_sgpr_dispatch_ptr 0
		.amdhsa_user_sgpr_queue_ptr 0
		.amdhsa_user_sgpr_kernarg_segment_ptr 1
		.amdhsa_user_sgpr_dispatch_id 0
		.amdhsa_user_sgpr_flat_scratch_init 0
		.amdhsa_user_sgpr_kernarg_preload_length 0
		.amdhsa_user_sgpr_kernarg_preload_offset 0
		.amdhsa_user_sgpr_private_segment_size 0
		.amdhsa_uses_dynamic_stack 0
		.amdhsa_system_sgpr_private_segment_wavefront_offset 0
		.amdhsa_system_sgpr_workgroup_id_x 1
		.amdhsa_system_sgpr_workgroup_id_y 0
		.amdhsa_system_sgpr_workgroup_id_z 0
		.amdhsa_system_sgpr_workgroup_info 0
		.amdhsa_system_vgpr_workitem_id 0
		.amdhsa_next_free_vgpr 1
		.amdhsa_next_free_sgpr 0
		.amdhsa_accum_offset 4
		.amdhsa_reserve_vcc 0
		.amdhsa_reserve_flat_scratch 0
		.amdhsa_float_round_mode_32 0
		.amdhsa_float_round_mode_16_64 0
		.amdhsa_float_denorm_mode_32 3
		.amdhsa_float_denorm_mode_16_64 3
		.amdhsa_dx10_clamp 1
		.amdhsa_ieee_mode 1
		.amdhsa_fp16_overflow 0
		.amdhsa_tg_split 0
		.amdhsa_exception_fp_ieee_invalid_op 0
		.amdhsa_exception_fp_denorm_src 0
		.amdhsa_exception_fp_ieee_div_zero 0
		.amdhsa_exception_fp_ieee_overflow 0
		.amdhsa_exception_fp_ieee_underflow 0
		.amdhsa_exception_fp_ieee_inexact 0
		.amdhsa_exception_int_div_zero 0
	.end_amdhsa_kernel
	.section	.text._ZN7rocprim17ROCPRIM_400000_NS6detail17trampoline_kernelINS0_13kernel_configILj256ELj4ELj4294967295EEENS1_37radix_sort_block_sort_config_selectorIllEEZNS1_21radix_sort_block_sortIS4_Lb0EPlS8_N6thrust23THRUST_200600_302600_NS10device_ptrIlEESC_NS0_19identity_decomposerEEE10hipError_tT1_T2_T3_T4_jRjT5_jjP12ihipStream_tbEUlT_E_NS1_11comp_targetILNS1_3genE2ELNS1_11target_archE906ELNS1_3gpuE6ELNS1_3repE0EEENS1_44radix_sort_block_sort_config_static_selectorELNS0_4arch9wavefront6targetE1EEEvSF_,"axG",@progbits,_ZN7rocprim17ROCPRIM_400000_NS6detail17trampoline_kernelINS0_13kernel_configILj256ELj4ELj4294967295EEENS1_37radix_sort_block_sort_config_selectorIllEEZNS1_21radix_sort_block_sortIS4_Lb0EPlS8_N6thrust23THRUST_200600_302600_NS10device_ptrIlEESC_NS0_19identity_decomposerEEE10hipError_tT1_T2_T3_T4_jRjT5_jjP12ihipStream_tbEUlT_E_NS1_11comp_targetILNS1_3genE2ELNS1_11target_archE906ELNS1_3gpuE6ELNS1_3repE0EEENS1_44radix_sort_block_sort_config_static_selectorELNS0_4arch9wavefront6targetE1EEEvSF_,comdat
.Lfunc_end996:
	.size	_ZN7rocprim17ROCPRIM_400000_NS6detail17trampoline_kernelINS0_13kernel_configILj256ELj4ELj4294967295EEENS1_37radix_sort_block_sort_config_selectorIllEEZNS1_21radix_sort_block_sortIS4_Lb0EPlS8_N6thrust23THRUST_200600_302600_NS10device_ptrIlEESC_NS0_19identity_decomposerEEE10hipError_tT1_T2_T3_T4_jRjT5_jjP12ihipStream_tbEUlT_E_NS1_11comp_targetILNS1_3genE2ELNS1_11target_archE906ELNS1_3gpuE6ELNS1_3repE0EEENS1_44radix_sort_block_sort_config_static_selectorELNS0_4arch9wavefront6targetE1EEEvSF_, .Lfunc_end996-_ZN7rocprim17ROCPRIM_400000_NS6detail17trampoline_kernelINS0_13kernel_configILj256ELj4ELj4294967295EEENS1_37radix_sort_block_sort_config_selectorIllEEZNS1_21radix_sort_block_sortIS4_Lb0EPlS8_N6thrust23THRUST_200600_302600_NS10device_ptrIlEESC_NS0_19identity_decomposerEEE10hipError_tT1_T2_T3_T4_jRjT5_jjP12ihipStream_tbEUlT_E_NS1_11comp_targetILNS1_3genE2ELNS1_11target_archE906ELNS1_3gpuE6ELNS1_3repE0EEENS1_44radix_sort_block_sort_config_static_selectorELNS0_4arch9wavefront6targetE1EEEvSF_
                                        ; -- End function
	.section	.AMDGPU.csdata,"",@progbits
; Kernel info:
; codeLenInByte = 0
; NumSgprs: 4
; NumVgprs: 0
; NumAgprs: 0
; TotalNumVgprs: 0
; ScratchSize: 0
; MemoryBound: 0
; FloatMode: 240
; IeeeMode: 1
; LDSByteSize: 0 bytes/workgroup (compile time only)
; SGPRBlocks: 0
; VGPRBlocks: 0
; NumSGPRsForWavesPerEU: 4
; NumVGPRsForWavesPerEU: 1
; AccumOffset: 4
; Occupancy: 8
; WaveLimiterHint : 0
; COMPUTE_PGM_RSRC2:SCRATCH_EN: 0
; COMPUTE_PGM_RSRC2:USER_SGPR: 6
; COMPUTE_PGM_RSRC2:TRAP_HANDLER: 0
; COMPUTE_PGM_RSRC2:TGID_X_EN: 1
; COMPUTE_PGM_RSRC2:TGID_Y_EN: 0
; COMPUTE_PGM_RSRC2:TGID_Z_EN: 0
; COMPUTE_PGM_RSRC2:TIDIG_COMP_CNT: 0
; COMPUTE_PGM_RSRC3_GFX90A:ACCUM_OFFSET: 0
; COMPUTE_PGM_RSRC3_GFX90A:TG_SPLIT: 0
	.section	.text._ZN7rocprim17ROCPRIM_400000_NS6detail17trampoline_kernelINS0_13kernel_configILj256ELj4ELj4294967295EEENS1_37radix_sort_block_sort_config_selectorIllEEZNS1_21radix_sort_block_sortIS4_Lb0EPlS8_N6thrust23THRUST_200600_302600_NS10device_ptrIlEESC_NS0_19identity_decomposerEEE10hipError_tT1_T2_T3_T4_jRjT5_jjP12ihipStream_tbEUlT_E_NS1_11comp_targetILNS1_3genE10ELNS1_11target_archE1201ELNS1_3gpuE5ELNS1_3repE0EEENS1_44radix_sort_block_sort_config_static_selectorELNS0_4arch9wavefront6targetE1EEEvSF_,"axG",@progbits,_ZN7rocprim17ROCPRIM_400000_NS6detail17trampoline_kernelINS0_13kernel_configILj256ELj4ELj4294967295EEENS1_37radix_sort_block_sort_config_selectorIllEEZNS1_21radix_sort_block_sortIS4_Lb0EPlS8_N6thrust23THRUST_200600_302600_NS10device_ptrIlEESC_NS0_19identity_decomposerEEE10hipError_tT1_T2_T3_T4_jRjT5_jjP12ihipStream_tbEUlT_E_NS1_11comp_targetILNS1_3genE10ELNS1_11target_archE1201ELNS1_3gpuE5ELNS1_3repE0EEENS1_44radix_sort_block_sort_config_static_selectorELNS0_4arch9wavefront6targetE1EEEvSF_,comdat
	.protected	_ZN7rocprim17ROCPRIM_400000_NS6detail17trampoline_kernelINS0_13kernel_configILj256ELj4ELj4294967295EEENS1_37radix_sort_block_sort_config_selectorIllEEZNS1_21radix_sort_block_sortIS4_Lb0EPlS8_N6thrust23THRUST_200600_302600_NS10device_ptrIlEESC_NS0_19identity_decomposerEEE10hipError_tT1_T2_T3_T4_jRjT5_jjP12ihipStream_tbEUlT_E_NS1_11comp_targetILNS1_3genE10ELNS1_11target_archE1201ELNS1_3gpuE5ELNS1_3repE0EEENS1_44radix_sort_block_sort_config_static_selectorELNS0_4arch9wavefront6targetE1EEEvSF_ ; -- Begin function _ZN7rocprim17ROCPRIM_400000_NS6detail17trampoline_kernelINS0_13kernel_configILj256ELj4ELj4294967295EEENS1_37radix_sort_block_sort_config_selectorIllEEZNS1_21radix_sort_block_sortIS4_Lb0EPlS8_N6thrust23THRUST_200600_302600_NS10device_ptrIlEESC_NS0_19identity_decomposerEEE10hipError_tT1_T2_T3_T4_jRjT5_jjP12ihipStream_tbEUlT_E_NS1_11comp_targetILNS1_3genE10ELNS1_11target_archE1201ELNS1_3gpuE5ELNS1_3repE0EEENS1_44radix_sort_block_sort_config_static_selectorELNS0_4arch9wavefront6targetE1EEEvSF_
	.globl	_ZN7rocprim17ROCPRIM_400000_NS6detail17trampoline_kernelINS0_13kernel_configILj256ELj4ELj4294967295EEENS1_37radix_sort_block_sort_config_selectorIllEEZNS1_21radix_sort_block_sortIS4_Lb0EPlS8_N6thrust23THRUST_200600_302600_NS10device_ptrIlEESC_NS0_19identity_decomposerEEE10hipError_tT1_T2_T3_T4_jRjT5_jjP12ihipStream_tbEUlT_E_NS1_11comp_targetILNS1_3genE10ELNS1_11target_archE1201ELNS1_3gpuE5ELNS1_3repE0EEENS1_44radix_sort_block_sort_config_static_selectorELNS0_4arch9wavefront6targetE1EEEvSF_
	.p2align	8
	.type	_ZN7rocprim17ROCPRIM_400000_NS6detail17trampoline_kernelINS0_13kernel_configILj256ELj4ELj4294967295EEENS1_37radix_sort_block_sort_config_selectorIllEEZNS1_21radix_sort_block_sortIS4_Lb0EPlS8_N6thrust23THRUST_200600_302600_NS10device_ptrIlEESC_NS0_19identity_decomposerEEE10hipError_tT1_T2_T3_T4_jRjT5_jjP12ihipStream_tbEUlT_E_NS1_11comp_targetILNS1_3genE10ELNS1_11target_archE1201ELNS1_3gpuE5ELNS1_3repE0EEENS1_44radix_sort_block_sort_config_static_selectorELNS0_4arch9wavefront6targetE1EEEvSF_,@function
_ZN7rocprim17ROCPRIM_400000_NS6detail17trampoline_kernelINS0_13kernel_configILj256ELj4ELj4294967295EEENS1_37radix_sort_block_sort_config_selectorIllEEZNS1_21radix_sort_block_sortIS4_Lb0EPlS8_N6thrust23THRUST_200600_302600_NS10device_ptrIlEESC_NS0_19identity_decomposerEEE10hipError_tT1_T2_T3_T4_jRjT5_jjP12ihipStream_tbEUlT_E_NS1_11comp_targetILNS1_3genE10ELNS1_11target_archE1201ELNS1_3gpuE5ELNS1_3repE0EEENS1_44radix_sort_block_sort_config_static_selectorELNS0_4arch9wavefront6targetE1EEEvSF_: ; @_ZN7rocprim17ROCPRIM_400000_NS6detail17trampoline_kernelINS0_13kernel_configILj256ELj4ELj4294967295EEENS1_37radix_sort_block_sort_config_selectorIllEEZNS1_21radix_sort_block_sortIS4_Lb0EPlS8_N6thrust23THRUST_200600_302600_NS10device_ptrIlEESC_NS0_19identity_decomposerEEE10hipError_tT1_T2_T3_T4_jRjT5_jjP12ihipStream_tbEUlT_E_NS1_11comp_targetILNS1_3genE10ELNS1_11target_archE1201ELNS1_3gpuE5ELNS1_3repE0EEENS1_44radix_sort_block_sort_config_static_selectorELNS0_4arch9wavefront6targetE1EEEvSF_
; %bb.0:
	.section	.rodata,"a",@progbits
	.p2align	6, 0x0
	.amdhsa_kernel _ZN7rocprim17ROCPRIM_400000_NS6detail17trampoline_kernelINS0_13kernel_configILj256ELj4ELj4294967295EEENS1_37radix_sort_block_sort_config_selectorIllEEZNS1_21radix_sort_block_sortIS4_Lb0EPlS8_N6thrust23THRUST_200600_302600_NS10device_ptrIlEESC_NS0_19identity_decomposerEEE10hipError_tT1_T2_T3_T4_jRjT5_jjP12ihipStream_tbEUlT_E_NS1_11comp_targetILNS1_3genE10ELNS1_11target_archE1201ELNS1_3gpuE5ELNS1_3repE0EEENS1_44radix_sort_block_sort_config_static_selectorELNS0_4arch9wavefront6targetE1EEEvSF_
		.amdhsa_group_segment_fixed_size 0
		.amdhsa_private_segment_fixed_size 0
		.amdhsa_kernarg_size 48
		.amdhsa_user_sgpr_count 6
		.amdhsa_user_sgpr_private_segment_buffer 1
		.amdhsa_user_sgpr_dispatch_ptr 0
		.amdhsa_user_sgpr_queue_ptr 0
		.amdhsa_user_sgpr_kernarg_segment_ptr 1
		.amdhsa_user_sgpr_dispatch_id 0
		.amdhsa_user_sgpr_flat_scratch_init 0
		.amdhsa_user_sgpr_kernarg_preload_length 0
		.amdhsa_user_sgpr_kernarg_preload_offset 0
		.amdhsa_user_sgpr_private_segment_size 0
		.amdhsa_uses_dynamic_stack 0
		.amdhsa_system_sgpr_private_segment_wavefront_offset 0
		.amdhsa_system_sgpr_workgroup_id_x 1
		.amdhsa_system_sgpr_workgroup_id_y 0
		.amdhsa_system_sgpr_workgroup_id_z 0
		.amdhsa_system_sgpr_workgroup_info 0
		.amdhsa_system_vgpr_workitem_id 0
		.amdhsa_next_free_vgpr 1
		.amdhsa_next_free_sgpr 0
		.amdhsa_accum_offset 4
		.amdhsa_reserve_vcc 0
		.amdhsa_reserve_flat_scratch 0
		.amdhsa_float_round_mode_32 0
		.amdhsa_float_round_mode_16_64 0
		.amdhsa_float_denorm_mode_32 3
		.amdhsa_float_denorm_mode_16_64 3
		.amdhsa_dx10_clamp 1
		.amdhsa_ieee_mode 1
		.amdhsa_fp16_overflow 0
		.amdhsa_tg_split 0
		.amdhsa_exception_fp_ieee_invalid_op 0
		.amdhsa_exception_fp_denorm_src 0
		.amdhsa_exception_fp_ieee_div_zero 0
		.amdhsa_exception_fp_ieee_overflow 0
		.amdhsa_exception_fp_ieee_underflow 0
		.amdhsa_exception_fp_ieee_inexact 0
		.amdhsa_exception_int_div_zero 0
	.end_amdhsa_kernel
	.section	.text._ZN7rocprim17ROCPRIM_400000_NS6detail17trampoline_kernelINS0_13kernel_configILj256ELj4ELj4294967295EEENS1_37radix_sort_block_sort_config_selectorIllEEZNS1_21radix_sort_block_sortIS4_Lb0EPlS8_N6thrust23THRUST_200600_302600_NS10device_ptrIlEESC_NS0_19identity_decomposerEEE10hipError_tT1_T2_T3_T4_jRjT5_jjP12ihipStream_tbEUlT_E_NS1_11comp_targetILNS1_3genE10ELNS1_11target_archE1201ELNS1_3gpuE5ELNS1_3repE0EEENS1_44radix_sort_block_sort_config_static_selectorELNS0_4arch9wavefront6targetE1EEEvSF_,"axG",@progbits,_ZN7rocprim17ROCPRIM_400000_NS6detail17trampoline_kernelINS0_13kernel_configILj256ELj4ELj4294967295EEENS1_37radix_sort_block_sort_config_selectorIllEEZNS1_21radix_sort_block_sortIS4_Lb0EPlS8_N6thrust23THRUST_200600_302600_NS10device_ptrIlEESC_NS0_19identity_decomposerEEE10hipError_tT1_T2_T3_T4_jRjT5_jjP12ihipStream_tbEUlT_E_NS1_11comp_targetILNS1_3genE10ELNS1_11target_archE1201ELNS1_3gpuE5ELNS1_3repE0EEENS1_44radix_sort_block_sort_config_static_selectorELNS0_4arch9wavefront6targetE1EEEvSF_,comdat
.Lfunc_end997:
	.size	_ZN7rocprim17ROCPRIM_400000_NS6detail17trampoline_kernelINS0_13kernel_configILj256ELj4ELj4294967295EEENS1_37radix_sort_block_sort_config_selectorIllEEZNS1_21radix_sort_block_sortIS4_Lb0EPlS8_N6thrust23THRUST_200600_302600_NS10device_ptrIlEESC_NS0_19identity_decomposerEEE10hipError_tT1_T2_T3_T4_jRjT5_jjP12ihipStream_tbEUlT_E_NS1_11comp_targetILNS1_3genE10ELNS1_11target_archE1201ELNS1_3gpuE5ELNS1_3repE0EEENS1_44radix_sort_block_sort_config_static_selectorELNS0_4arch9wavefront6targetE1EEEvSF_, .Lfunc_end997-_ZN7rocprim17ROCPRIM_400000_NS6detail17trampoline_kernelINS0_13kernel_configILj256ELj4ELj4294967295EEENS1_37radix_sort_block_sort_config_selectorIllEEZNS1_21radix_sort_block_sortIS4_Lb0EPlS8_N6thrust23THRUST_200600_302600_NS10device_ptrIlEESC_NS0_19identity_decomposerEEE10hipError_tT1_T2_T3_T4_jRjT5_jjP12ihipStream_tbEUlT_E_NS1_11comp_targetILNS1_3genE10ELNS1_11target_archE1201ELNS1_3gpuE5ELNS1_3repE0EEENS1_44radix_sort_block_sort_config_static_selectorELNS0_4arch9wavefront6targetE1EEEvSF_
                                        ; -- End function
	.section	.AMDGPU.csdata,"",@progbits
; Kernel info:
; codeLenInByte = 0
; NumSgprs: 4
; NumVgprs: 0
; NumAgprs: 0
; TotalNumVgprs: 0
; ScratchSize: 0
; MemoryBound: 0
; FloatMode: 240
; IeeeMode: 1
; LDSByteSize: 0 bytes/workgroup (compile time only)
; SGPRBlocks: 0
; VGPRBlocks: 0
; NumSGPRsForWavesPerEU: 4
; NumVGPRsForWavesPerEU: 1
; AccumOffset: 4
; Occupancy: 8
; WaveLimiterHint : 0
; COMPUTE_PGM_RSRC2:SCRATCH_EN: 0
; COMPUTE_PGM_RSRC2:USER_SGPR: 6
; COMPUTE_PGM_RSRC2:TRAP_HANDLER: 0
; COMPUTE_PGM_RSRC2:TGID_X_EN: 1
; COMPUTE_PGM_RSRC2:TGID_Y_EN: 0
; COMPUTE_PGM_RSRC2:TGID_Z_EN: 0
; COMPUTE_PGM_RSRC2:TIDIG_COMP_CNT: 0
; COMPUTE_PGM_RSRC3_GFX90A:ACCUM_OFFSET: 0
; COMPUTE_PGM_RSRC3_GFX90A:TG_SPLIT: 0
	.section	.text._ZN7rocprim17ROCPRIM_400000_NS6detail17trampoline_kernelINS0_13kernel_configILj256ELj4ELj4294967295EEENS1_37radix_sort_block_sort_config_selectorIllEEZNS1_21radix_sort_block_sortIS4_Lb0EPlS8_N6thrust23THRUST_200600_302600_NS10device_ptrIlEESC_NS0_19identity_decomposerEEE10hipError_tT1_T2_T3_T4_jRjT5_jjP12ihipStream_tbEUlT_E_NS1_11comp_targetILNS1_3genE10ELNS1_11target_archE1200ELNS1_3gpuE4ELNS1_3repE0EEENS1_44radix_sort_block_sort_config_static_selectorELNS0_4arch9wavefront6targetE1EEEvSF_,"axG",@progbits,_ZN7rocprim17ROCPRIM_400000_NS6detail17trampoline_kernelINS0_13kernel_configILj256ELj4ELj4294967295EEENS1_37radix_sort_block_sort_config_selectorIllEEZNS1_21radix_sort_block_sortIS4_Lb0EPlS8_N6thrust23THRUST_200600_302600_NS10device_ptrIlEESC_NS0_19identity_decomposerEEE10hipError_tT1_T2_T3_T4_jRjT5_jjP12ihipStream_tbEUlT_E_NS1_11comp_targetILNS1_3genE10ELNS1_11target_archE1200ELNS1_3gpuE4ELNS1_3repE0EEENS1_44radix_sort_block_sort_config_static_selectorELNS0_4arch9wavefront6targetE1EEEvSF_,comdat
	.protected	_ZN7rocprim17ROCPRIM_400000_NS6detail17trampoline_kernelINS0_13kernel_configILj256ELj4ELj4294967295EEENS1_37radix_sort_block_sort_config_selectorIllEEZNS1_21radix_sort_block_sortIS4_Lb0EPlS8_N6thrust23THRUST_200600_302600_NS10device_ptrIlEESC_NS0_19identity_decomposerEEE10hipError_tT1_T2_T3_T4_jRjT5_jjP12ihipStream_tbEUlT_E_NS1_11comp_targetILNS1_3genE10ELNS1_11target_archE1200ELNS1_3gpuE4ELNS1_3repE0EEENS1_44radix_sort_block_sort_config_static_selectorELNS0_4arch9wavefront6targetE1EEEvSF_ ; -- Begin function _ZN7rocprim17ROCPRIM_400000_NS6detail17trampoline_kernelINS0_13kernel_configILj256ELj4ELj4294967295EEENS1_37radix_sort_block_sort_config_selectorIllEEZNS1_21radix_sort_block_sortIS4_Lb0EPlS8_N6thrust23THRUST_200600_302600_NS10device_ptrIlEESC_NS0_19identity_decomposerEEE10hipError_tT1_T2_T3_T4_jRjT5_jjP12ihipStream_tbEUlT_E_NS1_11comp_targetILNS1_3genE10ELNS1_11target_archE1200ELNS1_3gpuE4ELNS1_3repE0EEENS1_44radix_sort_block_sort_config_static_selectorELNS0_4arch9wavefront6targetE1EEEvSF_
	.globl	_ZN7rocprim17ROCPRIM_400000_NS6detail17trampoline_kernelINS0_13kernel_configILj256ELj4ELj4294967295EEENS1_37radix_sort_block_sort_config_selectorIllEEZNS1_21radix_sort_block_sortIS4_Lb0EPlS8_N6thrust23THRUST_200600_302600_NS10device_ptrIlEESC_NS0_19identity_decomposerEEE10hipError_tT1_T2_T3_T4_jRjT5_jjP12ihipStream_tbEUlT_E_NS1_11comp_targetILNS1_3genE10ELNS1_11target_archE1200ELNS1_3gpuE4ELNS1_3repE0EEENS1_44radix_sort_block_sort_config_static_selectorELNS0_4arch9wavefront6targetE1EEEvSF_
	.p2align	8
	.type	_ZN7rocprim17ROCPRIM_400000_NS6detail17trampoline_kernelINS0_13kernel_configILj256ELj4ELj4294967295EEENS1_37radix_sort_block_sort_config_selectorIllEEZNS1_21radix_sort_block_sortIS4_Lb0EPlS8_N6thrust23THRUST_200600_302600_NS10device_ptrIlEESC_NS0_19identity_decomposerEEE10hipError_tT1_T2_T3_T4_jRjT5_jjP12ihipStream_tbEUlT_E_NS1_11comp_targetILNS1_3genE10ELNS1_11target_archE1200ELNS1_3gpuE4ELNS1_3repE0EEENS1_44radix_sort_block_sort_config_static_selectorELNS0_4arch9wavefront6targetE1EEEvSF_,@function
_ZN7rocprim17ROCPRIM_400000_NS6detail17trampoline_kernelINS0_13kernel_configILj256ELj4ELj4294967295EEENS1_37radix_sort_block_sort_config_selectorIllEEZNS1_21radix_sort_block_sortIS4_Lb0EPlS8_N6thrust23THRUST_200600_302600_NS10device_ptrIlEESC_NS0_19identity_decomposerEEE10hipError_tT1_T2_T3_T4_jRjT5_jjP12ihipStream_tbEUlT_E_NS1_11comp_targetILNS1_3genE10ELNS1_11target_archE1200ELNS1_3gpuE4ELNS1_3repE0EEENS1_44radix_sort_block_sort_config_static_selectorELNS0_4arch9wavefront6targetE1EEEvSF_: ; @_ZN7rocprim17ROCPRIM_400000_NS6detail17trampoline_kernelINS0_13kernel_configILj256ELj4ELj4294967295EEENS1_37radix_sort_block_sort_config_selectorIllEEZNS1_21radix_sort_block_sortIS4_Lb0EPlS8_N6thrust23THRUST_200600_302600_NS10device_ptrIlEESC_NS0_19identity_decomposerEEE10hipError_tT1_T2_T3_T4_jRjT5_jjP12ihipStream_tbEUlT_E_NS1_11comp_targetILNS1_3genE10ELNS1_11target_archE1200ELNS1_3gpuE4ELNS1_3repE0EEENS1_44radix_sort_block_sort_config_static_selectorELNS0_4arch9wavefront6targetE1EEEvSF_
; %bb.0:
	.section	.rodata,"a",@progbits
	.p2align	6, 0x0
	.amdhsa_kernel _ZN7rocprim17ROCPRIM_400000_NS6detail17trampoline_kernelINS0_13kernel_configILj256ELj4ELj4294967295EEENS1_37radix_sort_block_sort_config_selectorIllEEZNS1_21radix_sort_block_sortIS4_Lb0EPlS8_N6thrust23THRUST_200600_302600_NS10device_ptrIlEESC_NS0_19identity_decomposerEEE10hipError_tT1_T2_T3_T4_jRjT5_jjP12ihipStream_tbEUlT_E_NS1_11comp_targetILNS1_3genE10ELNS1_11target_archE1200ELNS1_3gpuE4ELNS1_3repE0EEENS1_44radix_sort_block_sort_config_static_selectorELNS0_4arch9wavefront6targetE1EEEvSF_
		.amdhsa_group_segment_fixed_size 0
		.amdhsa_private_segment_fixed_size 0
		.amdhsa_kernarg_size 48
		.amdhsa_user_sgpr_count 6
		.amdhsa_user_sgpr_private_segment_buffer 1
		.amdhsa_user_sgpr_dispatch_ptr 0
		.amdhsa_user_sgpr_queue_ptr 0
		.amdhsa_user_sgpr_kernarg_segment_ptr 1
		.amdhsa_user_sgpr_dispatch_id 0
		.amdhsa_user_sgpr_flat_scratch_init 0
		.amdhsa_user_sgpr_kernarg_preload_length 0
		.amdhsa_user_sgpr_kernarg_preload_offset 0
		.amdhsa_user_sgpr_private_segment_size 0
		.amdhsa_uses_dynamic_stack 0
		.amdhsa_system_sgpr_private_segment_wavefront_offset 0
		.amdhsa_system_sgpr_workgroup_id_x 1
		.amdhsa_system_sgpr_workgroup_id_y 0
		.amdhsa_system_sgpr_workgroup_id_z 0
		.amdhsa_system_sgpr_workgroup_info 0
		.amdhsa_system_vgpr_workitem_id 0
		.amdhsa_next_free_vgpr 1
		.amdhsa_next_free_sgpr 0
		.amdhsa_accum_offset 4
		.amdhsa_reserve_vcc 0
		.amdhsa_reserve_flat_scratch 0
		.amdhsa_float_round_mode_32 0
		.amdhsa_float_round_mode_16_64 0
		.amdhsa_float_denorm_mode_32 3
		.amdhsa_float_denorm_mode_16_64 3
		.amdhsa_dx10_clamp 1
		.amdhsa_ieee_mode 1
		.amdhsa_fp16_overflow 0
		.amdhsa_tg_split 0
		.amdhsa_exception_fp_ieee_invalid_op 0
		.amdhsa_exception_fp_denorm_src 0
		.amdhsa_exception_fp_ieee_div_zero 0
		.amdhsa_exception_fp_ieee_overflow 0
		.amdhsa_exception_fp_ieee_underflow 0
		.amdhsa_exception_fp_ieee_inexact 0
		.amdhsa_exception_int_div_zero 0
	.end_amdhsa_kernel
	.section	.text._ZN7rocprim17ROCPRIM_400000_NS6detail17trampoline_kernelINS0_13kernel_configILj256ELj4ELj4294967295EEENS1_37radix_sort_block_sort_config_selectorIllEEZNS1_21radix_sort_block_sortIS4_Lb0EPlS8_N6thrust23THRUST_200600_302600_NS10device_ptrIlEESC_NS0_19identity_decomposerEEE10hipError_tT1_T2_T3_T4_jRjT5_jjP12ihipStream_tbEUlT_E_NS1_11comp_targetILNS1_3genE10ELNS1_11target_archE1200ELNS1_3gpuE4ELNS1_3repE0EEENS1_44radix_sort_block_sort_config_static_selectorELNS0_4arch9wavefront6targetE1EEEvSF_,"axG",@progbits,_ZN7rocprim17ROCPRIM_400000_NS6detail17trampoline_kernelINS0_13kernel_configILj256ELj4ELj4294967295EEENS1_37radix_sort_block_sort_config_selectorIllEEZNS1_21radix_sort_block_sortIS4_Lb0EPlS8_N6thrust23THRUST_200600_302600_NS10device_ptrIlEESC_NS0_19identity_decomposerEEE10hipError_tT1_T2_T3_T4_jRjT5_jjP12ihipStream_tbEUlT_E_NS1_11comp_targetILNS1_3genE10ELNS1_11target_archE1200ELNS1_3gpuE4ELNS1_3repE0EEENS1_44radix_sort_block_sort_config_static_selectorELNS0_4arch9wavefront6targetE1EEEvSF_,comdat
.Lfunc_end998:
	.size	_ZN7rocprim17ROCPRIM_400000_NS6detail17trampoline_kernelINS0_13kernel_configILj256ELj4ELj4294967295EEENS1_37radix_sort_block_sort_config_selectorIllEEZNS1_21radix_sort_block_sortIS4_Lb0EPlS8_N6thrust23THRUST_200600_302600_NS10device_ptrIlEESC_NS0_19identity_decomposerEEE10hipError_tT1_T2_T3_T4_jRjT5_jjP12ihipStream_tbEUlT_E_NS1_11comp_targetILNS1_3genE10ELNS1_11target_archE1200ELNS1_3gpuE4ELNS1_3repE0EEENS1_44radix_sort_block_sort_config_static_selectorELNS0_4arch9wavefront6targetE1EEEvSF_, .Lfunc_end998-_ZN7rocprim17ROCPRIM_400000_NS6detail17trampoline_kernelINS0_13kernel_configILj256ELj4ELj4294967295EEENS1_37radix_sort_block_sort_config_selectorIllEEZNS1_21radix_sort_block_sortIS4_Lb0EPlS8_N6thrust23THRUST_200600_302600_NS10device_ptrIlEESC_NS0_19identity_decomposerEEE10hipError_tT1_T2_T3_T4_jRjT5_jjP12ihipStream_tbEUlT_E_NS1_11comp_targetILNS1_3genE10ELNS1_11target_archE1200ELNS1_3gpuE4ELNS1_3repE0EEENS1_44radix_sort_block_sort_config_static_selectorELNS0_4arch9wavefront6targetE1EEEvSF_
                                        ; -- End function
	.section	.AMDGPU.csdata,"",@progbits
; Kernel info:
; codeLenInByte = 0
; NumSgprs: 4
; NumVgprs: 0
; NumAgprs: 0
; TotalNumVgprs: 0
; ScratchSize: 0
; MemoryBound: 0
; FloatMode: 240
; IeeeMode: 1
; LDSByteSize: 0 bytes/workgroup (compile time only)
; SGPRBlocks: 0
; VGPRBlocks: 0
; NumSGPRsForWavesPerEU: 4
; NumVGPRsForWavesPerEU: 1
; AccumOffset: 4
; Occupancy: 8
; WaveLimiterHint : 0
; COMPUTE_PGM_RSRC2:SCRATCH_EN: 0
; COMPUTE_PGM_RSRC2:USER_SGPR: 6
; COMPUTE_PGM_RSRC2:TRAP_HANDLER: 0
; COMPUTE_PGM_RSRC2:TGID_X_EN: 1
; COMPUTE_PGM_RSRC2:TGID_Y_EN: 0
; COMPUTE_PGM_RSRC2:TGID_Z_EN: 0
; COMPUTE_PGM_RSRC2:TIDIG_COMP_CNT: 0
; COMPUTE_PGM_RSRC3_GFX90A:ACCUM_OFFSET: 0
; COMPUTE_PGM_RSRC3_GFX90A:TG_SPLIT: 0
	.section	.text._ZN7rocprim17ROCPRIM_400000_NS6detail17trampoline_kernelINS0_13kernel_configILj256ELj4ELj4294967295EEENS1_37radix_sort_block_sort_config_selectorIllEEZNS1_21radix_sort_block_sortIS4_Lb0EPlS8_N6thrust23THRUST_200600_302600_NS10device_ptrIlEESC_NS0_19identity_decomposerEEE10hipError_tT1_T2_T3_T4_jRjT5_jjP12ihipStream_tbEUlT_E_NS1_11comp_targetILNS1_3genE9ELNS1_11target_archE1100ELNS1_3gpuE3ELNS1_3repE0EEENS1_44radix_sort_block_sort_config_static_selectorELNS0_4arch9wavefront6targetE1EEEvSF_,"axG",@progbits,_ZN7rocprim17ROCPRIM_400000_NS6detail17trampoline_kernelINS0_13kernel_configILj256ELj4ELj4294967295EEENS1_37radix_sort_block_sort_config_selectorIllEEZNS1_21radix_sort_block_sortIS4_Lb0EPlS8_N6thrust23THRUST_200600_302600_NS10device_ptrIlEESC_NS0_19identity_decomposerEEE10hipError_tT1_T2_T3_T4_jRjT5_jjP12ihipStream_tbEUlT_E_NS1_11comp_targetILNS1_3genE9ELNS1_11target_archE1100ELNS1_3gpuE3ELNS1_3repE0EEENS1_44radix_sort_block_sort_config_static_selectorELNS0_4arch9wavefront6targetE1EEEvSF_,comdat
	.protected	_ZN7rocprim17ROCPRIM_400000_NS6detail17trampoline_kernelINS0_13kernel_configILj256ELj4ELj4294967295EEENS1_37radix_sort_block_sort_config_selectorIllEEZNS1_21radix_sort_block_sortIS4_Lb0EPlS8_N6thrust23THRUST_200600_302600_NS10device_ptrIlEESC_NS0_19identity_decomposerEEE10hipError_tT1_T2_T3_T4_jRjT5_jjP12ihipStream_tbEUlT_E_NS1_11comp_targetILNS1_3genE9ELNS1_11target_archE1100ELNS1_3gpuE3ELNS1_3repE0EEENS1_44radix_sort_block_sort_config_static_selectorELNS0_4arch9wavefront6targetE1EEEvSF_ ; -- Begin function _ZN7rocprim17ROCPRIM_400000_NS6detail17trampoline_kernelINS0_13kernel_configILj256ELj4ELj4294967295EEENS1_37radix_sort_block_sort_config_selectorIllEEZNS1_21radix_sort_block_sortIS4_Lb0EPlS8_N6thrust23THRUST_200600_302600_NS10device_ptrIlEESC_NS0_19identity_decomposerEEE10hipError_tT1_T2_T3_T4_jRjT5_jjP12ihipStream_tbEUlT_E_NS1_11comp_targetILNS1_3genE9ELNS1_11target_archE1100ELNS1_3gpuE3ELNS1_3repE0EEENS1_44radix_sort_block_sort_config_static_selectorELNS0_4arch9wavefront6targetE1EEEvSF_
	.globl	_ZN7rocprim17ROCPRIM_400000_NS6detail17trampoline_kernelINS0_13kernel_configILj256ELj4ELj4294967295EEENS1_37radix_sort_block_sort_config_selectorIllEEZNS1_21radix_sort_block_sortIS4_Lb0EPlS8_N6thrust23THRUST_200600_302600_NS10device_ptrIlEESC_NS0_19identity_decomposerEEE10hipError_tT1_T2_T3_T4_jRjT5_jjP12ihipStream_tbEUlT_E_NS1_11comp_targetILNS1_3genE9ELNS1_11target_archE1100ELNS1_3gpuE3ELNS1_3repE0EEENS1_44radix_sort_block_sort_config_static_selectorELNS0_4arch9wavefront6targetE1EEEvSF_
	.p2align	8
	.type	_ZN7rocprim17ROCPRIM_400000_NS6detail17trampoline_kernelINS0_13kernel_configILj256ELj4ELj4294967295EEENS1_37radix_sort_block_sort_config_selectorIllEEZNS1_21radix_sort_block_sortIS4_Lb0EPlS8_N6thrust23THRUST_200600_302600_NS10device_ptrIlEESC_NS0_19identity_decomposerEEE10hipError_tT1_T2_T3_T4_jRjT5_jjP12ihipStream_tbEUlT_E_NS1_11comp_targetILNS1_3genE9ELNS1_11target_archE1100ELNS1_3gpuE3ELNS1_3repE0EEENS1_44radix_sort_block_sort_config_static_selectorELNS0_4arch9wavefront6targetE1EEEvSF_,@function
_ZN7rocprim17ROCPRIM_400000_NS6detail17trampoline_kernelINS0_13kernel_configILj256ELj4ELj4294967295EEENS1_37radix_sort_block_sort_config_selectorIllEEZNS1_21radix_sort_block_sortIS4_Lb0EPlS8_N6thrust23THRUST_200600_302600_NS10device_ptrIlEESC_NS0_19identity_decomposerEEE10hipError_tT1_T2_T3_T4_jRjT5_jjP12ihipStream_tbEUlT_E_NS1_11comp_targetILNS1_3genE9ELNS1_11target_archE1100ELNS1_3gpuE3ELNS1_3repE0EEENS1_44radix_sort_block_sort_config_static_selectorELNS0_4arch9wavefront6targetE1EEEvSF_: ; @_ZN7rocprim17ROCPRIM_400000_NS6detail17trampoline_kernelINS0_13kernel_configILj256ELj4ELj4294967295EEENS1_37radix_sort_block_sort_config_selectorIllEEZNS1_21radix_sort_block_sortIS4_Lb0EPlS8_N6thrust23THRUST_200600_302600_NS10device_ptrIlEESC_NS0_19identity_decomposerEEE10hipError_tT1_T2_T3_T4_jRjT5_jjP12ihipStream_tbEUlT_E_NS1_11comp_targetILNS1_3genE9ELNS1_11target_archE1100ELNS1_3gpuE3ELNS1_3repE0EEENS1_44radix_sort_block_sort_config_static_selectorELNS0_4arch9wavefront6targetE1EEEvSF_
; %bb.0:
	.section	.rodata,"a",@progbits
	.p2align	6, 0x0
	.amdhsa_kernel _ZN7rocprim17ROCPRIM_400000_NS6detail17trampoline_kernelINS0_13kernel_configILj256ELj4ELj4294967295EEENS1_37radix_sort_block_sort_config_selectorIllEEZNS1_21radix_sort_block_sortIS4_Lb0EPlS8_N6thrust23THRUST_200600_302600_NS10device_ptrIlEESC_NS0_19identity_decomposerEEE10hipError_tT1_T2_T3_T4_jRjT5_jjP12ihipStream_tbEUlT_E_NS1_11comp_targetILNS1_3genE9ELNS1_11target_archE1100ELNS1_3gpuE3ELNS1_3repE0EEENS1_44radix_sort_block_sort_config_static_selectorELNS0_4arch9wavefront6targetE1EEEvSF_
		.amdhsa_group_segment_fixed_size 0
		.amdhsa_private_segment_fixed_size 0
		.amdhsa_kernarg_size 48
		.amdhsa_user_sgpr_count 6
		.amdhsa_user_sgpr_private_segment_buffer 1
		.amdhsa_user_sgpr_dispatch_ptr 0
		.amdhsa_user_sgpr_queue_ptr 0
		.amdhsa_user_sgpr_kernarg_segment_ptr 1
		.amdhsa_user_sgpr_dispatch_id 0
		.amdhsa_user_sgpr_flat_scratch_init 0
		.amdhsa_user_sgpr_kernarg_preload_length 0
		.amdhsa_user_sgpr_kernarg_preload_offset 0
		.amdhsa_user_sgpr_private_segment_size 0
		.amdhsa_uses_dynamic_stack 0
		.amdhsa_system_sgpr_private_segment_wavefront_offset 0
		.amdhsa_system_sgpr_workgroup_id_x 1
		.amdhsa_system_sgpr_workgroup_id_y 0
		.amdhsa_system_sgpr_workgroup_id_z 0
		.amdhsa_system_sgpr_workgroup_info 0
		.amdhsa_system_vgpr_workitem_id 0
		.amdhsa_next_free_vgpr 1
		.amdhsa_next_free_sgpr 0
		.amdhsa_accum_offset 4
		.amdhsa_reserve_vcc 0
		.amdhsa_reserve_flat_scratch 0
		.amdhsa_float_round_mode_32 0
		.amdhsa_float_round_mode_16_64 0
		.amdhsa_float_denorm_mode_32 3
		.amdhsa_float_denorm_mode_16_64 3
		.amdhsa_dx10_clamp 1
		.amdhsa_ieee_mode 1
		.amdhsa_fp16_overflow 0
		.amdhsa_tg_split 0
		.amdhsa_exception_fp_ieee_invalid_op 0
		.amdhsa_exception_fp_denorm_src 0
		.amdhsa_exception_fp_ieee_div_zero 0
		.amdhsa_exception_fp_ieee_overflow 0
		.amdhsa_exception_fp_ieee_underflow 0
		.amdhsa_exception_fp_ieee_inexact 0
		.amdhsa_exception_int_div_zero 0
	.end_amdhsa_kernel
	.section	.text._ZN7rocprim17ROCPRIM_400000_NS6detail17trampoline_kernelINS0_13kernel_configILj256ELj4ELj4294967295EEENS1_37radix_sort_block_sort_config_selectorIllEEZNS1_21radix_sort_block_sortIS4_Lb0EPlS8_N6thrust23THRUST_200600_302600_NS10device_ptrIlEESC_NS0_19identity_decomposerEEE10hipError_tT1_T2_T3_T4_jRjT5_jjP12ihipStream_tbEUlT_E_NS1_11comp_targetILNS1_3genE9ELNS1_11target_archE1100ELNS1_3gpuE3ELNS1_3repE0EEENS1_44radix_sort_block_sort_config_static_selectorELNS0_4arch9wavefront6targetE1EEEvSF_,"axG",@progbits,_ZN7rocprim17ROCPRIM_400000_NS6detail17trampoline_kernelINS0_13kernel_configILj256ELj4ELj4294967295EEENS1_37radix_sort_block_sort_config_selectorIllEEZNS1_21radix_sort_block_sortIS4_Lb0EPlS8_N6thrust23THRUST_200600_302600_NS10device_ptrIlEESC_NS0_19identity_decomposerEEE10hipError_tT1_T2_T3_T4_jRjT5_jjP12ihipStream_tbEUlT_E_NS1_11comp_targetILNS1_3genE9ELNS1_11target_archE1100ELNS1_3gpuE3ELNS1_3repE0EEENS1_44radix_sort_block_sort_config_static_selectorELNS0_4arch9wavefront6targetE1EEEvSF_,comdat
.Lfunc_end999:
	.size	_ZN7rocprim17ROCPRIM_400000_NS6detail17trampoline_kernelINS0_13kernel_configILj256ELj4ELj4294967295EEENS1_37radix_sort_block_sort_config_selectorIllEEZNS1_21radix_sort_block_sortIS4_Lb0EPlS8_N6thrust23THRUST_200600_302600_NS10device_ptrIlEESC_NS0_19identity_decomposerEEE10hipError_tT1_T2_T3_T4_jRjT5_jjP12ihipStream_tbEUlT_E_NS1_11comp_targetILNS1_3genE9ELNS1_11target_archE1100ELNS1_3gpuE3ELNS1_3repE0EEENS1_44radix_sort_block_sort_config_static_selectorELNS0_4arch9wavefront6targetE1EEEvSF_, .Lfunc_end999-_ZN7rocprim17ROCPRIM_400000_NS6detail17trampoline_kernelINS0_13kernel_configILj256ELj4ELj4294967295EEENS1_37radix_sort_block_sort_config_selectorIllEEZNS1_21radix_sort_block_sortIS4_Lb0EPlS8_N6thrust23THRUST_200600_302600_NS10device_ptrIlEESC_NS0_19identity_decomposerEEE10hipError_tT1_T2_T3_T4_jRjT5_jjP12ihipStream_tbEUlT_E_NS1_11comp_targetILNS1_3genE9ELNS1_11target_archE1100ELNS1_3gpuE3ELNS1_3repE0EEENS1_44radix_sort_block_sort_config_static_selectorELNS0_4arch9wavefront6targetE1EEEvSF_
                                        ; -- End function
	.section	.AMDGPU.csdata,"",@progbits
; Kernel info:
; codeLenInByte = 0
; NumSgprs: 4
; NumVgprs: 0
; NumAgprs: 0
; TotalNumVgprs: 0
; ScratchSize: 0
; MemoryBound: 0
; FloatMode: 240
; IeeeMode: 1
; LDSByteSize: 0 bytes/workgroup (compile time only)
; SGPRBlocks: 0
; VGPRBlocks: 0
; NumSGPRsForWavesPerEU: 4
; NumVGPRsForWavesPerEU: 1
; AccumOffset: 4
; Occupancy: 8
; WaveLimiterHint : 0
; COMPUTE_PGM_RSRC2:SCRATCH_EN: 0
; COMPUTE_PGM_RSRC2:USER_SGPR: 6
; COMPUTE_PGM_RSRC2:TRAP_HANDLER: 0
; COMPUTE_PGM_RSRC2:TGID_X_EN: 1
; COMPUTE_PGM_RSRC2:TGID_Y_EN: 0
; COMPUTE_PGM_RSRC2:TGID_Z_EN: 0
; COMPUTE_PGM_RSRC2:TIDIG_COMP_CNT: 0
; COMPUTE_PGM_RSRC3_GFX90A:ACCUM_OFFSET: 0
; COMPUTE_PGM_RSRC3_GFX90A:TG_SPLIT: 0
	.section	.text._ZN7rocprim17ROCPRIM_400000_NS6detail17trampoline_kernelINS0_13kernel_configILj256ELj4ELj4294967295EEENS1_37radix_sort_block_sort_config_selectorIllEEZNS1_21radix_sort_block_sortIS4_Lb0EPlS8_N6thrust23THRUST_200600_302600_NS10device_ptrIlEESC_NS0_19identity_decomposerEEE10hipError_tT1_T2_T3_T4_jRjT5_jjP12ihipStream_tbEUlT_E_NS1_11comp_targetILNS1_3genE8ELNS1_11target_archE1030ELNS1_3gpuE2ELNS1_3repE0EEENS1_44radix_sort_block_sort_config_static_selectorELNS0_4arch9wavefront6targetE1EEEvSF_,"axG",@progbits,_ZN7rocprim17ROCPRIM_400000_NS6detail17trampoline_kernelINS0_13kernel_configILj256ELj4ELj4294967295EEENS1_37radix_sort_block_sort_config_selectorIllEEZNS1_21radix_sort_block_sortIS4_Lb0EPlS8_N6thrust23THRUST_200600_302600_NS10device_ptrIlEESC_NS0_19identity_decomposerEEE10hipError_tT1_T2_T3_T4_jRjT5_jjP12ihipStream_tbEUlT_E_NS1_11comp_targetILNS1_3genE8ELNS1_11target_archE1030ELNS1_3gpuE2ELNS1_3repE0EEENS1_44radix_sort_block_sort_config_static_selectorELNS0_4arch9wavefront6targetE1EEEvSF_,comdat
	.protected	_ZN7rocprim17ROCPRIM_400000_NS6detail17trampoline_kernelINS0_13kernel_configILj256ELj4ELj4294967295EEENS1_37radix_sort_block_sort_config_selectorIllEEZNS1_21radix_sort_block_sortIS4_Lb0EPlS8_N6thrust23THRUST_200600_302600_NS10device_ptrIlEESC_NS0_19identity_decomposerEEE10hipError_tT1_T2_T3_T4_jRjT5_jjP12ihipStream_tbEUlT_E_NS1_11comp_targetILNS1_3genE8ELNS1_11target_archE1030ELNS1_3gpuE2ELNS1_3repE0EEENS1_44radix_sort_block_sort_config_static_selectorELNS0_4arch9wavefront6targetE1EEEvSF_ ; -- Begin function _ZN7rocprim17ROCPRIM_400000_NS6detail17trampoline_kernelINS0_13kernel_configILj256ELj4ELj4294967295EEENS1_37radix_sort_block_sort_config_selectorIllEEZNS1_21radix_sort_block_sortIS4_Lb0EPlS8_N6thrust23THRUST_200600_302600_NS10device_ptrIlEESC_NS0_19identity_decomposerEEE10hipError_tT1_T2_T3_T4_jRjT5_jjP12ihipStream_tbEUlT_E_NS1_11comp_targetILNS1_3genE8ELNS1_11target_archE1030ELNS1_3gpuE2ELNS1_3repE0EEENS1_44radix_sort_block_sort_config_static_selectorELNS0_4arch9wavefront6targetE1EEEvSF_
	.globl	_ZN7rocprim17ROCPRIM_400000_NS6detail17trampoline_kernelINS0_13kernel_configILj256ELj4ELj4294967295EEENS1_37radix_sort_block_sort_config_selectorIllEEZNS1_21radix_sort_block_sortIS4_Lb0EPlS8_N6thrust23THRUST_200600_302600_NS10device_ptrIlEESC_NS0_19identity_decomposerEEE10hipError_tT1_T2_T3_T4_jRjT5_jjP12ihipStream_tbEUlT_E_NS1_11comp_targetILNS1_3genE8ELNS1_11target_archE1030ELNS1_3gpuE2ELNS1_3repE0EEENS1_44radix_sort_block_sort_config_static_selectorELNS0_4arch9wavefront6targetE1EEEvSF_
	.p2align	8
	.type	_ZN7rocprim17ROCPRIM_400000_NS6detail17trampoline_kernelINS0_13kernel_configILj256ELj4ELj4294967295EEENS1_37radix_sort_block_sort_config_selectorIllEEZNS1_21radix_sort_block_sortIS4_Lb0EPlS8_N6thrust23THRUST_200600_302600_NS10device_ptrIlEESC_NS0_19identity_decomposerEEE10hipError_tT1_T2_T3_T4_jRjT5_jjP12ihipStream_tbEUlT_E_NS1_11comp_targetILNS1_3genE8ELNS1_11target_archE1030ELNS1_3gpuE2ELNS1_3repE0EEENS1_44radix_sort_block_sort_config_static_selectorELNS0_4arch9wavefront6targetE1EEEvSF_,@function
_ZN7rocprim17ROCPRIM_400000_NS6detail17trampoline_kernelINS0_13kernel_configILj256ELj4ELj4294967295EEENS1_37radix_sort_block_sort_config_selectorIllEEZNS1_21radix_sort_block_sortIS4_Lb0EPlS8_N6thrust23THRUST_200600_302600_NS10device_ptrIlEESC_NS0_19identity_decomposerEEE10hipError_tT1_T2_T3_T4_jRjT5_jjP12ihipStream_tbEUlT_E_NS1_11comp_targetILNS1_3genE8ELNS1_11target_archE1030ELNS1_3gpuE2ELNS1_3repE0EEENS1_44radix_sort_block_sort_config_static_selectorELNS0_4arch9wavefront6targetE1EEEvSF_: ; @_ZN7rocprim17ROCPRIM_400000_NS6detail17trampoline_kernelINS0_13kernel_configILj256ELj4ELj4294967295EEENS1_37radix_sort_block_sort_config_selectorIllEEZNS1_21radix_sort_block_sortIS4_Lb0EPlS8_N6thrust23THRUST_200600_302600_NS10device_ptrIlEESC_NS0_19identity_decomposerEEE10hipError_tT1_T2_T3_T4_jRjT5_jjP12ihipStream_tbEUlT_E_NS1_11comp_targetILNS1_3genE8ELNS1_11target_archE1030ELNS1_3gpuE2ELNS1_3repE0EEENS1_44radix_sort_block_sort_config_static_selectorELNS0_4arch9wavefront6targetE1EEEvSF_
; %bb.0:
	.section	.rodata,"a",@progbits
	.p2align	6, 0x0
	.amdhsa_kernel _ZN7rocprim17ROCPRIM_400000_NS6detail17trampoline_kernelINS0_13kernel_configILj256ELj4ELj4294967295EEENS1_37radix_sort_block_sort_config_selectorIllEEZNS1_21radix_sort_block_sortIS4_Lb0EPlS8_N6thrust23THRUST_200600_302600_NS10device_ptrIlEESC_NS0_19identity_decomposerEEE10hipError_tT1_T2_T3_T4_jRjT5_jjP12ihipStream_tbEUlT_E_NS1_11comp_targetILNS1_3genE8ELNS1_11target_archE1030ELNS1_3gpuE2ELNS1_3repE0EEENS1_44radix_sort_block_sort_config_static_selectorELNS0_4arch9wavefront6targetE1EEEvSF_
		.amdhsa_group_segment_fixed_size 0
		.amdhsa_private_segment_fixed_size 0
		.amdhsa_kernarg_size 48
		.amdhsa_user_sgpr_count 6
		.amdhsa_user_sgpr_private_segment_buffer 1
		.amdhsa_user_sgpr_dispatch_ptr 0
		.amdhsa_user_sgpr_queue_ptr 0
		.amdhsa_user_sgpr_kernarg_segment_ptr 1
		.amdhsa_user_sgpr_dispatch_id 0
		.amdhsa_user_sgpr_flat_scratch_init 0
		.amdhsa_user_sgpr_kernarg_preload_length 0
		.amdhsa_user_sgpr_kernarg_preload_offset 0
		.amdhsa_user_sgpr_private_segment_size 0
		.amdhsa_uses_dynamic_stack 0
		.amdhsa_system_sgpr_private_segment_wavefront_offset 0
		.amdhsa_system_sgpr_workgroup_id_x 1
		.amdhsa_system_sgpr_workgroup_id_y 0
		.amdhsa_system_sgpr_workgroup_id_z 0
		.amdhsa_system_sgpr_workgroup_info 0
		.amdhsa_system_vgpr_workitem_id 0
		.amdhsa_next_free_vgpr 1
		.amdhsa_next_free_sgpr 0
		.amdhsa_accum_offset 4
		.amdhsa_reserve_vcc 0
		.amdhsa_reserve_flat_scratch 0
		.amdhsa_float_round_mode_32 0
		.amdhsa_float_round_mode_16_64 0
		.amdhsa_float_denorm_mode_32 3
		.amdhsa_float_denorm_mode_16_64 3
		.amdhsa_dx10_clamp 1
		.amdhsa_ieee_mode 1
		.amdhsa_fp16_overflow 0
		.amdhsa_tg_split 0
		.amdhsa_exception_fp_ieee_invalid_op 0
		.amdhsa_exception_fp_denorm_src 0
		.amdhsa_exception_fp_ieee_div_zero 0
		.amdhsa_exception_fp_ieee_overflow 0
		.amdhsa_exception_fp_ieee_underflow 0
		.amdhsa_exception_fp_ieee_inexact 0
		.amdhsa_exception_int_div_zero 0
	.end_amdhsa_kernel
	.section	.text._ZN7rocprim17ROCPRIM_400000_NS6detail17trampoline_kernelINS0_13kernel_configILj256ELj4ELj4294967295EEENS1_37radix_sort_block_sort_config_selectorIllEEZNS1_21radix_sort_block_sortIS4_Lb0EPlS8_N6thrust23THRUST_200600_302600_NS10device_ptrIlEESC_NS0_19identity_decomposerEEE10hipError_tT1_T2_T3_T4_jRjT5_jjP12ihipStream_tbEUlT_E_NS1_11comp_targetILNS1_3genE8ELNS1_11target_archE1030ELNS1_3gpuE2ELNS1_3repE0EEENS1_44radix_sort_block_sort_config_static_selectorELNS0_4arch9wavefront6targetE1EEEvSF_,"axG",@progbits,_ZN7rocprim17ROCPRIM_400000_NS6detail17trampoline_kernelINS0_13kernel_configILj256ELj4ELj4294967295EEENS1_37radix_sort_block_sort_config_selectorIllEEZNS1_21radix_sort_block_sortIS4_Lb0EPlS8_N6thrust23THRUST_200600_302600_NS10device_ptrIlEESC_NS0_19identity_decomposerEEE10hipError_tT1_T2_T3_T4_jRjT5_jjP12ihipStream_tbEUlT_E_NS1_11comp_targetILNS1_3genE8ELNS1_11target_archE1030ELNS1_3gpuE2ELNS1_3repE0EEENS1_44radix_sort_block_sort_config_static_selectorELNS0_4arch9wavefront6targetE1EEEvSF_,comdat
.Lfunc_end1000:
	.size	_ZN7rocprim17ROCPRIM_400000_NS6detail17trampoline_kernelINS0_13kernel_configILj256ELj4ELj4294967295EEENS1_37radix_sort_block_sort_config_selectorIllEEZNS1_21radix_sort_block_sortIS4_Lb0EPlS8_N6thrust23THRUST_200600_302600_NS10device_ptrIlEESC_NS0_19identity_decomposerEEE10hipError_tT1_T2_T3_T4_jRjT5_jjP12ihipStream_tbEUlT_E_NS1_11comp_targetILNS1_3genE8ELNS1_11target_archE1030ELNS1_3gpuE2ELNS1_3repE0EEENS1_44radix_sort_block_sort_config_static_selectorELNS0_4arch9wavefront6targetE1EEEvSF_, .Lfunc_end1000-_ZN7rocprim17ROCPRIM_400000_NS6detail17trampoline_kernelINS0_13kernel_configILj256ELj4ELj4294967295EEENS1_37radix_sort_block_sort_config_selectorIllEEZNS1_21radix_sort_block_sortIS4_Lb0EPlS8_N6thrust23THRUST_200600_302600_NS10device_ptrIlEESC_NS0_19identity_decomposerEEE10hipError_tT1_T2_T3_T4_jRjT5_jjP12ihipStream_tbEUlT_E_NS1_11comp_targetILNS1_3genE8ELNS1_11target_archE1030ELNS1_3gpuE2ELNS1_3repE0EEENS1_44radix_sort_block_sort_config_static_selectorELNS0_4arch9wavefront6targetE1EEEvSF_
                                        ; -- End function
	.section	.AMDGPU.csdata,"",@progbits
; Kernel info:
; codeLenInByte = 0
; NumSgprs: 4
; NumVgprs: 0
; NumAgprs: 0
; TotalNumVgprs: 0
; ScratchSize: 0
; MemoryBound: 0
; FloatMode: 240
; IeeeMode: 1
; LDSByteSize: 0 bytes/workgroup (compile time only)
; SGPRBlocks: 0
; VGPRBlocks: 0
; NumSGPRsForWavesPerEU: 4
; NumVGPRsForWavesPerEU: 1
; AccumOffset: 4
; Occupancy: 8
; WaveLimiterHint : 0
; COMPUTE_PGM_RSRC2:SCRATCH_EN: 0
; COMPUTE_PGM_RSRC2:USER_SGPR: 6
; COMPUTE_PGM_RSRC2:TRAP_HANDLER: 0
; COMPUTE_PGM_RSRC2:TGID_X_EN: 1
; COMPUTE_PGM_RSRC2:TGID_Y_EN: 0
; COMPUTE_PGM_RSRC2:TGID_Z_EN: 0
; COMPUTE_PGM_RSRC2:TIDIG_COMP_CNT: 0
; COMPUTE_PGM_RSRC3_GFX90A:ACCUM_OFFSET: 0
; COMPUTE_PGM_RSRC3_GFX90A:TG_SPLIT: 0
	.section	.text._ZN7rocprim17ROCPRIM_400000_NS6detail44device_merge_sort_compile_time_verifier_archINS1_11comp_targetILNS1_3genE0ELNS1_11target_archE4294967295ELNS1_3gpuE0ELNS1_3repE0EEES8_NS1_28merge_sort_block_sort_configILj256ELj4ELNS0_20block_sort_algorithmE0EEENS0_14default_configENS1_37merge_sort_block_sort_config_selectorIllEENS1_38merge_sort_block_merge_config_selectorIllEEEEvv,"axG",@progbits,_ZN7rocprim17ROCPRIM_400000_NS6detail44device_merge_sort_compile_time_verifier_archINS1_11comp_targetILNS1_3genE0ELNS1_11target_archE4294967295ELNS1_3gpuE0ELNS1_3repE0EEES8_NS1_28merge_sort_block_sort_configILj256ELj4ELNS0_20block_sort_algorithmE0EEENS0_14default_configENS1_37merge_sort_block_sort_config_selectorIllEENS1_38merge_sort_block_merge_config_selectorIllEEEEvv,comdat
	.protected	_ZN7rocprim17ROCPRIM_400000_NS6detail44device_merge_sort_compile_time_verifier_archINS1_11comp_targetILNS1_3genE0ELNS1_11target_archE4294967295ELNS1_3gpuE0ELNS1_3repE0EEES8_NS1_28merge_sort_block_sort_configILj256ELj4ELNS0_20block_sort_algorithmE0EEENS0_14default_configENS1_37merge_sort_block_sort_config_selectorIllEENS1_38merge_sort_block_merge_config_selectorIllEEEEvv ; -- Begin function _ZN7rocprim17ROCPRIM_400000_NS6detail44device_merge_sort_compile_time_verifier_archINS1_11comp_targetILNS1_3genE0ELNS1_11target_archE4294967295ELNS1_3gpuE0ELNS1_3repE0EEES8_NS1_28merge_sort_block_sort_configILj256ELj4ELNS0_20block_sort_algorithmE0EEENS0_14default_configENS1_37merge_sort_block_sort_config_selectorIllEENS1_38merge_sort_block_merge_config_selectorIllEEEEvv
	.globl	_ZN7rocprim17ROCPRIM_400000_NS6detail44device_merge_sort_compile_time_verifier_archINS1_11comp_targetILNS1_3genE0ELNS1_11target_archE4294967295ELNS1_3gpuE0ELNS1_3repE0EEES8_NS1_28merge_sort_block_sort_configILj256ELj4ELNS0_20block_sort_algorithmE0EEENS0_14default_configENS1_37merge_sort_block_sort_config_selectorIllEENS1_38merge_sort_block_merge_config_selectorIllEEEEvv
	.p2align	8
	.type	_ZN7rocprim17ROCPRIM_400000_NS6detail44device_merge_sort_compile_time_verifier_archINS1_11comp_targetILNS1_3genE0ELNS1_11target_archE4294967295ELNS1_3gpuE0ELNS1_3repE0EEES8_NS1_28merge_sort_block_sort_configILj256ELj4ELNS0_20block_sort_algorithmE0EEENS0_14default_configENS1_37merge_sort_block_sort_config_selectorIllEENS1_38merge_sort_block_merge_config_selectorIllEEEEvv,@function
_ZN7rocprim17ROCPRIM_400000_NS6detail44device_merge_sort_compile_time_verifier_archINS1_11comp_targetILNS1_3genE0ELNS1_11target_archE4294967295ELNS1_3gpuE0ELNS1_3repE0EEES8_NS1_28merge_sort_block_sort_configILj256ELj4ELNS0_20block_sort_algorithmE0EEENS0_14default_configENS1_37merge_sort_block_sort_config_selectorIllEENS1_38merge_sort_block_merge_config_selectorIllEEEEvv: ; @_ZN7rocprim17ROCPRIM_400000_NS6detail44device_merge_sort_compile_time_verifier_archINS1_11comp_targetILNS1_3genE0ELNS1_11target_archE4294967295ELNS1_3gpuE0ELNS1_3repE0EEES8_NS1_28merge_sort_block_sort_configILj256ELj4ELNS0_20block_sort_algorithmE0EEENS0_14default_configENS1_37merge_sort_block_sort_config_selectorIllEENS1_38merge_sort_block_merge_config_selectorIllEEEEvv
; %bb.0:
	s_endpgm
	.section	.rodata,"a",@progbits
	.p2align	6, 0x0
	.amdhsa_kernel _ZN7rocprim17ROCPRIM_400000_NS6detail44device_merge_sort_compile_time_verifier_archINS1_11comp_targetILNS1_3genE0ELNS1_11target_archE4294967295ELNS1_3gpuE0ELNS1_3repE0EEES8_NS1_28merge_sort_block_sort_configILj256ELj4ELNS0_20block_sort_algorithmE0EEENS0_14default_configENS1_37merge_sort_block_sort_config_selectorIllEENS1_38merge_sort_block_merge_config_selectorIllEEEEvv
		.amdhsa_group_segment_fixed_size 0
		.amdhsa_private_segment_fixed_size 0
		.amdhsa_kernarg_size 0
		.amdhsa_user_sgpr_count 4
		.amdhsa_user_sgpr_private_segment_buffer 1
		.amdhsa_user_sgpr_dispatch_ptr 0
		.amdhsa_user_sgpr_queue_ptr 0
		.amdhsa_user_sgpr_kernarg_segment_ptr 0
		.amdhsa_user_sgpr_dispatch_id 0
		.amdhsa_user_sgpr_flat_scratch_init 0
		.amdhsa_user_sgpr_kernarg_preload_length 0
		.amdhsa_user_sgpr_kernarg_preload_offset 0
		.amdhsa_user_sgpr_private_segment_size 0
		.amdhsa_uses_dynamic_stack 0
		.amdhsa_system_sgpr_private_segment_wavefront_offset 0
		.amdhsa_system_sgpr_workgroup_id_x 1
		.amdhsa_system_sgpr_workgroup_id_y 0
		.amdhsa_system_sgpr_workgroup_id_z 0
		.amdhsa_system_sgpr_workgroup_info 0
		.amdhsa_system_vgpr_workitem_id 0
		.amdhsa_next_free_vgpr 1
		.amdhsa_next_free_sgpr 0
		.amdhsa_accum_offset 4
		.amdhsa_reserve_vcc 0
		.amdhsa_reserve_flat_scratch 0
		.amdhsa_float_round_mode_32 0
		.amdhsa_float_round_mode_16_64 0
		.amdhsa_float_denorm_mode_32 3
		.amdhsa_float_denorm_mode_16_64 3
		.amdhsa_dx10_clamp 1
		.amdhsa_ieee_mode 1
		.amdhsa_fp16_overflow 0
		.amdhsa_tg_split 0
		.amdhsa_exception_fp_ieee_invalid_op 0
		.amdhsa_exception_fp_denorm_src 0
		.amdhsa_exception_fp_ieee_div_zero 0
		.amdhsa_exception_fp_ieee_overflow 0
		.amdhsa_exception_fp_ieee_underflow 0
		.amdhsa_exception_fp_ieee_inexact 0
		.amdhsa_exception_int_div_zero 0
	.end_amdhsa_kernel
	.section	.text._ZN7rocprim17ROCPRIM_400000_NS6detail44device_merge_sort_compile_time_verifier_archINS1_11comp_targetILNS1_3genE0ELNS1_11target_archE4294967295ELNS1_3gpuE0ELNS1_3repE0EEES8_NS1_28merge_sort_block_sort_configILj256ELj4ELNS0_20block_sort_algorithmE0EEENS0_14default_configENS1_37merge_sort_block_sort_config_selectorIllEENS1_38merge_sort_block_merge_config_selectorIllEEEEvv,"axG",@progbits,_ZN7rocprim17ROCPRIM_400000_NS6detail44device_merge_sort_compile_time_verifier_archINS1_11comp_targetILNS1_3genE0ELNS1_11target_archE4294967295ELNS1_3gpuE0ELNS1_3repE0EEES8_NS1_28merge_sort_block_sort_configILj256ELj4ELNS0_20block_sort_algorithmE0EEENS0_14default_configENS1_37merge_sort_block_sort_config_selectorIllEENS1_38merge_sort_block_merge_config_selectorIllEEEEvv,comdat
.Lfunc_end1001:
	.size	_ZN7rocprim17ROCPRIM_400000_NS6detail44device_merge_sort_compile_time_verifier_archINS1_11comp_targetILNS1_3genE0ELNS1_11target_archE4294967295ELNS1_3gpuE0ELNS1_3repE0EEES8_NS1_28merge_sort_block_sort_configILj256ELj4ELNS0_20block_sort_algorithmE0EEENS0_14default_configENS1_37merge_sort_block_sort_config_selectorIllEENS1_38merge_sort_block_merge_config_selectorIllEEEEvv, .Lfunc_end1001-_ZN7rocprim17ROCPRIM_400000_NS6detail44device_merge_sort_compile_time_verifier_archINS1_11comp_targetILNS1_3genE0ELNS1_11target_archE4294967295ELNS1_3gpuE0ELNS1_3repE0EEES8_NS1_28merge_sort_block_sort_configILj256ELj4ELNS0_20block_sort_algorithmE0EEENS0_14default_configENS1_37merge_sort_block_sort_config_selectorIllEENS1_38merge_sort_block_merge_config_selectorIllEEEEvv
                                        ; -- End function
	.section	.AMDGPU.csdata,"",@progbits
; Kernel info:
; codeLenInByte = 4
; NumSgprs: 4
; NumVgprs: 0
; NumAgprs: 0
; TotalNumVgprs: 0
; ScratchSize: 0
; MemoryBound: 0
; FloatMode: 240
; IeeeMode: 1
; LDSByteSize: 0 bytes/workgroup (compile time only)
; SGPRBlocks: 0
; VGPRBlocks: 0
; NumSGPRsForWavesPerEU: 4
; NumVGPRsForWavesPerEU: 1
; AccumOffset: 4
; Occupancy: 8
; WaveLimiterHint : 0
; COMPUTE_PGM_RSRC2:SCRATCH_EN: 0
; COMPUTE_PGM_RSRC2:USER_SGPR: 4
; COMPUTE_PGM_RSRC2:TRAP_HANDLER: 0
; COMPUTE_PGM_RSRC2:TGID_X_EN: 1
; COMPUTE_PGM_RSRC2:TGID_Y_EN: 0
; COMPUTE_PGM_RSRC2:TGID_Z_EN: 0
; COMPUTE_PGM_RSRC2:TIDIG_COMP_CNT: 0
; COMPUTE_PGM_RSRC3_GFX90A:ACCUM_OFFSET: 0
; COMPUTE_PGM_RSRC3_GFX90A:TG_SPLIT: 0
	.section	.text._ZN7rocprim17ROCPRIM_400000_NS6detail44device_merge_sort_compile_time_verifier_archINS1_11comp_targetILNS1_3genE5ELNS1_11target_archE942ELNS1_3gpuE9ELNS1_3repE0EEES8_NS1_28merge_sort_block_sort_configILj256ELj4ELNS0_20block_sort_algorithmE0EEENS0_14default_configENS1_37merge_sort_block_sort_config_selectorIllEENS1_38merge_sort_block_merge_config_selectorIllEEEEvv,"axG",@progbits,_ZN7rocprim17ROCPRIM_400000_NS6detail44device_merge_sort_compile_time_verifier_archINS1_11comp_targetILNS1_3genE5ELNS1_11target_archE942ELNS1_3gpuE9ELNS1_3repE0EEES8_NS1_28merge_sort_block_sort_configILj256ELj4ELNS0_20block_sort_algorithmE0EEENS0_14default_configENS1_37merge_sort_block_sort_config_selectorIllEENS1_38merge_sort_block_merge_config_selectorIllEEEEvv,comdat
	.protected	_ZN7rocprim17ROCPRIM_400000_NS6detail44device_merge_sort_compile_time_verifier_archINS1_11comp_targetILNS1_3genE5ELNS1_11target_archE942ELNS1_3gpuE9ELNS1_3repE0EEES8_NS1_28merge_sort_block_sort_configILj256ELj4ELNS0_20block_sort_algorithmE0EEENS0_14default_configENS1_37merge_sort_block_sort_config_selectorIllEENS1_38merge_sort_block_merge_config_selectorIllEEEEvv ; -- Begin function _ZN7rocprim17ROCPRIM_400000_NS6detail44device_merge_sort_compile_time_verifier_archINS1_11comp_targetILNS1_3genE5ELNS1_11target_archE942ELNS1_3gpuE9ELNS1_3repE0EEES8_NS1_28merge_sort_block_sort_configILj256ELj4ELNS0_20block_sort_algorithmE0EEENS0_14default_configENS1_37merge_sort_block_sort_config_selectorIllEENS1_38merge_sort_block_merge_config_selectorIllEEEEvv
	.globl	_ZN7rocprim17ROCPRIM_400000_NS6detail44device_merge_sort_compile_time_verifier_archINS1_11comp_targetILNS1_3genE5ELNS1_11target_archE942ELNS1_3gpuE9ELNS1_3repE0EEES8_NS1_28merge_sort_block_sort_configILj256ELj4ELNS0_20block_sort_algorithmE0EEENS0_14default_configENS1_37merge_sort_block_sort_config_selectorIllEENS1_38merge_sort_block_merge_config_selectorIllEEEEvv
	.p2align	8
	.type	_ZN7rocprim17ROCPRIM_400000_NS6detail44device_merge_sort_compile_time_verifier_archINS1_11comp_targetILNS1_3genE5ELNS1_11target_archE942ELNS1_3gpuE9ELNS1_3repE0EEES8_NS1_28merge_sort_block_sort_configILj256ELj4ELNS0_20block_sort_algorithmE0EEENS0_14default_configENS1_37merge_sort_block_sort_config_selectorIllEENS1_38merge_sort_block_merge_config_selectorIllEEEEvv,@function
_ZN7rocprim17ROCPRIM_400000_NS6detail44device_merge_sort_compile_time_verifier_archINS1_11comp_targetILNS1_3genE5ELNS1_11target_archE942ELNS1_3gpuE9ELNS1_3repE0EEES8_NS1_28merge_sort_block_sort_configILj256ELj4ELNS0_20block_sort_algorithmE0EEENS0_14default_configENS1_37merge_sort_block_sort_config_selectorIllEENS1_38merge_sort_block_merge_config_selectorIllEEEEvv: ; @_ZN7rocprim17ROCPRIM_400000_NS6detail44device_merge_sort_compile_time_verifier_archINS1_11comp_targetILNS1_3genE5ELNS1_11target_archE942ELNS1_3gpuE9ELNS1_3repE0EEES8_NS1_28merge_sort_block_sort_configILj256ELj4ELNS0_20block_sort_algorithmE0EEENS0_14default_configENS1_37merge_sort_block_sort_config_selectorIllEENS1_38merge_sort_block_merge_config_selectorIllEEEEvv
; %bb.0:
	s_endpgm
	.section	.rodata,"a",@progbits
	.p2align	6, 0x0
	.amdhsa_kernel _ZN7rocprim17ROCPRIM_400000_NS6detail44device_merge_sort_compile_time_verifier_archINS1_11comp_targetILNS1_3genE5ELNS1_11target_archE942ELNS1_3gpuE9ELNS1_3repE0EEES8_NS1_28merge_sort_block_sort_configILj256ELj4ELNS0_20block_sort_algorithmE0EEENS0_14default_configENS1_37merge_sort_block_sort_config_selectorIllEENS1_38merge_sort_block_merge_config_selectorIllEEEEvv
		.amdhsa_group_segment_fixed_size 0
		.amdhsa_private_segment_fixed_size 0
		.amdhsa_kernarg_size 0
		.amdhsa_user_sgpr_count 4
		.amdhsa_user_sgpr_private_segment_buffer 1
		.amdhsa_user_sgpr_dispatch_ptr 0
		.amdhsa_user_sgpr_queue_ptr 0
		.amdhsa_user_sgpr_kernarg_segment_ptr 0
		.amdhsa_user_sgpr_dispatch_id 0
		.amdhsa_user_sgpr_flat_scratch_init 0
		.amdhsa_user_sgpr_kernarg_preload_length 0
		.amdhsa_user_sgpr_kernarg_preload_offset 0
		.amdhsa_user_sgpr_private_segment_size 0
		.amdhsa_uses_dynamic_stack 0
		.amdhsa_system_sgpr_private_segment_wavefront_offset 0
		.amdhsa_system_sgpr_workgroup_id_x 1
		.amdhsa_system_sgpr_workgroup_id_y 0
		.amdhsa_system_sgpr_workgroup_id_z 0
		.amdhsa_system_sgpr_workgroup_info 0
		.amdhsa_system_vgpr_workitem_id 0
		.amdhsa_next_free_vgpr 1
		.amdhsa_next_free_sgpr 0
		.amdhsa_accum_offset 4
		.amdhsa_reserve_vcc 0
		.amdhsa_reserve_flat_scratch 0
		.amdhsa_float_round_mode_32 0
		.amdhsa_float_round_mode_16_64 0
		.amdhsa_float_denorm_mode_32 3
		.amdhsa_float_denorm_mode_16_64 3
		.amdhsa_dx10_clamp 1
		.amdhsa_ieee_mode 1
		.amdhsa_fp16_overflow 0
		.amdhsa_tg_split 0
		.amdhsa_exception_fp_ieee_invalid_op 0
		.amdhsa_exception_fp_denorm_src 0
		.amdhsa_exception_fp_ieee_div_zero 0
		.amdhsa_exception_fp_ieee_overflow 0
		.amdhsa_exception_fp_ieee_underflow 0
		.amdhsa_exception_fp_ieee_inexact 0
		.amdhsa_exception_int_div_zero 0
	.end_amdhsa_kernel
	.section	.text._ZN7rocprim17ROCPRIM_400000_NS6detail44device_merge_sort_compile_time_verifier_archINS1_11comp_targetILNS1_3genE5ELNS1_11target_archE942ELNS1_3gpuE9ELNS1_3repE0EEES8_NS1_28merge_sort_block_sort_configILj256ELj4ELNS0_20block_sort_algorithmE0EEENS0_14default_configENS1_37merge_sort_block_sort_config_selectorIllEENS1_38merge_sort_block_merge_config_selectorIllEEEEvv,"axG",@progbits,_ZN7rocprim17ROCPRIM_400000_NS6detail44device_merge_sort_compile_time_verifier_archINS1_11comp_targetILNS1_3genE5ELNS1_11target_archE942ELNS1_3gpuE9ELNS1_3repE0EEES8_NS1_28merge_sort_block_sort_configILj256ELj4ELNS0_20block_sort_algorithmE0EEENS0_14default_configENS1_37merge_sort_block_sort_config_selectorIllEENS1_38merge_sort_block_merge_config_selectorIllEEEEvv,comdat
.Lfunc_end1002:
	.size	_ZN7rocprim17ROCPRIM_400000_NS6detail44device_merge_sort_compile_time_verifier_archINS1_11comp_targetILNS1_3genE5ELNS1_11target_archE942ELNS1_3gpuE9ELNS1_3repE0EEES8_NS1_28merge_sort_block_sort_configILj256ELj4ELNS0_20block_sort_algorithmE0EEENS0_14default_configENS1_37merge_sort_block_sort_config_selectorIllEENS1_38merge_sort_block_merge_config_selectorIllEEEEvv, .Lfunc_end1002-_ZN7rocprim17ROCPRIM_400000_NS6detail44device_merge_sort_compile_time_verifier_archINS1_11comp_targetILNS1_3genE5ELNS1_11target_archE942ELNS1_3gpuE9ELNS1_3repE0EEES8_NS1_28merge_sort_block_sort_configILj256ELj4ELNS0_20block_sort_algorithmE0EEENS0_14default_configENS1_37merge_sort_block_sort_config_selectorIllEENS1_38merge_sort_block_merge_config_selectorIllEEEEvv
                                        ; -- End function
	.section	.AMDGPU.csdata,"",@progbits
; Kernel info:
; codeLenInByte = 4
; NumSgprs: 4
; NumVgprs: 0
; NumAgprs: 0
; TotalNumVgprs: 0
; ScratchSize: 0
; MemoryBound: 0
; FloatMode: 240
; IeeeMode: 1
; LDSByteSize: 0 bytes/workgroup (compile time only)
; SGPRBlocks: 0
; VGPRBlocks: 0
; NumSGPRsForWavesPerEU: 4
; NumVGPRsForWavesPerEU: 1
; AccumOffset: 4
; Occupancy: 8
; WaveLimiterHint : 0
; COMPUTE_PGM_RSRC2:SCRATCH_EN: 0
; COMPUTE_PGM_RSRC2:USER_SGPR: 4
; COMPUTE_PGM_RSRC2:TRAP_HANDLER: 0
; COMPUTE_PGM_RSRC2:TGID_X_EN: 1
; COMPUTE_PGM_RSRC2:TGID_Y_EN: 0
; COMPUTE_PGM_RSRC2:TGID_Z_EN: 0
; COMPUTE_PGM_RSRC2:TIDIG_COMP_CNT: 0
; COMPUTE_PGM_RSRC3_GFX90A:ACCUM_OFFSET: 0
; COMPUTE_PGM_RSRC3_GFX90A:TG_SPLIT: 0
	.section	.text._ZN7rocprim17ROCPRIM_400000_NS6detail44device_merge_sort_compile_time_verifier_archINS1_11comp_targetILNS1_3genE4ELNS1_11target_archE910ELNS1_3gpuE8ELNS1_3repE0EEES8_NS1_28merge_sort_block_sort_configILj256ELj4ELNS0_20block_sort_algorithmE0EEENS0_14default_configENS1_37merge_sort_block_sort_config_selectorIllEENS1_38merge_sort_block_merge_config_selectorIllEEEEvv,"axG",@progbits,_ZN7rocprim17ROCPRIM_400000_NS6detail44device_merge_sort_compile_time_verifier_archINS1_11comp_targetILNS1_3genE4ELNS1_11target_archE910ELNS1_3gpuE8ELNS1_3repE0EEES8_NS1_28merge_sort_block_sort_configILj256ELj4ELNS0_20block_sort_algorithmE0EEENS0_14default_configENS1_37merge_sort_block_sort_config_selectorIllEENS1_38merge_sort_block_merge_config_selectorIllEEEEvv,comdat
	.protected	_ZN7rocprim17ROCPRIM_400000_NS6detail44device_merge_sort_compile_time_verifier_archINS1_11comp_targetILNS1_3genE4ELNS1_11target_archE910ELNS1_3gpuE8ELNS1_3repE0EEES8_NS1_28merge_sort_block_sort_configILj256ELj4ELNS0_20block_sort_algorithmE0EEENS0_14default_configENS1_37merge_sort_block_sort_config_selectorIllEENS1_38merge_sort_block_merge_config_selectorIllEEEEvv ; -- Begin function _ZN7rocprim17ROCPRIM_400000_NS6detail44device_merge_sort_compile_time_verifier_archINS1_11comp_targetILNS1_3genE4ELNS1_11target_archE910ELNS1_3gpuE8ELNS1_3repE0EEES8_NS1_28merge_sort_block_sort_configILj256ELj4ELNS0_20block_sort_algorithmE0EEENS0_14default_configENS1_37merge_sort_block_sort_config_selectorIllEENS1_38merge_sort_block_merge_config_selectorIllEEEEvv
	.globl	_ZN7rocprim17ROCPRIM_400000_NS6detail44device_merge_sort_compile_time_verifier_archINS1_11comp_targetILNS1_3genE4ELNS1_11target_archE910ELNS1_3gpuE8ELNS1_3repE0EEES8_NS1_28merge_sort_block_sort_configILj256ELj4ELNS0_20block_sort_algorithmE0EEENS0_14default_configENS1_37merge_sort_block_sort_config_selectorIllEENS1_38merge_sort_block_merge_config_selectorIllEEEEvv
	.p2align	8
	.type	_ZN7rocprim17ROCPRIM_400000_NS6detail44device_merge_sort_compile_time_verifier_archINS1_11comp_targetILNS1_3genE4ELNS1_11target_archE910ELNS1_3gpuE8ELNS1_3repE0EEES8_NS1_28merge_sort_block_sort_configILj256ELj4ELNS0_20block_sort_algorithmE0EEENS0_14default_configENS1_37merge_sort_block_sort_config_selectorIllEENS1_38merge_sort_block_merge_config_selectorIllEEEEvv,@function
_ZN7rocprim17ROCPRIM_400000_NS6detail44device_merge_sort_compile_time_verifier_archINS1_11comp_targetILNS1_3genE4ELNS1_11target_archE910ELNS1_3gpuE8ELNS1_3repE0EEES8_NS1_28merge_sort_block_sort_configILj256ELj4ELNS0_20block_sort_algorithmE0EEENS0_14default_configENS1_37merge_sort_block_sort_config_selectorIllEENS1_38merge_sort_block_merge_config_selectorIllEEEEvv: ; @_ZN7rocprim17ROCPRIM_400000_NS6detail44device_merge_sort_compile_time_verifier_archINS1_11comp_targetILNS1_3genE4ELNS1_11target_archE910ELNS1_3gpuE8ELNS1_3repE0EEES8_NS1_28merge_sort_block_sort_configILj256ELj4ELNS0_20block_sort_algorithmE0EEENS0_14default_configENS1_37merge_sort_block_sort_config_selectorIllEENS1_38merge_sort_block_merge_config_selectorIllEEEEvv
; %bb.0:
	s_endpgm
	.section	.rodata,"a",@progbits
	.p2align	6, 0x0
	.amdhsa_kernel _ZN7rocprim17ROCPRIM_400000_NS6detail44device_merge_sort_compile_time_verifier_archINS1_11comp_targetILNS1_3genE4ELNS1_11target_archE910ELNS1_3gpuE8ELNS1_3repE0EEES8_NS1_28merge_sort_block_sort_configILj256ELj4ELNS0_20block_sort_algorithmE0EEENS0_14default_configENS1_37merge_sort_block_sort_config_selectorIllEENS1_38merge_sort_block_merge_config_selectorIllEEEEvv
		.amdhsa_group_segment_fixed_size 0
		.amdhsa_private_segment_fixed_size 0
		.amdhsa_kernarg_size 0
		.amdhsa_user_sgpr_count 4
		.amdhsa_user_sgpr_private_segment_buffer 1
		.amdhsa_user_sgpr_dispatch_ptr 0
		.amdhsa_user_sgpr_queue_ptr 0
		.amdhsa_user_sgpr_kernarg_segment_ptr 0
		.amdhsa_user_sgpr_dispatch_id 0
		.amdhsa_user_sgpr_flat_scratch_init 0
		.amdhsa_user_sgpr_kernarg_preload_length 0
		.amdhsa_user_sgpr_kernarg_preload_offset 0
		.amdhsa_user_sgpr_private_segment_size 0
		.amdhsa_uses_dynamic_stack 0
		.amdhsa_system_sgpr_private_segment_wavefront_offset 0
		.amdhsa_system_sgpr_workgroup_id_x 1
		.amdhsa_system_sgpr_workgroup_id_y 0
		.amdhsa_system_sgpr_workgroup_id_z 0
		.amdhsa_system_sgpr_workgroup_info 0
		.amdhsa_system_vgpr_workitem_id 0
		.amdhsa_next_free_vgpr 1
		.amdhsa_next_free_sgpr 0
		.amdhsa_accum_offset 4
		.amdhsa_reserve_vcc 0
		.amdhsa_reserve_flat_scratch 0
		.amdhsa_float_round_mode_32 0
		.amdhsa_float_round_mode_16_64 0
		.amdhsa_float_denorm_mode_32 3
		.amdhsa_float_denorm_mode_16_64 3
		.amdhsa_dx10_clamp 1
		.amdhsa_ieee_mode 1
		.amdhsa_fp16_overflow 0
		.amdhsa_tg_split 0
		.amdhsa_exception_fp_ieee_invalid_op 0
		.amdhsa_exception_fp_denorm_src 0
		.amdhsa_exception_fp_ieee_div_zero 0
		.amdhsa_exception_fp_ieee_overflow 0
		.amdhsa_exception_fp_ieee_underflow 0
		.amdhsa_exception_fp_ieee_inexact 0
		.amdhsa_exception_int_div_zero 0
	.end_amdhsa_kernel
	.section	.text._ZN7rocprim17ROCPRIM_400000_NS6detail44device_merge_sort_compile_time_verifier_archINS1_11comp_targetILNS1_3genE4ELNS1_11target_archE910ELNS1_3gpuE8ELNS1_3repE0EEES8_NS1_28merge_sort_block_sort_configILj256ELj4ELNS0_20block_sort_algorithmE0EEENS0_14default_configENS1_37merge_sort_block_sort_config_selectorIllEENS1_38merge_sort_block_merge_config_selectorIllEEEEvv,"axG",@progbits,_ZN7rocprim17ROCPRIM_400000_NS6detail44device_merge_sort_compile_time_verifier_archINS1_11comp_targetILNS1_3genE4ELNS1_11target_archE910ELNS1_3gpuE8ELNS1_3repE0EEES8_NS1_28merge_sort_block_sort_configILj256ELj4ELNS0_20block_sort_algorithmE0EEENS0_14default_configENS1_37merge_sort_block_sort_config_selectorIllEENS1_38merge_sort_block_merge_config_selectorIllEEEEvv,comdat
.Lfunc_end1003:
	.size	_ZN7rocprim17ROCPRIM_400000_NS6detail44device_merge_sort_compile_time_verifier_archINS1_11comp_targetILNS1_3genE4ELNS1_11target_archE910ELNS1_3gpuE8ELNS1_3repE0EEES8_NS1_28merge_sort_block_sort_configILj256ELj4ELNS0_20block_sort_algorithmE0EEENS0_14default_configENS1_37merge_sort_block_sort_config_selectorIllEENS1_38merge_sort_block_merge_config_selectorIllEEEEvv, .Lfunc_end1003-_ZN7rocprim17ROCPRIM_400000_NS6detail44device_merge_sort_compile_time_verifier_archINS1_11comp_targetILNS1_3genE4ELNS1_11target_archE910ELNS1_3gpuE8ELNS1_3repE0EEES8_NS1_28merge_sort_block_sort_configILj256ELj4ELNS0_20block_sort_algorithmE0EEENS0_14default_configENS1_37merge_sort_block_sort_config_selectorIllEENS1_38merge_sort_block_merge_config_selectorIllEEEEvv
                                        ; -- End function
	.section	.AMDGPU.csdata,"",@progbits
; Kernel info:
; codeLenInByte = 4
; NumSgprs: 4
; NumVgprs: 0
; NumAgprs: 0
; TotalNumVgprs: 0
; ScratchSize: 0
; MemoryBound: 0
; FloatMode: 240
; IeeeMode: 1
; LDSByteSize: 0 bytes/workgroup (compile time only)
; SGPRBlocks: 0
; VGPRBlocks: 0
; NumSGPRsForWavesPerEU: 4
; NumVGPRsForWavesPerEU: 1
; AccumOffset: 4
; Occupancy: 8
; WaveLimiterHint : 0
; COMPUTE_PGM_RSRC2:SCRATCH_EN: 0
; COMPUTE_PGM_RSRC2:USER_SGPR: 4
; COMPUTE_PGM_RSRC2:TRAP_HANDLER: 0
; COMPUTE_PGM_RSRC2:TGID_X_EN: 1
; COMPUTE_PGM_RSRC2:TGID_Y_EN: 0
; COMPUTE_PGM_RSRC2:TGID_Z_EN: 0
; COMPUTE_PGM_RSRC2:TIDIG_COMP_CNT: 0
; COMPUTE_PGM_RSRC3_GFX90A:ACCUM_OFFSET: 0
; COMPUTE_PGM_RSRC3_GFX90A:TG_SPLIT: 0
	.section	.text._ZN7rocprim17ROCPRIM_400000_NS6detail44device_merge_sort_compile_time_verifier_archINS1_11comp_targetILNS1_3genE3ELNS1_11target_archE908ELNS1_3gpuE7ELNS1_3repE0EEES8_NS1_28merge_sort_block_sort_configILj256ELj4ELNS0_20block_sort_algorithmE0EEENS0_14default_configENS1_37merge_sort_block_sort_config_selectorIllEENS1_38merge_sort_block_merge_config_selectorIllEEEEvv,"axG",@progbits,_ZN7rocprim17ROCPRIM_400000_NS6detail44device_merge_sort_compile_time_verifier_archINS1_11comp_targetILNS1_3genE3ELNS1_11target_archE908ELNS1_3gpuE7ELNS1_3repE0EEES8_NS1_28merge_sort_block_sort_configILj256ELj4ELNS0_20block_sort_algorithmE0EEENS0_14default_configENS1_37merge_sort_block_sort_config_selectorIllEENS1_38merge_sort_block_merge_config_selectorIllEEEEvv,comdat
	.protected	_ZN7rocprim17ROCPRIM_400000_NS6detail44device_merge_sort_compile_time_verifier_archINS1_11comp_targetILNS1_3genE3ELNS1_11target_archE908ELNS1_3gpuE7ELNS1_3repE0EEES8_NS1_28merge_sort_block_sort_configILj256ELj4ELNS0_20block_sort_algorithmE0EEENS0_14default_configENS1_37merge_sort_block_sort_config_selectorIllEENS1_38merge_sort_block_merge_config_selectorIllEEEEvv ; -- Begin function _ZN7rocprim17ROCPRIM_400000_NS6detail44device_merge_sort_compile_time_verifier_archINS1_11comp_targetILNS1_3genE3ELNS1_11target_archE908ELNS1_3gpuE7ELNS1_3repE0EEES8_NS1_28merge_sort_block_sort_configILj256ELj4ELNS0_20block_sort_algorithmE0EEENS0_14default_configENS1_37merge_sort_block_sort_config_selectorIllEENS1_38merge_sort_block_merge_config_selectorIllEEEEvv
	.globl	_ZN7rocprim17ROCPRIM_400000_NS6detail44device_merge_sort_compile_time_verifier_archINS1_11comp_targetILNS1_3genE3ELNS1_11target_archE908ELNS1_3gpuE7ELNS1_3repE0EEES8_NS1_28merge_sort_block_sort_configILj256ELj4ELNS0_20block_sort_algorithmE0EEENS0_14default_configENS1_37merge_sort_block_sort_config_selectorIllEENS1_38merge_sort_block_merge_config_selectorIllEEEEvv
	.p2align	8
	.type	_ZN7rocprim17ROCPRIM_400000_NS6detail44device_merge_sort_compile_time_verifier_archINS1_11comp_targetILNS1_3genE3ELNS1_11target_archE908ELNS1_3gpuE7ELNS1_3repE0EEES8_NS1_28merge_sort_block_sort_configILj256ELj4ELNS0_20block_sort_algorithmE0EEENS0_14default_configENS1_37merge_sort_block_sort_config_selectorIllEENS1_38merge_sort_block_merge_config_selectorIllEEEEvv,@function
_ZN7rocprim17ROCPRIM_400000_NS6detail44device_merge_sort_compile_time_verifier_archINS1_11comp_targetILNS1_3genE3ELNS1_11target_archE908ELNS1_3gpuE7ELNS1_3repE0EEES8_NS1_28merge_sort_block_sort_configILj256ELj4ELNS0_20block_sort_algorithmE0EEENS0_14default_configENS1_37merge_sort_block_sort_config_selectorIllEENS1_38merge_sort_block_merge_config_selectorIllEEEEvv: ; @_ZN7rocprim17ROCPRIM_400000_NS6detail44device_merge_sort_compile_time_verifier_archINS1_11comp_targetILNS1_3genE3ELNS1_11target_archE908ELNS1_3gpuE7ELNS1_3repE0EEES8_NS1_28merge_sort_block_sort_configILj256ELj4ELNS0_20block_sort_algorithmE0EEENS0_14default_configENS1_37merge_sort_block_sort_config_selectorIllEENS1_38merge_sort_block_merge_config_selectorIllEEEEvv
; %bb.0:
	s_endpgm
	.section	.rodata,"a",@progbits
	.p2align	6, 0x0
	.amdhsa_kernel _ZN7rocprim17ROCPRIM_400000_NS6detail44device_merge_sort_compile_time_verifier_archINS1_11comp_targetILNS1_3genE3ELNS1_11target_archE908ELNS1_3gpuE7ELNS1_3repE0EEES8_NS1_28merge_sort_block_sort_configILj256ELj4ELNS0_20block_sort_algorithmE0EEENS0_14default_configENS1_37merge_sort_block_sort_config_selectorIllEENS1_38merge_sort_block_merge_config_selectorIllEEEEvv
		.amdhsa_group_segment_fixed_size 0
		.amdhsa_private_segment_fixed_size 0
		.amdhsa_kernarg_size 0
		.amdhsa_user_sgpr_count 4
		.amdhsa_user_sgpr_private_segment_buffer 1
		.amdhsa_user_sgpr_dispatch_ptr 0
		.amdhsa_user_sgpr_queue_ptr 0
		.amdhsa_user_sgpr_kernarg_segment_ptr 0
		.amdhsa_user_sgpr_dispatch_id 0
		.amdhsa_user_sgpr_flat_scratch_init 0
		.amdhsa_user_sgpr_kernarg_preload_length 0
		.amdhsa_user_sgpr_kernarg_preload_offset 0
		.amdhsa_user_sgpr_private_segment_size 0
		.amdhsa_uses_dynamic_stack 0
		.amdhsa_system_sgpr_private_segment_wavefront_offset 0
		.amdhsa_system_sgpr_workgroup_id_x 1
		.amdhsa_system_sgpr_workgroup_id_y 0
		.amdhsa_system_sgpr_workgroup_id_z 0
		.amdhsa_system_sgpr_workgroup_info 0
		.amdhsa_system_vgpr_workitem_id 0
		.amdhsa_next_free_vgpr 1
		.amdhsa_next_free_sgpr 0
		.amdhsa_accum_offset 4
		.amdhsa_reserve_vcc 0
		.amdhsa_reserve_flat_scratch 0
		.amdhsa_float_round_mode_32 0
		.amdhsa_float_round_mode_16_64 0
		.amdhsa_float_denorm_mode_32 3
		.amdhsa_float_denorm_mode_16_64 3
		.amdhsa_dx10_clamp 1
		.amdhsa_ieee_mode 1
		.amdhsa_fp16_overflow 0
		.amdhsa_tg_split 0
		.amdhsa_exception_fp_ieee_invalid_op 0
		.amdhsa_exception_fp_denorm_src 0
		.amdhsa_exception_fp_ieee_div_zero 0
		.amdhsa_exception_fp_ieee_overflow 0
		.amdhsa_exception_fp_ieee_underflow 0
		.amdhsa_exception_fp_ieee_inexact 0
		.amdhsa_exception_int_div_zero 0
	.end_amdhsa_kernel
	.section	.text._ZN7rocprim17ROCPRIM_400000_NS6detail44device_merge_sort_compile_time_verifier_archINS1_11comp_targetILNS1_3genE3ELNS1_11target_archE908ELNS1_3gpuE7ELNS1_3repE0EEES8_NS1_28merge_sort_block_sort_configILj256ELj4ELNS0_20block_sort_algorithmE0EEENS0_14default_configENS1_37merge_sort_block_sort_config_selectorIllEENS1_38merge_sort_block_merge_config_selectorIllEEEEvv,"axG",@progbits,_ZN7rocprim17ROCPRIM_400000_NS6detail44device_merge_sort_compile_time_verifier_archINS1_11comp_targetILNS1_3genE3ELNS1_11target_archE908ELNS1_3gpuE7ELNS1_3repE0EEES8_NS1_28merge_sort_block_sort_configILj256ELj4ELNS0_20block_sort_algorithmE0EEENS0_14default_configENS1_37merge_sort_block_sort_config_selectorIllEENS1_38merge_sort_block_merge_config_selectorIllEEEEvv,comdat
.Lfunc_end1004:
	.size	_ZN7rocprim17ROCPRIM_400000_NS6detail44device_merge_sort_compile_time_verifier_archINS1_11comp_targetILNS1_3genE3ELNS1_11target_archE908ELNS1_3gpuE7ELNS1_3repE0EEES8_NS1_28merge_sort_block_sort_configILj256ELj4ELNS0_20block_sort_algorithmE0EEENS0_14default_configENS1_37merge_sort_block_sort_config_selectorIllEENS1_38merge_sort_block_merge_config_selectorIllEEEEvv, .Lfunc_end1004-_ZN7rocprim17ROCPRIM_400000_NS6detail44device_merge_sort_compile_time_verifier_archINS1_11comp_targetILNS1_3genE3ELNS1_11target_archE908ELNS1_3gpuE7ELNS1_3repE0EEES8_NS1_28merge_sort_block_sort_configILj256ELj4ELNS0_20block_sort_algorithmE0EEENS0_14default_configENS1_37merge_sort_block_sort_config_selectorIllEENS1_38merge_sort_block_merge_config_selectorIllEEEEvv
                                        ; -- End function
	.section	.AMDGPU.csdata,"",@progbits
; Kernel info:
; codeLenInByte = 4
; NumSgprs: 4
; NumVgprs: 0
; NumAgprs: 0
; TotalNumVgprs: 0
; ScratchSize: 0
; MemoryBound: 0
; FloatMode: 240
; IeeeMode: 1
; LDSByteSize: 0 bytes/workgroup (compile time only)
; SGPRBlocks: 0
; VGPRBlocks: 0
; NumSGPRsForWavesPerEU: 4
; NumVGPRsForWavesPerEU: 1
; AccumOffset: 4
; Occupancy: 8
; WaveLimiterHint : 0
; COMPUTE_PGM_RSRC2:SCRATCH_EN: 0
; COMPUTE_PGM_RSRC2:USER_SGPR: 4
; COMPUTE_PGM_RSRC2:TRAP_HANDLER: 0
; COMPUTE_PGM_RSRC2:TGID_X_EN: 1
; COMPUTE_PGM_RSRC2:TGID_Y_EN: 0
; COMPUTE_PGM_RSRC2:TGID_Z_EN: 0
; COMPUTE_PGM_RSRC2:TIDIG_COMP_CNT: 0
; COMPUTE_PGM_RSRC3_GFX90A:ACCUM_OFFSET: 0
; COMPUTE_PGM_RSRC3_GFX90A:TG_SPLIT: 0
	.section	.text._ZN7rocprim17ROCPRIM_400000_NS6detail44device_merge_sort_compile_time_verifier_archINS1_11comp_targetILNS1_3genE2ELNS1_11target_archE906ELNS1_3gpuE6ELNS1_3repE0EEES8_NS1_28merge_sort_block_sort_configILj256ELj4ELNS0_20block_sort_algorithmE0EEENS0_14default_configENS1_37merge_sort_block_sort_config_selectorIllEENS1_38merge_sort_block_merge_config_selectorIllEEEEvv,"axG",@progbits,_ZN7rocprim17ROCPRIM_400000_NS6detail44device_merge_sort_compile_time_verifier_archINS1_11comp_targetILNS1_3genE2ELNS1_11target_archE906ELNS1_3gpuE6ELNS1_3repE0EEES8_NS1_28merge_sort_block_sort_configILj256ELj4ELNS0_20block_sort_algorithmE0EEENS0_14default_configENS1_37merge_sort_block_sort_config_selectorIllEENS1_38merge_sort_block_merge_config_selectorIllEEEEvv,comdat
	.protected	_ZN7rocprim17ROCPRIM_400000_NS6detail44device_merge_sort_compile_time_verifier_archINS1_11comp_targetILNS1_3genE2ELNS1_11target_archE906ELNS1_3gpuE6ELNS1_3repE0EEES8_NS1_28merge_sort_block_sort_configILj256ELj4ELNS0_20block_sort_algorithmE0EEENS0_14default_configENS1_37merge_sort_block_sort_config_selectorIllEENS1_38merge_sort_block_merge_config_selectorIllEEEEvv ; -- Begin function _ZN7rocprim17ROCPRIM_400000_NS6detail44device_merge_sort_compile_time_verifier_archINS1_11comp_targetILNS1_3genE2ELNS1_11target_archE906ELNS1_3gpuE6ELNS1_3repE0EEES8_NS1_28merge_sort_block_sort_configILj256ELj4ELNS0_20block_sort_algorithmE0EEENS0_14default_configENS1_37merge_sort_block_sort_config_selectorIllEENS1_38merge_sort_block_merge_config_selectorIllEEEEvv
	.globl	_ZN7rocprim17ROCPRIM_400000_NS6detail44device_merge_sort_compile_time_verifier_archINS1_11comp_targetILNS1_3genE2ELNS1_11target_archE906ELNS1_3gpuE6ELNS1_3repE0EEES8_NS1_28merge_sort_block_sort_configILj256ELj4ELNS0_20block_sort_algorithmE0EEENS0_14default_configENS1_37merge_sort_block_sort_config_selectorIllEENS1_38merge_sort_block_merge_config_selectorIllEEEEvv
	.p2align	8
	.type	_ZN7rocprim17ROCPRIM_400000_NS6detail44device_merge_sort_compile_time_verifier_archINS1_11comp_targetILNS1_3genE2ELNS1_11target_archE906ELNS1_3gpuE6ELNS1_3repE0EEES8_NS1_28merge_sort_block_sort_configILj256ELj4ELNS0_20block_sort_algorithmE0EEENS0_14default_configENS1_37merge_sort_block_sort_config_selectorIllEENS1_38merge_sort_block_merge_config_selectorIllEEEEvv,@function
_ZN7rocprim17ROCPRIM_400000_NS6detail44device_merge_sort_compile_time_verifier_archINS1_11comp_targetILNS1_3genE2ELNS1_11target_archE906ELNS1_3gpuE6ELNS1_3repE0EEES8_NS1_28merge_sort_block_sort_configILj256ELj4ELNS0_20block_sort_algorithmE0EEENS0_14default_configENS1_37merge_sort_block_sort_config_selectorIllEENS1_38merge_sort_block_merge_config_selectorIllEEEEvv: ; @_ZN7rocprim17ROCPRIM_400000_NS6detail44device_merge_sort_compile_time_verifier_archINS1_11comp_targetILNS1_3genE2ELNS1_11target_archE906ELNS1_3gpuE6ELNS1_3repE0EEES8_NS1_28merge_sort_block_sort_configILj256ELj4ELNS0_20block_sort_algorithmE0EEENS0_14default_configENS1_37merge_sort_block_sort_config_selectorIllEENS1_38merge_sort_block_merge_config_selectorIllEEEEvv
; %bb.0:
	s_endpgm
	.section	.rodata,"a",@progbits
	.p2align	6, 0x0
	.amdhsa_kernel _ZN7rocprim17ROCPRIM_400000_NS6detail44device_merge_sort_compile_time_verifier_archINS1_11comp_targetILNS1_3genE2ELNS1_11target_archE906ELNS1_3gpuE6ELNS1_3repE0EEES8_NS1_28merge_sort_block_sort_configILj256ELj4ELNS0_20block_sort_algorithmE0EEENS0_14default_configENS1_37merge_sort_block_sort_config_selectorIllEENS1_38merge_sort_block_merge_config_selectorIllEEEEvv
		.amdhsa_group_segment_fixed_size 0
		.amdhsa_private_segment_fixed_size 0
		.amdhsa_kernarg_size 0
		.amdhsa_user_sgpr_count 4
		.amdhsa_user_sgpr_private_segment_buffer 1
		.amdhsa_user_sgpr_dispatch_ptr 0
		.amdhsa_user_sgpr_queue_ptr 0
		.amdhsa_user_sgpr_kernarg_segment_ptr 0
		.amdhsa_user_sgpr_dispatch_id 0
		.amdhsa_user_sgpr_flat_scratch_init 0
		.amdhsa_user_sgpr_kernarg_preload_length 0
		.amdhsa_user_sgpr_kernarg_preload_offset 0
		.amdhsa_user_sgpr_private_segment_size 0
		.amdhsa_uses_dynamic_stack 0
		.amdhsa_system_sgpr_private_segment_wavefront_offset 0
		.amdhsa_system_sgpr_workgroup_id_x 1
		.amdhsa_system_sgpr_workgroup_id_y 0
		.amdhsa_system_sgpr_workgroup_id_z 0
		.amdhsa_system_sgpr_workgroup_info 0
		.amdhsa_system_vgpr_workitem_id 0
		.amdhsa_next_free_vgpr 1
		.amdhsa_next_free_sgpr 0
		.amdhsa_accum_offset 4
		.amdhsa_reserve_vcc 0
		.amdhsa_reserve_flat_scratch 0
		.amdhsa_float_round_mode_32 0
		.amdhsa_float_round_mode_16_64 0
		.amdhsa_float_denorm_mode_32 3
		.amdhsa_float_denorm_mode_16_64 3
		.amdhsa_dx10_clamp 1
		.amdhsa_ieee_mode 1
		.amdhsa_fp16_overflow 0
		.amdhsa_tg_split 0
		.amdhsa_exception_fp_ieee_invalid_op 0
		.amdhsa_exception_fp_denorm_src 0
		.amdhsa_exception_fp_ieee_div_zero 0
		.amdhsa_exception_fp_ieee_overflow 0
		.amdhsa_exception_fp_ieee_underflow 0
		.amdhsa_exception_fp_ieee_inexact 0
		.amdhsa_exception_int_div_zero 0
	.end_amdhsa_kernel
	.section	.text._ZN7rocprim17ROCPRIM_400000_NS6detail44device_merge_sort_compile_time_verifier_archINS1_11comp_targetILNS1_3genE2ELNS1_11target_archE906ELNS1_3gpuE6ELNS1_3repE0EEES8_NS1_28merge_sort_block_sort_configILj256ELj4ELNS0_20block_sort_algorithmE0EEENS0_14default_configENS1_37merge_sort_block_sort_config_selectorIllEENS1_38merge_sort_block_merge_config_selectorIllEEEEvv,"axG",@progbits,_ZN7rocprim17ROCPRIM_400000_NS6detail44device_merge_sort_compile_time_verifier_archINS1_11comp_targetILNS1_3genE2ELNS1_11target_archE906ELNS1_3gpuE6ELNS1_3repE0EEES8_NS1_28merge_sort_block_sort_configILj256ELj4ELNS0_20block_sort_algorithmE0EEENS0_14default_configENS1_37merge_sort_block_sort_config_selectorIllEENS1_38merge_sort_block_merge_config_selectorIllEEEEvv,comdat
.Lfunc_end1005:
	.size	_ZN7rocprim17ROCPRIM_400000_NS6detail44device_merge_sort_compile_time_verifier_archINS1_11comp_targetILNS1_3genE2ELNS1_11target_archE906ELNS1_3gpuE6ELNS1_3repE0EEES8_NS1_28merge_sort_block_sort_configILj256ELj4ELNS0_20block_sort_algorithmE0EEENS0_14default_configENS1_37merge_sort_block_sort_config_selectorIllEENS1_38merge_sort_block_merge_config_selectorIllEEEEvv, .Lfunc_end1005-_ZN7rocprim17ROCPRIM_400000_NS6detail44device_merge_sort_compile_time_verifier_archINS1_11comp_targetILNS1_3genE2ELNS1_11target_archE906ELNS1_3gpuE6ELNS1_3repE0EEES8_NS1_28merge_sort_block_sort_configILj256ELj4ELNS0_20block_sort_algorithmE0EEENS0_14default_configENS1_37merge_sort_block_sort_config_selectorIllEENS1_38merge_sort_block_merge_config_selectorIllEEEEvv
                                        ; -- End function
	.section	.AMDGPU.csdata,"",@progbits
; Kernel info:
; codeLenInByte = 4
; NumSgprs: 4
; NumVgprs: 0
; NumAgprs: 0
; TotalNumVgprs: 0
; ScratchSize: 0
; MemoryBound: 0
; FloatMode: 240
; IeeeMode: 1
; LDSByteSize: 0 bytes/workgroup (compile time only)
; SGPRBlocks: 0
; VGPRBlocks: 0
; NumSGPRsForWavesPerEU: 4
; NumVGPRsForWavesPerEU: 1
; AccumOffset: 4
; Occupancy: 8
; WaveLimiterHint : 0
; COMPUTE_PGM_RSRC2:SCRATCH_EN: 0
; COMPUTE_PGM_RSRC2:USER_SGPR: 4
; COMPUTE_PGM_RSRC2:TRAP_HANDLER: 0
; COMPUTE_PGM_RSRC2:TGID_X_EN: 1
; COMPUTE_PGM_RSRC2:TGID_Y_EN: 0
; COMPUTE_PGM_RSRC2:TGID_Z_EN: 0
; COMPUTE_PGM_RSRC2:TIDIG_COMP_CNT: 0
; COMPUTE_PGM_RSRC3_GFX90A:ACCUM_OFFSET: 0
; COMPUTE_PGM_RSRC3_GFX90A:TG_SPLIT: 0
	.section	.text._ZN7rocprim17ROCPRIM_400000_NS6detail44device_merge_sort_compile_time_verifier_archINS1_11comp_targetILNS1_3genE10ELNS1_11target_archE1201ELNS1_3gpuE5ELNS1_3repE0EEES8_NS1_28merge_sort_block_sort_configILj256ELj4ELNS0_20block_sort_algorithmE0EEENS0_14default_configENS1_37merge_sort_block_sort_config_selectorIllEENS1_38merge_sort_block_merge_config_selectorIllEEEEvv,"axG",@progbits,_ZN7rocprim17ROCPRIM_400000_NS6detail44device_merge_sort_compile_time_verifier_archINS1_11comp_targetILNS1_3genE10ELNS1_11target_archE1201ELNS1_3gpuE5ELNS1_3repE0EEES8_NS1_28merge_sort_block_sort_configILj256ELj4ELNS0_20block_sort_algorithmE0EEENS0_14default_configENS1_37merge_sort_block_sort_config_selectorIllEENS1_38merge_sort_block_merge_config_selectorIllEEEEvv,comdat
	.protected	_ZN7rocprim17ROCPRIM_400000_NS6detail44device_merge_sort_compile_time_verifier_archINS1_11comp_targetILNS1_3genE10ELNS1_11target_archE1201ELNS1_3gpuE5ELNS1_3repE0EEES8_NS1_28merge_sort_block_sort_configILj256ELj4ELNS0_20block_sort_algorithmE0EEENS0_14default_configENS1_37merge_sort_block_sort_config_selectorIllEENS1_38merge_sort_block_merge_config_selectorIllEEEEvv ; -- Begin function _ZN7rocprim17ROCPRIM_400000_NS6detail44device_merge_sort_compile_time_verifier_archINS1_11comp_targetILNS1_3genE10ELNS1_11target_archE1201ELNS1_3gpuE5ELNS1_3repE0EEES8_NS1_28merge_sort_block_sort_configILj256ELj4ELNS0_20block_sort_algorithmE0EEENS0_14default_configENS1_37merge_sort_block_sort_config_selectorIllEENS1_38merge_sort_block_merge_config_selectorIllEEEEvv
	.globl	_ZN7rocprim17ROCPRIM_400000_NS6detail44device_merge_sort_compile_time_verifier_archINS1_11comp_targetILNS1_3genE10ELNS1_11target_archE1201ELNS1_3gpuE5ELNS1_3repE0EEES8_NS1_28merge_sort_block_sort_configILj256ELj4ELNS0_20block_sort_algorithmE0EEENS0_14default_configENS1_37merge_sort_block_sort_config_selectorIllEENS1_38merge_sort_block_merge_config_selectorIllEEEEvv
	.p2align	8
	.type	_ZN7rocprim17ROCPRIM_400000_NS6detail44device_merge_sort_compile_time_verifier_archINS1_11comp_targetILNS1_3genE10ELNS1_11target_archE1201ELNS1_3gpuE5ELNS1_3repE0EEES8_NS1_28merge_sort_block_sort_configILj256ELj4ELNS0_20block_sort_algorithmE0EEENS0_14default_configENS1_37merge_sort_block_sort_config_selectorIllEENS1_38merge_sort_block_merge_config_selectorIllEEEEvv,@function
_ZN7rocprim17ROCPRIM_400000_NS6detail44device_merge_sort_compile_time_verifier_archINS1_11comp_targetILNS1_3genE10ELNS1_11target_archE1201ELNS1_3gpuE5ELNS1_3repE0EEES8_NS1_28merge_sort_block_sort_configILj256ELj4ELNS0_20block_sort_algorithmE0EEENS0_14default_configENS1_37merge_sort_block_sort_config_selectorIllEENS1_38merge_sort_block_merge_config_selectorIllEEEEvv: ; @_ZN7rocprim17ROCPRIM_400000_NS6detail44device_merge_sort_compile_time_verifier_archINS1_11comp_targetILNS1_3genE10ELNS1_11target_archE1201ELNS1_3gpuE5ELNS1_3repE0EEES8_NS1_28merge_sort_block_sort_configILj256ELj4ELNS0_20block_sort_algorithmE0EEENS0_14default_configENS1_37merge_sort_block_sort_config_selectorIllEENS1_38merge_sort_block_merge_config_selectorIllEEEEvv
; %bb.0:
	s_endpgm
	.section	.rodata,"a",@progbits
	.p2align	6, 0x0
	.amdhsa_kernel _ZN7rocprim17ROCPRIM_400000_NS6detail44device_merge_sort_compile_time_verifier_archINS1_11comp_targetILNS1_3genE10ELNS1_11target_archE1201ELNS1_3gpuE5ELNS1_3repE0EEES8_NS1_28merge_sort_block_sort_configILj256ELj4ELNS0_20block_sort_algorithmE0EEENS0_14default_configENS1_37merge_sort_block_sort_config_selectorIllEENS1_38merge_sort_block_merge_config_selectorIllEEEEvv
		.amdhsa_group_segment_fixed_size 0
		.amdhsa_private_segment_fixed_size 0
		.amdhsa_kernarg_size 0
		.amdhsa_user_sgpr_count 4
		.amdhsa_user_sgpr_private_segment_buffer 1
		.amdhsa_user_sgpr_dispatch_ptr 0
		.amdhsa_user_sgpr_queue_ptr 0
		.amdhsa_user_sgpr_kernarg_segment_ptr 0
		.amdhsa_user_sgpr_dispatch_id 0
		.amdhsa_user_sgpr_flat_scratch_init 0
		.amdhsa_user_sgpr_kernarg_preload_length 0
		.amdhsa_user_sgpr_kernarg_preload_offset 0
		.amdhsa_user_sgpr_private_segment_size 0
		.amdhsa_uses_dynamic_stack 0
		.amdhsa_system_sgpr_private_segment_wavefront_offset 0
		.amdhsa_system_sgpr_workgroup_id_x 1
		.amdhsa_system_sgpr_workgroup_id_y 0
		.amdhsa_system_sgpr_workgroup_id_z 0
		.amdhsa_system_sgpr_workgroup_info 0
		.amdhsa_system_vgpr_workitem_id 0
		.amdhsa_next_free_vgpr 1
		.amdhsa_next_free_sgpr 0
		.amdhsa_accum_offset 4
		.amdhsa_reserve_vcc 0
		.amdhsa_reserve_flat_scratch 0
		.amdhsa_float_round_mode_32 0
		.amdhsa_float_round_mode_16_64 0
		.amdhsa_float_denorm_mode_32 3
		.amdhsa_float_denorm_mode_16_64 3
		.amdhsa_dx10_clamp 1
		.amdhsa_ieee_mode 1
		.amdhsa_fp16_overflow 0
		.amdhsa_tg_split 0
		.amdhsa_exception_fp_ieee_invalid_op 0
		.amdhsa_exception_fp_denorm_src 0
		.amdhsa_exception_fp_ieee_div_zero 0
		.amdhsa_exception_fp_ieee_overflow 0
		.amdhsa_exception_fp_ieee_underflow 0
		.amdhsa_exception_fp_ieee_inexact 0
		.amdhsa_exception_int_div_zero 0
	.end_amdhsa_kernel
	.section	.text._ZN7rocprim17ROCPRIM_400000_NS6detail44device_merge_sort_compile_time_verifier_archINS1_11comp_targetILNS1_3genE10ELNS1_11target_archE1201ELNS1_3gpuE5ELNS1_3repE0EEES8_NS1_28merge_sort_block_sort_configILj256ELj4ELNS0_20block_sort_algorithmE0EEENS0_14default_configENS1_37merge_sort_block_sort_config_selectorIllEENS1_38merge_sort_block_merge_config_selectorIllEEEEvv,"axG",@progbits,_ZN7rocprim17ROCPRIM_400000_NS6detail44device_merge_sort_compile_time_verifier_archINS1_11comp_targetILNS1_3genE10ELNS1_11target_archE1201ELNS1_3gpuE5ELNS1_3repE0EEES8_NS1_28merge_sort_block_sort_configILj256ELj4ELNS0_20block_sort_algorithmE0EEENS0_14default_configENS1_37merge_sort_block_sort_config_selectorIllEENS1_38merge_sort_block_merge_config_selectorIllEEEEvv,comdat
.Lfunc_end1006:
	.size	_ZN7rocprim17ROCPRIM_400000_NS6detail44device_merge_sort_compile_time_verifier_archINS1_11comp_targetILNS1_3genE10ELNS1_11target_archE1201ELNS1_3gpuE5ELNS1_3repE0EEES8_NS1_28merge_sort_block_sort_configILj256ELj4ELNS0_20block_sort_algorithmE0EEENS0_14default_configENS1_37merge_sort_block_sort_config_selectorIllEENS1_38merge_sort_block_merge_config_selectorIllEEEEvv, .Lfunc_end1006-_ZN7rocprim17ROCPRIM_400000_NS6detail44device_merge_sort_compile_time_verifier_archINS1_11comp_targetILNS1_3genE10ELNS1_11target_archE1201ELNS1_3gpuE5ELNS1_3repE0EEES8_NS1_28merge_sort_block_sort_configILj256ELj4ELNS0_20block_sort_algorithmE0EEENS0_14default_configENS1_37merge_sort_block_sort_config_selectorIllEENS1_38merge_sort_block_merge_config_selectorIllEEEEvv
                                        ; -- End function
	.section	.AMDGPU.csdata,"",@progbits
; Kernel info:
; codeLenInByte = 4
; NumSgprs: 4
; NumVgprs: 0
; NumAgprs: 0
; TotalNumVgprs: 0
; ScratchSize: 0
; MemoryBound: 0
; FloatMode: 240
; IeeeMode: 1
; LDSByteSize: 0 bytes/workgroup (compile time only)
; SGPRBlocks: 0
; VGPRBlocks: 0
; NumSGPRsForWavesPerEU: 4
; NumVGPRsForWavesPerEU: 1
; AccumOffset: 4
; Occupancy: 8
; WaveLimiterHint : 0
; COMPUTE_PGM_RSRC2:SCRATCH_EN: 0
; COMPUTE_PGM_RSRC2:USER_SGPR: 4
; COMPUTE_PGM_RSRC2:TRAP_HANDLER: 0
; COMPUTE_PGM_RSRC2:TGID_X_EN: 1
; COMPUTE_PGM_RSRC2:TGID_Y_EN: 0
; COMPUTE_PGM_RSRC2:TGID_Z_EN: 0
; COMPUTE_PGM_RSRC2:TIDIG_COMP_CNT: 0
; COMPUTE_PGM_RSRC3_GFX90A:ACCUM_OFFSET: 0
; COMPUTE_PGM_RSRC3_GFX90A:TG_SPLIT: 0
	.section	.text._ZN7rocprim17ROCPRIM_400000_NS6detail44device_merge_sort_compile_time_verifier_archINS1_11comp_targetILNS1_3genE10ELNS1_11target_archE1200ELNS1_3gpuE4ELNS1_3repE0EEENS3_ILS4_10ELS5_1201ELS6_5ELS7_0EEENS1_28merge_sort_block_sort_configILj256ELj4ELNS0_20block_sort_algorithmE0EEENS0_14default_configENS1_37merge_sort_block_sort_config_selectorIllEENS1_38merge_sort_block_merge_config_selectorIllEEEEvv,"axG",@progbits,_ZN7rocprim17ROCPRIM_400000_NS6detail44device_merge_sort_compile_time_verifier_archINS1_11comp_targetILNS1_3genE10ELNS1_11target_archE1200ELNS1_3gpuE4ELNS1_3repE0EEENS3_ILS4_10ELS5_1201ELS6_5ELS7_0EEENS1_28merge_sort_block_sort_configILj256ELj4ELNS0_20block_sort_algorithmE0EEENS0_14default_configENS1_37merge_sort_block_sort_config_selectorIllEENS1_38merge_sort_block_merge_config_selectorIllEEEEvv,comdat
	.protected	_ZN7rocprim17ROCPRIM_400000_NS6detail44device_merge_sort_compile_time_verifier_archINS1_11comp_targetILNS1_3genE10ELNS1_11target_archE1200ELNS1_3gpuE4ELNS1_3repE0EEENS3_ILS4_10ELS5_1201ELS6_5ELS7_0EEENS1_28merge_sort_block_sort_configILj256ELj4ELNS0_20block_sort_algorithmE0EEENS0_14default_configENS1_37merge_sort_block_sort_config_selectorIllEENS1_38merge_sort_block_merge_config_selectorIllEEEEvv ; -- Begin function _ZN7rocprim17ROCPRIM_400000_NS6detail44device_merge_sort_compile_time_verifier_archINS1_11comp_targetILNS1_3genE10ELNS1_11target_archE1200ELNS1_3gpuE4ELNS1_3repE0EEENS3_ILS4_10ELS5_1201ELS6_5ELS7_0EEENS1_28merge_sort_block_sort_configILj256ELj4ELNS0_20block_sort_algorithmE0EEENS0_14default_configENS1_37merge_sort_block_sort_config_selectorIllEENS1_38merge_sort_block_merge_config_selectorIllEEEEvv
	.globl	_ZN7rocprim17ROCPRIM_400000_NS6detail44device_merge_sort_compile_time_verifier_archINS1_11comp_targetILNS1_3genE10ELNS1_11target_archE1200ELNS1_3gpuE4ELNS1_3repE0EEENS3_ILS4_10ELS5_1201ELS6_5ELS7_0EEENS1_28merge_sort_block_sort_configILj256ELj4ELNS0_20block_sort_algorithmE0EEENS0_14default_configENS1_37merge_sort_block_sort_config_selectorIllEENS1_38merge_sort_block_merge_config_selectorIllEEEEvv
	.p2align	8
	.type	_ZN7rocprim17ROCPRIM_400000_NS6detail44device_merge_sort_compile_time_verifier_archINS1_11comp_targetILNS1_3genE10ELNS1_11target_archE1200ELNS1_3gpuE4ELNS1_3repE0EEENS3_ILS4_10ELS5_1201ELS6_5ELS7_0EEENS1_28merge_sort_block_sort_configILj256ELj4ELNS0_20block_sort_algorithmE0EEENS0_14default_configENS1_37merge_sort_block_sort_config_selectorIllEENS1_38merge_sort_block_merge_config_selectorIllEEEEvv,@function
_ZN7rocprim17ROCPRIM_400000_NS6detail44device_merge_sort_compile_time_verifier_archINS1_11comp_targetILNS1_3genE10ELNS1_11target_archE1200ELNS1_3gpuE4ELNS1_3repE0EEENS3_ILS4_10ELS5_1201ELS6_5ELS7_0EEENS1_28merge_sort_block_sort_configILj256ELj4ELNS0_20block_sort_algorithmE0EEENS0_14default_configENS1_37merge_sort_block_sort_config_selectorIllEENS1_38merge_sort_block_merge_config_selectorIllEEEEvv: ; @_ZN7rocprim17ROCPRIM_400000_NS6detail44device_merge_sort_compile_time_verifier_archINS1_11comp_targetILNS1_3genE10ELNS1_11target_archE1200ELNS1_3gpuE4ELNS1_3repE0EEENS3_ILS4_10ELS5_1201ELS6_5ELS7_0EEENS1_28merge_sort_block_sort_configILj256ELj4ELNS0_20block_sort_algorithmE0EEENS0_14default_configENS1_37merge_sort_block_sort_config_selectorIllEENS1_38merge_sort_block_merge_config_selectorIllEEEEvv
; %bb.0:
	s_endpgm
	.section	.rodata,"a",@progbits
	.p2align	6, 0x0
	.amdhsa_kernel _ZN7rocprim17ROCPRIM_400000_NS6detail44device_merge_sort_compile_time_verifier_archINS1_11comp_targetILNS1_3genE10ELNS1_11target_archE1200ELNS1_3gpuE4ELNS1_3repE0EEENS3_ILS4_10ELS5_1201ELS6_5ELS7_0EEENS1_28merge_sort_block_sort_configILj256ELj4ELNS0_20block_sort_algorithmE0EEENS0_14default_configENS1_37merge_sort_block_sort_config_selectorIllEENS1_38merge_sort_block_merge_config_selectorIllEEEEvv
		.amdhsa_group_segment_fixed_size 0
		.amdhsa_private_segment_fixed_size 0
		.amdhsa_kernarg_size 0
		.amdhsa_user_sgpr_count 4
		.amdhsa_user_sgpr_private_segment_buffer 1
		.amdhsa_user_sgpr_dispatch_ptr 0
		.amdhsa_user_sgpr_queue_ptr 0
		.amdhsa_user_sgpr_kernarg_segment_ptr 0
		.amdhsa_user_sgpr_dispatch_id 0
		.amdhsa_user_sgpr_flat_scratch_init 0
		.amdhsa_user_sgpr_kernarg_preload_length 0
		.amdhsa_user_sgpr_kernarg_preload_offset 0
		.amdhsa_user_sgpr_private_segment_size 0
		.amdhsa_uses_dynamic_stack 0
		.amdhsa_system_sgpr_private_segment_wavefront_offset 0
		.amdhsa_system_sgpr_workgroup_id_x 1
		.amdhsa_system_sgpr_workgroup_id_y 0
		.amdhsa_system_sgpr_workgroup_id_z 0
		.amdhsa_system_sgpr_workgroup_info 0
		.amdhsa_system_vgpr_workitem_id 0
		.amdhsa_next_free_vgpr 1
		.amdhsa_next_free_sgpr 0
		.amdhsa_accum_offset 4
		.amdhsa_reserve_vcc 0
		.amdhsa_reserve_flat_scratch 0
		.amdhsa_float_round_mode_32 0
		.amdhsa_float_round_mode_16_64 0
		.amdhsa_float_denorm_mode_32 3
		.amdhsa_float_denorm_mode_16_64 3
		.amdhsa_dx10_clamp 1
		.amdhsa_ieee_mode 1
		.amdhsa_fp16_overflow 0
		.amdhsa_tg_split 0
		.amdhsa_exception_fp_ieee_invalid_op 0
		.amdhsa_exception_fp_denorm_src 0
		.amdhsa_exception_fp_ieee_div_zero 0
		.amdhsa_exception_fp_ieee_overflow 0
		.amdhsa_exception_fp_ieee_underflow 0
		.amdhsa_exception_fp_ieee_inexact 0
		.amdhsa_exception_int_div_zero 0
	.end_amdhsa_kernel
	.section	.text._ZN7rocprim17ROCPRIM_400000_NS6detail44device_merge_sort_compile_time_verifier_archINS1_11comp_targetILNS1_3genE10ELNS1_11target_archE1200ELNS1_3gpuE4ELNS1_3repE0EEENS3_ILS4_10ELS5_1201ELS6_5ELS7_0EEENS1_28merge_sort_block_sort_configILj256ELj4ELNS0_20block_sort_algorithmE0EEENS0_14default_configENS1_37merge_sort_block_sort_config_selectorIllEENS1_38merge_sort_block_merge_config_selectorIllEEEEvv,"axG",@progbits,_ZN7rocprim17ROCPRIM_400000_NS6detail44device_merge_sort_compile_time_verifier_archINS1_11comp_targetILNS1_3genE10ELNS1_11target_archE1200ELNS1_3gpuE4ELNS1_3repE0EEENS3_ILS4_10ELS5_1201ELS6_5ELS7_0EEENS1_28merge_sort_block_sort_configILj256ELj4ELNS0_20block_sort_algorithmE0EEENS0_14default_configENS1_37merge_sort_block_sort_config_selectorIllEENS1_38merge_sort_block_merge_config_selectorIllEEEEvv,comdat
.Lfunc_end1007:
	.size	_ZN7rocprim17ROCPRIM_400000_NS6detail44device_merge_sort_compile_time_verifier_archINS1_11comp_targetILNS1_3genE10ELNS1_11target_archE1200ELNS1_3gpuE4ELNS1_3repE0EEENS3_ILS4_10ELS5_1201ELS6_5ELS7_0EEENS1_28merge_sort_block_sort_configILj256ELj4ELNS0_20block_sort_algorithmE0EEENS0_14default_configENS1_37merge_sort_block_sort_config_selectorIllEENS1_38merge_sort_block_merge_config_selectorIllEEEEvv, .Lfunc_end1007-_ZN7rocprim17ROCPRIM_400000_NS6detail44device_merge_sort_compile_time_verifier_archINS1_11comp_targetILNS1_3genE10ELNS1_11target_archE1200ELNS1_3gpuE4ELNS1_3repE0EEENS3_ILS4_10ELS5_1201ELS6_5ELS7_0EEENS1_28merge_sort_block_sort_configILj256ELj4ELNS0_20block_sort_algorithmE0EEENS0_14default_configENS1_37merge_sort_block_sort_config_selectorIllEENS1_38merge_sort_block_merge_config_selectorIllEEEEvv
                                        ; -- End function
	.section	.AMDGPU.csdata,"",@progbits
; Kernel info:
; codeLenInByte = 4
; NumSgprs: 4
; NumVgprs: 0
; NumAgprs: 0
; TotalNumVgprs: 0
; ScratchSize: 0
; MemoryBound: 0
; FloatMode: 240
; IeeeMode: 1
; LDSByteSize: 0 bytes/workgroup (compile time only)
; SGPRBlocks: 0
; VGPRBlocks: 0
; NumSGPRsForWavesPerEU: 4
; NumVGPRsForWavesPerEU: 1
; AccumOffset: 4
; Occupancy: 8
; WaveLimiterHint : 0
; COMPUTE_PGM_RSRC2:SCRATCH_EN: 0
; COMPUTE_PGM_RSRC2:USER_SGPR: 4
; COMPUTE_PGM_RSRC2:TRAP_HANDLER: 0
; COMPUTE_PGM_RSRC2:TGID_X_EN: 1
; COMPUTE_PGM_RSRC2:TGID_Y_EN: 0
; COMPUTE_PGM_RSRC2:TGID_Z_EN: 0
; COMPUTE_PGM_RSRC2:TIDIG_COMP_CNT: 0
; COMPUTE_PGM_RSRC3_GFX90A:ACCUM_OFFSET: 0
; COMPUTE_PGM_RSRC3_GFX90A:TG_SPLIT: 0
	.section	.text._ZN7rocprim17ROCPRIM_400000_NS6detail44device_merge_sort_compile_time_verifier_archINS1_11comp_targetILNS1_3genE9ELNS1_11target_archE1100ELNS1_3gpuE3ELNS1_3repE0EEES8_NS1_28merge_sort_block_sort_configILj256ELj4ELNS0_20block_sort_algorithmE0EEENS0_14default_configENS1_37merge_sort_block_sort_config_selectorIllEENS1_38merge_sort_block_merge_config_selectorIllEEEEvv,"axG",@progbits,_ZN7rocprim17ROCPRIM_400000_NS6detail44device_merge_sort_compile_time_verifier_archINS1_11comp_targetILNS1_3genE9ELNS1_11target_archE1100ELNS1_3gpuE3ELNS1_3repE0EEES8_NS1_28merge_sort_block_sort_configILj256ELj4ELNS0_20block_sort_algorithmE0EEENS0_14default_configENS1_37merge_sort_block_sort_config_selectorIllEENS1_38merge_sort_block_merge_config_selectorIllEEEEvv,comdat
	.protected	_ZN7rocprim17ROCPRIM_400000_NS6detail44device_merge_sort_compile_time_verifier_archINS1_11comp_targetILNS1_3genE9ELNS1_11target_archE1100ELNS1_3gpuE3ELNS1_3repE0EEES8_NS1_28merge_sort_block_sort_configILj256ELj4ELNS0_20block_sort_algorithmE0EEENS0_14default_configENS1_37merge_sort_block_sort_config_selectorIllEENS1_38merge_sort_block_merge_config_selectorIllEEEEvv ; -- Begin function _ZN7rocprim17ROCPRIM_400000_NS6detail44device_merge_sort_compile_time_verifier_archINS1_11comp_targetILNS1_3genE9ELNS1_11target_archE1100ELNS1_3gpuE3ELNS1_3repE0EEES8_NS1_28merge_sort_block_sort_configILj256ELj4ELNS0_20block_sort_algorithmE0EEENS0_14default_configENS1_37merge_sort_block_sort_config_selectorIllEENS1_38merge_sort_block_merge_config_selectorIllEEEEvv
	.globl	_ZN7rocprim17ROCPRIM_400000_NS6detail44device_merge_sort_compile_time_verifier_archINS1_11comp_targetILNS1_3genE9ELNS1_11target_archE1100ELNS1_3gpuE3ELNS1_3repE0EEES8_NS1_28merge_sort_block_sort_configILj256ELj4ELNS0_20block_sort_algorithmE0EEENS0_14default_configENS1_37merge_sort_block_sort_config_selectorIllEENS1_38merge_sort_block_merge_config_selectorIllEEEEvv
	.p2align	8
	.type	_ZN7rocprim17ROCPRIM_400000_NS6detail44device_merge_sort_compile_time_verifier_archINS1_11comp_targetILNS1_3genE9ELNS1_11target_archE1100ELNS1_3gpuE3ELNS1_3repE0EEES8_NS1_28merge_sort_block_sort_configILj256ELj4ELNS0_20block_sort_algorithmE0EEENS0_14default_configENS1_37merge_sort_block_sort_config_selectorIllEENS1_38merge_sort_block_merge_config_selectorIllEEEEvv,@function
_ZN7rocprim17ROCPRIM_400000_NS6detail44device_merge_sort_compile_time_verifier_archINS1_11comp_targetILNS1_3genE9ELNS1_11target_archE1100ELNS1_3gpuE3ELNS1_3repE0EEES8_NS1_28merge_sort_block_sort_configILj256ELj4ELNS0_20block_sort_algorithmE0EEENS0_14default_configENS1_37merge_sort_block_sort_config_selectorIllEENS1_38merge_sort_block_merge_config_selectorIllEEEEvv: ; @_ZN7rocprim17ROCPRIM_400000_NS6detail44device_merge_sort_compile_time_verifier_archINS1_11comp_targetILNS1_3genE9ELNS1_11target_archE1100ELNS1_3gpuE3ELNS1_3repE0EEES8_NS1_28merge_sort_block_sort_configILj256ELj4ELNS0_20block_sort_algorithmE0EEENS0_14default_configENS1_37merge_sort_block_sort_config_selectorIllEENS1_38merge_sort_block_merge_config_selectorIllEEEEvv
; %bb.0:
	s_endpgm
	.section	.rodata,"a",@progbits
	.p2align	6, 0x0
	.amdhsa_kernel _ZN7rocprim17ROCPRIM_400000_NS6detail44device_merge_sort_compile_time_verifier_archINS1_11comp_targetILNS1_3genE9ELNS1_11target_archE1100ELNS1_3gpuE3ELNS1_3repE0EEES8_NS1_28merge_sort_block_sort_configILj256ELj4ELNS0_20block_sort_algorithmE0EEENS0_14default_configENS1_37merge_sort_block_sort_config_selectorIllEENS1_38merge_sort_block_merge_config_selectorIllEEEEvv
		.amdhsa_group_segment_fixed_size 0
		.amdhsa_private_segment_fixed_size 0
		.amdhsa_kernarg_size 0
		.amdhsa_user_sgpr_count 4
		.amdhsa_user_sgpr_private_segment_buffer 1
		.amdhsa_user_sgpr_dispatch_ptr 0
		.amdhsa_user_sgpr_queue_ptr 0
		.amdhsa_user_sgpr_kernarg_segment_ptr 0
		.amdhsa_user_sgpr_dispatch_id 0
		.amdhsa_user_sgpr_flat_scratch_init 0
		.amdhsa_user_sgpr_kernarg_preload_length 0
		.amdhsa_user_sgpr_kernarg_preload_offset 0
		.amdhsa_user_sgpr_private_segment_size 0
		.amdhsa_uses_dynamic_stack 0
		.amdhsa_system_sgpr_private_segment_wavefront_offset 0
		.amdhsa_system_sgpr_workgroup_id_x 1
		.amdhsa_system_sgpr_workgroup_id_y 0
		.amdhsa_system_sgpr_workgroup_id_z 0
		.amdhsa_system_sgpr_workgroup_info 0
		.amdhsa_system_vgpr_workitem_id 0
		.amdhsa_next_free_vgpr 1
		.amdhsa_next_free_sgpr 0
		.amdhsa_accum_offset 4
		.amdhsa_reserve_vcc 0
		.amdhsa_reserve_flat_scratch 0
		.amdhsa_float_round_mode_32 0
		.amdhsa_float_round_mode_16_64 0
		.amdhsa_float_denorm_mode_32 3
		.amdhsa_float_denorm_mode_16_64 3
		.amdhsa_dx10_clamp 1
		.amdhsa_ieee_mode 1
		.amdhsa_fp16_overflow 0
		.amdhsa_tg_split 0
		.amdhsa_exception_fp_ieee_invalid_op 0
		.amdhsa_exception_fp_denorm_src 0
		.amdhsa_exception_fp_ieee_div_zero 0
		.amdhsa_exception_fp_ieee_overflow 0
		.amdhsa_exception_fp_ieee_underflow 0
		.amdhsa_exception_fp_ieee_inexact 0
		.amdhsa_exception_int_div_zero 0
	.end_amdhsa_kernel
	.section	.text._ZN7rocprim17ROCPRIM_400000_NS6detail44device_merge_sort_compile_time_verifier_archINS1_11comp_targetILNS1_3genE9ELNS1_11target_archE1100ELNS1_3gpuE3ELNS1_3repE0EEES8_NS1_28merge_sort_block_sort_configILj256ELj4ELNS0_20block_sort_algorithmE0EEENS0_14default_configENS1_37merge_sort_block_sort_config_selectorIllEENS1_38merge_sort_block_merge_config_selectorIllEEEEvv,"axG",@progbits,_ZN7rocprim17ROCPRIM_400000_NS6detail44device_merge_sort_compile_time_verifier_archINS1_11comp_targetILNS1_3genE9ELNS1_11target_archE1100ELNS1_3gpuE3ELNS1_3repE0EEES8_NS1_28merge_sort_block_sort_configILj256ELj4ELNS0_20block_sort_algorithmE0EEENS0_14default_configENS1_37merge_sort_block_sort_config_selectorIllEENS1_38merge_sort_block_merge_config_selectorIllEEEEvv,comdat
.Lfunc_end1008:
	.size	_ZN7rocprim17ROCPRIM_400000_NS6detail44device_merge_sort_compile_time_verifier_archINS1_11comp_targetILNS1_3genE9ELNS1_11target_archE1100ELNS1_3gpuE3ELNS1_3repE0EEES8_NS1_28merge_sort_block_sort_configILj256ELj4ELNS0_20block_sort_algorithmE0EEENS0_14default_configENS1_37merge_sort_block_sort_config_selectorIllEENS1_38merge_sort_block_merge_config_selectorIllEEEEvv, .Lfunc_end1008-_ZN7rocprim17ROCPRIM_400000_NS6detail44device_merge_sort_compile_time_verifier_archINS1_11comp_targetILNS1_3genE9ELNS1_11target_archE1100ELNS1_3gpuE3ELNS1_3repE0EEES8_NS1_28merge_sort_block_sort_configILj256ELj4ELNS0_20block_sort_algorithmE0EEENS0_14default_configENS1_37merge_sort_block_sort_config_selectorIllEENS1_38merge_sort_block_merge_config_selectorIllEEEEvv
                                        ; -- End function
	.section	.AMDGPU.csdata,"",@progbits
; Kernel info:
; codeLenInByte = 4
; NumSgprs: 4
; NumVgprs: 0
; NumAgprs: 0
; TotalNumVgprs: 0
; ScratchSize: 0
; MemoryBound: 0
; FloatMode: 240
; IeeeMode: 1
; LDSByteSize: 0 bytes/workgroup (compile time only)
; SGPRBlocks: 0
; VGPRBlocks: 0
; NumSGPRsForWavesPerEU: 4
; NumVGPRsForWavesPerEU: 1
; AccumOffset: 4
; Occupancy: 8
; WaveLimiterHint : 0
; COMPUTE_PGM_RSRC2:SCRATCH_EN: 0
; COMPUTE_PGM_RSRC2:USER_SGPR: 4
; COMPUTE_PGM_RSRC2:TRAP_HANDLER: 0
; COMPUTE_PGM_RSRC2:TGID_X_EN: 1
; COMPUTE_PGM_RSRC2:TGID_Y_EN: 0
; COMPUTE_PGM_RSRC2:TGID_Z_EN: 0
; COMPUTE_PGM_RSRC2:TIDIG_COMP_CNT: 0
; COMPUTE_PGM_RSRC3_GFX90A:ACCUM_OFFSET: 0
; COMPUTE_PGM_RSRC3_GFX90A:TG_SPLIT: 0
	.section	.text._ZN7rocprim17ROCPRIM_400000_NS6detail44device_merge_sort_compile_time_verifier_archINS1_11comp_targetILNS1_3genE8ELNS1_11target_archE1030ELNS1_3gpuE2ELNS1_3repE0EEES8_NS1_28merge_sort_block_sort_configILj256ELj4ELNS0_20block_sort_algorithmE0EEENS0_14default_configENS1_37merge_sort_block_sort_config_selectorIllEENS1_38merge_sort_block_merge_config_selectorIllEEEEvv,"axG",@progbits,_ZN7rocprim17ROCPRIM_400000_NS6detail44device_merge_sort_compile_time_verifier_archINS1_11comp_targetILNS1_3genE8ELNS1_11target_archE1030ELNS1_3gpuE2ELNS1_3repE0EEES8_NS1_28merge_sort_block_sort_configILj256ELj4ELNS0_20block_sort_algorithmE0EEENS0_14default_configENS1_37merge_sort_block_sort_config_selectorIllEENS1_38merge_sort_block_merge_config_selectorIllEEEEvv,comdat
	.protected	_ZN7rocprim17ROCPRIM_400000_NS6detail44device_merge_sort_compile_time_verifier_archINS1_11comp_targetILNS1_3genE8ELNS1_11target_archE1030ELNS1_3gpuE2ELNS1_3repE0EEES8_NS1_28merge_sort_block_sort_configILj256ELj4ELNS0_20block_sort_algorithmE0EEENS0_14default_configENS1_37merge_sort_block_sort_config_selectorIllEENS1_38merge_sort_block_merge_config_selectorIllEEEEvv ; -- Begin function _ZN7rocprim17ROCPRIM_400000_NS6detail44device_merge_sort_compile_time_verifier_archINS1_11comp_targetILNS1_3genE8ELNS1_11target_archE1030ELNS1_3gpuE2ELNS1_3repE0EEES8_NS1_28merge_sort_block_sort_configILj256ELj4ELNS0_20block_sort_algorithmE0EEENS0_14default_configENS1_37merge_sort_block_sort_config_selectorIllEENS1_38merge_sort_block_merge_config_selectorIllEEEEvv
	.globl	_ZN7rocprim17ROCPRIM_400000_NS6detail44device_merge_sort_compile_time_verifier_archINS1_11comp_targetILNS1_3genE8ELNS1_11target_archE1030ELNS1_3gpuE2ELNS1_3repE0EEES8_NS1_28merge_sort_block_sort_configILj256ELj4ELNS0_20block_sort_algorithmE0EEENS0_14default_configENS1_37merge_sort_block_sort_config_selectorIllEENS1_38merge_sort_block_merge_config_selectorIllEEEEvv
	.p2align	8
	.type	_ZN7rocprim17ROCPRIM_400000_NS6detail44device_merge_sort_compile_time_verifier_archINS1_11comp_targetILNS1_3genE8ELNS1_11target_archE1030ELNS1_3gpuE2ELNS1_3repE0EEES8_NS1_28merge_sort_block_sort_configILj256ELj4ELNS0_20block_sort_algorithmE0EEENS0_14default_configENS1_37merge_sort_block_sort_config_selectorIllEENS1_38merge_sort_block_merge_config_selectorIllEEEEvv,@function
_ZN7rocprim17ROCPRIM_400000_NS6detail44device_merge_sort_compile_time_verifier_archINS1_11comp_targetILNS1_3genE8ELNS1_11target_archE1030ELNS1_3gpuE2ELNS1_3repE0EEES8_NS1_28merge_sort_block_sort_configILj256ELj4ELNS0_20block_sort_algorithmE0EEENS0_14default_configENS1_37merge_sort_block_sort_config_selectorIllEENS1_38merge_sort_block_merge_config_selectorIllEEEEvv: ; @_ZN7rocprim17ROCPRIM_400000_NS6detail44device_merge_sort_compile_time_verifier_archINS1_11comp_targetILNS1_3genE8ELNS1_11target_archE1030ELNS1_3gpuE2ELNS1_3repE0EEES8_NS1_28merge_sort_block_sort_configILj256ELj4ELNS0_20block_sort_algorithmE0EEENS0_14default_configENS1_37merge_sort_block_sort_config_selectorIllEENS1_38merge_sort_block_merge_config_selectorIllEEEEvv
; %bb.0:
	s_endpgm
	.section	.rodata,"a",@progbits
	.p2align	6, 0x0
	.amdhsa_kernel _ZN7rocprim17ROCPRIM_400000_NS6detail44device_merge_sort_compile_time_verifier_archINS1_11comp_targetILNS1_3genE8ELNS1_11target_archE1030ELNS1_3gpuE2ELNS1_3repE0EEES8_NS1_28merge_sort_block_sort_configILj256ELj4ELNS0_20block_sort_algorithmE0EEENS0_14default_configENS1_37merge_sort_block_sort_config_selectorIllEENS1_38merge_sort_block_merge_config_selectorIllEEEEvv
		.amdhsa_group_segment_fixed_size 0
		.amdhsa_private_segment_fixed_size 0
		.amdhsa_kernarg_size 0
		.amdhsa_user_sgpr_count 4
		.amdhsa_user_sgpr_private_segment_buffer 1
		.amdhsa_user_sgpr_dispatch_ptr 0
		.amdhsa_user_sgpr_queue_ptr 0
		.amdhsa_user_sgpr_kernarg_segment_ptr 0
		.amdhsa_user_sgpr_dispatch_id 0
		.amdhsa_user_sgpr_flat_scratch_init 0
		.amdhsa_user_sgpr_kernarg_preload_length 0
		.amdhsa_user_sgpr_kernarg_preload_offset 0
		.amdhsa_user_sgpr_private_segment_size 0
		.amdhsa_uses_dynamic_stack 0
		.amdhsa_system_sgpr_private_segment_wavefront_offset 0
		.amdhsa_system_sgpr_workgroup_id_x 1
		.amdhsa_system_sgpr_workgroup_id_y 0
		.amdhsa_system_sgpr_workgroup_id_z 0
		.amdhsa_system_sgpr_workgroup_info 0
		.amdhsa_system_vgpr_workitem_id 0
		.amdhsa_next_free_vgpr 1
		.amdhsa_next_free_sgpr 0
		.amdhsa_accum_offset 4
		.amdhsa_reserve_vcc 0
		.amdhsa_reserve_flat_scratch 0
		.amdhsa_float_round_mode_32 0
		.amdhsa_float_round_mode_16_64 0
		.amdhsa_float_denorm_mode_32 3
		.amdhsa_float_denorm_mode_16_64 3
		.amdhsa_dx10_clamp 1
		.amdhsa_ieee_mode 1
		.amdhsa_fp16_overflow 0
		.amdhsa_tg_split 0
		.amdhsa_exception_fp_ieee_invalid_op 0
		.amdhsa_exception_fp_denorm_src 0
		.amdhsa_exception_fp_ieee_div_zero 0
		.amdhsa_exception_fp_ieee_overflow 0
		.amdhsa_exception_fp_ieee_underflow 0
		.amdhsa_exception_fp_ieee_inexact 0
		.amdhsa_exception_int_div_zero 0
	.end_amdhsa_kernel
	.section	.text._ZN7rocprim17ROCPRIM_400000_NS6detail44device_merge_sort_compile_time_verifier_archINS1_11comp_targetILNS1_3genE8ELNS1_11target_archE1030ELNS1_3gpuE2ELNS1_3repE0EEES8_NS1_28merge_sort_block_sort_configILj256ELj4ELNS0_20block_sort_algorithmE0EEENS0_14default_configENS1_37merge_sort_block_sort_config_selectorIllEENS1_38merge_sort_block_merge_config_selectorIllEEEEvv,"axG",@progbits,_ZN7rocprim17ROCPRIM_400000_NS6detail44device_merge_sort_compile_time_verifier_archINS1_11comp_targetILNS1_3genE8ELNS1_11target_archE1030ELNS1_3gpuE2ELNS1_3repE0EEES8_NS1_28merge_sort_block_sort_configILj256ELj4ELNS0_20block_sort_algorithmE0EEENS0_14default_configENS1_37merge_sort_block_sort_config_selectorIllEENS1_38merge_sort_block_merge_config_selectorIllEEEEvv,comdat
.Lfunc_end1009:
	.size	_ZN7rocprim17ROCPRIM_400000_NS6detail44device_merge_sort_compile_time_verifier_archINS1_11comp_targetILNS1_3genE8ELNS1_11target_archE1030ELNS1_3gpuE2ELNS1_3repE0EEES8_NS1_28merge_sort_block_sort_configILj256ELj4ELNS0_20block_sort_algorithmE0EEENS0_14default_configENS1_37merge_sort_block_sort_config_selectorIllEENS1_38merge_sort_block_merge_config_selectorIllEEEEvv, .Lfunc_end1009-_ZN7rocprim17ROCPRIM_400000_NS6detail44device_merge_sort_compile_time_verifier_archINS1_11comp_targetILNS1_3genE8ELNS1_11target_archE1030ELNS1_3gpuE2ELNS1_3repE0EEES8_NS1_28merge_sort_block_sort_configILj256ELj4ELNS0_20block_sort_algorithmE0EEENS0_14default_configENS1_37merge_sort_block_sort_config_selectorIllEENS1_38merge_sort_block_merge_config_selectorIllEEEEvv
                                        ; -- End function
	.section	.AMDGPU.csdata,"",@progbits
; Kernel info:
; codeLenInByte = 4
; NumSgprs: 4
; NumVgprs: 0
; NumAgprs: 0
; TotalNumVgprs: 0
; ScratchSize: 0
; MemoryBound: 0
; FloatMode: 240
; IeeeMode: 1
; LDSByteSize: 0 bytes/workgroup (compile time only)
; SGPRBlocks: 0
; VGPRBlocks: 0
; NumSGPRsForWavesPerEU: 4
; NumVGPRsForWavesPerEU: 1
; AccumOffset: 4
; Occupancy: 8
; WaveLimiterHint : 0
; COMPUTE_PGM_RSRC2:SCRATCH_EN: 0
; COMPUTE_PGM_RSRC2:USER_SGPR: 4
; COMPUTE_PGM_RSRC2:TRAP_HANDLER: 0
; COMPUTE_PGM_RSRC2:TGID_X_EN: 1
; COMPUTE_PGM_RSRC2:TGID_Y_EN: 0
; COMPUTE_PGM_RSRC2:TGID_Z_EN: 0
; COMPUTE_PGM_RSRC2:TIDIG_COMP_CNT: 0
; COMPUTE_PGM_RSRC3_GFX90A:ACCUM_OFFSET: 0
; COMPUTE_PGM_RSRC3_GFX90A:TG_SPLIT: 0
	.section	.text._ZN7rocprim17ROCPRIM_400000_NS6detail17trampoline_kernelINS0_14default_configENS1_38merge_sort_block_merge_config_selectorIllEEZZNS1_27merge_sort_block_merge_implIS3_PlN6thrust23THRUST_200600_302600_NS10device_ptrIlEEjNS1_19radix_merge_compareILb0ELb0ElNS0_19identity_decomposerEEEEE10hipError_tT0_T1_T2_jT3_P12ihipStream_tbPNSt15iterator_traitsISG_E10value_typeEPNSM_ISH_E10value_typeEPSI_NS1_7vsmem_tEENKUlT_SG_SH_SI_E_clIS7_S7_S7_SB_EESF_SV_SG_SH_SI_EUlSV_E_NS1_11comp_targetILNS1_3genE0ELNS1_11target_archE4294967295ELNS1_3gpuE0ELNS1_3repE0EEENS1_48merge_mergepath_partition_config_static_selectorELNS0_4arch9wavefront6targetE1EEEvSH_,"axG",@progbits,_ZN7rocprim17ROCPRIM_400000_NS6detail17trampoline_kernelINS0_14default_configENS1_38merge_sort_block_merge_config_selectorIllEEZZNS1_27merge_sort_block_merge_implIS3_PlN6thrust23THRUST_200600_302600_NS10device_ptrIlEEjNS1_19radix_merge_compareILb0ELb0ElNS0_19identity_decomposerEEEEE10hipError_tT0_T1_T2_jT3_P12ihipStream_tbPNSt15iterator_traitsISG_E10value_typeEPNSM_ISH_E10value_typeEPSI_NS1_7vsmem_tEENKUlT_SG_SH_SI_E_clIS7_S7_S7_SB_EESF_SV_SG_SH_SI_EUlSV_E_NS1_11comp_targetILNS1_3genE0ELNS1_11target_archE4294967295ELNS1_3gpuE0ELNS1_3repE0EEENS1_48merge_mergepath_partition_config_static_selectorELNS0_4arch9wavefront6targetE1EEEvSH_,comdat
	.protected	_ZN7rocprim17ROCPRIM_400000_NS6detail17trampoline_kernelINS0_14default_configENS1_38merge_sort_block_merge_config_selectorIllEEZZNS1_27merge_sort_block_merge_implIS3_PlN6thrust23THRUST_200600_302600_NS10device_ptrIlEEjNS1_19radix_merge_compareILb0ELb0ElNS0_19identity_decomposerEEEEE10hipError_tT0_T1_T2_jT3_P12ihipStream_tbPNSt15iterator_traitsISG_E10value_typeEPNSM_ISH_E10value_typeEPSI_NS1_7vsmem_tEENKUlT_SG_SH_SI_E_clIS7_S7_S7_SB_EESF_SV_SG_SH_SI_EUlSV_E_NS1_11comp_targetILNS1_3genE0ELNS1_11target_archE4294967295ELNS1_3gpuE0ELNS1_3repE0EEENS1_48merge_mergepath_partition_config_static_selectorELNS0_4arch9wavefront6targetE1EEEvSH_ ; -- Begin function _ZN7rocprim17ROCPRIM_400000_NS6detail17trampoline_kernelINS0_14default_configENS1_38merge_sort_block_merge_config_selectorIllEEZZNS1_27merge_sort_block_merge_implIS3_PlN6thrust23THRUST_200600_302600_NS10device_ptrIlEEjNS1_19radix_merge_compareILb0ELb0ElNS0_19identity_decomposerEEEEE10hipError_tT0_T1_T2_jT3_P12ihipStream_tbPNSt15iterator_traitsISG_E10value_typeEPNSM_ISH_E10value_typeEPSI_NS1_7vsmem_tEENKUlT_SG_SH_SI_E_clIS7_S7_S7_SB_EESF_SV_SG_SH_SI_EUlSV_E_NS1_11comp_targetILNS1_3genE0ELNS1_11target_archE4294967295ELNS1_3gpuE0ELNS1_3repE0EEENS1_48merge_mergepath_partition_config_static_selectorELNS0_4arch9wavefront6targetE1EEEvSH_
	.globl	_ZN7rocprim17ROCPRIM_400000_NS6detail17trampoline_kernelINS0_14default_configENS1_38merge_sort_block_merge_config_selectorIllEEZZNS1_27merge_sort_block_merge_implIS3_PlN6thrust23THRUST_200600_302600_NS10device_ptrIlEEjNS1_19radix_merge_compareILb0ELb0ElNS0_19identity_decomposerEEEEE10hipError_tT0_T1_T2_jT3_P12ihipStream_tbPNSt15iterator_traitsISG_E10value_typeEPNSM_ISH_E10value_typeEPSI_NS1_7vsmem_tEENKUlT_SG_SH_SI_E_clIS7_S7_S7_SB_EESF_SV_SG_SH_SI_EUlSV_E_NS1_11comp_targetILNS1_3genE0ELNS1_11target_archE4294967295ELNS1_3gpuE0ELNS1_3repE0EEENS1_48merge_mergepath_partition_config_static_selectorELNS0_4arch9wavefront6targetE1EEEvSH_
	.p2align	8
	.type	_ZN7rocprim17ROCPRIM_400000_NS6detail17trampoline_kernelINS0_14default_configENS1_38merge_sort_block_merge_config_selectorIllEEZZNS1_27merge_sort_block_merge_implIS3_PlN6thrust23THRUST_200600_302600_NS10device_ptrIlEEjNS1_19radix_merge_compareILb0ELb0ElNS0_19identity_decomposerEEEEE10hipError_tT0_T1_T2_jT3_P12ihipStream_tbPNSt15iterator_traitsISG_E10value_typeEPNSM_ISH_E10value_typeEPSI_NS1_7vsmem_tEENKUlT_SG_SH_SI_E_clIS7_S7_S7_SB_EESF_SV_SG_SH_SI_EUlSV_E_NS1_11comp_targetILNS1_3genE0ELNS1_11target_archE4294967295ELNS1_3gpuE0ELNS1_3repE0EEENS1_48merge_mergepath_partition_config_static_selectorELNS0_4arch9wavefront6targetE1EEEvSH_,@function
_ZN7rocprim17ROCPRIM_400000_NS6detail17trampoline_kernelINS0_14default_configENS1_38merge_sort_block_merge_config_selectorIllEEZZNS1_27merge_sort_block_merge_implIS3_PlN6thrust23THRUST_200600_302600_NS10device_ptrIlEEjNS1_19radix_merge_compareILb0ELb0ElNS0_19identity_decomposerEEEEE10hipError_tT0_T1_T2_jT3_P12ihipStream_tbPNSt15iterator_traitsISG_E10value_typeEPNSM_ISH_E10value_typeEPSI_NS1_7vsmem_tEENKUlT_SG_SH_SI_E_clIS7_S7_S7_SB_EESF_SV_SG_SH_SI_EUlSV_E_NS1_11comp_targetILNS1_3genE0ELNS1_11target_archE4294967295ELNS1_3gpuE0ELNS1_3repE0EEENS1_48merge_mergepath_partition_config_static_selectorELNS0_4arch9wavefront6targetE1EEEvSH_: ; @_ZN7rocprim17ROCPRIM_400000_NS6detail17trampoline_kernelINS0_14default_configENS1_38merge_sort_block_merge_config_selectorIllEEZZNS1_27merge_sort_block_merge_implIS3_PlN6thrust23THRUST_200600_302600_NS10device_ptrIlEEjNS1_19radix_merge_compareILb0ELb0ElNS0_19identity_decomposerEEEEE10hipError_tT0_T1_T2_jT3_P12ihipStream_tbPNSt15iterator_traitsISG_E10value_typeEPNSM_ISH_E10value_typeEPSI_NS1_7vsmem_tEENKUlT_SG_SH_SI_E_clIS7_S7_S7_SB_EESF_SV_SG_SH_SI_EUlSV_E_NS1_11comp_targetILNS1_3genE0ELNS1_11target_archE4294967295ELNS1_3gpuE0ELNS1_3repE0EEENS1_48merge_mergepath_partition_config_static_selectorELNS0_4arch9wavefront6targetE1EEEvSH_
; %bb.0:
	.section	.rodata,"a",@progbits
	.p2align	6, 0x0
	.amdhsa_kernel _ZN7rocprim17ROCPRIM_400000_NS6detail17trampoline_kernelINS0_14default_configENS1_38merge_sort_block_merge_config_selectorIllEEZZNS1_27merge_sort_block_merge_implIS3_PlN6thrust23THRUST_200600_302600_NS10device_ptrIlEEjNS1_19radix_merge_compareILb0ELb0ElNS0_19identity_decomposerEEEEE10hipError_tT0_T1_T2_jT3_P12ihipStream_tbPNSt15iterator_traitsISG_E10value_typeEPNSM_ISH_E10value_typeEPSI_NS1_7vsmem_tEENKUlT_SG_SH_SI_E_clIS7_S7_S7_SB_EESF_SV_SG_SH_SI_EUlSV_E_NS1_11comp_targetILNS1_3genE0ELNS1_11target_archE4294967295ELNS1_3gpuE0ELNS1_3repE0EEENS1_48merge_mergepath_partition_config_static_selectorELNS0_4arch9wavefront6targetE1EEEvSH_
		.amdhsa_group_segment_fixed_size 0
		.amdhsa_private_segment_fixed_size 0
		.amdhsa_kernarg_size 40
		.amdhsa_user_sgpr_count 6
		.amdhsa_user_sgpr_private_segment_buffer 1
		.amdhsa_user_sgpr_dispatch_ptr 0
		.amdhsa_user_sgpr_queue_ptr 0
		.amdhsa_user_sgpr_kernarg_segment_ptr 1
		.amdhsa_user_sgpr_dispatch_id 0
		.amdhsa_user_sgpr_flat_scratch_init 0
		.amdhsa_user_sgpr_kernarg_preload_length 0
		.amdhsa_user_sgpr_kernarg_preload_offset 0
		.amdhsa_user_sgpr_private_segment_size 0
		.amdhsa_uses_dynamic_stack 0
		.amdhsa_system_sgpr_private_segment_wavefront_offset 0
		.amdhsa_system_sgpr_workgroup_id_x 1
		.amdhsa_system_sgpr_workgroup_id_y 0
		.amdhsa_system_sgpr_workgroup_id_z 0
		.amdhsa_system_sgpr_workgroup_info 0
		.amdhsa_system_vgpr_workitem_id 0
		.amdhsa_next_free_vgpr 1
		.amdhsa_next_free_sgpr 0
		.amdhsa_accum_offset 4
		.amdhsa_reserve_vcc 0
		.amdhsa_reserve_flat_scratch 0
		.amdhsa_float_round_mode_32 0
		.amdhsa_float_round_mode_16_64 0
		.amdhsa_float_denorm_mode_32 3
		.amdhsa_float_denorm_mode_16_64 3
		.amdhsa_dx10_clamp 1
		.amdhsa_ieee_mode 1
		.amdhsa_fp16_overflow 0
		.amdhsa_tg_split 0
		.amdhsa_exception_fp_ieee_invalid_op 0
		.amdhsa_exception_fp_denorm_src 0
		.amdhsa_exception_fp_ieee_div_zero 0
		.amdhsa_exception_fp_ieee_overflow 0
		.amdhsa_exception_fp_ieee_underflow 0
		.amdhsa_exception_fp_ieee_inexact 0
		.amdhsa_exception_int_div_zero 0
	.end_amdhsa_kernel
	.section	.text._ZN7rocprim17ROCPRIM_400000_NS6detail17trampoline_kernelINS0_14default_configENS1_38merge_sort_block_merge_config_selectorIllEEZZNS1_27merge_sort_block_merge_implIS3_PlN6thrust23THRUST_200600_302600_NS10device_ptrIlEEjNS1_19radix_merge_compareILb0ELb0ElNS0_19identity_decomposerEEEEE10hipError_tT0_T1_T2_jT3_P12ihipStream_tbPNSt15iterator_traitsISG_E10value_typeEPNSM_ISH_E10value_typeEPSI_NS1_7vsmem_tEENKUlT_SG_SH_SI_E_clIS7_S7_S7_SB_EESF_SV_SG_SH_SI_EUlSV_E_NS1_11comp_targetILNS1_3genE0ELNS1_11target_archE4294967295ELNS1_3gpuE0ELNS1_3repE0EEENS1_48merge_mergepath_partition_config_static_selectorELNS0_4arch9wavefront6targetE1EEEvSH_,"axG",@progbits,_ZN7rocprim17ROCPRIM_400000_NS6detail17trampoline_kernelINS0_14default_configENS1_38merge_sort_block_merge_config_selectorIllEEZZNS1_27merge_sort_block_merge_implIS3_PlN6thrust23THRUST_200600_302600_NS10device_ptrIlEEjNS1_19radix_merge_compareILb0ELb0ElNS0_19identity_decomposerEEEEE10hipError_tT0_T1_T2_jT3_P12ihipStream_tbPNSt15iterator_traitsISG_E10value_typeEPNSM_ISH_E10value_typeEPSI_NS1_7vsmem_tEENKUlT_SG_SH_SI_E_clIS7_S7_S7_SB_EESF_SV_SG_SH_SI_EUlSV_E_NS1_11comp_targetILNS1_3genE0ELNS1_11target_archE4294967295ELNS1_3gpuE0ELNS1_3repE0EEENS1_48merge_mergepath_partition_config_static_selectorELNS0_4arch9wavefront6targetE1EEEvSH_,comdat
.Lfunc_end1010:
	.size	_ZN7rocprim17ROCPRIM_400000_NS6detail17trampoline_kernelINS0_14default_configENS1_38merge_sort_block_merge_config_selectorIllEEZZNS1_27merge_sort_block_merge_implIS3_PlN6thrust23THRUST_200600_302600_NS10device_ptrIlEEjNS1_19radix_merge_compareILb0ELb0ElNS0_19identity_decomposerEEEEE10hipError_tT0_T1_T2_jT3_P12ihipStream_tbPNSt15iterator_traitsISG_E10value_typeEPNSM_ISH_E10value_typeEPSI_NS1_7vsmem_tEENKUlT_SG_SH_SI_E_clIS7_S7_S7_SB_EESF_SV_SG_SH_SI_EUlSV_E_NS1_11comp_targetILNS1_3genE0ELNS1_11target_archE4294967295ELNS1_3gpuE0ELNS1_3repE0EEENS1_48merge_mergepath_partition_config_static_selectorELNS0_4arch9wavefront6targetE1EEEvSH_, .Lfunc_end1010-_ZN7rocprim17ROCPRIM_400000_NS6detail17trampoline_kernelINS0_14default_configENS1_38merge_sort_block_merge_config_selectorIllEEZZNS1_27merge_sort_block_merge_implIS3_PlN6thrust23THRUST_200600_302600_NS10device_ptrIlEEjNS1_19radix_merge_compareILb0ELb0ElNS0_19identity_decomposerEEEEE10hipError_tT0_T1_T2_jT3_P12ihipStream_tbPNSt15iterator_traitsISG_E10value_typeEPNSM_ISH_E10value_typeEPSI_NS1_7vsmem_tEENKUlT_SG_SH_SI_E_clIS7_S7_S7_SB_EESF_SV_SG_SH_SI_EUlSV_E_NS1_11comp_targetILNS1_3genE0ELNS1_11target_archE4294967295ELNS1_3gpuE0ELNS1_3repE0EEENS1_48merge_mergepath_partition_config_static_selectorELNS0_4arch9wavefront6targetE1EEEvSH_
                                        ; -- End function
	.section	.AMDGPU.csdata,"",@progbits
; Kernel info:
; codeLenInByte = 0
; NumSgprs: 4
; NumVgprs: 0
; NumAgprs: 0
; TotalNumVgprs: 0
; ScratchSize: 0
; MemoryBound: 0
; FloatMode: 240
; IeeeMode: 1
; LDSByteSize: 0 bytes/workgroup (compile time only)
; SGPRBlocks: 0
; VGPRBlocks: 0
; NumSGPRsForWavesPerEU: 4
; NumVGPRsForWavesPerEU: 1
; AccumOffset: 4
; Occupancy: 8
; WaveLimiterHint : 0
; COMPUTE_PGM_RSRC2:SCRATCH_EN: 0
; COMPUTE_PGM_RSRC2:USER_SGPR: 6
; COMPUTE_PGM_RSRC2:TRAP_HANDLER: 0
; COMPUTE_PGM_RSRC2:TGID_X_EN: 1
; COMPUTE_PGM_RSRC2:TGID_Y_EN: 0
; COMPUTE_PGM_RSRC2:TGID_Z_EN: 0
; COMPUTE_PGM_RSRC2:TIDIG_COMP_CNT: 0
; COMPUTE_PGM_RSRC3_GFX90A:ACCUM_OFFSET: 0
; COMPUTE_PGM_RSRC3_GFX90A:TG_SPLIT: 0
	.section	.text._ZN7rocprim17ROCPRIM_400000_NS6detail17trampoline_kernelINS0_14default_configENS1_38merge_sort_block_merge_config_selectorIllEEZZNS1_27merge_sort_block_merge_implIS3_PlN6thrust23THRUST_200600_302600_NS10device_ptrIlEEjNS1_19radix_merge_compareILb0ELb0ElNS0_19identity_decomposerEEEEE10hipError_tT0_T1_T2_jT3_P12ihipStream_tbPNSt15iterator_traitsISG_E10value_typeEPNSM_ISH_E10value_typeEPSI_NS1_7vsmem_tEENKUlT_SG_SH_SI_E_clIS7_S7_S7_SB_EESF_SV_SG_SH_SI_EUlSV_E_NS1_11comp_targetILNS1_3genE10ELNS1_11target_archE1201ELNS1_3gpuE5ELNS1_3repE0EEENS1_48merge_mergepath_partition_config_static_selectorELNS0_4arch9wavefront6targetE1EEEvSH_,"axG",@progbits,_ZN7rocprim17ROCPRIM_400000_NS6detail17trampoline_kernelINS0_14default_configENS1_38merge_sort_block_merge_config_selectorIllEEZZNS1_27merge_sort_block_merge_implIS3_PlN6thrust23THRUST_200600_302600_NS10device_ptrIlEEjNS1_19radix_merge_compareILb0ELb0ElNS0_19identity_decomposerEEEEE10hipError_tT0_T1_T2_jT3_P12ihipStream_tbPNSt15iterator_traitsISG_E10value_typeEPNSM_ISH_E10value_typeEPSI_NS1_7vsmem_tEENKUlT_SG_SH_SI_E_clIS7_S7_S7_SB_EESF_SV_SG_SH_SI_EUlSV_E_NS1_11comp_targetILNS1_3genE10ELNS1_11target_archE1201ELNS1_3gpuE5ELNS1_3repE0EEENS1_48merge_mergepath_partition_config_static_selectorELNS0_4arch9wavefront6targetE1EEEvSH_,comdat
	.protected	_ZN7rocprim17ROCPRIM_400000_NS6detail17trampoline_kernelINS0_14default_configENS1_38merge_sort_block_merge_config_selectorIllEEZZNS1_27merge_sort_block_merge_implIS3_PlN6thrust23THRUST_200600_302600_NS10device_ptrIlEEjNS1_19radix_merge_compareILb0ELb0ElNS0_19identity_decomposerEEEEE10hipError_tT0_T1_T2_jT3_P12ihipStream_tbPNSt15iterator_traitsISG_E10value_typeEPNSM_ISH_E10value_typeEPSI_NS1_7vsmem_tEENKUlT_SG_SH_SI_E_clIS7_S7_S7_SB_EESF_SV_SG_SH_SI_EUlSV_E_NS1_11comp_targetILNS1_3genE10ELNS1_11target_archE1201ELNS1_3gpuE5ELNS1_3repE0EEENS1_48merge_mergepath_partition_config_static_selectorELNS0_4arch9wavefront6targetE1EEEvSH_ ; -- Begin function _ZN7rocprim17ROCPRIM_400000_NS6detail17trampoline_kernelINS0_14default_configENS1_38merge_sort_block_merge_config_selectorIllEEZZNS1_27merge_sort_block_merge_implIS3_PlN6thrust23THRUST_200600_302600_NS10device_ptrIlEEjNS1_19radix_merge_compareILb0ELb0ElNS0_19identity_decomposerEEEEE10hipError_tT0_T1_T2_jT3_P12ihipStream_tbPNSt15iterator_traitsISG_E10value_typeEPNSM_ISH_E10value_typeEPSI_NS1_7vsmem_tEENKUlT_SG_SH_SI_E_clIS7_S7_S7_SB_EESF_SV_SG_SH_SI_EUlSV_E_NS1_11comp_targetILNS1_3genE10ELNS1_11target_archE1201ELNS1_3gpuE5ELNS1_3repE0EEENS1_48merge_mergepath_partition_config_static_selectorELNS0_4arch9wavefront6targetE1EEEvSH_
	.globl	_ZN7rocprim17ROCPRIM_400000_NS6detail17trampoline_kernelINS0_14default_configENS1_38merge_sort_block_merge_config_selectorIllEEZZNS1_27merge_sort_block_merge_implIS3_PlN6thrust23THRUST_200600_302600_NS10device_ptrIlEEjNS1_19radix_merge_compareILb0ELb0ElNS0_19identity_decomposerEEEEE10hipError_tT0_T1_T2_jT3_P12ihipStream_tbPNSt15iterator_traitsISG_E10value_typeEPNSM_ISH_E10value_typeEPSI_NS1_7vsmem_tEENKUlT_SG_SH_SI_E_clIS7_S7_S7_SB_EESF_SV_SG_SH_SI_EUlSV_E_NS1_11comp_targetILNS1_3genE10ELNS1_11target_archE1201ELNS1_3gpuE5ELNS1_3repE0EEENS1_48merge_mergepath_partition_config_static_selectorELNS0_4arch9wavefront6targetE1EEEvSH_
	.p2align	8
	.type	_ZN7rocprim17ROCPRIM_400000_NS6detail17trampoline_kernelINS0_14default_configENS1_38merge_sort_block_merge_config_selectorIllEEZZNS1_27merge_sort_block_merge_implIS3_PlN6thrust23THRUST_200600_302600_NS10device_ptrIlEEjNS1_19radix_merge_compareILb0ELb0ElNS0_19identity_decomposerEEEEE10hipError_tT0_T1_T2_jT3_P12ihipStream_tbPNSt15iterator_traitsISG_E10value_typeEPNSM_ISH_E10value_typeEPSI_NS1_7vsmem_tEENKUlT_SG_SH_SI_E_clIS7_S7_S7_SB_EESF_SV_SG_SH_SI_EUlSV_E_NS1_11comp_targetILNS1_3genE10ELNS1_11target_archE1201ELNS1_3gpuE5ELNS1_3repE0EEENS1_48merge_mergepath_partition_config_static_selectorELNS0_4arch9wavefront6targetE1EEEvSH_,@function
_ZN7rocprim17ROCPRIM_400000_NS6detail17trampoline_kernelINS0_14default_configENS1_38merge_sort_block_merge_config_selectorIllEEZZNS1_27merge_sort_block_merge_implIS3_PlN6thrust23THRUST_200600_302600_NS10device_ptrIlEEjNS1_19radix_merge_compareILb0ELb0ElNS0_19identity_decomposerEEEEE10hipError_tT0_T1_T2_jT3_P12ihipStream_tbPNSt15iterator_traitsISG_E10value_typeEPNSM_ISH_E10value_typeEPSI_NS1_7vsmem_tEENKUlT_SG_SH_SI_E_clIS7_S7_S7_SB_EESF_SV_SG_SH_SI_EUlSV_E_NS1_11comp_targetILNS1_3genE10ELNS1_11target_archE1201ELNS1_3gpuE5ELNS1_3repE0EEENS1_48merge_mergepath_partition_config_static_selectorELNS0_4arch9wavefront6targetE1EEEvSH_: ; @_ZN7rocprim17ROCPRIM_400000_NS6detail17trampoline_kernelINS0_14default_configENS1_38merge_sort_block_merge_config_selectorIllEEZZNS1_27merge_sort_block_merge_implIS3_PlN6thrust23THRUST_200600_302600_NS10device_ptrIlEEjNS1_19radix_merge_compareILb0ELb0ElNS0_19identity_decomposerEEEEE10hipError_tT0_T1_T2_jT3_P12ihipStream_tbPNSt15iterator_traitsISG_E10value_typeEPNSM_ISH_E10value_typeEPSI_NS1_7vsmem_tEENKUlT_SG_SH_SI_E_clIS7_S7_S7_SB_EESF_SV_SG_SH_SI_EUlSV_E_NS1_11comp_targetILNS1_3genE10ELNS1_11target_archE1201ELNS1_3gpuE5ELNS1_3repE0EEENS1_48merge_mergepath_partition_config_static_selectorELNS0_4arch9wavefront6targetE1EEEvSH_
; %bb.0:
	.section	.rodata,"a",@progbits
	.p2align	6, 0x0
	.amdhsa_kernel _ZN7rocprim17ROCPRIM_400000_NS6detail17trampoline_kernelINS0_14default_configENS1_38merge_sort_block_merge_config_selectorIllEEZZNS1_27merge_sort_block_merge_implIS3_PlN6thrust23THRUST_200600_302600_NS10device_ptrIlEEjNS1_19radix_merge_compareILb0ELb0ElNS0_19identity_decomposerEEEEE10hipError_tT0_T1_T2_jT3_P12ihipStream_tbPNSt15iterator_traitsISG_E10value_typeEPNSM_ISH_E10value_typeEPSI_NS1_7vsmem_tEENKUlT_SG_SH_SI_E_clIS7_S7_S7_SB_EESF_SV_SG_SH_SI_EUlSV_E_NS1_11comp_targetILNS1_3genE10ELNS1_11target_archE1201ELNS1_3gpuE5ELNS1_3repE0EEENS1_48merge_mergepath_partition_config_static_selectorELNS0_4arch9wavefront6targetE1EEEvSH_
		.amdhsa_group_segment_fixed_size 0
		.amdhsa_private_segment_fixed_size 0
		.amdhsa_kernarg_size 40
		.amdhsa_user_sgpr_count 6
		.amdhsa_user_sgpr_private_segment_buffer 1
		.amdhsa_user_sgpr_dispatch_ptr 0
		.amdhsa_user_sgpr_queue_ptr 0
		.amdhsa_user_sgpr_kernarg_segment_ptr 1
		.amdhsa_user_sgpr_dispatch_id 0
		.amdhsa_user_sgpr_flat_scratch_init 0
		.amdhsa_user_sgpr_kernarg_preload_length 0
		.amdhsa_user_sgpr_kernarg_preload_offset 0
		.amdhsa_user_sgpr_private_segment_size 0
		.amdhsa_uses_dynamic_stack 0
		.amdhsa_system_sgpr_private_segment_wavefront_offset 0
		.amdhsa_system_sgpr_workgroup_id_x 1
		.amdhsa_system_sgpr_workgroup_id_y 0
		.amdhsa_system_sgpr_workgroup_id_z 0
		.amdhsa_system_sgpr_workgroup_info 0
		.amdhsa_system_vgpr_workitem_id 0
		.amdhsa_next_free_vgpr 1
		.amdhsa_next_free_sgpr 0
		.amdhsa_accum_offset 4
		.amdhsa_reserve_vcc 0
		.amdhsa_reserve_flat_scratch 0
		.amdhsa_float_round_mode_32 0
		.amdhsa_float_round_mode_16_64 0
		.amdhsa_float_denorm_mode_32 3
		.amdhsa_float_denorm_mode_16_64 3
		.amdhsa_dx10_clamp 1
		.amdhsa_ieee_mode 1
		.amdhsa_fp16_overflow 0
		.amdhsa_tg_split 0
		.amdhsa_exception_fp_ieee_invalid_op 0
		.amdhsa_exception_fp_denorm_src 0
		.amdhsa_exception_fp_ieee_div_zero 0
		.amdhsa_exception_fp_ieee_overflow 0
		.amdhsa_exception_fp_ieee_underflow 0
		.amdhsa_exception_fp_ieee_inexact 0
		.amdhsa_exception_int_div_zero 0
	.end_amdhsa_kernel
	.section	.text._ZN7rocprim17ROCPRIM_400000_NS6detail17trampoline_kernelINS0_14default_configENS1_38merge_sort_block_merge_config_selectorIllEEZZNS1_27merge_sort_block_merge_implIS3_PlN6thrust23THRUST_200600_302600_NS10device_ptrIlEEjNS1_19radix_merge_compareILb0ELb0ElNS0_19identity_decomposerEEEEE10hipError_tT0_T1_T2_jT3_P12ihipStream_tbPNSt15iterator_traitsISG_E10value_typeEPNSM_ISH_E10value_typeEPSI_NS1_7vsmem_tEENKUlT_SG_SH_SI_E_clIS7_S7_S7_SB_EESF_SV_SG_SH_SI_EUlSV_E_NS1_11comp_targetILNS1_3genE10ELNS1_11target_archE1201ELNS1_3gpuE5ELNS1_3repE0EEENS1_48merge_mergepath_partition_config_static_selectorELNS0_4arch9wavefront6targetE1EEEvSH_,"axG",@progbits,_ZN7rocprim17ROCPRIM_400000_NS6detail17trampoline_kernelINS0_14default_configENS1_38merge_sort_block_merge_config_selectorIllEEZZNS1_27merge_sort_block_merge_implIS3_PlN6thrust23THRUST_200600_302600_NS10device_ptrIlEEjNS1_19radix_merge_compareILb0ELb0ElNS0_19identity_decomposerEEEEE10hipError_tT0_T1_T2_jT3_P12ihipStream_tbPNSt15iterator_traitsISG_E10value_typeEPNSM_ISH_E10value_typeEPSI_NS1_7vsmem_tEENKUlT_SG_SH_SI_E_clIS7_S7_S7_SB_EESF_SV_SG_SH_SI_EUlSV_E_NS1_11comp_targetILNS1_3genE10ELNS1_11target_archE1201ELNS1_3gpuE5ELNS1_3repE0EEENS1_48merge_mergepath_partition_config_static_selectorELNS0_4arch9wavefront6targetE1EEEvSH_,comdat
.Lfunc_end1011:
	.size	_ZN7rocprim17ROCPRIM_400000_NS6detail17trampoline_kernelINS0_14default_configENS1_38merge_sort_block_merge_config_selectorIllEEZZNS1_27merge_sort_block_merge_implIS3_PlN6thrust23THRUST_200600_302600_NS10device_ptrIlEEjNS1_19radix_merge_compareILb0ELb0ElNS0_19identity_decomposerEEEEE10hipError_tT0_T1_T2_jT3_P12ihipStream_tbPNSt15iterator_traitsISG_E10value_typeEPNSM_ISH_E10value_typeEPSI_NS1_7vsmem_tEENKUlT_SG_SH_SI_E_clIS7_S7_S7_SB_EESF_SV_SG_SH_SI_EUlSV_E_NS1_11comp_targetILNS1_3genE10ELNS1_11target_archE1201ELNS1_3gpuE5ELNS1_3repE0EEENS1_48merge_mergepath_partition_config_static_selectorELNS0_4arch9wavefront6targetE1EEEvSH_, .Lfunc_end1011-_ZN7rocprim17ROCPRIM_400000_NS6detail17trampoline_kernelINS0_14default_configENS1_38merge_sort_block_merge_config_selectorIllEEZZNS1_27merge_sort_block_merge_implIS3_PlN6thrust23THRUST_200600_302600_NS10device_ptrIlEEjNS1_19radix_merge_compareILb0ELb0ElNS0_19identity_decomposerEEEEE10hipError_tT0_T1_T2_jT3_P12ihipStream_tbPNSt15iterator_traitsISG_E10value_typeEPNSM_ISH_E10value_typeEPSI_NS1_7vsmem_tEENKUlT_SG_SH_SI_E_clIS7_S7_S7_SB_EESF_SV_SG_SH_SI_EUlSV_E_NS1_11comp_targetILNS1_3genE10ELNS1_11target_archE1201ELNS1_3gpuE5ELNS1_3repE0EEENS1_48merge_mergepath_partition_config_static_selectorELNS0_4arch9wavefront6targetE1EEEvSH_
                                        ; -- End function
	.section	.AMDGPU.csdata,"",@progbits
; Kernel info:
; codeLenInByte = 0
; NumSgprs: 4
; NumVgprs: 0
; NumAgprs: 0
; TotalNumVgprs: 0
; ScratchSize: 0
; MemoryBound: 0
; FloatMode: 240
; IeeeMode: 1
; LDSByteSize: 0 bytes/workgroup (compile time only)
; SGPRBlocks: 0
; VGPRBlocks: 0
; NumSGPRsForWavesPerEU: 4
; NumVGPRsForWavesPerEU: 1
; AccumOffset: 4
; Occupancy: 8
; WaveLimiterHint : 0
; COMPUTE_PGM_RSRC2:SCRATCH_EN: 0
; COMPUTE_PGM_RSRC2:USER_SGPR: 6
; COMPUTE_PGM_RSRC2:TRAP_HANDLER: 0
; COMPUTE_PGM_RSRC2:TGID_X_EN: 1
; COMPUTE_PGM_RSRC2:TGID_Y_EN: 0
; COMPUTE_PGM_RSRC2:TGID_Z_EN: 0
; COMPUTE_PGM_RSRC2:TIDIG_COMP_CNT: 0
; COMPUTE_PGM_RSRC3_GFX90A:ACCUM_OFFSET: 0
; COMPUTE_PGM_RSRC3_GFX90A:TG_SPLIT: 0
	.section	.text._ZN7rocprim17ROCPRIM_400000_NS6detail17trampoline_kernelINS0_14default_configENS1_38merge_sort_block_merge_config_selectorIllEEZZNS1_27merge_sort_block_merge_implIS3_PlN6thrust23THRUST_200600_302600_NS10device_ptrIlEEjNS1_19radix_merge_compareILb0ELb0ElNS0_19identity_decomposerEEEEE10hipError_tT0_T1_T2_jT3_P12ihipStream_tbPNSt15iterator_traitsISG_E10value_typeEPNSM_ISH_E10value_typeEPSI_NS1_7vsmem_tEENKUlT_SG_SH_SI_E_clIS7_S7_S7_SB_EESF_SV_SG_SH_SI_EUlSV_E_NS1_11comp_targetILNS1_3genE5ELNS1_11target_archE942ELNS1_3gpuE9ELNS1_3repE0EEENS1_48merge_mergepath_partition_config_static_selectorELNS0_4arch9wavefront6targetE1EEEvSH_,"axG",@progbits,_ZN7rocprim17ROCPRIM_400000_NS6detail17trampoline_kernelINS0_14default_configENS1_38merge_sort_block_merge_config_selectorIllEEZZNS1_27merge_sort_block_merge_implIS3_PlN6thrust23THRUST_200600_302600_NS10device_ptrIlEEjNS1_19radix_merge_compareILb0ELb0ElNS0_19identity_decomposerEEEEE10hipError_tT0_T1_T2_jT3_P12ihipStream_tbPNSt15iterator_traitsISG_E10value_typeEPNSM_ISH_E10value_typeEPSI_NS1_7vsmem_tEENKUlT_SG_SH_SI_E_clIS7_S7_S7_SB_EESF_SV_SG_SH_SI_EUlSV_E_NS1_11comp_targetILNS1_3genE5ELNS1_11target_archE942ELNS1_3gpuE9ELNS1_3repE0EEENS1_48merge_mergepath_partition_config_static_selectorELNS0_4arch9wavefront6targetE1EEEvSH_,comdat
	.protected	_ZN7rocprim17ROCPRIM_400000_NS6detail17trampoline_kernelINS0_14default_configENS1_38merge_sort_block_merge_config_selectorIllEEZZNS1_27merge_sort_block_merge_implIS3_PlN6thrust23THRUST_200600_302600_NS10device_ptrIlEEjNS1_19radix_merge_compareILb0ELb0ElNS0_19identity_decomposerEEEEE10hipError_tT0_T1_T2_jT3_P12ihipStream_tbPNSt15iterator_traitsISG_E10value_typeEPNSM_ISH_E10value_typeEPSI_NS1_7vsmem_tEENKUlT_SG_SH_SI_E_clIS7_S7_S7_SB_EESF_SV_SG_SH_SI_EUlSV_E_NS1_11comp_targetILNS1_3genE5ELNS1_11target_archE942ELNS1_3gpuE9ELNS1_3repE0EEENS1_48merge_mergepath_partition_config_static_selectorELNS0_4arch9wavefront6targetE1EEEvSH_ ; -- Begin function _ZN7rocprim17ROCPRIM_400000_NS6detail17trampoline_kernelINS0_14default_configENS1_38merge_sort_block_merge_config_selectorIllEEZZNS1_27merge_sort_block_merge_implIS3_PlN6thrust23THRUST_200600_302600_NS10device_ptrIlEEjNS1_19radix_merge_compareILb0ELb0ElNS0_19identity_decomposerEEEEE10hipError_tT0_T1_T2_jT3_P12ihipStream_tbPNSt15iterator_traitsISG_E10value_typeEPNSM_ISH_E10value_typeEPSI_NS1_7vsmem_tEENKUlT_SG_SH_SI_E_clIS7_S7_S7_SB_EESF_SV_SG_SH_SI_EUlSV_E_NS1_11comp_targetILNS1_3genE5ELNS1_11target_archE942ELNS1_3gpuE9ELNS1_3repE0EEENS1_48merge_mergepath_partition_config_static_selectorELNS0_4arch9wavefront6targetE1EEEvSH_
	.globl	_ZN7rocprim17ROCPRIM_400000_NS6detail17trampoline_kernelINS0_14default_configENS1_38merge_sort_block_merge_config_selectorIllEEZZNS1_27merge_sort_block_merge_implIS3_PlN6thrust23THRUST_200600_302600_NS10device_ptrIlEEjNS1_19radix_merge_compareILb0ELb0ElNS0_19identity_decomposerEEEEE10hipError_tT0_T1_T2_jT3_P12ihipStream_tbPNSt15iterator_traitsISG_E10value_typeEPNSM_ISH_E10value_typeEPSI_NS1_7vsmem_tEENKUlT_SG_SH_SI_E_clIS7_S7_S7_SB_EESF_SV_SG_SH_SI_EUlSV_E_NS1_11comp_targetILNS1_3genE5ELNS1_11target_archE942ELNS1_3gpuE9ELNS1_3repE0EEENS1_48merge_mergepath_partition_config_static_selectorELNS0_4arch9wavefront6targetE1EEEvSH_
	.p2align	8
	.type	_ZN7rocprim17ROCPRIM_400000_NS6detail17trampoline_kernelINS0_14default_configENS1_38merge_sort_block_merge_config_selectorIllEEZZNS1_27merge_sort_block_merge_implIS3_PlN6thrust23THRUST_200600_302600_NS10device_ptrIlEEjNS1_19radix_merge_compareILb0ELb0ElNS0_19identity_decomposerEEEEE10hipError_tT0_T1_T2_jT3_P12ihipStream_tbPNSt15iterator_traitsISG_E10value_typeEPNSM_ISH_E10value_typeEPSI_NS1_7vsmem_tEENKUlT_SG_SH_SI_E_clIS7_S7_S7_SB_EESF_SV_SG_SH_SI_EUlSV_E_NS1_11comp_targetILNS1_3genE5ELNS1_11target_archE942ELNS1_3gpuE9ELNS1_3repE0EEENS1_48merge_mergepath_partition_config_static_selectorELNS0_4arch9wavefront6targetE1EEEvSH_,@function
_ZN7rocprim17ROCPRIM_400000_NS6detail17trampoline_kernelINS0_14default_configENS1_38merge_sort_block_merge_config_selectorIllEEZZNS1_27merge_sort_block_merge_implIS3_PlN6thrust23THRUST_200600_302600_NS10device_ptrIlEEjNS1_19radix_merge_compareILb0ELb0ElNS0_19identity_decomposerEEEEE10hipError_tT0_T1_T2_jT3_P12ihipStream_tbPNSt15iterator_traitsISG_E10value_typeEPNSM_ISH_E10value_typeEPSI_NS1_7vsmem_tEENKUlT_SG_SH_SI_E_clIS7_S7_S7_SB_EESF_SV_SG_SH_SI_EUlSV_E_NS1_11comp_targetILNS1_3genE5ELNS1_11target_archE942ELNS1_3gpuE9ELNS1_3repE0EEENS1_48merge_mergepath_partition_config_static_selectorELNS0_4arch9wavefront6targetE1EEEvSH_: ; @_ZN7rocprim17ROCPRIM_400000_NS6detail17trampoline_kernelINS0_14default_configENS1_38merge_sort_block_merge_config_selectorIllEEZZNS1_27merge_sort_block_merge_implIS3_PlN6thrust23THRUST_200600_302600_NS10device_ptrIlEEjNS1_19radix_merge_compareILb0ELb0ElNS0_19identity_decomposerEEEEE10hipError_tT0_T1_T2_jT3_P12ihipStream_tbPNSt15iterator_traitsISG_E10value_typeEPNSM_ISH_E10value_typeEPSI_NS1_7vsmem_tEENKUlT_SG_SH_SI_E_clIS7_S7_S7_SB_EESF_SV_SG_SH_SI_EUlSV_E_NS1_11comp_targetILNS1_3genE5ELNS1_11target_archE942ELNS1_3gpuE9ELNS1_3repE0EEENS1_48merge_mergepath_partition_config_static_selectorELNS0_4arch9wavefront6targetE1EEEvSH_
; %bb.0:
	.section	.rodata,"a",@progbits
	.p2align	6, 0x0
	.amdhsa_kernel _ZN7rocprim17ROCPRIM_400000_NS6detail17trampoline_kernelINS0_14default_configENS1_38merge_sort_block_merge_config_selectorIllEEZZNS1_27merge_sort_block_merge_implIS3_PlN6thrust23THRUST_200600_302600_NS10device_ptrIlEEjNS1_19radix_merge_compareILb0ELb0ElNS0_19identity_decomposerEEEEE10hipError_tT0_T1_T2_jT3_P12ihipStream_tbPNSt15iterator_traitsISG_E10value_typeEPNSM_ISH_E10value_typeEPSI_NS1_7vsmem_tEENKUlT_SG_SH_SI_E_clIS7_S7_S7_SB_EESF_SV_SG_SH_SI_EUlSV_E_NS1_11comp_targetILNS1_3genE5ELNS1_11target_archE942ELNS1_3gpuE9ELNS1_3repE0EEENS1_48merge_mergepath_partition_config_static_selectorELNS0_4arch9wavefront6targetE1EEEvSH_
		.amdhsa_group_segment_fixed_size 0
		.amdhsa_private_segment_fixed_size 0
		.amdhsa_kernarg_size 40
		.amdhsa_user_sgpr_count 6
		.amdhsa_user_sgpr_private_segment_buffer 1
		.amdhsa_user_sgpr_dispatch_ptr 0
		.amdhsa_user_sgpr_queue_ptr 0
		.amdhsa_user_sgpr_kernarg_segment_ptr 1
		.amdhsa_user_sgpr_dispatch_id 0
		.amdhsa_user_sgpr_flat_scratch_init 0
		.amdhsa_user_sgpr_kernarg_preload_length 0
		.amdhsa_user_sgpr_kernarg_preload_offset 0
		.amdhsa_user_sgpr_private_segment_size 0
		.amdhsa_uses_dynamic_stack 0
		.amdhsa_system_sgpr_private_segment_wavefront_offset 0
		.amdhsa_system_sgpr_workgroup_id_x 1
		.amdhsa_system_sgpr_workgroup_id_y 0
		.amdhsa_system_sgpr_workgroup_id_z 0
		.amdhsa_system_sgpr_workgroup_info 0
		.amdhsa_system_vgpr_workitem_id 0
		.amdhsa_next_free_vgpr 1
		.amdhsa_next_free_sgpr 0
		.amdhsa_accum_offset 4
		.amdhsa_reserve_vcc 0
		.amdhsa_reserve_flat_scratch 0
		.amdhsa_float_round_mode_32 0
		.amdhsa_float_round_mode_16_64 0
		.amdhsa_float_denorm_mode_32 3
		.amdhsa_float_denorm_mode_16_64 3
		.amdhsa_dx10_clamp 1
		.amdhsa_ieee_mode 1
		.amdhsa_fp16_overflow 0
		.amdhsa_tg_split 0
		.amdhsa_exception_fp_ieee_invalid_op 0
		.amdhsa_exception_fp_denorm_src 0
		.amdhsa_exception_fp_ieee_div_zero 0
		.amdhsa_exception_fp_ieee_overflow 0
		.amdhsa_exception_fp_ieee_underflow 0
		.amdhsa_exception_fp_ieee_inexact 0
		.amdhsa_exception_int_div_zero 0
	.end_amdhsa_kernel
	.section	.text._ZN7rocprim17ROCPRIM_400000_NS6detail17trampoline_kernelINS0_14default_configENS1_38merge_sort_block_merge_config_selectorIllEEZZNS1_27merge_sort_block_merge_implIS3_PlN6thrust23THRUST_200600_302600_NS10device_ptrIlEEjNS1_19radix_merge_compareILb0ELb0ElNS0_19identity_decomposerEEEEE10hipError_tT0_T1_T2_jT3_P12ihipStream_tbPNSt15iterator_traitsISG_E10value_typeEPNSM_ISH_E10value_typeEPSI_NS1_7vsmem_tEENKUlT_SG_SH_SI_E_clIS7_S7_S7_SB_EESF_SV_SG_SH_SI_EUlSV_E_NS1_11comp_targetILNS1_3genE5ELNS1_11target_archE942ELNS1_3gpuE9ELNS1_3repE0EEENS1_48merge_mergepath_partition_config_static_selectorELNS0_4arch9wavefront6targetE1EEEvSH_,"axG",@progbits,_ZN7rocprim17ROCPRIM_400000_NS6detail17trampoline_kernelINS0_14default_configENS1_38merge_sort_block_merge_config_selectorIllEEZZNS1_27merge_sort_block_merge_implIS3_PlN6thrust23THRUST_200600_302600_NS10device_ptrIlEEjNS1_19radix_merge_compareILb0ELb0ElNS0_19identity_decomposerEEEEE10hipError_tT0_T1_T2_jT3_P12ihipStream_tbPNSt15iterator_traitsISG_E10value_typeEPNSM_ISH_E10value_typeEPSI_NS1_7vsmem_tEENKUlT_SG_SH_SI_E_clIS7_S7_S7_SB_EESF_SV_SG_SH_SI_EUlSV_E_NS1_11comp_targetILNS1_3genE5ELNS1_11target_archE942ELNS1_3gpuE9ELNS1_3repE0EEENS1_48merge_mergepath_partition_config_static_selectorELNS0_4arch9wavefront6targetE1EEEvSH_,comdat
.Lfunc_end1012:
	.size	_ZN7rocprim17ROCPRIM_400000_NS6detail17trampoline_kernelINS0_14default_configENS1_38merge_sort_block_merge_config_selectorIllEEZZNS1_27merge_sort_block_merge_implIS3_PlN6thrust23THRUST_200600_302600_NS10device_ptrIlEEjNS1_19radix_merge_compareILb0ELb0ElNS0_19identity_decomposerEEEEE10hipError_tT0_T1_T2_jT3_P12ihipStream_tbPNSt15iterator_traitsISG_E10value_typeEPNSM_ISH_E10value_typeEPSI_NS1_7vsmem_tEENKUlT_SG_SH_SI_E_clIS7_S7_S7_SB_EESF_SV_SG_SH_SI_EUlSV_E_NS1_11comp_targetILNS1_3genE5ELNS1_11target_archE942ELNS1_3gpuE9ELNS1_3repE0EEENS1_48merge_mergepath_partition_config_static_selectorELNS0_4arch9wavefront6targetE1EEEvSH_, .Lfunc_end1012-_ZN7rocprim17ROCPRIM_400000_NS6detail17trampoline_kernelINS0_14default_configENS1_38merge_sort_block_merge_config_selectorIllEEZZNS1_27merge_sort_block_merge_implIS3_PlN6thrust23THRUST_200600_302600_NS10device_ptrIlEEjNS1_19radix_merge_compareILb0ELb0ElNS0_19identity_decomposerEEEEE10hipError_tT0_T1_T2_jT3_P12ihipStream_tbPNSt15iterator_traitsISG_E10value_typeEPNSM_ISH_E10value_typeEPSI_NS1_7vsmem_tEENKUlT_SG_SH_SI_E_clIS7_S7_S7_SB_EESF_SV_SG_SH_SI_EUlSV_E_NS1_11comp_targetILNS1_3genE5ELNS1_11target_archE942ELNS1_3gpuE9ELNS1_3repE0EEENS1_48merge_mergepath_partition_config_static_selectorELNS0_4arch9wavefront6targetE1EEEvSH_
                                        ; -- End function
	.section	.AMDGPU.csdata,"",@progbits
; Kernel info:
; codeLenInByte = 0
; NumSgprs: 4
; NumVgprs: 0
; NumAgprs: 0
; TotalNumVgprs: 0
; ScratchSize: 0
; MemoryBound: 0
; FloatMode: 240
; IeeeMode: 1
; LDSByteSize: 0 bytes/workgroup (compile time only)
; SGPRBlocks: 0
; VGPRBlocks: 0
; NumSGPRsForWavesPerEU: 4
; NumVGPRsForWavesPerEU: 1
; AccumOffset: 4
; Occupancy: 8
; WaveLimiterHint : 0
; COMPUTE_PGM_RSRC2:SCRATCH_EN: 0
; COMPUTE_PGM_RSRC2:USER_SGPR: 6
; COMPUTE_PGM_RSRC2:TRAP_HANDLER: 0
; COMPUTE_PGM_RSRC2:TGID_X_EN: 1
; COMPUTE_PGM_RSRC2:TGID_Y_EN: 0
; COMPUTE_PGM_RSRC2:TGID_Z_EN: 0
; COMPUTE_PGM_RSRC2:TIDIG_COMP_CNT: 0
; COMPUTE_PGM_RSRC3_GFX90A:ACCUM_OFFSET: 0
; COMPUTE_PGM_RSRC3_GFX90A:TG_SPLIT: 0
	.section	.text._ZN7rocprim17ROCPRIM_400000_NS6detail17trampoline_kernelINS0_14default_configENS1_38merge_sort_block_merge_config_selectorIllEEZZNS1_27merge_sort_block_merge_implIS3_PlN6thrust23THRUST_200600_302600_NS10device_ptrIlEEjNS1_19radix_merge_compareILb0ELb0ElNS0_19identity_decomposerEEEEE10hipError_tT0_T1_T2_jT3_P12ihipStream_tbPNSt15iterator_traitsISG_E10value_typeEPNSM_ISH_E10value_typeEPSI_NS1_7vsmem_tEENKUlT_SG_SH_SI_E_clIS7_S7_S7_SB_EESF_SV_SG_SH_SI_EUlSV_E_NS1_11comp_targetILNS1_3genE4ELNS1_11target_archE910ELNS1_3gpuE8ELNS1_3repE0EEENS1_48merge_mergepath_partition_config_static_selectorELNS0_4arch9wavefront6targetE1EEEvSH_,"axG",@progbits,_ZN7rocprim17ROCPRIM_400000_NS6detail17trampoline_kernelINS0_14default_configENS1_38merge_sort_block_merge_config_selectorIllEEZZNS1_27merge_sort_block_merge_implIS3_PlN6thrust23THRUST_200600_302600_NS10device_ptrIlEEjNS1_19radix_merge_compareILb0ELb0ElNS0_19identity_decomposerEEEEE10hipError_tT0_T1_T2_jT3_P12ihipStream_tbPNSt15iterator_traitsISG_E10value_typeEPNSM_ISH_E10value_typeEPSI_NS1_7vsmem_tEENKUlT_SG_SH_SI_E_clIS7_S7_S7_SB_EESF_SV_SG_SH_SI_EUlSV_E_NS1_11comp_targetILNS1_3genE4ELNS1_11target_archE910ELNS1_3gpuE8ELNS1_3repE0EEENS1_48merge_mergepath_partition_config_static_selectorELNS0_4arch9wavefront6targetE1EEEvSH_,comdat
	.protected	_ZN7rocprim17ROCPRIM_400000_NS6detail17trampoline_kernelINS0_14default_configENS1_38merge_sort_block_merge_config_selectorIllEEZZNS1_27merge_sort_block_merge_implIS3_PlN6thrust23THRUST_200600_302600_NS10device_ptrIlEEjNS1_19radix_merge_compareILb0ELb0ElNS0_19identity_decomposerEEEEE10hipError_tT0_T1_T2_jT3_P12ihipStream_tbPNSt15iterator_traitsISG_E10value_typeEPNSM_ISH_E10value_typeEPSI_NS1_7vsmem_tEENKUlT_SG_SH_SI_E_clIS7_S7_S7_SB_EESF_SV_SG_SH_SI_EUlSV_E_NS1_11comp_targetILNS1_3genE4ELNS1_11target_archE910ELNS1_3gpuE8ELNS1_3repE0EEENS1_48merge_mergepath_partition_config_static_selectorELNS0_4arch9wavefront6targetE1EEEvSH_ ; -- Begin function _ZN7rocprim17ROCPRIM_400000_NS6detail17trampoline_kernelINS0_14default_configENS1_38merge_sort_block_merge_config_selectorIllEEZZNS1_27merge_sort_block_merge_implIS3_PlN6thrust23THRUST_200600_302600_NS10device_ptrIlEEjNS1_19radix_merge_compareILb0ELb0ElNS0_19identity_decomposerEEEEE10hipError_tT0_T1_T2_jT3_P12ihipStream_tbPNSt15iterator_traitsISG_E10value_typeEPNSM_ISH_E10value_typeEPSI_NS1_7vsmem_tEENKUlT_SG_SH_SI_E_clIS7_S7_S7_SB_EESF_SV_SG_SH_SI_EUlSV_E_NS1_11comp_targetILNS1_3genE4ELNS1_11target_archE910ELNS1_3gpuE8ELNS1_3repE0EEENS1_48merge_mergepath_partition_config_static_selectorELNS0_4arch9wavefront6targetE1EEEvSH_
	.globl	_ZN7rocprim17ROCPRIM_400000_NS6detail17trampoline_kernelINS0_14default_configENS1_38merge_sort_block_merge_config_selectorIllEEZZNS1_27merge_sort_block_merge_implIS3_PlN6thrust23THRUST_200600_302600_NS10device_ptrIlEEjNS1_19radix_merge_compareILb0ELb0ElNS0_19identity_decomposerEEEEE10hipError_tT0_T1_T2_jT3_P12ihipStream_tbPNSt15iterator_traitsISG_E10value_typeEPNSM_ISH_E10value_typeEPSI_NS1_7vsmem_tEENKUlT_SG_SH_SI_E_clIS7_S7_S7_SB_EESF_SV_SG_SH_SI_EUlSV_E_NS1_11comp_targetILNS1_3genE4ELNS1_11target_archE910ELNS1_3gpuE8ELNS1_3repE0EEENS1_48merge_mergepath_partition_config_static_selectorELNS0_4arch9wavefront6targetE1EEEvSH_
	.p2align	8
	.type	_ZN7rocprim17ROCPRIM_400000_NS6detail17trampoline_kernelINS0_14default_configENS1_38merge_sort_block_merge_config_selectorIllEEZZNS1_27merge_sort_block_merge_implIS3_PlN6thrust23THRUST_200600_302600_NS10device_ptrIlEEjNS1_19radix_merge_compareILb0ELb0ElNS0_19identity_decomposerEEEEE10hipError_tT0_T1_T2_jT3_P12ihipStream_tbPNSt15iterator_traitsISG_E10value_typeEPNSM_ISH_E10value_typeEPSI_NS1_7vsmem_tEENKUlT_SG_SH_SI_E_clIS7_S7_S7_SB_EESF_SV_SG_SH_SI_EUlSV_E_NS1_11comp_targetILNS1_3genE4ELNS1_11target_archE910ELNS1_3gpuE8ELNS1_3repE0EEENS1_48merge_mergepath_partition_config_static_selectorELNS0_4arch9wavefront6targetE1EEEvSH_,@function
_ZN7rocprim17ROCPRIM_400000_NS6detail17trampoline_kernelINS0_14default_configENS1_38merge_sort_block_merge_config_selectorIllEEZZNS1_27merge_sort_block_merge_implIS3_PlN6thrust23THRUST_200600_302600_NS10device_ptrIlEEjNS1_19radix_merge_compareILb0ELb0ElNS0_19identity_decomposerEEEEE10hipError_tT0_T1_T2_jT3_P12ihipStream_tbPNSt15iterator_traitsISG_E10value_typeEPNSM_ISH_E10value_typeEPSI_NS1_7vsmem_tEENKUlT_SG_SH_SI_E_clIS7_S7_S7_SB_EESF_SV_SG_SH_SI_EUlSV_E_NS1_11comp_targetILNS1_3genE4ELNS1_11target_archE910ELNS1_3gpuE8ELNS1_3repE0EEENS1_48merge_mergepath_partition_config_static_selectorELNS0_4arch9wavefront6targetE1EEEvSH_: ; @_ZN7rocprim17ROCPRIM_400000_NS6detail17trampoline_kernelINS0_14default_configENS1_38merge_sort_block_merge_config_selectorIllEEZZNS1_27merge_sort_block_merge_implIS3_PlN6thrust23THRUST_200600_302600_NS10device_ptrIlEEjNS1_19radix_merge_compareILb0ELb0ElNS0_19identity_decomposerEEEEE10hipError_tT0_T1_T2_jT3_P12ihipStream_tbPNSt15iterator_traitsISG_E10value_typeEPNSM_ISH_E10value_typeEPSI_NS1_7vsmem_tEENKUlT_SG_SH_SI_E_clIS7_S7_S7_SB_EESF_SV_SG_SH_SI_EUlSV_E_NS1_11comp_targetILNS1_3genE4ELNS1_11target_archE910ELNS1_3gpuE8ELNS1_3repE0EEENS1_48merge_mergepath_partition_config_static_selectorELNS0_4arch9wavefront6targetE1EEEvSH_
; %bb.0:
	s_load_dword s0, s[4:5], 0x0
	v_lshl_or_b32 v0, s6, 7, v0
	s_waitcnt lgkmcnt(0)
	v_cmp_gt_u32_e32 vcc, s0, v0
	s_and_saveexec_b64 s[0:1], vcc
	s_cbranch_execz .LBB1013_6
; %bb.1:
	s_load_dwordx2 s[2:3], s[4:5], 0x4
	s_load_dwordx2 s[0:1], s[4:5], 0x20
	s_waitcnt lgkmcnt(0)
	s_lshr_b32 s6, s2, 9
	s_and_b32 s6, s6, 0x7ffffe
	s_add_i32 s7, s6, -1
	s_sub_i32 s6, 0, s6
	v_and_b32_e32 v1, s6, v0
	v_lshlrev_b32_e32 v1, 10, v1
	v_min_u32_e32 v2, s3, v1
	v_add_u32_e32 v1, s2, v1
	v_min_u32_e32 v4, s3, v1
	v_add_u32_e32 v1, s2, v4
	v_and_b32_e32 v3, s7, v0
	v_min_u32_e32 v1, s3, v1
	v_sub_u32_e32 v5, v1, v2
	v_lshlrev_b32_e32 v3, 10, v3
	v_min_u32_e32 v6, v5, v3
	v_sub_u32_e32 v3, v4, v2
	v_sub_u32_e32 v1, v1, v4
	v_sub_u32_e64 v1, v6, v1 clamp
	v_min_u32_e32 v7, v6, v3
	v_cmp_lt_u32_e32 vcc, v1, v7
	s_and_saveexec_b64 s[2:3], vcc
	s_cbranch_execz .LBB1013_5
; %bb.2:
	s_load_dwordx2 s[4:5], s[4:5], 0x10
	v_mov_b32_e32 v5, 0
	v_mov_b32_e32 v3, v5
	v_lshlrev_b64 v[8:9], 3, v[2:3]
	v_lshlrev_b64 v[10:11], 3, v[4:5]
	s_waitcnt lgkmcnt(0)
	v_mov_b32_e32 v12, s5
	v_add_co_u32_e32 v3, vcc, s4, v8
	v_addc_co_u32_e32 v8, vcc, v12, v9, vcc
	v_add_co_u32_e32 v9, vcc, s4, v10
	v_addc_co_u32_e32 v10, vcc, v12, v11, vcc
	s_mov_b64 s[4:5], 0
.LBB1013_3:                             ; =>This Inner Loop Header: Depth=1
	v_add_u32_e32 v4, v7, v1
	v_lshrrev_b32_e32 v4, 1, v4
	v_lshlrev_b64 v[14:15], 3, v[4:5]
	v_mov_b32_e32 v13, v5
	v_xad_u32 v12, v4, -1, v6
	v_add_co_u32_e32 v14, vcc, v3, v14
	v_addc_co_u32_e32 v15, vcc, v8, v15, vcc
	v_lshlrev_b64 v[12:13], 3, v[12:13]
	v_add_co_u32_e32 v12, vcc, v9, v12
	v_addc_co_u32_e32 v13, vcc, v10, v13, vcc
	global_load_dwordx2 v[16:17], v[14:15], off
	global_load_dwordx2 v[18:19], v[12:13], off
	v_add_u32_e32 v11, 1, v4
	s_waitcnt vmcnt(0)
	v_cmp_gt_i64_e32 vcc, v[16:17], v[18:19]
	v_cndmask_b32_e32 v7, v7, v4, vcc
	v_cndmask_b32_e32 v1, v11, v1, vcc
	v_cmp_ge_u32_e32 vcc, v1, v7
	s_or_b64 s[4:5], vcc, s[4:5]
	s_andn2_b64 exec, exec, s[4:5]
	s_cbranch_execnz .LBB1013_3
; %bb.4:
	s_or_b64 exec, exec, s[4:5]
.LBB1013_5:
	s_or_b64 exec, exec, s[2:3]
	v_add_u32_e32 v2, v1, v2
	v_mov_b32_e32 v1, 0
	v_lshlrev_b64 v[0:1], 2, v[0:1]
	v_mov_b32_e32 v3, s1
	v_add_co_u32_e32 v0, vcc, s0, v0
	v_addc_co_u32_e32 v1, vcc, v3, v1, vcc
	global_store_dword v[0:1], v2, off
.LBB1013_6:
	s_endpgm
	.section	.rodata,"a",@progbits
	.p2align	6, 0x0
	.amdhsa_kernel _ZN7rocprim17ROCPRIM_400000_NS6detail17trampoline_kernelINS0_14default_configENS1_38merge_sort_block_merge_config_selectorIllEEZZNS1_27merge_sort_block_merge_implIS3_PlN6thrust23THRUST_200600_302600_NS10device_ptrIlEEjNS1_19radix_merge_compareILb0ELb0ElNS0_19identity_decomposerEEEEE10hipError_tT0_T1_T2_jT3_P12ihipStream_tbPNSt15iterator_traitsISG_E10value_typeEPNSM_ISH_E10value_typeEPSI_NS1_7vsmem_tEENKUlT_SG_SH_SI_E_clIS7_S7_S7_SB_EESF_SV_SG_SH_SI_EUlSV_E_NS1_11comp_targetILNS1_3genE4ELNS1_11target_archE910ELNS1_3gpuE8ELNS1_3repE0EEENS1_48merge_mergepath_partition_config_static_selectorELNS0_4arch9wavefront6targetE1EEEvSH_
		.amdhsa_group_segment_fixed_size 0
		.amdhsa_private_segment_fixed_size 0
		.amdhsa_kernarg_size 40
		.amdhsa_user_sgpr_count 6
		.amdhsa_user_sgpr_private_segment_buffer 1
		.amdhsa_user_sgpr_dispatch_ptr 0
		.amdhsa_user_sgpr_queue_ptr 0
		.amdhsa_user_sgpr_kernarg_segment_ptr 1
		.amdhsa_user_sgpr_dispatch_id 0
		.amdhsa_user_sgpr_flat_scratch_init 0
		.amdhsa_user_sgpr_kernarg_preload_length 0
		.amdhsa_user_sgpr_kernarg_preload_offset 0
		.amdhsa_user_sgpr_private_segment_size 0
		.amdhsa_uses_dynamic_stack 0
		.amdhsa_system_sgpr_private_segment_wavefront_offset 0
		.amdhsa_system_sgpr_workgroup_id_x 1
		.amdhsa_system_sgpr_workgroup_id_y 0
		.amdhsa_system_sgpr_workgroup_id_z 0
		.amdhsa_system_sgpr_workgroup_info 0
		.amdhsa_system_vgpr_workitem_id 0
		.amdhsa_next_free_vgpr 20
		.amdhsa_next_free_sgpr 8
		.amdhsa_accum_offset 20
		.amdhsa_reserve_vcc 1
		.amdhsa_reserve_flat_scratch 0
		.amdhsa_float_round_mode_32 0
		.amdhsa_float_round_mode_16_64 0
		.amdhsa_float_denorm_mode_32 3
		.amdhsa_float_denorm_mode_16_64 3
		.amdhsa_dx10_clamp 1
		.amdhsa_ieee_mode 1
		.amdhsa_fp16_overflow 0
		.amdhsa_tg_split 0
		.amdhsa_exception_fp_ieee_invalid_op 0
		.amdhsa_exception_fp_denorm_src 0
		.amdhsa_exception_fp_ieee_div_zero 0
		.amdhsa_exception_fp_ieee_overflow 0
		.amdhsa_exception_fp_ieee_underflow 0
		.amdhsa_exception_fp_ieee_inexact 0
		.amdhsa_exception_int_div_zero 0
	.end_amdhsa_kernel
	.section	.text._ZN7rocprim17ROCPRIM_400000_NS6detail17trampoline_kernelINS0_14default_configENS1_38merge_sort_block_merge_config_selectorIllEEZZNS1_27merge_sort_block_merge_implIS3_PlN6thrust23THRUST_200600_302600_NS10device_ptrIlEEjNS1_19radix_merge_compareILb0ELb0ElNS0_19identity_decomposerEEEEE10hipError_tT0_T1_T2_jT3_P12ihipStream_tbPNSt15iterator_traitsISG_E10value_typeEPNSM_ISH_E10value_typeEPSI_NS1_7vsmem_tEENKUlT_SG_SH_SI_E_clIS7_S7_S7_SB_EESF_SV_SG_SH_SI_EUlSV_E_NS1_11comp_targetILNS1_3genE4ELNS1_11target_archE910ELNS1_3gpuE8ELNS1_3repE0EEENS1_48merge_mergepath_partition_config_static_selectorELNS0_4arch9wavefront6targetE1EEEvSH_,"axG",@progbits,_ZN7rocprim17ROCPRIM_400000_NS6detail17trampoline_kernelINS0_14default_configENS1_38merge_sort_block_merge_config_selectorIllEEZZNS1_27merge_sort_block_merge_implIS3_PlN6thrust23THRUST_200600_302600_NS10device_ptrIlEEjNS1_19radix_merge_compareILb0ELb0ElNS0_19identity_decomposerEEEEE10hipError_tT0_T1_T2_jT3_P12ihipStream_tbPNSt15iterator_traitsISG_E10value_typeEPNSM_ISH_E10value_typeEPSI_NS1_7vsmem_tEENKUlT_SG_SH_SI_E_clIS7_S7_S7_SB_EESF_SV_SG_SH_SI_EUlSV_E_NS1_11comp_targetILNS1_3genE4ELNS1_11target_archE910ELNS1_3gpuE8ELNS1_3repE0EEENS1_48merge_mergepath_partition_config_static_selectorELNS0_4arch9wavefront6targetE1EEEvSH_,comdat
.Lfunc_end1013:
	.size	_ZN7rocprim17ROCPRIM_400000_NS6detail17trampoline_kernelINS0_14default_configENS1_38merge_sort_block_merge_config_selectorIllEEZZNS1_27merge_sort_block_merge_implIS3_PlN6thrust23THRUST_200600_302600_NS10device_ptrIlEEjNS1_19radix_merge_compareILb0ELb0ElNS0_19identity_decomposerEEEEE10hipError_tT0_T1_T2_jT3_P12ihipStream_tbPNSt15iterator_traitsISG_E10value_typeEPNSM_ISH_E10value_typeEPSI_NS1_7vsmem_tEENKUlT_SG_SH_SI_E_clIS7_S7_S7_SB_EESF_SV_SG_SH_SI_EUlSV_E_NS1_11comp_targetILNS1_3genE4ELNS1_11target_archE910ELNS1_3gpuE8ELNS1_3repE0EEENS1_48merge_mergepath_partition_config_static_selectorELNS0_4arch9wavefront6targetE1EEEvSH_, .Lfunc_end1013-_ZN7rocprim17ROCPRIM_400000_NS6detail17trampoline_kernelINS0_14default_configENS1_38merge_sort_block_merge_config_selectorIllEEZZNS1_27merge_sort_block_merge_implIS3_PlN6thrust23THRUST_200600_302600_NS10device_ptrIlEEjNS1_19radix_merge_compareILb0ELb0ElNS0_19identity_decomposerEEEEE10hipError_tT0_T1_T2_jT3_P12ihipStream_tbPNSt15iterator_traitsISG_E10value_typeEPNSM_ISH_E10value_typeEPSI_NS1_7vsmem_tEENKUlT_SG_SH_SI_E_clIS7_S7_S7_SB_EESF_SV_SG_SH_SI_EUlSV_E_NS1_11comp_targetILNS1_3genE4ELNS1_11target_archE910ELNS1_3gpuE8ELNS1_3repE0EEENS1_48merge_mergepath_partition_config_static_selectorELNS0_4arch9wavefront6targetE1EEEvSH_
                                        ; -- End function
	.section	.AMDGPU.csdata,"",@progbits
; Kernel info:
; codeLenInByte = 360
; NumSgprs: 12
; NumVgprs: 20
; NumAgprs: 0
; TotalNumVgprs: 20
; ScratchSize: 0
; MemoryBound: 0
; FloatMode: 240
; IeeeMode: 1
; LDSByteSize: 0 bytes/workgroup (compile time only)
; SGPRBlocks: 1
; VGPRBlocks: 2
; NumSGPRsForWavesPerEU: 12
; NumVGPRsForWavesPerEU: 20
; AccumOffset: 20
; Occupancy: 8
; WaveLimiterHint : 0
; COMPUTE_PGM_RSRC2:SCRATCH_EN: 0
; COMPUTE_PGM_RSRC2:USER_SGPR: 6
; COMPUTE_PGM_RSRC2:TRAP_HANDLER: 0
; COMPUTE_PGM_RSRC2:TGID_X_EN: 1
; COMPUTE_PGM_RSRC2:TGID_Y_EN: 0
; COMPUTE_PGM_RSRC2:TGID_Z_EN: 0
; COMPUTE_PGM_RSRC2:TIDIG_COMP_CNT: 0
; COMPUTE_PGM_RSRC3_GFX90A:ACCUM_OFFSET: 4
; COMPUTE_PGM_RSRC3_GFX90A:TG_SPLIT: 0
	.section	.text._ZN7rocprim17ROCPRIM_400000_NS6detail17trampoline_kernelINS0_14default_configENS1_38merge_sort_block_merge_config_selectorIllEEZZNS1_27merge_sort_block_merge_implIS3_PlN6thrust23THRUST_200600_302600_NS10device_ptrIlEEjNS1_19radix_merge_compareILb0ELb0ElNS0_19identity_decomposerEEEEE10hipError_tT0_T1_T2_jT3_P12ihipStream_tbPNSt15iterator_traitsISG_E10value_typeEPNSM_ISH_E10value_typeEPSI_NS1_7vsmem_tEENKUlT_SG_SH_SI_E_clIS7_S7_S7_SB_EESF_SV_SG_SH_SI_EUlSV_E_NS1_11comp_targetILNS1_3genE3ELNS1_11target_archE908ELNS1_3gpuE7ELNS1_3repE0EEENS1_48merge_mergepath_partition_config_static_selectorELNS0_4arch9wavefront6targetE1EEEvSH_,"axG",@progbits,_ZN7rocprim17ROCPRIM_400000_NS6detail17trampoline_kernelINS0_14default_configENS1_38merge_sort_block_merge_config_selectorIllEEZZNS1_27merge_sort_block_merge_implIS3_PlN6thrust23THRUST_200600_302600_NS10device_ptrIlEEjNS1_19radix_merge_compareILb0ELb0ElNS0_19identity_decomposerEEEEE10hipError_tT0_T1_T2_jT3_P12ihipStream_tbPNSt15iterator_traitsISG_E10value_typeEPNSM_ISH_E10value_typeEPSI_NS1_7vsmem_tEENKUlT_SG_SH_SI_E_clIS7_S7_S7_SB_EESF_SV_SG_SH_SI_EUlSV_E_NS1_11comp_targetILNS1_3genE3ELNS1_11target_archE908ELNS1_3gpuE7ELNS1_3repE0EEENS1_48merge_mergepath_partition_config_static_selectorELNS0_4arch9wavefront6targetE1EEEvSH_,comdat
	.protected	_ZN7rocprim17ROCPRIM_400000_NS6detail17trampoline_kernelINS0_14default_configENS1_38merge_sort_block_merge_config_selectorIllEEZZNS1_27merge_sort_block_merge_implIS3_PlN6thrust23THRUST_200600_302600_NS10device_ptrIlEEjNS1_19radix_merge_compareILb0ELb0ElNS0_19identity_decomposerEEEEE10hipError_tT0_T1_T2_jT3_P12ihipStream_tbPNSt15iterator_traitsISG_E10value_typeEPNSM_ISH_E10value_typeEPSI_NS1_7vsmem_tEENKUlT_SG_SH_SI_E_clIS7_S7_S7_SB_EESF_SV_SG_SH_SI_EUlSV_E_NS1_11comp_targetILNS1_3genE3ELNS1_11target_archE908ELNS1_3gpuE7ELNS1_3repE0EEENS1_48merge_mergepath_partition_config_static_selectorELNS0_4arch9wavefront6targetE1EEEvSH_ ; -- Begin function _ZN7rocprim17ROCPRIM_400000_NS6detail17trampoline_kernelINS0_14default_configENS1_38merge_sort_block_merge_config_selectorIllEEZZNS1_27merge_sort_block_merge_implIS3_PlN6thrust23THRUST_200600_302600_NS10device_ptrIlEEjNS1_19radix_merge_compareILb0ELb0ElNS0_19identity_decomposerEEEEE10hipError_tT0_T1_T2_jT3_P12ihipStream_tbPNSt15iterator_traitsISG_E10value_typeEPNSM_ISH_E10value_typeEPSI_NS1_7vsmem_tEENKUlT_SG_SH_SI_E_clIS7_S7_S7_SB_EESF_SV_SG_SH_SI_EUlSV_E_NS1_11comp_targetILNS1_3genE3ELNS1_11target_archE908ELNS1_3gpuE7ELNS1_3repE0EEENS1_48merge_mergepath_partition_config_static_selectorELNS0_4arch9wavefront6targetE1EEEvSH_
	.globl	_ZN7rocprim17ROCPRIM_400000_NS6detail17trampoline_kernelINS0_14default_configENS1_38merge_sort_block_merge_config_selectorIllEEZZNS1_27merge_sort_block_merge_implIS3_PlN6thrust23THRUST_200600_302600_NS10device_ptrIlEEjNS1_19radix_merge_compareILb0ELb0ElNS0_19identity_decomposerEEEEE10hipError_tT0_T1_T2_jT3_P12ihipStream_tbPNSt15iterator_traitsISG_E10value_typeEPNSM_ISH_E10value_typeEPSI_NS1_7vsmem_tEENKUlT_SG_SH_SI_E_clIS7_S7_S7_SB_EESF_SV_SG_SH_SI_EUlSV_E_NS1_11comp_targetILNS1_3genE3ELNS1_11target_archE908ELNS1_3gpuE7ELNS1_3repE0EEENS1_48merge_mergepath_partition_config_static_selectorELNS0_4arch9wavefront6targetE1EEEvSH_
	.p2align	8
	.type	_ZN7rocprim17ROCPRIM_400000_NS6detail17trampoline_kernelINS0_14default_configENS1_38merge_sort_block_merge_config_selectorIllEEZZNS1_27merge_sort_block_merge_implIS3_PlN6thrust23THRUST_200600_302600_NS10device_ptrIlEEjNS1_19radix_merge_compareILb0ELb0ElNS0_19identity_decomposerEEEEE10hipError_tT0_T1_T2_jT3_P12ihipStream_tbPNSt15iterator_traitsISG_E10value_typeEPNSM_ISH_E10value_typeEPSI_NS1_7vsmem_tEENKUlT_SG_SH_SI_E_clIS7_S7_S7_SB_EESF_SV_SG_SH_SI_EUlSV_E_NS1_11comp_targetILNS1_3genE3ELNS1_11target_archE908ELNS1_3gpuE7ELNS1_3repE0EEENS1_48merge_mergepath_partition_config_static_selectorELNS0_4arch9wavefront6targetE1EEEvSH_,@function
_ZN7rocprim17ROCPRIM_400000_NS6detail17trampoline_kernelINS0_14default_configENS1_38merge_sort_block_merge_config_selectorIllEEZZNS1_27merge_sort_block_merge_implIS3_PlN6thrust23THRUST_200600_302600_NS10device_ptrIlEEjNS1_19radix_merge_compareILb0ELb0ElNS0_19identity_decomposerEEEEE10hipError_tT0_T1_T2_jT3_P12ihipStream_tbPNSt15iterator_traitsISG_E10value_typeEPNSM_ISH_E10value_typeEPSI_NS1_7vsmem_tEENKUlT_SG_SH_SI_E_clIS7_S7_S7_SB_EESF_SV_SG_SH_SI_EUlSV_E_NS1_11comp_targetILNS1_3genE3ELNS1_11target_archE908ELNS1_3gpuE7ELNS1_3repE0EEENS1_48merge_mergepath_partition_config_static_selectorELNS0_4arch9wavefront6targetE1EEEvSH_: ; @_ZN7rocprim17ROCPRIM_400000_NS6detail17trampoline_kernelINS0_14default_configENS1_38merge_sort_block_merge_config_selectorIllEEZZNS1_27merge_sort_block_merge_implIS3_PlN6thrust23THRUST_200600_302600_NS10device_ptrIlEEjNS1_19radix_merge_compareILb0ELb0ElNS0_19identity_decomposerEEEEE10hipError_tT0_T1_T2_jT3_P12ihipStream_tbPNSt15iterator_traitsISG_E10value_typeEPNSM_ISH_E10value_typeEPSI_NS1_7vsmem_tEENKUlT_SG_SH_SI_E_clIS7_S7_S7_SB_EESF_SV_SG_SH_SI_EUlSV_E_NS1_11comp_targetILNS1_3genE3ELNS1_11target_archE908ELNS1_3gpuE7ELNS1_3repE0EEENS1_48merge_mergepath_partition_config_static_selectorELNS0_4arch9wavefront6targetE1EEEvSH_
; %bb.0:
	.section	.rodata,"a",@progbits
	.p2align	6, 0x0
	.amdhsa_kernel _ZN7rocprim17ROCPRIM_400000_NS6detail17trampoline_kernelINS0_14default_configENS1_38merge_sort_block_merge_config_selectorIllEEZZNS1_27merge_sort_block_merge_implIS3_PlN6thrust23THRUST_200600_302600_NS10device_ptrIlEEjNS1_19radix_merge_compareILb0ELb0ElNS0_19identity_decomposerEEEEE10hipError_tT0_T1_T2_jT3_P12ihipStream_tbPNSt15iterator_traitsISG_E10value_typeEPNSM_ISH_E10value_typeEPSI_NS1_7vsmem_tEENKUlT_SG_SH_SI_E_clIS7_S7_S7_SB_EESF_SV_SG_SH_SI_EUlSV_E_NS1_11comp_targetILNS1_3genE3ELNS1_11target_archE908ELNS1_3gpuE7ELNS1_3repE0EEENS1_48merge_mergepath_partition_config_static_selectorELNS0_4arch9wavefront6targetE1EEEvSH_
		.amdhsa_group_segment_fixed_size 0
		.amdhsa_private_segment_fixed_size 0
		.amdhsa_kernarg_size 40
		.amdhsa_user_sgpr_count 6
		.amdhsa_user_sgpr_private_segment_buffer 1
		.amdhsa_user_sgpr_dispatch_ptr 0
		.amdhsa_user_sgpr_queue_ptr 0
		.amdhsa_user_sgpr_kernarg_segment_ptr 1
		.amdhsa_user_sgpr_dispatch_id 0
		.amdhsa_user_sgpr_flat_scratch_init 0
		.amdhsa_user_sgpr_kernarg_preload_length 0
		.amdhsa_user_sgpr_kernarg_preload_offset 0
		.amdhsa_user_sgpr_private_segment_size 0
		.amdhsa_uses_dynamic_stack 0
		.amdhsa_system_sgpr_private_segment_wavefront_offset 0
		.amdhsa_system_sgpr_workgroup_id_x 1
		.amdhsa_system_sgpr_workgroup_id_y 0
		.amdhsa_system_sgpr_workgroup_id_z 0
		.amdhsa_system_sgpr_workgroup_info 0
		.amdhsa_system_vgpr_workitem_id 0
		.amdhsa_next_free_vgpr 1
		.amdhsa_next_free_sgpr 0
		.amdhsa_accum_offset 4
		.amdhsa_reserve_vcc 0
		.amdhsa_reserve_flat_scratch 0
		.amdhsa_float_round_mode_32 0
		.amdhsa_float_round_mode_16_64 0
		.amdhsa_float_denorm_mode_32 3
		.amdhsa_float_denorm_mode_16_64 3
		.amdhsa_dx10_clamp 1
		.amdhsa_ieee_mode 1
		.amdhsa_fp16_overflow 0
		.amdhsa_tg_split 0
		.amdhsa_exception_fp_ieee_invalid_op 0
		.amdhsa_exception_fp_denorm_src 0
		.amdhsa_exception_fp_ieee_div_zero 0
		.amdhsa_exception_fp_ieee_overflow 0
		.amdhsa_exception_fp_ieee_underflow 0
		.amdhsa_exception_fp_ieee_inexact 0
		.amdhsa_exception_int_div_zero 0
	.end_amdhsa_kernel
	.section	.text._ZN7rocprim17ROCPRIM_400000_NS6detail17trampoline_kernelINS0_14default_configENS1_38merge_sort_block_merge_config_selectorIllEEZZNS1_27merge_sort_block_merge_implIS3_PlN6thrust23THRUST_200600_302600_NS10device_ptrIlEEjNS1_19radix_merge_compareILb0ELb0ElNS0_19identity_decomposerEEEEE10hipError_tT0_T1_T2_jT3_P12ihipStream_tbPNSt15iterator_traitsISG_E10value_typeEPNSM_ISH_E10value_typeEPSI_NS1_7vsmem_tEENKUlT_SG_SH_SI_E_clIS7_S7_S7_SB_EESF_SV_SG_SH_SI_EUlSV_E_NS1_11comp_targetILNS1_3genE3ELNS1_11target_archE908ELNS1_3gpuE7ELNS1_3repE0EEENS1_48merge_mergepath_partition_config_static_selectorELNS0_4arch9wavefront6targetE1EEEvSH_,"axG",@progbits,_ZN7rocprim17ROCPRIM_400000_NS6detail17trampoline_kernelINS0_14default_configENS1_38merge_sort_block_merge_config_selectorIllEEZZNS1_27merge_sort_block_merge_implIS3_PlN6thrust23THRUST_200600_302600_NS10device_ptrIlEEjNS1_19radix_merge_compareILb0ELb0ElNS0_19identity_decomposerEEEEE10hipError_tT0_T1_T2_jT3_P12ihipStream_tbPNSt15iterator_traitsISG_E10value_typeEPNSM_ISH_E10value_typeEPSI_NS1_7vsmem_tEENKUlT_SG_SH_SI_E_clIS7_S7_S7_SB_EESF_SV_SG_SH_SI_EUlSV_E_NS1_11comp_targetILNS1_3genE3ELNS1_11target_archE908ELNS1_3gpuE7ELNS1_3repE0EEENS1_48merge_mergepath_partition_config_static_selectorELNS0_4arch9wavefront6targetE1EEEvSH_,comdat
.Lfunc_end1014:
	.size	_ZN7rocprim17ROCPRIM_400000_NS6detail17trampoline_kernelINS0_14default_configENS1_38merge_sort_block_merge_config_selectorIllEEZZNS1_27merge_sort_block_merge_implIS3_PlN6thrust23THRUST_200600_302600_NS10device_ptrIlEEjNS1_19radix_merge_compareILb0ELb0ElNS0_19identity_decomposerEEEEE10hipError_tT0_T1_T2_jT3_P12ihipStream_tbPNSt15iterator_traitsISG_E10value_typeEPNSM_ISH_E10value_typeEPSI_NS1_7vsmem_tEENKUlT_SG_SH_SI_E_clIS7_S7_S7_SB_EESF_SV_SG_SH_SI_EUlSV_E_NS1_11comp_targetILNS1_3genE3ELNS1_11target_archE908ELNS1_3gpuE7ELNS1_3repE0EEENS1_48merge_mergepath_partition_config_static_selectorELNS0_4arch9wavefront6targetE1EEEvSH_, .Lfunc_end1014-_ZN7rocprim17ROCPRIM_400000_NS6detail17trampoline_kernelINS0_14default_configENS1_38merge_sort_block_merge_config_selectorIllEEZZNS1_27merge_sort_block_merge_implIS3_PlN6thrust23THRUST_200600_302600_NS10device_ptrIlEEjNS1_19radix_merge_compareILb0ELb0ElNS0_19identity_decomposerEEEEE10hipError_tT0_T1_T2_jT3_P12ihipStream_tbPNSt15iterator_traitsISG_E10value_typeEPNSM_ISH_E10value_typeEPSI_NS1_7vsmem_tEENKUlT_SG_SH_SI_E_clIS7_S7_S7_SB_EESF_SV_SG_SH_SI_EUlSV_E_NS1_11comp_targetILNS1_3genE3ELNS1_11target_archE908ELNS1_3gpuE7ELNS1_3repE0EEENS1_48merge_mergepath_partition_config_static_selectorELNS0_4arch9wavefront6targetE1EEEvSH_
                                        ; -- End function
	.section	.AMDGPU.csdata,"",@progbits
; Kernel info:
; codeLenInByte = 0
; NumSgprs: 4
; NumVgprs: 0
; NumAgprs: 0
; TotalNumVgprs: 0
; ScratchSize: 0
; MemoryBound: 0
; FloatMode: 240
; IeeeMode: 1
; LDSByteSize: 0 bytes/workgroup (compile time only)
; SGPRBlocks: 0
; VGPRBlocks: 0
; NumSGPRsForWavesPerEU: 4
; NumVGPRsForWavesPerEU: 1
; AccumOffset: 4
; Occupancy: 8
; WaveLimiterHint : 0
; COMPUTE_PGM_RSRC2:SCRATCH_EN: 0
; COMPUTE_PGM_RSRC2:USER_SGPR: 6
; COMPUTE_PGM_RSRC2:TRAP_HANDLER: 0
; COMPUTE_PGM_RSRC2:TGID_X_EN: 1
; COMPUTE_PGM_RSRC2:TGID_Y_EN: 0
; COMPUTE_PGM_RSRC2:TGID_Z_EN: 0
; COMPUTE_PGM_RSRC2:TIDIG_COMP_CNT: 0
; COMPUTE_PGM_RSRC3_GFX90A:ACCUM_OFFSET: 0
; COMPUTE_PGM_RSRC3_GFX90A:TG_SPLIT: 0
	.section	.text._ZN7rocprim17ROCPRIM_400000_NS6detail17trampoline_kernelINS0_14default_configENS1_38merge_sort_block_merge_config_selectorIllEEZZNS1_27merge_sort_block_merge_implIS3_PlN6thrust23THRUST_200600_302600_NS10device_ptrIlEEjNS1_19radix_merge_compareILb0ELb0ElNS0_19identity_decomposerEEEEE10hipError_tT0_T1_T2_jT3_P12ihipStream_tbPNSt15iterator_traitsISG_E10value_typeEPNSM_ISH_E10value_typeEPSI_NS1_7vsmem_tEENKUlT_SG_SH_SI_E_clIS7_S7_S7_SB_EESF_SV_SG_SH_SI_EUlSV_E_NS1_11comp_targetILNS1_3genE2ELNS1_11target_archE906ELNS1_3gpuE6ELNS1_3repE0EEENS1_48merge_mergepath_partition_config_static_selectorELNS0_4arch9wavefront6targetE1EEEvSH_,"axG",@progbits,_ZN7rocprim17ROCPRIM_400000_NS6detail17trampoline_kernelINS0_14default_configENS1_38merge_sort_block_merge_config_selectorIllEEZZNS1_27merge_sort_block_merge_implIS3_PlN6thrust23THRUST_200600_302600_NS10device_ptrIlEEjNS1_19radix_merge_compareILb0ELb0ElNS0_19identity_decomposerEEEEE10hipError_tT0_T1_T2_jT3_P12ihipStream_tbPNSt15iterator_traitsISG_E10value_typeEPNSM_ISH_E10value_typeEPSI_NS1_7vsmem_tEENKUlT_SG_SH_SI_E_clIS7_S7_S7_SB_EESF_SV_SG_SH_SI_EUlSV_E_NS1_11comp_targetILNS1_3genE2ELNS1_11target_archE906ELNS1_3gpuE6ELNS1_3repE0EEENS1_48merge_mergepath_partition_config_static_selectorELNS0_4arch9wavefront6targetE1EEEvSH_,comdat
	.protected	_ZN7rocprim17ROCPRIM_400000_NS6detail17trampoline_kernelINS0_14default_configENS1_38merge_sort_block_merge_config_selectorIllEEZZNS1_27merge_sort_block_merge_implIS3_PlN6thrust23THRUST_200600_302600_NS10device_ptrIlEEjNS1_19radix_merge_compareILb0ELb0ElNS0_19identity_decomposerEEEEE10hipError_tT0_T1_T2_jT3_P12ihipStream_tbPNSt15iterator_traitsISG_E10value_typeEPNSM_ISH_E10value_typeEPSI_NS1_7vsmem_tEENKUlT_SG_SH_SI_E_clIS7_S7_S7_SB_EESF_SV_SG_SH_SI_EUlSV_E_NS1_11comp_targetILNS1_3genE2ELNS1_11target_archE906ELNS1_3gpuE6ELNS1_3repE0EEENS1_48merge_mergepath_partition_config_static_selectorELNS0_4arch9wavefront6targetE1EEEvSH_ ; -- Begin function _ZN7rocprim17ROCPRIM_400000_NS6detail17trampoline_kernelINS0_14default_configENS1_38merge_sort_block_merge_config_selectorIllEEZZNS1_27merge_sort_block_merge_implIS3_PlN6thrust23THRUST_200600_302600_NS10device_ptrIlEEjNS1_19radix_merge_compareILb0ELb0ElNS0_19identity_decomposerEEEEE10hipError_tT0_T1_T2_jT3_P12ihipStream_tbPNSt15iterator_traitsISG_E10value_typeEPNSM_ISH_E10value_typeEPSI_NS1_7vsmem_tEENKUlT_SG_SH_SI_E_clIS7_S7_S7_SB_EESF_SV_SG_SH_SI_EUlSV_E_NS1_11comp_targetILNS1_3genE2ELNS1_11target_archE906ELNS1_3gpuE6ELNS1_3repE0EEENS1_48merge_mergepath_partition_config_static_selectorELNS0_4arch9wavefront6targetE1EEEvSH_
	.globl	_ZN7rocprim17ROCPRIM_400000_NS6detail17trampoline_kernelINS0_14default_configENS1_38merge_sort_block_merge_config_selectorIllEEZZNS1_27merge_sort_block_merge_implIS3_PlN6thrust23THRUST_200600_302600_NS10device_ptrIlEEjNS1_19radix_merge_compareILb0ELb0ElNS0_19identity_decomposerEEEEE10hipError_tT0_T1_T2_jT3_P12ihipStream_tbPNSt15iterator_traitsISG_E10value_typeEPNSM_ISH_E10value_typeEPSI_NS1_7vsmem_tEENKUlT_SG_SH_SI_E_clIS7_S7_S7_SB_EESF_SV_SG_SH_SI_EUlSV_E_NS1_11comp_targetILNS1_3genE2ELNS1_11target_archE906ELNS1_3gpuE6ELNS1_3repE0EEENS1_48merge_mergepath_partition_config_static_selectorELNS0_4arch9wavefront6targetE1EEEvSH_
	.p2align	8
	.type	_ZN7rocprim17ROCPRIM_400000_NS6detail17trampoline_kernelINS0_14default_configENS1_38merge_sort_block_merge_config_selectorIllEEZZNS1_27merge_sort_block_merge_implIS3_PlN6thrust23THRUST_200600_302600_NS10device_ptrIlEEjNS1_19radix_merge_compareILb0ELb0ElNS0_19identity_decomposerEEEEE10hipError_tT0_T1_T2_jT3_P12ihipStream_tbPNSt15iterator_traitsISG_E10value_typeEPNSM_ISH_E10value_typeEPSI_NS1_7vsmem_tEENKUlT_SG_SH_SI_E_clIS7_S7_S7_SB_EESF_SV_SG_SH_SI_EUlSV_E_NS1_11comp_targetILNS1_3genE2ELNS1_11target_archE906ELNS1_3gpuE6ELNS1_3repE0EEENS1_48merge_mergepath_partition_config_static_selectorELNS0_4arch9wavefront6targetE1EEEvSH_,@function
_ZN7rocprim17ROCPRIM_400000_NS6detail17trampoline_kernelINS0_14default_configENS1_38merge_sort_block_merge_config_selectorIllEEZZNS1_27merge_sort_block_merge_implIS3_PlN6thrust23THRUST_200600_302600_NS10device_ptrIlEEjNS1_19radix_merge_compareILb0ELb0ElNS0_19identity_decomposerEEEEE10hipError_tT0_T1_T2_jT3_P12ihipStream_tbPNSt15iterator_traitsISG_E10value_typeEPNSM_ISH_E10value_typeEPSI_NS1_7vsmem_tEENKUlT_SG_SH_SI_E_clIS7_S7_S7_SB_EESF_SV_SG_SH_SI_EUlSV_E_NS1_11comp_targetILNS1_3genE2ELNS1_11target_archE906ELNS1_3gpuE6ELNS1_3repE0EEENS1_48merge_mergepath_partition_config_static_selectorELNS0_4arch9wavefront6targetE1EEEvSH_: ; @_ZN7rocprim17ROCPRIM_400000_NS6detail17trampoline_kernelINS0_14default_configENS1_38merge_sort_block_merge_config_selectorIllEEZZNS1_27merge_sort_block_merge_implIS3_PlN6thrust23THRUST_200600_302600_NS10device_ptrIlEEjNS1_19radix_merge_compareILb0ELb0ElNS0_19identity_decomposerEEEEE10hipError_tT0_T1_T2_jT3_P12ihipStream_tbPNSt15iterator_traitsISG_E10value_typeEPNSM_ISH_E10value_typeEPSI_NS1_7vsmem_tEENKUlT_SG_SH_SI_E_clIS7_S7_S7_SB_EESF_SV_SG_SH_SI_EUlSV_E_NS1_11comp_targetILNS1_3genE2ELNS1_11target_archE906ELNS1_3gpuE6ELNS1_3repE0EEENS1_48merge_mergepath_partition_config_static_selectorELNS0_4arch9wavefront6targetE1EEEvSH_
; %bb.0:
	.section	.rodata,"a",@progbits
	.p2align	6, 0x0
	.amdhsa_kernel _ZN7rocprim17ROCPRIM_400000_NS6detail17trampoline_kernelINS0_14default_configENS1_38merge_sort_block_merge_config_selectorIllEEZZNS1_27merge_sort_block_merge_implIS3_PlN6thrust23THRUST_200600_302600_NS10device_ptrIlEEjNS1_19radix_merge_compareILb0ELb0ElNS0_19identity_decomposerEEEEE10hipError_tT0_T1_T2_jT3_P12ihipStream_tbPNSt15iterator_traitsISG_E10value_typeEPNSM_ISH_E10value_typeEPSI_NS1_7vsmem_tEENKUlT_SG_SH_SI_E_clIS7_S7_S7_SB_EESF_SV_SG_SH_SI_EUlSV_E_NS1_11comp_targetILNS1_3genE2ELNS1_11target_archE906ELNS1_3gpuE6ELNS1_3repE0EEENS1_48merge_mergepath_partition_config_static_selectorELNS0_4arch9wavefront6targetE1EEEvSH_
		.amdhsa_group_segment_fixed_size 0
		.amdhsa_private_segment_fixed_size 0
		.amdhsa_kernarg_size 40
		.amdhsa_user_sgpr_count 6
		.amdhsa_user_sgpr_private_segment_buffer 1
		.amdhsa_user_sgpr_dispatch_ptr 0
		.amdhsa_user_sgpr_queue_ptr 0
		.amdhsa_user_sgpr_kernarg_segment_ptr 1
		.amdhsa_user_sgpr_dispatch_id 0
		.amdhsa_user_sgpr_flat_scratch_init 0
		.amdhsa_user_sgpr_kernarg_preload_length 0
		.amdhsa_user_sgpr_kernarg_preload_offset 0
		.amdhsa_user_sgpr_private_segment_size 0
		.amdhsa_uses_dynamic_stack 0
		.amdhsa_system_sgpr_private_segment_wavefront_offset 0
		.amdhsa_system_sgpr_workgroup_id_x 1
		.amdhsa_system_sgpr_workgroup_id_y 0
		.amdhsa_system_sgpr_workgroup_id_z 0
		.amdhsa_system_sgpr_workgroup_info 0
		.amdhsa_system_vgpr_workitem_id 0
		.amdhsa_next_free_vgpr 1
		.amdhsa_next_free_sgpr 0
		.amdhsa_accum_offset 4
		.amdhsa_reserve_vcc 0
		.amdhsa_reserve_flat_scratch 0
		.amdhsa_float_round_mode_32 0
		.amdhsa_float_round_mode_16_64 0
		.amdhsa_float_denorm_mode_32 3
		.amdhsa_float_denorm_mode_16_64 3
		.amdhsa_dx10_clamp 1
		.amdhsa_ieee_mode 1
		.amdhsa_fp16_overflow 0
		.amdhsa_tg_split 0
		.amdhsa_exception_fp_ieee_invalid_op 0
		.amdhsa_exception_fp_denorm_src 0
		.amdhsa_exception_fp_ieee_div_zero 0
		.amdhsa_exception_fp_ieee_overflow 0
		.amdhsa_exception_fp_ieee_underflow 0
		.amdhsa_exception_fp_ieee_inexact 0
		.amdhsa_exception_int_div_zero 0
	.end_amdhsa_kernel
	.section	.text._ZN7rocprim17ROCPRIM_400000_NS6detail17trampoline_kernelINS0_14default_configENS1_38merge_sort_block_merge_config_selectorIllEEZZNS1_27merge_sort_block_merge_implIS3_PlN6thrust23THRUST_200600_302600_NS10device_ptrIlEEjNS1_19radix_merge_compareILb0ELb0ElNS0_19identity_decomposerEEEEE10hipError_tT0_T1_T2_jT3_P12ihipStream_tbPNSt15iterator_traitsISG_E10value_typeEPNSM_ISH_E10value_typeEPSI_NS1_7vsmem_tEENKUlT_SG_SH_SI_E_clIS7_S7_S7_SB_EESF_SV_SG_SH_SI_EUlSV_E_NS1_11comp_targetILNS1_3genE2ELNS1_11target_archE906ELNS1_3gpuE6ELNS1_3repE0EEENS1_48merge_mergepath_partition_config_static_selectorELNS0_4arch9wavefront6targetE1EEEvSH_,"axG",@progbits,_ZN7rocprim17ROCPRIM_400000_NS6detail17trampoline_kernelINS0_14default_configENS1_38merge_sort_block_merge_config_selectorIllEEZZNS1_27merge_sort_block_merge_implIS3_PlN6thrust23THRUST_200600_302600_NS10device_ptrIlEEjNS1_19radix_merge_compareILb0ELb0ElNS0_19identity_decomposerEEEEE10hipError_tT0_T1_T2_jT3_P12ihipStream_tbPNSt15iterator_traitsISG_E10value_typeEPNSM_ISH_E10value_typeEPSI_NS1_7vsmem_tEENKUlT_SG_SH_SI_E_clIS7_S7_S7_SB_EESF_SV_SG_SH_SI_EUlSV_E_NS1_11comp_targetILNS1_3genE2ELNS1_11target_archE906ELNS1_3gpuE6ELNS1_3repE0EEENS1_48merge_mergepath_partition_config_static_selectorELNS0_4arch9wavefront6targetE1EEEvSH_,comdat
.Lfunc_end1015:
	.size	_ZN7rocprim17ROCPRIM_400000_NS6detail17trampoline_kernelINS0_14default_configENS1_38merge_sort_block_merge_config_selectorIllEEZZNS1_27merge_sort_block_merge_implIS3_PlN6thrust23THRUST_200600_302600_NS10device_ptrIlEEjNS1_19radix_merge_compareILb0ELb0ElNS0_19identity_decomposerEEEEE10hipError_tT0_T1_T2_jT3_P12ihipStream_tbPNSt15iterator_traitsISG_E10value_typeEPNSM_ISH_E10value_typeEPSI_NS1_7vsmem_tEENKUlT_SG_SH_SI_E_clIS7_S7_S7_SB_EESF_SV_SG_SH_SI_EUlSV_E_NS1_11comp_targetILNS1_3genE2ELNS1_11target_archE906ELNS1_3gpuE6ELNS1_3repE0EEENS1_48merge_mergepath_partition_config_static_selectorELNS0_4arch9wavefront6targetE1EEEvSH_, .Lfunc_end1015-_ZN7rocprim17ROCPRIM_400000_NS6detail17trampoline_kernelINS0_14default_configENS1_38merge_sort_block_merge_config_selectorIllEEZZNS1_27merge_sort_block_merge_implIS3_PlN6thrust23THRUST_200600_302600_NS10device_ptrIlEEjNS1_19radix_merge_compareILb0ELb0ElNS0_19identity_decomposerEEEEE10hipError_tT0_T1_T2_jT3_P12ihipStream_tbPNSt15iterator_traitsISG_E10value_typeEPNSM_ISH_E10value_typeEPSI_NS1_7vsmem_tEENKUlT_SG_SH_SI_E_clIS7_S7_S7_SB_EESF_SV_SG_SH_SI_EUlSV_E_NS1_11comp_targetILNS1_3genE2ELNS1_11target_archE906ELNS1_3gpuE6ELNS1_3repE0EEENS1_48merge_mergepath_partition_config_static_selectorELNS0_4arch9wavefront6targetE1EEEvSH_
                                        ; -- End function
	.section	.AMDGPU.csdata,"",@progbits
; Kernel info:
; codeLenInByte = 0
; NumSgprs: 4
; NumVgprs: 0
; NumAgprs: 0
; TotalNumVgprs: 0
; ScratchSize: 0
; MemoryBound: 0
; FloatMode: 240
; IeeeMode: 1
; LDSByteSize: 0 bytes/workgroup (compile time only)
; SGPRBlocks: 0
; VGPRBlocks: 0
; NumSGPRsForWavesPerEU: 4
; NumVGPRsForWavesPerEU: 1
; AccumOffset: 4
; Occupancy: 8
; WaveLimiterHint : 0
; COMPUTE_PGM_RSRC2:SCRATCH_EN: 0
; COMPUTE_PGM_RSRC2:USER_SGPR: 6
; COMPUTE_PGM_RSRC2:TRAP_HANDLER: 0
; COMPUTE_PGM_RSRC2:TGID_X_EN: 1
; COMPUTE_PGM_RSRC2:TGID_Y_EN: 0
; COMPUTE_PGM_RSRC2:TGID_Z_EN: 0
; COMPUTE_PGM_RSRC2:TIDIG_COMP_CNT: 0
; COMPUTE_PGM_RSRC3_GFX90A:ACCUM_OFFSET: 0
; COMPUTE_PGM_RSRC3_GFX90A:TG_SPLIT: 0
	.section	.text._ZN7rocprim17ROCPRIM_400000_NS6detail17trampoline_kernelINS0_14default_configENS1_38merge_sort_block_merge_config_selectorIllEEZZNS1_27merge_sort_block_merge_implIS3_PlN6thrust23THRUST_200600_302600_NS10device_ptrIlEEjNS1_19radix_merge_compareILb0ELb0ElNS0_19identity_decomposerEEEEE10hipError_tT0_T1_T2_jT3_P12ihipStream_tbPNSt15iterator_traitsISG_E10value_typeEPNSM_ISH_E10value_typeEPSI_NS1_7vsmem_tEENKUlT_SG_SH_SI_E_clIS7_S7_S7_SB_EESF_SV_SG_SH_SI_EUlSV_E_NS1_11comp_targetILNS1_3genE9ELNS1_11target_archE1100ELNS1_3gpuE3ELNS1_3repE0EEENS1_48merge_mergepath_partition_config_static_selectorELNS0_4arch9wavefront6targetE1EEEvSH_,"axG",@progbits,_ZN7rocprim17ROCPRIM_400000_NS6detail17trampoline_kernelINS0_14default_configENS1_38merge_sort_block_merge_config_selectorIllEEZZNS1_27merge_sort_block_merge_implIS3_PlN6thrust23THRUST_200600_302600_NS10device_ptrIlEEjNS1_19radix_merge_compareILb0ELb0ElNS0_19identity_decomposerEEEEE10hipError_tT0_T1_T2_jT3_P12ihipStream_tbPNSt15iterator_traitsISG_E10value_typeEPNSM_ISH_E10value_typeEPSI_NS1_7vsmem_tEENKUlT_SG_SH_SI_E_clIS7_S7_S7_SB_EESF_SV_SG_SH_SI_EUlSV_E_NS1_11comp_targetILNS1_3genE9ELNS1_11target_archE1100ELNS1_3gpuE3ELNS1_3repE0EEENS1_48merge_mergepath_partition_config_static_selectorELNS0_4arch9wavefront6targetE1EEEvSH_,comdat
	.protected	_ZN7rocprim17ROCPRIM_400000_NS6detail17trampoline_kernelINS0_14default_configENS1_38merge_sort_block_merge_config_selectorIllEEZZNS1_27merge_sort_block_merge_implIS3_PlN6thrust23THRUST_200600_302600_NS10device_ptrIlEEjNS1_19radix_merge_compareILb0ELb0ElNS0_19identity_decomposerEEEEE10hipError_tT0_T1_T2_jT3_P12ihipStream_tbPNSt15iterator_traitsISG_E10value_typeEPNSM_ISH_E10value_typeEPSI_NS1_7vsmem_tEENKUlT_SG_SH_SI_E_clIS7_S7_S7_SB_EESF_SV_SG_SH_SI_EUlSV_E_NS1_11comp_targetILNS1_3genE9ELNS1_11target_archE1100ELNS1_3gpuE3ELNS1_3repE0EEENS1_48merge_mergepath_partition_config_static_selectorELNS0_4arch9wavefront6targetE1EEEvSH_ ; -- Begin function _ZN7rocprim17ROCPRIM_400000_NS6detail17trampoline_kernelINS0_14default_configENS1_38merge_sort_block_merge_config_selectorIllEEZZNS1_27merge_sort_block_merge_implIS3_PlN6thrust23THRUST_200600_302600_NS10device_ptrIlEEjNS1_19radix_merge_compareILb0ELb0ElNS0_19identity_decomposerEEEEE10hipError_tT0_T1_T2_jT3_P12ihipStream_tbPNSt15iterator_traitsISG_E10value_typeEPNSM_ISH_E10value_typeEPSI_NS1_7vsmem_tEENKUlT_SG_SH_SI_E_clIS7_S7_S7_SB_EESF_SV_SG_SH_SI_EUlSV_E_NS1_11comp_targetILNS1_3genE9ELNS1_11target_archE1100ELNS1_3gpuE3ELNS1_3repE0EEENS1_48merge_mergepath_partition_config_static_selectorELNS0_4arch9wavefront6targetE1EEEvSH_
	.globl	_ZN7rocprim17ROCPRIM_400000_NS6detail17trampoline_kernelINS0_14default_configENS1_38merge_sort_block_merge_config_selectorIllEEZZNS1_27merge_sort_block_merge_implIS3_PlN6thrust23THRUST_200600_302600_NS10device_ptrIlEEjNS1_19radix_merge_compareILb0ELb0ElNS0_19identity_decomposerEEEEE10hipError_tT0_T1_T2_jT3_P12ihipStream_tbPNSt15iterator_traitsISG_E10value_typeEPNSM_ISH_E10value_typeEPSI_NS1_7vsmem_tEENKUlT_SG_SH_SI_E_clIS7_S7_S7_SB_EESF_SV_SG_SH_SI_EUlSV_E_NS1_11comp_targetILNS1_3genE9ELNS1_11target_archE1100ELNS1_3gpuE3ELNS1_3repE0EEENS1_48merge_mergepath_partition_config_static_selectorELNS0_4arch9wavefront6targetE1EEEvSH_
	.p2align	8
	.type	_ZN7rocprim17ROCPRIM_400000_NS6detail17trampoline_kernelINS0_14default_configENS1_38merge_sort_block_merge_config_selectorIllEEZZNS1_27merge_sort_block_merge_implIS3_PlN6thrust23THRUST_200600_302600_NS10device_ptrIlEEjNS1_19radix_merge_compareILb0ELb0ElNS0_19identity_decomposerEEEEE10hipError_tT0_T1_T2_jT3_P12ihipStream_tbPNSt15iterator_traitsISG_E10value_typeEPNSM_ISH_E10value_typeEPSI_NS1_7vsmem_tEENKUlT_SG_SH_SI_E_clIS7_S7_S7_SB_EESF_SV_SG_SH_SI_EUlSV_E_NS1_11comp_targetILNS1_3genE9ELNS1_11target_archE1100ELNS1_3gpuE3ELNS1_3repE0EEENS1_48merge_mergepath_partition_config_static_selectorELNS0_4arch9wavefront6targetE1EEEvSH_,@function
_ZN7rocprim17ROCPRIM_400000_NS6detail17trampoline_kernelINS0_14default_configENS1_38merge_sort_block_merge_config_selectorIllEEZZNS1_27merge_sort_block_merge_implIS3_PlN6thrust23THRUST_200600_302600_NS10device_ptrIlEEjNS1_19radix_merge_compareILb0ELb0ElNS0_19identity_decomposerEEEEE10hipError_tT0_T1_T2_jT3_P12ihipStream_tbPNSt15iterator_traitsISG_E10value_typeEPNSM_ISH_E10value_typeEPSI_NS1_7vsmem_tEENKUlT_SG_SH_SI_E_clIS7_S7_S7_SB_EESF_SV_SG_SH_SI_EUlSV_E_NS1_11comp_targetILNS1_3genE9ELNS1_11target_archE1100ELNS1_3gpuE3ELNS1_3repE0EEENS1_48merge_mergepath_partition_config_static_selectorELNS0_4arch9wavefront6targetE1EEEvSH_: ; @_ZN7rocprim17ROCPRIM_400000_NS6detail17trampoline_kernelINS0_14default_configENS1_38merge_sort_block_merge_config_selectorIllEEZZNS1_27merge_sort_block_merge_implIS3_PlN6thrust23THRUST_200600_302600_NS10device_ptrIlEEjNS1_19radix_merge_compareILb0ELb0ElNS0_19identity_decomposerEEEEE10hipError_tT0_T1_T2_jT3_P12ihipStream_tbPNSt15iterator_traitsISG_E10value_typeEPNSM_ISH_E10value_typeEPSI_NS1_7vsmem_tEENKUlT_SG_SH_SI_E_clIS7_S7_S7_SB_EESF_SV_SG_SH_SI_EUlSV_E_NS1_11comp_targetILNS1_3genE9ELNS1_11target_archE1100ELNS1_3gpuE3ELNS1_3repE0EEENS1_48merge_mergepath_partition_config_static_selectorELNS0_4arch9wavefront6targetE1EEEvSH_
; %bb.0:
	.section	.rodata,"a",@progbits
	.p2align	6, 0x0
	.amdhsa_kernel _ZN7rocprim17ROCPRIM_400000_NS6detail17trampoline_kernelINS0_14default_configENS1_38merge_sort_block_merge_config_selectorIllEEZZNS1_27merge_sort_block_merge_implIS3_PlN6thrust23THRUST_200600_302600_NS10device_ptrIlEEjNS1_19radix_merge_compareILb0ELb0ElNS0_19identity_decomposerEEEEE10hipError_tT0_T1_T2_jT3_P12ihipStream_tbPNSt15iterator_traitsISG_E10value_typeEPNSM_ISH_E10value_typeEPSI_NS1_7vsmem_tEENKUlT_SG_SH_SI_E_clIS7_S7_S7_SB_EESF_SV_SG_SH_SI_EUlSV_E_NS1_11comp_targetILNS1_3genE9ELNS1_11target_archE1100ELNS1_3gpuE3ELNS1_3repE0EEENS1_48merge_mergepath_partition_config_static_selectorELNS0_4arch9wavefront6targetE1EEEvSH_
		.amdhsa_group_segment_fixed_size 0
		.amdhsa_private_segment_fixed_size 0
		.amdhsa_kernarg_size 40
		.amdhsa_user_sgpr_count 6
		.amdhsa_user_sgpr_private_segment_buffer 1
		.amdhsa_user_sgpr_dispatch_ptr 0
		.amdhsa_user_sgpr_queue_ptr 0
		.amdhsa_user_sgpr_kernarg_segment_ptr 1
		.amdhsa_user_sgpr_dispatch_id 0
		.amdhsa_user_sgpr_flat_scratch_init 0
		.amdhsa_user_sgpr_kernarg_preload_length 0
		.amdhsa_user_sgpr_kernarg_preload_offset 0
		.amdhsa_user_sgpr_private_segment_size 0
		.amdhsa_uses_dynamic_stack 0
		.amdhsa_system_sgpr_private_segment_wavefront_offset 0
		.amdhsa_system_sgpr_workgroup_id_x 1
		.amdhsa_system_sgpr_workgroup_id_y 0
		.amdhsa_system_sgpr_workgroup_id_z 0
		.amdhsa_system_sgpr_workgroup_info 0
		.amdhsa_system_vgpr_workitem_id 0
		.amdhsa_next_free_vgpr 1
		.amdhsa_next_free_sgpr 0
		.amdhsa_accum_offset 4
		.amdhsa_reserve_vcc 0
		.amdhsa_reserve_flat_scratch 0
		.amdhsa_float_round_mode_32 0
		.amdhsa_float_round_mode_16_64 0
		.amdhsa_float_denorm_mode_32 3
		.amdhsa_float_denorm_mode_16_64 3
		.amdhsa_dx10_clamp 1
		.amdhsa_ieee_mode 1
		.amdhsa_fp16_overflow 0
		.amdhsa_tg_split 0
		.amdhsa_exception_fp_ieee_invalid_op 0
		.amdhsa_exception_fp_denorm_src 0
		.amdhsa_exception_fp_ieee_div_zero 0
		.amdhsa_exception_fp_ieee_overflow 0
		.amdhsa_exception_fp_ieee_underflow 0
		.amdhsa_exception_fp_ieee_inexact 0
		.amdhsa_exception_int_div_zero 0
	.end_amdhsa_kernel
	.section	.text._ZN7rocprim17ROCPRIM_400000_NS6detail17trampoline_kernelINS0_14default_configENS1_38merge_sort_block_merge_config_selectorIllEEZZNS1_27merge_sort_block_merge_implIS3_PlN6thrust23THRUST_200600_302600_NS10device_ptrIlEEjNS1_19radix_merge_compareILb0ELb0ElNS0_19identity_decomposerEEEEE10hipError_tT0_T1_T2_jT3_P12ihipStream_tbPNSt15iterator_traitsISG_E10value_typeEPNSM_ISH_E10value_typeEPSI_NS1_7vsmem_tEENKUlT_SG_SH_SI_E_clIS7_S7_S7_SB_EESF_SV_SG_SH_SI_EUlSV_E_NS1_11comp_targetILNS1_3genE9ELNS1_11target_archE1100ELNS1_3gpuE3ELNS1_3repE0EEENS1_48merge_mergepath_partition_config_static_selectorELNS0_4arch9wavefront6targetE1EEEvSH_,"axG",@progbits,_ZN7rocprim17ROCPRIM_400000_NS6detail17trampoline_kernelINS0_14default_configENS1_38merge_sort_block_merge_config_selectorIllEEZZNS1_27merge_sort_block_merge_implIS3_PlN6thrust23THRUST_200600_302600_NS10device_ptrIlEEjNS1_19radix_merge_compareILb0ELb0ElNS0_19identity_decomposerEEEEE10hipError_tT0_T1_T2_jT3_P12ihipStream_tbPNSt15iterator_traitsISG_E10value_typeEPNSM_ISH_E10value_typeEPSI_NS1_7vsmem_tEENKUlT_SG_SH_SI_E_clIS7_S7_S7_SB_EESF_SV_SG_SH_SI_EUlSV_E_NS1_11comp_targetILNS1_3genE9ELNS1_11target_archE1100ELNS1_3gpuE3ELNS1_3repE0EEENS1_48merge_mergepath_partition_config_static_selectorELNS0_4arch9wavefront6targetE1EEEvSH_,comdat
.Lfunc_end1016:
	.size	_ZN7rocprim17ROCPRIM_400000_NS6detail17trampoline_kernelINS0_14default_configENS1_38merge_sort_block_merge_config_selectorIllEEZZNS1_27merge_sort_block_merge_implIS3_PlN6thrust23THRUST_200600_302600_NS10device_ptrIlEEjNS1_19radix_merge_compareILb0ELb0ElNS0_19identity_decomposerEEEEE10hipError_tT0_T1_T2_jT3_P12ihipStream_tbPNSt15iterator_traitsISG_E10value_typeEPNSM_ISH_E10value_typeEPSI_NS1_7vsmem_tEENKUlT_SG_SH_SI_E_clIS7_S7_S7_SB_EESF_SV_SG_SH_SI_EUlSV_E_NS1_11comp_targetILNS1_3genE9ELNS1_11target_archE1100ELNS1_3gpuE3ELNS1_3repE0EEENS1_48merge_mergepath_partition_config_static_selectorELNS0_4arch9wavefront6targetE1EEEvSH_, .Lfunc_end1016-_ZN7rocprim17ROCPRIM_400000_NS6detail17trampoline_kernelINS0_14default_configENS1_38merge_sort_block_merge_config_selectorIllEEZZNS1_27merge_sort_block_merge_implIS3_PlN6thrust23THRUST_200600_302600_NS10device_ptrIlEEjNS1_19radix_merge_compareILb0ELb0ElNS0_19identity_decomposerEEEEE10hipError_tT0_T1_T2_jT3_P12ihipStream_tbPNSt15iterator_traitsISG_E10value_typeEPNSM_ISH_E10value_typeEPSI_NS1_7vsmem_tEENKUlT_SG_SH_SI_E_clIS7_S7_S7_SB_EESF_SV_SG_SH_SI_EUlSV_E_NS1_11comp_targetILNS1_3genE9ELNS1_11target_archE1100ELNS1_3gpuE3ELNS1_3repE0EEENS1_48merge_mergepath_partition_config_static_selectorELNS0_4arch9wavefront6targetE1EEEvSH_
                                        ; -- End function
	.section	.AMDGPU.csdata,"",@progbits
; Kernel info:
; codeLenInByte = 0
; NumSgprs: 4
; NumVgprs: 0
; NumAgprs: 0
; TotalNumVgprs: 0
; ScratchSize: 0
; MemoryBound: 0
; FloatMode: 240
; IeeeMode: 1
; LDSByteSize: 0 bytes/workgroup (compile time only)
; SGPRBlocks: 0
; VGPRBlocks: 0
; NumSGPRsForWavesPerEU: 4
; NumVGPRsForWavesPerEU: 1
; AccumOffset: 4
; Occupancy: 8
; WaveLimiterHint : 0
; COMPUTE_PGM_RSRC2:SCRATCH_EN: 0
; COMPUTE_PGM_RSRC2:USER_SGPR: 6
; COMPUTE_PGM_RSRC2:TRAP_HANDLER: 0
; COMPUTE_PGM_RSRC2:TGID_X_EN: 1
; COMPUTE_PGM_RSRC2:TGID_Y_EN: 0
; COMPUTE_PGM_RSRC2:TGID_Z_EN: 0
; COMPUTE_PGM_RSRC2:TIDIG_COMP_CNT: 0
; COMPUTE_PGM_RSRC3_GFX90A:ACCUM_OFFSET: 0
; COMPUTE_PGM_RSRC3_GFX90A:TG_SPLIT: 0
	.section	.text._ZN7rocprim17ROCPRIM_400000_NS6detail17trampoline_kernelINS0_14default_configENS1_38merge_sort_block_merge_config_selectorIllEEZZNS1_27merge_sort_block_merge_implIS3_PlN6thrust23THRUST_200600_302600_NS10device_ptrIlEEjNS1_19radix_merge_compareILb0ELb0ElNS0_19identity_decomposerEEEEE10hipError_tT0_T1_T2_jT3_P12ihipStream_tbPNSt15iterator_traitsISG_E10value_typeEPNSM_ISH_E10value_typeEPSI_NS1_7vsmem_tEENKUlT_SG_SH_SI_E_clIS7_S7_S7_SB_EESF_SV_SG_SH_SI_EUlSV_E_NS1_11comp_targetILNS1_3genE8ELNS1_11target_archE1030ELNS1_3gpuE2ELNS1_3repE0EEENS1_48merge_mergepath_partition_config_static_selectorELNS0_4arch9wavefront6targetE1EEEvSH_,"axG",@progbits,_ZN7rocprim17ROCPRIM_400000_NS6detail17trampoline_kernelINS0_14default_configENS1_38merge_sort_block_merge_config_selectorIllEEZZNS1_27merge_sort_block_merge_implIS3_PlN6thrust23THRUST_200600_302600_NS10device_ptrIlEEjNS1_19radix_merge_compareILb0ELb0ElNS0_19identity_decomposerEEEEE10hipError_tT0_T1_T2_jT3_P12ihipStream_tbPNSt15iterator_traitsISG_E10value_typeEPNSM_ISH_E10value_typeEPSI_NS1_7vsmem_tEENKUlT_SG_SH_SI_E_clIS7_S7_S7_SB_EESF_SV_SG_SH_SI_EUlSV_E_NS1_11comp_targetILNS1_3genE8ELNS1_11target_archE1030ELNS1_3gpuE2ELNS1_3repE0EEENS1_48merge_mergepath_partition_config_static_selectorELNS0_4arch9wavefront6targetE1EEEvSH_,comdat
	.protected	_ZN7rocprim17ROCPRIM_400000_NS6detail17trampoline_kernelINS0_14default_configENS1_38merge_sort_block_merge_config_selectorIllEEZZNS1_27merge_sort_block_merge_implIS3_PlN6thrust23THRUST_200600_302600_NS10device_ptrIlEEjNS1_19radix_merge_compareILb0ELb0ElNS0_19identity_decomposerEEEEE10hipError_tT0_T1_T2_jT3_P12ihipStream_tbPNSt15iterator_traitsISG_E10value_typeEPNSM_ISH_E10value_typeEPSI_NS1_7vsmem_tEENKUlT_SG_SH_SI_E_clIS7_S7_S7_SB_EESF_SV_SG_SH_SI_EUlSV_E_NS1_11comp_targetILNS1_3genE8ELNS1_11target_archE1030ELNS1_3gpuE2ELNS1_3repE0EEENS1_48merge_mergepath_partition_config_static_selectorELNS0_4arch9wavefront6targetE1EEEvSH_ ; -- Begin function _ZN7rocprim17ROCPRIM_400000_NS6detail17trampoline_kernelINS0_14default_configENS1_38merge_sort_block_merge_config_selectorIllEEZZNS1_27merge_sort_block_merge_implIS3_PlN6thrust23THRUST_200600_302600_NS10device_ptrIlEEjNS1_19radix_merge_compareILb0ELb0ElNS0_19identity_decomposerEEEEE10hipError_tT0_T1_T2_jT3_P12ihipStream_tbPNSt15iterator_traitsISG_E10value_typeEPNSM_ISH_E10value_typeEPSI_NS1_7vsmem_tEENKUlT_SG_SH_SI_E_clIS7_S7_S7_SB_EESF_SV_SG_SH_SI_EUlSV_E_NS1_11comp_targetILNS1_3genE8ELNS1_11target_archE1030ELNS1_3gpuE2ELNS1_3repE0EEENS1_48merge_mergepath_partition_config_static_selectorELNS0_4arch9wavefront6targetE1EEEvSH_
	.globl	_ZN7rocprim17ROCPRIM_400000_NS6detail17trampoline_kernelINS0_14default_configENS1_38merge_sort_block_merge_config_selectorIllEEZZNS1_27merge_sort_block_merge_implIS3_PlN6thrust23THRUST_200600_302600_NS10device_ptrIlEEjNS1_19radix_merge_compareILb0ELb0ElNS0_19identity_decomposerEEEEE10hipError_tT0_T1_T2_jT3_P12ihipStream_tbPNSt15iterator_traitsISG_E10value_typeEPNSM_ISH_E10value_typeEPSI_NS1_7vsmem_tEENKUlT_SG_SH_SI_E_clIS7_S7_S7_SB_EESF_SV_SG_SH_SI_EUlSV_E_NS1_11comp_targetILNS1_3genE8ELNS1_11target_archE1030ELNS1_3gpuE2ELNS1_3repE0EEENS1_48merge_mergepath_partition_config_static_selectorELNS0_4arch9wavefront6targetE1EEEvSH_
	.p2align	8
	.type	_ZN7rocprim17ROCPRIM_400000_NS6detail17trampoline_kernelINS0_14default_configENS1_38merge_sort_block_merge_config_selectorIllEEZZNS1_27merge_sort_block_merge_implIS3_PlN6thrust23THRUST_200600_302600_NS10device_ptrIlEEjNS1_19radix_merge_compareILb0ELb0ElNS0_19identity_decomposerEEEEE10hipError_tT0_T1_T2_jT3_P12ihipStream_tbPNSt15iterator_traitsISG_E10value_typeEPNSM_ISH_E10value_typeEPSI_NS1_7vsmem_tEENKUlT_SG_SH_SI_E_clIS7_S7_S7_SB_EESF_SV_SG_SH_SI_EUlSV_E_NS1_11comp_targetILNS1_3genE8ELNS1_11target_archE1030ELNS1_3gpuE2ELNS1_3repE0EEENS1_48merge_mergepath_partition_config_static_selectorELNS0_4arch9wavefront6targetE1EEEvSH_,@function
_ZN7rocprim17ROCPRIM_400000_NS6detail17trampoline_kernelINS0_14default_configENS1_38merge_sort_block_merge_config_selectorIllEEZZNS1_27merge_sort_block_merge_implIS3_PlN6thrust23THRUST_200600_302600_NS10device_ptrIlEEjNS1_19radix_merge_compareILb0ELb0ElNS0_19identity_decomposerEEEEE10hipError_tT0_T1_T2_jT3_P12ihipStream_tbPNSt15iterator_traitsISG_E10value_typeEPNSM_ISH_E10value_typeEPSI_NS1_7vsmem_tEENKUlT_SG_SH_SI_E_clIS7_S7_S7_SB_EESF_SV_SG_SH_SI_EUlSV_E_NS1_11comp_targetILNS1_3genE8ELNS1_11target_archE1030ELNS1_3gpuE2ELNS1_3repE0EEENS1_48merge_mergepath_partition_config_static_selectorELNS0_4arch9wavefront6targetE1EEEvSH_: ; @_ZN7rocprim17ROCPRIM_400000_NS6detail17trampoline_kernelINS0_14default_configENS1_38merge_sort_block_merge_config_selectorIllEEZZNS1_27merge_sort_block_merge_implIS3_PlN6thrust23THRUST_200600_302600_NS10device_ptrIlEEjNS1_19radix_merge_compareILb0ELb0ElNS0_19identity_decomposerEEEEE10hipError_tT0_T1_T2_jT3_P12ihipStream_tbPNSt15iterator_traitsISG_E10value_typeEPNSM_ISH_E10value_typeEPSI_NS1_7vsmem_tEENKUlT_SG_SH_SI_E_clIS7_S7_S7_SB_EESF_SV_SG_SH_SI_EUlSV_E_NS1_11comp_targetILNS1_3genE8ELNS1_11target_archE1030ELNS1_3gpuE2ELNS1_3repE0EEENS1_48merge_mergepath_partition_config_static_selectorELNS0_4arch9wavefront6targetE1EEEvSH_
; %bb.0:
	.section	.rodata,"a",@progbits
	.p2align	6, 0x0
	.amdhsa_kernel _ZN7rocprim17ROCPRIM_400000_NS6detail17trampoline_kernelINS0_14default_configENS1_38merge_sort_block_merge_config_selectorIllEEZZNS1_27merge_sort_block_merge_implIS3_PlN6thrust23THRUST_200600_302600_NS10device_ptrIlEEjNS1_19radix_merge_compareILb0ELb0ElNS0_19identity_decomposerEEEEE10hipError_tT0_T1_T2_jT3_P12ihipStream_tbPNSt15iterator_traitsISG_E10value_typeEPNSM_ISH_E10value_typeEPSI_NS1_7vsmem_tEENKUlT_SG_SH_SI_E_clIS7_S7_S7_SB_EESF_SV_SG_SH_SI_EUlSV_E_NS1_11comp_targetILNS1_3genE8ELNS1_11target_archE1030ELNS1_3gpuE2ELNS1_3repE0EEENS1_48merge_mergepath_partition_config_static_selectorELNS0_4arch9wavefront6targetE1EEEvSH_
		.amdhsa_group_segment_fixed_size 0
		.amdhsa_private_segment_fixed_size 0
		.amdhsa_kernarg_size 40
		.amdhsa_user_sgpr_count 6
		.amdhsa_user_sgpr_private_segment_buffer 1
		.amdhsa_user_sgpr_dispatch_ptr 0
		.amdhsa_user_sgpr_queue_ptr 0
		.amdhsa_user_sgpr_kernarg_segment_ptr 1
		.amdhsa_user_sgpr_dispatch_id 0
		.amdhsa_user_sgpr_flat_scratch_init 0
		.amdhsa_user_sgpr_kernarg_preload_length 0
		.amdhsa_user_sgpr_kernarg_preload_offset 0
		.amdhsa_user_sgpr_private_segment_size 0
		.amdhsa_uses_dynamic_stack 0
		.amdhsa_system_sgpr_private_segment_wavefront_offset 0
		.amdhsa_system_sgpr_workgroup_id_x 1
		.amdhsa_system_sgpr_workgroup_id_y 0
		.amdhsa_system_sgpr_workgroup_id_z 0
		.amdhsa_system_sgpr_workgroup_info 0
		.amdhsa_system_vgpr_workitem_id 0
		.amdhsa_next_free_vgpr 1
		.amdhsa_next_free_sgpr 0
		.amdhsa_accum_offset 4
		.amdhsa_reserve_vcc 0
		.amdhsa_reserve_flat_scratch 0
		.amdhsa_float_round_mode_32 0
		.amdhsa_float_round_mode_16_64 0
		.amdhsa_float_denorm_mode_32 3
		.amdhsa_float_denorm_mode_16_64 3
		.amdhsa_dx10_clamp 1
		.amdhsa_ieee_mode 1
		.amdhsa_fp16_overflow 0
		.amdhsa_tg_split 0
		.amdhsa_exception_fp_ieee_invalid_op 0
		.amdhsa_exception_fp_denorm_src 0
		.amdhsa_exception_fp_ieee_div_zero 0
		.amdhsa_exception_fp_ieee_overflow 0
		.amdhsa_exception_fp_ieee_underflow 0
		.amdhsa_exception_fp_ieee_inexact 0
		.amdhsa_exception_int_div_zero 0
	.end_amdhsa_kernel
	.section	.text._ZN7rocprim17ROCPRIM_400000_NS6detail17trampoline_kernelINS0_14default_configENS1_38merge_sort_block_merge_config_selectorIllEEZZNS1_27merge_sort_block_merge_implIS3_PlN6thrust23THRUST_200600_302600_NS10device_ptrIlEEjNS1_19radix_merge_compareILb0ELb0ElNS0_19identity_decomposerEEEEE10hipError_tT0_T1_T2_jT3_P12ihipStream_tbPNSt15iterator_traitsISG_E10value_typeEPNSM_ISH_E10value_typeEPSI_NS1_7vsmem_tEENKUlT_SG_SH_SI_E_clIS7_S7_S7_SB_EESF_SV_SG_SH_SI_EUlSV_E_NS1_11comp_targetILNS1_3genE8ELNS1_11target_archE1030ELNS1_3gpuE2ELNS1_3repE0EEENS1_48merge_mergepath_partition_config_static_selectorELNS0_4arch9wavefront6targetE1EEEvSH_,"axG",@progbits,_ZN7rocprim17ROCPRIM_400000_NS6detail17trampoline_kernelINS0_14default_configENS1_38merge_sort_block_merge_config_selectorIllEEZZNS1_27merge_sort_block_merge_implIS3_PlN6thrust23THRUST_200600_302600_NS10device_ptrIlEEjNS1_19radix_merge_compareILb0ELb0ElNS0_19identity_decomposerEEEEE10hipError_tT0_T1_T2_jT3_P12ihipStream_tbPNSt15iterator_traitsISG_E10value_typeEPNSM_ISH_E10value_typeEPSI_NS1_7vsmem_tEENKUlT_SG_SH_SI_E_clIS7_S7_S7_SB_EESF_SV_SG_SH_SI_EUlSV_E_NS1_11comp_targetILNS1_3genE8ELNS1_11target_archE1030ELNS1_3gpuE2ELNS1_3repE0EEENS1_48merge_mergepath_partition_config_static_selectorELNS0_4arch9wavefront6targetE1EEEvSH_,comdat
.Lfunc_end1017:
	.size	_ZN7rocprim17ROCPRIM_400000_NS6detail17trampoline_kernelINS0_14default_configENS1_38merge_sort_block_merge_config_selectorIllEEZZNS1_27merge_sort_block_merge_implIS3_PlN6thrust23THRUST_200600_302600_NS10device_ptrIlEEjNS1_19radix_merge_compareILb0ELb0ElNS0_19identity_decomposerEEEEE10hipError_tT0_T1_T2_jT3_P12ihipStream_tbPNSt15iterator_traitsISG_E10value_typeEPNSM_ISH_E10value_typeEPSI_NS1_7vsmem_tEENKUlT_SG_SH_SI_E_clIS7_S7_S7_SB_EESF_SV_SG_SH_SI_EUlSV_E_NS1_11comp_targetILNS1_3genE8ELNS1_11target_archE1030ELNS1_3gpuE2ELNS1_3repE0EEENS1_48merge_mergepath_partition_config_static_selectorELNS0_4arch9wavefront6targetE1EEEvSH_, .Lfunc_end1017-_ZN7rocprim17ROCPRIM_400000_NS6detail17trampoline_kernelINS0_14default_configENS1_38merge_sort_block_merge_config_selectorIllEEZZNS1_27merge_sort_block_merge_implIS3_PlN6thrust23THRUST_200600_302600_NS10device_ptrIlEEjNS1_19radix_merge_compareILb0ELb0ElNS0_19identity_decomposerEEEEE10hipError_tT0_T1_T2_jT3_P12ihipStream_tbPNSt15iterator_traitsISG_E10value_typeEPNSM_ISH_E10value_typeEPSI_NS1_7vsmem_tEENKUlT_SG_SH_SI_E_clIS7_S7_S7_SB_EESF_SV_SG_SH_SI_EUlSV_E_NS1_11comp_targetILNS1_3genE8ELNS1_11target_archE1030ELNS1_3gpuE2ELNS1_3repE0EEENS1_48merge_mergepath_partition_config_static_selectorELNS0_4arch9wavefront6targetE1EEEvSH_
                                        ; -- End function
	.section	.AMDGPU.csdata,"",@progbits
; Kernel info:
; codeLenInByte = 0
; NumSgprs: 4
; NumVgprs: 0
; NumAgprs: 0
; TotalNumVgprs: 0
; ScratchSize: 0
; MemoryBound: 0
; FloatMode: 240
; IeeeMode: 1
; LDSByteSize: 0 bytes/workgroup (compile time only)
; SGPRBlocks: 0
; VGPRBlocks: 0
; NumSGPRsForWavesPerEU: 4
; NumVGPRsForWavesPerEU: 1
; AccumOffset: 4
; Occupancy: 8
; WaveLimiterHint : 0
; COMPUTE_PGM_RSRC2:SCRATCH_EN: 0
; COMPUTE_PGM_RSRC2:USER_SGPR: 6
; COMPUTE_PGM_RSRC2:TRAP_HANDLER: 0
; COMPUTE_PGM_RSRC2:TGID_X_EN: 1
; COMPUTE_PGM_RSRC2:TGID_Y_EN: 0
; COMPUTE_PGM_RSRC2:TGID_Z_EN: 0
; COMPUTE_PGM_RSRC2:TIDIG_COMP_CNT: 0
; COMPUTE_PGM_RSRC3_GFX90A:ACCUM_OFFSET: 0
; COMPUTE_PGM_RSRC3_GFX90A:TG_SPLIT: 0
	.section	.text._ZN7rocprim17ROCPRIM_400000_NS6detail17trampoline_kernelINS0_14default_configENS1_38merge_sort_block_merge_config_selectorIllEEZZNS1_27merge_sort_block_merge_implIS3_PlN6thrust23THRUST_200600_302600_NS10device_ptrIlEEjNS1_19radix_merge_compareILb0ELb0ElNS0_19identity_decomposerEEEEE10hipError_tT0_T1_T2_jT3_P12ihipStream_tbPNSt15iterator_traitsISG_E10value_typeEPNSM_ISH_E10value_typeEPSI_NS1_7vsmem_tEENKUlT_SG_SH_SI_E_clIS7_S7_S7_SB_EESF_SV_SG_SH_SI_EUlSV_E0_NS1_11comp_targetILNS1_3genE0ELNS1_11target_archE4294967295ELNS1_3gpuE0ELNS1_3repE0EEENS1_38merge_mergepath_config_static_selectorELNS0_4arch9wavefront6targetE1EEEvSH_,"axG",@progbits,_ZN7rocprim17ROCPRIM_400000_NS6detail17trampoline_kernelINS0_14default_configENS1_38merge_sort_block_merge_config_selectorIllEEZZNS1_27merge_sort_block_merge_implIS3_PlN6thrust23THRUST_200600_302600_NS10device_ptrIlEEjNS1_19radix_merge_compareILb0ELb0ElNS0_19identity_decomposerEEEEE10hipError_tT0_T1_T2_jT3_P12ihipStream_tbPNSt15iterator_traitsISG_E10value_typeEPNSM_ISH_E10value_typeEPSI_NS1_7vsmem_tEENKUlT_SG_SH_SI_E_clIS7_S7_S7_SB_EESF_SV_SG_SH_SI_EUlSV_E0_NS1_11comp_targetILNS1_3genE0ELNS1_11target_archE4294967295ELNS1_3gpuE0ELNS1_3repE0EEENS1_38merge_mergepath_config_static_selectorELNS0_4arch9wavefront6targetE1EEEvSH_,comdat
	.protected	_ZN7rocprim17ROCPRIM_400000_NS6detail17trampoline_kernelINS0_14default_configENS1_38merge_sort_block_merge_config_selectorIllEEZZNS1_27merge_sort_block_merge_implIS3_PlN6thrust23THRUST_200600_302600_NS10device_ptrIlEEjNS1_19radix_merge_compareILb0ELb0ElNS0_19identity_decomposerEEEEE10hipError_tT0_T1_T2_jT3_P12ihipStream_tbPNSt15iterator_traitsISG_E10value_typeEPNSM_ISH_E10value_typeEPSI_NS1_7vsmem_tEENKUlT_SG_SH_SI_E_clIS7_S7_S7_SB_EESF_SV_SG_SH_SI_EUlSV_E0_NS1_11comp_targetILNS1_3genE0ELNS1_11target_archE4294967295ELNS1_3gpuE0ELNS1_3repE0EEENS1_38merge_mergepath_config_static_selectorELNS0_4arch9wavefront6targetE1EEEvSH_ ; -- Begin function _ZN7rocprim17ROCPRIM_400000_NS6detail17trampoline_kernelINS0_14default_configENS1_38merge_sort_block_merge_config_selectorIllEEZZNS1_27merge_sort_block_merge_implIS3_PlN6thrust23THRUST_200600_302600_NS10device_ptrIlEEjNS1_19radix_merge_compareILb0ELb0ElNS0_19identity_decomposerEEEEE10hipError_tT0_T1_T2_jT3_P12ihipStream_tbPNSt15iterator_traitsISG_E10value_typeEPNSM_ISH_E10value_typeEPSI_NS1_7vsmem_tEENKUlT_SG_SH_SI_E_clIS7_S7_S7_SB_EESF_SV_SG_SH_SI_EUlSV_E0_NS1_11comp_targetILNS1_3genE0ELNS1_11target_archE4294967295ELNS1_3gpuE0ELNS1_3repE0EEENS1_38merge_mergepath_config_static_selectorELNS0_4arch9wavefront6targetE1EEEvSH_
	.globl	_ZN7rocprim17ROCPRIM_400000_NS6detail17trampoline_kernelINS0_14default_configENS1_38merge_sort_block_merge_config_selectorIllEEZZNS1_27merge_sort_block_merge_implIS3_PlN6thrust23THRUST_200600_302600_NS10device_ptrIlEEjNS1_19radix_merge_compareILb0ELb0ElNS0_19identity_decomposerEEEEE10hipError_tT0_T1_T2_jT3_P12ihipStream_tbPNSt15iterator_traitsISG_E10value_typeEPNSM_ISH_E10value_typeEPSI_NS1_7vsmem_tEENKUlT_SG_SH_SI_E_clIS7_S7_S7_SB_EESF_SV_SG_SH_SI_EUlSV_E0_NS1_11comp_targetILNS1_3genE0ELNS1_11target_archE4294967295ELNS1_3gpuE0ELNS1_3repE0EEENS1_38merge_mergepath_config_static_selectorELNS0_4arch9wavefront6targetE1EEEvSH_
	.p2align	8
	.type	_ZN7rocprim17ROCPRIM_400000_NS6detail17trampoline_kernelINS0_14default_configENS1_38merge_sort_block_merge_config_selectorIllEEZZNS1_27merge_sort_block_merge_implIS3_PlN6thrust23THRUST_200600_302600_NS10device_ptrIlEEjNS1_19radix_merge_compareILb0ELb0ElNS0_19identity_decomposerEEEEE10hipError_tT0_T1_T2_jT3_P12ihipStream_tbPNSt15iterator_traitsISG_E10value_typeEPNSM_ISH_E10value_typeEPSI_NS1_7vsmem_tEENKUlT_SG_SH_SI_E_clIS7_S7_S7_SB_EESF_SV_SG_SH_SI_EUlSV_E0_NS1_11comp_targetILNS1_3genE0ELNS1_11target_archE4294967295ELNS1_3gpuE0ELNS1_3repE0EEENS1_38merge_mergepath_config_static_selectorELNS0_4arch9wavefront6targetE1EEEvSH_,@function
_ZN7rocprim17ROCPRIM_400000_NS6detail17trampoline_kernelINS0_14default_configENS1_38merge_sort_block_merge_config_selectorIllEEZZNS1_27merge_sort_block_merge_implIS3_PlN6thrust23THRUST_200600_302600_NS10device_ptrIlEEjNS1_19radix_merge_compareILb0ELb0ElNS0_19identity_decomposerEEEEE10hipError_tT0_T1_T2_jT3_P12ihipStream_tbPNSt15iterator_traitsISG_E10value_typeEPNSM_ISH_E10value_typeEPSI_NS1_7vsmem_tEENKUlT_SG_SH_SI_E_clIS7_S7_S7_SB_EESF_SV_SG_SH_SI_EUlSV_E0_NS1_11comp_targetILNS1_3genE0ELNS1_11target_archE4294967295ELNS1_3gpuE0ELNS1_3repE0EEENS1_38merge_mergepath_config_static_selectorELNS0_4arch9wavefront6targetE1EEEvSH_: ; @_ZN7rocprim17ROCPRIM_400000_NS6detail17trampoline_kernelINS0_14default_configENS1_38merge_sort_block_merge_config_selectorIllEEZZNS1_27merge_sort_block_merge_implIS3_PlN6thrust23THRUST_200600_302600_NS10device_ptrIlEEjNS1_19radix_merge_compareILb0ELb0ElNS0_19identity_decomposerEEEEE10hipError_tT0_T1_T2_jT3_P12ihipStream_tbPNSt15iterator_traitsISG_E10value_typeEPNSM_ISH_E10value_typeEPSI_NS1_7vsmem_tEENKUlT_SG_SH_SI_E_clIS7_S7_S7_SB_EESF_SV_SG_SH_SI_EUlSV_E0_NS1_11comp_targetILNS1_3genE0ELNS1_11target_archE4294967295ELNS1_3gpuE0ELNS1_3repE0EEENS1_38merge_mergepath_config_static_selectorELNS0_4arch9wavefront6targetE1EEEvSH_
; %bb.0:
	.section	.rodata,"a",@progbits
	.p2align	6, 0x0
	.amdhsa_kernel _ZN7rocprim17ROCPRIM_400000_NS6detail17trampoline_kernelINS0_14default_configENS1_38merge_sort_block_merge_config_selectorIllEEZZNS1_27merge_sort_block_merge_implIS3_PlN6thrust23THRUST_200600_302600_NS10device_ptrIlEEjNS1_19radix_merge_compareILb0ELb0ElNS0_19identity_decomposerEEEEE10hipError_tT0_T1_T2_jT3_P12ihipStream_tbPNSt15iterator_traitsISG_E10value_typeEPNSM_ISH_E10value_typeEPSI_NS1_7vsmem_tEENKUlT_SG_SH_SI_E_clIS7_S7_S7_SB_EESF_SV_SG_SH_SI_EUlSV_E0_NS1_11comp_targetILNS1_3genE0ELNS1_11target_archE4294967295ELNS1_3gpuE0ELNS1_3repE0EEENS1_38merge_mergepath_config_static_selectorELNS0_4arch9wavefront6targetE1EEEvSH_
		.amdhsa_group_segment_fixed_size 0
		.amdhsa_private_segment_fixed_size 0
		.amdhsa_kernarg_size 64
		.amdhsa_user_sgpr_count 6
		.amdhsa_user_sgpr_private_segment_buffer 1
		.amdhsa_user_sgpr_dispatch_ptr 0
		.amdhsa_user_sgpr_queue_ptr 0
		.amdhsa_user_sgpr_kernarg_segment_ptr 1
		.amdhsa_user_sgpr_dispatch_id 0
		.amdhsa_user_sgpr_flat_scratch_init 0
		.amdhsa_user_sgpr_kernarg_preload_length 0
		.amdhsa_user_sgpr_kernarg_preload_offset 0
		.amdhsa_user_sgpr_private_segment_size 0
		.amdhsa_uses_dynamic_stack 0
		.amdhsa_system_sgpr_private_segment_wavefront_offset 0
		.amdhsa_system_sgpr_workgroup_id_x 1
		.amdhsa_system_sgpr_workgroup_id_y 0
		.amdhsa_system_sgpr_workgroup_id_z 0
		.amdhsa_system_sgpr_workgroup_info 0
		.amdhsa_system_vgpr_workitem_id 0
		.amdhsa_next_free_vgpr 1
		.amdhsa_next_free_sgpr 0
		.amdhsa_accum_offset 4
		.amdhsa_reserve_vcc 0
		.amdhsa_reserve_flat_scratch 0
		.amdhsa_float_round_mode_32 0
		.amdhsa_float_round_mode_16_64 0
		.amdhsa_float_denorm_mode_32 3
		.amdhsa_float_denorm_mode_16_64 3
		.amdhsa_dx10_clamp 1
		.amdhsa_ieee_mode 1
		.amdhsa_fp16_overflow 0
		.amdhsa_tg_split 0
		.amdhsa_exception_fp_ieee_invalid_op 0
		.amdhsa_exception_fp_denorm_src 0
		.amdhsa_exception_fp_ieee_div_zero 0
		.amdhsa_exception_fp_ieee_overflow 0
		.amdhsa_exception_fp_ieee_underflow 0
		.amdhsa_exception_fp_ieee_inexact 0
		.amdhsa_exception_int_div_zero 0
	.end_amdhsa_kernel
	.section	.text._ZN7rocprim17ROCPRIM_400000_NS6detail17trampoline_kernelINS0_14default_configENS1_38merge_sort_block_merge_config_selectorIllEEZZNS1_27merge_sort_block_merge_implIS3_PlN6thrust23THRUST_200600_302600_NS10device_ptrIlEEjNS1_19radix_merge_compareILb0ELb0ElNS0_19identity_decomposerEEEEE10hipError_tT0_T1_T2_jT3_P12ihipStream_tbPNSt15iterator_traitsISG_E10value_typeEPNSM_ISH_E10value_typeEPSI_NS1_7vsmem_tEENKUlT_SG_SH_SI_E_clIS7_S7_S7_SB_EESF_SV_SG_SH_SI_EUlSV_E0_NS1_11comp_targetILNS1_3genE0ELNS1_11target_archE4294967295ELNS1_3gpuE0ELNS1_3repE0EEENS1_38merge_mergepath_config_static_selectorELNS0_4arch9wavefront6targetE1EEEvSH_,"axG",@progbits,_ZN7rocprim17ROCPRIM_400000_NS6detail17trampoline_kernelINS0_14default_configENS1_38merge_sort_block_merge_config_selectorIllEEZZNS1_27merge_sort_block_merge_implIS3_PlN6thrust23THRUST_200600_302600_NS10device_ptrIlEEjNS1_19radix_merge_compareILb0ELb0ElNS0_19identity_decomposerEEEEE10hipError_tT0_T1_T2_jT3_P12ihipStream_tbPNSt15iterator_traitsISG_E10value_typeEPNSM_ISH_E10value_typeEPSI_NS1_7vsmem_tEENKUlT_SG_SH_SI_E_clIS7_S7_S7_SB_EESF_SV_SG_SH_SI_EUlSV_E0_NS1_11comp_targetILNS1_3genE0ELNS1_11target_archE4294967295ELNS1_3gpuE0ELNS1_3repE0EEENS1_38merge_mergepath_config_static_selectorELNS0_4arch9wavefront6targetE1EEEvSH_,comdat
.Lfunc_end1018:
	.size	_ZN7rocprim17ROCPRIM_400000_NS6detail17trampoline_kernelINS0_14default_configENS1_38merge_sort_block_merge_config_selectorIllEEZZNS1_27merge_sort_block_merge_implIS3_PlN6thrust23THRUST_200600_302600_NS10device_ptrIlEEjNS1_19radix_merge_compareILb0ELb0ElNS0_19identity_decomposerEEEEE10hipError_tT0_T1_T2_jT3_P12ihipStream_tbPNSt15iterator_traitsISG_E10value_typeEPNSM_ISH_E10value_typeEPSI_NS1_7vsmem_tEENKUlT_SG_SH_SI_E_clIS7_S7_S7_SB_EESF_SV_SG_SH_SI_EUlSV_E0_NS1_11comp_targetILNS1_3genE0ELNS1_11target_archE4294967295ELNS1_3gpuE0ELNS1_3repE0EEENS1_38merge_mergepath_config_static_selectorELNS0_4arch9wavefront6targetE1EEEvSH_, .Lfunc_end1018-_ZN7rocprim17ROCPRIM_400000_NS6detail17trampoline_kernelINS0_14default_configENS1_38merge_sort_block_merge_config_selectorIllEEZZNS1_27merge_sort_block_merge_implIS3_PlN6thrust23THRUST_200600_302600_NS10device_ptrIlEEjNS1_19radix_merge_compareILb0ELb0ElNS0_19identity_decomposerEEEEE10hipError_tT0_T1_T2_jT3_P12ihipStream_tbPNSt15iterator_traitsISG_E10value_typeEPNSM_ISH_E10value_typeEPSI_NS1_7vsmem_tEENKUlT_SG_SH_SI_E_clIS7_S7_S7_SB_EESF_SV_SG_SH_SI_EUlSV_E0_NS1_11comp_targetILNS1_3genE0ELNS1_11target_archE4294967295ELNS1_3gpuE0ELNS1_3repE0EEENS1_38merge_mergepath_config_static_selectorELNS0_4arch9wavefront6targetE1EEEvSH_
                                        ; -- End function
	.section	.AMDGPU.csdata,"",@progbits
; Kernel info:
; codeLenInByte = 0
; NumSgprs: 4
; NumVgprs: 0
; NumAgprs: 0
; TotalNumVgprs: 0
; ScratchSize: 0
; MemoryBound: 0
; FloatMode: 240
; IeeeMode: 1
; LDSByteSize: 0 bytes/workgroup (compile time only)
; SGPRBlocks: 0
; VGPRBlocks: 0
; NumSGPRsForWavesPerEU: 4
; NumVGPRsForWavesPerEU: 1
; AccumOffset: 4
; Occupancy: 8
; WaveLimiterHint : 0
; COMPUTE_PGM_RSRC2:SCRATCH_EN: 0
; COMPUTE_PGM_RSRC2:USER_SGPR: 6
; COMPUTE_PGM_RSRC2:TRAP_HANDLER: 0
; COMPUTE_PGM_RSRC2:TGID_X_EN: 1
; COMPUTE_PGM_RSRC2:TGID_Y_EN: 0
; COMPUTE_PGM_RSRC2:TGID_Z_EN: 0
; COMPUTE_PGM_RSRC2:TIDIG_COMP_CNT: 0
; COMPUTE_PGM_RSRC3_GFX90A:ACCUM_OFFSET: 0
; COMPUTE_PGM_RSRC3_GFX90A:TG_SPLIT: 0
	.section	.text._ZN7rocprim17ROCPRIM_400000_NS6detail17trampoline_kernelINS0_14default_configENS1_38merge_sort_block_merge_config_selectorIllEEZZNS1_27merge_sort_block_merge_implIS3_PlN6thrust23THRUST_200600_302600_NS10device_ptrIlEEjNS1_19radix_merge_compareILb0ELb0ElNS0_19identity_decomposerEEEEE10hipError_tT0_T1_T2_jT3_P12ihipStream_tbPNSt15iterator_traitsISG_E10value_typeEPNSM_ISH_E10value_typeEPSI_NS1_7vsmem_tEENKUlT_SG_SH_SI_E_clIS7_S7_S7_SB_EESF_SV_SG_SH_SI_EUlSV_E0_NS1_11comp_targetILNS1_3genE10ELNS1_11target_archE1201ELNS1_3gpuE5ELNS1_3repE0EEENS1_38merge_mergepath_config_static_selectorELNS0_4arch9wavefront6targetE1EEEvSH_,"axG",@progbits,_ZN7rocprim17ROCPRIM_400000_NS6detail17trampoline_kernelINS0_14default_configENS1_38merge_sort_block_merge_config_selectorIllEEZZNS1_27merge_sort_block_merge_implIS3_PlN6thrust23THRUST_200600_302600_NS10device_ptrIlEEjNS1_19radix_merge_compareILb0ELb0ElNS0_19identity_decomposerEEEEE10hipError_tT0_T1_T2_jT3_P12ihipStream_tbPNSt15iterator_traitsISG_E10value_typeEPNSM_ISH_E10value_typeEPSI_NS1_7vsmem_tEENKUlT_SG_SH_SI_E_clIS7_S7_S7_SB_EESF_SV_SG_SH_SI_EUlSV_E0_NS1_11comp_targetILNS1_3genE10ELNS1_11target_archE1201ELNS1_3gpuE5ELNS1_3repE0EEENS1_38merge_mergepath_config_static_selectorELNS0_4arch9wavefront6targetE1EEEvSH_,comdat
	.protected	_ZN7rocprim17ROCPRIM_400000_NS6detail17trampoline_kernelINS0_14default_configENS1_38merge_sort_block_merge_config_selectorIllEEZZNS1_27merge_sort_block_merge_implIS3_PlN6thrust23THRUST_200600_302600_NS10device_ptrIlEEjNS1_19radix_merge_compareILb0ELb0ElNS0_19identity_decomposerEEEEE10hipError_tT0_T1_T2_jT3_P12ihipStream_tbPNSt15iterator_traitsISG_E10value_typeEPNSM_ISH_E10value_typeEPSI_NS1_7vsmem_tEENKUlT_SG_SH_SI_E_clIS7_S7_S7_SB_EESF_SV_SG_SH_SI_EUlSV_E0_NS1_11comp_targetILNS1_3genE10ELNS1_11target_archE1201ELNS1_3gpuE5ELNS1_3repE0EEENS1_38merge_mergepath_config_static_selectorELNS0_4arch9wavefront6targetE1EEEvSH_ ; -- Begin function _ZN7rocprim17ROCPRIM_400000_NS6detail17trampoline_kernelINS0_14default_configENS1_38merge_sort_block_merge_config_selectorIllEEZZNS1_27merge_sort_block_merge_implIS3_PlN6thrust23THRUST_200600_302600_NS10device_ptrIlEEjNS1_19radix_merge_compareILb0ELb0ElNS0_19identity_decomposerEEEEE10hipError_tT0_T1_T2_jT3_P12ihipStream_tbPNSt15iterator_traitsISG_E10value_typeEPNSM_ISH_E10value_typeEPSI_NS1_7vsmem_tEENKUlT_SG_SH_SI_E_clIS7_S7_S7_SB_EESF_SV_SG_SH_SI_EUlSV_E0_NS1_11comp_targetILNS1_3genE10ELNS1_11target_archE1201ELNS1_3gpuE5ELNS1_3repE0EEENS1_38merge_mergepath_config_static_selectorELNS0_4arch9wavefront6targetE1EEEvSH_
	.globl	_ZN7rocprim17ROCPRIM_400000_NS6detail17trampoline_kernelINS0_14default_configENS1_38merge_sort_block_merge_config_selectorIllEEZZNS1_27merge_sort_block_merge_implIS3_PlN6thrust23THRUST_200600_302600_NS10device_ptrIlEEjNS1_19radix_merge_compareILb0ELb0ElNS0_19identity_decomposerEEEEE10hipError_tT0_T1_T2_jT3_P12ihipStream_tbPNSt15iterator_traitsISG_E10value_typeEPNSM_ISH_E10value_typeEPSI_NS1_7vsmem_tEENKUlT_SG_SH_SI_E_clIS7_S7_S7_SB_EESF_SV_SG_SH_SI_EUlSV_E0_NS1_11comp_targetILNS1_3genE10ELNS1_11target_archE1201ELNS1_3gpuE5ELNS1_3repE0EEENS1_38merge_mergepath_config_static_selectorELNS0_4arch9wavefront6targetE1EEEvSH_
	.p2align	8
	.type	_ZN7rocprim17ROCPRIM_400000_NS6detail17trampoline_kernelINS0_14default_configENS1_38merge_sort_block_merge_config_selectorIllEEZZNS1_27merge_sort_block_merge_implIS3_PlN6thrust23THRUST_200600_302600_NS10device_ptrIlEEjNS1_19radix_merge_compareILb0ELb0ElNS0_19identity_decomposerEEEEE10hipError_tT0_T1_T2_jT3_P12ihipStream_tbPNSt15iterator_traitsISG_E10value_typeEPNSM_ISH_E10value_typeEPSI_NS1_7vsmem_tEENKUlT_SG_SH_SI_E_clIS7_S7_S7_SB_EESF_SV_SG_SH_SI_EUlSV_E0_NS1_11comp_targetILNS1_3genE10ELNS1_11target_archE1201ELNS1_3gpuE5ELNS1_3repE0EEENS1_38merge_mergepath_config_static_selectorELNS0_4arch9wavefront6targetE1EEEvSH_,@function
_ZN7rocprim17ROCPRIM_400000_NS6detail17trampoline_kernelINS0_14default_configENS1_38merge_sort_block_merge_config_selectorIllEEZZNS1_27merge_sort_block_merge_implIS3_PlN6thrust23THRUST_200600_302600_NS10device_ptrIlEEjNS1_19radix_merge_compareILb0ELb0ElNS0_19identity_decomposerEEEEE10hipError_tT0_T1_T2_jT3_P12ihipStream_tbPNSt15iterator_traitsISG_E10value_typeEPNSM_ISH_E10value_typeEPSI_NS1_7vsmem_tEENKUlT_SG_SH_SI_E_clIS7_S7_S7_SB_EESF_SV_SG_SH_SI_EUlSV_E0_NS1_11comp_targetILNS1_3genE10ELNS1_11target_archE1201ELNS1_3gpuE5ELNS1_3repE0EEENS1_38merge_mergepath_config_static_selectorELNS0_4arch9wavefront6targetE1EEEvSH_: ; @_ZN7rocprim17ROCPRIM_400000_NS6detail17trampoline_kernelINS0_14default_configENS1_38merge_sort_block_merge_config_selectorIllEEZZNS1_27merge_sort_block_merge_implIS3_PlN6thrust23THRUST_200600_302600_NS10device_ptrIlEEjNS1_19radix_merge_compareILb0ELb0ElNS0_19identity_decomposerEEEEE10hipError_tT0_T1_T2_jT3_P12ihipStream_tbPNSt15iterator_traitsISG_E10value_typeEPNSM_ISH_E10value_typeEPSI_NS1_7vsmem_tEENKUlT_SG_SH_SI_E_clIS7_S7_S7_SB_EESF_SV_SG_SH_SI_EUlSV_E0_NS1_11comp_targetILNS1_3genE10ELNS1_11target_archE1201ELNS1_3gpuE5ELNS1_3repE0EEENS1_38merge_mergepath_config_static_selectorELNS0_4arch9wavefront6targetE1EEEvSH_
; %bb.0:
	.section	.rodata,"a",@progbits
	.p2align	6, 0x0
	.amdhsa_kernel _ZN7rocprim17ROCPRIM_400000_NS6detail17trampoline_kernelINS0_14default_configENS1_38merge_sort_block_merge_config_selectorIllEEZZNS1_27merge_sort_block_merge_implIS3_PlN6thrust23THRUST_200600_302600_NS10device_ptrIlEEjNS1_19radix_merge_compareILb0ELb0ElNS0_19identity_decomposerEEEEE10hipError_tT0_T1_T2_jT3_P12ihipStream_tbPNSt15iterator_traitsISG_E10value_typeEPNSM_ISH_E10value_typeEPSI_NS1_7vsmem_tEENKUlT_SG_SH_SI_E_clIS7_S7_S7_SB_EESF_SV_SG_SH_SI_EUlSV_E0_NS1_11comp_targetILNS1_3genE10ELNS1_11target_archE1201ELNS1_3gpuE5ELNS1_3repE0EEENS1_38merge_mergepath_config_static_selectorELNS0_4arch9wavefront6targetE1EEEvSH_
		.amdhsa_group_segment_fixed_size 0
		.amdhsa_private_segment_fixed_size 0
		.amdhsa_kernarg_size 64
		.amdhsa_user_sgpr_count 6
		.amdhsa_user_sgpr_private_segment_buffer 1
		.amdhsa_user_sgpr_dispatch_ptr 0
		.amdhsa_user_sgpr_queue_ptr 0
		.amdhsa_user_sgpr_kernarg_segment_ptr 1
		.amdhsa_user_sgpr_dispatch_id 0
		.amdhsa_user_sgpr_flat_scratch_init 0
		.amdhsa_user_sgpr_kernarg_preload_length 0
		.amdhsa_user_sgpr_kernarg_preload_offset 0
		.amdhsa_user_sgpr_private_segment_size 0
		.amdhsa_uses_dynamic_stack 0
		.amdhsa_system_sgpr_private_segment_wavefront_offset 0
		.amdhsa_system_sgpr_workgroup_id_x 1
		.amdhsa_system_sgpr_workgroup_id_y 0
		.amdhsa_system_sgpr_workgroup_id_z 0
		.amdhsa_system_sgpr_workgroup_info 0
		.amdhsa_system_vgpr_workitem_id 0
		.amdhsa_next_free_vgpr 1
		.amdhsa_next_free_sgpr 0
		.amdhsa_accum_offset 4
		.amdhsa_reserve_vcc 0
		.amdhsa_reserve_flat_scratch 0
		.amdhsa_float_round_mode_32 0
		.amdhsa_float_round_mode_16_64 0
		.amdhsa_float_denorm_mode_32 3
		.amdhsa_float_denorm_mode_16_64 3
		.amdhsa_dx10_clamp 1
		.amdhsa_ieee_mode 1
		.amdhsa_fp16_overflow 0
		.amdhsa_tg_split 0
		.amdhsa_exception_fp_ieee_invalid_op 0
		.amdhsa_exception_fp_denorm_src 0
		.amdhsa_exception_fp_ieee_div_zero 0
		.amdhsa_exception_fp_ieee_overflow 0
		.amdhsa_exception_fp_ieee_underflow 0
		.amdhsa_exception_fp_ieee_inexact 0
		.amdhsa_exception_int_div_zero 0
	.end_amdhsa_kernel
	.section	.text._ZN7rocprim17ROCPRIM_400000_NS6detail17trampoline_kernelINS0_14default_configENS1_38merge_sort_block_merge_config_selectorIllEEZZNS1_27merge_sort_block_merge_implIS3_PlN6thrust23THRUST_200600_302600_NS10device_ptrIlEEjNS1_19radix_merge_compareILb0ELb0ElNS0_19identity_decomposerEEEEE10hipError_tT0_T1_T2_jT3_P12ihipStream_tbPNSt15iterator_traitsISG_E10value_typeEPNSM_ISH_E10value_typeEPSI_NS1_7vsmem_tEENKUlT_SG_SH_SI_E_clIS7_S7_S7_SB_EESF_SV_SG_SH_SI_EUlSV_E0_NS1_11comp_targetILNS1_3genE10ELNS1_11target_archE1201ELNS1_3gpuE5ELNS1_3repE0EEENS1_38merge_mergepath_config_static_selectorELNS0_4arch9wavefront6targetE1EEEvSH_,"axG",@progbits,_ZN7rocprim17ROCPRIM_400000_NS6detail17trampoline_kernelINS0_14default_configENS1_38merge_sort_block_merge_config_selectorIllEEZZNS1_27merge_sort_block_merge_implIS3_PlN6thrust23THRUST_200600_302600_NS10device_ptrIlEEjNS1_19radix_merge_compareILb0ELb0ElNS0_19identity_decomposerEEEEE10hipError_tT0_T1_T2_jT3_P12ihipStream_tbPNSt15iterator_traitsISG_E10value_typeEPNSM_ISH_E10value_typeEPSI_NS1_7vsmem_tEENKUlT_SG_SH_SI_E_clIS7_S7_S7_SB_EESF_SV_SG_SH_SI_EUlSV_E0_NS1_11comp_targetILNS1_3genE10ELNS1_11target_archE1201ELNS1_3gpuE5ELNS1_3repE0EEENS1_38merge_mergepath_config_static_selectorELNS0_4arch9wavefront6targetE1EEEvSH_,comdat
.Lfunc_end1019:
	.size	_ZN7rocprim17ROCPRIM_400000_NS6detail17trampoline_kernelINS0_14default_configENS1_38merge_sort_block_merge_config_selectorIllEEZZNS1_27merge_sort_block_merge_implIS3_PlN6thrust23THRUST_200600_302600_NS10device_ptrIlEEjNS1_19radix_merge_compareILb0ELb0ElNS0_19identity_decomposerEEEEE10hipError_tT0_T1_T2_jT3_P12ihipStream_tbPNSt15iterator_traitsISG_E10value_typeEPNSM_ISH_E10value_typeEPSI_NS1_7vsmem_tEENKUlT_SG_SH_SI_E_clIS7_S7_S7_SB_EESF_SV_SG_SH_SI_EUlSV_E0_NS1_11comp_targetILNS1_3genE10ELNS1_11target_archE1201ELNS1_3gpuE5ELNS1_3repE0EEENS1_38merge_mergepath_config_static_selectorELNS0_4arch9wavefront6targetE1EEEvSH_, .Lfunc_end1019-_ZN7rocprim17ROCPRIM_400000_NS6detail17trampoline_kernelINS0_14default_configENS1_38merge_sort_block_merge_config_selectorIllEEZZNS1_27merge_sort_block_merge_implIS3_PlN6thrust23THRUST_200600_302600_NS10device_ptrIlEEjNS1_19radix_merge_compareILb0ELb0ElNS0_19identity_decomposerEEEEE10hipError_tT0_T1_T2_jT3_P12ihipStream_tbPNSt15iterator_traitsISG_E10value_typeEPNSM_ISH_E10value_typeEPSI_NS1_7vsmem_tEENKUlT_SG_SH_SI_E_clIS7_S7_S7_SB_EESF_SV_SG_SH_SI_EUlSV_E0_NS1_11comp_targetILNS1_3genE10ELNS1_11target_archE1201ELNS1_3gpuE5ELNS1_3repE0EEENS1_38merge_mergepath_config_static_selectorELNS0_4arch9wavefront6targetE1EEEvSH_
                                        ; -- End function
	.section	.AMDGPU.csdata,"",@progbits
; Kernel info:
; codeLenInByte = 0
; NumSgprs: 4
; NumVgprs: 0
; NumAgprs: 0
; TotalNumVgprs: 0
; ScratchSize: 0
; MemoryBound: 0
; FloatMode: 240
; IeeeMode: 1
; LDSByteSize: 0 bytes/workgroup (compile time only)
; SGPRBlocks: 0
; VGPRBlocks: 0
; NumSGPRsForWavesPerEU: 4
; NumVGPRsForWavesPerEU: 1
; AccumOffset: 4
; Occupancy: 8
; WaveLimiterHint : 0
; COMPUTE_PGM_RSRC2:SCRATCH_EN: 0
; COMPUTE_PGM_RSRC2:USER_SGPR: 6
; COMPUTE_PGM_RSRC2:TRAP_HANDLER: 0
; COMPUTE_PGM_RSRC2:TGID_X_EN: 1
; COMPUTE_PGM_RSRC2:TGID_Y_EN: 0
; COMPUTE_PGM_RSRC2:TGID_Z_EN: 0
; COMPUTE_PGM_RSRC2:TIDIG_COMP_CNT: 0
; COMPUTE_PGM_RSRC3_GFX90A:ACCUM_OFFSET: 0
; COMPUTE_PGM_RSRC3_GFX90A:TG_SPLIT: 0
	.section	.text._ZN7rocprim17ROCPRIM_400000_NS6detail17trampoline_kernelINS0_14default_configENS1_38merge_sort_block_merge_config_selectorIllEEZZNS1_27merge_sort_block_merge_implIS3_PlN6thrust23THRUST_200600_302600_NS10device_ptrIlEEjNS1_19radix_merge_compareILb0ELb0ElNS0_19identity_decomposerEEEEE10hipError_tT0_T1_T2_jT3_P12ihipStream_tbPNSt15iterator_traitsISG_E10value_typeEPNSM_ISH_E10value_typeEPSI_NS1_7vsmem_tEENKUlT_SG_SH_SI_E_clIS7_S7_S7_SB_EESF_SV_SG_SH_SI_EUlSV_E0_NS1_11comp_targetILNS1_3genE5ELNS1_11target_archE942ELNS1_3gpuE9ELNS1_3repE0EEENS1_38merge_mergepath_config_static_selectorELNS0_4arch9wavefront6targetE1EEEvSH_,"axG",@progbits,_ZN7rocprim17ROCPRIM_400000_NS6detail17trampoline_kernelINS0_14default_configENS1_38merge_sort_block_merge_config_selectorIllEEZZNS1_27merge_sort_block_merge_implIS3_PlN6thrust23THRUST_200600_302600_NS10device_ptrIlEEjNS1_19radix_merge_compareILb0ELb0ElNS0_19identity_decomposerEEEEE10hipError_tT0_T1_T2_jT3_P12ihipStream_tbPNSt15iterator_traitsISG_E10value_typeEPNSM_ISH_E10value_typeEPSI_NS1_7vsmem_tEENKUlT_SG_SH_SI_E_clIS7_S7_S7_SB_EESF_SV_SG_SH_SI_EUlSV_E0_NS1_11comp_targetILNS1_3genE5ELNS1_11target_archE942ELNS1_3gpuE9ELNS1_3repE0EEENS1_38merge_mergepath_config_static_selectorELNS0_4arch9wavefront6targetE1EEEvSH_,comdat
	.protected	_ZN7rocprim17ROCPRIM_400000_NS6detail17trampoline_kernelINS0_14default_configENS1_38merge_sort_block_merge_config_selectorIllEEZZNS1_27merge_sort_block_merge_implIS3_PlN6thrust23THRUST_200600_302600_NS10device_ptrIlEEjNS1_19radix_merge_compareILb0ELb0ElNS0_19identity_decomposerEEEEE10hipError_tT0_T1_T2_jT3_P12ihipStream_tbPNSt15iterator_traitsISG_E10value_typeEPNSM_ISH_E10value_typeEPSI_NS1_7vsmem_tEENKUlT_SG_SH_SI_E_clIS7_S7_S7_SB_EESF_SV_SG_SH_SI_EUlSV_E0_NS1_11comp_targetILNS1_3genE5ELNS1_11target_archE942ELNS1_3gpuE9ELNS1_3repE0EEENS1_38merge_mergepath_config_static_selectorELNS0_4arch9wavefront6targetE1EEEvSH_ ; -- Begin function _ZN7rocprim17ROCPRIM_400000_NS6detail17trampoline_kernelINS0_14default_configENS1_38merge_sort_block_merge_config_selectorIllEEZZNS1_27merge_sort_block_merge_implIS3_PlN6thrust23THRUST_200600_302600_NS10device_ptrIlEEjNS1_19radix_merge_compareILb0ELb0ElNS0_19identity_decomposerEEEEE10hipError_tT0_T1_T2_jT3_P12ihipStream_tbPNSt15iterator_traitsISG_E10value_typeEPNSM_ISH_E10value_typeEPSI_NS1_7vsmem_tEENKUlT_SG_SH_SI_E_clIS7_S7_S7_SB_EESF_SV_SG_SH_SI_EUlSV_E0_NS1_11comp_targetILNS1_3genE5ELNS1_11target_archE942ELNS1_3gpuE9ELNS1_3repE0EEENS1_38merge_mergepath_config_static_selectorELNS0_4arch9wavefront6targetE1EEEvSH_
	.globl	_ZN7rocprim17ROCPRIM_400000_NS6detail17trampoline_kernelINS0_14default_configENS1_38merge_sort_block_merge_config_selectorIllEEZZNS1_27merge_sort_block_merge_implIS3_PlN6thrust23THRUST_200600_302600_NS10device_ptrIlEEjNS1_19radix_merge_compareILb0ELb0ElNS0_19identity_decomposerEEEEE10hipError_tT0_T1_T2_jT3_P12ihipStream_tbPNSt15iterator_traitsISG_E10value_typeEPNSM_ISH_E10value_typeEPSI_NS1_7vsmem_tEENKUlT_SG_SH_SI_E_clIS7_S7_S7_SB_EESF_SV_SG_SH_SI_EUlSV_E0_NS1_11comp_targetILNS1_3genE5ELNS1_11target_archE942ELNS1_3gpuE9ELNS1_3repE0EEENS1_38merge_mergepath_config_static_selectorELNS0_4arch9wavefront6targetE1EEEvSH_
	.p2align	8
	.type	_ZN7rocprim17ROCPRIM_400000_NS6detail17trampoline_kernelINS0_14default_configENS1_38merge_sort_block_merge_config_selectorIllEEZZNS1_27merge_sort_block_merge_implIS3_PlN6thrust23THRUST_200600_302600_NS10device_ptrIlEEjNS1_19radix_merge_compareILb0ELb0ElNS0_19identity_decomposerEEEEE10hipError_tT0_T1_T2_jT3_P12ihipStream_tbPNSt15iterator_traitsISG_E10value_typeEPNSM_ISH_E10value_typeEPSI_NS1_7vsmem_tEENKUlT_SG_SH_SI_E_clIS7_S7_S7_SB_EESF_SV_SG_SH_SI_EUlSV_E0_NS1_11comp_targetILNS1_3genE5ELNS1_11target_archE942ELNS1_3gpuE9ELNS1_3repE0EEENS1_38merge_mergepath_config_static_selectorELNS0_4arch9wavefront6targetE1EEEvSH_,@function
_ZN7rocprim17ROCPRIM_400000_NS6detail17trampoline_kernelINS0_14default_configENS1_38merge_sort_block_merge_config_selectorIllEEZZNS1_27merge_sort_block_merge_implIS3_PlN6thrust23THRUST_200600_302600_NS10device_ptrIlEEjNS1_19radix_merge_compareILb0ELb0ElNS0_19identity_decomposerEEEEE10hipError_tT0_T1_T2_jT3_P12ihipStream_tbPNSt15iterator_traitsISG_E10value_typeEPNSM_ISH_E10value_typeEPSI_NS1_7vsmem_tEENKUlT_SG_SH_SI_E_clIS7_S7_S7_SB_EESF_SV_SG_SH_SI_EUlSV_E0_NS1_11comp_targetILNS1_3genE5ELNS1_11target_archE942ELNS1_3gpuE9ELNS1_3repE0EEENS1_38merge_mergepath_config_static_selectorELNS0_4arch9wavefront6targetE1EEEvSH_: ; @_ZN7rocprim17ROCPRIM_400000_NS6detail17trampoline_kernelINS0_14default_configENS1_38merge_sort_block_merge_config_selectorIllEEZZNS1_27merge_sort_block_merge_implIS3_PlN6thrust23THRUST_200600_302600_NS10device_ptrIlEEjNS1_19radix_merge_compareILb0ELb0ElNS0_19identity_decomposerEEEEE10hipError_tT0_T1_T2_jT3_P12ihipStream_tbPNSt15iterator_traitsISG_E10value_typeEPNSM_ISH_E10value_typeEPSI_NS1_7vsmem_tEENKUlT_SG_SH_SI_E_clIS7_S7_S7_SB_EESF_SV_SG_SH_SI_EUlSV_E0_NS1_11comp_targetILNS1_3genE5ELNS1_11target_archE942ELNS1_3gpuE9ELNS1_3repE0EEENS1_38merge_mergepath_config_static_selectorELNS0_4arch9wavefront6targetE1EEEvSH_
; %bb.0:
	.section	.rodata,"a",@progbits
	.p2align	6, 0x0
	.amdhsa_kernel _ZN7rocprim17ROCPRIM_400000_NS6detail17trampoline_kernelINS0_14default_configENS1_38merge_sort_block_merge_config_selectorIllEEZZNS1_27merge_sort_block_merge_implIS3_PlN6thrust23THRUST_200600_302600_NS10device_ptrIlEEjNS1_19radix_merge_compareILb0ELb0ElNS0_19identity_decomposerEEEEE10hipError_tT0_T1_T2_jT3_P12ihipStream_tbPNSt15iterator_traitsISG_E10value_typeEPNSM_ISH_E10value_typeEPSI_NS1_7vsmem_tEENKUlT_SG_SH_SI_E_clIS7_S7_S7_SB_EESF_SV_SG_SH_SI_EUlSV_E0_NS1_11comp_targetILNS1_3genE5ELNS1_11target_archE942ELNS1_3gpuE9ELNS1_3repE0EEENS1_38merge_mergepath_config_static_selectorELNS0_4arch9wavefront6targetE1EEEvSH_
		.amdhsa_group_segment_fixed_size 0
		.amdhsa_private_segment_fixed_size 0
		.amdhsa_kernarg_size 64
		.amdhsa_user_sgpr_count 6
		.amdhsa_user_sgpr_private_segment_buffer 1
		.amdhsa_user_sgpr_dispatch_ptr 0
		.amdhsa_user_sgpr_queue_ptr 0
		.amdhsa_user_sgpr_kernarg_segment_ptr 1
		.amdhsa_user_sgpr_dispatch_id 0
		.amdhsa_user_sgpr_flat_scratch_init 0
		.amdhsa_user_sgpr_kernarg_preload_length 0
		.amdhsa_user_sgpr_kernarg_preload_offset 0
		.amdhsa_user_sgpr_private_segment_size 0
		.amdhsa_uses_dynamic_stack 0
		.amdhsa_system_sgpr_private_segment_wavefront_offset 0
		.amdhsa_system_sgpr_workgroup_id_x 1
		.amdhsa_system_sgpr_workgroup_id_y 0
		.amdhsa_system_sgpr_workgroup_id_z 0
		.amdhsa_system_sgpr_workgroup_info 0
		.amdhsa_system_vgpr_workitem_id 0
		.amdhsa_next_free_vgpr 1
		.amdhsa_next_free_sgpr 0
		.amdhsa_accum_offset 4
		.amdhsa_reserve_vcc 0
		.amdhsa_reserve_flat_scratch 0
		.amdhsa_float_round_mode_32 0
		.amdhsa_float_round_mode_16_64 0
		.amdhsa_float_denorm_mode_32 3
		.amdhsa_float_denorm_mode_16_64 3
		.amdhsa_dx10_clamp 1
		.amdhsa_ieee_mode 1
		.amdhsa_fp16_overflow 0
		.amdhsa_tg_split 0
		.amdhsa_exception_fp_ieee_invalid_op 0
		.amdhsa_exception_fp_denorm_src 0
		.amdhsa_exception_fp_ieee_div_zero 0
		.amdhsa_exception_fp_ieee_overflow 0
		.amdhsa_exception_fp_ieee_underflow 0
		.amdhsa_exception_fp_ieee_inexact 0
		.amdhsa_exception_int_div_zero 0
	.end_amdhsa_kernel
	.section	.text._ZN7rocprim17ROCPRIM_400000_NS6detail17trampoline_kernelINS0_14default_configENS1_38merge_sort_block_merge_config_selectorIllEEZZNS1_27merge_sort_block_merge_implIS3_PlN6thrust23THRUST_200600_302600_NS10device_ptrIlEEjNS1_19radix_merge_compareILb0ELb0ElNS0_19identity_decomposerEEEEE10hipError_tT0_T1_T2_jT3_P12ihipStream_tbPNSt15iterator_traitsISG_E10value_typeEPNSM_ISH_E10value_typeEPSI_NS1_7vsmem_tEENKUlT_SG_SH_SI_E_clIS7_S7_S7_SB_EESF_SV_SG_SH_SI_EUlSV_E0_NS1_11comp_targetILNS1_3genE5ELNS1_11target_archE942ELNS1_3gpuE9ELNS1_3repE0EEENS1_38merge_mergepath_config_static_selectorELNS0_4arch9wavefront6targetE1EEEvSH_,"axG",@progbits,_ZN7rocprim17ROCPRIM_400000_NS6detail17trampoline_kernelINS0_14default_configENS1_38merge_sort_block_merge_config_selectorIllEEZZNS1_27merge_sort_block_merge_implIS3_PlN6thrust23THRUST_200600_302600_NS10device_ptrIlEEjNS1_19radix_merge_compareILb0ELb0ElNS0_19identity_decomposerEEEEE10hipError_tT0_T1_T2_jT3_P12ihipStream_tbPNSt15iterator_traitsISG_E10value_typeEPNSM_ISH_E10value_typeEPSI_NS1_7vsmem_tEENKUlT_SG_SH_SI_E_clIS7_S7_S7_SB_EESF_SV_SG_SH_SI_EUlSV_E0_NS1_11comp_targetILNS1_3genE5ELNS1_11target_archE942ELNS1_3gpuE9ELNS1_3repE0EEENS1_38merge_mergepath_config_static_selectorELNS0_4arch9wavefront6targetE1EEEvSH_,comdat
.Lfunc_end1020:
	.size	_ZN7rocprim17ROCPRIM_400000_NS6detail17trampoline_kernelINS0_14default_configENS1_38merge_sort_block_merge_config_selectorIllEEZZNS1_27merge_sort_block_merge_implIS3_PlN6thrust23THRUST_200600_302600_NS10device_ptrIlEEjNS1_19radix_merge_compareILb0ELb0ElNS0_19identity_decomposerEEEEE10hipError_tT0_T1_T2_jT3_P12ihipStream_tbPNSt15iterator_traitsISG_E10value_typeEPNSM_ISH_E10value_typeEPSI_NS1_7vsmem_tEENKUlT_SG_SH_SI_E_clIS7_S7_S7_SB_EESF_SV_SG_SH_SI_EUlSV_E0_NS1_11comp_targetILNS1_3genE5ELNS1_11target_archE942ELNS1_3gpuE9ELNS1_3repE0EEENS1_38merge_mergepath_config_static_selectorELNS0_4arch9wavefront6targetE1EEEvSH_, .Lfunc_end1020-_ZN7rocprim17ROCPRIM_400000_NS6detail17trampoline_kernelINS0_14default_configENS1_38merge_sort_block_merge_config_selectorIllEEZZNS1_27merge_sort_block_merge_implIS3_PlN6thrust23THRUST_200600_302600_NS10device_ptrIlEEjNS1_19radix_merge_compareILb0ELb0ElNS0_19identity_decomposerEEEEE10hipError_tT0_T1_T2_jT3_P12ihipStream_tbPNSt15iterator_traitsISG_E10value_typeEPNSM_ISH_E10value_typeEPSI_NS1_7vsmem_tEENKUlT_SG_SH_SI_E_clIS7_S7_S7_SB_EESF_SV_SG_SH_SI_EUlSV_E0_NS1_11comp_targetILNS1_3genE5ELNS1_11target_archE942ELNS1_3gpuE9ELNS1_3repE0EEENS1_38merge_mergepath_config_static_selectorELNS0_4arch9wavefront6targetE1EEEvSH_
                                        ; -- End function
	.section	.AMDGPU.csdata,"",@progbits
; Kernel info:
; codeLenInByte = 0
; NumSgprs: 4
; NumVgprs: 0
; NumAgprs: 0
; TotalNumVgprs: 0
; ScratchSize: 0
; MemoryBound: 0
; FloatMode: 240
; IeeeMode: 1
; LDSByteSize: 0 bytes/workgroup (compile time only)
; SGPRBlocks: 0
; VGPRBlocks: 0
; NumSGPRsForWavesPerEU: 4
; NumVGPRsForWavesPerEU: 1
; AccumOffset: 4
; Occupancy: 8
; WaveLimiterHint : 0
; COMPUTE_PGM_RSRC2:SCRATCH_EN: 0
; COMPUTE_PGM_RSRC2:USER_SGPR: 6
; COMPUTE_PGM_RSRC2:TRAP_HANDLER: 0
; COMPUTE_PGM_RSRC2:TGID_X_EN: 1
; COMPUTE_PGM_RSRC2:TGID_Y_EN: 0
; COMPUTE_PGM_RSRC2:TGID_Z_EN: 0
; COMPUTE_PGM_RSRC2:TIDIG_COMP_CNT: 0
; COMPUTE_PGM_RSRC3_GFX90A:ACCUM_OFFSET: 0
; COMPUTE_PGM_RSRC3_GFX90A:TG_SPLIT: 0
	.section	.text._ZN7rocprim17ROCPRIM_400000_NS6detail17trampoline_kernelINS0_14default_configENS1_38merge_sort_block_merge_config_selectorIllEEZZNS1_27merge_sort_block_merge_implIS3_PlN6thrust23THRUST_200600_302600_NS10device_ptrIlEEjNS1_19radix_merge_compareILb0ELb0ElNS0_19identity_decomposerEEEEE10hipError_tT0_T1_T2_jT3_P12ihipStream_tbPNSt15iterator_traitsISG_E10value_typeEPNSM_ISH_E10value_typeEPSI_NS1_7vsmem_tEENKUlT_SG_SH_SI_E_clIS7_S7_S7_SB_EESF_SV_SG_SH_SI_EUlSV_E0_NS1_11comp_targetILNS1_3genE4ELNS1_11target_archE910ELNS1_3gpuE8ELNS1_3repE0EEENS1_38merge_mergepath_config_static_selectorELNS0_4arch9wavefront6targetE1EEEvSH_,"axG",@progbits,_ZN7rocprim17ROCPRIM_400000_NS6detail17trampoline_kernelINS0_14default_configENS1_38merge_sort_block_merge_config_selectorIllEEZZNS1_27merge_sort_block_merge_implIS3_PlN6thrust23THRUST_200600_302600_NS10device_ptrIlEEjNS1_19radix_merge_compareILb0ELb0ElNS0_19identity_decomposerEEEEE10hipError_tT0_T1_T2_jT3_P12ihipStream_tbPNSt15iterator_traitsISG_E10value_typeEPNSM_ISH_E10value_typeEPSI_NS1_7vsmem_tEENKUlT_SG_SH_SI_E_clIS7_S7_S7_SB_EESF_SV_SG_SH_SI_EUlSV_E0_NS1_11comp_targetILNS1_3genE4ELNS1_11target_archE910ELNS1_3gpuE8ELNS1_3repE0EEENS1_38merge_mergepath_config_static_selectorELNS0_4arch9wavefront6targetE1EEEvSH_,comdat
	.protected	_ZN7rocprim17ROCPRIM_400000_NS6detail17trampoline_kernelINS0_14default_configENS1_38merge_sort_block_merge_config_selectorIllEEZZNS1_27merge_sort_block_merge_implIS3_PlN6thrust23THRUST_200600_302600_NS10device_ptrIlEEjNS1_19radix_merge_compareILb0ELb0ElNS0_19identity_decomposerEEEEE10hipError_tT0_T1_T2_jT3_P12ihipStream_tbPNSt15iterator_traitsISG_E10value_typeEPNSM_ISH_E10value_typeEPSI_NS1_7vsmem_tEENKUlT_SG_SH_SI_E_clIS7_S7_S7_SB_EESF_SV_SG_SH_SI_EUlSV_E0_NS1_11comp_targetILNS1_3genE4ELNS1_11target_archE910ELNS1_3gpuE8ELNS1_3repE0EEENS1_38merge_mergepath_config_static_selectorELNS0_4arch9wavefront6targetE1EEEvSH_ ; -- Begin function _ZN7rocprim17ROCPRIM_400000_NS6detail17trampoline_kernelINS0_14default_configENS1_38merge_sort_block_merge_config_selectorIllEEZZNS1_27merge_sort_block_merge_implIS3_PlN6thrust23THRUST_200600_302600_NS10device_ptrIlEEjNS1_19radix_merge_compareILb0ELb0ElNS0_19identity_decomposerEEEEE10hipError_tT0_T1_T2_jT3_P12ihipStream_tbPNSt15iterator_traitsISG_E10value_typeEPNSM_ISH_E10value_typeEPSI_NS1_7vsmem_tEENKUlT_SG_SH_SI_E_clIS7_S7_S7_SB_EESF_SV_SG_SH_SI_EUlSV_E0_NS1_11comp_targetILNS1_3genE4ELNS1_11target_archE910ELNS1_3gpuE8ELNS1_3repE0EEENS1_38merge_mergepath_config_static_selectorELNS0_4arch9wavefront6targetE1EEEvSH_
	.globl	_ZN7rocprim17ROCPRIM_400000_NS6detail17trampoline_kernelINS0_14default_configENS1_38merge_sort_block_merge_config_selectorIllEEZZNS1_27merge_sort_block_merge_implIS3_PlN6thrust23THRUST_200600_302600_NS10device_ptrIlEEjNS1_19radix_merge_compareILb0ELb0ElNS0_19identity_decomposerEEEEE10hipError_tT0_T1_T2_jT3_P12ihipStream_tbPNSt15iterator_traitsISG_E10value_typeEPNSM_ISH_E10value_typeEPSI_NS1_7vsmem_tEENKUlT_SG_SH_SI_E_clIS7_S7_S7_SB_EESF_SV_SG_SH_SI_EUlSV_E0_NS1_11comp_targetILNS1_3genE4ELNS1_11target_archE910ELNS1_3gpuE8ELNS1_3repE0EEENS1_38merge_mergepath_config_static_selectorELNS0_4arch9wavefront6targetE1EEEvSH_
	.p2align	8
	.type	_ZN7rocprim17ROCPRIM_400000_NS6detail17trampoline_kernelINS0_14default_configENS1_38merge_sort_block_merge_config_selectorIllEEZZNS1_27merge_sort_block_merge_implIS3_PlN6thrust23THRUST_200600_302600_NS10device_ptrIlEEjNS1_19radix_merge_compareILb0ELb0ElNS0_19identity_decomposerEEEEE10hipError_tT0_T1_T2_jT3_P12ihipStream_tbPNSt15iterator_traitsISG_E10value_typeEPNSM_ISH_E10value_typeEPSI_NS1_7vsmem_tEENKUlT_SG_SH_SI_E_clIS7_S7_S7_SB_EESF_SV_SG_SH_SI_EUlSV_E0_NS1_11comp_targetILNS1_3genE4ELNS1_11target_archE910ELNS1_3gpuE8ELNS1_3repE0EEENS1_38merge_mergepath_config_static_selectorELNS0_4arch9wavefront6targetE1EEEvSH_,@function
_ZN7rocprim17ROCPRIM_400000_NS6detail17trampoline_kernelINS0_14default_configENS1_38merge_sort_block_merge_config_selectorIllEEZZNS1_27merge_sort_block_merge_implIS3_PlN6thrust23THRUST_200600_302600_NS10device_ptrIlEEjNS1_19radix_merge_compareILb0ELb0ElNS0_19identity_decomposerEEEEE10hipError_tT0_T1_T2_jT3_P12ihipStream_tbPNSt15iterator_traitsISG_E10value_typeEPNSM_ISH_E10value_typeEPSI_NS1_7vsmem_tEENKUlT_SG_SH_SI_E_clIS7_S7_S7_SB_EESF_SV_SG_SH_SI_EUlSV_E0_NS1_11comp_targetILNS1_3genE4ELNS1_11target_archE910ELNS1_3gpuE8ELNS1_3repE0EEENS1_38merge_mergepath_config_static_selectorELNS0_4arch9wavefront6targetE1EEEvSH_: ; @_ZN7rocprim17ROCPRIM_400000_NS6detail17trampoline_kernelINS0_14default_configENS1_38merge_sort_block_merge_config_selectorIllEEZZNS1_27merge_sort_block_merge_implIS3_PlN6thrust23THRUST_200600_302600_NS10device_ptrIlEEjNS1_19radix_merge_compareILb0ELb0ElNS0_19identity_decomposerEEEEE10hipError_tT0_T1_T2_jT3_P12ihipStream_tbPNSt15iterator_traitsISG_E10value_typeEPNSM_ISH_E10value_typeEPSI_NS1_7vsmem_tEENKUlT_SG_SH_SI_E_clIS7_S7_S7_SB_EESF_SV_SG_SH_SI_EUlSV_E0_NS1_11comp_targetILNS1_3genE4ELNS1_11target_archE910ELNS1_3gpuE8ELNS1_3repE0EEENS1_38merge_mergepath_config_static_selectorELNS0_4arch9wavefront6targetE1EEEvSH_
; %bb.0:
	s_load_dwordx2 s[24:25], s[4:5], 0x40
	s_load_dword s0, s[4:5], 0x30
	s_add_u32 s20, s4, 64
	s_addc_u32 s21, s5, 0
	s_waitcnt lgkmcnt(0)
	s_mul_i32 s1, s25, s8
	s_add_i32 s1, s1, s7
	s_mul_i32 s1, s1, s24
	s_add_i32 s22, s1, s6
	s_cmp_ge_u32 s22, s0
	s_cbranch_scc1 .LBB1021_39
; %bb.1:
	s_load_dwordx8 s[8:15], s[4:5], 0x10
	s_load_dwordx2 s[28:29], s[4:5], 0x8
	s_load_dwordx2 s[0:1], s[4:5], 0x38
	s_mov_b32 s23, 0
	v_mov_b32_e32 v3, 0
	s_waitcnt lgkmcnt(0)
	s_lshr_b32 s30, s14, 10
	s_cmp_lg_u32 s22, s30
	s_cselect_b64 s[16:17], -1, 0
	s_lshl_b64 s[2:3], s[22:23], 2
	s_add_u32 s0, s0, s2
	s_addc_u32 s1, s1, s3
	s_load_dwordx2 s[2:3], s[0:1], 0x0
	s_lshr_b32 s0, s15, 9
	s_and_b32 s0, s0, 0x7ffffe
	s_sub_i32 s1, 0, s0
	s_and_b32 s0, s22, s1
	s_lshl_b32 s5, s0, 10
	s_lshl_b32 s4, s22, 10
	;; [unrolled: 1-line block ×3, first 2 shown]
	s_sub_i32 s7, s4, s5
	s_add_i32 s18, s0, s15
	s_add_i32 s7, s18, s7
	s_waitcnt lgkmcnt(0)
	s_sub_i32 s0, s7, s2
	s_sub_i32 s7, s7, s3
	s_sub_i32 s5, s18, s5
	s_min_u32 s0, s14, s0
	s_addk_i32 s7, 0x400
	s_or_b32 s1, s22, s1
	s_min_u32 s18, s14, s5
	s_add_i32 s5, s5, s15
	s_cmp_eq_u32 s1, -1
	s_cselect_b32 s3, s18, s3
	s_cselect_b32 s1, s5, s7
	s_sub_i32 s5, s3, s2
	s_mov_b32 s3, s23
	s_min_u32 s15, s1, s14
	s_lshl_b64 s[2:3], s[2:3], 3
	s_add_u32 s26, s28, s2
	s_mov_b32 s1, s23
	s_addc_u32 s27, s29, s3
	s_lshl_b64 s[18:19], s[0:1], 3
	s_add_u32 s23, s28, s18
	s_addc_u32 s25, s29, s19
	s_cmp_lt_u32 s6, s24
	s_cselect_b32 s1, 12, 18
	global_load_dword v1, v3, s[20:21] offset:14
	s_add_u32 s6, s20, s1
	s_addc_u32 s7, s21, 0
	global_load_ushort v2, v3, s[6:7]
	s_cmp_eq_u32 s22, s30
	s_waitcnt vmcnt(1)
	v_lshrrev_b32_e32 v4, 16, v1
	v_and_b32_e32 v1, 0xffff, v1
	v_mul_lo_u32 v1, v1, v4
	s_waitcnt vmcnt(0)
	v_mul_lo_u32 v4, v1, v2
	v_lshlrev_b32_e32 v1, 3, v0
	v_add_u32_e32 v8, v4, v0
	s_cbranch_scc1 .LBB1021_3
; %bb.2:
	v_mov_b32_e32 v2, s27
	v_add_co_u32_e32 v5, vcc, s26, v1
	v_addc_co_u32_e32 v6, vcc, 0, v2, vcc
	v_subrev_u32_e32 v2, s5, v0
	v_lshlrev_b64 v[2:3], 3, v[2:3]
	v_mov_b32_e32 v7, s25
	v_add_co_u32_e32 v2, vcc, s23, v2
	v_addc_co_u32_e32 v3, vcc, v7, v3, vcc
	v_cmp_gt_u32_e32 vcc, s5, v0
	v_cndmask_b32_e32 v3, v3, v6, vcc
	v_cndmask_b32_e32 v2, v2, v5, vcc
	global_load_dwordx2 v[6:7], v[2:3], off
	v_add_u32_e32 v10, v4, v0
	s_mov_b64 s[6:7], -1
	s_sub_i32 s15, s15, s0
	s_cbranch_execz .LBB1021_4
	s_branch .LBB1021_7
.LBB1021_3:
	s_mov_b64 s[6:7], 0
                                        ; implicit-def: $vgpr6_vgpr7
                                        ; implicit-def: $vgpr10
	s_sub_i32 s15, s15, s0
.LBB1021_4:
	s_add_i32 s6, s15, s5
	v_cmp_gt_u32_e32 vcc, s6, v0
                                        ; implicit-def: $vgpr6_vgpr7
	s_and_saveexec_b64 s[0:1], vcc
	s_cbranch_execz .LBB1021_6
; %bb.5:
	v_mov_b32_e32 v2, s27
	v_add_co_u32_e32 v4, vcc, s26, v1
	v_mov_b32_e32 v3, 0
	v_addc_co_u32_e32 v5, vcc, 0, v2, vcc
	v_subrev_u32_e32 v2, s5, v0
	v_lshlrev_b64 v[2:3], 3, v[2:3]
	s_waitcnt vmcnt(0)
	v_mov_b32_e32 v6, s25
	v_add_co_u32_e32 v2, vcc, s23, v2
	v_addc_co_u32_e32 v3, vcc, v6, v3, vcc
	v_cmp_gt_u32_e32 vcc, s5, v0
	v_cndmask_b32_e32 v3, v3, v5, vcc
	v_cndmask_b32_e32 v2, v2, v4, vcc
	global_load_dwordx2 v[6:7], v[2:3], off
.LBB1021_6:
	s_or_b64 exec, exec, s[0:1]
	v_cmp_gt_u32_e64 s[6:7], s6, v8
	v_mov_b32_e32 v10, v8
.LBB1021_7:
	s_and_saveexec_b64 s[20:21], s[6:7]
                                        ; implicit-def: $vgpr2_vgpr3_vgpr4_vgpr5
	s_cbranch_execz .LBB1021_9
; %bb.8:
	v_mov_b32_e32 v11, 0
	v_lshlrev_b64 v[2:3], 3, v[10:11]
	v_mov_b32_e32 v4, s27
	v_add_co_u32_e32 v5, vcc, s26, v2
	v_addc_co_u32_e32 v4, vcc, v4, v3, vcc
	v_cmp_gt_u32_e32 vcc, s5, v10
	v_subrev_u32_e32 v10, s5, v10
	v_lshlrev_b64 v[2:3], 3, v[10:11]
	v_mov_b32_e32 v9, s25
	v_add_co_u32_e64 v2, s[0:1], s23, v2
	v_addc_co_u32_e64 v3, s[0:1], v9, v3, s[0:1]
	v_cndmask_b32_e32 v3, v3, v4, vcc
	v_cndmask_b32_e32 v2, v2, v5, vcc
	global_load_dwordx2 v[4:5], v[2:3], off
.LBB1021_9:
	s_or_b64 exec, exec, s[20:21]
	s_add_u32 s20, s10, s2
	s_addc_u32 s21, s11, s3
	s_add_u32 s6, s10, s18
	s_addc_u32 s7, s11, s19
	s_andn2_b64 vcc, exec, s[16:17]
	s_waitcnt vmcnt(0)
	ds_write2st64_b64 v1, v[6:7], v[4:5] offset1:8
	s_cbranch_vccnz .LBB1021_11
; %bb.10:
	v_mov_b32_e32 v11, 0
	v_mov_b32_e32 v2, s21
	v_add_co_u32_e32 v9, vcc, s20, v1
	v_subrev_u32_e32 v10, s5, v0
	v_addc_co_u32_e32 v12, vcc, 0, v2, vcc
	v_lshlrev_b64 v[2:3], 3, v[10:11]
	v_mov_b32_e32 v10, s7
	v_add_co_u32_e32 v2, vcc, s6, v2
	v_addc_co_u32_e32 v3, vcc, v10, v3, vcc
	v_cmp_gt_u32_e32 vcc, s5, v0
	v_cndmask_b32_e32 v2, v2, v9, vcc
	v_mov_b32_e32 v9, v11
	v_cndmask_b32_e32 v3, v3, v12, vcc
	v_lshlrev_b64 v[12:13], 3, v[8:9]
	v_mov_b32_e32 v9, s21
	v_add_co_u32_e32 v12, vcc, s20, v12
	v_subrev_u32_e32 v10, s5, v8
	v_addc_co_u32_e32 v9, vcc, v9, v13, vcc
	v_lshlrev_b64 v[10:11], 3, v[10:11]
	v_mov_b32_e32 v13, s7
	v_add_co_u32_e32 v10, vcc, s6, v10
	v_addc_co_u32_e32 v11, vcc, v13, v11, vcc
	v_cmp_gt_u32_e32 vcc, s5, v8
	v_cndmask_b32_e32 v11, v11, v9, vcc
	v_cndmask_b32_e32 v10, v10, v12, vcc
	global_load_dwordx2 v[2:3], v[2:3], off
	s_add_i32 s18, s15, s5
	global_load_dwordx2 v[10:11], v[10:11], off
	s_cbranch_execz .LBB1021_12
	s_branch .LBB1021_17
.LBB1021_11:
                                        ; implicit-def: $vgpr2_vgpr3
                                        ; implicit-def: $vgpr10_vgpr11
                                        ; implicit-def: $sgpr18
.LBB1021_12:
	s_add_i32 s18, s15, s5
	v_cmp_gt_u32_e32 vcc, s18, v0
                                        ; implicit-def: $vgpr2_vgpr3
	s_and_saveexec_b64 s[0:1], vcc
	s_cbranch_execz .LBB1021_14
; %bb.13:
	s_waitcnt vmcnt(1)
	v_mov_b32_e32 v2, s21
	v_add_co_u32_e32 v9, vcc, s20, v1
	v_mov_b32_e32 v3, 0
	s_waitcnt vmcnt(0)
	v_addc_co_u32_e32 v10, vcc, 0, v2, vcc
	v_subrev_u32_e32 v2, s5, v0
	v_lshlrev_b64 v[2:3], 3, v[2:3]
	v_mov_b32_e32 v11, s7
	v_add_co_u32_e32 v2, vcc, s6, v2
	v_addc_co_u32_e32 v3, vcc, v11, v3, vcc
	v_cmp_gt_u32_e32 vcc, s5, v0
	v_cndmask_b32_e32 v3, v3, v10, vcc
	v_cndmask_b32_e32 v2, v2, v9, vcc
	global_load_dwordx2 v[2:3], v[2:3], off
.LBB1021_14:
	s_or_b64 exec, exec, s[0:1]
	v_cmp_gt_u32_e32 vcc, s18, v8
                                        ; implicit-def: $vgpr10_vgpr11
	s_and_saveexec_b64 s[2:3], vcc
	s_cbranch_execz .LBB1021_16
; %bb.15:
	v_mov_b32_e32 v9, 0
	s_waitcnt vmcnt(0)
	v_lshlrev_b64 v[10:11], 3, v[8:9]
	v_mov_b32_e32 v12, s21
	v_add_co_u32_e32 v10, vcc, s20, v10
	v_addc_co_u32_e32 v11, vcc, v12, v11, vcc
	v_cmp_gt_u32_e32 vcc, s5, v8
	v_subrev_u32_e32 v8, s5, v8
	v_lshlrev_b64 v[8:9], 3, v[8:9]
	v_mov_b32_e32 v12, s7
	v_add_co_u32_e64 v8, s[0:1], s6, v8
	v_addc_co_u32_e64 v9, s[0:1], v12, v9, s[0:1]
	v_cndmask_b32_e32 v9, v9, v11, vcc
	v_cndmask_b32_e32 v8, v8, v10, vcc
	global_load_dwordx2 v[10:11], v[8:9], off
.LBB1021_16:
	s_or_b64 exec, exec, s[2:3]
.LBB1021_17:
	v_lshlrev_b32_e32 v12, 1, v0
	v_min_u32_e32 v8, s18, v12
	v_sub_u32_e64 v13, v8, s15 clamp
	v_min_u32_e32 v9, s5, v8
	v_cmp_lt_u32_e32 vcc, v13, v9
	s_waitcnt lgkmcnt(0)
	s_barrier
	s_and_saveexec_b64 s[0:1], vcc
	s_cbranch_execz .LBB1021_21
; %bb.18:
	v_lshlrev_b32_e32 v14, 3, v8
	v_lshl_add_u32 v14, s5, 3, v14
	s_mov_b64 s[2:3], 0
.LBB1021_19:                            ; =>This Inner Loop Header: Depth=1
	v_add_u32_e32 v15, v9, v13
	v_lshrrev_b32_e32 v15, 1, v15
	v_not_b32_e32 v16, v15
	v_lshlrev_b32_e32 v17, 3, v15
	v_lshl_add_u32 v18, v16, 3, v14
	ds_read_b64 v[16:17], v17
	ds_read_b64 v[18:19], v18
	v_add_u32_e32 v20, 1, v15
	s_waitcnt lgkmcnt(0)
	v_cmp_gt_i64_e32 vcc, v[16:17], v[18:19]
	v_cndmask_b32_e32 v9, v9, v15, vcc
	v_cndmask_b32_e32 v13, v20, v13, vcc
	v_cmp_ge_u32_e32 vcc, v13, v9
	s_or_b64 s[2:3], vcc, s[2:3]
	s_andn2_b64 exec, exec, s[2:3]
	s_cbranch_execnz .LBB1021_19
; %bb.20:
	s_or_b64 exec, exec, s[2:3]
.LBB1021_21:
	s_or_b64 exec, exec, s[0:1]
	v_sub_u32_e32 v8, v8, v13
	v_add_u32_e32 v14, s5, v8
	v_cmp_ge_u32_e32 vcc, s5, v13
	v_cmp_ge_u32_e64 s[0:1], s18, v14
	s_or_b64 s[0:1], vcc, s[0:1]
                                        ; implicit-def: $vgpr8
                                        ; implicit-def: $vgpr15
	s_and_saveexec_b64 s[6:7], s[0:1]
	s_cbranch_execz .LBB1021_27
; %bb.22:
	v_cmp_gt_u32_e32 vcc, s5, v13
                                        ; implicit-def: $vgpr4_vgpr5
	s_and_saveexec_b64 s[0:1], vcc
	s_cbranch_execz .LBB1021_24
; %bb.23:
	v_lshlrev_b32_e32 v4, 3, v13
	ds_read_b64 v[4:5], v4
.LBB1021_24:
	s_or_b64 exec, exec, s[0:1]
	v_cmp_le_u32_e64 s[0:1], s18, v14
	v_cmp_gt_u32_e64 s[2:3], s18, v14
                                        ; implicit-def: $vgpr8_vgpr9
	s_and_saveexec_b64 s[10:11], s[2:3]
	s_cbranch_execz .LBB1021_26
; %bb.25:
	v_lshlrev_b32_e32 v6, 3, v14
	ds_read_b64 v[8:9], v6
.LBB1021_26:
	s_or_b64 exec, exec, s[10:11]
	s_waitcnt lgkmcnt(0)
	v_cmp_le_i64_e64 s[2:3], v[4:5], v[8:9]
	s_and_b64 s[2:3], vcc, s[2:3]
	s_or_b64 vcc, s[0:1], s[2:3]
	v_mov_b32_e32 v6, s18
	v_mov_b32_e32 v7, s5
	v_cndmask_b32_e32 v15, v14, v13, vcc
	v_cndmask_b32_e32 v6, v6, v7, vcc
	v_add_u32_e32 v20, 1, v15
	v_add_u32_e32 v6, -1, v6
	v_min_u32_e32 v6, v20, v6
	v_lshlrev_b32_e32 v6, 3, v6
	ds_read_b64 v[16:17], v6
	v_cndmask_b32_e32 v7, v9, v5, vcc
	v_cndmask_b32_e32 v6, v8, v4, vcc
	s_waitcnt lgkmcnt(0)
	v_cndmask_b32_e32 v19, v17, v9, vcc
	v_cndmask_b32_e32 v18, v16, v8, vcc
	;; [unrolled: 1-line block ×6, first 2 shown]
	v_cmp_gt_u32_e64 s[0:1], s5, v9
	v_cmp_le_i64_e64 s[2:3], v[4:5], v[18:19]
	v_cmp_le_u32_e32 vcc, s18, v8
	s_and_b64 s[0:1], s[0:1], s[2:3]
	s_or_b64 vcc, vcc, s[0:1]
	v_cndmask_b32_e32 v8, v8, v9, vcc
	v_cndmask_b32_e32 v5, v19, v5, vcc
	;; [unrolled: 1-line block ×3, first 2 shown]
.LBB1021_27:
	s_or_b64 exec, exec, s[6:7]
	s_barrier
	s_waitcnt vmcnt(0)
	ds_write2st64_b64 v1, v[2:3], v[10:11] offset1:8
	v_lshrrev_b32_e32 v10, 1, v0
	v_and_b32_e32 v10, 0xf8, v10
	v_lshlrev_b32_e32 v2, 3, v15
	v_lshlrev_b32_e32 v8, 3, v8
	v_lshl_add_u32 v11, v12, 3, v10
	s_waitcnt lgkmcnt(0)
	s_barrier
	ds_read_b64 v[2:3], v2
	ds_read_b64 v[8:9], v8
	s_waitcnt lgkmcnt(0)
	s_barrier
	s_barrier
	s_mov_b32 s5, 0
	ds_write2_b64 v11, v[6:7], v[4:5] offset1:1
	v_lshrrev_b32_e32 v4, 2, v0
	s_lshl_b64 s[2:3], s[4:5], 3
	v_and_b32_e32 v4, 0x78, v4
	v_or_b32_e32 v13, 0x200, v0
	s_add_u32 s0, s8, s2
	v_add_u32_e32 v10, v1, v4
	v_lshrrev_b32_e32 v4, 2, v13
	s_addc_u32 s1, s9, s3
	v_and_b32_e32 v4, 0xf8, v4
	v_add_u32_e32 v12, v1, v4
	v_mov_b32_e32 v5, s1
	v_add_co_u32_e32 v4, vcc, s0, v1
	v_addc_co_u32_e32 v5, vcc, 0, v5, vcc
	s_and_b64 vcc, exec, s[16:17]
	s_waitcnt lgkmcnt(0)
	s_cbranch_vccz .LBB1021_29
; %bb.28:
	s_barrier
	ds_read_b64 v[6:7], v10
	ds_read_b64 v[14:15], v12 offset:4096
	s_add_u32 s0, s12, s2
	s_addc_u32 s1, s13, s3
	s_mov_b64 s[6:7], -1
	s_waitcnt lgkmcnt(1)
	global_store_dwordx2 v[4:5], v[6:7], off
	v_add_co_u32_e32 v6, vcc, 0x1000, v4
	v_addc_co_u32_e32 v7, vcc, 0, v5, vcc
	s_waitcnt lgkmcnt(0)
	global_store_dwordx2 v[6:7], v[14:15], off
	s_barrier
	ds_write2_b64 v11, v[2:3], v[8:9] offset1:1
	s_waitcnt lgkmcnt(0)
	s_barrier
	ds_read_b64 v[14:15], v10
	ds_read_b64 v[6:7], v12 offset:4096
	s_waitcnt lgkmcnt(1)
	global_store_dwordx2 v1, v[14:15], s[0:1]
	s_cbranch_execz .LBB1021_30
	s_branch .LBB1021_37
.LBB1021_29:
	s_mov_b64 s[6:7], 0
                                        ; implicit-def: $vgpr6_vgpr7
.LBB1021_30:
	s_barrier
	s_waitcnt lgkmcnt(0)
	ds_read_b64 v[6:7], v12 offset:4096
	s_sub_i32 s6, s14, s4
	v_cmp_gt_u32_e64 s[0:1], s6, v0
	s_and_saveexec_b64 s[4:5], s[0:1]
	s_cbranch_execz .LBB1021_32
; %bb.31:
	ds_read_b64 v[14:15], v10
	s_waitcnt lgkmcnt(0)
	global_store_dwordx2 v[4:5], v[14:15], off
.LBB1021_32:
	s_or_b64 exec, exec, s[4:5]
	v_cmp_gt_u32_e64 s[6:7], s6, v13
	s_and_saveexec_b64 s[4:5], s[6:7]
	s_cbranch_execz .LBB1021_34
; %bb.33:
	v_add_co_u32_e32 v4, vcc, 0x1000, v4
	v_addc_co_u32_e32 v5, vcc, 0, v5, vcc
	s_waitcnt lgkmcnt(0)
	global_store_dwordx2 v[4:5], v[6:7], off
.LBB1021_34:
	s_or_b64 exec, exec, s[4:5]
	s_waitcnt lgkmcnt(0)
	s_barrier
	ds_write2_b64 v11, v[2:3], v[8:9] offset1:1
	s_waitcnt lgkmcnt(0)
	s_barrier
	ds_read_b64 v[6:7], v12 offset:4096
	s_and_saveexec_b64 s[4:5], s[0:1]
	s_cbranch_execz .LBB1021_36
; %bb.35:
	ds_read_b64 v[2:3], v10
	s_add_u32 s0, s12, s2
	s_addc_u32 s1, s13, s3
	s_waitcnt lgkmcnt(0)
	global_store_dwordx2 v1, v[2:3], s[0:1]
.LBB1021_36:
	s_or_b64 exec, exec, s[4:5]
.LBB1021_37:
	s_and_saveexec_b64 s[0:1], s[6:7]
	s_cbranch_execz .LBB1021_39
; %bb.38:
	s_add_u32 s0, s12, s2
	s_addc_u32 s1, s13, s3
	v_mov_b32_e32 v0, s1
	v_add_co_u32_e32 v1, vcc, s0, v1
	v_addc_co_u32_e32 v2, vcc, 0, v0, vcc
	v_add_co_u32_e32 v0, vcc, 0x1000, v1
	v_addc_co_u32_e32 v1, vcc, 0, v2, vcc
	s_waitcnt lgkmcnt(0)
	global_store_dwordx2 v[0:1], v[6:7], off
.LBB1021_39:
	s_endpgm
	.section	.rodata,"a",@progbits
	.p2align	6, 0x0
	.amdhsa_kernel _ZN7rocprim17ROCPRIM_400000_NS6detail17trampoline_kernelINS0_14default_configENS1_38merge_sort_block_merge_config_selectorIllEEZZNS1_27merge_sort_block_merge_implIS3_PlN6thrust23THRUST_200600_302600_NS10device_ptrIlEEjNS1_19radix_merge_compareILb0ELb0ElNS0_19identity_decomposerEEEEE10hipError_tT0_T1_T2_jT3_P12ihipStream_tbPNSt15iterator_traitsISG_E10value_typeEPNSM_ISH_E10value_typeEPSI_NS1_7vsmem_tEENKUlT_SG_SH_SI_E_clIS7_S7_S7_SB_EESF_SV_SG_SH_SI_EUlSV_E0_NS1_11comp_targetILNS1_3genE4ELNS1_11target_archE910ELNS1_3gpuE8ELNS1_3repE0EEENS1_38merge_mergepath_config_static_selectorELNS0_4arch9wavefront6targetE1EEEvSH_
		.amdhsa_group_segment_fixed_size 8448
		.amdhsa_private_segment_fixed_size 0
		.amdhsa_kernarg_size 320
		.amdhsa_user_sgpr_count 6
		.amdhsa_user_sgpr_private_segment_buffer 1
		.amdhsa_user_sgpr_dispatch_ptr 0
		.amdhsa_user_sgpr_queue_ptr 0
		.amdhsa_user_sgpr_kernarg_segment_ptr 1
		.amdhsa_user_sgpr_dispatch_id 0
		.amdhsa_user_sgpr_flat_scratch_init 0
		.amdhsa_user_sgpr_kernarg_preload_length 0
		.amdhsa_user_sgpr_kernarg_preload_offset 0
		.amdhsa_user_sgpr_private_segment_size 0
		.amdhsa_uses_dynamic_stack 0
		.amdhsa_system_sgpr_private_segment_wavefront_offset 0
		.amdhsa_system_sgpr_workgroup_id_x 1
		.amdhsa_system_sgpr_workgroup_id_y 1
		.amdhsa_system_sgpr_workgroup_id_z 1
		.amdhsa_system_sgpr_workgroup_info 0
		.amdhsa_system_vgpr_workitem_id 0
		.amdhsa_next_free_vgpr 21
		.amdhsa_next_free_sgpr 31
		.amdhsa_accum_offset 24
		.amdhsa_reserve_vcc 1
		.amdhsa_reserve_flat_scratch 0
		.amdhsa_float_round_mode_32 0
		.amdhsa_float_round_mode_16_64 0
		.amdhsa_float_denorm_mode_32 3
		.amdhsa_float_denorm_mode_16_64 3
		.amdhsa_dx10_clamp 1
		.amdhsa_ieee_mode 1
		.amdhsa_fp16_overflow 0
		.amdhsa_tg_split 0
		.amdhsa_exception_fp_ieee_invalid_op 0
		.amdhsa_exception_fp_denorm_src 0
		.amdhsa_exception_fp_ieee_div_zero 0
		.amdhsa_exception_fp_ieee_overflow 0
		.amdhsa_exception_fp_ieee_underflow 0
		.amdhsa_exception_fp_ieee_inexact 0
		.amdhsa_exception_int_div_zero 0
	.end_amdhsa_kernel
	.section	.text._ZN7rocprim17ROCPRIM_400000_NS6detail17trampoline_kernelINS0_14default_configENS1_38merge_sort_block_merge_config_selectorIllEEZZNS1_27merge_sort_block_merge_implIS3_PlN6thrust23THRUST_200600_302600_NS10device_ptrIlEEjNS1_19radix_merge_compareILb0ELb0ElNS0_19identity_decomposerEEEEE10hipError_tT0_T1_T2_jT3_P12ihipStream_tbPNSt15iterator_traitsISG_E10value_typeEPNSM_ISH_E10value_typeEPSI_NS1_7vsmem_tEENKUlT_SG_SH_SI_E_clIS7_S7_S7_SB_EESF_SV_SG_SH_SI_EUlSV_E0_NS1_11comp_targetILNS1_3genE4ELNS1_11target_archE910ELNS1_3gpuE8ELNS1_3repE0EEENS1_38merge_mergepath_config_static_selectorELNS0_4arch9wavefront6targetE1EEEvSH_,"axG",@progbits,_ZN7rocprim17ROCPRIM_400000_NS6detail17trampoline_kernelINS0_14default_configENS1_38merge_sort_block_merge_config_selectorIllEEZZNS1_27merge_sort_block_merge_implIS3_PlN6thrust23THRUST_200600_302600_NS10device_ptrIlEEjNS1_19radix_merge_compareILb0ELb0ElNS0_19identity_decomposerEEEEE10hipError_tT0_T1_T2_jT3_P12ihipStream_tbPNSt15iterator_traitsISG_E10value_typeEPNSM_ISH_E10value_typeEPSI_NS1_7vsmem_tEENKUlT_SG_SH_SI_E_clIS7_S7_S7_SB_EESF_SV_SG_SH_SI_EUlSV_E0_NS1_11comp_targetILNS1_3genE4ELNS1_11target_archE910ELNS1_3gpuE8ELNS1_3repE0EEENS1_38merge_mergepath_config_static_selectorELNS0_4arch9wavefront6targetE1EEEvSH_,comdat
.Lfunc_end1021:
	.size	_ZN7rocprim17ROCPRIM_400000_NS6detail17trampoline_kernelINS0_14default_configENS1_38merge_sort_block_merge_config_selectorIllEEZZNS1_27merge_sort_block_merge_implIS3_PlN6thrust23THRUST_200600_302600_NS10device_ptrIlEEjNS1_19radix_merge_compareILb0ELb0ElNS0_19identity_decomposerEEEEE10hipError_tT0_T1_T2_jT3_P12ihipStream_tbPNSt15iterator_traitsISG_E10value_typeEPNSM_ISH_E10value_typeEPSI_NS1_7vsmem_tEENKUlT_SG_SH_SI_E_clIS7_S7_S7_SB_EESF_SV_SG_SH_SI_EUlSV_E0_NS1_11comp_targetILNS1_3genE4ELNS1_11target_archE910ELNS1_3gpuE8ELNS1_3repE0EEENS1_38merge_mergepath_config_static_selectorELNS0_4arch9wavefront6targetE1EEEvSH_, .Lfunc_end1021-_ZN7rocprim17ROCPRIM_400000_NS6detail17trampoline_kernelINS0_14default_configENS1_38merge_sort_block_merge_config_selectorIllEEZZNS1_27merge_sort_block_merge_implIS3_PlN6thrust23THRUST_200600_302600_NS10device_ptrIlEEjNS1_19radix_merge_compareILb0ELb0ElNS0_19identity_decomposerEEEEE10hipError_tT0_T1_T2_jT3_P12ihipStream_tbPNSt15iterator_traitsISG_E10value_typeEPNSM_ISH_E10value_typeEPSI_NS1_7vsmem_tEENKUlT_SG_SH_SI_E_clIS7_S7_S7_SB_EESF_SV_SG_SH_SI_EUlSV_E0_NS1_11comp_targetILNS1_3genE4ELNS1_11target_archE910ELNS1_3gpuE8ELNS1_3repE0EEENS1_38merge_mergepath_config_static_selectorELNS0_4arch9wavefront6targetE1EEEvSH_
                                        ; -- End function
	.section	.AMDGPU.csdata,"",@progbits
; Kernel info:
; codeLenInByte = 1872
; NumSgprs: 35
; NumVgprs: 21
; NumAgprs: 0
; TotalNumVgprs: 21
; ScratchSize: 0
; MemoryBound: 0
; FloatMode: 240
; IeeeMode: 1
; LDSByteSize: 8448 bytes/workgroup (compile time only)
; SGPRBlocks: 4
; VGPRBlocks: 2
; NumSGPRsForWavesPerEU: 35
; NumVGPRsForWavesPerEU: 21
; AccumOffset: 24
; Occupancy: 8
; WaveLimiterHint : 1
; COMPUTE_PGM_RSRC2:SCRATCH_EN: 0
; COMPUTE_PGM_RSRC2:USER_SGPR: 6
; COMPUTE_PGM_RSRC2:TRAP_HANDLER: 0
; COMPUTE_PGM_RSRC2:TGID_X_EN: 1
; COMPUTE_PGM_RSRC2:TGID_Y_EN: 1
; COMPUTE_PGM_RSRC2:TGID_Z_EN: 1
; COMPUTE_PGM_RSRC2:TIDIG_COMP_CNT: 0
; COMPUTE_PGM_RSRC3_GFX90A:ACCUM_OFFSET: 5
; COMPUTE_PGM_RSRC3_GFX90A:TG_SPLIT: 0
	.section	.text._ZN7rocprim17ROCPRIM_400000_NS6detail17trampoline_kernelINS0_14default_configENS1_38merge_sort_block_merge_config_selectorIllEEZZNS1_27merge_sort_block_merge_implIS3_PlN6thrust23THRUST_200600_302600_NS10device_ptrIlEEjNS1_19radix_merge_compareILb0ELb0ElNS0_19identity_decomposerEEEEE10hipError_tT0_T1_T2_jT3_P12ihipStream_tbPNSt15iterator_traitsISG_E10value_typeEPNSM_ISH_E10value_typeEPSI_NS1_7vsmem_tEENKUlT_SG_SH_SI_E_clIS7_S7_S7_SB_EESF_SV_SG_SH_SI_EUlSV_E0_NS1_11comp_targetILNS1_3genE3ELNS1_11target_archE908ELNS1_3gpuE7ELNS1_3repE0EEENS1_38merge_mergepath_config_static_selectorELNS0_4arch9wavefront6targetE1EEEvSH_,"axG",@progbits,_ZN7rocprim17ROCPRIM_400000_NS6detail17trampoline_kernelINS0_14default_configENS1_38merge_sort_block_merge_config_selectorIllEEZZNS1_27merge_sort_block_merge_implIS3_PlN6thrust23THRUST_200600_302600_NS10device_ptrIlEEjNS1_19radix_merge_compareILb0ELb0ElNS0_19identity_decomposerEEEEE10hipError_tT0_T1_T2_jT3_P12ihipStream_tbPNSt15iterator_traitsISG_E10value_typeEPNSM_ISH_E10value_typeEPSI_NS1_7vsmem_tEENKUlT_SG_SH_SI_E_clIS7_S7_S7_SB_EESF_SV_SG_SH_SI_EUlSV_E0_NS1_11comp_targetILNS1_3genE3ELNS1_11target_archE908ELNS1_3gpuE7ELNS1_3repE0EEENS1_38merge_mergepath_config_static_selectorELNS0_4arch9wavefront6targetE1EEEvSH_,comdat
	.protected	_ZN7rocprim17ROCPRIM_400000_NS6detail17trampoline_kernelINS0_14default_configENS1_38merge_sort_block_merge_config_selectorIllEEZZNS1_27merge_sort_block_merge_implIS3_PlN6thrust23THRUST_200600_302600_NS10device_ptrIlEEjNS1_19radix_merge_compareILb0ELb0ElNS0_19identity_decomposerEEEEE10hipError_tT0_T1_T2_jT3_P12ihipStream_tbPNSt15iterator_traitsISG_E10value_typeEPNSM_ISH_E10value_typeEPSI_NS1_7vsmem_tEENKUlT_SG_SH_SI_E_clIS7_S7_S7_SB_EESF_SV_SG_SH_SI_EUlSV_E0_NS1_11comp_targetILNS1_3genE3ELNS1_11target_archE908ELNS1_3gpuE7ELNS1_3repE0EEENS1_38merge_mergepath_config_static_selectorELNS0_4arch9wavefront6targetE1EEEvSH_ ; -- Begin function _ZN7rocprim17ROCPRIM_400000_NS6detail17trampoline_kernelINS0_14default_configENS1_38merge_sort_block_merge_config_selectorIllEEZZNS1_27merge_sort_block_merge_implIS3_PlN6thrust23THRUST_200600_302600_NS10device_ptrIlEEjNS1_19radix_merge_compareILb0ELb0ElNS0_19identity_decomposerEEEEE10hipError_tT0_T1_T2_jT3_P12ihipStream_tbPNSt15iterator_traitsISG_E10value_typeEPNSM_ISH_E10value_typeEPSI_NS1_7vsmem_tEENKUlT_SG_SH_SI_E_clIS7_S7_S7_SB_EESF_SV_SG_SH_SI_EUlSV_E0_NS1_11comp_targetILNS1_3genE3ELNS1_11target_archE908ELNS1_3gpuE7ELNS1_3repE0EEENS1_38merge_mergepath_config_static_selectorELNS0_4arch9wavefront6targetE1EEEvSH_
	.globl	_ZN7rocprim17ROCPRIM_400000_NS6detail17trampoline_kernelINS0_14default_configENS1_38merge_sort_block_merge_config_selectorIllEEZZNS1_27merge_sort_block_merge_implIS3_PlN6thrust23THRUST_200600_302600_NS10device_ptrIlEEjNS1_19radix_merge_compareILb0ELb0ElNS0_19identity_decomposerEEEEE10hipError_tT0_T1_T2_jT3_P12ihipStream_tbPNSt15iterator_traitsISG_E10value_typeEPNSM_ISH_E10value_typeEPSI_NS1_7vsmem_tEENKUlT_SG_SH_SI_E_clIS7_S7_S7_SB_EESF_SV_SG_SH_SI_EUlSV_E0_NS1_11comp_targetILNS1_3genE3ELNS1_11target_archE908ELNS1_3gpuE7ELNS1_3repE0EEENS1_38merge_mergepath_config_static_selectorELNS0_4arch9wavefront6targetE1EEEvSH_
	.p2align	8
	.type	_ZN7rocprim17ROCPRIM_400000_NS6detail17trampoline_kernelINS0_14default_configENS1_38merge_sort_block_merge_config_selectorIllEEZZNS1_27merge_sort_block_merge_implIS3_PlN6thrust23THRUST_200600_302600_NS10device_ptrIlEEjNS1_19radix_merge_compareILb0ELb0ElNS0_19identity_decomposerEEEEE10hipError_tT0_T1_T2_jT3_P12ihipStream_tbPNSt15iterator_traitsISG_E10value_typeEPNSM_ISH_E10value_typeEPSI_NS1_7vsmem_tEENKUlT_SG_SH_SI_E_clIS7_S7_S7_SB_EESF_SV_SG_SH_SI_EUlSV_E0_NS1_11comp_targetILNS1_3genE3ELNS1_11target_archE908ELNS1_3gpuE7ELNS1_3repE0EEENS1_38merge_mergepath_config_static_selectorELNS0_4arch9wavefront6targetE1EEEvSH_,@function
_ZN7rocprim17ROCPRIM_400000_NS6detail17trampoline_kernelINS0_14default_configENS1_38merge_sort_block_merge_config_selectorIllEEZZNS1_27merge_sort_block_merge_implIS3_PlN6thrust23THRUST_200600_302600_NS10device_ptrIlEEjNS1_19radix_merge_compareILb0ELb0ElNS0_19identity_decomposerEEEEE10hipError_tT0_T1_T2_jT3_P12ihipStream_tbPNSt15iterator_traitsISG_E10value_typeEPNSM_ISH_E10value_typeEPSI_NS1_7vsmem_tEENKUlT_SG_SH_SI_E_clIS7_S7_S7_SB_EESF_SV_SG_SH_SI_EUlSV_E0_NS1_11comp_targetILNS1_3genE3ELNS1_11target_archE908ELNS1_3gpuE7ELNS1_3repE0EEENS1_38merge_mergepath_config_static_selectorELNS0_4arch9wavefront6targetE1EEEvSH_: ; @_ZN7rocprim17ROCPRIM_400000_NS6detail17trampoline_kernelINS0_14default_configENS1_38merge_sort_block_merge_config_selectorIllEEZZNS1_27merge_sort_block_merge_implIS3_PlN6thrust23THRUST_200600_302600_NS10device_ptrIlEEjNS1_19radix_merge_compareILb0ELb0ElNS0_19identity_decomposerEEEEE10hipError_tT0_T1_T2_jT3_P12ihipStream_tbPNSt15iterator_traitsISG_E10value_typeEPNSM_ISH_E10value_typeEPSI_NS1_7vsmem_tEENKUlT_SG_SH_SI_E_clIS7_S7_S7_SB_EESF_SV_SG_SH_SI_EUlSV_E0_NS1_11comp_targetILNS1_3genE3ELNS1_11target_archE908ELNS1_3gpuE7ELNS1_3repE0EEENS1_38merge_mergepath_config_static_selectorELNS0_4arch9wavefront6targetE1EEEvSH_
; %bb.0:
	.section	.rodata,"a",@progbits
	.p2align	6, 0x0
	.amdhsa_kernel _ZN7rocprim17ROCPRIM_400000_NS6detail17trampoline_kernelINS0_14default_configENS1_38merge_sort_block_merge_config_selectorIllEEZZNS1_27merge_sort_block_merge_implIS3_PlN6thrust23THRUST_200600_302600_NS10device_ptrIlEEjNS1_19radix_merge_compareILb0ELb0ElNS0_19identity_decomposerEEEEE10hipError_tT0_T1_T2_jT3_P12ihipStream_tbPNSt15iterator_traitsISG_E10value_typeEPNSM_ISH_E10value_typeEPSI_NS1_7vsmem_tEENKUlT_SG_SH_SI_E_clIS7_S7_S7_SB_EESF_SV_SG_SH_SI_EUlSV_E0_NS1_11comp_targetILNS1_3genE3ELNS1_11target_archE908ELNS1_3gpuE7ELNS1_3repE0EEENS1_38merge_mergepath_config_static_selectorELNS0_4arch9wavefront6targetE1EEEvSH_
		.amdhsa_group_segment_fixed_size 0
		.amdhsa_private_segment_fixed_size 0
		.amdhsa_kernarg_size 64
		.amdhsa_user_sgpr_count 6
		.amdhsa_user_sgpr_private_segment_buffer 1
		.amdhsa_user_sgpr_dispatch_ptr 0
		.amdhsa_user_sgpr_queue_ptr 0
		.amdhsa_user_sgpr_kernarg_segment_ptr 1
		.amdhsa_user_sgpr_dispatch_id 0
		.amdhsa_user_sgpr_flat_scratch_init 0
		.amdhsa_user_sgpr_kernarg_preload_length 0
		.amdhsa_user_sgpr_kernarg_preload_offset 0
		.amdhsa_user_sgpr_private_segment_size 0
		.amdhsa_uses_dynamic_stack 0
		.amdhsa_system_sgpr_private_segment_wavefront_offset 0
		.amdhsa_system_sgpr_workgroup_id_x 1
		.amdhsa_system_sgpr_workgroup_id_y 0
		.amdhsa_system_sgpr_workgroup_id_z 0
		.amdhsa_system_sgpr_workgroup_info 0
		.amdhsa_system_vgpr_workitem_id 0
		.amdhsa_next_free_vgpr 1
		.amdhsa_next_free_sgpr 0
		.amdhsa_accum_offset 4
		.amdhsa_reserve_vcc 0
		.amdhsa_reserve_flat_scratch 0
		.amdhsa_float_round_mode_32 0
		.amdhsa_float_round_mode_16_64 0
		.amdhsa_float_denorm_mode_32 3
		.amdhsa_float_denorm_mode_16_64 3
		.amdhsa_dx10_clamp 1
		.amdhsa_ieee_mode 1
		.amdhsa_fp16_overflow 0
		.amdhsa_tg_split 0
		.amdhsa_exception_fp_ieee_invalid_op 0
		.amdhsa_exception_fp_denorm_src 0
		.amdhsa_exception_fp_ieee_div_zero 0
		.amdhsa_exception_fp_ieee_overflow 0
		.amdhsa_exception_fp_ieee_underflow 0
		.amdhsa_exception_fp_ieee_inexact 0
		.amdhsa_exception_int_div_zero 0
	.end_amdhsa_kernel
	.section	.text._ZN7rocprim17ROCPRIM_400000_NS6detail17trampoline_kernelINS0_14default_configENS1_38merge_sort_block_merge_config_selectorIllEEZZNS1_27merge_sort_block_merge_implIS3_PlN6thrust23THRUST_200600_302600_NS10device_ptrIlEEjNS1_19radix_merge_compareILb0ELb0ElNS0_19identity_decomposerEEEEE10hipError_tT0_T1_T2_jT3_P12ihipStream_tbPNSt15iterator_traitsISG_E10value_typeEPNSM_ISH_E10value_typeEPSI_NS1_7vsmem_tEENKUlT_SG_SH_SI_E_clIS7_S7_S7_SB_EESF_SV_SG_SH_SI_EUlSV_E0_NS1_11comp_targetILNS1_3genE3ELNS1_11target_archE908ELNS1_3gpuE7ELNS1_3repE0EEENS1_38merge_mergepath_config_static_selectorELNS0_4arch9wavefront6targetE1EEEvSH_,"axG",@progbits,_ZN7rocprim17ROCPRIM_400000_NS6detail17trampoline_kernelINS0_14default_configENS1_38merge_sort_block_merge_config_selectorIllEEZZNS1_27merge_sort_block_merge_implIS3_PlN6thrust23THRUST_200600_302600_NS10device_ptrIlEEjNS1_19radix_merge_compareILb0ELb0ElNS0_19identity_decomposerEEEEE10hipError_tT0_T1_T2_jT3_P12ihipStream_tbPNSt15iterator_traitsISG_E10value_typeEPNSM_ISH_E10value_typeEPSI_NS1_7vsmem_tEENKUlT_SG_SH_SI_E_clIS7_S7_S7_SB_EESF_SV_SG_SH_SI_EUlSV_E0_NS1_11comp_targetILNS1_3genE3ELNS1_11target_archE908ELNS1_3gpuE7ELNS1_3repE0EEENS1_38merge_mergepath_config_static_selectorELNS0_4arch9wavefront6targetE1EEEvSH_,comdat
.Lfunc_end1022:
	.size	_ZN7rocprim17ROCPRIM_400000_NS6detail17trampoline_kernelINS0_14default_configENS1_38merge_sort_block_merge_config_selectorIllEEZZNS1_27merge_sort_block_merge_implIS3_PlN6thrust23THRUST_200600_302600_NS10device_ptrIlEEjNS1_19radix_merge_compareILb0ELb0ElNS0_19identity_decomposerEEEEE10hipError_tT0_T1_T2_jT3_P12ihipStream_tbPNSt15iterator_traitsISG_E10value_typeEPNSM_ISH_E10value_typeEPSI_NS1_7vsmem_tEENKUlT_SG_SH_SI_E_clIS7_S7_S7_SB_EESF_SV_SG_SH_SI_EUlSV_E0_NS1_11comp_targetILNS1_3genE3ELNS1_11target_archE908ELNS1_3gpuE7ELNS1_3repE0EEENS1_38merge_mergepath_config_static_selectorELNS0_4arch9wavefront6targetE1EEEvSH_, .Lfunc_end1022-_ZN7rocprim17ROCPRIM_400000_NS6detail17trampoline_kernelINS0_14default_configENS1_38merge_sort_block_merge_config_selectorIllEEZZNS1_27merge_sort_block_merge_implIS3_PlN6thrust23THRUST_200600_302600_NS10device_ptrIlEEjNS1_19radix_merge_compareILb0ELb0ElNS0_19identity_decomposerEEEEE10hipError_tT0_T1_T2_jT3_P12ihipStream_tbPNSt15iterator_traitsISG_E10value_typeEPNSM_ISH_E10value_typeEPSI_NS1_7vsmem_tEENKUlT_SG_SH_SI_E_clIS7_S7_S7_SB_EESF_SV_SG_SH_SI_EUlSV_E0_NS1_11comp_targetILNS1_3genE3ELNS1_11target_archE908ELNS1_3gpuE7ELNS1_3repE0EEENS1_38merge_mergepath_config_static_selectorELNS0_4arch9wavefront6targetE1EEEvSH_
                                        ; -- End function
	.section	.AMDGPU.csdata,"",@progbits
; Kernel info:
; codeLenInByte = 0
; NumSgprs: 4
; NumVgprs: 0
; NumAgprs: 0
; TotalNumVgprs: 0
; ScratchSize: 0
; MemoryBound: 0
; FloatMode: 240
; IeeeMode: 1
; LDSByteSize: 0 bytes/workgroup (compile time only)
; SGPRBlocks: 0
; VGPRBlocks: 0
; NumSGPRsForWavesPerEU: 4
; NumVGPRsForWavesPerEU: 1
; AccumOffset: 4
; Occupancy: 8
; WaveLimiterHint : 0
; COMPUTE_PGM_RSRC2:SCRATCH_EN: 0
; COMPUTE_PGM_RSRC2:USER_SGPR: 6
; COMPUTE_PGM_RSRC2:TRAP_HANDLER: 0
; COMPUTE_PGM_RSRC2:TGID_X_EN: 1
; COMPUTE_PGM_RSRC2:TGID_Y_EN: 0
; COMPUTE_PGM_RSRC2:TGID_Z_EN: 0
; COMPUTE_PGM_RSRC2:TIDIG_COMP_CNT: 0
; COMPUTE_PGM_RSRC3_GFX90A:ACCUM_OFFSET: 0
; COMPUTE_PGM_RSRC3_GFX90A:TG_SPLIT: 0
	.section	.text._ZN7rocprim17ROCPRIM_400000_NS6detail17trampoline_kernelINS0_14default_configENS1_38merge_sort_block_merge_config_selectorIllEEZZNS1_27merge_sort_block_merge_implIS3_PlN6thrust23THRUST_200600_302600_NS10device_ptrIlEEjNS1_19radix_merge_compareILb0ELb0ElNS0_19identity_decomposerEEEEE10hipError_tT0_T1_T2_jT3_P12ihipStream_tbPNSt15iterator_traitsISG_E10value_typeEPNSM_ISH_E10value_typeEPSI_NS1_7vsmem_tEENKUlT_SG_SH_SI_E_clIS7_S7_S7_SB_EESF_SV_SG_SH_SI_EUlSV_E0_NS1_11comp_targetILNS1_3genE2ELNS1_11target_archE906ELNS1_3gpuE6ELNS1_3repE0EEENS1_38merge_mergepath_config_static_selectorELNS0_4arch9wavefront6targetE1EEEvSH_,"axG",@progbits,_ZN7rocprim17ROCPRIM_400000_NS6detail17trampoline_kernelINS0_14default_configENS1_38merge_sort_block_merge_config_selectorIllEEZZNS1_27merge_sort_block_merge_implIS3_PlN6thrust23THRUST_200600_302600_NS10device_ptrIlEEjNS1_19radix_merge_compareILb0ELb0ElNS0_19identity_decomposerEEEEE10hipError_tT0_T1_T2_jT3_P12ihipStream_tbPNSt15iterator_traitsISG_E10value_typeEPNSM_ISH_E10value_typeEPSI_NS1_7vsmem_tEENKUlT_SG_SH_SI_E_clIS7_S7_S7_SB_EESF_SV_SG_SH_SI_EUlSV_E0_NS1_11comp_targetILNS1_3genE2ELNS1_11target_archE906ELNS1_3gpuE6ELNS1_3repE0EEENS1_38merge_mergepath_config_static_selectorELNS0_4arch9wavefront6targetE1EEEvSH_,comdat
	.protected	_ZN7rocprim17ROCPRIM_400000_NS6detail17trampoline_kernelINS0_14default_configENS1_38merge_sort_block_merge_config_selectorIllEEZZNS1_27merge_sort_block_merge_implIS3_PlN6thrust23THRUST_200600_302600_NS10device_ptrIlEEjNS1_19radix_merge_compareILb0ELb0ElNS0_19identity_decomposerEEEEE10hipError_tT0_T1_T2_jT3_P12ihipStream_tbPNSt15iterator_traitsISG_E10value_typeEPNSM_ISH_E10value_typeEPSI_NS1_7vsmem_tEENKUlT_SG_SH_SI_E_clIS7_S7_S7_SB_EESF_SV_SG_SH_SI_EUlSV_E0_NS1_11comp_targetILNS1_3genE2ELNS1_11target_archE906ELNS1_3gpuE6ELNS1_3repE0EEENS1_38merge_mergepath_config_static_selectorELNS0_4arch9wavefront6targetE1EEEvSH_ ; -- Begin function _ZN7rocprim17ROCPRIM_400000_NS6detail17trampoline_kernelINS0_14default_configENS1_38merge_sort_block_merge_config_selectorIllEEZZNS1_27merge_sort_block_merge_implIS3_PlN6thrust23THRUST_200600_302600_NS10device_ptrIlEEjNS1_19radix_merge_compareILb0ELb0ElNS0_19identity_decomposerEEEEE10hipError_tT0_T1_T2_jT3_P12ihipStream_tbPNSt15iterator_traitsISG_E10value_typeEPNSM_ISH_E10value_typeEPSI_NS1_7vsmem_tEENKUlT_SG_SH_SI_E_clIS7_S7_S7_SB_EESF_SV_SG_SH_SI_EUlSV_E0_NS1_11comp_targetILNS1_3genE2ELNS1_11target_archE906ELNS1_3gpuE6ELNS1_3repE0EEENS1_38merge_mergepath_config_static_selectorELNS0_4arch9wavefront6targetE1EEEvSH_
	.globl	_ZN7rocprim17ROCPRIM_400000_NS6detail17trampoline_kernelINS0_14default_configENS1_38merge_sort_block_merge_config_selectorIllEEZZNS1_27merge_sort_block_merge_implIS3_PlN6thrust23THRUST_200600_302600_NS10device_ptrIlEEjNS1_19radix_merge_compareILb0ELb0ElNS0_19identity_decomposerEEEEE10hipError_tT0_T1_T2_jT3_P12ihipStream_tbPNSt15iterator_traitsISG_E10value_typeEPNSM_ISH_E10value_typeEPSI_NS1_7vsmem_tEENKUlT_SG_SH_SI_E_clIS7_S7_S7_SB_EESF_SV_SG_SH_SI_EUlSV_E0_NS1_11comp_targetILNS1_3genE2ELNS1_11target_archE906ELNS1_3gpuE6ELNS1_3repE0EEENS1_38merge_mergepath_config_static_selectorELNS0_4arch9wavefront6targetE1EEEvSH_
	.p2align	8
	.type	_ZN7rocprim17ROCPRIM_400000_NS6detail17trampoline_kernelINS0_14default_configENS1_38merge_sort_block_merge_config_selectorIllEEZZNS1_27merge_sort_block_merge_implIS3_PlN6thrust23THRUST_200600_302600_NS10device_ptrIlEEjNS1_19radix_merge_compareILb0ELb0ElNS0_19identity_decomposerEEEEE10hipError_tT0_T1_T2_jT3_P12ihipStream_tbPNSt15iterator_traitsISG_E10value_typeEPNSM_ISH_E10value_typeEPSI_NS1_7vsmem_tEENKUlT_SG_SH_SI_E_clIS7_S7_S7_SB_EESF_SV_SG_SH_SI_EUlSV_E0_NS1_11comp_targetILNS1_3genE2ELNS1_11target_archE906ELNS1_3gpuE6ELNS1_3repE0EEENS1_38merge_mergepath_config_static_selectorELNS0_4arch9wavefront6targetE1EEEvSH_,@function
_ZN7rocprim17ROCPRIM_400000_NS6detail17trampoline_kernelINS0_14default_configENS1_38merge_sort_block_merge_config_selectorIllEEZZNS1_27merge_sort_block_merge_implIS3_PlN6thrust23THRUST_200600_302600_NS10device_ptrIlEEjNS1_19radix_merge_compareILb0ELb0ElNS0_19identity_decomposerEEEEE10hipError_tT0_T1_T2_jT3_P12ihipStream_tbPNSt15iterator_traitsISG_E10value_typeEPNSM_ISH_E10value_typeEPSI_NS1_7vsmem_tEENKUlT_SG_SH_SI_E_clIS7_S7_S7_SB_EESF_SV_SG_SH_SI_EUlSV_E0_NS1_11comp_targetILNS1_3genE2ELNS1_11target_archE906ELNS1_3gpuE6ELNS1_3repE0EEENS1_38merge_mergepath_config_static_selectorELNS0_4arch9wavefront6targetE1EEEvSH_: ; @_ZN7rocprim17ROCPRIM_400000_NS6detail17trampoline_kernelINS0_14default_configENS1_38merge_sort_block_merge_config_selectorIllEEZZNS1_27merge_sort_block_merge_implIS3_PlN6thrust23THRUST_200600_302600_NS10device_ptrIlEEjNS1_19radix_merge_compareILb0ELb0ElNS0_19identity_decomposerEEEEE10hipError_tT0_T1_T2_jT3_P12ihipStream_tbPNSt15iterator_traitsISG_E10value_typeEPNSM_ISH_E10value_typeEPSI_NS1_7vsmem_tEENKUlT_SG_SH_SI_E_clIS7_S7_S7_SB_EESF_SV_SG_SH_SI_EUlSV_E0_NS1_11comp_targetILNS1_3genE2ELNS1_11target_archE906ELNS1_3gpuE6ELNS1_3repE0EEENS1_38merge_mergepath_config_static_selectorELNS0_4arch9wavefront6targetE1EEEvSH_
; %bb.0:
	.section	.rodata,"a",@progbits
	.p2align	6, 0x0
	.amdhsa_kernel _ZN7rocprim17ROCPRIM_400000_NS6detail17trampoline_kernelINS0_14default_configENS1_38merge_sort_block_merge_config_selectorIllEEZZNS1_27merge_sort_block_merge_implIS3_PlN6thrust23THRUST_200600_302600_NS10device_ptrIlEEjNS1_19radix_merge_compareILb0ELb0ElNS0_19identity_decomposerEEEEE10hipError_tT0_T1_T2_jT3_P12ihipStream_tbPNSt15iterator_traitsISG_E10value_typeEPNSM_ISH_E10value_typeEPSI_NS1_7vsmem_tEENKUlT_SG_SH_SI_E_clIS7_S7_S7_SB_EESF_SV_SG_SH_SI_EUlSV_E0_NS1_11comp_targetILNS1_3genE2ELNS1_11target_archE906ELNS1_3gpuE6ELNS1_3repE0EEENS1_38merge_mergepath_config_static_selectorELNS0_4arch9wavefront6targetE1EEEvSH_
		.amdhsa_group_segment_fixed_size 0
		.amdhsa_private_segment_fixed_size 0
		.amdhsa_kernarg_size 64
		.amdhsa_user_sgpr_count 6
		.amdhsa_user_sgpr_private_segment_buffer 1
		.amdhsa_user_sgpr_dispatch_ptr 0
		.amdhsa_user_sgpr_queue_ptr 0
		.amdhsa_user_sgpr_kernarg_segment_ptr 1
		.amdhsa_user_sgpr_dispatch_id 0
		.amdhsa_user_sgpr_flat_scratch_init 0
		.amdhsa_user_sgpr_kernarg_preload_length 0
		.amdhsa_user_sgpr_kernarg_preload_offset 0
		.amdhsa_user_sgpr_private_segment_size 0
		.amdhsa_uses_dynamic_stack 0
		.amdhsa_system_sgpr_private_segment_wavefront_offset 0
		.amdhsa_system_sgpr_workgroup_id_x 1
		.amdhsa_system_sgpr_workgroup_id_y 0
		.amdhsa_system_sgpr_workgroup_id_z 0
		.amdhsa_system_sgpr_workgroup_info 0
		.amdhsa_system_vgpr_workitem_id 0
		.amdhsa_next_free_vgpr 1
		.amdhsa_next_free_sgpr 0
		.amdhsa_accum_offset 4
		.amdhsa_reserve_vcc 0
		.amdhsa_reserve_flat_scratch 0
		.amdhsa_float_round_mode_32 0
		.amdhsa_float_round_mode_16_64 0
		.amdhsa_float_denorm_mode_32 3
		.amdhsa_float_denorm_mode_16_64 3
		.amdhsa_dx10_clamp 1
		.amdhsa_ieee_mode 1
		.amdhsa_fp16_overflow 0
		.amdhsa_tg_split 0
		.amdhsa_exception_fp_ieee_invalid_op 0
		.amdhsa_exception_fp_denorm_src 0
		.amdhsa_exception_fp_ieee_div_zero 0
		.amdhsa_exception_fp_ieee_overflow 0
		.amdhsa_exception_fp_ieee_underflow 0
		.amdhsa_exception_fp_ieee_inexact 0
		.amdhsa_exception_int_div_zero 0
	.end_amdhsa_kernel
	.section	.text._ZN7rocprim17ROCPRIM_400000_NS6detail17trampoline_kernelINS0_14default_configENS1_38merge_sort_block_merge_config_selectorIllEEZZNS1_27merge_sort_block_merge_implIS3_PlN6thrust23THRUST_200600_302600_NS10device_ptrIlEEjNS1_19radix_merge_compareILb0ELb0ElNS0_19identity_decomposerEEEEE10hipError_tT0_T1_T2_jT3_P12ihipStream_tbPNSt15iterator_traitsISG_E10value_typeEPNSM_ISH_E10value_typeEPSI_NS1_7vsmem_tEENKUlT_SG_SH_SI_E_clIS7_S7_S7_SB_EESF_SV_SG_SH_SI_EUlSV_E0_NS1_11comp_targetILNS1_3genE2ELNS1_11target_archE906ELNS1_3gpuE6ELNS1_3repE0EEENS1_38merge_mergepath_config_static_selectorELNS0_4arch9wavefront6targetE1EEEvSH_,"axG",@progbits,_ZN7rocprim17ROCPRIM_400000_NS6detail17trampoline_kernelINS0_14default_configENS1_38merge_sort_block_merge_config_selectorIllEEZZNS1_27merge_sort_block_merge_implIS3_PlN6thrust23THRUST_200600_302600_NS10device_ptrIlEEjNS1_19radix_merge_compareILb0ELb0ElNS0_19identity_decomposerEEEEE10hipError_tT0_T1_T2_jT3_P12ihipStream_tbPNSt15iterator_traitsISG_E10value_typeEPNSM_ISH_E10value_typeEPSI_NS1_7vsmem_tEENKUlT_SG_SH_SI_E_clIS7_S7_S7_SB_EESF_SV_SG_SH_SI_EUlSV_E0_NS1_11comp_targetILNS1_3genE2ELNS1_11target_archE906ELNS1_3gpuE6ELNS1_3repE0EEENS1_38merge_mergepath_config_static_selectorELNS0_4arch9wavefront6targetE1EEEvSH_,comdat
.Lfunc_end1023:
	.size	_ZN7rocprim17ROCPRIM_400000_NS6detail17trampoline_kernelINS0_14default_configENS1_38merge_sort_block_merge_config_selectorIllEEZZNS1_27merge_sort_block_merge_implIS3_PlN6thrust23THRUST_200600_302600_NS10device_ptrIlEEjNS1_19radix_merge_compareILb0ELb0ElNS0_19identity_decomposerEEEEE10hipError_tT0_T1_T2_jT3_P12ihipStream_tbPNSt15iterator_traitsISG_E10value_typeEPNSM_ISH_E10value_typeEPSI_NS1_7vsmem_tEENKUlT_SG_SH_SI_E_clIS7_S7_S7_SB_EESF_SV_SG_SH_SI_EUlSV_E0_NS1_11comp_targetILNS1_3genE2ELNS1_11target_archE906ELNS1_3gpuE6ELNS1_3repE0EEENS1_38merge_mergepath_config_static_selectorELNS0_4arch9wavefront6targetE1EEEvSH_, .Lfunc_end1023-_ZN7rocprim17ROCPRIM_400000_NS6detail17trampoline_kernelINS0_14default_configENS1_38merge_sort_block_merge_config_selectorIllEEZZNS1_27merge_sort_block_merge_implIS3_PlN6thrust23THRUST_200600_302600_NS10device_ptrIlEEjNS1_19radix_merge_compareILb0ELb0ElNS0_19identity_decomposerEEEEE10hipError_tT0_T1_T2_jT3_P12ihipStream_tbPNSt15iterator_traitsISG_E10value_typeEPNSM_ISH_E10value_typeEPSI_NS1_7vsmem_tEENKUlT_SG_SH_SI_E_clIS7_S7_S7_SB_EESF_SV_SG_SH_SI_EUlSV_E0_NS1_11comp_targetILNS1_3genE2ELNS1_11target_archE906ELNS1_3gpuE6ELNS1_3repE0EEENS1_38merge_mergepath_config_static_selectorELNS0_4arch9wavefront6targetE1EEEvSH_
                                        ; -- End function
	.section	.AMDGPU.csdata,"",@progbits
; Kernel info:
; codeLenInByte = 0
; NumSgprs: 4
; NumVgprs: 0
; NumAgprs: 0
; TotalNumVgprs: 0
; ScratchSize: 0
; MemoryBound: 0
; FloatMode: 240
; IeeeMode: 1
; LDSByteSize: 0 bytes/workgroup (compile time only)
; SGPRBlocks: 0
; VGPRBlocks: 0
; NumSGPRsForWavesPerEU: 4
; NumVGPRsForWavesPerEU: 1
; AccumOffset: 4
; Occupancy: 8
; WaveLimiterHint : 0
; COMPUTE_PGM_RSRC2:SCRATCH_EN: 0
; COMPUTE_PGM_RSRC2:USER_SGPR: 6
; COMPUTE_PGM_RSRC2:TRAP_HANDLER: 0
; COMPUTE_PGM_RSRC2:TGID_X_EN: 1
; COMPUTE_PGM_RSRC2:TGID_Y_EN: 0
; COMPUTE_PGM_RSRC2:TGID_Z_EN: 0
; COMPUTE_PGM_RSRC2:TIDIG_COMP_CNT: 0
; COMPUTE_PGM_RSRC3_GFX90A:ACCUM_OFFSET: 0
; COMPUTE_PGM_RSRC3_GFX90A:TG_SPLIT: 0
	.section	.text._ZN7rocprim17ROCPRIM_400000_NS6detail17trampoline_kernelINS0_14default_configENS1_38merge_sort_block_merge_config_selectorIllEEZZNS1_27merge_sort_block_merge_implIS3_PlN6thrust23THRUST_200600_302600_NS10device_ptrIlEEjNS1_19radix_merge_compareILb0ELb0ElNS0_19identity_decomposerEEEEE10hipError_tT0_T1_T2_jT3_P12ihipStream_tbPNSt15iterator_traitsISG_E10value_typeEPNSM_ISH_E10value_typeEPSI_NS1_7vsmem_tEENKUlT_SG_SH_SI_E_clIS7_S7_S7_SB_EESF_SV_SG_SH_SI_EUlSV_E0_NS1_11comp_targetILNS1_3genE9ELNS1_11target_archE1100ELNS1_3gpuE3ELNS1_3repE0EEENS1_38merge_mergepath_config_static_selectorELNS0_4arch9wavefront6targetE1EEEvSH_,"axG",@progbits,_ZN7rocprim17ROCPRIM_400000_NS6detail17trampoline_kernelINS0_14default_configENS1_38merge_sort_block_merge_config_selectorIllEEZZNS1_27merge_sort_block_merge_implIS3_PlN6thrust23THRUST_200600_302600_NS10device_ptrIlEEjNS1_19radix_merge_compareILb0ELb0ElNS0_19identity_decomposerEEEEE10hipError_tT0_T1_T2_jT3_P12ihipStream_tbPNSt15iterator_traitsISG_E10value_typeEPNSM_ISH_E10value_typeEPSI_NS1_7vsmem_tEENKUlT_SG_SH_SI_E_clIS7_S7_S7_SB_EESF_SV_SG_SH_SI_EUlSV_E0_NS1_11comp_targetILNS1_3genE9ELNS1_11target_archE1100ELNS1_3gpuE3ELNS1_3repE0EEENS1_38merge_mergepath_config_static_selectorELNS0_4arch9wavefront6targetE1EEEvSH_,comdat
	.protected	_ZN7rocprim17ROCPRIM_400000_NS6detail17trampoline_kernelINS0_14default_configENS1_38merge_sort_block_merge_config_selectorIllEEZZNS1_27merge_sort_block_merge_implIS3_PlN6thrust23THRUST_200600_302600_NS10device_ptrIlEEjNS1_19radix_merge_compareILb0ELb0ElNS0_19identity_decomposerEEEEE10hipError_tT0_T1_T2_jT3_P12ihipStream_tbPNSt15iterator_traitsISG_E10value_typeEPNSM_ISH_E10value_typeEPSI_NS1_7vsmem_tEENKUlT_SG_SH_SI_E_clIS7_S7_S7_SB_EESF_SV_SG_SH_SI_EUlSV_E0_NS1_11comp_targetILNS1_3genE9ELNS1_11target_archE1100ELNS1_3gpuE3ELNS1_3repE0EEENS1_38merge_mergepath_config_static_selectorELNS0_4arch9wavefront6targetE1EEEvSH_ ; -- Begin function _ZN7rocprim17ROCPRIM_400000_NS6detail17trampoline_kernelINS0_14default_configENS1_38merge_sort_block_merge_config_selectorIllEEZZNS1_27merge_sort_block_merge_implIS3_PlN6thrust23THRUST_200600_302600_NS10device_ptrIlEEjNS1_19radix_merge_compareILb0ELb0ElNS0_19identity_decomposerEEEEE10hipError_tT0_T1_T2_jT3_P12ihipStream_tbPNSt15iterator_traitsISG_E10value_typeEPNSM_ISH_E10value_typeEPSI_NS1_7vsmem_tEENKUlT_SG_SH_SI_E_clIS7_S7_S7_SB_EESF_SV_SG_SH_SI_EUlSV_E0_NS1_11comp_targetILNS1_3genE9ELNS1_11target_archE1100ELNS1_3gpuE3ELNS1_3repE0EEENS1_38merge_mergepath_config_static_selectorELNS0_4arch9wavefront6targetE1EEEvSH_
	.globl	_ZN7rocprim17ROCPRIM_400000_NS6detail17trampoline_kernelINS0_14default_configENS1_38merge_sort_block_merge_config_selectorIllEEZZNS1_27merge_sort_block_merge_implIS3_PlN6thrust23THRUST_200600_302600_NS10device_ptrIlEEjNS1_19radix_merge_compareILb0ELb0ElNS0_19identity_decomposerEEEEE10hipError_tT0_T1_T2_jT3_P12ihipStream_tbPNSt15iterator_traitsISG_E10value_typeEPNSM_ISH_E10value_typeEPSI_NS1_7vsmem_tEENKUlT_SG_SH_SI_E_clIS7_S7_S7_SB_EESF_SV_SG_SH_SI_EUlSV_E0_NS1_11comp_targetILNS1_3genE9ELNS1_11target_archE1100ELNS1_3gpuE3ELNS1_3repE0EEENS1_38merge_mergepath_config_static_selectorELNS0_4arch9wavefront6targetE1EEEvSH_
	.p2align	8
	.type	_ZN7rocprim17ROCPRIM_400000_NS6detail17trampoline_kernelINS0_14default_configENS1_38merge_sort_block_merge_config_selectorIllEEZZNS1_27merge_sort_block_merge_implIS3_PlN6thrust23THRUST_200600_302600_NS10device_ptrIlEEjNS1_19radix_merge_compareILb0ELb0ElNS0_19identity_decomposerEEEEE10hipError_tT0_T1_T2_jT3_P12ihipStream_tbPNSt15iterator_traitsISG_E10value_typeEPNSM_ISH_E10value_typeEPSI_NS1_7vsmem_tEENKUlT_SG_SH_SI_E_clIS7_S7_S7_SB_EESF_SV_SG_SH_SI_EUlSV_E0_NS1_11comp_targetILNS1_3genE9ELNS1_11target_archE1100ELNS1_3gpuE3ELNS1_3repE0EEENS1_38merge_mergepath_config_static_selectorELNS0_4arch9wavefront6targetE1EEEvSH_,@function
_ZN7rocprim17ROCPRIM_400000_NS6detail17trampoline_kernelINS0_14default_configENS1_38merge_sort_block_merge_config_selectorIllEEZZNS1_27merge_sort_block_merge_implIS3_PlN6thrust23THRUST_200600_302600_NS10device_ptrIlEEjNS1_19radix_merge_compareILb0ELb0ElNS0_19identity_decomposerEEEEE10hipError_tT0_T1_T2_jT3_P12ihipStream_tbPNSt15iterator_traitsISG_E10value_typeEPNSM_ISH_E10value_typeEPSI_NS1_7vsmem_tEENKUlT_SG_SH_SI_E_clIS7_S7_S7_SB_EESF_SV_SG_SH_SI_EUlSV_E0_NS1_11comp_targetILNS1_3genE9ELNS1_11target_archE1100ELNS1_3gpuE3ELNS1_3repE0EEENS1_38merge_mergepath_config_static_selectorELNS0_4arch9wavefront6targetE1EEEvSH_: ; @_ZN7rocprim17ROCPRIM_400000_NS6detail17trampoline_kernelINS0_14default_configENS1_38merge_sort_block_merge_config_selectorIllEEZZNS1_27merge_sort_block_merge_implIS3_PlN6thrust23THRUST_200600_302600_NS10device_ptrIlEEjNS1_19radix_merge_compareILb0ELb0ElNS0_19identity_decomposerEEEEE10hipError_tT0_T1_T2_jT3_P12ihipStream_tbPNSt15iterator_traitsISG_E10value_typeEPNSM_ISH_E10value_typeEPSI_NS1_7vsmem_tEENKUlT_SG_SH_SI_E_clIS7_S7_S7_SB_EESF_SV_SG_SH_SI_EUlSV_E0_NS1_11comp_targetILNS1_3genE9ELNS1_11target_archE1100ELNS1_3gpuE3ELNS1_3repE0EEENS1_38merge_mergepath_config_static_selectorELNS0_4arch9wavefront6targetE1EEEvSH_
; %bb.0:
	.section	.rodata,"a",@progbits
	.p2align	6, 0x0
	.amdhsa_kernel _ZN7rocprim17ROCPRIM_400000_NS6detail17trampoline_kernelINS0_14default_configENS1_38merge_sort_block_merge_config_selectorIllEEZZNS1_27merge_sort_block_merge_implIS3_PlN6thrust23THRUST_200600_302600_NS10device_ptrIlEEjNS1_19radix_merge_compareILb0ELb0ElNS0_19identity_decomposerEEEEE10hipError_tT0_T1_T2_jT3_P12ihipStream_tbPNSt15iterator_traitsISG_E10value_typeEPNSM_ISH_E10value_typeEPSI_NS1_7vsmem_tEENKUlT_SG_SH_SI_E_clIS7_S7_S7_SB_EESF_SV_SG_SH_SI_EUlSV_E0_NS1_11comp_targetILNS1_3genE9ELNS1_11target_archE1100ELNS1_3gpuE3ELNS1_3repE0EEENS1_38merge_mergepath_config_static_selectorELNS0_4arch9wavefront6targetE1EEEvSH_
		.amdhsa_group_segment_fixed_size 0
		.amdhsa_private_segment_fixed_size 0
		.amdhsa_kernarg_size 64
		.amdhsa_user_sgpr_count 6
		.amdhsa_user_sgpr_private_segment_buffer 1
		.amdhsa_user_sgpr_dispatch_ptr 0
		.amdhsa_user_sgpr_queue_ptr 0
		.amdhsa_user_sgpr_kernarg_segment_ptr 1
		.amdhsa_user_sgpr_dispatch_id 0
		.amdhsa_user_sgpr_flat_scratch_init 0
		.amdhsa_user_sgpr_kernarg_preload_length 0
		.amdhsa_user_sgpr_kernarg_preload_offset 0
		.amdhsa_user_sgpr_private_segment_size 0
		.amdhsa_uses_dynamic_stack 0
		.amdhsa_system_sgpr_private_segment_wavefront_offset 0
		.amdhsa_system_sgpr_workgroup_id_x 1
		.amdhsa_system_sgpr_workgroup_id_y 0
		.amdhsa_system_sgpr_workgroup_id_z 0
		.amdhsa_system_sgpr_workgroup_info 0
		.amdhsa_system_vgpr_workitem_id 0
		.amdhsa_next_free_vgpr 1
		.amdhsa_next_free_sgpr 0
		.amdhsa_accum_offset 4
		.amdhsa_reserve_vcc 0
		.amdhsa_reserve_flat_scratch 0
		.amdhsa_float_round_mode_32 0
		.amdhsa_float_round_mode_16_64 0
		.amdhsa_float_denorm_mode_32 3
		.amdhsa_float_denorm_mode_16_64 3
		.amdhsa_dx10_clamp 1
		.amdhsa_ieee_mode 1
		.amdhsa_fp16_overflow 0
		.amdhsa_tg_split 0
		.amdhsa_exception_fp_ieee_invalid_op 0
		.amdhsa_exception_fp_denorm_src 0
		.amdhsa_exception_fp_ieee_div_zero 0
		.amdhsa_exception_fp_ieee_overflow 0
		.amdhsa_exception_fp_ieee_underflow 0
		.amdhsa_exception_fp_ieee_inexact 0
		.amdhsa_exception_int_div_zero 0
	.end_amdhsa_kernel
	.section	.text._ZN7rocprim17ROCPRIM_400000_NS6detail17trampoline_kernelINS0_14default_configENS1_38merge_sort_block_merge_config_selectorIllEEZZNS1_27merge_sort_block_merge_implIS3_PlN6thrust23THRUST_200600_302600_NS10device_ptrIlEEjNS1_19radix_merge_compareILb0ELb0ElNS0_19identity_decomposerEEEEE10hipError_tT0_T1_T2_jT3_P12ihipStream_tbPNSt15iterator_traitsISG_E10value_typeEPNSM_ISH_E10value_typeEPSI_NS1_7vsmem_tEENKUlT_SG_SH_SI_E_clIS7_S7_S7_SB_EESF_SV_SG_SH_SI_EUlSV_E0_NS1_11comp_targetILNS1_3genE9ELNS1_11target_archE1100ELNS1_3gpuE3ELNS1_3repE0EEENS1_38merge_mergepath_config_static_selectorELNS0_4arch9wavefront6targetE1EEEvSH_,"axG",@progbits,_ZN7rocprim17ROCPRIM_400000_NS6detail17trampoline_kernelINS0_14default_configENS1_38merge_sort_block_merge_config_selectorIllEEZZNS1_27merge_sort_block_merge_implIS3_PlN6thrust23THRUST_200600_302600_NS10device_ptrIlEEjNS1_19radix_merge_compareILb0ELb0ElNS0_19identity_decomposerEEEEE10hipError_tT0_T1_T2_jT3_P12ihipStream_tbPNSt15iterator_traitsISG_E10value_typeEPNSM_ISH_E10value_typeEPSI_NS1_7vsmem_tEENKUlT_SG_SH_SI_E_clIS7_S7_S7_SB_EESF_SV_SG_SH_SI_EUlSV_E0_NS1_11comp_targetILNS1_3genE9ELNS1_11target_archE1100ELNS1_3gpuE3ELNS1_3repE0EEENS1_38merge_mergepath_config_static_selectorELNS0_4arch9wavefront6targetE1EEEvSH_,comdat
.Lfunc_end1024:
	.size	_ZN7rocprim17ROCPRIM_400000_NS6detail17trampoline_kernelINS0_14default_configENS1_38merge_sort_block_merge_config_selectorIllEEZZNS1_27merge_sort_block_merge_implIS3_PlN6thrust23THRUST_200600_302600_NS10device_ptrIlEEjNS1_19radix_merge_compareILb0ELb0ElNS0_19identity_decomposerEEEEE10hipError_tT0_T1_T2_jT3_P12ihipStream_tbPNSt15iterator_traitsISG_E10value_typeEPNSM_ISH_E10value_typeEPSI_NS1_7vsmem_tEENKUlT_SG_SH_SI_E_clIS7_S7_S7_SB_EESF_SV_SG_SH_SI_EUlSV_E0_NS1_11comp_targetILNS1_3genE9ELNS1_11target_archE1100ELNS1_3gpuE3ELNS1_3repE0EEENS1_38merge_mergepath_config_static_selectorELNS0_4arch9wavefront6targetE1EEEvSH_, .Lfunc_end1024-_ZN7rocprim17ROCPRIM_400000_NS6detail17trampoline_kernelINS0_14default_configENS1_38merge_sort_block_merge_config_selectorIllEEZZNS1_27merge_sort_block_merge_implIS3_PlN6thrust23THRUST_200600_302600_NS10device_ptrIlEEjNS1_19radix_merge_compareILb0ELb0ElNS0_19identity_decomposerEEEEE10hipError_tT0_T1_T2_jT3_P12ihipStream_tbPNSt15iterator_traitsISG_E10value_typeEPNSM_ISH_E10value_typeEPSI_NS1_7vsmem_tEENKUlT_SG_SH_SI_E_clIS7_S7_S7_SB_EESF_SV_SG_SH_SI_EUlSV_E0_NS1_11comp_targetILNS1_3genE9ELNS1_11target_archE1100ELNS1_3gpuE3ELNS1_3repE0EEENS1_38merge_mergepath_config_static_selectorELNS0_4arch9wavefront6targetE1EEEvSH_
                                        ; -- End function
	.section	.AMDGPU.csdata,"",@progbits
; Kernel info:
; codeLenInByte = 0
; NumSgprs: 4
; NumVgprs: 0
; NumAgprs: 0
; TotalNumVgprs: 0
; ScratchSize: 0
; MemoryBound: 0
; FloatMode: 240
; IeeeMode: 1
; LDSByteSize: 0 bytes/workgroup (compile time only)
; SGPRBlocks: 0
; VGPRBlocks: 0
; NumSGPRsForWavesPerEU: 4
; NumVGPRsForWavesPerEU: 1
; AccumOffset: 4
; Occupancy: 8
; WaveLimiterHint : 0
; COMPUTE_PGM_RSRC2:SCRATCH_EN: 0
; COMPUTE_PGM_RSRC2:USER_SGPR: 6
; COMPUTE_PGM_RSRC2:TRAP_HANDLER: 0
; COMPUTE_PGM_RSRC2:TGID_X_EN: 1
; COMPUTE_PGM_RSRC2:TGID_Y_EN: 0
; COMPUTE_PGM_RSRC2:TGID_Z_EN: 0
; COMPUTE_PGM_RSRC2:TIDIG_COMP_CNT: 0
; COMPUTE_PGM_RSRC3_GFX90A:ACCUM_OFFSET: 0
; COMPUTE_PGM_RSRC3_GFX90A:TG_SPLIT: 0
	.section	.text._ZN7rocprim17ROCPRIM_400000_NS6detail17trampoline_kernelINS0_14default_configENS1_38merge_sort_block_merge_config_selectorIllEEZZNS1_27merge_sort_block_merge_implIS3_PlN6thrust23THRUST_200600_302600_NS10device_ptrIlEEjNS1_19radix_merge_compareILb0ELb0ElNS0_19identity_decomposerEEEEE10hipError_tT0_T1_T2_jT3_P12ihipStream_tbPNSt15iterator_traitsISG_E10value_typeEPNSM_ISH_E10value_typeEPSI_NS1_7vsmem_tEENKUlT_SG_SH_SI_E_clIS7_S7_S7_SB_EESF_SV_SG_SH_SI_EUlSV_E0_NS1_11comp_targetILNS1_3genE8ELNS1_11target_archE1030ELNS1_3gpuE2ELNS1_3repE0EEENS1_38merge_mergepath_config_static_selectorELNS0_4arch9wavefront6targetE1EEEvSH_,"axG",@progbits,_ZN7rocprim17ROCPRIM_400000_NS6detail17trampoline_kernelINS0_14default_configENS1_38merge_sort_block_merge_config_selectorIllEEZZNS1_27merge_sort_block_merge_implIS3_PlN6thrust23THRUST_200600_302600_NS10device_ptrIlEEjNS1_19radix_merge_compareILb0ELb0ElNS0_19identity_decomposerEEEEE10hipError_tT0_T1_T2_jT3_P12ihipStream_tbPNSt15iterator_traitsISG_E10value_typeEPNSM_ISH_E10value_typeEPSI_NS1_7vsmem_tEENKUlT_SG_SH_SI_E_clIS7_S7_S7_SB_EESF_SV_SG_SH_SI_EUlSV_E0_NS1_11comp_targetILNS1_3genE8ELNS1_11target_archE1030ELNS1_3gpuE2ELNS1_3repE0EEENS1_38merge_mergepath_config_static_selectorELNS0_4arch9wavefront6targetE1EEEvSH_,comdat
	.protected	_ZN7rocprim17ROCPRIM_400000_NS6detail17trampoline_kernelINS0_14default_configENS1_38merge_sort_block_merge_config_selectorIllEEZZNS1_27merge_sort_block_merge_implIS3_PlN6thrust23THRUST_200600_302600_NS10device_ptrIlEEjNS1_19radix_merge_compareILb0ELb0ElNS0_19identity_decomposerEEEEE10hipError_tT0_T1_T2_jT3_P12ihipStream_tbPNSt15iterator_traitsISG_E10value_typeEPNSM_ISH_E10value_typeEPSI_NS1_7vsmem_tEENKUlT_SG_SH_SI_E_clIS7_S7_S7_SB_EESF_SV_SG_SH_SI_EUlSV_E0_NS1_11comp_targetILNS1_3genE8ELNS1_11target_archE1030ELNS1_3gpuE2ELNS1_3repE0EEENS1_38merge_mergepath_config_static_selectorELNS0_4arch9wavefront6targetE1EEEvSH_ ; -- Begin function _ZN7rocprim17ROCPRIM_400000_NS6detail17trampoline_kernelINS0_14default_configENS1_38merge_sort_block_merge_config_selectorIllEEZZNS1_27merge_sort_block_merge_implIS3_PlN6thrust23THRUST_200600_302600_NS10device_ptrIlEEjNS1_19radix_merge_compareILb0ELb0ElNS0_19identity_decomposerEEEEE10hipError_tT0_T1_T2_jT3_P12ihipStream_tbPNSt15iterator_traitsISG_E10value_typeEPNSM_ISH_E10value_typeEPSI_NS1_7vsmem_tEENKUlT_SG_SH_SI_E_clIS7_S7_S7_SB_EESF_SV_SG_SH_SI_EUlSV_E0_NS1_11comp_targetILNS1_3genE8ELNS1_11target_archE1030ELNS1_3gpuE2ELNS1_3repE0EEENS1_38merge_mergepath_config_static_selectorELNS0_4arch9wavefront6targetE1EEEvSH_
	.globl	_ZN7rocprim17ROCPRIM_400000_NS6detail17trampoline_kernelINS0_14default_configENS1_38merge_sort_block_merge_config_selectorIllEEZZNS1_27merge_sort_block_merge_implIS3_PlN6thrust23THRUST_200600_302600_NS10device_ptrIlEEjNS1_19radix_merge_compareILb0ELb0ElNS0_19identity_decomposerEEEEE10hipError_tT0_T1_T2_jT3_P12ihipStream_tbPNSt15iterator_traitsISG_E10value_typeEPNSM_ISH_E10value_typeEPSI_NS1_7vsmem_tEENKUlT_SG_SH_SI_E_clIS7_S7_S7_SB_EESF_SV_SG_SH_SI_EUlSV_E0_NS1_11comp_targetILNS1_3genE8ELNS1_11target_archE1030ELNS1_3gpuE2ELNS1_3repE0EEENS1_38merge_mergepath_config_static_selectorELNS0_4arch9wavefront6targetE1EEEvSH_
	.p2align	8
	.type	_ZN7rocprim17ROCPRIM_400000_NS6detail17trampoline_kernelINS0_14default_configENS1_38merge_sort_block_merge_config_selectorIllEEZZNS1_27merge_sort_block_merge_implIS3_PlN6thrust23THRUST_200600_302600_NS10device_ptrIlEEjNS1_19radix_merge_compareILb0ELb0ElNS0_19identity_decomposerEEEEE10hipError_tT0_T1_T2_jT3_P12ihipStream_tbPNSt15iterator_traitsISG_E10value_typeEPNSM_ISH_E10value_typeEPSI_NS1_7vsmem_tEENKUlT_SG_SH_SI_E_clIS7_S7_S7_SB_EESF_SV_SG_SH_SI_EUlSV_E0_NS1_11comp_targetILNS1_3genE8ELNS1_11target_archE1030ELNS1_3gpuE2ELNS1_3repE0EEENS1_38merge_mergepath_config_static_selectorELNS0_4arch9wavefront6targetE1EEEvSH_,@function
_ZN7rocprim17ROCPRIM_400000_NS6detail17trampoline_kernelINS0_14default_configENS1_38merge_sort_block_merge_config_selectorIllEEZZNS1_27merge_sort_block_merge_implIS3_PlN6thrust23THRUST_200600_302600_NS10device_ptrIlEEjNS1_19radix_merge_compareILb0ELb0ElNS0_19identity_decomposerEEEEE10hipError_tT0_T1_T2_jT3_P12ihipStream_tbPNSt15iterator_traitsISG_E10value_typeEPNSM_ISH_E10value_typeEPSI_NS1_7vsmem_tEENKUlT_SG_SH_SI_E_clIS7_S7_S7_SB_EESF_SV_SG_SH_SI_EUlSV_E0_NS1_11comp_targetILNS1_3genE8ELNS1_11target_archE1030ELNS1_3gpuE2ELNS1_3repE0EEENS1_38merge_mergepath_config_static_selectorELNS0_4arch9wavefront6targetE1EEEvSH_: ; @_ZN7rocprim17ROCPRIM_400000_NS6detail17trampoline_kernelINS0_14default_configENS1_38merge_sort_block_merge_config_selectorIllEEZZNS1_27merge_sort_block_merge_implIS3_PlN6thrust23THRUST_200600_302600_NS10device_ptrIlEEjNS1_19radix_merge_compareILb0ELb0ElNS0_19identity_decomposerEEEEE10hipError_tT0_T1_T2_jT3_P12ihipStream_tbPNSt15iterator_traitsISG_E10value_typeEPNSM_ISH_E10value_typeEPSI_NS1_7vsmem_tEENKUlT_SG_SH_SI_E_clIS7_S7_S7_SB_EESF_SV_SG_SH_SI_EUlSV_E0_NS1_11comp_targetILNS1_3genE8ELNS1_11target_archE1030ELNS1_3gpuE2ELNS1_3repE0EEENS1_38merge_mergepath_config_static_selectorELNS0_4arch9wavefront6targetE1EEEvSH_
; %bb.0:
	.section	.rodata,"a",@progbits
	.p2align	6, 0x0
	.amdhsa_kernel _ZN7rocprim17ROCPRIM_400000_NS6detail17trampoline_kernelINS0_14default_configENS1_38merge_sort_block_merge_config_selectorIllEEZZNS1_27merge_sort_block_merge_implIS3_PlN6thrust23THRUST_200600_302600_NS10device_ptrIlEEjNS1_19radix_merge_compareILb0ELb0ElNS0_19identity_decomposerEEEEE10hipError_tT0_T1_T2_jT3_P12ihipStream_tbPNSt15iterator_traitsISG_E10value_typeEPNSM_ISH_E10value_typeEPSI_NS1_7vsmem_tEENKUlT_SG_SH_SI_E_clIS7_S7_S7_SB_EESF_SV_SG_SH_SI_EUlSV_E0_NS1_11comp_targetILNS1_3genE8ELNS1_11target_archE1030ELNS1_3gpuE2ELNS1_3repE0EEENS1_38merge_mergepath_config_static_selectorELNS0_4arch9wavefront6targetE1EEEvSH_
		.amdhsa_group_segment_fixed_size 0
		.amdhsa_private_segment_fixed_size 0
		.amdhsa_kernarg_size 64
		.amdhsa_user_sgpr_count 6
		.amdhsa_user_sgpr_private_segment_buffer 1
		.amdhsa_user_sgpr_dispatch_ptr 0
		.amdhsa_user_sgpr_queue_ptr 0
		.amdhsa_user_sgpr_kernarg_segment_ptr 1
		.amdhsa_user_sgpr_dispatch_id 0
		.amdhsa_user_sgpr_flat_scratch_init 0
		.amdhsa_user_sgpr_kernarg_preload_length 0
		.amdhsa_user_sgpr_kernarg_preload_offset 0
		.amdhsa_user_sgpr_private_segment_size 0
		.amdhsa_uses_dynamic_stack 0
		.amdhsa_system_sgpr_private_segment_wavefront_offset 0
		.amdhsa_system_sgpr_workgroup_id_x 1
		.amdhsa_system_sgpr_workgroup_id_y 0
		.amdhsa_system_sgpr_workgroup_id_z 0
		.amdhsa_system_sgpr_workgroup_info 0
		.amdhsa_system_vgpr_workitem_id 0
		.amdhsa_next_free_vgpr 1
		.amdhsa_next_free_sgpr 0
		.amdhsa_accum_offset 4
		.amdhsa_reserve_vcc 0
		.amdhsa_reserve_flat_scratch 0
		.amdhsa_float_round_mode_32 0
		.amdhsa_float_round_mode_16_64 0
		.amdhsa_float_denorm_mode_32 3
		.amdhsa_float_denorm_mode_16_64 3
		.amdhsa_dx10_clamp 1
		.amdhsa_ieee_mode 1
		.amdhsa_fp16_overflow 0
		.amdhsa_tg_split 0
		.amdhsa_exception_fp_ieee_invalid_op 0
		.amdhsa_exception_fp_denorm_src 0
		.amdhsa_exception_fp_ieee_div_zero 0
		.amdhsa_exception_fp_ieee_overflow 0
		.amdhsa_exception_fp_ieee_underflow 0
		.amdhsa_exception_fp_ieee_inexact 0
		.amdhsa_exception_int_div_zero 0
	.end_amdhsa_kernel
	.section	.text._ZN7rocprim17ROCPRIM_400000_NS6detail17trampoline_kernelINS0_14default_configENS1_38merge_sort_block_merge_config_selectorIllEEZZNS1_27merge_sort_block_merge_implIS3_PlN6thrust23THRUST_200600_302600_NS10device_ptrIlEEjNS1_19radix_merge_compareILb0ELb0ElNS0_19identity_decomposerEEEEE10hipError_tT0_T1_T2_jT3_P12ihipStream_tbPNSt15iterator_traitsISG_E10value_typeEPNSM_ISH_E10value_typeEPSI_NS1_7vsmem_tEENKUlT_SG_SH_SI_E_clIS7_S7_S7_SB_EESF_SV_SG_SH_SI_EUlSV_E0_NS1_11comp_targetILNS1_3genE8ELNS1_11target_archE1030ELNS1_3gpuE2ELNS1_3repE0EEENS1_38merge_mergepath_config_static_selectorELNS0_4arch9wavefront6targetE1EEEvSH_,"axG",@progbits,_ZN7rocprim17ROCPRIM_400000_NS6detail17trampoline_kernelINS0_14default_configENS1_38merge_sort_block_merge_config_selectorIllEEZZNS1_27merge_sort_block_merge_implIS3_PlN6thrust23THRUST_200600_302600_NS10device_ptrIlEEjNS1_19radix_merge_compareILb0ELb0ElNS0_19identity_decomposerEEEEE10hipError_tT0_T1_T2_jT3_P12ihipStream_tbPNSt15iterator_traitsISG_E10value_typeEPNSM_ISH_E10value_typeEPSI_NS1_7vsmem_tEENKUlT_SG_SH_SI_E_clIS7_S7_S7_SB_EESF_SV_SG_SH_SI_EUlSV_E0_NS1_11comp_targetILNS1_3genE8ELNS1_11target_archE1030ELNS1_3gpuE2ELNS1_3repE0EEENS1_38merge_mergepath_config_static_selectorELNS0_4arch9wavefront6targetE1EEEvSH_,comdat
.Lfunc_end1025:
	.size	_ZN7rocprim17ROCPRIM_400000_NS6detail17trampoline_kernelINS0_14default_configENS1_38merge_sort_block_merge_config_selectorIllEEZZNS1_27merge_sort_block_merge_implIS3_PlN6thrust23THRUST_200600_302600_NS10device_ptrIlEEjNS1_19radix_merge_compareILb0ELb0ElNS0_19identity_decomposerEEEEE10hipError_tT0_T1_T2_jT3_P12ihipStream_tbPNSt15iterator_traitsISG_E10value_typeEPNSM_ISH_E10value_typeEPSI_NS1_7vsmem_tEENKUlT_SG_SH_SI_E_clIS7_S7_S7_SB_EESF_SV_SG_SH_SI_EUlSV_E0_NS1_11comp_targetILNS1_3genE8ELNS1_11target_archE1030ELNS1_3gpuE2ELNS1_3repE0EEENS1_38merge_mergepath_config_static_selectorELNS0_4arch9wavefront6targetE1EEEvSH_, .Lfunc_end1025-_ZN7rocprim17ROCPRIM_400000_NS6detail17trampoline_kernelINS0_14default_configENS1_38merge_sort_block_merge_config_selectorIllEEZZNS1_27merge_sort_block_merge_implIS3_PlN6thrust23THRUST_200600_302600_NS10device_ptrIlEEjNS1_19radix_merge_compareILb0ELb0ElNS0_19identity_decomposerEEEEE10hipError_tT0_T1_T2_jT3_P12ihipStream_tbPNSt15iterator_traitsISG_E10value_typeEPNSM_ISH_E10value_typeEPSI_NS1_7vsmem_tEENKUlT_SG_SH_SI_E_clIS7_S7_S7_SB_EESF_SV_SG_SH_SI_EUlSV_E0_NS1_11comp_targetILNS1_3genE8ELNS1_11target_archE1030ELNS1_3gpuE2ELNS1_3repE0EEENS1_38merge_mergepath_config_static_selectorELNS0_4arch9wavefront6targetE1EEEvSH_
                                        ; -- End function
	.section	.AMDGPU.csdata,"",@progbits
; Kernel info:
; codeLenInByte = 0
; NumSgprs: 4
; NumVgprs: 0
; NumAgprs: 0
; TotalNumVgprs: 0
; ScratchSize: 0
; MemoryBound: 0
; FloatMode: 240
; IeeeMode: 1
; LDSByteSize: 0 bytes/workgroup (compile time only)
; SGPRBlocks: 0
; VGPRBlocks: 0
; NumSGPRsForWavesPerEU: 4
; NumVGPRsForWavesPerEU: 1
; AccumOffset: 4
; Occupancy: 8
; WaveLimiterHint : 0
; COMPUTE_PGM_RSRC2:SCRATCH_EN: 0
; COMPUTE_PGM_RSRC2:USER_SGPR: 6
; COMPUTE_PGM_RSRC2:TRAP_HANDLER: 0
; COMPUTE_PGM_RSRC2:TGID_X_EN: 1
; COMPUTE_PGM_RSRC2:TGID_Y_EN: 0
; COMPUTE_PGM_RSRC2:TGID_Z_EN: 0
; COMPUTE_PGM_RSRC2:TIDIG_COMP_CNT: 0
; COMPUTE_PGM_RSRC3_GFX90A:ACCUM_OFFSET: 0
; COMPUTE_PGM_RSRC3_GFX90A:TG_SPLIT: 0
	.section	.text._ZN7rocprim17ROCPRIM_400000_NS6detail17trampoline_kernelINS0_14default_configENS1_38merge_sort_block_merge_config_selectorIllEEZZNS1_27merge_sort_block_merge_implIS3_PlN6thrust23THRUST_200600_302600_NS10device_ptrIlEEjNS1_19radix_merge_compareILb0ELb0ElNS0_19identity_decomposerEEEEE10hipError_tT0_T1_T2_jT3_P12ihipStream_tbPNSt15iterator_traitsISG_E10value_typeEPNSM_ISH_E10value_typeEPSI_NS1_7vsmem_tEENKUlT_SG_SH_SI_E_clIS7_S7_S7_SB_EESF_SV_SG_SH_SI_EUlSV_E1_NS1_11comp_targetILNS1_3genE0ELNS1_11target_archE4294967295ELNS1_3gpuE0ELNS1_3repE0EEENS1_36merge_oddeven_config_static_selectorELNS0_4arch9wavefront6targetE1EEEvSH_,"axG",@progbits,_ZN7rocprim17ROCPRIM_400000_NS6detail17trampoline_kernelINS0_14default_configENS1_38merge_sort_block_merge_config_selectorIllEEZZNS1_27merge_sort_block_merge_implIS3_PlN6thrust23THRUST_200600_302600_NS10device_ptrIlEEjNS1_19radix_merge_compareILb0ELb0ElNS0_19identity_decomposerEEEEE10hipError_tT0_T1_T2_jT3_P12ihipStream_tbPNSt15iterator_traitsISG_E10value_typeEPNSM_ISH_E10value_typeEPSI_NS1_7vsmem_tEENKUlT_SG_SH_SI_E_clIS7_S7_S7_SB_EESF_SV_SG_SH_SI_EUlSV_E1_NS1_11comp_targetILNS1_3genE0ELNS1_11target_archE4294967295ELNS1_3gpuE0ELNS1_3repE0EEENS1_36merge_oddeven_config_static_selectorELNS0_4arch9wavefront6targetE1EEEvSH_,comdat
	.protected	_ZN7rocprim17ROCPRIM_400000_NS6detail17trampoline_kernelINS0_14default_configENS1_38merge_sort_block_merge_config_selectorIllEEZZNS1_27merge_sort_block_merge_implIS3_PlN6thrust23THRUST_200600_302600_NS10device_ptrIlEEjNS1_19radix_merge_compareILb0ELb0ElNS0_19identity_decomposerEEEEE10hipError_tT0_T1_T2_jT3_P12ihipStream_tbPNSt15iterator_traitsISG_E10value_typeEPNSM_ISH_E10value_typeEPSI_NS1_7vsmem_tEENKUlT_SG_SH_SI_E_clIS7_S7_S7_SB_EESF_SV_SG_SH_SI_EUlSV_E1_NS1_11comp_targetILNS1_3genE0ELNS1_11target_archE4294967295ELNS1_3gpuE0ELNS1_3repE0EEENS1_36merge_oddeven_config_static_selectorELNS0_4arch9wavefront6targetE1EEEvSH_ ; -- Begin function _ZN7rocprim17ROCPRIM_400000_NS6detail17trampoline_kernelINS0_14default_configENS1_38merge_sort_block_merge_config_selectorIllEEZZNS1_27merge_sort_block_merge_implIS3_PlN6thrust23THRUST_200600_302600_NS10device_ptrIlEEjNS1_19radix_merge_compareILb0ELb0ElNS0_19identity_decomposerEEEEE10hipError_tT0_T1_T2_jT3_P12ihipStream_tbPNSt15iterator_traitsISG_E10value_typeEPNSM_ISH_E10value_typeEPSI_NS1_7vsmem_tEENKUlT_SG_SH_SI_E_clIS7_S7_S7_SB_EESF_SV_SG_SH_SI_EUlSV_E1_NS1_11comp_targetILNS1_3genE0ELNS1_11target_archE4294967295ELNS1_3gpuE0ELNS1_3repE0EEENS1_36merge_oddeven_config_static_selectorELNS0_4arch9wavefront6targetE1EEEvSH_
	.globl	_ZN7rocprim17ROCPRIM_400000_NS6detail17trampoline_kernelINS0_14default_configENS1_38merge_sort_block_merge_config_selectorIllEEZZNS1_27merge_sort_block_merge_implIS3_PlN6thrust23THRUST_200600_302600_NS10device_ptrIlEEjNS1_19radix_merge_compareILb0ELb0ElNS0_19identity_decomposerEEEEE10hipError_tT0_T1_T2_jT3_P12ihipStream_tbPNSt15iterator_traitsISG_E10value_typeEPNSM_ISH_E10value_typeEPSI_NS1_7vsmem_tEENKUlT_SG_SH_SI_E_clIS7_S7_S7_SB_EESF_SV_SG_SH_SI_EUlSV_E1_NS1_11comp_targetILNS1_3genE0ELNS1_11target_archE4294967295ELNS1_3gpuE0ELNS1_3repE0EEENS1_36merge_oddeven_config_static_selectorELNS0_4arch9wavefront6targetE1EEEvSH_
	.p2align	8
	.type	_ZN7rocprim17ROCPRIM_400000_NS6detail17trampoline_kernelINS0_14default_configENS1_38merge_sort_block_merge_config_selectorIllEEZZNS1_27merge_sort_block_merge_implIS3_PlN6thrust23THRUST_200600_302600_NS10device_ptrIlEEjNS1_19radix_merge_compareILb0ELb0ElNS0_19identity_decomposerEEEEE10hipError_tT0_T1_T2_jT3_P12ihipStream_tbPNSt15iterator_traitsISG_E10value_typeEPNSM_ISH_E10value_typeEPSI_NS1_7vsmem_tEENKUlT_SG_SH_SI_E_clIS7_S7_S7_SB_EESF_SV_SG_SH_SI_EUlSV_E1_NS1_11comp_targetILNS1_3genE0ELNS1_11target_archE4294967295ELNS1_3gpuE0ELNS1_3repE0EEENS1_36merge_oddeven_config_static_selectorELNS0_4arch9wavefront6targetE1EEEvSH_,@function
_ZN7rocprim17ROCPRIM_400000_NS6detail17trampoline_kernelINS0_14default_configENS1_38merge_sort_block_merge_config_selectorIllEEZZNS1_27merge_sort_block_merge_implIS3_PlN6thrust23THRUST_200600_302600_NS10device_ptrIlEEjNS1_19radix_merge_compareILb0ELb0ElNS0_19identity_decomposerEEEEE10hipError_tT0_T1_T2_jT3_P12ihipStream_tbPNSt15iterator_traitsISG_E10value_typeEPNSM_ISH_E10value_typeEPSI_NS1_7vsmem_tEENKUlT_SG_SH_SI_E_clIS7_S7_S7_SB_EESF_SV_SG_SH_SI_EUlSV_E1_NS1_11comp_targetILNS1_3genE0ELNS1_11target_archE4294967295ELNS1_3gpuE0ELNS1_3repE0EEENS1_36merge_oddeven_config_static_selectorELNS0_4arch9wavefront6targetE1EEEvSH_: ; @_ZN7rocprim17ROCPRIM_400000_NS6detail17trampoline_kernelINS0_14default_configENS1_38merge_sort_block_merge_config_selectorIllEEZZNS1_27merge_sort_block_merge_implIS3_PlN6thrust23THRUST_200600_302600_NS10device_ptrIlEEjNS1_19radix_merge_compareILb0ELb0ElNS0_19identity_decomposerEEEEE10hipError_tT0_T1_T2_jT3_P12ihipStream_tbPNSt15iterator_traitsISG_E10value_typeEPNSM_ISH_E10value_typeEPSI_NS1_7vsmem_tEENKUlT_SG_SH_SI_E_clIS7_S7_S7_SB_EESF_SV_SG_SH_SI_EUlSV_E1_NS1_11comp_targetILNS1_3genE0ELNS1_11target_archE4294967295ELNS1_3gpuE0ELNS1_3repE0EEENS1_36merge_oddeven_config_static_selectorELNS0_4arch9wavefront6targetE1EEEvSH_
; %bb.0:
	.section	.rodata,"a",@progbits
	.p2align	6, 0x0
	.amdhsa_kernel _ZN7rocprim17ROCPRIM_400000_NS6detail17trampoline_kernelINS0_14default_configENS1_38merge_sort_block_merge_config_selectorIllEEZZNS1_27merge_sort_block_merge_implIS3_PlN6thrust23THRUST_200600_302600_NS10device_ptrIlEEjNS1_19radix_merge_compareILb0ELb0ElNS0_19identity_decomposerEEEEE10hipError_tT0_T1_T2_jT3_P12ihipStream_tbPNSt15iterator_traitsISG_E10value_typeEPNSM_ISH_E10value_typeEPSI_NS1_7vsmem_tEENKUlT_SG_SH_SI_E_clIS7_S7_S7_SB_EESF_SV_SG_SH_SI_EUlSV_E1_NS1_11comp_targetILNS1_3genE0ELNS1_11target_archE4294967295ELNS1_3gpuE0ELNS1_3repE0EEENS1_36merge_oddeven_config_static_selectorELNS0_4arch9wavefront6targetE1EEEvSH_
		.amdhsa_group_segment_fixed_size 0
		.amdhsa_private_segment_fixed_size 0
		.amdhsa_kernarg_size 48
		.amdhsa_user_sgpr_count 6
		.amdhsa_user_sgpr_private_segment_buffer 1
		.amdhsa_user_sgpr_dispatch_ptr 0
		.amdhsa_user_sgpr_queue_ptr 0
		.amdhsa_user_sgpr_kernarg_segment_ptr 1
		.amdhsa_user_sgpr_dispatch_id 0
		.amdhsa_user_sgpr_flat_scratch_init 0
		.amdhsa_user_sgpr_kernarg_preload_length 0
		.amdhsa_user_sgpr_kernarg_preload_offset 0
		.amdhsa_user_sgpr_private_segment_size 0
		.amdhsa_uses_dynamic_stack 0
		.amdhsa_system_sgpr_private_segment_wavefront_offset 0
		.amdhsa_system_sgpr_workgroup_id_x 1
		.amdhsa_system_sgpr_workgroup_id_y 0
		.amdhsa_system_sgpr_workgroup_id_z 0
		.amdhsa_system_sgpr_workgroup_info 0
		.amdhsa_system_vgpr_workitem_id 0
		.amdhsa_next_free_vgpr 1
		.amdhsa_next_free_sgpr 0
		.amdhsa_accum_offset 4
		.amdhsa_reserve_vcc 0
		.amdhsa_reserve_flat_scratch 0
		.amdhsa_float_round_mode_32 0
		.amdhsa_float_round_mode_16_64 0
		.amdhsa_float_denorm_mode_32 3
		.amdhsa_float_denorm_mode_16_64 3
		.amdhsa_dx10_clamp 1
		.amdhsa_ieee_mode 1
		.amdhsa_fp16_overflow 0
		.amdhsa_tg_split 0
		.amdhsa_exception_fp_ieee_invalid_op 0
		.amdhsa_exception_fp_denorm_src 0
		.amdhsa_exception_fp_ieee_div_zero 0
		.amdhsa_exception_fp_ieee_overflow 0
		.amdhsa_exception_fp_ieee_underflow 0
		.amdhsa_exception_fp_ieee_inexact 0
		.amdhsa_exception_int_div_zero 0
	.end_amdhsa_kernel
	.section	.text._ZN7rocprim17ROCPRIM_400000_NS6detail17trampoline_kernelINS0_14default_configENS1_38merge_sort_block_merge_config_selectorIllEEZZNS1_27merge_sort_block_merge_implIS3_PlN6thrust23THRUST_200600_302600_NS10device_ptrIlEEjNS1_19radix_merge_compareILb0ELb0ElNS0_19identity_decomposerEEEEE10hipError_tT0_T1_T2_jT3_P12ihipStream_tbPNSt15iterator_traitsISG_E10value_typeEPNSM_ISH_E10value_typeEPSI_NS1_7vsmem_tEENKUlT_SG_SH_SI_E_clIS7_S7_S7_SB_EESF_SV_SG_SH_SI_EUlSV_E1_NS1_11comp_targetILNS1_3genE0ELNS1_11target_archE4294967295ELNS1_3gpuE0ELNS1_3repE0EEENS1_36merge_oddeven_config_static_selectorELNS0_4arch9wavefront6targetE1EEEvSH_,"axG",@progbits,_ZN7rocprim17ROCPRIM_400000_NS6detail17trampoline_kernelINS0_14default_configENS1_38merge_sort_block_merge_config_selectorIllEEZZNS1_27merge_sort_block_merge_implIS3_PlN6thrust23THRUST_200600_302600_NS10device_ptrIlEEjNS1_19radix_merge_compareILb0ELb0ElNS0_19identity_decomposerEEEEE10hipError_tT0_T1_T2_jT3_P12ihipStream_tbPNSt15iterator_traitsISG_E10value_typeEPNSM_ISH_E10value_typeEPSI_NS1_7vsmem_tEENKUlT_SG_SH_SI_E_clIS7_S7_S7_SB_EESF_SV_SG_SH_SI_EUlSV_E1_NS1_11comp_targetILNS1_3genE0ELNS1_11target_archE4294967295ELNS1_3gpuE0ELNS1_3repE0EEENS1_36merge_oddeven_config_static_selectorELNS0_4arch9wavefront6targetE1EEEvSH_,comdat
.Lfunc_end1026:
	.size	_ZN7rocprim17ROCPRIM_400000_NS6detail17trampoline_kernelINS0_14default_configENS1_38merge_sort_block_merge_config_selectorIllEEZZNS1_27merge_sort_block_merge_implIS3_PlN6thrust23THRUST_200600_302600_NS10device_ptrIlEEjNS1_19radix_merge_compareILb0ELb0ElNS0_19identity_decomposerEEEEE10hipError_tT0_T1_T2_jT3_P12ihipStream_tbPNSt15iterator_traitsISG_E10value_typeEPNSM_ISH_E10value_typeEPSI_NS1_7vsmem_tEENKUlT_SG_SH_SI_E_clIS7_S7_S7_SB_EESF_SV_SG_SH_SI_EUlSV_E1_NS1_11comp_targetILNS1_3genE0ELNS1_11target_archE4294967295ELNS1_3gpuE0ELNS1_3repE0EEENS1_36merge_oddeven_config_static_selectorELNS0_4arch9wavefront6targetE1EEEvSH_, .Lfunc_end1026-_ZN7rocprim17ROCPRIM_400000_NS6detail17trampoline_kernelINS0_14default_configENS1_38merge_sort_block_merge_config_selectorIllEEZZNS1_27merge_sort_block_merge_implIS3_PlN6thrust23THRUST_200600_302600_NS10device_ptrIlEEjNS1_19radix_merge_compareILb0ELb0ElNS0_19identity_decomposerEEEEE10hipError_tT0_T1_T2_jT3_P12ihipStream_tbPNSt15iterator_traitsISG_E10value_typeEPNSM_ISH_E10value_typeEPSI_NS1_7vsmem_tEENKUlT_SG_SH_SI_E_clIS7_S7_S7_SB_EESF_SV_SG_SH_SI_EUlSV_E1_NS1_11comp_targetILNS1_3genE0ELNS1_11target_archE4294967295ELNS1_3gpuE0ELNS1_3repE0EEENS1_36merge_oddeven_config_static_selectorELNS0_4arch9wavefront6targetE1EEEvSH_
                                        ; -- End function
	.section	.AMDGPU.csdata,"",@progbits
; Kernel info:
; codeLenInByte = 0
; NumSgprs: 4
; NumVgprs: 0
; NumAgprs: 0
; TotalNumVgprs: 0
; ScratchSize: 0
; MemoryBound: 0
; FloatMode: 240
; IeeeMode: 1
; LDSByteSize: 0 bytes/workgroup (compile time only)
; SGPRBlocks: 0
; VGPRBlocks: 0
; NumSGPRsForWavesPerEU: 4
; NumVGPRsForWavesPerEU: 1
; AccumOffset: 4
; Occupancy: 8
; WaveLimiterHint : 0
; COMPUTE_PGM_RSRC2:SCRATCH_EN: 0
; COMPUTE_PGM_RSRC2:USER_SGPR: 6
; COMPUTE_PGM_RSRC2:TRAP_HANDLER: 0
; COMPUTE_PGM_RSRC2:TGID_X_EN: 1
; COMPUTE_PGM_RSRC2:TGID_Y_EN: 0
; COMPUTE_PGM_RSRC2:TGID_Z_EN: 0
; COMPUTE_PGM_RSRC2:TIDIG_COMP_CNT: 0
; COMPUTE_PGM_RSRC3_GFX90A:ACCUM_OFFSET: 0
; COMPUTE_PGM_RSRC3_GFX90A:TG_SPLIT: 0
	.section	.text._ZN7rocprim17ROCPRIM_400000_NS6detail17trampoline_kernelINS0_14default_configENS1_38merge_sort_block_merge_config_selectorIllEEZZNS1_27merge_sort_block_merge_implIS3_PlN6thrust23THRUST_200600_302600_NS10device_ptrIlEEjNS1_19radix_merge_compareILb0ELb0ElNS0_19identity_decomposerEEEEE10hipError_tT0_T1_T2_jT3_P12ihipStream_tbPNSt15iterator_traitsISG_E10value_typeEPNSM_ISH_E10value_typeEPSI_NS1_7vsmem_tEENKUlT_SG_SH_SI_E_clIS7_S7_S7_SB_EESF_SV_SG_SH_SI_EUlSV_E1_NS1_11comp_targetILNS1_3genE10ELNS1_11target_archE1201ELNS1_3gpuE5ELNS1_3repE0EEENS1_36merge_oddeven_config_static_selectorELNS0_4arch9wavefront6targetE1EEEvSH_,"axG",@progbits,_ZN7rocprim17ROCPRIM_400000_NS6detail17trampoline_kernelINS0_14default_configENS1_38merge_sort_block_merge_config_selectorIllEEZZNS1_27merge_sort_block_merge_implIS3_PlN6thrust23THRUST_200600_302600_NS10device_ptrIlEEjNS1_19radix_merge_compareILb0ELb0ElNS0_19identity_decomposerEEEEE10hipError_tT0_T1_T2_jT3_P12ihipStream_tbPNSt15iterator_traitsISG_E10value_typeEPNSM_ISH_E10value_typeEPSI_NS1_7vsmem_tEENKUlT_SG_SH_SI_E_clIS7_S7_S7_SB_EESF_SV_SG_SH_SI_EUlSV_E1_NS1_11comp_targetILNS1_3genE10ELNS1_11target_archE1201ELNS1_3gpuE5ELNS1_3repE0EEENS1_36merge_oddeven_config_static_selectorELNS0_4arch9wavefront6targetE1EEEvSH_,comdat
	.protected	_ZN7rocprim17ROCPRIM_400000_NS6detail17trampoline_kernelINS0_14default_configENS1_38merge_sort_block_merge_config_selectorIllEEZZNS1_27merge_sort_block_merge_implIS3_PlN6thrust23THRUST_200600_302600_NS10device_ptrIlEEjNS1_19radix_merge_compareILb0ELb0ElNS0_19identity_decomposerEEEEE10hipError_tT0_T1_T2_jT3_P12ihipStream_tbPNSt15iterator_traitsISG_E10value_typeEPNSM_ISH_E10value_typeEPSI_NS1_7vsmem_tEENKUlT_SG_SH_SI_E_clIS7_S7_S7_SB_EESF_SV_SG_SH_SI_EUlSV_E1_NS1_11comp_targetILNS1_3genE10ELNS1_11target_archE1201ELNS1_3gpuE5ELNS1_3repE0EEENS1_36merge_oddeven_config_static_selectorELNS0_4arch9wavefront6targetE1EEEvSH_ ; -- Begin function _ZN7rocprim17ROCPRIM_400000_NS6detail17trampoline_kernelINS0_14default_configENS1_38merge_sort_block_merge_config_selectorIllEEZZNS1_27merge_sort_block_merge_implIS3_PlN6thrust23THRUST_200600_302600_NS10device_ptrIlEEjNS1_19radix_merge_compareILb0ELb0ElNS0_19identity_decomposerEEEEE10hipError_tT0_T1_T2_jT3_P12ihipStream_tbPNSt15iterator_traitsISG_E10value_typeEPNSM_ISH_E10value_typeEPSI_NS1_7vsmem_tEENKUlT_SG_SH_SI_E_clIS7_S7_S7_SB_EESF_SV_SG_SH_SI_EUlSV_E1_NS1_11comp_targetILNS1_3genE10ELNS1_11target_archE1201ELNS1_3gpuE5ELNS1_3repE0EEENS1_36merge_oddeven_config_static_selectorELNS0_4arch9wavefront6targetE1EEEvSH_
	.globl	_ZN7rocprim17ROCPRIM_400000_NS6detail17trampoline_kernelINS0_14default_configENS1_38merge_sort_block_merge_config_selectorIllEEZZNS1_27merge_sort_block_merge_implIS3_PlN6thrust23THRUST_200600_302600_NS10device_ptrIlEEjNS1_19radix_merge_compareILb0ELb0ElNS0_19identity_decomposerEEEEE10hipError_tT0_T1_T2_jT3_P12ihipStream_tbPNSt15iterator_traitsISG_E10value_typeEPNSM_ISH_E10value_typeEPSI_NS1_7vsmem_tEENKUlT_SG_SH_SI_E_clIS7_S7_S7_SB_EESF_SV_SG_SH_SI_EUlSV_E1_NS1_11comp_targetILNS1_3genE10ELNS1_11target_archE1201ELNS1_3gpuE5ELNS1_3repE0EEENS1_36merge_oddeven_config_static_selectorELNS0_4arch9wavefront6targetE1EEEvSH_
	.p2align	8
	.type	_ZN7rocprim17ROCPRIM_400000_NS6detail17trampoline_kernelINS0_14default_configENS1_38merge_sort_block_merge_config_selectorIllEEZZNS1_27merge_sort_block_merge_implIS3_PlN6thrust23THRUST_200600_302600_NS10device_ptrIlEEjNS1_19radix_merge_compareILb0ELb0ElNS0_19identity_decomposerEEEEE10hipError_tT0_T1_T2_jT3_P12ihipStream_tbPNSt15iterator_traitsISG_E10value_typeEPNSM_ISH_E10value_typeEPSI_NS1_7vsmem_tEENKUlT_SG_SH_SI_E_clIS7_S7_S7_SB_EESF_SV_SG_SH_SI_EUlSV_E1_NS1_11comp_targetILNS1_3genE10ELNS1_11target_archE1201ELNS1_3gpuE5ELNS1_3repE0EEENS1_36merge_oddeven_config_static_selectorELNS0_4arch9wavefront6targetE1EEEvSH_,@function
_ZN7rocprim17ROCPRIM_400000_NS6detail17trampoline_kernelINS0_14default_configENS1_38merge_sort_block_merge_config_selectorIllEEZZNS1_27merge_sort_block_merge_implIS3_PlN6thrust23THRUST_200600_302600_NS10device_ptrIlEEjNS1_19radix_merge_compareILb0ELb0ElNS0_19identity_decomposerEEEEE10hipError_tT0_T1_T2_jT3_P12ihipStream_tbPNSt15iterator_traitsISG_E10value_typeEPNSM_ISH_E10value_typeEPSI_NS1_7vsmem_tEENKUlT_SG_SH_SI_E_clIS7_S7_S7_SB_EESF_SV_SG_SH_SI_EUlSV_E1_NS1_11comp_targetILNS1_3genE10ELNS1_11target_archE1201ELNS1_3gpuE5ELNS1_3repE0EEENS1_36merge_oddeven_config_static_selectorELNS0_4arch9wavefront6targetE1EEEvSH_: ; @_ZN7rocprim17ROCPRIM_400000_NS6detail17trampoline_kernelINS0_14default_configENS1_38merge_sort_block_merge_config_selectorIllEEZZNS1_27merge_sort_block_merge_implIS3_PlN6thrust23THRUST_200600_302600_NS10device_ptrIlEEjNS1_19radix_merge_compareILb0ELb0ElNS0_19identity_decomposerEEEEE10hipError_tT0_T1_T2_jT3_P12ihipStream_tbPNSt15iterator_traitsISG_E10value_typeEPNSM_ISH_E10value_typeEPSI_NS1_7vsmem_tEENKUlT_SG_SH_SI_E_clIS7_S7_S7_SB_EESF_SV_SG_SH_SI_EUlSV_E1_NS1_11comp_targetILNS1_3genE10ELNS1_11target_archE1201ELNS1_3gpuE5ELNS1_3repE0EEENS1_36merge_oddeven_config_static_selectorELNS0_4arch9wavefront6targetE1EEEvSH_
; %bb.0:
	.section	.rodata,"a",@progbits
	.p2align	6, 0x0
	.amdhsa_kernel _ZN7rocprim17ROCPRIM_400000_NS6detail17trampoline_kernelINS0_14default_configENS1_38merge_sort_block_merge_config_selectorIllEEZZNS1_27merge_sort_block_merge_implIS3_PlN6thrust23THRUST_200600_302600_NS10device_ptrIlEEjNS1_19radix_merge_compareILb0ELb0ElNS0_19identity_decomposerEEEEE10hipError_tT0_T1_T2_jT3_P12ihipStream_tbPNSt15iterator_traitsISG_E10value_typeEPNSM_ISH_E10value_typeEPSI_NS1_7vsmem_tEENKUlT_SG_SH_SI_E_clIS7_S7_S7_SB_EESF_SV_SG_SH_SI_EUlSV_E1_NS1_11comp_targetILNS1_3genE10ELNS1_11target_archE1201ELNS1_3gpuE5ELNS1_3repE0EEENS1_36merge_oddeven_config_static_selectorELNS0_4arch9wavefront6targetE1EEEvSH_
		.amdhsa_group_segment_fixed_size 0
		.amdhsa_private_segment_fixed_size 0
		.amdhsa_kernarg_size 48
		.amdhsa_user_sgpr_count 6
		.amdhsa_user_sgpr_private_segment_buffer 1
		.amdhsa_user_sgpr_dispatch_ptr 0
		.amdhsa_user_sgpr_queue_ptr 0
		.amdhsa_user_sgpr_kernarg_segment_ptr 1
		.amdhsa_user_sgpr_dispatch_id 0
		.amdhsa_user_sgpr_flat_scratch_init 0
		.amdhsa_user_sgpr_kernarg_preload_length 0
		.amdhsa_user_sgpr_kernarg_preload_offset 0
		.amdhsa_user_sgpr_private_segment_size 0
		.amdhsa_uses_dynamic_stack 0
		.amdhsa_system_sgpr_private_segment_wavefront_offset 0
		.amdhsa_system_sgpr_workgroup_id_x 1
		.amdhsa_system_sgpr_workgroup_id_y 0
		.amdhsa_system_sgpr_workgroup_id_z 0
		.amdhsa_system_sgpr_workgroup_info 0
		.amdhsa_system_vgpr_workitem_id 0
		.amdhsa_next_free_vgpr 1
		.amdhsa_next_free_sgpr 0
		.amdhsa_accum_offset 4
		.amdhsa_reserve_vcc 0
		.amdhsa_reserve_flat_scratch 0
		.amdhsa_float_round_mode_32 0
		.amdhsa_float_round_mode_16_64 0
		.amdhsa_float_denorm_mode_32 3
		.amdhsa_float_denorm_mode_16_64 3
		.amdhsa_dx10_clamp 1
		.amdhsa_ieee_mode 1
		.amdhsa_fp16_overflow 0
		.amdhsa_tg_split 0
		.amdhsa_exception_fp_ieee_invalid_op 0
		.amdhsa_exception_fp_denorm_src 0
		.amdhsa_exception_fp_ieee_div_zero 0
		.amdhsa_exception_fp_ieee_overflow 0
		.amdhsa_exception_fp_ieee_underflow 0
		.amdhsa_exception_fp_ieee_inexact 0
		.amdhsa_exception_int_div_zero 0
	.end_amdhsa_kernel
	.section	.text._ZN7rocprim17ROCPRIM_400000_NS6detail17trampoline_kernelINS0_14default_configENS1_38merge_sort_block_merge_config_selectorIllEEZZNS1_27merge_sort_block_merge_implIS3_PlN6thrust23THRUST_200600_302600_NS10device_ptrIlEEjNS1_19radix_merge_compareILb0ELb0ElNS0_19identity_decomposerEEEEE10hipError_tT0_T1_T2_jT3_P12ihipStream_tbPNSt15iterator_traitsISG_E10value_typeEPNSM_ISH_E10value_typeEPSI_NS1_7vsmem_tEENKUlT_SG_SH_SI_E_clIS7_S7_S7_SB_EESF_SV_SG_SH_SI_EUlSV_E1_NS1_11comp_targetILNS1_3genE10ELNS1_11target_archE1201ELNS1_3gpuE5ELNS1_3repE0EEENS1_36merge_oddeven_config_static_selectorELNS0_4arch9wavefront6targetE1EEEvSH_,"axG",@progbits,_ZN7rocprim17ROCPRIM_400000_NS6detail17trampoline_kernelINS0_14default_configENS1_38merge_sort_block_merge_config_selectorIllEEZZNS1_27merge_sort_block_merge_implIS3_PlN6thrust23THRUST_200600_302600_NS10device_ptrIlEEjNS1_19radix_merge_compareILb0ELb0ElNS0_19identity_decomposerEEEEE10hipError_tT0_T1_T2_jT3_P12ihipStream_tbPNSt15iterator_traitsISG_E10value_typeEPNSM_ISH_E10value_typeEPSI_NS1_7vsmem_tEENKUlT_SG_SH_SI_E_clIS7_S7_S7_SB_EESF_SV_SG_SH_SI_EUlSV_E1_NS1_11comp_targetILNS1_3genE10ELNS1_11target_archE1201ELNS1_3gpuE5ELNS1_3repE0EEENS1_36merge_oddeven_config_static_selectorELNS0_4arch9wavefront6targetE1EEEvSH_,comdat
.Lfunc_end1027:
	.size	_ZN7rocprim17ROCPRIM_400000_NS6detail17trampoline_kernelINS0_14default_configENS1_38merge_sort_block_merge_config_selectorIllEEZZNS1_27merge_sort_block_merge_implIS3_PlN6thrust23THRUST_200600_302600_NS10device_ptrIlEEjNS1_19radix_merge_compareILb0ELb0ElNS0_19identity_decomposerEEEEE10hipError_tT0_T1_T2_jT3_P12ihipStream_tbPNSt15iterator_traitsISG_E10value_typeEPNSM_ISH_E10value_typeEPSI_NS1_7vsmem_tEENKUlT_SG_SH_SI_E_clIS7_S7_S7_SB_EESF_SV_SG_SH_SI_EUlSV_E1_NS1_11comp_targetILNS1_3genE10ELNS1_11target_archE1201ELNS1_3gpuE5ELNS1_3repE0EEENS1_36merge_oddeven_config_static_selectorELNS0_4arch9wavefront6targetE1EEEvSH_, .Lfunc_end1027-_ZN7rocprim17ROCPRIM_400000_NS6detail17trampoline_kernelINS0_14default_configENS1_38merge_sort_block_merge_config_selectorIllEEZZNS1_27merge_sort_block_merge_implIS3_PlN6thrust23THRUST_200600_302600_NS10device_ptrIlEEjNS1_19radix_merge_compareILb0ELb0ElNS0_19identity_decomposerEEEEE10hipError_tT0_T1_T2_jT3_P12ihipStream_tbPNSt15iterator_traitsISG_E10value_typeEPNSM_ISH_E10value_typeEPSI_NS1_7vsmem_tEENKUlT_SG_SH_SI_E_clIS7_S7_S7_SB_EESF_SV_SG_SH_SI_EUlSV_E1_NS1_11comp_targetILNS1_3genE10ELNS1_11target_archE1201ELNS1_3gpuE5ELNS1_3repE0EEENS1_36merge_oddeven_config_static_selectorELNS0_4arch9wavefront6targetE1EEEvSH_
                                        ; -- End function
	.section	.AMDGPU.csdata,"",@progbits
; Kernel info:
; codeLenInByte = 0
; NumSgprs: 4
; NumVgprs: 0
; NumAgprs: 0
; TotalNumVgprs: 0
; ScratchSize: 0
; MemoryBound: 0
; FloatMode: 240
; IeeeMode: 1
; LDSByteSize: 0 bytes/workgroup (compile time only)
; SGPRBlocks: 0
; VGPRBlocks: 0
; NumSGPRsForWavesPerEU: 4
; NumVGPRsForWavesPerEU: 1
; AccumOffset: 4
; Occupancy: 8
; WaveLimiterHint : 0
; COMPUTE_PGM_RSRC2:SCRATCH_EN: 0
; COMPUTE_PGM_RSRC2:USER_SGPR: 6
; COMPUTE_PGM_RSRC2:TRAP_HANDLER: 0
; COMPUTE_PGM_RSRC2:TGID_X_EN: 1
; COMPUTE_PGM_RSRC2:TGID_Y_EN: 0
; COMPUTE_PGM_RSRC2:TGID_Z_EN: 0
; COMPUTE_PGM_RSRC2:TIDIG_COMP_CNT: 0
; COMPUTE_PGM_RSRC3_GFX90A:ACCUM_OFFSET: 0
; COMPUTE_PGM_RSRC3_GFX90A:TG_SPLIT: 0
	.section	.text._ZN7rocprim17ROCPRIM_400000_NS6detail17trampoline_kernelINS0_14default_configENS1_38merge_sort_block_merge_config_selectorIllEEZZNS1_27merge_sort_block_merge_implIS3_PlN6thrust23THRUST_200600_302600_NS10device_ptrIlEEjNS1_19radix_merge_compareILb0ELb0ElNS0_19identity_decomposerEEEEE10hipError_tT0_T1_T2_jT3_P12ihipStream_tbPNSt15iterator_traitsISG_E10value_typeEPNSM_ISH_E10value_typeEPSI_NS1_7vsmem_tEENKUlT_SG_SH_SI_E_clIS7_S7_S7_SB_EESF_SV_SG_SH_SI_EUlSV_E1_NS1_11comp_targetILNS1_3genE5ELNS1_11target_archE942ELNS1_3gpuE9ELNS1_3repE0EEENS1_36merge_oddeven_config_static_selectorELNS0_4arch9wavefront6targetE1EEEvSH_,"axG",@progbits,_ZN7rocprim17ROCPRIM_400000_NS6detail17trampoline_kernelINS0_14default_configENS1_38merge_sort_block_merge_config_selectorIllEEZZNS1_27merge_sort_block_merge_implIS3_PlN6thrust23THRUST_200600_302600_NS10device_ptrIlEEjNS1_19radix_merge_compareILb0ELb0ElNS0_19identity_decomposerEEEEE10hipError_tT0_T1_T2_jT3_P12ihipStream_tbPNSt15iterator_traitsISG_E10value_typeEPNSM_ISH_E10value_typeEPSI_NS1_7vsmem_tEENKUlT_SG_SH_SI_E_clIS7_S7_S7_SB_EESF_SV_SG_SH_SI_EUlSV_E1_NS1_11comp_targetILNS1_3genE5ELNS1_11target_archE942ELNS1_3gpuE9ELNS1_3repE0EEENS1_36merge_oddeven_config_static_selectorELNS0_4arch9wavefront6targetE1EEEvSH_,comdat
	.protected	_ZN7rocprim17ROCPRIM_400000_NS6detail17trampoline_kernelINS0_14default_configENS1_38merge_sort_block_merge_config_selectorIllEEZZNS1_27merge_sort_block_merge_implIS3_PlN6thrust23THRUST_200600_302600_NS10device_ptrIlEEjNS1_19radix_merge_compareILb0ELb0ElNS0_19identity_decomposerEEEEE10hipError_tT0_T1_T2_jT3_P12ihipStream_tbPNSt15iterator_traitsISG_E10value_typeEPNSM_ISH_E10value_typeEPSI_NS1_7vsmem_tEENKUlT_SG_SH_SI_E_clIS7_S7_S7_SB_EESF_SV_SG_SH_SI_EUlSV_E1_NS1_11comp_targetILNS1_3genE5ELNS1_11target_archE942ELNS1_3gpuE9ELNS1_3repE0EEENS1_36merge_oddeven_config_static_selectorELNS0_4arch9wavefront6targetE1EEEvSH_ ; -- Begin function _ZN7rocprim17ROCPRIM_400000_NS6detail17trampoline_kernelINS0_14default_configENS1_38merge_sort_block_merge_config_selectorIllEEZZNS1_27merge_sort_block_merge_implIS3_PlN6thrust23THRUST_200600_302600_NS10device_ptrIlEEjNS1_19radix_merge_compareILb0ELb0ElNS0_19identity_decomposerEEEEE10hipError_tT0_T1_T2_jT3_P12ihipStream_tbPNSt15iterator_traitsISG_E10value_typeEPNSM_ISH_E10value_typeEPSI_NS1_7vsmem_tEENKUlT_SG_SH_SI_E_clIS7_S7_S7_SB_EESF_SV_SG_SH_SI_EUlSV_E1_NS1_11comp_targetILNS1_3genE5ELNS1_11target_archE942ELNS1_3gpuE9ELNS1_3repE0EEENS1_36merge_oddeven_config_static_selectorELNS0_4arch9wavefront6targetE1EEEvSH_
	.globl	_ZN7rocprim17ROCPRIM_400000_NS6detail17trampoline_kernelINS0_14default_configENS1_38merge_sort_block_merge_config_selectorIllEEZZNS1_27merge_sort_block_merge_implIS3_PlN6thrust23THRUST_200600_302600_NS10device_ptrIlEEjNS1_19radix_merge_compareILb0ELb0ElNS0_19identity_decomposerEEEEE10hipError_tT0_T1_T2_jT3_P12ihipStream_tbPNSt15iterator_traitsISG_E10value_typeEPNSM_ISH_E10value_typeEPSI_NS1_7vsmem_tEENKUlT_SG_SH_SI_E_clIS7_S7_S7_SB_EESF_SV_SG_SH_SI_EUlSV_E1_NS1_11comp_targetILNS1_3genE5ELNS1_11target_archE942ELNS1_3gpuE9ELNS1_3repE0EEENS1_36merge_oddeven_config_static_selectorELNS0_4arch9wavefront6targetE1EEEvSH_
	.p2align	8
	.type	_ZN7rocprim17ROCPRIM_400000_NS6detail17trampoline_kernelINS0_14default_configENS1_38merge_sort_block_merge_config_selectorIllEEZZNS1_27merge_sort_block_merge_implIS3_PlN6thrust23THRUST_200600_302600_NS10device_ptrIlEEjNS1_19radix_merge_compareILb0ELb0ElNS0_19identity_decomposerEEEEE10hipError_tT0_T1_T2_jT3_P12ihipStream_tbPNSt15iterator_traitsISG_E10value_typeEPNSM_ISH_E10value_typeEPSI_NS1_7vsmem_tEENKUlT_SG_SH_SI_E_clIS7_S7_S7_SB_EESF_SV_SG_SH_SI_EUlSV_E1_NS1_11comp_targetILNS1_3genE5ELNS1_11target_archE942ELNS1_3gpuE9ELNS1_3repE0EEENS1_36merge_oddeven_config_static_selectorELNS0_4arch9wavefront6targetE1EEEvSH_,@function
_ZN7rocprim17ROCPRIM_400000_NS6detail17trampoline_kernelINS0_14default_configENS1_38merge_sort_block_merge_config_selectorIllEEZZNS1_27merge_sort_block_merge_implIS3_PlN6thrust23THRUST_200600_302600_NS10device_ptrIlEEjNS1_19radix_merge_compareILb0ELb0ElNS0_19identity_decomposerEEEEE10hipError_tT0_T1_T2_jT3_P12ihipStream_tbPNSt15iterator_traitsISG_E10value_typeEPNSM_ISH_E10value_typeEPSI_NS1_7vsmem_tEENKUlT_SG_SH_SI_E_clIS7_S7_S7_SB_EESF_SV_SG_SH_SI_EUlSV_E1_NS1_11comp_targetILNS1_3genE5ELNS1_11target_archE942ELNS1_3gpuE9ELNS1_3repE0EEENS1_36merge_oddeven_config_static_selectorELNS0_4arch9wavefront6targetE1EEEvSH_: ; @_ZN7rocprim17ROCPRIM_400000_NS6detail17trampoline_kernelINS0_14default_configENS1_38merge_sort_block_merge_config_selectorIllEEZZNS1_27merge_sort_block_merge_implIS3_PlN6thrust23THRUST_200600_302600_NS10device_ptrIlEEjNS1_19radix_merge_compareILb0ELb0ElNS0_19identity_decomposerEEEEE10hipError_tT0_T1_T2_jT3_P12ihipStream_tbPNSt15iterator_traitsISG_E10value_typeEPNSM_ISH_E10value_typeEPSI_NS1_7vsmem_tEENKUlT_SG_SH_SI_E_clIS7_S7_S7_SB_EESF_SV_SG_SH_SI_EUlSV_E1_NS1_11comp_targetILNS1_3genE5ELNS1_11target_archE942ELNS1_3gpuE9ELNS1_3repE0EEENS1_36merge_oddeven_config_static_selectorELNS0_4arch9wavefront6targetE1EEEvSH_
; %bb.0:
	.section	.rodata,"a",@progbits
	.p2align	6, 0x0
	.amdhsa_kernel _ZN7rocprim17ROCPRIM_400000_NS6detail17trampoline_kernelINS0_14default_configENS1_38merge_sort_block_merge_config_selectorIllEEZZNS1_27merge_sort_block_merge_implIS3_PlN6thrust23THRUST_200600_302600_NS10device_ptrIlEEjNS1_19radix_merge_compareILb0ELb0ElNS0_19identity_decomposerEEEEE10hipError_tT0_T1_T2_jT3_P12ihipStream_tbPNSt15iterator_traitsISG_E10value_typeEPNSM_ISH_E10value_typeEPSI_NS1_7vsmem_tEENKUlT_SG_SH_SI_E_clIS7_S7_S7_SB_EESF_SV_SG_SH_SI_EUlSV_E1_NS1_11comp_targetILNS1_3genE5ELNS1_11target_archE942ELNS1_3gpuE9ELNS1_3repE0EEENS1_36merge_oddeven_config_static_selectorELNS0_4arch9wavefront6targetE1EEEvSH_
		.amdhsa_group_segment_fixed_size 0
		.amdhsa_private_segment_fixed_size 0
		.amdhsa_kernarg_size 48
		.amdhsa_user_sgpr_count 6
		.amdhsa_user_sgpr_private_segment_buffer 1
		.amdhsa_user_sgpr_dispatch_ptr 0
		.amdhsa_user_sgpr_queue_ptr 0
		.amdhsa_user_sgpr_kernarg_segment_ptr 1
		.amdhsa_user_sgpr_dispatch_id 0
		.amdhsa_user_sgpr_flat_scratch_init 0
		.amdhsa_user_sgpr_kernarg_preload_length 0
		.amdhsa_user_sgpr_kernarg_preload_offset 0
		.amdhsa_user_sgpr_private_segment_size 0
		.amdhsa_uses_dynamic_stack 0
		.amdhsa_system_sgpr_private_segment_wavefront_offset 0
		.amdhsa_system_sgpr_workgroup_id_x 1
		.amdhsa_system_sgpr_workgroup_id_y 0
		.amdhsa_system_sgpr_workgroup_id_z 0
		.amdhsa_system_sgpr_workgroup_info 0
		.amdhsa_system_vgpr_workitem_id 0
		.amdhsa_next_free_vgpr 1
		.amdhsa_next_free_sgpr 0
		.amdhsa_accum_offset 4
		.amdhsa_reserve_vcc 0
		.amdhsa_reserve_flat_scratch 0
		.amdhsa_float_round_mode_32 0
		.amdhsa_float_round_mode_16_64 0
		.amdhsa_float_denorm_mode_32 3
		.amdhsa_float_denorm_mode_16_64 3
		.amdhsa_dx10_clamp 1
		.amdhsa_ieee_mode 1
		.amdhsa_fp16_overflow 0
		.amdhsa_tg_split 0
		.amdhsa_exception_fp_ieee_invalid_op 0
		.amdhsa_exception_fp_denorm_src 0
		.amdhsa_exception_fp_ieee_div_zero 0
		.amdhsa_exception_fp_ieee_overflow 0
		.amdhsa_exception_fp_ieee_underflow 0
		.amdhsa_exception_fp_ieee_inexact 0
		.amdhsa_exception_int_div_zero 0
	.end_amdhsa_kernel
	.section	.text._ZN7rocprim17ROCPRIM_400000_NS6detail17trampoline_kernelINS0_14default_configENS1_38merge_sort_block_merge_config_selectorIllEEZZNS1_27merge_sort_block_merge_implIS3_PlN6thrust23THRUST_200600_302600_NS10device_ptrIlEEjNS1_19radix_merge_compareILb0ELb0ElNS0_19identity_decomposerEEEEE10hipError_tT0_T1_T2_jT3_P12ihipStream_tbPNSt15iterator_traitsISG_E10value_typeEPNSM_ISH_E10value_typeEPSI_NS1_7vsmem_tEENKUlT_SG_SH_SI_E_clIS7_S7_S7_SB_EESF_SV_SG_SH_SI_EUlSV_E1_NS1_11comp_targetILNS1_3genE5ELNS1_11target_archE942ELNS1_3gpuE9ELNS1_3repE0EEENS1_36merge_oddeven_config_static_selectorELNS0_4arch9wavefront6targetE1EEEvSH_,"axG",@progbits,_ZN7rocprim17ROCPRIM_400000_NS6detail17trampoline_kernelINS0_14default_configENS1_38merge_sort_block_merge_config_selectorIllEEZZNS1_27merge_sort_block_merge_implIS3_PlN6thrust23THRUST_200600_302600_NS10device_ptrIlEEjNS1_19radix_merge_compareILb0ELb0ElNS0_19identity_decomposerEEEEE10hipError_tT0_T1_T2_jT3_P12ihipStream_tbPNSt15iterator_traitsISG_E10value_typeEPNSM_ISH_E10value_typeEPSI_NS1_7vsmem_tEENKUlT_SG_SH_SI_E_clIS7_S7_S7_SB_EESF_SV_SG_SH_SI_EUlSV_E1_NS1_11comp_targetILNS1_3genE5ELNS1_11target_archE942ELNS1_3gpuE9ELNS1_3repE0EEENS1_36merge_oddeven_config_static_selectorELNS0_4arch9wavefront6targetE1EEEvSH_,comdat
.Lfunc_end1028:
	.size	_ZN7rocprim17ROCPRIM_400000_NS6detail17trampoline_kernelINS0_14default_configENS1_38merge_sort_block_merge_config_selectorIllEEZZNS1_27merge_sort_block_merge_implIS3_PlN6thrust23THRUST_200600_302600_NS10device_ptrIlEEjNS1_19radix_merge_compareILb0ELb0ElNS0_19identity_decomposerEEEEE10hipError_tT0_T1_T2_jT3_P12ihipStream_tbPNSt15iterator_traitsISG_E10value_typeEPNSM_ISH_E10value_typeEPSI_NS1_7vsmem_tEENKUlT_SG_SH_SI_E_clIS7_S7_S7_SB_EESF_SV_SG_SH_SI_EUlSV_E1_NS1_11comp_targetILNS1_3genE5ELNS1_11target_archE942ELNS1_3gpuE9ELNS1_3repE0EEENS1_36merge_oddeven_config_static_selectorELNS0_4arch9wavefront6targetE1EEEvSH_, .Lfunc_end1028-_ZN7rocprim17ROCPRIM_400000_NS6detail17trampoline_kernelINS0_14default_configENS1_38merge_sort_block_merge_config_selectorIllEEZZNS1_27merge_sort_block_merge_implIS3_PlN6thrust23THRUST_200600_302600_NS10device_ptrIlEEjNS1_19radix_merge_compareILb0ELb0ElNS0_19identity_decomposerEEEEE10hipError_tT0_T1_T2_jT3_P12ihipStream_tbPNSt15iterator_traitsISG_E10value_typeEPNSM_ISH_E10value_typeEPSI_NS1_7vsmem_tEENKUlT_SG_SH_SI_E_clIS7_S7_S7_SB_EESF_SV_SG_SH_SI_EUlSV_E1_NS1_11comp_targetILNS1_3genE5ELNS1_11target_archE942ELNS1_3gpuE9ELNS1_3repE0EEENS1_36merge_oddeven_config_static_selectorELNS0_4arch9wavefront6targetE1EEEvSH_
                                        ; -- End function
	.section	.AMDGPU.csdata,"",@progbits
; Kernel info:
; codeLenInByte = 0
; NumSgprs: 4
; NumVgprs: 0
; NumAgprs: 0
; TotalNumVgprs: 0
; ScratchSize: 0
; MemoryBound: 0
; FloatMode: 240
; IeeeMode: 1
; LDSByteSize: 0 bytes/workgroup (compile time only)
; SGPRBlocks: 0
; VGPRBlocks: 0
; NumSGPRsForWavesPerEU: 4
; NumVGPRsForWavesPerEU: 1
; AccumOffset: 4
; Occupancy: 8
; WaveLimiterHint : 0
; COMPUTE_PGM_RSRC2:SCRATCH_EN: 0
; COMPUTE_PGM_RSRC2:USER_SGPR: 6
; COMPUTE_PGM_RSRC2:TRAP_HANDLER: 0
; COMPUTE_PGM_RSRC2:TGID_X_EN: 1
; COMPUTE_PGM_RSRC2:TGID_Y_EN: 0
; COMPUTE_PGM_RSRC2:TGID_Z_EN: 0
; COMPUTE_PGM_RSRC2:TIDIG_COMP_CNT: 0
; COMPUTE_PGM_RSRC3_GFX90A:ACCUM_OFFSET: 0
; COMPUTE_PGM_RSRC3_GFX90A:TG_SPLIT: 0
	.section	.text._ZN7rocprim17ROCPRIM_400000_NS6detail17trampoline_kernelINS0_14default_configENS1_38merge_sort_block_merge_config_selectorIllEEZZNS1_27merge_sort_block_merge_implIS3_PlN6thrust23THRUST_200600_302600_NS10device_ptrIlEEjNS1_19radix_merge_compareILb0ELb0ElNS0_19identity_decomposerEEEEE10hipError_tT0_T1_T2_jT3_P12ihipStream_tbPNSt15iterator_traitsISG_E10value_typeEPNSM_ISH_E10value_typeEPSI_NS1_7vsmem_tEENKUlT_SG_SH_SI_E_clIS7_S7_S7_SB_EESF_SV_SG_SH_SI_EUlSV_E1_NS1_11comp_targetILNS1_3genE4ELNS1_11target_archE910ELNS1_3gpuE8ELNS1_3repE0EEENS1_36merge_oddeven_config_static_selectorELNS0_4arch9wavefront6targetE1EEEvSH_,"axG",@progbits,_ZN7rocprim17ROCPRIM_400000_NS6detail17trampoline_kernelINS0_14default_configENS1_38merge_sort_block_merge_config_selectorIllEEZZNS1_27merge_sort_block_merge_implIS3_PlN6thrust23THRUST_200600_302600_NS10device_ptrIlEEjNS1_19radix_merge_compareILb0ELb0ElNS0_19identity_decomposerEEEEE10hipError_tT0_T1_T2_jT3_P12ihipStream_tbPNSt15iterator_traitsISG_E10value_typeEPNSM_ISH_E10value_typeEPSI_NS1_7vsmem_tEENKUlT_SG_SH_SI_E_clIS7_S7_S7_SB_EESF_SV_SG_SH_SI_EUlSV_E1_NS1_11comp_targetILNS1_3genE4ELNS1_11target_archE910ELNS1_3gpuE8ELNS1_3repE0EEENS1_36merge_oddeven_config_static_selectorELNS0_4arch9wavefront6targetE1EEEvSH_,comdat
	.protected	_ZN7rocprim17ROCPRIM_400000_NS6detail17trampoline_kernelINS0_14default_configENS1_38merge_sort_block_merge_config_selectorIllEEZZNS1_27merge_sort_block_merge_implIS3_PlN6thrust23THRUST_200600_302600_NS10device_ptrIlEEjNS1_19radix_merge_compareILb0ELb0ElNS0_19identity_decomposerEEEEE10hipError_tT0_T1_T2_jT3_P12ihipStream_tbPNSt15iterator_traitsISG_E10value_typeEPNSM_ISH_E10value_typeEPSI_NS1_7vsmem_tEENKUlT_SG_SH_SI_E_clIS7_S7_S7_SB_EESF_SV_SG_SH_SI_EUlSV_E1_NS1_11comp_targetILNS1_3genE4ELNS1_11target_archE910ELNS1_3gpuE8ELNS1_3repE0EEENS1_36merge_oddeven_config_static_selectorELNS0_4arch9wavefront6targetE1EEEvSH_ ; -- Begin function _ZN7rocprim17ROCPRIM_400000_NS6detail17trampoline_kernelINS0_14default_configENS1_38merge_sort_block_merge_config_selectorIllEEZZNS1_27merge_sort_block_merge_implIS3_PlN6thrust23THRUST_200600_302600_NS10device_ptrIlEEjNS1_19radix_merge_compareILb0ELb0ElNS0_19identity_decomposerEEEEE10hipError_tT0_T1_T2_jT3_P12ihipStream_tbPNSt15iterator_traitsISG_E10value_typeEPNSM_ISH_E10value_typeEPSI_NS1_7vsmem_tEENKUlT_SG_SH_SI_E_clIS7_S7_S7_SB_EESF_SV_SG_SH_SI_EUlSV_E1_NS1_11comp_targetILNS1_3genE4ELNS1_11target_archE910ELNS1_3gpuE8ELNS1_3repE0EEENS1_36merge_oddeven_config_static_selectorELNS0_4arch9wavefront6targetE1EEEvSH_
	.globl	_ZN7rocprim17ROCPRIM_400000_NS6detail17trampoline_kernelINS0_14default_configENS1_38merge_sort_block_merge_config_selectorIllEEZZNS1_27merge_sort_block_merge_implIS3_PlN6thrust23THRUST_200600_302600_NS10device_ptrIlEEjNS1_19radix_merge_compareILb0ELb0ElNS0_19identity_decomposerEEEEE10hipError_tT0_T1_T2_jT3_P12ihipStream_tbPNSt15iterator_traitsISG_E10value_typeEPNSM_ISH_E10value_typeEPSI_NS1_7vsmem_tEENKUlT_SG_SH_SI_E_clIS7_S7_S7_SB_EESF_SV_SG_SH_SI_EUlSV_E1_NS1_11comp_targetILNS1_3genE4ELNS1_11target_archE910ELNS1_3gpuE8ELNS1_3repE0EEENS1_36merge_oddeven_config_static_selectorELNS0_4arch9wavefront6targetE1EEEvSH_
	.p2align	8
	.type	_ZN7rocprim17ROCPRIM_400000_NS6detail17trampoline_kernelINS0_14default_configENS1_38merge_sort_block_merge_config_selectorIllEEZZNS1_27merge_sort_block_merge_implIS3_PlN6thrust23THRUST_200600_302600_NS10device_ptrIlEEjNS1_19radix_merge_compareILb0ELb0ElNS0_19identity_decomposerEEEEE10hipError_tT0_T1_T2_jT3_P12ihipStream_tbPNSt15iterator_traitsISG_E10value_typeEPNSM_ISH_E10value_typeEPSI_NS1_7vsmem_tEENKUlT_SG_SH_SI_E_clIS7_S7_S7_SB_EESF_SV_SG_SH_SI_EUlSV_E1_NS1_11comp_targetILNS1_3genE4ELNS1_11target_archE910ELNS1_3gpuE8ELNS1_3repE0EEENS1_36merge_oddeven_config_static_selectorELNS0_4arch9wavefront6targetE1EEEvSH_,@function
_ZN7rocprim17ROCPRIM_400000_NS6detail17trampoline_kernelINS0_14default_configENS1_38merge_sort_block_merge_config_selectorIllEEZZNS1_27merge_sort_block_merge_implIS3_PlN6thrust23THRUST_200600_302600_NS10device_ptrIlEEjNS1_19radix_merge_compareILb0ELb0ElNS0_19identity_decomposerEEEEE10hipError_tT0_T1_T2_jT3_P12ihipStream_tbPNSt15iterator_traitsISG_E10value_typeEPNSM_ISH_E10value_typeEPSI_NS1_7vsmem_tEENKUlT_SG_SH_SI_E_clIS7_S7_S7_SB_EESF_SV_SG_SH_SI_EUlSV_E1_NS1_11comp_targetILNS1_3genE4ELNS1_11target_archE910ELNS1_3gpuE8ELNS1_3repE0EEENS1_36merge_oddeven_config_static_selectorELNS0_4arch9wavefront6targetE1EEEvSH_: ; @_ZN7rocprim17ROCPRIM_400000_NS6detail17trampoline_kernelINS0_14default_configENS1_38merge_sort_block_merge_config_selectorIllEEZZNS1_27merge_sort_block_merge_implIS3_PlN6thrust23THRUST_200600_302600_NS10device_ptrIlEEjNS1_19radix_merge_compareILb0ELb0ElNS0_19identity_decomposerEEEEE10hipError_tT0_T1_T2_jT3_P12ihipStream_tbPNSt15iterator_traitsISG_E10value_typeEPNSM_ISH_E10value_typeEPSI_NS1_7vsmem_tEENKUlT_SG_SH_SI_E_clIS7_S7_S7_SB_EESF_SV_SG_SH_SI_EUlSV_E1_NS1_11comp_targetILNS1_3genE4ELNS1_11target_archE910ELNS1_3gpuE8ELNS1_3repE0EEENS1_36merge_oddeven_config_static_selectorELNS0_4arch9wavefront6targetE1EEEvSH_
; %bb.0:
	s_load_dword s20, s[4:5], 0x20
	s_waitcnt lgkmcnt(0)
	s_lshr_b32 s2, s20, 8
	s_cmp_lg_u32 s6, s2
	s_cselect_b64 s[0:1], -1, 0
	s_cmp_eq_u32 s6, s2
	s_cselect_b64 s[16:17], -1, 0
	s_lshl_b32 s18, s6, 8
	s_sub_i32 s2, s20, s18
	v_cmp_gt_u32_e64 s[2:3], s2, v0
	s_or_b64 s[0:1], s[0:1], s[2:3]
	s_and_saveexec_b64 s[8:9], s[0:1]
	s_cbranch_execz .LBB1029_26
; %bb.1:
	s_load_dwordx8 s[8:15], s[4:5], 0x0
	s_mov_b32 s19, 0
	s_lshl_b64 s[0:1], s[18:19], 3
	v_lshlrev_b32_e32 v1, 3, v0
	s_load_dword s21, s[4:5], 0x24
	s_waitcnt lgkmcnt(0)
	s_add_u32 s22, s8, s0
	s_addc_u32 s23, s9, s1
	s_add_u32 s0, s12, s0
	s_addc_u32 s1, s13, s1
	global_load_dwordx2 v[2:3], v1, s[0:1]
	global_load_dwordx2 v[4:5], v1, s[22:23]
	s_lshr_b32 s0, s21, 8
	s_sub_i32 s1, 0, s0
	s_and_b32 s1, s6, s1
	s_and_b32 s0, s1, s0
	s_lshl_b32 s22, s1, 8
	s_sub_i32 s6, 0, s21
	s_cmp_eq_u32 s0, 0
	s_cselect_b64 s[0:1], -1, 0
	s_and_b64 s[4:5], s[0:1], exec
	s_cselect_b32 s19, s21, s6
	s_add_i32 s19, s19, s22
	s_cmp_lt_u32 s19, s20
	v_add_u32_e32 v6, s18, v0
	s_cbranch_scc1 .LBB1029_6
; %bb.2:
	s_and_b64 vcc, exec, s[16:17]
	s_cbranch_vccz .LBB1029_7
; %bb.3:
	v_cmp_gt_u32_e32 vcc, s20, v6
	s_mov_b64 s[6:7], 0
	s_mov_b64 s[4:5], 0
                                        ; implicit-def: $vgpr0_vgpr1
	s_and_saveexec_b64 s[12:13], vcc
	s_cbranch_execz .LBB1029_5
; %bb.4:
	v_mov_b32_e32 v7, 0
	v_lshlrev_b64 v[8:9], 3, v[6:7]
	v_mov_b32_e32 v1, s15
	v_add_co_u32_e32 v0, vcc, s14, v8
	v_addc_co_u32_e32 v1, vcc, v1, v9, vcc
	v_mov_b32_e32 v7, s11
	v_add_co_u32_e32 v8, vcc, s10, v8
	s_mov_b64 s[4:5], exec
	v_addc_co_u32_e32 v9, vcc, v7, v9, vcc
	s_waitcnt vmcnt(0)
	global_store_dwordx2 v[8:9], v[4:5], off
.LBB1029_5:
	s_or_b64 exec, exec, s[12:13]
	s_and_b64 vcc, exec, s[6:7]
	s_cbranch_vccnz .LBB1029_8
	s_branch .LBB1029_9
.LBB1029_6:
	s_mov_b64 s[4:5], 0
                                        ; implicit-def: $vgpr0_vgpr1
	s_cbranch_execnz .LBB1029_10
	s_branch .LBB1029_24
.LBB1029_7:
	s_mov_b64 s[4:5], 0
                                        ; implicit-def: $vgpr0_vgpr1
	s_cbranch_execz .LBB1029_9
.LBB1029_8:
	v_mov_b32_e32 v7, 0
	v_lshlrev_b64 v[0:1], 3, v[6:7]
	v_mov_b32_e32 v7, s11
	v_add_co_u32_e32 v8, vcc, s10, v0
	v_addc_co_u32_e32 v9, vcc, v7, v1, vcc
	v_mov_b32_e32 v7, s15
	v_add_co_u32_e32 v0, vcc, s14, v0
	v_addc_co_u32_e32 v1, vcc, v7, v1, vcc
	s_or_b64 s[4:5], s[4:5], exec
	s_waitcnt vmcnt(0)
	global_store_dwordx2 v[8:9], v[4:5], off
.LBB1029_9:
	s_branch .LBB1029_24
.LBB1029_10:
	s_min_u32 s12, s19, s20
	s_add_i32 s6, s12, s21
	s_min_u32 s13, s6, s20
	s_min_u32 s6, s22, s12
	s_add_i32 s22, s22, s12
	v_subrev_u32_e32 v0, s22, v6
	v_add_u32_e32 v6, s6, v0
	s_and_b64 vcc, exec, s[16:17]
	s_cbranch_vccz .LBB1029_18
; %bb.11:
                                        ; implicit-def: $vgpr0_vgpr1
	s_and_saveexec_b64 s[6:7], s[2:3]
	s_cbranch_execz .LBB1029_17
; %bb.12:
	s_cmp_ge_u32 s19, s13
	v_mov_b32_e32 v7, s12
	s_cbranch_scc1 .LBB1029_16
; %bb.13:
	s_mov_b64 s[2:3], 0
	v_mov_b32_e32 v8, s13
	v_mov_b32_e32 v7, s12
	;; [unrolled: 1-line block ×4, first 2 shown]
.LBB1029_14:                            ; =>This Inner Loop Header: Depth=1
	v_add_u32_e32 v0, v7, v8
	v_lshrrev_b32_e32 v0, 1, v0
	v_lshlrev_b64 v[10:11], 3, v[0:1]
	v_add_co_u32_e32 v10, vcc, s8, v10
	v_addc_co_u32_e32 v11, vcc, v9, v11, vcc
	global_load_dwordx2 v[10:11], v[10:11], off
	v_add_u32_e32 v12, 1, v0
	s_waitcnt vmcnt(0)
	v_cmp_gt_i64_e32 vcc, v[4:5], v[10:11]
	v_cndmask_b32_e64 v13, 0, 1, vcc
	v_cmp_le_i64_e32 vcc, v[10:11], v[4:5]
	v_cndmask_b32_e64 v10, 0, 1, vcc
	v_cndmask_b32_e64 v10, v10, v13, s[0:1]
	v_and_b32_e32 v10, 1, v10
	v_cmp_eq_u32_e32 vcc, 1, v10
	v_cndmask_b32_e32 v8, v0, v8, vcc
	v_cndmask_b32_e32 v7, v7, v12, vcc
	v_cmp_ge_u32_e32 vcc, v7, v8
	s_or_b64 s[2:3], vcc, s[2:3]
	s_andn2_b64 exec, exec, s[2:3]
	s_cbranch_execnz .LBB1029_14
; %bb.15:
	s_or_b64 exec, exec, s[2:3]
.LBB1029_16:
	v_add_u32_e32 v0, v7, v6
	v_mov_b32_e32 v1, 0
	v_lshlrev_b64 v[0:1], 3, v[0:1]
	v_mov_b32_e32 v7, s11
	v_add_co_u32_e32 v8, vcc, s10, v0
	v_addc_co_u32_e32 v9, vcc, v7, v1, vcc
	v_mov_b32_e32 v7, s15
	v_add_co_u32_e32 v0, vcc, s14, v0
	s_waitcnt vmcnt(0)
	global_store_dwordx2 v[8:9], v[4:5], off
	v_addc_co_u32_e32 v1, vcc, v7, v1, vcc
	s_or_b64 s[4:5], s[4:5], exec
.LBB1029_17:
	s_or_b64 exec, exec, s[6:7]
	s_branch .LBB1029_24
.LBB1029_18:
                                        ; implicit-def: $vgpr0_vgpr1
	s_cbranch_execz .LBB1029_24
; %bb.19:
	s_cmp_ge_u32 s19, s13
	v_mov_b32_e32 v7, s12
	s_cbranch_scc1 .LBB1029_23
; %bb.20:
	s_mov_b64 s[2:3], 0
	v_mov_b32_e32 v8, s13
	v_mov_b32_e32 v7, s12
	;; [unrolled: 1-line block ×4, first 2 shown]
.LBB1029_21:                            ; =>This Inner Loop Header: Depth=1
	v_add_u32_e32 v0, v7, v8
	v_lshrrev_b32_e32 v0, 1, v0
	v_lshlrev_b64 v[10:11], 3, v[0:1]
	v_add_co_u32_e32 v10, vcc, s8, v10
	v_addc_co_u32_e32 v11, vcc, v9, v11, vcc
	global_load_dwordx2 v[10:11], v[10:11], off
	v_add_u32_e32 v12, 1, v0
	s_waitcnt vmcnt(0)
	v_cmp_gt_i64_e32 vcc, v[4:5], v[10:11]
	v_cndmask_b32_e64 v13, 0, 1, vcc
	v_cmp_le_i64_e32 vcc, v[10:11], v[4:5]
	v_cndmask_b32_e64 v10, 0, 1, vcc
	v_cndmask_b32_e64 v10, v10, v13, s[0:1]
	v_and_b32_e32 v10, 1, v10
	v_cmp_eq_u32_e32 vcc, 1, v10
	v_cndmask_b32_e32 v8, v0, v8, vcc
	v_cndmask_b32_e32 v7, v7, v12, vcc
	v_cmp_ge_u32_e32 vcc, v7, v8
	s_or_b64 s[2:3], vcc, s[2:3]
	s_andn2_b64 exec, exec, s[2:3]
	s_cbranch_execnz .LBB1029_21
; %bb.22:
	s_or_b64 exec, exec, s[2:3]
.LBB1029_23:
	v_add_u32_e32 v0, v7, v6
	v_mov_b32_e32 v1, 0
	v_lshlrev_b64 v[0:1], 3, v[0:1]
	v_mov_b32_e32 v7, s11
	v_add_co_u32_e32 v6, vcc, s10, v0
	v_addc_co_u32_e32 v7, vcc, v7, v1, vcc
	s_waitcnt vmcnt(0)
	global_store_dwordx2 v[6:7], v[4:5], off
	v_mov_b32_e32 v4, s15
	v_add_co_u32_e32 v0, vcc, s14, v0
	v_addc_co_u32_e32 v1, vcc, v4, v1, vcc
	s_mov_b64 s[4:5], -1
.LBB1029_24:
	s_and_b64 exec, exec, s[4:5]
	s_cbranch_execz .LBB1029_26
; %bb.25:
	s_waitcnt vmcnt(1)
	global_store_dwordx2 v[0:1], v[2:3], off
.LBB1029_26:
	s_endpgm
	.section	.rodata,"a",@progbits
	.p2align	6, 0x0
	.amdhsa_kernel _ZN7rocprim17ROCPRIM_400000_NS6detail17trampoline_kernelINS0_14default_configENS1_38merge_sort_block_merge_config_selectorIllEEZZNS1_27merge_sort_block_merge_implIS3_PlN6thrust23THRUST_200600_302600_NS10device_ptrIlEEjNS1_19radix_merge_compareILb0ELb0ElNS0_19identity_decomposerEEEEE10hipError_tT0_T1_T2_jT3_P12ihipStream_tbPNSt15iterator_traitsISG_E10value_typeEPNSM_ISH_E10value_typeEPSI_NS1_7vsmem_tEENKUlT_SG_SH_SI_E_clIS7_S7_S7_SB_EESF_SV_SG_SH_SI_EUlSV_E1_NS1_11comp_targetILNS1_3genE4ELNS1_11target_archE910ELNS1_3gpuE8ELNS1_3repE0EEENS1_36merge_oddeven_config_static_selectorELNS0_4arch9wavefront6targetE1EEEvSH_
		.amdhsa_group_segment_fixed_size 0
		.amdhsa_private_segment_fixed_size 0
		.amdhsa_kernarg_size 48
		.amdhsa_user_sgpr_count 6
		.amdhsa_user_sgpr_private_segment_buffer 1
		.amdhsa_user_sgpr_dispatch_ptr 0
		.amdhsa_user_sgpr_queue_ptr 0
		.amdhsa_user_sgpr_kernarg_segment_ptr 1
		.amdhsa_user_sgpr_dispatch_id 0
		.amdhsa_user_sgpr_flat_scratch_init 0
		.amdhsa_user_sgpr_kernarg_preload_length 0
		.amdhsa_user_sgpr_kernarg_preload_offset 0
		.amdhsa_user_sgpr_private_segment_size 0
		.amdhsa_uses_dynamic_stack 0
		.amdhsa_system_sgpr_private_segment_wavefront_offset 0
		.amdhsa_system_sgpr_workgroup_id_x 1
		.amdhsa_system_sgpr_workgroup_id_y 0
		.amdhsa_system_sgpr_workgroup_id_z 0
		.amdhsa_system_sgpr_workgroup_info 0
		.amdhsa_system_vgpr_workitem_id 0
		.amdhsa_next_free_vgpr 14
		.amdhsa_next_free_sgpr 24
		.amdhsa_accum_offset 16
		.amdhsa_reserve_vcc 1
		.amdhsa_reserve_flat_scratch 0
		.amdhsa_float_round_mode_32 0
		.amdhsa_float_round_mode_16_64 0
		.amdhsa_float_denorm_mode_32 3
		.amdhsa_float_denorm_mode_16_64 3
		.amdhsa_dx10_clamp 1
		.amdhsa_ieee_mode 1
		.amdhsa_fp16_overflow 0
		.amdhsa_tg_split 0
		.amdhsa_exception_fp_ieee_invalid_op 0
		.amdhsa_exception_fp_denorm_src 0
		.amdhsa_exception_fp_ieee_div_zero 0
		.amdhsa_exception_fp_ieee_overflow 0
		.amdhsa_exception_fp_ieee_underflow 0
		.amdhsa_exception_fp_ieee_inexact 0
		.amdhsa_exception_int_div_zero 0
	.end_amdhsa_kernel
	.section	.text._ZN7rocprim17ROCPRIM_400000_NS6detail17trampoline_kernelINS0_14default_configENS1_38merge_sort_block_merge_config_selectorIllEEZZNS1_27merge_sort_block_merge_implIS3_PlN6thrust23THRUST_200600_302600_NS10device_ptrIlEEjNS1_19radix_merge_compareILb0ELb0ElNS0_19identity_decomposerEEEEE10hipError_tT0_T1_T2_jT3_P12ihipStream_tbPNSt15iterator_traitsISG_E10value_typeEPNSM_ISH_E10value_typeEPSI_NS1_7vsmem_tEENKUlT_SG_SH_SI_E_clIS7_S7_S7_SB_EESF_SV_SG_SH_SI_EUlSV_E1_NS1_11comp_targetILNS1_3genE4ELNS1_11target_archE910ELNS1_3gpuE8ELNS1_3repE0EEENS1_36merge_oddeven_config_static_selectorELNS0_4arch9wavefront6targetE1EEEvSH_,"axG",@progbits,_ZN7rocprim17ROCPRIM_400000_NS6detail17trampoline_kernelINS0_14default_configENS1_38merge_sort_block_merge_config_selectorIllEEZZNS1_27merge_sort_block_merge_implIS3_PlN6thrust23THRUST_200600_302600_NS10device_ptrIlEEjNS1_19radix_merge_compareILb0ELb0ElNS0_19identity_decomposerEEEEE10hipError_tT0_T1_T2_jT3_P12ihipStream_tbPNSt15iterator_traitsISG_E10value_typeEPNSM_ISH_E10value_typeEPSI_NS1_7vsmem_tEENKUlT_SG_SH_SI_E_clIS7_S7_S7_SB_EESF_SV_SG_SH_SI_EUlSV_E1_NS1_11comp_targetILNS1_3genE4ELNS1_11target_archE910ELNS1_3gpuE8ELNS1_3repE0EEENS1_36merge_oddeven_config_static_selectorELNS0_4arch9wavefront6targetE1EEEvSH_,comdat
.Lfunc_end1029:
	.size	_ZN7rocprim17ROCPRIM_400000_NS6detail17trampoline_kernelINS0_14default_configENS1_38merge_sort_block_merge_config_selectorIllEEZZNS1_27merge_sort_block_merge_implIS3_PlN6thrust23THRUST_200600_302600_NS10device_ptrIlEEjNS1_19radix_merge_compareILb0ELb0ElNS0_19identity_decomposerEEEEE10hipError_tT0_T1_T2_jT3_P12ihipStream_tbPNSt15iterator_traitsISG_E10value_typeEPNSM_ISH_E10value_typeEPSI_NS1_7vsmem_tEENKUlT_SG_SH_SI_E_clIS7_S7_S7_SB_EESF_SV_SG_SH_SI_EUlSV_E1_NS1_11comp_targetILNS1_3genE4ELNS1_11target_archE910ELNS1_3gpuE8ELNS1_3repE0EEENS1_36merge_oddeven_config_static_selectorELNS0_4arch9wavefront6targetE1EEEvSH_, .Lfunc_end1029-_ZN7rocprim17ROCPRIM_400000_NS6detail17trampoline_kernelINS0_14default_configENS1_38merge_sort_block_merge_config_selectorIllEEZZNS1_27merge_sort_block_merge_implIS3_PlN6thrust23THRUST_200600_302600_NS10device_ptrIlEEjNS1_19radix_merge_compareILb0ELb0ElNS0_19identity_decomposerEEEEE10hipError_tT0_T1_T2_jT3_P12ihipStream_tbPNSt15iterator_traitsISG_E10value_typeEPNSM_ISH_E10value_typeEPSI_NS1_7vsmem_tEENKUlT_SG_SH_SI_E_clIS7_S7_S7_SB_EESF_SV_SG_SH_SI_EUlSV_E1_NS1_11comp_targetILNS1_3genE4ELNS1_11target_archE910ELNS1_3gpuE8ELNS1_3repE0EEENS1_36merge_oddeven_config_static_selectorELNS0_4arch9wavefront6targetE1EEEvSH_
                                        ; -- End function
	.section	.AMDGPU.csdata,"",@progbits
; Kernel info:
; codeLenInByte = 824
; NumSgprs: 28
; NumVgprs: 14
; NumAgprs: 0
; TotalNumVgprs: 14
; ScratchSize: 0
; MemoryBound: 0
; FloatMode: 240
; IeeeMode: 1
; LDSByteSize: 0 bytes/workgroup (compile time only)
; SGPRBlocks: 3
; VGPRBlocks: 1
; NumSGPRsForWavesPerEU: 28
; NumVGPRsForWavesPerEU: 14
; AccumOffset: 16
; Occupancy: 8
; WaveLimiterHint : 0
; COMPUTE_PGM_RSRC2:SCRATCH_EN: 0
; COMPUTE_PGM_RSRC2:USER_SGPR: 6
; COMPUTE_PGM_RSRC2:TRAP_HANDLER: 0
; COMPUTE_PGM_RSRC2:TGID_X_EN: 1
; COMPUTE_PGM_RSRC2:TGID_Y_EN: 0
; COMPUTE_PGM_RSRC2:TGID_Z_EN: 0
; COMPUTE_PGM_RSRC2:TIDIG_COMP_CNT: 0
; COMPUTE_PGM_RSRC3_GFX90A:ACCUM_OFFSET: 3
; COMPUTE_PGM_RSRC3_GFX90A:TG_SPLIT: 0
	.section	.text._ZN7rocprim17ROCPRIM_400000_NS6detail17trampoline_kernelINS0_14default_configENS1_38merge_sort_block_merge_config_selectorIllEEZZNS1_27merge_sort_block_merge_implIS3_PlN6thrust23THRUST_200600_302600_NS10device_ptrIlEEjNS1_19radix_merge_compareILb0ELb0ElNS0_19identity_decomposerEEEEE10hipError_tT0_T1_T2_jT3_P12ihipStream_tbPNSt15iterator_traitsISG_E10value_typeEPNSM_ISH_E10value_typeEPSI_NS1_7vsmem_tEENKUlT_SG_SH_SI_E_clIS7_S7_S7_SB_EESF_SV_SG_SH_SI_EUlSV_E1_NS1_11comp_targetILNS1_3genE3ELNS1_11target_archE908ELNS1_3gpuE7ELNS1_3repE0EEENS1_36merge_oddeven_config_static_selectorELNS0_4arch9wavefront6targetE1EEEvSH_,"axG",@progbits,_ZN7rocprim17ROCPRIM_400000_NS6detail17trampoline_kernelINS0_14default_configENS1_38merge_sort_block_merge_config_selectorIllEEZZNS1_27merge_sort_block_merge_implIS3_PlN6thrust23THRUST_200600_302600_NS10device_ptrIlEEjNS1_19radix_merge_compareILb0ELb0ElNS0_19identity_decomposerEEEEE10hipError_tT0_T1_T2_jT3_P12ihipStream_tbPNSt15iterator_traitsISG_E10value_typeEPNSM_ISH_E10value_typeEPSI_NS1_7vsmem_tEENKUlT_SG_SH_SI_E_clIS7_S7_S7_SB_EESF_SV_SG_SH_SI_EUlSV_E1_NS1_11comp_targetILNS1_3genE3ELNS1_11target_archE908ELNS1_3gpuE7ELNS1_3repE0EEENS1_36merge_oddeven_config_static_selectorELNS0_4arch9wavefront6targetE1EEEvSH_,comdat
	.protected	_ZN7rocprim17ROCPRIM_400000_NS6detail17trampoline_kernelINS0_14default_configENS1_38merge_sort_block_merge_config_selectorIllEEZZNS1_27merge_sort_block_merge_implIS3_PlN6thrust23THRUST_200600_302600_NS10device_ptrIlEEjNS1_19radix_merge_compareILb0ELb0ElNS0_19identity_decomposerEEEEE10hipError_tT0_T1_T2_jT3_P12ihipStream_tbPNSt15iterator_traitsISG_E10value_typeEPNSM_ISH_E10value_typeEPSI_NS1_7vsmem_tEENKUlT_SG_SH_SI_E_clIS7_S7_S7_SB_EESF_SV_SG_SH_SI_EUlSV_E1_NS1_11comp_targetILNS1_3genE3ELNS1_11target_archE908ELNS1_3gpuE7ELNS1_3repE0EEENS1_36merge_oddeven_config_static_selectorELNS0_4arch9wavefront6targetE1EEEvSH_ ; -- Begin function _ZN7rocprim17ROCPRIM_400000_NS6detail17trampoline_kernelINS0_14default_configENS1_38merge_sort_block_merge_config_selectorIllEEZZNS1_27merge_sort_block_merge_implIS3_PlN6thrust23THRUST_200600_302600_NS10device_ptrIlEEjNS1_19radix_merge_compareILb0ELb0ElNS0_19identity_decomposerEEEEE10hipError_tT0_T1_T2_jT3_P12ihipStream_tbPNSt15iterator_traitsISG_E10value_typeEPNSM_ISH_E10value_typeEPSI_NS1_7vsmem_tEENKUlT_SG_SH_SI_E_clIS7_S7_S7_SB_EESF_SV_SG_SH_SI_EUlSV_E1_NS1_11comp_targetILNS1_3genE3ELNS1_11target_archE908ELNS1_3gpuE7ELNS1_3repE0EEENS1_36merge_oddeven_config_static_selectorELNS0_4arch9wavefront6targetE1EEEvSH_
	.globl	_ZN7rocprim17ROCPRIM_400000_NS6detail17trampoline_kernelINS0_14default_configENS1_38merge_sort_block_merge_config_selectorIllEEZZNS1_27merge_sort_block_merge_implIS3_PlN6thrust23THRUST_200600_302600_NS10device_ptrIlEEjNS1_19radix_merge_compareILb0ELb0ElNS0_19identity_decomposerEEEEE10hipError_tT0_T1_T2_jT3_P12ihipStream_tbPNSt15iterator_traitsISG_E10value_typeEPNSM_ISH_E10value_typeEPSI_NS1_7vsmem_tEENKUlT_SG_SH_SI_E_clIS7_S7_S7_SB_EESF_SV_SG_SH_SI_EUlSV_E1_NS1_11comp_targetILNS1_3genE3ELNS1_11target_archE908ELNS1_3gpuE7ELNS1_3repE0EEENS1_36merge_oddeven_config_static_selectorELNS0_4arch9wavefront6targetE1EEEvSH_
	.p2align	8
	.type	_ZN7rocprim17ROCPRIM_400000_NS6detail17trampoline_kernelINS0_14default_configENS1_38merge_sort_block_merge_config_selectorIllEEZZNS1_27merge_sort_block_merge_implIS3_PlN6thrust23THRUST_200600_302600_NS10device_ptrIlEEjNS1_19radix_merge_compareILb0ELb0ElNS0_19identity_decomposerEEEEE10hipError_tT0_T1_T2_jT3_P12ihipStream_tbPNSt15iterator_traitsISG_E10value_typeEPNSM_ISH_E10value_typeEPSI_NS1_7vsmem_tEENKUlT_SG_SH_SI_E_clIS7_S7_S7_SB_EESF_SV_SG_SH_SI_EUlSV_E1_NS1_11comp_targetILNS1_3genE3ELNS1_11target_archE908ELNS1_3gpuE7ELNS1_3repE0EEENS1_36merge_oddeven_config_static_selectorELNS0_4arch9wavefront6targetE1EEEvSH_,@function
_ZN7rocprim17ROCPRIM_400000_NS6detail17trampoline_kernelINS0_14default_configENS1_38merge_sort_block_merge_config_selectorIllEEZZNS1_27merge_sort_block_merge_implIS3_PlN6thrust23THRUST_200600_302600_NS10device_ptrIlEEjNS1_19radix_merge_compareILb0ELb0ElNS0_19identity_decomposerEEEEE10hipError_tT0_T1_T2_jT3_P12ihipStream_tbPNSt15iterator_traitsISG_E10value_typeEPNSM_ISH_E10value_typeEPSI_NS1_7vsmem_tEENKUlT_SG_SH_SI_E_clIS7_S7_S7_SB_EESF_SV_SG_SH_SI_EUlSV_E1_NS1_11comp_targetILNS1_3genE3ELNS1_11target_archE908ELNS1_3gpuE7ELNS1_3repE0EEENS1_36merge_oddeven_config_static_selectorELNS0_4arch9wavefront6targetE1EEEvSH_: ; @_ZN7rocprim17ROCPRIM_400000_NS6detail17trampoline_kernelINS0_14default_configENS1_38merge_sort_block_merge_config_selectorIllEEZZNS1_27merge_sort_block_merge_implIS3_PlN6thrust23THRUST_200600_302600_NS10device_ptrIlEEjNS1_19radix_merge_compareILb0ELb0ElNS0_19identity_decomposerEEEEE10hipError_tT0_T1_T2_jT3_P12ihipStream_tbPNSt15iterator_traitsISG_E10value_typeEPNSM_ISH_E10value_typeEPSI_NS1_7vsmem_tEENKUlT_SG_SH_SI_E_clIS7_S7_S7_SB_EESF_SV_SG_SH_SI_EUlSV_E1_NS1_11comp_targetILNS1_3genE3ELNS1_11target_archE908ELNS1_3gpuE7ELNS1_3repE0EEENS1_36merge_oddeven_config_static_selectorELNS0_4arch9wavefront6targetE1EEEvSH_
; %bb.0:
	.section	.rodata,"a",@progbits
	.p2align	6, 0x0
	.amdhsa_kernel _ZN7rocprim17ROCPRIM_400000_NS6detail17trampoline_kernelINS0_14default_configENS1_38merge_sort_block_merge_config_selectorIllEEZZNS1_27merge_sort_block_merge_implIS3_PlN6thrust23THRUST_200600_302600_NS10device_ptrIlEEjNS1_19radix_merge_compareILb0ELb0ElNS0_19identity_decomposerEEEEE10hipError_tT0_T1_T2_jT3_P12ihipStream_tbPNSt15iterator_traitsISG_E10value_typeEPNSM_ISH_E10value_typeEPSI_NS1_7vsmem_tEENKUlT_SG_SH_SI_E_clIS7_S7_S7_SB_EESF_SV_SG_SH_SI_EUlSV_E1_NS1_11comp_targetILNS1_3genE3ELNS1_11target_archE908ELNS1_3gpuE7ELNS1_3repE0EEENS1_36merge_oddeven_config_static_selectorELNS0_4arch9wavefront6targetE1EEEvSH_
		.amdhsa_group_segment_fixed_size 0
		.amdhsa_private_segment_fixed_size 0
		.amdhsa_kernarg_size 48
		.amdhsa_user_sgpr_count 6
		.amdhsa_user_sgpr_private_segment_buffer 1
		.amdhsa_user_sgpr_dispatch_ptr 0
		.amdhsa_user_sgpr_queue_ptr 0
		.amdhsa_user_sgpr_kernarg_segment_ptr 1
		.amdhsa_user_sgpr_dispatch_id 0
		.amdhsa_user_sgpr_flat_scratch_init 0
		.amdhsa_user_sgpr_kernarg_preload_length 0
		.amdhsa_user_sgpr_kernarg_preload_offset 0
		.amdhsa_user_sgpr_private_segment_size 0
		.amdhsa_uses_dynamic_stack 0
		.amdhsa_system_sgpr_private_segment_wavefront_offset 0
		.amdhsa_system_sgpr_workgroup_id_x 1
		.amdhsa_system_sgpr_workgroup_id_y 0
		.amdhsa_system_sgpr_workgroup_id_z 0
		.amdhsa_system_sgpr_workgroup_info 0
		.amdhsa_system_vgpr_workitem_id 0
		.amdhsa_next_free_vgpr 1
		.amdhsa_next_free_sgpr 0
		.amdhsa_accum_offset 4
		.amdhsa_reserve_vcc 0
		.amdhsa_reserve_flat_scratch 0
		.amdhsa_float_round_mode_32 0
		.amdhsa_float_round_mode_16_64 0
		.amdhsa_float_denorm_mode_32 3
		.amdhsa_float_denorm_mode_16_64 3
		.amdhsa_dx10_clamp 1
		.amdhsa_ieee_mode 1
		.amdhsa_fp16_overflow 0
		.amdhsa_tg_split 0
		.amdhsa_exception_fp_ieee_invalid_op 0
		.amdhsa_exception_fp_denorm_src 0
		.amdhsa_exception_fp_ieee_div_zero 0
		.amdhsa_exception_fp_ieee_overflow 0
		.amdhsa_exception_fp_ieee_underflow 0
		.amdhsa_exception_fp_ieee_inexact 0
		.amdhsa_exception_int_div_zero 0
	.end_amdhsa_kernel
	.section	.text._ZN7rocprim17ROCPRIM_400000_NS6detail17trampoline_kernelINS0_14default_configENS1_38merge_sort_block_merge_config_selectorIllEEZZNS1_27merge_sort_block_merge_implIS3_PlN6thrust23THRUST_200600_302600_NS10device_ptrIlEEjNS1_19radix_merge_compareILb0ELb0ElNS0_19identity_decomposerEEEEE10hipError_tT0_T1_T2_jT3_P12ihipStream_tbPNSt15iterator_traitsISG_E10value_typeEPNSM_ISH_E10value_typeEPSI_NS1_7vsmem_tEENKUlT_SG_SH_SI_E_clIS7_S7_S7_SB_EESF_SV_SG_SH_SI_EUlSV_E1_NS1_11comp_targetILNS1_3genE3ELNS1_11target_archE908ELNS1_3gpuE7ELNS1_3repE0EEENS1_36merge_oddeven_config_static_selectorELNS0_4arch9wavefront6targetE1EEEvSH_,"axG",@progbits,_ZN7rocprim17ROCPRIM_400000_NS6detail17trampoline_kernelINS0_14default_configENS1_38merge_sort_block_merge_config_selectorIllEEZZNS1_27merge_sort_block_merge_implIS3_PlN6thrust23THRUST_200600_302600_NS10device_ptrIlEEjNS1_19radix_merge_compareILb0ELb0ElNS0_19identity_decomposerEEEEE10hipError_tT0_T1_T2_jT3_P12ihipStream_tbPNSt15iterator_traitsISG_E10value_typeEPNSM_ISH_E10value_typeEPSI_NS1_7vsmem_tEENKUlT_SG_SH_SI_E_clIS7_S7_S7_SB_EESF_SV_SG_SH_SI_EUlSV_E1_NS1_11comp_targetILNS1_3genE3ELNS1_11target_archE908ELNS1_3gpuE7ELNS1_3repE0EEENS1_36merge_oddeven_config_static_selectorELNS0_4arch9wavefront6targetE1EEEvSH_,comdat
.Lfunc_end1030:
	.size	_ZN7rocprim17ROCPRIM_400000_NS6detail17trampoline_kernelINS0_14default_configENS1_38merge_sort_block_merge_config_selectorIllEEZZNS1_27merge_sort_block_merge_implIS3_PlN6thrust23THRUST_200600_302600_NS10device_ptrIlEEjNS1_19radix_merge_compareILb0ELb0ElNS0_19identity_decomposerEEEEE10hipError_tT0_T1_T2_jT3_P12ihipStream_tbPNSt15iterator_traitsISG_E10value_typeEPNSM_ISH_E10value_typeEPSI_NS1_7vsmem_tEENKUlT_SG_SH_SI_E_clIS7_S7_S7_SB_EESF_SV_SG_SH_SI_EUlSV_E1_NS1_11comp_targetILNS1_3genE3ELNS1_11target_archE908ELNS1_3gpuE7ELNS1_3repE0EEENS1_36merge_oddeven_config_static_selectorELNS0_4arch9wavefront6targetE1EEEvSH_, .Lfunc_end1030-_ZN7rocprim17ROCPRIM_400000_NS6detail17trampoline_kernelINS0_14default_configENS1_38merge_sort_block_merge_config_selectorIllEEZZNS1_27merge_sort_block_merge_implIS3_PlN6thrust23THRUST_200600_302600_NS10device_ptrIlEEjNS1_19radix_merge_compareILb0ELb0ElNS0_19identity_decomposerEEEEE10hipError_tT0_T1_T2_jT3_P12ihipStream_tbPNSt15iterator_traitsISG_E10value_typeEPNSM_ISH_E10value_typeEPSI_NS1_7vsmem_tEENKUlT_SG_SH_SI_E_clIS7_S7_S7_SB_EESF_SV_SG_SH_SI_EUlSV_E1_NS1_11comp_targetILNS1_3genE3ELNS1_11target_archE908ELNS1_3gpuE7ELNS1_3repE0EEENS1_36merge_oddeven_config_static_selectorELNS0_4arch9wavefront6targetE1EEEvSH_
                                        ; -- End function
	.section	.AMDGPU.csdata,"",@progbits
; Kernel info:
; codeLenInByte = 0
; NumSgprs: 4
; NumVgprs: 0
; NumAgprs: 0
; TotalNumVgprs: 0
; ScratchSize: 0
; MemoryBound: 0
; FloatMode: 240
; IeeeMode: 1
; LDSByteSize: 0 bytes/workgroup (compile time only)
; SGPRBlocks: 0
; VGPRBlocks: 0
; NumSGPRsForWavesPerEU: 4
; NumVGPRsForWavesPerEU: 1
; AccumOffset: 4
; Occupancy: 8
; WaveLimiterHint : 0
; COMPUTE_PGM_RSRC2:SCRATCH_EN: 0
; COMPUTE_PGM_RSRC2:USER_SGPR: 6
; COMPUTE_PGM_RSRC2:TRAP_HANDLER: 0
; COMPUTE_PGM_RSRC2:TGID_X_EN: 1
; COMPUTE_PGM_RSRC2:TGID_Y_EN: 0
; COMPUTE_PGM_RSRC2:TGID_Z_EN: 0
; COMPUTE_PGM_RSRC2:TIDIG_COMP_CNT: 0
; COMPUTE_PGM_RSRC3_GFX90A:ACCUM_OFFSET: 0
; COMPUTE_PGM_RSRC3_GFX90A:TG_SPLIT: 0
	.section	.text._ZN7rocprim17ROCPRIM_400000_NS6detail17trampoline_kernelINS0_14default_configENS1_38merge_sort_block_merge_config_selectorIllEEZZNS1_27merge_sort_block_merge_implIS3_PlN6thrust23THRUST_200600_302600_NS10device_ptrIlEEjNS1_19radix_merge_compareILb0ELb0ElNS0_19identity_decomposerEEEEE10hipError_tT0_T1_T2_jT3_P12ihipStream_tbPNSt15iterator_traitsISG_E10value_typeEPNSM_ISH_E10value_typeEPSI_NS1_7vsmem_tEENKUlT_SG_SH_SI_E_clIS7_S7_S7_SB_EESF_SV_SG_SH_SI_EUlSV_E1_NS1_11comp_targetILNS1_3genE2ELNS1_11target_archE906ELNS1_3gpuE6ELNS1_3repE0EEENS1_36merge_oddeven_config_static_selectorELNS0_4arch9wavefront6targetE1EEEvSH_,"axG",@progbits,_ZN7rocprim17ROCPRIM_400000_NS6detail17trampoline_kernelINS0_14default_configENS1_38merge_sort_block_merge_config_selectorIllEEZZNS1_27merge_sort_block_merge_implIS3_PlN6thrust23THRUST_200600_302600_NS10device_ptrIlEEjNS1_19radix_merge_compareILb0ELb0ElNS0_19identity_decomposerEEEEE10hipError_tT0_T1_T2_jT3_P12ihipStream_tbPNSt15iterator_traitsISG_E10value_typeEPNSM_ISH_E10value_typeEPSI_NS1_7vsmem_tEENKUlT_SG_SH_SI_E_clIS7_S7_S7_SB_EESF_SV_SG_SH_SI_EUlSV_E1_NS1_11comp_targetILNS1_3genE2ELNS1_11target_archE906ELNS1_3gpuE6ELNS1_3repE0EEENS1_36merge_oddeven_config_static_selectorELNS0_4arch9wavefront6targetE1EEEvSH_,comdat
	.protected	_ZN7rocprim17ROCPRIM_400000_NS6detail17trampoline_kernelINS0_14default_configENS1_38merge_sort_block_merge_config_selectorIllEEZZNS1_27merge_sort_block_merge_implIS3_PlN6thrust23THRUST_200600_302600_NS10device_ptrIlEEjNS1_19radix_merge_compareILb0ELb0ElNS0_19identity_decomposerEEEEE10hipError_tT0_T1_T2_jT3_P12ihipStream_tbPNSt15iterator_traitsISG_E10value_typeEPNSM_ISH_E10value_typeEPSI_NS1_7vsmem_tEENKUlT_SG_SH_SI_E_clIS7_S7_S7_SB_EESF_SV_SG_SH_SI_EUlSV_E1_NS1_11comp_targetILNS1_3genE2ELNS1_11target_archE906ELNS1_3gpuE6ELNS1_3repE0EEENS1_36merge_oddeven_config_static_selectorELNS0_4arch9wavefront6targetE1EEEvSH_ ; -- Begin function _ZN7rocprim17ROCPRIM_400000_NS6detail17trampoline_kernelINS0_14default_configENS1_38merge_sort_block_merge_config_selectorIllEEZZNS1_27merge_sort_block_merge_implIS3_PlN6thrust23THRUST_200600_302600_NS10device_ptrIlEEjNS1_19radix_merge_compareILb0ELb0ElNS0_19identity_decomposerEEEEE10hipError_tT0_T1_T2_jT3_P12ihipStream_tbPNSt15iterator_traitsISG_E10value_typeEPNSM_ISH_E10value_typeEPSI_NS1_7vsmem_tEENKUlT_SG_SH_SI_E_clIS7_S7_S7_SB_EESF_SV_SG_SH_SI_EUlSV_E1_NS1_11comp_targetILNS1_3genE2ELNS1_11target_archE906ELNS1_3gpuE6ELNS1_3repE0EEENS1_36merge_oddeven_config_static_selectorELNS0_4arch9wavefront6targetE1EEEvSH_
	.globl	_ZN7rocprim17ROCPRIM_400000_NS6detail17trampoline_kernelINS0_14default_configENS1_38merge_sort_block_merge_config_selectorIllEEZZNS1_27merge_sort_block_merge_implIS3_PlN6thrust23THRUST_200600_302600_NS10device_ptrIlEEjNS1_19radix_merge_compareILb0ELb0ElNS0_19identity_decomposerEEEEE10hipError_tT0_T1_T2_jT3_P12ihipStream_tbPNSt15iterator_traitsISG_E10value_typeEPNSM_ISH_E10value_typeEPSI_NS1_7vsmem_tEENKUlT_SG_SH_SI_E_clIS7_S7_S7_SB_EESF_SV_SG_SH_SI_EUlSV_E1_NS1_11comp_targetILNS1_3genE2ELNS1_11target_archE906ELNS1_3gpuE6ELNS1_3repE0EEENS1_36merge_oddeven_config_static_selectorELNS0_4arch9wavefront6targetE1EEEvSH_
	.p2align	8
	.type	_ZN7rocprim17ROCPRIM_400000_NS6detail17trampoline_kernelINS0_14default_configENS1_38merge_sort_block_merge_config_selectorIllEEZZNS1_27merge_sort_block_merge_implIS3_PlN6thrust23THRUST_200600_302600_NS10device_ptrIlEEjNS1_19radix_merge_compareILb0ELb0ElNS0_19identity_decomposerEEEEE10hipError_tT0_T1_T2_jT3_P12ihipStream_tbPNSt15iterator_traitsISG_E10value_typeEPNSM_ISH_E10value_typeEPSI_NS1_7vsmem_tEENKUlT_SG_SH_SI_E_clIS7_S7_S7_SB_EESF_SV_SG_SH_SI_EUlSV_E1_NS1_11comp_targetILNS1_3genE2ELNS1_11target_archE906ELNS1_3gpuE6ELNS1_3repE0EEENS1_36merge_oddeven_config_static_selectorELNS0_4arch9wavefront6targetE1EEEvSH_,@function
_ZN7rocprim17ROCPRIM_400000_NS6detail17trampoline_kernelINS0_14default_configENS1_38merge_sort_block_merge_config_selectorIllEEZZNS1_27merge_sort_block_merge_implIS3_PlN6thrust23THRUST_200600_302600_NS10device_ptrIlEEjNS1_19radix_merge_compareILb0ELb0ElNS0_19identity_decomposerEEEEE10hipError_tT0_T1_T2_jT3_P12ihipStream_tbPNSt15iterator_traitsISG_E10value_typeEPNSM_ISH_E10value_typeEPSI_NS1_7vsmem_tEENKUlT_SG_SH_SI_E_clIS7_S7_S7_SB_EESF_SV_SG_SH_SI_EUlSV_E1_NS1_11comp_targetILNS1_3genE2ELNS1_11target_archE906ELNS1_3gpuE6ELNS1_3repE0EEENS1_36merge_oddeven_config_static_selectorELNS0_4arch9wavefront6targetE1EEEvSH_: ; @_ZN7rocprim17ROCPRIM_400000_NS6detail17trampoline_kernelINS0_14default_configENS1_38merge_sort_block_merge_config_selectorIllEEZZNS1_27merge_sort_block_merge_implIS3_PlN6thrust23THRUST_200600_302600_NS10device_ptrIlEEjNS1_19radix_merge_compareILb0ELb0ElNS0_19identity_decomposerEEEEE10hipError_tT0_T1_T2_jT3_P12ihipStream_tbPNSt15iterator_traitsISG_E10value_typeEPNSM_ISH_E10value_typeEPSI_NS1_7vsmem_tEENKUlT_SG_SH_SI_E_clIS7_S7_S7_SB_EESF_SV_SG_SH_SI_EUlSV_E1_NS1_11comp_targetILNS1_3genE2ELNS1_11target_archE906ELNS1_3gpuE6ELNS1_3repE0EEENS1_36merge_oddeven_config_static_selectorELNS0_4arch9wavefront6targetE1EEEvSH_
; %bb.0:
	.section	.rodata,"a",@progbits
	.p2align	6, 0x0
	.amdhsa_kernel _ZN7rocprim17ROCPRIM_400000_NS6detail17trampoline_kernelINS0_14default_configENS1_38merge_sort_block_merge_config_selectorIllEEZZNS1_27merge_sort_block_merge_implIS3_PlN6thrust23THRUST_200600_302600_NS10device_ptrIlEEjNS1_19radix_merge_compareILb0ELb0ElNS0_19identity_decomposerEEEEE10hipError_tT0_T1_T2_jT3_P12ihipStream_tbPNSt15iterator_traitsISG_E10value_typeEPNSM_ISH_E10value_typeEPSI_NS1_7vsmem_tEENKUlT_SG_SH_SI_E_clIS7_S7_S7_SB_EESF_SV_SG_SH_SI_EUlSV_E1_NS1_11comp_targetILNS1_3genE2ELNS1_11target_archE906ELNS1_3gpuE6ELNS1_3repE0EEENS1_36merge_oddeven_config_static_selectorELNS0_4arch9wavefront6targetE1EEEvSH_
		.amdhsa_group_segment_fixed_size 0
		.amdhsa_private_segment_fixed_size 0
		.amdhsa_kernarg_size 48
		.amdhsa_user_sgpr_count 6
		.amdhsa_user_sgpr_private_segment_buffer 1
		.amdhsa_user_sgpr_dispatch_ptr 0
		.amdhsa_user_sgpr_queue_ptr 0
		.amdhsa_user_sgpr_kernarg_segment_ptr 1
		.amdhsa_user_sgpr_dispatch_id 0
		.amdhsa_user_sgpr_flat_scratch_init 0
		.amdhsa_user_sgpr_kernarg_preload_length 0
		.amdhsa_user_sgpr_kernarg_preload_offset 0
		.amdhsa_user_sgpr_private_segment_size 0
		.amdhsa_uses_dynamic_stack 0
		.amdhsa_system_sgpr_private_segment_wavefront_offset 0
		.amdhsa_system_sgpr_workgroup_id_x 1
		.amdhsa_system_sgpr_workgroup_id_y 0
		.amdhsa_system_sgpr_workgroup_id_z 0
		.amdhsa_system_sgpr_workgroup_info 0
		.amdhsa_system_vgpr_workitem_id 0
		.amdhsa_next_free_vgpr 1
		.amdhsa_next_free_sgpr 0
		.amdhsa_accum_offset 4
		.amdhsa_reserve_vcc 0
		.amdhsa_reserve_flat_scratch 0
		.amdhsa_float_round_mode_32 0
		.amdhsa_float_round_mode_16_64 0
		.amdhsa_float_denorm_mode_32 3
		.amdhsa_float_denorm_mode_16_64 3
		.amdhsa_dx10_clamp 1
		.amdhsa_ieee_mode 1
		.amdhsa_fp16_overflow 0
		.amdhsa_tg_split 0
		.amdhsa_exception_fp_ieee_invalid_op 0
		.amdhsa_exception_fp_denorm_src 0
		.amdhsa_exception_fp_ieee_div_zero 0
		.amdhsa_exception_fp_ieee_overflow 0
		.amdhsa_exception_fp_ieee_underflow 0
		.amdhsa_exception_fp_ieee_inexact 0
		.amdhsa_exception_int_div_zero 0
	.end_amdhsa_kernel
	.section	.text._ZN7rocprim17ROCPRIM_400000_NS6detail17trampoline_kernelINS0_14default_configENS1_38merge_sort_block_merge_config_selectorIllEEZZNS1_27merge_sort_block_merge_implIS3_PlN6thrust23THRUST_200600_302600_NS10device_ptrIlEEjNS1_19radix_merge_compareILb0ELb0ElNS0_19identity_decomposerEEEEE10hipError_tT0_T1_T2_jT3_P12ihipStream_tbPNSt15iterator_traitsISG_E10value_typeEPNSM_ISH_E10value_typeEPSI_NS1_7vsmem_tEENKUlT_SG_SH_SI_E_clIS7_S7_S7_SB_EESF_SV_SG_SH_SI_EUlSV_E1_NS1_11comp_targetILNS1_3genE2ELNS1_11target_archE906ELNS1_3gpuE6ELNS1_3repE0EEENS1_36merge_oddeven_config_static_selectorELNS0_4arch9wavefront6targetE1EEEvSH_,"axG",@progbits,_ZN7rocprim17ROCPRIM_400000_NS6detail17trampoline_kernelINS0_14default_configENS1_38merge_sort_block_merge_config_selectorIllEEZZNS1_27merge_sort_block_merge_implIS3_PlN6thrust23THRUST_200600_302600_NS10device_ptrIlEEjNS1_19radix_merge_compareILb0ELb0ElNS0_19identity_decomposerEEEEE10hipError_tT0_T1_T2_jT3_P12ihipStream_tbPNSt15iterator_traitsISG_E10value_typeEPNSM_ISH_E10value_typeEPSI_NS1_7vsmem_tEENKUlT_SG_SH_SI_E_clIS7_S7_S7_SB_EESF_SV_SG_SH_SI_EUlSV_E1_NS1_11comp_targetILNS1_3genE2ELNS1_11target_archE906ELNS1_3gpuE6ELNS1_3repE0EEENS1_36merge_oddeven_config_static_selectorELNS0_4arch9wavefront6targetE1EEEvSH_,comdat
.Lfunc_end1031:
	.size	_ZN7rocprim17ROCPRIM_400000_NS6detail17trampoline_kernelINS0_14default_configENS1_38merge_sort_block_merge_config_selectorIllEEZZNS1_27merge_sort_block_merge_implIS3_PlN6thrust23THRUST_200600_302600_NS10device_ptrIlEEjNS1_19radix_merge_compareILb0ELb0ElNS0_19identity_decomposerEEEEE10hipError_tT0_T1_T2_jT3_P12ihipStream_tbPNSt15iterator_traitsISG_E10value_typeEPNSM_ISH_E10value_typeEPSI_NS1_7vsmem_tEENKUlT_SG_SH_SI_E_clIS7_S7_S7_SB_EESF_SV_SG_SH_SI_EUlSV_E1_NS1_11comp_targetILNS1_3genE2ELNS1_11target_archE906ELNS1_3gpuE6ELNS1_3repE0EEENS1_36merge_oddeven_config_static_selectorELNS0_4arch9wavefront6targetE1EEEvSH_, .Lfunc_end1031-_ZN7rocprim17ROCPRIM_400000_NS6detail17trampoline_kernelINS0_14default_configENS1_38merge_sort_block_merge_config_selectorIllEEZZNS1_27merge_sort_block_merge_implIS3_PlN6thrust23THRUST_200600_302600_NS10device_ptrIlEEjNS1_19radix_merge_compareILb0ELb0ElNS0_19identity_decomposerEEEEE10hipError_tT0_T1_T2_jT3_P12ihipStream_tbPNSt15iterator_traitsISG_E10value_typeEPNSM_ISH_E10value_typeEPSI_NS1_7vsmem_tEENKUlT_SG_SH_SI_E_clIS7_S7_S7_SB_EESF_SV_SG_SH_SI_EUlSV_E1_NS1_11comp_targetILNS1_3genE2ELNS1_11target_archE906ELNS1_3gpuE6ELNS1_3repE0EEENS1_36merge_oddeven_config_static_selectorELNS0_4arch9wavefront6targetE1EEEvSH_
                                        ; -- End function
	.section	.AMDGPU.csdata,"",@progbits
; Kernel info:
; codeLenInByte = 0
; NumSgprs: 4
; NumVgprs: 0
; NumAgprs: 0
; TotalNumVgprs: 0
; ScratchSize: 0
; MemoryBound: 0
; FloatMode: 240
; IeeeMode: 1
; LDSByteSize: 0 bytes/workgroup (compile time only)
; SGPRBlocks: 0
; VGPRBlocks: 0
; NumSGPRsForWavesPerEU: 4
; NumVGPRsForWavesPerEU: 1
; AccumOffset: 4
; Occupancy: 8
; WaveLimiterHint : 0
; COMPUTE_PGM_RSRC2:SCRATCH_EN: 0
; COMPUTE_PGM_RSRC2:USER_SGPR: 6
; COMPUTE_PGM_RSRC2:TRAP_HANDLER: 0
; COMPUTE_PGM_RSRC2:TGID_X_EN: 1
; COMPUTE_PGM_RSRC2:TGID_Y_EN: 0
; COMPUTE_PGM_RSRC2:TGID_Z_EN: 0
; COMPUTE_PGM_RSRC2:TIDIG_COMP_CNT: 0
; COMPUTE_PGM_RSRC3_GFX90A:ACCUM_OFFSET: 0
; COMPUTE_PGM_RSRC3_GFX90A:TG_SPLIT: 0
	.section	.text._ZN7rocprim17ROCPRIM_400000_NS6detail17trampoline_kernelINS0_14default_configENS1_38merge_sort_block_merge_config_selectorIllEEZZNS1_27merge_sort_block_merge_implIS3_PlN6thrust23THRUST_200600_302600_NS10device_ptrIlEEjNS1_19radix_merge_compareILb0ELb0ElNS0_19identity_decomposerEEEEE10hipError_tT0_T1_T2_jT3_P12ihipStream_tbPNSt15iterator_traitsISG_E10value_typeEPNSM_ISH_E10value_typeEPSI_NS1_7vsmem_tEENKUlT_SG_SH_SI_E_clIS7_S7_S7_SB_EESF_SV_SG_SH_SI_EUlSV_E1_NS1_11comp_targetILNS1_3genE9ELNS1_11target_archE1100ELNS1_3gpuE3ELNS1_3repE0EEENS1_36merge_oddeven_config_static_selectorELNS0_4arch9wavefront6targetE1EEEvSH_,"axG",@progbits,_ZN7rocprim17ROCPRIM_400000_NS6detail17trampoline_kernelINS0_14default_configENS1_38merge_sort_block_merge_config_selectorIllEEZZNS1_27merge_sort_block_merge_implIS3_PlN6thrust23THRUST_200600_302600_NS10device_ptrIlEEjNS1_19radix_merge_compareILb0ELb0ElNS0_19identity_decomposerEEEEE10hipError_tT0_T1_T2_jT3_P12ihipStream_tbPNSt15iterator_traitsISG_E10value_typeEPNSM_ISH_E10value_typeEPSI_NS1_7vsmem_tEENKUlT_SG_SH_SI_E_clIS7_S7_S7_SB_EESF_SV_SG_SH_SI_EUlSV_E1_NS1_11comp_targetILNS1_3genE9ELNS1_11target_archE1100ELNS1_3gpuE3ELNS1_3repE0EEENS1_36merge_oddeven_config_static_selectorELNS0_4arch9wavefront6targetE1EEEvSH_,comdat
	.protected	_ZN7rocprim17ROCPRIM_400000_NS6detail17trampoline_kernelINS0_14default_configENS1_38merge_sort_block_merge_config_selectorIllEEZZNS1_27merge_sort_block_merge_implIS3_PlN6thrust23THRUST_200600_302600_NS10device_ptrIlEEjNS1_19radix_merge_compareILb0ELb0ElNS0_19identity_decomposerEEEEE10hipError_tT0_T1_T2_jT3_P12ihipStream_tbPNSt15iterator_traitsISG_E10value_typeEPNSM_ISH_E10value_typeEPSI_NS1_7vsmem_tEENKUlT_SG_SH_SI_E_clIS7_S7_S7_SB_EESF_SV_SG_SH_SI_EUlSV_E1_NS1_11comp_targetILNS1_3genE9ELNS1_11target_archE1100ELNS1_3gpuE3ELNS1_3repE0EEENS1_36merge_oddeven_config_static_selectorELNS0_4arch9wavefront6targetE1EEEvSH_ ; -- Begin function _ZN7rocprim17ROCPRIM_400000_NS6detail17trampoline_kernelINS0_14default_configENS1_38merge_sort_block_merge_config_selectorIllEEZZNS1_27merge_sort_block_merge_implIS3_PlN6thrust23THRUST_200600_302600_NS10device_ptrIlEEjNS1_19radix_merge_compareILb0ELb0ElNS0_19identity_decomposerEEEEE10hipError_tT0_T1_T2_jT3_P12ihipStream_tbPNSt15iterator_traitsISG_E10value_typeEPNSM_ISH_E10value_typeEPSI_NS1_7vsmem_tEENKUlT_SG_SH_SI_E_clIS7_S7_S7_SB_EESF_SV_SG_SH_SI_EUlSV_E1_NS1_11comp_targetILNS1_3genE9ELNS1_11target_archE1100ELNS1_3gpuE3ELNS1_3repE0EEENS1_36merge_oddeven_config_static_selectorELNS0_4arch9wavefront6targetE1EEEvSH_
	.globl	_ZN7rocprim17ROCPRIM_400000_NS6detail17trampoline_kernelINS0_14default_configENS1_38merge_sort_block_merge_config_selectorIllEEZZNS1_27merge_sort_block_merge_implIS3_PlN6thrust23THRUST_200600_302600_NS10device_ptrIlEEjNS1_19radix_merge_compareILb0ELb0ElNS0_19identity_decomposerEEEEE10hipError_tT0_T1_T2_jT3_P12ihipStream_tbPNSt15iterator_traitsISG_E10value_typeEPNSM_ISH_E10value_typeEPSI_NS1_7vsmem_tEENKUlT_SG_SH_SI_E_clIS7_S7_S7_SB_EESF_SV_SG_SH_SI_EUlSV_E1_NS1_11comp_targetILNS1_3genE9ELNS1_11target_archE1100ELNS1_3gpuE3ELNS1_3repE0EEENS1_36merge_oddeven_config_static_selectorELNS0_4arch9wavefront6targetE1EEEvSH_
	.p2align	8
	.type	_ZN7rocprim17ROCPRIM_400000_NS6detail17trampoline_kernelINS0_14default_configENS1_38merge_sort_block_merge_config_selectorIllEEZZNS1_27merge_sort_block_merge_implIS3_PlN6thrust23THRUST_200600_302600_NS10device_ptrIlEEjNS1_19radix_merge_compareILb0ELb0ElNS0_19identity_decomposerEEEEE10hipError_tT0_T1_T2_jT3_P12ihipStream_tbPNSt15iterator_traitsISG_E10value_typeEPNSM_ISH_E10value_typeEPSI_NS1_7vsmem_tEENKUlT_SG_SH_SI_E_clIS7_S7_S7_SB_EESF_SV_SG_SH_SI_EUlSV_E1_NS1_11comp_targetILNS1_3genE9ELNS1_11target_archE1100ELNS1_3gpuE3ELNS1_3repE0EEENS1_36merge_oddeven_config_static_selectorELNS0_4arch9wavefront6targetE1EEEvSH_,@function
_ZN7rocprim17ROCPRIM_400000_NS6detail17trampoline_kernelINS0_14default_configENS1_38merge_sort_block_merge_config_selectorIllEEZZNS1_27merge_sort_block_merge_implIS3_PlN6thrust23THRUST_200600_302600_NS10device_ptrIlEEjNS1_19radix_merge_compareILb0ELb0ElNS0_19identity_decomposerEEEEE10hipError_tT0_T1_T2_jT3_P12ihipStream_tbPNSt15iterator_traitsISG_E10value_typeEPNSM_ISH_E10value_typeEPSI_NS1_7vsmem_tEENKUlT_SG_SH_SI_E_clIS7_S7_S7_SB_EESF_SV_SG_SH_SI_EUlSV_E1_NS1_11comp_targetILNS1_3genE9ELNS1_11target_archE1100ELNS1_3gpuE3ELNS1_3repE0EEENS1_36merge_oddeven_config_static_selectorELNS0_4arch9wavefront6targetE1EEEvSH_: ; @_ZN7rocprim17ROCPRIM_400000_NS6detail17trampoline_kernelINS0_14default_configENS1_38merge_sort_block_merge_config_selectorIllEEZZNS1_27merge_sort_block_merge_implIS3_PlN6thrust23THRUST_200600_302600_NS10device_ptrIlEEjNS1_19radix_merge_compareILb0ELb0ElNS0_19identity_decomposerEEEEE10hipError_tT0_T1_T2_jT3_P12ihipStream_tbPNSt15iterator_traitsISG_E10value_typeEPNSM_ISH_E10value_typeEPSI_NS1_7vsmem_tEENKUlT_SG_SH_SI_E_clIS7_S7_S7_SB_EESF_SV_SG_SH_SI_EUlSV_E1_NS1_11comp_targetILNS1_3genE9ELNS1_11target_archE1100ELNS1_3gpuE3ELNS1_3repE0EEENS1_36merge_oddeven_config_static_selectorELNS0_4arch9wavefront6targetE1EEEvSH_
; %bb.0:
	.section	.rodata,"a",@progbits
	.p2align	6, 0x0
	.amdhsa_kernel _ZN7rocprim17ROCPRIM_400000_NS6detail17trampoline_kernelINS0_14default_configENS1_38merge_sort_block_merge_config_selectorIllEEZZNS1_27merge_sort_block_merge_implIS3_PlN6thrust23THRUST_200600_302600_NS10device_ptrIlEEjNS1_19radix_merge_compareILb0ELb0ElNS0_19identity_decomposerEEEEE10hipError_tT0_T1_T2_jT3_P12ihipStream_tbPNSt15iterator_traitsISG_E10value_typeEPNSM_ISH_E10value_typeEPSI_NS1_7vsmem_tEENKUlT_SG_SH_SI_E_clIS7_S7_S7_SB_EESF_SV_SG_SH_SI_EUlSV_E1_NS1_11comp_targetILNS1_3genE9ELNS1_11target_archE1100ELNS1_3gpuE3ELNS1_3repE0EEENS1_36merge_oddeven_config_static_selectorELNS0_4arch9wavefront6targetE1EEEvSH_
		.amdhsa_group_segment_fixed_size 0
		.amdhsa_private_segment_fixed_size 0
		.amdhsa_kernarg_size 48
		.amdhsa_user_sgpr_count 6
		.amdhsa_user_sgpr_private_segment_buffer 1
		.amdhsa_user_sgpr_dispatch_ptr 0
		.amdhsa_user_sgpr_queue_ptr 0
		.amdhsa_user_sgpr_kernarg_segment_ptr 1
		.amdhsa_user_sgpr_dispatch_id 0
		.amdhsa_user_sgpr_flat_scratch_init 0
		.amdhsa_user_sgpr_kernarg_preload_length 0
		.amdhsa_user_sgpr_kernarg_preload_offset 0
		.amdhsa_user_sgpr_private_segment_size 0
		.amdhsa_uses_dynamic_stack 0
		.amdhsa_system_sgpr_private_segment_wavefront_offset 0
		.amdhsa_system_sgpr_workgroup_id_x 1
		.amdhsa_system_sgpr_workgroup_id_y 0
		.amdhsa_system_sgpr_workgroup_id_z 0
		.amdhsa_system_sgpr_workgroup_info 0
		.amdhsa_system_vgpr_workitem_id 0
		.amdhsa_next_free_vgpr 1
		.amdhsa_next_free_sgpr 0
		.amdhsa_accum_offset 4
		.amdhsa_reserve_vcc 0
		.amdhsa_reserve_flat_scratch 0
		.amdhsa_float_round_mode_32 0
		.amdhsa_float_round_mode_16_64 0
		.amdhsa_float_denorm_mode_32 3
		.amdhsa_float_denorm_mode_16_64 3
		.amdhsa_dx10_clamp 1
		.amdhsa_ieee_mode 1
		.amdhsa_fp16_overflow 0
		.amdhsa_tg_split 0
		.amdhsa_exception_fp_ieee_invalid_op 0
		.amdhsa_exception_fp_denorm_src 0
		.amdhsa_exception_fp_ieee_div_zero 0
		.amdhsa_exception_fp_ieee_overflow 0
		.amdhsa_exception_fp_ieee_underflow 0
		.amdhsa_exception_fp_ieee_inexact 0
		.amdhsa_exception_int_div_zero 0
	.end_amdhsa_kernel
	.section	.text._ZN7rocprim17ROCPRIM_400000_NS6detail17trampoline_kernelINS0_14default_configENS1_38merge_sort_block_merge_config_selectorIllEEZZNS1_27merge_sort_block_merge_implIS3_PlN6thrust23THRUST_200600_302600_NS10device_ptrIlEEjNS1_19radix_merge_compareILb0ELb0ElNS0_19identity_decomposerEEEEE10hipError_tT0_T1_T2_jT3_P12ihipStream_tbPNSt15iterator_traitsISG_E10value_typeEPNSM_ISH_E10value_typeEPSI_NS1_7vsmem_tEENKUlT_SG_SH_SI_E_clIS7_S7_S7_SB_EESF_SV_SG_SH_SI_EUlSV_E1_NS1_11comp_targetILNS1_3genE9ELNS1_11target_archE1100ELNS1_3gpuE3ELNS1_3repE0EEENS1_36merge_oddeven_config_static_selectorELNS0_4arch9wavefront6targetE1EEEvSH_,"axG",@progbits,_ZN7rocprim17ROCPRIM_400000_NS6detail17trampoline_kernelINS0_14default_configENS1_38merge_sort_block_merge_config_selectorIllEEZZNS1_27merge_sort_block_merge_implIS3_PlN6thrust23THRUST_200600_302600_NS10device_ptrIlEEjNS1_19radix_merge_compareILb0ELb0ElNS0_19identity_decomposerEEEEE10hipError_tT0_T1_T2_jT3_P12ihipStream_tbPNSt15iterator_traitsISG_E10value_typeEPNSM_ISH_E10value_typeEPSI_NS1_7vsmem_tEENKUlT_SG_SH_SI_E_clIS7_S7_S7_SB_EESF_SV_SG_SH_SI_EUlSV_E1_NS1_11comp_targetILNS1_3genE9ELNS1_11target_archE1100ELNS1_3gpuE3ELNS1_3repE0EEENS1_36merge_oddeven_config_static_selectorELNS0_4arch9wavefront6targetE1EEEvSH_,comdat
.Lfunc_end1032:
	.size	_ZN7rocprim17ROCPRIM_400000_NS6detail17trampoline_kernelINS0_14default_configENS1_38merge_sort_block_merge_config_selectorIllEEZZNS1_27merge_sort_block_merge_implIS3_PlN6thrust23THRUST_200600_302600_NS10device_ptrIlEEjNS1_19radix_merge_compareILb0ELb0ElNS0_19identity_decomposerEEEEE10hipError_tT0_T1_T2_jT3_P12ihipStream_tbPNSt15iterator_traitsISG_E10value_typeEPNSM_ISH_E10value_typeEPSI_NS1_7vsmem_tEENKUlT_SG_SH_SI_E_clIS7_S7_S7_SB_EESF_SV_SG_SH_SI_EUlSV_E1_NS1_11comp_targetILNS1_3genE9ELNS1_11target_archE1100ELNS1_3gpuE3ELNS1_3repE0EEENS1_36merge_oddeven_config_static_selectorELNS0_4arch9wavefront6targetE1EEEvSH_, .Lfunc_end1032-_ZN7rocprim17ROCPRIM_400000_NS6detail17trampoline_kernelINS0_14default_configENS1_38merge_sort_block_merge_config_selectorIllEEZZNS1_27merge_sort_block_merge_implIS3_PlN6thrust23THRUST_200600_302600_NS10device_ptrIlEEjNS1_19radix_merge_compareILb0ELb0ElNS0_19identity_decomposerEEEEE10hipError_tT0_T1_T2_jT3_P12ihipStream_tbPNSt15iterator_traitsISG_E10value_typeEPNSM_ISH_E10value_typeEPSI_NS1_7vsmem_tEENKUlT_SG_SH_SI_E_clIS7_S7_S7_SB_EESF_SV_SG_SH_SI_EUlSV_E1_NS1_11comp_targetILNS1_3genE9ELNS1_11target_archE1100ELNS1_3gpuE3ELNS1_3repE0EEENS1_36merge_oddeven_config_static_selectorELNS0_4arch9wavefront6targetE1EEEvSH_
                                        ; -- End function
	.section	.AMDGPU.csdata,"",@progbits
; Kernel info:
; codeLenInByte = 0
; NumSgprs: 4
; NumVgprs: 0
; NumAgprs: 0
; TotalNumVgprs: 0
; ScratchSize: 0
; MemoryBound: 0
; FloatMode: 240
; IeeeMode: 1
; LDSByteSize: 0 bytes/workgroup (compile time only)
; SGPRBlocks: 0
; VGPRBlocks: 0
; NumSGPRsForWavesPerEU: 4
; NumVGPRsForWavesPerEU: 1
; AccumOffset: 4
; Occupancy: 8
; WaveLimiterHint : 0
; COMPUTE_PGM_RSRC2:SCRATCH_EN: 0
; COMPUTE_PGM_RSRC2:USER_SGPR: 6
; COMPUTE_PGM_RSRC2:TRAP_HANDLER: 0
; COMPUTE_PGM_RSRC2:TGID_X_EN: 1
; COMPUTE_PGM_RSRC2:TGID_Y_EN: 0
; COMPUTE_PGM_RSRC2:TGID_Z_EN: 0
; COMPUTE_PGM_RSRC2:TIDIG_COMP_CNT: 0
; COMPUTE_PGM_RSRC3_GFX90A:ACCUM_OFFSET: 0
; COMPUTE_PGM_RSRC3_GFX90A:TG_SPLIT: 0
	.section	.text._ZN7rocprim17ROCPRIM_400000_NS6detail17trampoline_kernelINS0_14default_configENS1_38merge_sort_block_merge_config_selectorIllEEZZNS1_27merge_sort_block_merge_implIS3_PlN6thrust23THRUST_200600_302600_NS10device_ptrIlEEjNS1_19radix_merge_compareILb0ELb0ElNS0_19identity_decomposerEEEEE10hipError_tT0_T1_T2_jT3_P12ihipStream_tbPNSt15iterator_traitsISG_E10value_typeEPNSM_ISH_E10value_typeEPSI_NS1_7vsmem_tEENKUlT_SG_SH_SI_E_clIS7_S7_S7_SB_EESF_SV_SG_SH_SI_EUlSV_E1_NS1_11comp_targetILNS1_3genE8ELNS1_11target_archE1030ELNS1_3gpuE2ELNS1_3repE0EEENS1_36merge_oddeven_config_static_selectorELNS0_4arch9wavefront6targetE1EEEvSH_,"axG",@progbits,_ZN7rocprim17ROCPRIM_400000_NS6detail17trampoline_kernelINS0_14default_configENS1_38merge_sort_block_merge_config_selectorIllEEZZNS1_27merge_sort_block_merge_implIS3_PlN6thrust23THRUST_200600_302600_NS10device_ptrIlEEjNS1_19radix_merge_compareILb0ELb0ElNS0_19identity_decomposerEEEEE10hipError_tT0_T1_T2_jT3_P12ihipStream_tbPNSt15iterator_traitsISG_E10value_typeEPNSM_ISH_E10value_typeEPSI_NS1_7vsmem_tEENKUlT_SG_SH_SI_E_clIS7_S7_S7_SB_EESF_SV_SG_SH_SI_EUlSV_E1_NS1_11comp_targetILNS1_3genE8ELNS1_11target_archE1030ELNS1_3gpuE2ELNS1_3repE0EEENS1_36merge_oddeven_config_static_selectorELNS0_4arch9wavefront6targetE1EEEvSH_,comdat
	.protected	_ZN7rocprim17ROCPRIM_400000_NS6detail17trampoline_kernelINS0_14default_configENS1_38merge_sort_block_merge_config_selectorIllEEZZNS1_27merge_sort_block_merge_implIS3_PlN6thrust23THRUST_200600_302600_NS10device_ptrIlEEjNS1_19radix_merge_compareILb0ELb0ElNS0_19identity_decomposerEEEEE10hipError_tT0_T1_T2_jT3_P12ihipStream_tbPNSt15iterator_traitsISG_E10value_typeEPNSM_ISH_E10value_typeEPSI_NS1_7vsmem_tEENKUlT_SG_SH_SI_E_clIS7_S7_S7_SB_EESF_SV_SG_SH_SI_EUlSV_E1_NS1_11comp_targetILNS1_3genE8ELNS1_11target_archE1030ELNS1_3gpuE2ELNS1_3repE0EEENS1_36merge_oddeven_config_static_selectorELNS0_4arch9wavefront6targetE1EEEvSH_ ; -- Begin function _ZN7rocprim17ROCPRIM_400000_NS6detail17trampoline_kernelINS0_14default_configENS1_38merge_sort_block_merge_config_selectorIllEEZZNS1_27merge_sort_block_merge_implIS3_PlN6thrust23THRUST_200600_302600_NS10device_ptrIlEEjNS1_19radix_merge_compareILb0ELb0ElNS0_19identity_decomposerEEEEE10hipError_tT0_T1_T2_jT3_P12ihipStream_tbPNSt15iterator_traitsISG_E10value_typeEPNSM_ISH_E10value_typeEPSI_NS1_7vsmem_tEENKUlT_SG_SH_SI_E_clIS7_S7_S7_SB_EESF_SV_SG_SH_SI_EUlSV_E1_NS1_11comp_targetILNS1_3genE8ELNS1_11target_archE1030ELNS1_3gpuE2ELNS1_3repE0EEENS1_36merge_oddeven_config_static_selectorELNS0_4arch9wavefront6targetE1EEEvSH_
	.globl	_ZN7rocprim17ROCPRIM_400000_NS6detail17trampoline_kernelINS0_14default_configENS1_38merge_sort_block_merge_config_selectorIllEEZZNS1_27merge_sort_block_merge_implIS3_PlN6thrust23THRUST_200600_302600_NS10device_ptrIlEEjNS1_19radix_merge_compareILb0ELb0ElNS0_19identity_decomposerEEEEE10hipError_tT0_T1_T2_jT3_P12ihipStream_tbPNSt15iterator_traitsISG_E10value_typeEPNSM_ISH_E10value_typeEPSI_NS1_7vsmem_tEENKUlT_SG_SH_SI_E_clIS7_S7_S7_SB_EESF_SV_SG_SH_SI_EUlSV_E1_NS1_11comp_targetILNS1_3genE8ELNS1_11target_archE1030ELNS1_3gpuE2ELNS1_3repE0EEENS1_36merge_oddeven_config_static_selectorELNS0_4arch9wavefront6targetE1EEEvSH_
	.p2align	8
	.type	_ZN7rocprim17ROCPRIM_400000_NS6detail17trampoline_kernelINS0_14default_configENS1_38merge_sort_block_merge_config_selectorIllEEZZNS1_27merge_sort_block_merge_implIS3_PlN6thrust23THRUST_200600_302600_NS10device_ptrIlEEjNS1_19radix_merge_compareILb0ELb0ElNS0_19identity_decomposerEEEEE10hipError_tT0_T1_T2_jT3_P12ihipStream_tbPNSt15iterator_traitsISG_E10value_typeEPNSM_ISH_E10value_typeEPSI_NS1_7vsmem_tEENKUlT_SG_SH_SI_E_clIS7_S7_S7_SB_EESF_SV_SG_SH_SI_EUlSV_E1_NS1_11comp_targetILNS1_3genE8ELNS1_11target_archE1030ELNS1_3gpuE2ELNS1_3repE0EEENS1_36merge_oddeven_config_static_selectorELNS0_4arch9wavefront6targetE1EEEvSH_,@function
_ZN7rocprim17ROCPRIM_400000_NS6detail17trampoline_kernelINS0_14default_configENS1_38merge_sort_block_merge_config_selectorIllEEZZNS1_27merge_sort_block_merge_implIS3_PlN6thrust23THRUST_200600_302600_NS10device_ptrIlEEjNS1_19radix_merge_compareILb0ELb0ElNS0_19identity_decomposerEEEEE10hipError_tT0_T1_T2_jT3_P12ihipStream_tbPNSt15iterator_traitsISG_E10value_typeEPNSM_ISH_E10value_typeEPSI_NS1_7vsmem_tEENKUlT_SG_SH_SI_E_clIS7_S7_S7_SB_EESF_SV_SG_SH_SI_EUlSV_E1_NS1_11comp_targetILNS1_3genE8ELNS1_11target_archE1030ELNS1_3gpuE2ELNS1_3repE0EEENS1_36merge_oddeven_config_static_selectorELNS0_4arch9wavefront6targetE1EEEvSH_: ; @_ZN7rocprim17ROCPRIM_400000_NS6detail17trampoline_kernelINS0_14default_configENS1_38merge_sort_block_merge_config_selectorIllEEZZNS1_27merge_sort_block_merge_implIS3_PlN6thrust23THRUST_200600_302600_NS10device_ptrIlEEjNS1_19radix_merge_compareILb0ELb0ElNS0_19identity_decomposerEEEEE10hipError_tT0_T1_T2_jT3_P12ihipStream_tbPNSt15iterator_traitsISG_E10value_typeEPNSM_ISH_E10value_typeEPSI_NS1_7vsmem_tEENKUlT_SG_SH_SI_E_clIS7_S7_S7_SB_EESF_SV_SG_SH_SI_EUlSV_E1_NS1_11comp_targetILNS1_3genE8ELNS1_11target_archE1030ELNS1_3gpuE2ELNS1_3repE0EEENS1_36merge_oddeven_config_static_selectorELNS0_4arch9wavefront6targetE1EEEvSH_
; %bb.0:
	.section	.rodata,"a",@progbits
	.p2align	6, 0x0
	.amdhsa_kernel _ZN7rocprim17ROCPRIM_400000_NS6detail17trampoline_kernelINS0_14default_configENS1_38merge_sort_block_merge_config_selectorIllEEZZNS1_27merge_sort_block_merge_implIS3_PlN6thrust23THRUST_200600_302600_NS10device_ptrIlEEjNS1_19radix_merge_compareILb0ELb0ElNS0_19identity_decomposerEEEEE10hipError_tT0_T1_T2_jT3_P12ihipStream_tbPNSt15iterator_traitsISG_E10value_typeEPNSM_ISH_E10value_typeEPSI_NS1_7vsmem_tEENKUlT_SG_SH_SI_E_clIS7_S7_S7_SB_EESF_SV_SG_SH_SI_EUlSV_E1_NS1_11comp_targetILNS1_3genE8ELNS1_11target_archE1030ELNS1_3gpuE2ELNS1_3repE0EEENS1_36merge_oddeven_config_static_selectorELNS0_4arch9wavefront6targetE1EEEvSH_
		.amdhsa_group_segment_fixed_size 0
		.amdhsa_private_segment_fixed_size 0
		.amdhsa_kernarg_size 48
		.amdhsa_user_sgpr_count 6
		.amdhsa_user_sgpr_private_segment_buffer 1
		.amdhsa_user_sgpr_dispatch_ptr 0
		.amdhsa_user_sgpr_queue_ptr 0
		.amdhsa_user_sgpr_kernarg_segment_ptr 1
		.amdhsa_user_sgpr_dispatch_id 0
		.amdhsa_user_sgpr_flat_scratch_init 0
		.amdhsa_user_sgpr_kernarg_preload_length 0
		.amdhsa_user_sgpr_kernarg_preload_offset 0
		.amdhsa_user_sgpr_private_segment_size 0
		.amdhsa_uses_dynamic_stack 0
		.amdhsa_system_sgpr_private_segment_wavefront_offset 0
		.amdhsa_system_sgpr_workgroup_id_x 1
		.amdhsa_system_sgpr_workgroup_id_y 0
		.amdhsa_system_sgpr_workgroup_id_z 0
		.amdhsa_system_sgpr_workgroup_info 0
		.amdhsa_system_vgpr_workitem_id 0
		.amdhsa_next_free_vgpr 1
		.amdhsa_next_free_sgpr 0
		.amdhsa_accum_offset 4
		.amdhsa_reserve_vcc 0
		.amdhsa_reserve_flat_scratch 0
		.amdhsa_float_round_mode_32 0
		.amdhsa_float_round_mode_16_64 0
		.amdhsa_float_denorm_mode_32 3
		.amdhsa_float_denorm_mode_16_64 3
		.amdhsa_dx10_clamp 1
		.amdhsa_ieee_mode 1
		.amdhsa_fp16_overflow 0
		.amdhsa_tg_split 0
		.amdhsa_exception_fp_ieee_invalid_op 0
		.amdhsa_exception_fp_denorm_src 0
		.amdhsa_exception_fp_ieee_div_zero 0
		.amdhsa_exception_fp_ieee_overflow 0
		.amdhsa_exception_fp_ieee_underflow 0
		.amdhsa_exception_fp_ieee_inexact 0
		.amdhsa_exception_int_div_zero 0
	.end_amdhsa_kernel
	.section	.text._ZN7rocprim17ROCPRIM_400000_NS6detail17trampoline_kernelINS0_14default_configENS1_38merge_sort_block_merge_config_selectorIllEEZZNS1_27merge_sort_block_merge_implIS3_PlN6thrust23THRUST_200600_302600_NS10device_ptrIlEEjNS1_19radix_merge_compareILb0ELb0ElNS0_19identity_decomposerEEEEE10hipError_tT0_T1_T2_jT3_P12ihipStream_tbPNSt15iterator_traitsISG_E10value_typeEPNSM_ISH_E10value_typeEPSI_NS1_7vsmem_tEENKUlT_SG_SH_SI_E_clIS7_S7_S7_SB_EESF_SV_SG_SH_SI_EUlSV_E1_NS1_11comp_targetILNS1_3genE8ELNS1_11target_archE1030ELNS1_3gpuE2ELNS1_3repE0EEENS1_36merge_oddeven_config_static_selectorELNS0_4arch9wavefront6targetE1EEEvSH_,"axG",@progbits,_ZN7rocprim17ROCPRIM_400000_NS6detail17trampoline_kernelINS0_14default_configENS1_38merge_sort_block_merge_config_selectorIllEEZZNS1_27merge_sort_block_merge_implIS3_PlN6thrust23THRUST_200600_302600_NS10device_ptrIlEEjNS1_19radix_merge_compareILb0ELb0ElNS0_19identity_decomposerEEEEE10hipError_tT0_T1_T2_jT3_P12ihipStream_tbPNSt15iterator_traitsISG_E10value_typeEPNSM_ISH_E10value_typeEPSI_NS1_7vsmem_tEENKUlT_SG_SH_SI_E_clIS7_S7_S7_SB_EESF_SV_SG_SH_SI_EUlSV_E1_NS1_11comp_targetILNS1_3genE8ELNS1_11target_archE1030ELNS1_3gpuE2ELNS1_3repE0EEENS1_36merge_oddeven_config_static_selectorELNS0_4arch9wavefront6targetE1EEEvSH_,comdat
.Lfunc_end1033:
	.size	_ZN7rocprim17ROCPRIM_400000_NS6detail17trampoline_kernelINS0_14default_configENS1_38merge_sort_block_merge_config_selectorIllEEZZNS1_27merge_sort_block_merge_implIS3_PlN6thrust23THRUST_200600_302600_NS10device_ptrIlEEjNS1_19radix_merge_compareILb0ELb0ElNS0_19identity_decomposerEEEEE10hipError_tT0_T1_T2_jT3_P12ihipStream_tbPNSt15iterator_traitsISG_E10value_typeEPNSM_ISH_E10value_typeEPSI_NS1_7vsmem_tEENKUlT_SG_SH_SI_E_clIS7_S7_S7_SB_EESF_SV_SG_SH_SI_EUlSV_E1_NS1_11comp_targetILNS1_3genE8ELNS1_11target_archE1030ELNS1_3gpuE2ELNS1_3repE0EEENS1_36merge_oddeven_config_static_selectorELNS0_4arch9wavefront6targetE1EEEvSH_, .Lfunc_end1033-_ZN7rocprim17ROCPRIM_400000_NS6detail17trampoline_kernelINS0_14default_configENS1_38merge_sort_block_merge_config_selectorIllEEZZNS1_27merge_sort_block_merge_implIS3_PlN6thrust23THRUST_200600_302600_NS10device_ptrIlEEjNS1_19radix_merge_compareILb0ELb0ElNS0_19identity_decomposerEEEEE10hipError_tT0_T1_T2_jT3_P12ihipStream_tbPNSt15iterator_traitsISG_E10value_typeEPNSM_ISH_E10value_typeEPSI_NS1_7vsmem_tEENKUlT_SG_SH_SI_E_clIS7_S7_S7_SB_EESF_SV_SG_SH_SI_EUlSV_E1_NS1_11comp_targetILNS1_3genE8ELNS1_11target_archE1030ELNS1_3gpuE2ELNS1_3repE0EEENS1_36merge_oddeven_config_static_selectorELNS0_4arch9wavefront6targetE1EEEvSH_
                                        ; -- End function
	.section	.AMDGPU.csdata,"",@progbits
; Kernel info:
; codeLenInByte = 0
; NumSgprs: 4
; NumVgprs: 0
; NumAgprs: 0
; TotalNumVgprs: 0
; ScratchSize: 0
; MemoryBound: 0
; FloatMode: 240
; IeeeMode: 1
; LDSByteSize: 0 bytes/workgroup (compile time only)
; SGPRBlocks: 0
; VGPRBlocks: 0
; NumSGPRsForWavesPerEU: 4
; NumVGPRsForWavesPerEU: 1
; AccumOffset: 4
; Occupancy: 8
; WaveLimiterHint : 0
; COMPUTE_PGM_RSRC2:SCRATCH_EN: 0
; COMPUTE_PGM_RSRC2:USER_SGPR: 6
; COMPUTE_PGM_RSRC2:TRAP_HANDLER: 0
; COMPUTE_PGM_RSRC2:TGID_X_EN: 1
; COMPUTE_PGM_RSRC2:TGID_Y_EN: 0
; COMPUTE_PGM_RSRC2:TGID_Z_EN: 0
; COMPUTE_PGM_RSRC2:TIDIG_COMP_CNT: 0
; COMPUTE_PGM_RSRC3_GFX90A:ACCUM_OFFSET: 0
; COMPUTE_PGM_RSRC3_GFX90A:TG_SPLIT: 0
	.section	.text._ZN7rocprim17ROCPRIM_400000_NS6detail17trampoline_kernelINS0_14default_configENS1_38merge_sort_block_merge_config_selectorIllEEZZNS1_27merge_sort_block_merge_implIS3_PlN6thrust23THRUST_200600_302600_NS10device_ptrIlEEjNS1_19radix_merge_compareILb0ELb0ElNS0_19identity_decomposerEEEEE10hipError_tT0_T1_T2_jT3_P12ihipStream_tbPNSt15iterator_traitsISG_E10value_typeEPNSM_ISH_E10value_typeEPSI_NS1_7vsmem_tEENKUlT_SG_SH_SI_E_clIS7_S7_SB_S7_EESF_SV_SG_SH_SI_EUlSV_E_NS1_11comp_targetILNS1_3genE0ELNS1_11target_archE4294967295ELNS1_3gpuE0ELNS1_3repE0EEENS1_48merge_mergepath_partition_config_static_selectorELNS0_4arch9wavefront6targetE1EEEvSH_,"axG",@progbits,_ZN7rocprim17ROCPRIM_400000_NS6detail17trampoline_kernelINS0_14default_configENS1_38merge_sort_block_merge_config_selectorIllEEZZNS1_27merge_sort_block_merge_implIS3_PlN6thrust23THRUST_200600_302600_NS10device_ptrIlEEjNS1_19radix_merge_compareILb0ELb0ElNS0_19identity_decomposerEEEEE10hipError_tT0_T1_T2_jT3_P12ihipStream_tbPNSt15iterator_traitsISG_E10value_typeEPNSM_ISH_E10value_typeEPSI_NS1_7vsmem_tEENKUlT_SG_SH_SI_E_clIS7_S7_SB_S7_EESF_SV_SG_SH_SI_EUlSV_E_NS1_11comp_targetILNS1_3genE0ELNS1_11target_archE4294967295ELNS1_3gpuE0ELNS1_3repE0EEENS1_48merge_mergepath_partition_config_static_selectorELNS0_4arch9wavefront6targetE1EEEvSH_,comdat
	.protected	_ZN7rocprim17ROCPRIM_400000_NS6detail17trampoline_kernelINS0_14default_configENS1_38merge_sort_block_merge_config_selectorIllEEZZNS1_27merge_sort_block_merge_implIS3_PlN6thrust23THRUST_200600_302600_NS10device_ptrIlEEjNS1_19radix_merge_compareILb0ELb0ElNS0_19identity_decomposerEEEEE10hipError_tT0_T1_T2_jT3_P12ihipStream_tbPNSt15iterator_traitsISG_E10value_typeEPNSM_ISH_E10value_typeEPSI_NS1_7vsmem_tEENKUlT_SG_SH_SI_E_clIS7_S7_SB_S7_EESF_SV_SG_SH_SI_EUlSV_E_NS1_11comp_targetILNS1_3genE0ELNS1_11target_archE4294967295ELNS1_3gpuE0ELNS1_3repE0EEENS1_48merge_mergepath_partition_config_static_selectorELNS0_4arch9wavefront6targetE1EEEvSH_ ; -- Begin function _ZN7rocprim17ROCPRIM_400000_NS6detail17trampoline_kernelINS0_14default_configENS1_38merge_sort_block_merge_config_selectorIllEEZZNS1_27merge_sort_block_merge_implIS3_PlN6thrust23THRUST_200600_302600_NS10device_ptrIlEEjNS1_19radix_merge_compareILb0ELb0ElNS0_19identity_decomposerEEEEE10hipError_tT0_T1_T2_jT3_P12ihipStream_tbPNSt15iterator_traitsISG_E10value_typeEPNSM_ISH_E10value_typeEPSI_NS1_7vsmem_tEENKUlT_SG_SH_SI_E_clIS7_S7_SB_S7_EESF_SV_SG_SH_SI_EUlSV_E_NS1_11comp_targetILNS1_3genE0ELNS1_11target_archE4294967295ELNS1_3gpuE0ELNS1_3repE0EEENS1_48merge_mergepath_partition_config_static_selectorELNS0_4arch9wavefront6targetE1EEEvSH_
	.globl	_ZN7rocprim17ROCPRIM_400000_NS6detail17trampoline_kernelINS0_14default_configENS1_38merge_sort_block_merge_config_selectorIllEEZZNS1_27merge_sort_block_merge_implIS3_PlN6thrust23THRUST_200600_302600_NS10device_ptrIlEEjNS1_19radix_merge_compareILb0ELb0ElNS0_19identity_decomposerEEEEE10hipError_tT0_T1_T2_jT3_P12ihipStream_tbPNSt15iterator_traitsISG_E10value_typeEPNSM_ISH_E10value_typeEPSI_NS1_7vsmem_tEENKUlT_SG_SH_SI_E_clIS7_S7_SB_S7_EESF_SV_SG_SH_SI_EUlSV_E_NS1_11comp_targetILNS1_3genE0ELNS1_11target_archE4294967295ELNS1_3gpuE0ELNS1_3repE0EEENS1_48merge_mergepath_partition_config_static_selectorELNS0_4arch9wavefront6targetE1EEEvSH_
	.p2align	8
	.type	_ZN7rocprim17ROCPRIM_400000_NS6detail17trampoline_kernelINS0_14default_configENS1_38merge_sort_block_merge_config_selectorIllEEZZNS1_27merge_sort_block_merge_implIS3_PlN6thrust23THRUST_200600_302600_NS10device_ptrIlEEjNS1_19radix_merge_compareILb0ELb0ElNS0_19identity_decomposerEEEEE10hipError_tT0_T1_T2_jT3_P12ihipStream_tbPNSt15iterator_traitsISG_E10value_typeEPNSM_ISH_E10value_typeEPSI_NS1_7vsmem_tEENKUlT_SG_SH_SI_E_clIS7_S7_SB_S7_EESF_SV_SG_SH_SI_EUlSV_E_NS1_11comp_targetILNS1_3genE0ELNS1_11target_archE4294967295ELNS1_3gpuE0ELNS1_3repE0EEENS1_48merge_mergepath_partition_config_static_selectorELNS0_4arch9wavefront6targetE1EEEvSH_,@function
_ZN7rocprim17ROCPRIM_400000_NS6detail17trampoline_kernelINS0_14default_configENS1_38merge_sort_block_merge_config_selectorIllEEZZNS1_27merge_sort_block_merge_implIS3_PlN6thrust23THRUST_200600_302600_NS10device_ptrIlEEjNS1_19radix_merge_compareILb0ELb0ElNS0_19identity_decomposerEEEEE10hipError_tT0_T1_T2_jT3_P12ihipStream_tbPNSt15iterator_traitsISG_E10value_typeEPNSM_ISH_E10value_typeEPSI_NS1_7vsmem_tEENKUlT_SG_SH_SI_E_clIS7_S7_SB_S7_EESF_SV_SG_SH_SI_EUlSV_E_NS1_11comp_targetILNS1_3genE0ELNS1_11target_archE4294967295ELNS1_3gpuE0ELNS1_3repE0EEENS1_48merge_mergepath_partition_config_static_selectorELNS0_4arch9wavefront6targetE1EEEvSH_: ; @_ZN7rocprim17ROCPRIM_400000_NS6detail17trampoline_kernelINS0_14default_configENS1_38merge_sort_block_merge_config_selectorIllEEZZNS1_27merge_sort_block_merge_implIS3_PlN6thrust23THRUST_200600_302600_NS10device_ptrIlEEjNS1_19radix_merge_compareILb0ELb0ElNS0_19identity_decomposerEEEEE10hipError_tT0_T1_T2_jT3_P12ihipStream_tbPNSt15iterator_traitsISG_E10value_typeEPNSM_ISH_E10value_typeEPSI_NS1_7vsmem_tEENKUlT_SG_SH_SI_E_clIS7_S7_SB_S7_EESF_SV_SG_SH_SI_EUlSV_E_NS1_11comp_targetILNS1_3genE0ELNS1_11target_archE4294967295ELNS1_3gpuE0ELNS1_3repE0EEENS1_48merge_mergepath_partition_config_static_selectorELNS0_4arch9wavefront6targetE1EEEvSH_
; %bb.0:
	.section	.rodata,"a",@progbits
	.p2align	6, 0x0
	.amdhsa_kernel _ZN7rocprim17ROCPRIM_400000_NS6detail17trampoline_kernelINS0_14default_configENS1_38merge_sort_block_merge_config_selectorIllEEZZNS1_27merge_sort_block_merge_implIS3_PlN6thrust23THRUST_200600_302600_NS10device_ptrIlEEjNS1_19radix_merge_compareILb0ELb0ElNS0_19identity_decomposerEEEEE10hipError_tT0_T1_T2_jT3_P12ihipStream_tbPNSt15iterator_traitsISG_E10value_typeEPNSM_ISH_E10value_typeEPSI_NS1_7vsmem_tEENKUlT_SG_SH_SI_E_clIS7_S7_SB_S7_EESF_SV_SG_SH_SI_EUlSV_E_NS1_11comp_targetILNS1_3genE0ELNS1_11target_archE4294967295ELNS1_3gpuE0ELNS1_3repE0EEENS1_48merge_mergepath_partition_config_static_selectorELNS0_4arch9wavefront6targetE1EEEvSH_
		.amdhsa_group_segment_fixed_size 0
		.amdhsa_private_segment_fixed_size 0
		.amdhsa_kernarg_size 40
		.amdhsa_user_sgpr_count 6
		.amdhsa_user_sgpr_private_segment_buffer 1
		.amdhsa_user_sgpr_dispatch_ptr 0
		.amdhsa_user_sgpr_queue_ptr 0
		.amdhsa_user_sgpr_kernarg_segment_ptr 1
		.amdhsa_user_sgpr_dispatch_id 0
		.amdhsa_user_sgpr_flat_scratch_init 0
		.amdhsa_user_sgpr_kernarg_preload_length 0
		.amdhsa_user_sgpr_kernarg_preload_offset 0
		.amdhsa_user_sgpr_private_segment_size 0
		.amdhsa_uses_dynamic_stack 0
		.amdhsa_system_sgpr_private_segment_wavefront_offset 0
		.amdhsa_system_sgpr_workgroup_id_x 1
		.amdhsa_system_sgpr_workgroup_id_y 0
		.amdhsa_system_sgpr_workgroup_id_z 0
		.amdhsa_system_sgpr_workgroup_info 0
		.amdhsa_system_vgpr_workitem_id 0
		.amdhsa_next_free_vgpr 1
		.amdhsa_next_free_sgpr 0
		.amdhsa_accum_offset 4
		.amdhsa_reserve_vcc 0
		.amdhsa_reserve_flat_scratch 0
		.amdhsa_float_round_mode_32 0
		.amdhsa_float_round_mode_16_64 0
		.amdhsa_float_denorm_mode_32 3
		.amdhsa_float_denorm_mode_16_64 3
		.amdhsa_dx10_clamp 1
		.amdhsa_ieee_mode 1
		.amdhsa_fp16_overflow 0
		.amdhsa_tg_split 0
		.amdhsa_exception_fp_ieee_invalid_op 0
		.amdhsa_exception_fp_denorm_src 0
		.amdhsa_exception_fp_ieee_div_zero 0
		.amdhsa_exception_fp_ieee_overflow 0
		.amdhsa_exception_fp_ieee_underflow 0
		.amdhsa_exception_fp_ieee_inexact 0
		.amdhsa_exception_int_div_zero 0
	.end_amdhsa_kernel
	.section	.text._ZN7rocprim17ROCPRIM_400000_NS6detail17trampoline_kernelINS0_14default_configENS1_38merge_sort_block_merge_config_selectorIllEEZZNS1_27merge_sort_block_merge_implIS3_PlN6thrust23THRUST_200600_302600_NS10device_ptrIlEEjNS1_19radix_merge_compareILb0ELb0ElNS0_19identity_decomposerEEEEE10hipError_tT0_T1_T2_jT3_P12ihipStream_tbPNSt15iterator_traitsISG_E10value_typeEPNSM_ISH_E10value_typeEPSI_NS1_7vsmem_tEENKUlT_SG_SH_SI_E_clIS7_S7_SB_S7_EESF_SV_SG_SH_SI_EUlSV_E_NS1_11comp_targetILNS1_3genE0ELNS1_11target_archE4294967295ELNS1_3gpuE0ELNS1_3repE0EEENS1_48merge_mergepath_partition_config_static_selectorELNS0_4arch9wavefront6targetE1EEEvSH_,"axG",@progbits,_ZN7rocprim17ROCPRIM_400000_NS6detail17trampoline_kernelINS0_14default_configENS1_38merge_sort_block_merge_config_selectorIllEEZZNS1_27merge_sort_block_merge_implIS3_PlN6thrust23THRUST_200600_302600_NS10device_ptrIlEEjNS1_19radix_merge_compareILb0ELb0ElNS0_19identity_decomposerEEEEE10hipError_tT0_T1_T2_jT3_P12ihipStream_tbPNSt15iterator_traitsISG_E10value_typeEPNSM_ISH_E10value_typeEPSI_NS1_7vsmem_tEENKUlT_SG_SH_SI_E_clIS7_S7_SB_S7_EESF_SV_SG_SH_SI_EUlSV_E_NS1_11comp_targetILNS1_3genE0ELNS1_11target_archE4294967295ELNS1_3gpuE0ELNS1_3repE0EEENS1_48merge_mergepath_partition_config_static_selectorELNS0_4arch9wavefront6targetE1EEEvSH_,comdat
.Lfunc_end1034:
	.size	_ZN7rocprim17ROCPRIM_400000_NS6detail17trampoline_kernelINS0_14default_configENS1_38merge_sort_block_merge_config_selectorIllEEZZNS1_27merge_sort_block_merge_implIS3_PlN6thrust23THRUST_200600_302600_NS10device_ptrIlEEjNS1_19radix_merge_compareILb0ELb0ElNS0_19identity_decomposerEEEEE10hipError_tT0_T1_T2_jT3_P12ihipStream_tbPNSt15iterator_traitsISG_E10value_typeEPNSM_ISH_E10value_typeEPSI_NS1_7vsmem_tEENKUlT_SG_SH_SI_E_clIS7_S7_SB_S7_EESF_SV_SG_SH_SI_EUlSV_E_NS1_11comp_targetILNS1_3genE0ELNS1_11target_archE4294967295ELNS1_3gpuE0ELNS1_3repE0EEENS1_48merge_mergepath_partition_config_static_selectorELNS0_4arch9wavefront6targetE1EEEvSH_, .Lfunc_end1034-_ZN7rocprim17ROCPRIM_400000_NS6detail17trampoline_kernelINS0_14default_configENS1_38merge_sort_block_merge_config_selectorIllEEZZNS1_27merge_sort_block_merge_implIS3_PlN6thrust23THRUST_200600_302600_NS10device_ptrIlEEjNS1_19radix_merge_compareILb0ELb0ElNS0_19identity_decomposerEEEEE10hipError_tT0_T1_T2_jT3_P12ihipStream_tbPNSt15iterator_traitsISG_E10value_typeEPNSM_ISH_E10value_typeEPSI_NS1_7vsmem_tEENKUlT_SG_SH_SI_E_clIS7_S7_SB_S7_EESF_SV_SG_SH_SI_EUlSV_E_NS1_11comp_targetILNS1_3genE0ELNS1_11target_archE4294967295ELNS1_3gpuE0ELNS1_3repE0EEENS1_48merge_mergepath_partition_config_static_selectorELNS0_4arch9wavefront6targetE1EEEvSH_
                                        ; -- End function
	.section	.AMDGPU.csdata,"",@progbits
; Kernel info:
; codeLenInByte = 0
; NumSgprs: 4
; NumVgprs: 0
; NumAgprs: 0
; TotalNumVgprs: 0
; ScratchSize: 0
; MemoryBound: 0
; FloatMode: 240
; IeeeMode: 1
; LDSByteSize: 0 bytes/workgroup (compile time only)
; SGPRBlocks: 0
; VGPRBlocks: 0
; NumSGPRsForWavesPerEU: 4
; NumVGPRsForWavesPerEU: 1
; AccumOffset: 4
; Occupancy: 8
; WaveLimiterHint : 0
; COMPUTE_PGM_RSRC2:SCRATCH_EN: 0
; COMPUTE_PGM_RSRC2:USER_SGPR: 6
; COMPUTE_PGM_RSRC2:TRAP_HANDLER: 0
; COMPUTE_PGM_RSRC2:TGID_X_EN: 1
; COMPUTE_PGM_RSRC2:TGID_Y_EN: 0
; COMPUTE_PGM_RSRC2:TGID_Z_EN: 0
; COMPUTE_PGM_RSRC2:TIDIG_COMP_CNT: 0
; COMPUTE_PGM_RSRC3_GFX90A:ACCUM_OFFSET: 0
; COMPUTE_PGM_RSRC3_GFX90A:TG_SPLIT: 0
	.section	.text._ZN7rocprim17ROCPRIM_400000_NS6detail17trampoline_kernelINS0_14default_configENS1_38merge_sort_block_merge_config_selectorIllEEZZNS1_27merge_sort_block_merge_implIS3_PlN6thrust23THRUST_200600_302600_NS10device_ptrIlEEjNS1_19radix_merge_compareILb0ELb0ElNS0_19identity_decomposerEEEEE10hipError_tT0_T1_T2_jT3_P12ihipStream_tbPNSt15iterator_traitsISG_E10value_typeEPNSM_ISH_E10value_typeEPSI_NS1_7vsmem_tEENKUlT_SG_SH_SI_E_clIS7_S7_SB_S7_EESF_SV_SG_SH_SI_EUlSV_E_NS1_11comp_targetILNS1_3genE10ELNS1_11target_archE1201ELNS1_3gpuE5ELNS1_3repE0EEENS1_48merge_mergepath_partition_config_static_selectorELNS0_4arch9wavefront6targetE1EEEvSH_,"axG",@progbits,_ZN7rocprim17ROCPRIM_400000_NS6detail17trampoline_kernelINS0_14default_configENS1_38merge_sort_block_merge_config_selectorIllEEZZNS1_27merge_sort_block_merge_implIS3_PlN6thrust23THRUST_200600_302600_NS10device_ptrIlEEjNS1_19radix_merge_compareILb0ELb0ElNS0_19identity_decomposerEEEEE10hipError_tT0_T1_T2_jT3_P12ihipStream_tbPNSt15iterator_traitsISG_E10value_typeEPNSM_ISH_E10value_typeEPSI_NS1_7vsmem_tEENKUlT_SG_SH_SI_E_clIS7_S7_SB_S7_EESF_SV_SG_SH_SI_EUlSV_E_NS1_11comp_targetILNS1_3genE10ELNS1_11target_archE1201ELNS1_3gpuE5ELNS1_3repE0EEENS1_48merge_mergepath_partition_config_static_selectorELNS0_4arch9wavefront6targetE1EEEvSH_,comdat
	.protected	_ZN7rocprim17ROCPRIM_400000_NS6detail17trampoline_kernelINS0_14default_configENS1_38merge_sort_block_merge_config_selectorIllEEZZNS1_27merge_sort_block_merge_implIS3_PlN6thrust23THRUST_200600_302600_NS10device_ptrIlEEjNS1_19radix_merge_compareILb0ELb0ElNS0_19identity_decomposerEEEEE10hipError_tT0_T1_T2_jT3_P12ihipStream_tbPNSt15iterator_traitsISG_E10value_typeEPNSM_ISH_E10value_typeEPSI_NS1_7vsmem_tEENKUlT_SG_SH_SI_E_clIS7_S7_SB_S7_EESF_SV_SG_SH_SI_EUlSV_E_NS1_11comp_targetILNS1_3genE10ELNS1_11target_archE1201ELNS1_3gpuE5ELNS1_3repE0EEENS1_48merge_mergepath_partition_config_static_selectorELNS0_4arch9wavefront6targetE1EEEvSH_ ; -- Begin function _ZN7rocprim17ROCPRIM_400000_NS6detail17trampoline_kernelINS0_14default_configENS1_38merge_sort_block_merge_config_selectorIllEEZZNS1_27merge_sort_block_merge_implIS3_PlN6thrust23THRUST_200600_302600_NS10device_ptrIlEEjNS1_19radix_merge_compareILb0ELb0ElNS0_19identity_decomposerEEEEE10hipError_tT0_T1_T2_jT3_P12ihipStream_tbPNSt15iterator_traitsISG_E10value_typeEPNSM_ISH_E10value_typeEPSI_NS1_7vsmem_tEENKUlT_SG_SH_SI_E_clIS7_S7_SB_S7_EESF_SV_SG_SH_SI_EUlSV_E_NS1_11comp_targetILNS1_3genE10ELNS1_11target_archE1201ELNS1_3gpuE5ELNS1_3repE0EEENS1_48merge_mergepath_partition_config_static_selectorELNS0_4arch9wavefront6targetE1EEEvSH_
	.globl	_ZN7rocprim17ROCPRIM_400000_NS6detail17trampoline_kernelINS0_14default_configENS1_38merge_sort_block_merge_config_selectorIllEEZZNS1_27merge_sort_block_merge_implIS3_PlN6thrust23THRUST_200600_302600_NS10device_ptrIlEEjNS1_19radix_merge_compareILb0ELb0ElNS0_19identity_decomposerEEEEE10hipError_tT0_T1_T2_jT3_P12ihipStream_tbPNSt15iterator_traitsISG_E10value_typeEPNSM_ISH_E10value_typeEPSI_NS1_7vsmem_tEENKUlT_SG_SH_SI_E_clIS7_S7_SB_S7_EESF_SV_SG_SH_SI_EUlSV_E_NS1_11comp_targetILNS1_3genE10ELNS1_11target_archE1201ELNS1_3gpuE5ELNS1_3repE0EEENS1_48merge_mergepath_partition_config_static_selectorELNS0_4arch9wavefront6targetE1EEEvSH_
	.p2align	8
	.type	_ZN7rocprim17ROCPRIM_400000_NS6detail17trampoline_kernelINS0_14default_configENS1_38merge_sort_block_merge_config_selectorIllEEZZNS1_27merge_sort_block_merge_implIS3_PlN6thrust23THRUST_200600_302600_NS10device_ptrIlEEjNS1_19radix_merge_compareILb0ELb0ElNS0_19identity_decomposerEEEEE10hipError_tT0_T1_T2_jT3_P12ihipStream_tbPNSt15iterator_traitsISG_E10value_typeEPNSM_ISH_E10value_typeEPSI_NS1_7vsmem_tEENKUlT_SG_SH_SI_E_clIS7_S7_SB_S7_EESF_SV_SG_SH_SI_EUlSV_E_NS1_11comp_targetILNS1_3genE10ELNS1_11target_archE1201ELNS1_3gpuE5ELNS1_3repE0EEENS1_48merge_mergepath_partition_config_static_selectorELNS0_4arch9wavefront6targetE1EEEvSH_,@function
_ZN7rocprim17ROCPRIM_400000_NS6detail17trampoline_kernelINS0_14default_configENS1_38merge_sort_block_merge_config_selectorIllEEZZNS1_27merge_sort_block_merge_implIS3_PlN6thrust23THRUST_200600_302600_NS10device_ptrIlEEjNS1_19radix_merge_compareILb0ELb0ElNS0_19identity_decomposerEEEEE10hipError_tT0_T1_T2_jT3_P12ihipStream_tbPNSt15iterator_traitsISG_E10value_typeEPNSM_ISH_E10value_typeEPSI_NS1_7vsmem_tEENKUlT_SG_SH_SI_E_clIS7_S7_SB_S7_EESF_SV_SG_SH_SI_EUlSV_E_NS1_11comp_targetILNS1_3genE10ELNS1_11target_archE1201ELNS1_3gpuE5ELNS1_3repE0EEENS1_48merge_mergepath_partition_config_static_selectorELNS0_4arch9wavefront6targetE1EEEvSH_: ; @_ZN7rocprim17ROCPRIM_400000_NS6detail17trampoline_kernelINS0_14default_configENS1_38merge_sort_block_merge_config_selectorIllEEZZNS1_27merge_sort_block_merge_implIS3_PlN6thrust23THRUST_200600_302600_NS10device_ptrIlEEjNS1_19radix_merge_compareILb0ELb0ElNS0_19identity_decomposerEEEEE10hipError_tT0_T1_T2_jT3_P12ihipStream_tbPNSt15iterator_traitsISG_E10value_typeEPNSM_ISH_E10value_typeEPSI_NS1_7vsmem_tEENKUlT_SG_SH_SI_E_clIS7_S7_SB_S7_EESF_SV_SG_SH_SI_EUlSV_E_NS1_11comp_targetILNS1_3genE10ELNS1_11target_archE1201ELNS1_3gpuE5ELNS1_3repE0EEENS1_48merge_mergepath_partition_config_static_selectorELNS0_4arch9wavefront6targetE1EEEvSH_
; %bb.0:
	.section	.rodata,"a",@progbits
	.p2align	6, 0x0
	.amdhsa_kernel _ZN7rocprim17ROCPRIM_400000_NS6detail17trampoline_kernelINS0_14default_configENS1_38merge_sort_block_merge_config_selectorIllEEZZNS1_27merge_sort_block_merge_implIS3_PlN6thrust23THRUST_200600_302600_NS10device_ptrIlEEjNS1_19radix_merge_compareILb0ELb0ElNS0_19identity_decomposerEEEEE10hipError_tT0_T1_T2_jT3_P12ihipStream_tbPNSt15iterator_traitsISG_E10value_typeEPNSM_ISH_E10value_typeEPSI_NS1_7vsmem_tEENKUlT_SG_SH_SI_E_clIS7_S7_SB_S7_EESF_SV_SG_SH_SI_EUlSV_E_NS1_11comp_targetILNS1_3genE10ELNS1_11target_archE1201ELNS1_3gpuE5ELNS1_3repE0EEENS1_48merge_mergepath_partition_config_static_selectorELNS0_4arch9wavefront6targetE1EEEvSH_
		.amdhsa_group_segment_fixed_size 0
		.amdhsa_private_segment_fixed_size 0
		.amdhsa_kernarg_size 40
		.amdhsa_user_sgpr_count 6
		.amdhsa_user_sgpr_private_segment_buffer 1
		.amdhsa_user_sgpr_dispatch_ptr 0
		.amdhsa_user_sgpr_queue_ptr 0
		.amdhsa_user_sgpr_kernarg_segment_ptr 1
		.amdhsa_user_sgpr_dispatch_id 0
		.amdhsa_user_sgpr_flat_scratch_init 0
		.amdhsa_user_sgpr_kernarg_preload_length 0
		.amdhsa_user_sgpr_kernarg_preload_offset 0
		.amdhsa_user_sgpr_private_segment_size 0
		.amdhsa_uses_dynamic_stack 0
		.amdhsa_system_sgpr_private_segment_wavefront_offset 0
		.amdhsa_system_sgpr_workgroup_id_x 1
		.amdhsa_system_sgpr_workgroup_id_y 0
		.amdhsa_system_sgpr_workgroup_id_z 0
		.amdhsa_system_sgpr_workgroup_info 0
		.amdhsa_system_vgpr_workitem_id 0
		.amdhsa_next_free_vgpr 1
		.amdhsa_next_free_sgpr 0
		.amdhsa_accum_offset 4
		.amdhsa_reserve_vcc 0
		.amdhsa_reserve_flat_scratch 0
		.amdhsa_float_round_mode_32 0
		.amdhsa_float_round_mode_16_64 0
		.amdhsa_float_denorm_mode_32 3
		.amdhsa_float_denorm_mode_16_64 3
		.amdhsa_dx10_clamp 1
		.amdhsa_ieee_mode 1
		.amdhsa_fp16_overflow 0
		.amdhsa_tg_split 0
		.amdhsa_exception_fp_ieee_invalid_op 0
		.amdhsa_exception_fp_denorm_src 0
		.amdhsa_exception_fp_ieee_div_zero 0
		.amdhsa_exception_fp_ieee_overflow 0
		.amdhsa_exception_fp_ieee_underflow 0
		.amdhsa_exception_fp_ieee_inexact 0
		.amdhsa_exception_int_div_zero 0
	.end_amdhsa_kernel
	.section	.text._ZN7rocprim17ROCPRIM_400000_NS6detail17trampoline_kernelINS0_14default_configENS1_38merge_sort_block_merge_config_selectorIllEEZZNS1_27merge_sort_block_merge_implIS3_PlN6thrust23THRUST_200600_302600_NS10device_ptrIlEEjNS1_19radix_merge_compareILb0ELb0ElNS0_19identity_decomposerEEEEE10hipError_tT0_T1_T2_jT3_P12ihipStream_tbPNSt15iterator_traitsISG_E10value_typeEPNSM_ISH_E10value_typeEPSI_NS1_7vsmem_tEENKUlT_SG_SH_SI_E_clIS7_S7_SB_S7_EESF_SV_SG_SH_SI_EUlSV_E_NS1_11comp_targetILNS1_3genE10ELNS1_11target_archE1201ELNS1_3gpuE5ELNS1_3repE0EEENS1_48merge_mergepath_partition_config_static_selectorELNS0_4arch9wavefront6targetE1EEEvSH_,"axG",@progbits,_ZN7rocprim17ROCPRIM_400000_NS6detail17trampoline_kernelINS0_14default_configENS1_38merge_sort_block_merge_config_selectorIllEEZZNS1_27merge_sort_block_merge_implIS3_PlN6thrust23THRUST_200600_302600_NS10device_ptrIlEEjNS1_19radix_merge_compareILb0ELb0ElNS0_19identity_decomposerEEEEE10hipError_tT0_T1_T2_jT3_P12ihipStream_tbPNSt15iterator_traitsISG_E10value_typeEPNSM_ISH_E10value_typeEPSI_NS1_7vsmem_tEENKUlT_SG_SH_SI_E_clIS7_S7_SB_S7_EESF_SV_SG_SH_SI_EUlSV_E_NS1_11comp_targetILNS1_3genE10ELNS1_11target_archE1201ELNS1_3gpuE5ELNS1_3repE0EEENS1_48merge_mergepath_partition_config_static_selectorELNS0_4arch9wavefront6targetE1EEEvSH_,comdat
.Lfunc_end1035:
	.size	_ZN7rocprim17ROCPRIM_400000_NS6detail17trampoline_kernelINS0_14default_configENS1_38merge_sort_block_merge_config_selectorIllEEZZNS1_27merge_sort_block_merge_implIS3_PlN6thrust23THRUST_200600_302600_NS10device_ptrIlEEjNS1_19radix_merge_compareILb0ELb0ElNS0_19identity_decomposerEEEEE10hipError_tT0_T1_T2_jT3_P12ihipStream_tbPNSt15iterator_traitsISG_E10value_typeEPNSM_ISH_E10value_typeEPSI_NS1_7vsmem_tEENKUlT_SG_SH_SI_E_clIS7_S7_SB_S7_EESF_SV_SG_SH_SI_EUlSV_E_NS1_11comp_targetILNS1_3genE10ELNS1_11target_archE1201ELNS1_3gpuE5ELNS1_3repE0EEENS1_48merge_mergepath_partition_config_static_selectorELNS0_4arch9wavefront6targetE1EEEvSH_, .Lfunc_end1035-_ZN7rocprim17ROCPRIM_400000_NS6detail17trampoline_kernelINS0_14default_configENS1_38merge_sort_block_merge_config_selectorIllEEZZNS1_27merge_sort_block_merge_implIS3_PlN6thrust23THRUST_200600_302600_NS10device_ptrIlEEjNS1_19radix_merge_compareILb0ELb0ElNS0_19identity_decomposerEEEEE10hipError_tT0_T1_T2_jT3_P12ihipStream_tbPNSt15iterator_traitsISG_E10value_typeEPNSM_ISH_E10value_typeEPSI_NS1_7vsmem_tEENKUlT_SG_SH_SI_E_clIS7_S7_SB_S7_EESF_SV_SG_SH_SI_EUlSV_E_NS1_11comp_targetILNS1_3genE10ELNS1_11target_archE1201ELNS1_3gpuE5ELNS1_3repE0EEENS1_48merge_mergepath_partition_config_static_selectorELNS0_4arch9wavefront6targetE1EEEvSH_
                                        ; -- End function
	.section	.AMDGPU.csdata,"",@progbits
; Kernel info:
; codeLenInByte = 0
; NumSgprs: 4
; NumVgprs: 0
; NumAgprs: 0
; TotalNumVgprs: 0
; ScratchSize: 0
; MemoryBound: 0
; FloatMode: 240
; IeeeMode: 1
; LDSByteSize: 0 bytes/workgroup (compile time only)
; SGPRBlocks: 0
; VGPRBlocks: 0
; NumSGPRsForWavesPerEU: 4
; NumVGPRsForWavesPerEU: 1
; AccumOffset: 4
; Occupancy: 8
; WaveLimiterHint : 0
; COMPUTE_PGM_RSRC2:SCRATCH_EN: 0
; COMPUTE_PGM_RSRC2:USER_SGPR: 6
; COMPUTE_PGM_RSRC2:TRAP_HANDLER: 0
; COMPUTE_PGM_RSRC2:TGID_X_EN: 1
; COMPUTE_PGM_RSRC2:TGID_Y_EN: 0
; COMPUTE_PGM_RSRC2:TGID_Z_EN: 0
; COMPUTE_PGM_RSRC2:TIDIG_COMP_CNT: 0
; COMPUTE_PGM_RSRC3_GFX90A:ACCUM_OFFSET: 0
; COMPUTE_PGM_RSRC3_GFX90A:TG_SPLIT: 0
	.section	.text._ZN7rocprim17ROCPRIM_400000_NS6detail17trampoline_kernelINS0_14default_configENS1_38merge_sort_block_merge_config_selectorIllEEZZNS1_27merge_sort_block_merge_implIS3_PlN6thrust23THRUST_200600_302600_NS10device_ptrIlEEjNS1_19radix_merge_compareILb0ELb0ElNS0_19identity_decomposerEEEEE10hipError_tT0_T1_T2_jT3_P12ihipStream_tbPNSt15iterator_traitsISG_E10value_typeEPNSM_ISH_E10value_typeEPSI_NS1_7vsmem_tEENKUlT_SG_SH_SI_E_clIS7_S7_SB_S7_EESF_SV_SG_SH_SI_EUlSV_E_NS1_11comp_targetILNS1_3genE5ELNS1_11target_archE942ELNS1_3gpuE9ELNS1_3repE0EEENS1_48merge_mergepath_partition_config_static_selectorELNS0_4arch9wavefront6targetE1EEEvSH_,"axG",@progbits,_ZN7rocprim17ROCPRIM_400000_NS6detail17trampoline_kernelINS0_14default_configENS1_38merge_sort_block_merge_config_selectorIllEEZZNS1_27merge_sort_block_merge_implIS3_PlN6thrust23THRUST_200600_302600_NS10device_ptrIlEEjNS1_19radix_merge_compareILb0ELb0ElNS0_19identity_decomposerEEEEE10hipError_tT0_T1_T2_jT3_P12ihipStream_tbPNSt15iterator_traitsISG_E10value_typeEPNSM_ISH_E10value_typeEPSI_NS1_7vsmem_tEENKUlT_SG_SH_SI_E_clIS7_S7_SB_S7_EESF_SV_SG_SH_SI_EUlSV_E_NS1_11comp_targetILNS1_3genE5ELNS1_11target_archE942ELNS1_3gpuE9ELNS1_3repE0EEENS1_48merge_mergepath_partition_config_static_selectorELNS0_4arch9wavefront6targetE1EEEvSH_,comdat
	.protected	_ZN7rocprim17ROCPRIM_400000_NS6detail17trampoline_kernelINS0_14default_configENS1_38merge_sort_block_merge_config_selectorIllEEZZNS1_27merge_sort_block_merge_implIS3_PlN6thrust23THRUST_200600_302600_NS10device_ptrIlEEjNS1_19radix_merge_compareILb0ELb0ElNS0_19identity_decomposerEEEEE10hipError_tT0_T1_T2_jT3_P12ihipStream_tbPNSt15iterator_traitsISG_E10value_typeEPNSM_ISH_E10value_typeEPSI_NS1_7vsmem_tEENKUlT_SG_SH_SI_E_clIS7_S7_SB_S7_EESF_SV_SG_SH_SI_EUlSV_E_NS1_11comp_targetILNS1_3genE5ELNS1_11target_archE942ELNS1_3gpuE9ELNS1_3repE0EEENS1_48merge_mergepath_partition_config_static_selectorELNS0_4arch9wavefront6targetE1EEEvSH_ ; -- Begin function _ZN7rocprim17ROCPRIM_400000_NS6detail17trampoline_kernelINS0_14default_configENS1_38merge_sort_block_merge_config_selectorIllEEZZNS1_27merge_sort_block_merge_implIS3_PlN6thrust23THRUST_200600_302600_NS10device_ptrIlEEjNS1_19radix_merge_compareILb0ELb0ElNS0_19identity_decomposerEEEEE10hipError_tT0_T1_T2_jT3_P12ihipStream_tbPNSt15iterator_traitsISG_E10value_typeEPNSM_ISH_E10value_typeEPSI_NS1_7vsmem_tEENKUlT_SG_SH_SI_E_clIS7_S7_SB_S7_EESF_SV_SG_SH_SI_EUlSV_E_NS1_11comp_targetILNS1_3genE5ELNS1_11target_archE942ELNS1_3gpuE9ELNS1_3repE0EEENS1_48merge_mergepath_partition_config_static_selectorELNS0_4arch9wavefront6targetE1EEEvSH_
	.globl	_ZN7rocprim17ROCPRIM_400000_NS6detail17trampoline_kernelINS0_14default_configENS1_38merge_sort_block_merge_config_selectorIllEEZZNS1_27merge_sort_block_merge_implIS3_PlN6thrust23THRUST_200600_302600_NS10device_ptrIlEEjNS1_19radix_merge_compareILb0ELb0ElNS0_19identity_decomposerEEEEE10hipError_tT0_T1_T2_jT3_P12ihipStream_tbPNSt15iterator_traitsISG_E10value_typeEPNSM_ISH_E10value_typeEPSI_NS1_7vsmem_tEENKUlT_SG_SH_SI_E_clIS7_S7_SB_S7_EESF_SV_SG_SH_SI_EUlSV_E_NS1_11comp_targetILNS1_3genE5ELNS1_11target_archE942ELNS1_3gpuE9ELNS1_3repE0EEENS1_48merge_mergepath_partition_config_static_selectorELNS0_4arch9wavefront6targetE1EEEvSH_
	.p2align	8
	.type	_ZN7rocprim17ROCPRIM_400000_NS6detail17trampoline_kernelINS0_14default_configENS1_38merge_sort_block_merge_config_selectorIllEEZZNS1_27merge_sort_block_merge_implIS3_PlN6thrust23THRUST_200600_302600_NS10device_ptrIlEEjNS1_19radix_merge_compareILb0ELb0ElNS0_19identity_decomposerEEEEE10hipError_tT0_T1_T2_jT3_P12ihipStream_tbPNSt15iterator_traitsISG_E10value_typeEPNSM_ISH_E10value_typeEPSI_NS1_7vsmem_tEENKUlT_SG_SH_SI_E_clIS7_S7_SB_S7_EESF_SV_SG_SH_SI_EUlSV_E_NS1_11comp_targetILNS1_3genE5ELNS1_11target_archE942ELNS1_3gpuE9ELNS1_3repE0EEENS1_48merge_mergepath_partition_config_static_selectorELNS0_4arch9wavefront6targetE1EEEvSH_,@function
_ZN7rocprim17ROCPRIM_400000_NS6detail17trampoline_kernelINS0_14default_configENS1_38merge_sort_block_merge_config_selectorIllEEZZNS1_27merge_sort_block_merge_implIS3_PlN6thrust23THRUST_200600_302600_NS10device_ptrIlEEjNS1_19radix_merge_compareILb0ELb0ElNS0_19identity_decomposerEEEEE10hipError_tT0_T1_T2_jT3_P12ihipStream_tbPNSt15iterator_traitsISG_E10value_typeEPNSM_ISH_E10value_typeEPSI_NS1_7vsmem_tEENKUlT_SG_SH_SI_E_clIS7_S7_SB_S7_EESF_SV_SG_SH_SI_EUlSV_E_NS1_11comp_targetILNS1_3genE5ELNS1_11target_archE942ELNS1_3gpuE9ELNS1_3repE0EEENS1_48merge_mergepath_partition_config_static_selectorELNS0_4arch9wavefront6targetE1EEEvSH_: ; @_ZN7rocprim17ROCPRIM_400000_NS6detail17trampoline_kernelINS0_14default_configENS1_38merge_sort_block_merge_config_selectorIllEEZZNS1_27merge_sort_block_merge_implIS3_PlN6thrust23THRUST_200600_302600_NS10device_ptrIlEEjNS1_19radix_merge_compareILb0ELb0ElNS0_19identity_decomposerEEEEE10hipError_tT0_T1_T2_jT3_P12ihipStream_tbPNSt15iterator_traitsISG_E10value_typeEPNSM_ISH_E10value_typeEPSI_NS1_7vsmem_tEENKUlT_SG_SH_SI_E_clIS7_S7_SB_S7_EESF_SV_SG_SH_SI_EUlSV_E_NS1_11comp_targetILNS1_3genE5ELNS1_11target_archE942ELNS1_3gpuE9ELNS1_3repE0EEENS1_48merge_mergepath_partition_config_static_selectorELNS0_4arch9wavefront6targetE1EEEvSH_
; %bb.0:
	.section	.rodata,"a",@progbits
	.p2align	6, 0x0
	.amdhsa_kernel _ZN7rocprim17ROCPRIM_400000_NS6detail17trampoline_kernelINS0_14default_configENS1_38merge_sort_block_merge_config_selectorIllEEZZNS1_27merge_sort_block_merge_implIS3_PlN6thrust23THRUST_200600_302600_NS10device_ptrIlEEjNS1_19radix_merge_compareILb0ELb0ElNS0_19identity_decomposerEEEEE10hipError_tT0_T1_T2_jT3_P12ihipStream_tbPNSt15iterator_traitsISG_E10value_typeEPNSM_ISH_E10value_typeEPSI_NS1_7vsmem_tEENKUlT_SG_SH_SI_E_clIS7_S7_SB_S7_EESF_SV_SG_SH_SI_EUlSV_E_NS1_11comp_targetILNS1_3genE5ELNS1_11target_archE942ELNS1_3gpuE9ELNS1_3repE0EEENS1_48merge_mergepath_partition_config_static_selectorELNS0_4arch9wavefront6targetE1EEEvSH_
		.amdhsa_group_segment_fixed_size 0
		.amdhsa_private_segment_fixed_size 0
		.amdhsa_kernarg_size 40
		.amdhsa_user_sgpr_count 6
		.amdhsa_user_sgpr_private_segment_buffer 1
		.amdhsa_user_sgpr_dispatch_ptr 0
		.amdhsa_user_sgpr_queue_ptr 0
		.amdhsa_user_sgpr_kernarg_segment_ptr 1
		.amdhsa_user_sgpr_dispatch_id 0
		.amdhsa_user_sgpr_flat_scratch_init 0
		.amdhsa_user_sgpr_kernarg_preload_length 0
		.amdhsa_user_sgpr_kernarg_preload_offset 0
		.amdhsa_user_sgpr_private_segment_size 0
		.amdhsa_uses_dynamic_stack 0
		.amdhsa_system_sgpr_private_segment_wavefront_offset 0
		.amdhsa_system_sgpr_workgroup_id_x 1
		.amdhsa_system_sgpr_workgroup_id_y 0
		.amdhsa_system_sgpr_workgroup_id_z 0
		.amdhsa_system_sgpr_workgroup_info 0
		.amdhsa_system_vgpr_workitem_id 0
		.amdhsa_next_free_vgpr 1
		.amdhsa_next_free_sgpr 0
		.amdhsa_accum_offset 4
		.amdhsa_reserve_vcc 0
		.amdhsa_reserve_flat_scratch 0
		.amdhsa_float_round_mode_32 0
		.amdhsa_float_round_mode_16_64 0
		.amdhsa_float_denorm_mode_32 3
		.amdhsa_float_denorm_mode_16_64 3
		.amdhsa_dx10_clamp 1
		.amdhsa_ieee_mode 1
		.amdhsa_fp16_overflow 0
		.amdhsa_tg_split 0
		.amdhsa_exception_fp_ieee_invalid_op 0
		.amdhsa_exception_fp_denorm_src 0
		.amdhsa_exception_fp_ieee_div_zero 0
		.amdhsa_exception_fp_ieee_overflow 0
		.amdhsa_exception_fp_ieee_underflow 0
		.amdhsa_exception_fp_ieee_inexact 0
		.amdhsa_exception_int_div_zero 0
	.end_amdhsa_kernel
	.section	.text._ZN7rocprim17ROCPRIM_400000_NS6detail17trampoline_kernelINS0_14default_configENS1_38merge_sort_block_merge_config_selectorIllEEZZNS1_27merge_sort_block_merge_implIS3_PlN6thrust23THRUST_200600_302600_NS10device_ptrIlEEjNS1_19radix_merge_compareILb0ELb0ElNS0_19identity_decomposerEEEEE10hipError_tT0_T1_T2_jT3_P12ihipStream_tbPNSt15iterator_traitsISG_E10value_typeEPNSM_ISH_E10value_typeEPSI_NS1_7vsmem_tEENKUlT_SG_SH_SI_E_clIS7_S7_SB_S7_EESF_SV_SG_SH_SI_EUlSV_E_NS1_11comp_targetILNS1_3genE5ELNS1_11target_archE942ELNS1_3gpuE9ELNS1_3repE0EEENS1_48merge_mergepath_partition_config_static_selectorELNS0_4arch9wavefront6targetE1EEEvSH_,"axG",@progbits,_ZN7rocprim17ROCPRIM_400000_NS6detail17trampoline_kernelINS0_14default_configENS1_38merge_sort_block_merge_config_selectorIllEEZZNS1_27merge_sort_block_merge_implIS3_PlN6thrust23THRUST_200600_302600_NS10device_ptrIlEEjNS1_19radix_merge_compareILb0ELb0ElNS0_19identity_decomposerEEEEE10hipError_tT0_T1_T2_jT3_P12ihipStream_tbPNSt15iterator_traitsISG_E10value_typeEPNSM_ISH_E10value_typeEPSI_NS1_7vsmem_tEENKUlT_SG_SH_SI_E_clIS7_S7_SB_S7_EESF_SV_SG_SH_SI_EUlSV_E_NS1_11comp_targetILNS1_3genE5ELNS1_11target_archE942ELNS1_3gpuE9ELNS1_3repE0EEENS1_48merge_mergepath_partition_config_static_selectorELNS0_4arch9wavefront6targetE1EEEvSH_,comdat
.Lfunc_end1036:
	.size	_ZN7rocprim17ROCPRIM_400000_NS6detail17trampoline_kernelINS0_14default_configENS1_38merge_sort_block_merge_config_selectorIllEEZZNS1_27merge_sort_block_merge_implIS3_PlN6thrust23THRUST_200600_302600_NS10device_ptrIlEEjNS1_19radix_merge_compareILb0ELb0ElNS0_19identity_decomposerEEEEE10hipError_tT0_T1_T2_jT3_P12ihipStream_tbPNSt15iterator_traitsISG_E10value_typeEPNSM_ISH_E10value_typeEPSI_NS1_7vsmem_tEENKUlT_SG_SH_SI_E_clIS7_S7_SB_S7_EESF_SV_SG_SH_SI_EUlSV_E_NS1_11comp_targetILNS1_3genE5ELNS1_11target_archE942ELNS1_3gpuE9ELNS1_3repE0EEENS1_48merge_mergepath_partition_config_static_selectorELNS0_4arch9wavefront6targetE1EEEvSH_, .Lfunc_end1036-_ZN7rocprim17ROCPRIM_400000_NS6detail17trampoline_kernelINS0_14default_configENS1_38merge_sort_block_merge_config_selectorIllEEZZNS1_27merge_sort_block_merge_implIS3_PlN6thrust23THRUST_200600_302600_NS10device_ptrIlEEjNS1_19radix_merge_compareILb0ELb0ElNS0_19identity_decomposerEEEEE10hipError_tT0_T1_T2_jT3_P12ihipStream_tbPNSt15iterator_traitsISG_E10value_typeEPNSM_ISH_E10value_typeEPSI_NS1_7vsmem_tEENKUlT_SG_SH_SI_E_clIS7_S7_SB_S7_EESF_SV_SG_SH_SI_EUlSV_E_NS1_11comp_targetILNS1_3genE5ELNS1_11target_archE942ELNS1_3gpuE9ELNS1_3repE0EEENS1_48merge_mergepath_partition_config_static_selectorELNS0_4arch9wavefront6targetE1EEEvSH_
                                        ; -- End function
	.section	.AMDGPU.csdata,"",@progbits
; Kernel info:
; codeLenInByte = 0
; NumSgprs: 4
; NumVgprs: 0
; NumAgprs: 0
; TotalNumVgprs: 0
; ScratchSize: 0
; MemoryBound: 0
; FloatMode: 240
; IeeeMode: 1
; LDSByteSize: 0 bytes/workgroup (compile time only)
; SGPRBlocks: 0
; VGPRBlocks: 0
; NumSGPRsForWavesPerEU: 4
; NumVGPRsForWavesPerEU: 1
; AccumOffset: 4
; Occupancy: 8
; WaveLimiterHint : 0
; COMPUTE_PGM_RSRC2:SCRATCH_EN: 0
; COMPUTE_PGM_RSRC2:USER_SGPR: 6
; COMPUTE_PGM_RSRC2:TRAP_HANDLER: 0
; COMPUTE_PGM_RSRC2:TGID_X_EN: 1
; COMPUTE_PGM_RSRC2:TGID_Y_EN: 0
; COMPUTE_PGM_RSRC2:TGID_Z_EN: 0
; COMPUTE_PGM_RSRC2:TIDIG_COMP_CNT: 0
; COMPUTE_PGM_RSRC3_GFX90A:ACCUM_OFFSET: 0
; COMPUTE_PGM_RSRC3_GFX90A:TG_SPLIT: 0
	.section	.text._ZN7rocprim17ROCPRIM_400000_NS6detail17trampoline_kernelINS0_14default_configENS1_38merge_sort_block_merge_config_selectorIllEEZZNS1_27merge_sort_block_merge_implIS3_PlN6thrust23THRUST_200600_302600_NS10device_ptrIlEEjNS1_19radix_merge_compareILb0ELb0ElNS0_19identity_decomposerEEEEE10hipError_tT0_T1_T2_jT3_P12ihipStream_tbPNSt15iterator_traitsISG_E10value_typeEPNSM_ISH_E10value_typeEPSI_NS1_7vsmem_tEENKUlT_SG_SH_SI_E_clIS7_S7_SB_S7_EESF_SV_SG_SH_SI_EUlSV_E_NS1_11comp_targetILNS1_3genE4ELNS1_11target_archE910ELNS1_3gpuE8ELNS1_3repE0EEENS1_48merge_mergepath_partition_config_static_selectorELNS0_4arch9wavefront6targetE1EEEvSH_,"axG",@progbits,_ZN7rocprim17ROCPRIM_400000_NS6detail17trampoline_kernelINS0_14default_configENS1_38merge_sort_block_merge_config_selectorIllEEZZNS1_27merge_sort_block_merge_implIS3_PlN6thrust23THRUST_200600_302600_NS10device_ptrIlEEjNS1_19radix_merge_compareILb0ELb0ElNS0_19identity_decomposerEEEEE10hipError_tT0_T1_T2_jT3_P12ihipStream_tbPNSt15iterator_traitsISG_E10value_typeEPNSM_ISH_E10value_typeEPSI_NS1_7vsmem_tEENKUlT_SG_SH_SI_E_clIS7_S7_SB_S7_EESF_SV_SG_SH_SI_EUlSV_E_NS1_11comp_targetILNS1_3genE4ELNS1_11target_archE910ELNS1_3gpuE8ELNS1_3repE0EEENS1_48merge_mergepath_partition_config_static_selectorELNS0_4arch9wavefront6targetE1EEEvSH_,comdat
	.protected	_ZN7rocprim17ROCPRIM_400000_NS6detail17trampoline_kernelINS0_14default_configENS1_38merge_sort_block_merge_config_selectorIllEEZZNS1_27merge_sort_block_merge_implIS3_PlN6thrust23THRUST_200600_302600_NS10device_ptrIlEEjNS1_19radix_merge_compareILb0ELb0ElNS0_19identity_decomposerEEEEE10hipError_tT0_T1_T2_jT3_P12ihipStream_tbPNSt15iterator_traitsISG_E10value_typeEPNSM_ISH_E10value_typeEPSI_NS1_7vsmem_tEENKUlT_SG_SH_SI_E_clIS7_S7_SB_S7_EESF_SV_SG_SH_SI_EUlSV_E_NS1_11comp_targetILNS1_3genE4ELNS1_11target_archE910ELNS1_3gpuE8ELNS1_3repE0EEENS1_48merge_mergepath_partition_config_static_selectorELNS0_4arch9wavefront6targetE1EEEvSH_ ; -- Begin function _ZN7rocprim17ROCPRIM_400000_NS6detail17trampoline_kernelINS0_14default_configENS1_38merge_sort_block_merge_config_selectorIllEEZZNS1_27merge_sort_block_merge_implIS3_PlN6thrust23THRUST_200600_302600_NS10device_ptrIlEEjNS1_19radix_merge_compareILb0ELb0ElNS0_19identity_decomposerEEEEE10hipError_tT0_T1_T2_jT3_P12ihipStream_tbPNSt15iterator_traitsISG_E10value_typeEPNSM_ISH_E10value_typeEPSI_NS1_7vsmem_tEENKUlT_SG_SH_SI_E_clIS7_S7_SB_S7_EESF_SV_SG_SH_SI_EUlSV_E_NS1_11comp_targetILNS1_3genE4ELNS1_11target_archE910ELNS1_3gpuE8ELNS1_3repE0EEENS1_48merge_mergepath_partition_config_static_selectorELNS0_4arch9wavefront6targetE1EEEvSH_
	.globl	_ZN7rocprim17ROCPRIM_400000_NS6detail17trampoline_kernelINS0_14default_configENS1_38merge_sort_block_merge_config_selectorIllEEZZNS1_27merge_sort_block_merge_implIS3_PlN6thrust23THRUST_200600_302600_NS10device_ptrIlEEjNS1_19radix_merge_compareILb0ELb0ElNS0_19identity_decomposerEEEEE10hipError_tT0_T1_T2_jT3_P12ihipStream_tbPNSt15iterator_traitsISG_E10value_typeEPNSM_ISH_E10value_typeEPSI_NS1_7vsmem_tEENKUlT_SG_SH_SI_E_clIS7_S7_SB_S7_EESF_SV_SG_SH_SI_EUlSV_E_NS1_11comp_targetILNS1_3genE4ELNS1_11target_archE910ELNS1_3gpuE8ELNS1_3repE0EEENS1_48merge_mergepath_partition_config_static_selectorELNS0_4arch9wavefront6targetE1EEEvSH_
	.p2align	8
	.type	_ZN7rocprim17ROCPRIM_400000_NS6detail17trampoline_kernelINS0_14default_configENS1_38merge_sort_block_merge_config_selectorIllEEZZNS1_27merge_sort_block_merge_implIS3_PlN6thrust23THRUST_200600_302600_NS10device_ptrIlEEjNS1_19radix_merge_compareILb0ELb0ElNS0_19identity_decomposerEEEEE10hipError_tT0_T1_T2_jT3_P12ihipStream_tbPNSt15iterator_traitsISG_E10value_typeEPNSM_ISH_E10value_typeEPSI_NS1_7vsmem_tEENKUlT_SG_SH_SI_E_clIS7_S7_SB_S7_EESF_SV_SG_SH_SI_EUlSV_E_NS1_11comp_targetILNS1_3genE4ELNS1_11target_archE910ELNS1_3gpuE8ELNS1_3repE0EEENS1_48merge_mergepath_partition_config_static_selectorELNS0_4arch9wavefront6targetE1EEEvSH_,@function
_ZN7rocprim17ROCPRIM_400000_NS6detail17trampoline_kernelINS0_14default_configENS1_38merge_sort_block_merge_config_selectorIllEEZZNS1_27merge_sort_block_merge_implIS3_PlN6thrust23THRUST_200600_302600_NS10device_ptrIlEEjNS1_19radix_merge_compareILb0ELb0ElNS0_19identity_decomposerEEEEE10hipError_tT0_T1_T2_jT3_P12ihipStream_tbPNSt15iterator_traitsISG_E10value_typeEPNSM_ISH_E10value_typeEPSI_NS1_7vsmem_tEENKUlT_SG_SH_SI_E_clIS7_S7_SB_S7_EESF_SV_SG_SH_SI_EUlSV_E_NS1_11comp_targetILNS1_3genE4ELNS1_11target_archE910ELNS1_3gpuE8ELNS1_3repE0EEENS1_48merge_mergepath_partition_config_static_selectorELNS0_4arch9wavefront6targetE1EEEvSH_: ; @_ZN7rocprim17ROCPRIM_400000_NS6detail17trampoline_kernelINS0_14default_configENS1_38merge_sort_block_merge_config_selectorIllEEZZNS1_27merge_sort_block_merge_implIS3_PlN6thrust23THRUST_200600_302600_NS10device_ptrIlEEjNS1_19radix_merge_compareILb0ELb0ElNS0_19identity_decomposerEEEEE10hipError_tT0_T1_T2_jT3_P12ihipStream_tbPNSt15iterator_traitsISG_E10value_typeEPNSM_ISH_E10value_typeEPSI_NS1_7vsmem_tEENKUlT_SG_SH_SI_E_clIS7_S7_SB_S7_EESF_SV_SG_SH_SI_EUlSV_E_NS1_11comp_targetILNS1_3genE4ELNS1_11target_archE910ELNS1_3gpuE8ELNS1_3repE0EEENS1_48merge_mergepath_partition_config_static_selectorELNS0_4arch9wavefront6targetE1EEEvSH_
; %bb.0:
	s_load_dword s0, s[4:5], 0x0
	v_lshl_or_b32 v0, s6, 7, v0
	s_waitcnt lgkmcnt(0)
	v_cmp_gt_u32_e32 vcc, s0, v0
	s_and_saveexec_b64 s[0:1], vcc
	s_cbranch_execz .LBB1037_6
; %bb.1:
	s_load_dwordx2 s[2:3], s[4:5], 0x4
	s_load_dwordx2 s[0:1], s[4:5], 0x20
	s_waitcnt lgkmcnt(0)
	s_lshr_b32 s6, s2, 9
	s_and_b32 s6, s6, 0x7ffffe
	s_add_i32 s7, s6, -1
	s_sub_i32 s6, 0, s6
	v_and_b32_e32 v1, s6, v0
	v_lshlrev_b32_e32 v1, 10, v1
	v_min_u32_e32 v2, s3, v1
	v_add_u32_e32 v1, s2, v1
	v_min_u32_e32 v4, s3, v1
	v_add_u32_e32 v1, s2, v4
	v_and_b32_e32 v3, s7, v0
	v_min_u32_e32 v1, s3, v1
	v_sub_u32_e32 v5, v1, v2
	v_lshlrev_b32_e32 v3, 10, v3
	v_min_u32_e32 v6, v5, v3
	v_sub_u32_e32 v3, v4, v2
	v_sub_u32_e32 v1, v1, v4
	v_sub_u32_e64 v1, v6, v1 clamp
	v_min_u32_e32 v7, v6, v3
	v_cmp_lt_u32_e32 vcc, v1, v7
	s_and_saveexec_b64 s[2:3], vcc
	s_cbranch_execz .LBB1037_5
; %bb.2:
	s_load_dwordx2 s[4:5], s[4:5], 0x10
	v_mov_b32_e32 v5, 0
	v_mov_b32_e32 v3, v5
	v_lshlrev_b64 v[8:9], 3, v[2:3]
	v_lshlrev_b64 v[10:11], 3, v[4:5]
	s_waitcnt lgkmcnt(0)
	v_mov_b32_e32 v12, s5
	v_add_co_u32_e32 v3, vcc, s4, v8
	v_addc_co_u32_e32 v8, vcc, v12, v9, vcc
	v_add_co_u32_e32 v9, vcc, s4, v10
	v_addc_co_u32_e32 v10, vcc, v12, v11, vcc
	s_mov_b64 s[4:5], 0
.LBB1037_3:                             ; =>This Inner Loop Header: Depth=1
	v_add_u32_e32 v4, v7, v1
	v_lshrrev_b32_e32 v4, 1, v4
	v_lshlrev_b64 v[14:15], 3, v[4:5]
	v_mov_b32_e32 v13, v5
	v_xad_u32 v12, v4, -1, v6
	v_add_co_u32_e32 v14, vcc, v3, v14
	v_addc_co_u32_e32 v15, vcc, v8, v15, vcc
	v_lshlrev_b64 v[12:13], 3, v[12:13]
	v_add_co_u32_e32 v12, vcc, v9, v12
	v_addc_co_u32_e32 v13, vcc, v10, v13, vcc
	global_load_dwordx2 v[16:17], v[14:15], off
	global_load_dwordx2 v[18:19], v[12:13], off
	v_add_u32_e32 v11, 1, v4
	s_waitcnt vmcnt(0)
	v_cmp_gt_i64_e32 vcc, v[16:17], v[18:19]
	v_cndmask_b32_e32 v7, v7, v4, vcc
	v_cndmask_b32_e32 v1, v11, v1, vcc
	v_cmp_ge_u32_e32 vcc, v1, v7
	s_or_b64 s[4:5], vcc, s[4:5]
	s_andn2_b64 exec, exec, s[4:5]
	s_cbranch_execnz .LBB1037_3
; %bb.4:
	s_or_b64 exec, exec, s[4:5]
.LBB1037_5:
	s_or_b64 exec, exec, s[2:3]
	v_add_u32_e32 v2, v1, v2
	v_mov_b32_e32 v1, 0
	v_lshlrev_b64 v[0:1], 2, v[0:1]
	v_mov_b32_e32 v3, s1
	v_add_co_u32_e32 v0, vcc, s0, v0
	v_addc_co_u32_e32 v1, vcc, v3, v1, vcc
	global_store_dword v[0:1], v2, off
.LBB1037_6:
	s_endpgm
	.section	.rodata,"a",@progbits
	.p2align	6, 0x0
	.amdhsa_kernel _ZN7rocprim17ROCPRIM_400000_NS6detail17trampoline_kernelINS0_14default_configENS1_38merge_sort_block_merge_config_selectorIllEEZZNS1_27merge_sort_block_merge_implIS3_PlN6thrust23THRUST_200600_302600_NS10device_ptrIlEEjNS1_19radix_merge_compareILb0ELb0ElNS0_19identity_decomposerEEEEE10hipError_tT0_T1_T2_jT3_P12ihipStream_tbPNSt15iterator_traitsISG_E10value_typeEPNSM_ISH_E10value_typeEPSI_NS1_7vsmem_tEENKUlT_SG_SH_SI_E_clIS7_S7_SB_S7_EESF_SV_SG_SH_SI_EUlSV_E_NS1_11comp_targetILNS1_3genE4ELNS1_11target_archE910ELNS1_3gpuE8ELNS1_3repE0EEENS1_48merge_mergepath_partition_config_static_selectorELNS0_4arch9wavefront6targetE1EEEvSH_
		.amdhsa_group_segment_fixed_size 0
		.amdhsa_private_segment_fixed_size 0
		.amdhsa_kernarg_size 40
		.amdhsa_user_sgpr_count 6
		.amdhsa_user_sgpr_private_segment_buffer 1
		.amdhsa_user_sgpr_dispatch_ptr 0
		.amdhsa_user_sgpr_queue_ptr 0
		.amdhsa_user_sgpr_kernarg_segment_ptr 1
		.amdhsa_user_sgpr_dispatch_id 0
		.amdhsa_user_sgpr_flat_scratch_init 0
		.amdhsa_user_sgpr_kernarg_preload_length 0
		.amdhsa_user_sgpr_kernarg_preload_offset 0
		.amdhsa_user_sgpr_private_segment_size 0
		.amdhsa_uses_dynamic_stack 0
		.amdhsa_system_sgpr_private_segment_wavefront_offset 0
		.amdhsa_system_sgpr_workgroup_id_x 1
		.amdhsa_system_sgpr_workgroup_id_y 0
		.amdhsa_system_sgpr_workgroup_id_z 0
		.amdhsa_system_sgpr_workgroup_info 0
		.amdhsa_system_vgpr_workitem_id 0
		.amdhsa_next_free_vgpr 20
		.amdhsa_next_free_sgpr 8
		.amdhsa_accum_offset 20
		.amdhsa_reserve_vcc 1
		.amdhsa_reserve_flat_scratch 0
		.amdhsa_float_round_mode_32 0
		.amdhsa_float_round_mode_16_64 0
		.amdhsa_float_denorm_mode_32 3
		.amdhsa_float_denorm_mode_16_64 3
		.amdhsa_dx10_clamp 1
		.amdhsa_ieee_mode 1
		.amdhsa_fp16_overflow 0
		.amdhsa_tg_split 0
		.amdhsa_exception_fp_ieee_invalid_op 0
		.amdhsa_exception_fp_denorm_src 0
		.amdhsa_exception_fp_ieee_div_zero 0
		.amdhsa_exception_fp_ieee_overflow 0
		.amdhsa_exception_fp_ieee_underflow 0
		.amdhsa_exception_fp_ieee_inexact 0
		.amdhsa_exception_int_div_zero 0
	.end_amdhsa_kernel
	.section	.text._ZN7rocprim17ROCPRIM_400000_NS6detail17trampoline_kernelINS0_14default_configENS1_38merge_sort_block_merge_config_selectorIllEEZZNS1_27merge_sort_block_merge_implIS3_PlN6thrust23THRUST_200600_302600_NS10device_ptrIlEEjNS1_19radix_merge_compareILb0ELb0ElNS0_19identity_decomposerEEEEE10hipError_tT0_T1_T2_jT3_P12ihipStream_tbPNSt15iterator_traitsISG_E10value_typeEPNSM_ISH_E10value_typeEPSI_NS1_7vsmem_tEENKUlT_SG_SH_SI_E_clIS7_S7_SB_S7_EESF_SV_SG_SH_SI_EUlSV_E_NS1_11comp_targetILNS1_3genE4ELNS1_11target_archE910ELNS1_3gpuE8ELNS1_3repE0EEENS1_48merge_mergepath_partition_config_static_selectorELNS0_4arch9wavefront6targetE1EEEvSH_,"axG",@progbits,_ZN7rocprim17ROCPRIM_400000_NS6detail17trampoline_kernelINS0_14default_configENS1_38merge_sort_block_merge_config_selectorIllEEZZNS1_27merge_sort_block_merge_implIS3_PlN6thrust23THRUST_200600_302600_NS10device_ptrIlEEjNS1_19radix_merge_compareILb0ELb0ElNS0_19identity_decomposerEEEEE10hipError_tT0_T1_T2_jT3_P12ihipStream_tbPNSt15iterator_traitsISG_E10value_typeEPNSM_ISH_E10value_typeEPSI_NS1_7vsmem_tEENKUlT_SG_SH_SI_E_clIS7_S7_SB_S7_EESF_SV_SG_SH_SI_EUlSV_E_NS1_11comp_targetILNS1_3genE4ELNS1_11target_archE910ELNS1_3gpuE8ELNS1_3repE0EEENS1_48merge_mergepath_partition_config_static_selectorELNS0_4arch9wavefront6targetE1EEEvSH_,comdat
.Lfunc_end1037:
	.size	_ZN7rocprim17ROCPRIM_400000_NS6detail17trampoline_kernelINS0_14default_configENS1_38merge_sort_block_merge_config_selectorIllEEZZNS1_27merge_sort_block_merge_implIS3_PlN6thrust23THRUST_200600_302600_NS10device_ptrIlEEjNS1_19radix_merge_compareILb0ELb0ElNS0_19identity_decomposerEEEEE10hipError_tT0_T1_T2_jT3_P12ihipStream_tbPNSt15iterator_traitsISG_E10value_typeEPNSM_ISH_E10value_typeEPSI_NS1_7vsmem_tEENKUlT_SG_SH_SI_E_clIS7_S7_SB_S7_EESF_SV_SG_SH_SI_EUlSV_E_NS1_11comp_targetILNS1_3genE4ELNS1_11target_archE910ELNS1_3gpuE8ELNS1_3repE0EEENS1_48merge_mergepath_partition_config_static_selectorELNS0_4arch9wavefront6targetE1EEEvSH_, .Lfunc_end1037-_ZN7rocprim17ROCPRIM_400000_NS6detail17trampoline_kernelINS0_14default_configENS1_38merge_sort_block_merge_config_selectorIllEEZZNS1_27merge_sort_block_merge_implIS3_PlN6thrust23THRUST_200600_302600_NS10device_ptrIlEEjNS1_19radix_merge_compareILb0ELb0ElNS0_19identity_decomposerEEEEE10hipError_tT0_T1_T2_jT3_P12ihipStream_tbPNSt15iterator_traitsISG_E10value_typeEPNSM_ISH_E10value_typeEPSI_NS1_7vsmem_tEENKUlT_SG_SH_SI_E_clIS7_S7_SB_S7_EESF_SV_SG_SH_SI_EUlSV_E_NS1_11comp_targetILNS1_3genE4ELNS1_11target_archE910ELNS1_3gpuE8ELNS1_3repE0EEENS1_48merge_mergepath_partition_config_static_selectorELNS0_4arch9wavefront6targetE1EEEvSH_
                                        ; -- End function
	.section	.AMDGPU.csdata,"",@progbits
; Kernel info:
; codeLenInByte = 360
; NumSgprs: 12
; NumVgprs: 20
; NumAgprs: 0
; TotalNumVgprs: 20
; ScratchSize: 0
; MemoryBound: 0
; FloatMode: 240
; IeeeMode: 1
; LDSByteSize: 0 bytes/workgroup (compile time only)
; SGPRBlocks: 1
; VGPRBlocks: 2
; NumSGPRsForWavesPerEU: 12
; NumVGPRsForWavesPerEU: 20
; AccumOffset: 20
; Occupancy: 8
; WaveLimiterHint : 0
; COMPUTE_PGM_RSRC2:SCRATCH_EN: 0
; COMPUTE_PGM_RSRC2:USER_SGPR: 6
; COMPUTE_PGM_RSRC2:TRAP_HANDLER: 0
; COMPUTE_PGM_RSRC2:TGID_X_EN: 1
; COMPUTE_PGM_RSRC2:TGID_Y_EN: 0
; COMPUTE_PGM_RSRC2:TGID_Z_EN: 0
; COMPUTE_PGM_RSRC2:TIDIG_COMP_CNT: 0
; COMPUTE_PGM_RSRC3_GFX90A:ACCUM_OFFSET: 4
; COMPUTE_PGM_RSRC3_GFX90A:TG_SPLIT: 0
	.section	.text._ZN7rocprim17ROCPRIM_400000_NS6detail17trampoline_kernelINS0_14default_configENS1_38merge_sort_block_merge_config_selectorIllEEZZNS1_27merge_sort_block_merge_implIS3_PlN6thrust23THRUST_200600_302600_NS10device_ptrIlEEjNS1_19radix_merge_compareILb0ELb0ElNS0_19identity_decomposerEEEEE10hipError_tT0_T1_T2_jT3_P12ihipStream_tbPNSt15iterator_traitsISG_E10value_typeEPNSM_ISH_E10value_typeEPSI_NS1_7vsmem_tEENKUlT_SG_SH_SI_E_clIS7_S7_SB_S7_EESF_SV_SG_SH_SI_EUlSV_E_NS1_11comp_targetILNS1_3genE3ELNS1_11target_archE908ELNS1_3gpuE7ELNS1_3repE0EEENS1_48merge_mergepath_partition_config_static_selectorELNS0_4arch9wavefront6targetE1EEEvSH_,"axG",@progbits,_ZN7rocprim17ROCPRIM_400000_NS6detail17trampoline_kernelINS0_14default_configENS1_38merge_sort_block_merge_config_selectorIllEEZZNS1_27merge_sort_block_merge_implIS3_PlN6thrust23THRUST_200600_302600_NS10device_ptrIlEEjNS1_19radix_merge_compareILb0ELb0ElNS0_19identity_decomposerEEEEE10hipError_tT0_T1_T2_jT3_P12ihipStream_tbPNSt15iterator_traitsISG_E10value_typeEPNSM_ISH_E10value_typeEPSI_NS1_7vsmem_tEENKUlT_SG_SH_SI_E_clIS7_S7_SB_S7_EESF_SV_SG_SH_SI_EUlSV_E_NS1_11comp_targetILNS1_3genE3ELNS1_11target_archE908ELNS1_3gpuE7ELNS1_3repE0EEENS1_48merge_mergepath_partition_config_static_selectorELNS0_4arch9wavefront6targetE1EEEvSH_,comdat
	.protected	_ZN7rocprim17ROCPRIM_400000_NS6detail17trampoline_kernelINS0_14default_configENS1_38merge_sort_block_merge_config_selectorIllEEZZNS1_27merge_sort_block_merge_implIS3_PlN6thrust23THRUST_200600_302600_NS10device_ptrIlEEjNS1_19radix_merge_compareILb0ELb0ElNS0_19identity_decomposerEEEEE10hipError_tT0_T1_T2_jT3_P12ihipStream_tbPNSt15iterator_traitsISG_E10value_typeEPNSM_ISH_E10value_typeEPSI_NS1_7vsmem_tEENKUlT_SG_SH_SI_E_clIS7_S7_SB_S7_EESF_SV_SG_SH_SI_EUlSV_E_NS1_11comp_targetILNS1_3genE3ELNS1_11target_archE908ELNS1_3gpuE7ELNS1_3repE0EEENS1_48merge_mergepath_partition_config_static_selectorELNS0_4arch9wavefront6targetE1EEEvSH_ ; -- Begin function _ZN7rocprim17ROCPRIM_400000_NS6detail17trampoline_kernelINS0_14default_configENS1_38merge_sort_block_merge_config_selectorIllEEZZNS1_27merge_sort_block_merge_implIS3_PlN6thrust23THRUST_200600_302600_NS10device_ptrIlEEjNS1_19radix_merge_compareILb0ELb0ElNS0_19identity_decomposerEEEEE10hipError_tT0_T1_T2_jT3_P12ihipStream_tbPNSt15iterator_traitsISG_E10value_typeEPNSM_ISH_E10value_typeEPSI_NS1_7vsmem_tEENKUlT_SG_SH_SI_E_clIS7_S7_SB_S7_EESF_SV_SG_SH_SI_EUlSV_E_NS1_11comp_targetILNS1_3genE3ELNS1_11target_archE908ELNS1_3gpuE7ELNS1_3repE0EEENS1_48merge_mergepath_partition_config_static_selectorELNS0_4arch9wavefront6targetE1EEEvSH_
	.globl	_ZN7rocprim17ROCPRIM_400000_NS6detail17trampoline_kernelINS0_14default_configENS1_38merge_sort_block_merge_config_selectorIllEEZZNS1_27merge_sort_block_merge_implIS3_PlN6thrust23THRUST_200600_302600_NS10device_ptrIlEEjNS1_19radix_merge_compareILb0ELb0ElNS0_19identity_decomposerEEEEE10hipError_tT0_T1_T2_jT3_P12ihipStream_tbPNSt15iterator_traitsISG_E10value_typeEPNSM_ISH_E10value_typeEPSI_NS1_7vsmem_tEENKUlT_SG_SH_SI_E_clIS7_S7_SB_S7_EESF_SV_SG_SH_SI_EUlSV_E_NS1_11comp_targetILNS1_3genE3ELNS1_11target_archE908ELNS1_3gpuE7ELNS1_3repE0EEENS1_48merge_mergepath_partition_config_static_selectorELNS0_4arch9wavefront6targetE1EEEvSH_
	.p2align	8
	.type	_ZN7rocprim17ROCPRIM_400000_NS6detail17trampoline_kernelINS0_14default_configENS1_38merge_sort_block_merge_config_selectorIllEEZZNS1_27merge_sort_block_merge_implIS3_PlN6thrust23THRUST_200600_302600_NS10device_ptrIlEEjNS1_19radix_merge_compareILb0ELb0ElNS0_19identity_decomposerEEEEE10hipError_tT0_T1_T2_jT3_P12ihipStream_tbPNSt15iterator_traitsISG_E10value_typeEPNSM_ISH_E10value_typeEPSI_NS1_7vsmem_tEENKUlT_SG_SH_SI_E_clIS7_S7_SB_S7_EESF_SV_SG_SH_SI_EUlSV_E_NS1_11comp_targetILNS1_3genE3ELNS1_11target_archE908ELNS1_3gpuE7ELNS1_3repE0EEENS1_48merge_mergepath_partition_config_static_selectorELNS0_4arch9wavefront6targetE1EEEvSH_,@function
_ZN7rocprim17ROCPRIM_400000_NS6detail17trampoline_kernelINS0_14default_configENS1_38merge_sort_block_merge_config_selectorIllEEZZNS1_27merge_sort_block_merge_implIS3_PlN6thrust23THRUST_200600_302600_NS10device_ptrIlEEjNS1_19radix_merge_compareILb0ELb0ElNS0_19identity_decomposerEEEEE10hipError_tT0_T1_T2_jT3_P12ihipStream_tbPNSt15iterator_traitsISG_E10value_typeEPNSM_ISH_E10value_typeEPSI_NS1_7vsmem_tEENKUlT_SG_SH_SI_E_clIS7_S7_SB_S7_EESF_SV_SG_SH_SI_EUlSV_E_NS1_11comp_targetILNS1_3genE3ELNS1_11target_archE908ELNS1_3gpuE7ELNS1_3repE0EEENS1_48merge_mergepath_partition_config_static_selectorELNS0_4arch9wavefront6targetE1EEEvSH_: ; @_ZN7rocprim17ROCPRIM_400000_NS6detail17trampoline_kernelINS0_14default_configENS1_38merge_sort_block_merge_config_selectorIllEEZZNS1_27merge_sort_block_merge_implIS3_PlN6thrust23THRUST_200600_302600_NS10device_ptrIlEEjNS1_19radix_merge_compareILb0ELb0ElNS0_19identity_decomposerEEEEE10hipError_tT0_T1_T2_jT3_P12ihipStream_tbPNSt15iterator_traitsISG_E10value_typeEPNSM_ISH_E10value_typeEPSI_NS1_7vsmem_tEENKUlT_SG_SH_SI_E_clIS7_S7_SB_S7_EESF_SV_SG_SH_SI_EUlSV_E_NS1_11comp_targetILNS1_3genE3ELNS1_11target_archE908ELNS1_3gpuE7ELNS1_3repE0EEENS1_48merge_mergepath_partition_config_static_selectorELNS0_4arch9wavefront6targetE1EEEvSH_
; %bb.0:
	.section	.rodata,"a",@progbits
	.p2align	6, 0x0
	.amdhsa_kernel _ZN7rocprim17ROCPRIM_400000_NS6detail17trampoline_kernelINS0_14default_configENS1_38merge_sort_block_merge_config_selectorIllEEZZNS1_27merge_sort_block_merge_implIS3_PlN6thrust23THRUST_200600_302600_NS10device_ptrIlEEjNS1_19radix_merge_compareILb0ELb0ElNS0_19identity_decomposerEEEEE10hipError_tT0_T1_T2_jT3_P12ihipStream_tbPNSt15iterator_traitsISG_E10value_typeEPNSM_ISH_E10value_typeEPSI_NS1_7vsmem_tEENKUlT_SG_SH_SI_E_clIS7_S7_SB_S7_EESF_SV_SG_SH_SI_EUlSV_E_NS1_11comp_targetILNS1_3genE3ELNS1_11target_archE908ELNS1_3gpuE7ELNS1_3repE0EEENS1_48merge_mergepath_partition_config_static_selectorELNS0_4arch9wavefront6targetE1EEEvSH_
		.amdhsa_group_segment_fixed_size 0
		.amdhsa_private_segment_fixed_size 0
		.amdhsa_kernarg_size 40
		.amdhsa_user_sgpr_count 6
		.amdhsa_user_sgpr_private_segment_buffer 1
		.amdhsa_user_sgpr_dispatch_ptr 0
		.amdhsa_user_sgpr_queue_ptr 0
		.amdhsa_user_sgpr_kernarg_segment_ptr 1
		.amdhsa_user_sgpr_dispatch_id 0
		.amdhsa_user_sgpr_flat_scratch_init 0
		.amdhsa_user_sgpr_kernarg_preload_length 0
		.amdhsa_user_sgpr_kernarg_preload_offset 0
		.amdhsa_user_sgpr_private_segment_size 0
		.amdhsa_uses_dynamic_stack 0
		.amdhsa_system_sgpr_private_segment_wavefront_offset 0
		.amdhsa_system_sgpr_workgroup_id_x 1
		.amdhsa_system_sgpr_workgroup_id_y 0
		.amdhsa_system_sgpr_workgroup_id_z 0
		.amdhsa_system_sgpr_workgroup_info 0
		.amdhsa_system_vgpr_workitem_id 0
		.amdhsa_next_free_vgpr 1
		.amdhsa_next_free_sgpr 0
		.amdhsa_accum_offset 4
		.amdhsa_reserve_vcc 0
		.amdhsa_reserve_flat_scratch 0
		.amdhsa_float_round_mode_32 0
		.amdhsa_float_round_mode_16_64 0
		.amdhsa_float_denorm_mode_32 3
		.amdhsa_float_denorm_mode_16_64 3
		.amdhsa_dx10_clamp 1
		.amdhsa_ieee_mode 1
		.amdhsa_fp16_overflow 0
		.amdhsa_tg_split 0
		.amdhsa_exception_fp_ieee_invalid_op 0
		.amdhsa_exception_fp_denorm_src 0
		.amdhsa_exception_fp_ieee_div_zero 0
		.amdhsa_exception_fp_ieee_overflow 0
		.amdhsa_exception_fp_ieee_underflow 0
		.amdhsa_exception_fp_ieee_inexact 0
		.amdhsa_exception_int_div_zero 0
	.end_amdhsa_kernel
	.section	.text._ZN7rocprim17ROCPRIM_400000_NS6detail17trampoline_kernelINS0_14default_configENS1_38merge_sort_block_merge_config_selectorIllEEZZNS1_27merge_sort_block_merge_implIS3_PlN6thrust23THRUST_200600_302600_NS10device_ptrIlEEjNS1_19radix_merge_compareILb0ELb0ElNS0_19identity_decomposerEEEEE10hipError_tT0_T1_T2_jT3_P12ihipStream_tbPNSt15iterator_traitsISG_E10value_typeEPNSM_ISH_E10value_typeEPSI_NS1_7vsmem_tEENKUlT_SG_SH_SI_E_clIS7_S7_SB_S7_EESF_SV_SG_SH_SI_EUlSV_E_NS1_11comp_targetILNS1_3genE3ELNS1_11target_archE908ELNS1_3gpuE7ELNS1_3repE0EEENS1_48merge_mergepath_partition_config_static_selectorELNS0_4arch9wavefront6targetE1EEEvSH_,"axG",@progbits,_ZN7rocprim17ROCPRIM_400000_NS6detail17trampoline_kernelINS0_14default_configENS1_38merge_sort_block_merge_config_selectorIllEEZZNS1_27merge_sort_block_merge_implIS3_PlN6thrust23THRUST_200600_302600_NS10device_ptrIlEEjNS1_19radix_merge_compareILb0ELb0ElNS0_19identity_decomposerEEEEE10hipError_tT0_T1_T2_jT3_P12ihipStream_tbPNSt15iterator_traitsISG_E10value_typeEPNSM_ISH_E10value_typeEPSI_NS1_7vsmem_tEENKUlT_SG_SH_SI_E_clIS7_S7_SB_S7_EESF_SV_SG_SH_SI_EUlSV_E_NS1_11comp_targetILNS1_3genE3ELNS1_11target_archE908ELNS1_3gpuE7ELNS1_3repE0EEENS1_48merge_mergepath_partition_config_static_selectorELNS0_4arch9wavefront6targetE1EEEvSH_,comdat
.Lfunc_end1038:
	.size	_ZN7rocprim17ROCPRIM_400000_NS6detail17trampoline_kernelINS0_14default_configENS1_38merge_sort_block_merge_config_selectorIllEEZZNS1_27merge_sort_block_merge_implIS3_PlN6thrust23THRUST_200600_302600_NS10device_ptrIlEEjNS1_19radix_merge_compareILb0ELb0ElNS0_19identity_decomposerEEEEE10hipError_tT0_T1_T2_jT3_P12ihipStream_tbPNSt15iterator_traitsISG_E10value_typeEPNSM_ISH_E10value_typeEPSI_NS1_7vsmem_tEENKUlT_SG_SH_SI_E_clIS7_S7_SB_S7_EESF_SV_SG_SH_SI_EUlSV_E_NS1_11comp_targetILNS1_3genE3ELNS1_11target_archE908ELNS1_3gpuE7ELNS1_3repE0EEENS1_48merge_mergepath_partition_config_static_selectorELNS0_4arch9wavefront6targetE1EEEvSH_, .Lfunc_end1038-_ZN7rocprim17ROCPRIM_400000_NS6detail17trampoline_kernelINS0_14default_configENS1_38merge_sort_block_merge_config_selectorIllEEZZNS1_27merge_sort_block_merge_implIS3_PlN6thrust23THRUST_200600_302600_NS10device_ptrIlEEjNS1_19radix_merge_compareILb0ELb0ElNS0_19identity_decomposerEEEEE10hipError_tT0_T1_T2_jT3_P12ihipStream_tbPNSt15iterator_traitsISG_E10value_typeEPNSM_ISH_E10value_typeEPSI_NS1_7vsmem_tEENKUlT_SG_SH_SI_E_clIS7_S7_SB_S7_EESF_SV_SG_SH_SI_EUlSV_E_NS1_11comp_targetILNS1_3genE3ELNS1_11target_archE908ELNS1_3gpuE7ELNS1_3repE0EEENS1_48merge_mergepath_partition_config_static_selectorELNS0_4arch9wavefront6targetE1EEEvSH_
                                        ; -- End function
	.section	.AMDGPU.csdata,"",@progbits
; Kernel info:
; codeLenInByte = 0
; NumSgprs: 4
; NumVgprs: 0
; NumAgprs: 0
; TotalNumVgprs: 0
; ScratchSize: 0
; MemoryBound: 0
; FloatMode: 240
; IeeeMode: 1
; LDSByteSize: 0 bytes/workgroup (compile time only)
; SGPRBlocks: 0
; VGPRBlocks: 0
; NumSGPRsForWavesPerEU: 4
; NumVGPRsForWavesPerEU: 1
; AccumOffset: 4
; Occupancy: 8
; WaveLimiterHint : 0
; COMPUTE_PGM_RSRC2:SCRATCH_EN: 0
; COMPUTE_PGM_RSRC2:USER_SGPR: 6
; COMPUTE_PGM_RSRC2:TRAP_HANDLER: 0
; COMPUTE_PGM_RSRC2:TGID_X_EN: 1
; COMPUTE_PGM_RSRC2:TGID_Y_EN: 0
; COMPUTE_PGM_RSRC2:TGID_Z_EN: 0
; COMPUTE_PGM_RSRC2:TIDIG_COMP_CNT: 0
; COMPUTE_PGM_RSRC3_GFX90A:ACCUM_OFFSET: 0
; COMPUTE_PGM_RSRC3_GFX90A:TG_SPLIT: 0
	.section	.text._ZN7rocprim17ROCPRIM_400000_NS6detail17trampoline_kernelINS0_14default_configENS1_38merge_sort_block_merge_config_selectorIllEEZZNS1_27merge_sort_block_merge_implIS3_PlN6thrust23THRUST_200600_302600_NS10device_ptrIlEEjNS1_19radix_merge_compareILb0ELb0ElNS0_19identity_decomposerEEEEE10hipError_tT0_T1_T2_jT3_P12ihipStream_tbPNSt15iterator_traitsISG_E10value_typeEPNSM_ISH_E10value_typeEPSI_NS1_7vsmem_tEENKUlT_SG_SH_SI_E_clIS7_S7_SB_S7_EESF_SV_SG_SH_SI_EUlSV_E_NS1_11comp_targetILNS1_3genE2ELNS1_11target_archE906ELNS1_3gpuE6ELNS1_3repE0EEENS1_48merge_mergepath_partition_config_static_selectorELNS0_4arch9wavefront6targetE1EEEvSH_,"axG",@progbits,_ZN7rocprim17ROCPRIM_400000_NS6detail17trampoline_kernelINS0_14default_configENS1_38merge_sort_block_merge_config_selectorIllEEZZNS1_27merge_sort_block_merge_implIS3_PlN6thrust23THRUST_200600_302600_NS10device_ptrIlEEjNS1_19radix_merge_compareILb0ELb0ElNS0_19identity_decomposerEEEEE10hipError_tT0_T1_T2_jT3_P12ihipStream_tbPNSt15iterator_traitsISG_E10value_typeEPNSM_ISH_E10value_typeEPSI_NS1_7vsmem_tEENKUlT_SG_SH_SI_E_clIS7_S7_SB_S7_EESF_SV_SG_SH_SI_EUlSV_E_NS1_11comp_targetILNS1_3genE2ELNS1_11target_archE906ELNS1_3gpuE6ELNS1_3repE0EEENS1_48merge_mergepath_partition_config_static_selectorELNS0_4arch9wavefront6targetE1EEEvSH_,comdat
	.protected	_ZN7rocprim17ROCPRIM_400000_NS6detail17trampoline_kernelINS0_14default_configENS1_38merge_sort_block_merge_config_selectorIllEEZZNS1_27merge_sort_block_merge_implIS3_PlN6thrust23THRUST_200600_302600_NS10device_ptrIlEEjNS1_19radix_merge_compareILb0ELb0ElNS0_19identity_decomposerEEEEE10hipError_tT0_T1_T2_jT3_P12ihipStream_tbPNSt15iterator_traitsISG_E10value_typeEPNSM_ISH_E10value_typeEPSI_NS1_7vsmem_tEENKUlT_SG_SH_SI_E_clIS7_S7_SB_S7_EESF_SV_SG_SH_SI_EUlSV_E_NS1_11comp_targetILNS1_3genE2ELNS1_11target_archE906ELNS1_3gpuE6ELNS1_3repE0EEENS1_48merge_mergepath_partition_config_static_selectorELNS0_4arch9wavefront6targetE1EEEvSH_ ; -- Begin function _ZN7rocprim17ROCPRIM_400000_NS6detail17trampoline_kernelINS0_14default_configENS1_38merge_sort_block_merge_config_selectorIllEEZZNS1_27merge_sort_block_merge_implIS3_PlN6thrust23THRUST_200600_302600_NS10device_ptrIlEEjNS1_19radix_merge_compareILb0ELb0ElNS0_19identity_decomposerEEEEE10hipError_tT0_T1_T2_jT3_P12ihipStream_tbPNSt15iterator_traitsISG_E10value_typeEPNSM_ISH_E10value_typeEPSI_NS1_7vsmem_tEENKUlT_SG_SH_SI_E_clIS7_S7_SB_S7_EESF_SV_SG_SH_SI_EUlSV_E_NS1_11comp_targetILNS1_3genE2ELNS1_11target_archE906ELNS1_3gpuE6ELNS1_3repE0EEENS1_48merge_mergepath_partition_config_static_selectorELNS0_4arch9wavefront6targetE1EEEvSH_
	.globl	_ZN7rocprim17ROCPRIM_400000_NS6detail17trampoline_kernelINS0_14default_configENS1_38merge_sort_block_merge_config_selectorIllEEZZNS1_27merge_sort_block_merge_implIS3_PlN6thrust23THRUST_200600_302600_NS10device_ptrIlEEjNS1_19radix_merge_compareILb0ELb0ElNS0_19identity_decomposerEEEEE10hipError_tT0_T1_T2_jT3_P12ihipStream_tbPNSt15iterator_traitsISG_E10value_typeEPNSM_ISH_E10value_typeEPSI_NS1_7vsmem_tEENKUlT_SG_SH_SI_E_clIS7_S7_SB_S7_EESF_SV_SG_SH_SI_EUlSV_E_NS1_11comp_targetILNS1_3genE2ELNS1_11target_archE906ELNS1_3gpuE6ELNS1_3repE0EEENS1_48merge_mergepath_partition_config_static_selectorELNS0_4arch9wavefront6targetE1EEEvSH_
	.p2align	8
	.type	_ZN7rocprim17ROCPRIM_400000_NS6detail17trampoline_kernelINS0_14default_configENS1_38merge_sort_block_merge_config_selectorIllEEZZNS1_27merge_sort_block_merge_implIS3_PlN6thrust23THRUST_200600_302600_NS10device_ptrIlEEjNS1_19radix_merge_compareILb0ELb0ElNS0_19identity_decomposerEEEEE10hipError_tT0_T1_T2_jT3_P12ihipStream_tbPNSt15iterator_traitsISG_E10value_typeEPNSM_ISH_E10value_typeEPSI_NS1_7vsmem_tEENKUlT_SG_SH_SI_E_clIS7_S7_SB_S7_EESF_SV_SG_SH_SI_EUlSV_E_NS1_11comp_targetILNS1_3genE2ELNS1_11target_archE906ELNS1_3gpuE6ELNS1_3repE0EEENS1_48merge_mergepath_partition_config_static_selectorELNS0_4arch9wavefront6targetE1EEEvSH_,@function
_ZN7rocprim17ROCPRIM_400000_NS6detail17trampoline_kernelINS0_14default_configENS1_38merge_sort_block_merge_config_selectorIllEEZZNS1_27merge_sort_block_merge_implIS3_PlN6thrust23THRUST_200600_302600_NS10device_ptrIlEEjNS1_19radix_merge_compareILb0ELb0ElNS0_19identity_decomposerEEEEE10hipError_tT0_T1_T2_jT3_P12ihipStream_tbPNSt15iterator_traitsISG_E10value_typeEPNSM_ISH_E10value_typeEPSI_NS1_7vsmem_tEENKUlT_SG_SH_SI_E_clIS7_S7_SB_S7_EESF_SV_SG_SH_SI_EUlSV_E_NS1_11comp_targetILNS1_3genE2ELNS1_11target_archE906ELNS1_3gpuE6ELNS1_3repE0EEENS1_48merge_mergepath_partition_config_static_selectorELNS0_4arch9wavefront6targetE1EEEvSH_: ; @_ZN7rocprim17ROCPRIM_400000_NS6detail17trampoline_kernelINS0_14default_configENS1_38merge_sort_block_merge_config_selectorIllEEZZNS1_27merge_sort_block_merge_implIS3_PlN6thrust23THRUST_200600_302600_NS10device_ptrIlEEjNS1_19radix_merge_compareILb0ELb0ElNS0_19identity_decomposerEEEEE10hipError_tT0_T1_T2_jT3_P12ihipStream_tbPNSt15iterator_traitsISG_E10value_typeEPNSM_ISH_E10value_typeEPSI_NS1_7vsmem_tEENKUlT_SG_SH_SI_E_clIS7_S7_SB_S7_EESF_SV_SG_SH_SI_EUlSV_E_NS1_11comp_targetILNS1_3genE2ELNS1_11target_archE906ELNS1_3gpuE6ELNS1_3repE0EEENS1_48merge_mergepath_partition_config_static_selectorELNS0_4arch9wavefront6targetE1EEEvSH_
; %bb.0:
	.section	.rodata,"a",@progbits
	.p2align	6, 0x0
	.amdhsa_kernel _ZN7rocprim17ROCPRIM_400000_NS6detail17trampoline_kernelINS0_14default_configENS1_38merge_sort_block_merge_config_selectorIllEEZZNS1_27merge_sort_block_merge_implIS3_PlN6thrust23THRUST_200600_302600_NS10device_ptrIlEEjNS1_19radix_merge_compareILb0ELb0ElNS0_19identity_decomposerEEEEE10hipError_tT0_T1_T2_jT3_P12ihipStream_tbPNSt15iterator_traitsISG_E10value_typeEPNSM_ISH_E10value_typeEPSI_NS1_7vsmem_tEENKUlT_SG_SH_SI_E_clIS7_S7_SB_S7_EESF_SV_SG_SH_SI_EUlSV_E_NS1_11comp_targetILNS1_3genE2ELNS1_11target_archE906ELNS1_3gpuE6ELNS1_3repE0EEENS1_48merge_mergepath_partition_config_static_selectorELNS0_4arch9wavefront6targetE1EEEvSH_
		.amdhsa_group_segment_fixed_size 0
		.amdhsa_private_segment_fixed_size 0
		.amdhsa_kernarg_size 40
		.amdhsa_user_sgpr_count 6
		.amdhsa_user_sgpr_private_segment_buffer 1
		.amdhsa_user_sgpr_dispatch_ptr 0
		.amdhsa_user_sgpr_queue_ptr 0
		.amdhsa_user_sgpr_kernarg_segment_ptr 1
		.amdhsa_user_sgpr_dispatch_id 0
		.amdhsa_user_sgpr_flat_scratch_init 0
		.amdhsa_user_sgpr_kernarg_preload_length 0
		.amdhsa_user_sgpr_kernarg_preload_offset 0
		.amdhsa_user_sgpr_private_segment_size 0
		.amdhsa_uses_dynamic_stack 0
		.amdhsa_system_sgpr_private_segment_wavefront_offset 0
		.amdhsa_system_sgpr_workgroup_id_x 1
		.amdhsa_system_sgpr_workgroup_id_y 0
		.amdhsa_system_sgpr_workgroup_id_z 0
		.amdhsa_system_sgpr_workgroup_info 0
		.amdhsa_system_vgpr_workitem_id 0
		.amdhsa_next_free_vgpr 1
		.amdhsa_next_free_sgpr 0
		.amdhsa_accum_offset 4
		.amdhsa_reserve_vcc 0
		.amdhsa_reserve_flat_scratch 0
		.amdhsa_float_round_mode_32 0
		.amdhsa_float_round_mode_16_64 0
		.amdhsa_float_denorm_mode_32 3
		.amdhsa_float_denorm_mode_16_64 3
		.amdhsa_dx10_clamp 1
		.amdhsa_ieee_mode 1
		.amdhsa_fp16_overflow 0
		.amdhsa_tg_split 0
		.amdhsa_exception_fp_ieee_invalid_op 0
		.amdhsa_exception_fp_denorm_src 0
		.amdhsa_exception_fp_ieee_div_zero 0
		.amdhsa_exception_fp_ieee_overflow 0
		.amdhsa_exception_fp_ieee_underflow 0
		.amdhsa_exception_fp_ieee_inexact 0
		.amdhsa_exception_int_div_zero 0
	.end_amdhsa_kernel
	.section	.text._ZN7rocprim17ROCPRIM_400000_NS6detail17trampoline_kernelINS0_14default_configENS1_38merge_sort_block_merge_config_selectorIllEEZZNS1_27merge_sort_block_merge_implIS3_PlN6thrust23THRUST_200600_302600_NS10device_ptrIlEEjNS1_19radix_merge_compareILb0ELb0ElNS0_19identity_decomposerEEEEE10hipError_tT0_T1_T2_jT3_P12ihipStream_tbPNSt15iterator_traitsISG_E10value_typeEPNSM_ISH_E10value_typeEPSI_NS1_7vsmem_tEENKUlT_SG_SH_SI_E_clIS7_S7_SB_S7_EESF_SV_SG_SH_SI_EUlSV_E_NS1_11comp_targetILNS1_3genE2ELNS1_11target_archE906ELNS1_3gpuE6ELNS1_3repE0EEENS1_48merge_mergepath_partition_config_static_selectorELNS0_4arch9wavefront6targetE1EEEvSH_,"axG",@progbits,_ZN7rocprim17ROCPRIM_400000_NS6detail17trampoline_kernelINS0_14default_configENS1_38merge_sort_block_merge_config_selectorIllEEZZNS1_27merge_sort_block_merge_implIS3_PlN6thrust23THRUST_200600_302600_NS10device_ptrIlEEjNS1_19radix_merge_compareILb0ELb0ElNS0_19identity_decomposerEEEEE10hipError_tT0_T1_T2_jT3_P12ihipStream_tbPNSt15iterator_traitsISG_E10value_typeEPNSM_ISH_E10value_typeEPSI_NS1_7vsmem_tEENKUlT_SG_SH_SI_E_clIS7_S7_SB_S7_EESF_SV_SG_SH_SI_EUlSV_E_NS1_11comp_targetILNS1_3genE2ELNS1_11target_archE906ELNS1_3gpuE6ELNS1_3repE0EEENS1_48merge_mergepath_partition_config_static_selectorELNS0_4arch9wavefront6targetE1EEEvSH_,comdat
.Lfunc_end1039:
	.size	_ZN7rocprim17ROCPRIM_400000_NS6detail17trampoline_kernelINS0_14default_configENS1_38merge_sort_block_merge_config_selectorIllEEZZNS1_27merge_sort_block_merge_implIS3_PlN6thrust23THRUST_200600_302600_NS10device_ptrIlEEjNS1_19radix_merge_compareILb0ELb0ElNS0_19identity_decomposerEEEEE10hipError_tT0_T1_T2_jT3_P12ihipStream_tbPNSt15iterator_traitsISG_E10value_typeEPNSM_ISH_E10value_typeEPSI_NS1_7vsmem_tEENKUlT_SG_SH_SI_E_clIS7_S7_SB_S7_EESF_SV_SG_SH_SI_EUlSV_E_NS1_11comp_targetILNS1_3genE2ELNS1_11target_archE906ELNS1_3gpuE6ELNS1_3repE0EEENS1_48merge_mergepath_partition_config_static_selectorELNS0_4arch9wavefront6targetE1EEEvSH_, .Lfunc_end1039-_ZN7rocprim17ROCPRIM_400000_NS6detail17trampoline_kernelINS0_14default_configENS1_38merge_sort_block_merge_config_selectorIllEEZZNS1_27merge_sort_block_merge_implIS3_PlN6thrust23THRUST_200600_302600_NS10device_ptrIlEEjNS1_19radix_merge_compareILb0ELb0ElNS0_19identity_decomposerEEEEE10hipError_tT0_T1_T2_jT3_P12ihipStream_tbPNSt15iterator_traitsISG_E10value_typeEPNSM_ISH_E10value_typeEPSI_NS1_7vsmem_tEENKUlT_SG_SH_SI_E_clIS7_S7_SB_S7_EESF_SV_SG_SH_SI_EUlSV_E_NS1_11comp_targetILNS1_3genE2ELNS1_11target_archE906ELNS1_3gpuE6ELNS1_3repE0EEENS1_48merge_mergepath_partition_config_static_selectorELNS0_4arch9wavefront6targetE1EEEvSH_
                                        ; -- End function
	.section	.AMDGPU.csdata,"",@progbits
; Kernel info:
; codeLenInByte = 0
; NumSgprs: 4
; NumVgprs: 0
; NumAgprs: 0
; TotalNumVgprs: 0
; ScratchSize: 0
; MemoryBound: 0
; FloatMode: 240
; IeeeMode: 1
; LDSByteSize: 0 bytes/workgroup (compile time only)
; SGPRBlocks: 0
; VGPRBlocks: 0
; NumSGPRsForWavesPerEU: 4
; NumVGPRsForWavesPerEU: 1
; AccumOffset: 4
; Occupancy: 8
; WaveLimiterHint : 0
; COMPUTE_PGM_RSRC2:SCRATCH_EN: 0
; COMPUTE_PGM_RSRC2:USER_SGPR: 6
; COMPUTE_PGM_RSRC2:TRAP_HANDLER: 0
; COMPUTE_PGM_RSRC2:TGID_X_EN: 1
; COMPUTE_PGM_RSRC2:TGID_Y_EN: 0
; COMPUTE_PGM_RSRC2:TGID_Z_EN: 0
; COMPUTE_PGM_RSRC2:TIDIG_COMP_CNT: 0
; COMPUTE_PGM_RSRC3_GFX90A:ACCUM_OFFSET: 0
; COMPUTE_PGM_RSRC3_GFX90A:TG_SPLIT: 0
	.section	.text._ZN7rocprim17ROCPRIM_400000_NS6detail17trampoline_kernelINS0_14default_configENS1_38merge_sort_block_merge_config_selectorIllEEZZNS1_27merge_sort_block_merge_implIS3_PlN6thrust23THRUST_200600_302600_NS10device_ptrIlEEjNS1_19radix_merge_compareILb0ELb0ElNS0_19identity_decomposerEEEEE10hipError_tT0_T1_T2_jT3_P12ihipStream_tbPNSt15iterator_traitsISG_E10value_typeEPNSM_ISH_E10value_typeEPSI_NS1_7vsmem_tEENKUlT_SG_SH_SI_E_clIS7_S7_SB_S7_EESF_SV_SG_SH_SI_EUlSV_E_NS1_11comp_targetILNS1_3genE9ELNS1_11target_archE1100ELNS1_3gpuE3ELNS1_3repE0EEENS1_48merge_mergepath_partition_config_static_selectorELNS0_4arch9wavefront6targetE1EEEvSH_,"axG",@progbits,_ZN7rocprim17ROCPRIM_400000_NS6detail17trampoline_kernelINS0_14default_configENS1_38merge_sort_block_merge_config_selectorIllEEZZNS1_27merge_sort_block_merge_implIS3_PlN6thrust23THRUST_200600_302600_NS10device_ptrIlEEjNS1_19radix_merge_compareILb0ELb0ElNS0_19identity_decomposerEEEEE10hipError_tT0_T1_T2_jT3_P12ihipStream_tbPNSt15iterator_traitsISG_E10value_typeEPNSM_ISH_E10value_typeEPSI_NS1_7vsmem_tEENKUlT_SG_SH_SI_E_clIS7_S7_SB_S7_EESF_SV_SG_SH_SI_EUlSV_E_NS1_11comp_targetILNS1_3genE9ELNS1_11target_archE1100ELNS1_3gpuE3ELNS1_3repE0EEENS1_48merge_mergepath_partition_config_static_selectorELNS0_4arch9wavefront6targetE1EEEvSH_,comdat
	.protected	_ZN7rocprim17ROCPRIM_400000_NS6detail17trampoline_kernelINS0_14default_configENS1_38merge_sort_block_merge_config_selectorIllEEZZNS1_27merge_sort_block_merge_implIS3_PlN6thrust23THRUST_200600_302600_NS10device_ptrIlEEjNS1_19radix_merge_compareILb0ELb0ElNS0_19identity_decomposerEEEEE10hipError_tT0_T1_T2_jT3_P12ihipStream_tbPNSt15iterator_traitsISG_E10value_typeEPNSM_ISH_E10value_typeEPSI_NS1_7vsmem_tEENKUlT_SG_SH_SI_E_clIS7_S7_SB_S7_EESF_SV_SG_SH_SI_EUlSV_E_NS1_11comp_targetILNS1_3genE9ELNS1_11target_archE1100ELNS1_3gpuE3ELNS1_3repE0EEENS1_48merge_mergepath_partition_config_static_selectorELNS0_4arch9wavefront6targetE1EEEvSH_ ; -- Begin function _ZN7rocprim17ROCPRIM_400000_NS6detail17trampoline_kernelINS0_14default_configENS1_38merge_sort_block_merge_config_selectorIllEEZZNS1_27merge_sort_block_merge_implIS3_PlN6thrust23THRUST_200600_302600_NS10device_ptrIlEEjNS1_19radix_merge_compareILb0ELb0ElNS0_19identity_decomposerEEEEE10hipError_tT0_T1_T2_jT3_P12ihipStream_tbPNSt15iterator_traitsISG_E10value_typeEPNSM_ISH_E10value_typeEPSI_NS1_7vsmem_tEENKUlT_SG_SH_SI_E_clIS7_S7_SB_S7_EESF_SV_SG_SH_SI_EUlSV_E_NS1_11comp_targetILNS1_3genE9ELNS1_11target_archE1100ELNS1_3gpuE3ELNS1_3repE0EEENS1_48merge_mergepath_partition_config_static_selectorELNS0_4arch9wavefront6targetE1EEEvSH_
	.globl	_ZN7rocprim17ROCPRIM_400000_NS6detail17trampoline_kernelINS0_14default_configENS1_38merge_sort_block_merge_config_selectorIllEEZZNS1_27merge_sort_block_merge_implIS3_PlN6thrust23THRUST_200600_302600_NS10device_ptrIlEEjNS1_19radix_merge_compareILb0ELb0ElNS0_19identity_decomposerEEEEE10hipError_tT0_T1_T2_jT3_P12ihipStream_tbPNSt15iterator_traitsISG_E10value_typeEPNSM_ISH_E10value_typeEPSI_NS1_7vsmem_tEENKUlT_SG_SH_SI_E_clIS7_S7_SB_S7_EESF_SV_SG_SH_SI_EUlSV_E_NS1_11comp_targetILNS1_3genE9ELNS1_11target_archE1100ELNS1_3gpuE3ELNS1_3repE0EEENS1_48merge_mergepath_partition_config_static_selectorELNS0_4arch9wavefront6targetE1EEEvSH_
	.p2align	8
	.type	_ZN7rocprim17ROCPRIM_400000_NS6detail17trampoline_kernelINS0_14default_configENS1_38merge_sort_block_merge_config_selectorIllEEZZNS1_27merge_sort_block_merge_implIS3_PlN6thrust23THRUST_200600_302600_NS10device_ptrIlEEjNS1_19radix_merge_compareILb0ELb0ElNS0_19identity_decomposerEEEEE10hipError_tT0_T1_T2_jT3_P12ihipStream_tbPNSt15iterator_traitsISG_E10value_typeEPNSM_ISH_E10value_typeEPSI_NS1_7vsmem_tEENKUlT_SG_SH_SI_E_clIS7_S7_SB_S7_EESF_SV_SG_SH_SI_EUlSV_E_NS1_11comp_targetILNS1_3genE9ELNS1_11target_archE1100ELNS1_3gpuE3ELNS1_3repE0EEENS1_48merge_mergepath_partition_config_static_selectorELNS0_4arch9wavefront6targetE1EEEvSH_,@function
_ZN7rocprim17ROCPRIM_400000_NS6detail17trampoline_kernelINS0_14default_configENS1_38merge_sort_block_merge_config_selectorIllEEZZNS1_27merge_sort_block_merge_implIS3_PlN6thrust23THRUST_200600_302600_NS10device_ptrIlEEjNS1_19radix_merge_compareILb0ELb0ElNS0_19identity_decomposerEEEEE10hipError_tT0_T1_T2_jT3_P12ihipStream_tbPNSt15iterator_traitsISG_E10value_typeEPNSM_ISH_E10value_typeEPSI_NS1_7vsmem_tEENKUlT_SG_SH_SI_E_clIS7_S7_SB_S7_EESF_SV_SG_SH_SI_EUlSV_E_NS1_11comp_targetILNS1_3genE9ELNS1_11target_archE1100ELNS1_3gpuE3ELNS1_3repE0EEENS1_48merge_mergepath_partition_config_static_selectorELNS0_4arch9wavefront6targetE1EEEvSH_: ; @_ZN7rocprim17ROCPRIM_400000_NS6detail17trampoline_kernelINS0_14default_configENS1_38merge_sort_block_merge_config_selectorIllEEZZNS1_27merge_sort_block_merge_implIS3_PlN6thrust23THRUST_200600_302600_NS10device_ptrIlEEjNS1_19radix_merge_compareILb0ELb0ElNS0_19identity_decomposerEEEEE10hipError_tT0_T1_T2_jT3_P12ihipStream_tbPNSt15iterator_traitsISG_E10value_typeEPNSM_ISH_E10value_typeEPSI_NS1_7vsmem_tEENKUlT_SG_SH_SI_E_clIS7_S7_SB_S7_EESF_SV_SG_SH_SI_EUlSV_E_NS1_11comp_targetILNS1_3genE9ELNS1_11target_archE1100ELNS1_3gpuE3ELNS1_3repE0EEENS1_48merge_mergepath_partition_config_static_selectorELNS0_4arch9wavefront6targetE1EEEvSH_
; %bb.0:
	.section	.rodata,"a",@progbits
	.p2align	6, 0x0
	.amdhsa_kernel _ZN7rocprim17ROCPRIM_400000_NS6detail17trampoline_kernelINS0_14default_configENS1_38merge_sort_block_merge_config_selectorIllEEZZNS1_27merge_sort_block_merge_implIS3_PlN6thrust23THRUST_200600_302600_NS10device_ptrIlEEjNS1_19radix_merge_compareILb0ELb0ElNS0_19identity_decomposerEEEEE10hipError_tT0_T1_T2_jT3_P12ihipStream_tbPNSt15iterator_traitsISG_E10value_typeEPNSM_ISH_E10value_typeEPSI_NS1_7vsmem_tEENKUlT_SG_SH_SI_E_clIS7_S7_SB_S7_EESF_SV_SG_SH_SI_EUlSV_E_NS1_11comp_targetILNS1_3genE9ELNS1_11target_archE1100ELNS1_3gpuE3ELNS1_3repE0EEENS1_48merge_mergepath_partition_config_static_selectorELNS0_4arch9wavefront6targetE1EEEvSH_
		.amdhsa_group_segment_fixed_size 0
		.amdhsa_private_segment_fixed_size 0
		.amdhsa_kernarg_size 40
		.amdhsa_user_sgpr_count 6
		.amdhsa_user_sgpr_private_segment_buffer 1
		.amdhsa_user_sgpr_dispatch_ptr 0
		.amdhsa_user_sgpr_queue_ptr 0
		.amdhsa_user_sgpr_kernarg_segment_ptr 1
		.amdhsa_user_sgpr_dispatch_id 0
		.amdhsa_user_sgpr_flat_scratch_init 0
		.amdhsa_user_sgpr_kernarg_preload_length 0
		.amdhsa_user_sgpr_kernarg_preload_offset 0
		.amdhsa_user_sgpr_private_segment_size 0
		.amdhsa_uses_dynamic_stack 0
		.amdhsa_system_sgpr_private_segment_wavefront_offset 0
		.amdhsa_system_sgpr_workgroup_id_x 1
		.amdhsa_system_sgpr_workgroup_id_y 0
		.amdhsa_system_sgpr_workgroup_id_z 0
		.amdhsa_system_sgpr_workgroup_info 0
		.amdhsa_system_vgpr_workitem_id 0
		.amdhsa_next_free_vgpr 1
		.amdhsa_next_free_sgpr 0
		.amdhsa_accum_offset 4
		.amdhsa_reserve_vcc 0
		.amdhsa_reserve_flat_scratch 0
		.amdhsa_float_round_mode_32 0
		.amdhsa_float_round_mode_16_64 0
		.amdhsa_float_denorm_mode_32 3
		.amdhsa_float_denorm_mode_16_64 3
		.amdhsa_dx10_clamp 1
		.amdhsa_ieee_mode 1
		.amdhsa_fp16_overflow 0
		.amdhsa_tg_split 0
		.amdhsa_exception_fp_ieee_invalid_op 0
		.amdhsa_exception_fp_denorm_src 0
		.amdhsa_exception_fp_ieee_div_zero 0
		.amdhsa_exception_fp_ieee_overflow 0
		.amdhsa_exception_fp_ieee_underflow 0
		.amdhsa_exception_fp_ieee_inexact 0
		.amdhsa_exception_int_div_zero 0
	.end_amdhsa_kernel
	.section	.text._ZN7rocprim17ROCPRIM_400000_NS6detail17trampoline_kernelINS0_14default_configENS1_38merge_sort_block_merge_config_selectorIllEEZZNS1_27merge_sort_block_merge_implIS3_PlN6thrust23THRUST_200600_302600_NS10device_ptrIlEEjNS1_19radix_merge_compareILb0ELb0ElNS0_19identity_decomposerEEEEE10hipError_tT0_T1_T2_jT3_P12ihipStream_tbPNSt15iterator_traitsISG_E10value_typeEPNSM_ISH_E10value_typeEPSI_NS1_7vsmem_tEENKUlT_SG_SH_SI_E_clIS7_S7_SB_S7_EESF_SV_SG_SH_SI_EUlSV_E_NS1_11comp_targetILNS1_3genE9ELNS1_11target_archE1100ELNS1_3gpuE3ELNS1_3repE0EEENS1_48merge_mergepath_partition_config_static_selectorELNS0_4arch9wavefront6targetE1EEEvSH_,"axG",@progbits,_ZN7rocprim17ROCPRIM_400000_NS6detail17trampoline_kernelINS0_14default_configENS1_38merge_sort_block_merge_config_selectorIllEEZZNS1_27merge_sort_block_merge_implIS3_PlN6thrust23THRUST_200600_302600_NS10device_ptrIlEEjNS1_19radix_merge_compareILb0ELb0ElNS0_19identity_decomposerEEEEE10hipError_tT0_T1_T2_jT3_P12ihipStream_tbPNSt15iterator_traitsISG_E10value_typeEPNSM_ISH_E10value_typeEPSI_NS1_7vsmem_tEENKUlT_SG_SH_SI_E_clIS7_S7_SB_S7_EESF_SV_SG_SH_SI_EUlSV_E_NS1_11comp_targetILNS1_3genE9ELNS1_11target_archE1100ELNS1_3gpuE3ELNS1_3repE0EEENS1_48merge_mergepath_partition_config_static_selectorELNS0_4arch9wavefront6targetE1EEEvSH_,comdat
.Lfunc_end1040:
	.size	_ZN7rocprim17ROCPRIM_400000_NS6detail17trampoline_kernelINS0_14default_configENS1_38merge_sort_block_merge_config_selectorIllEEZZNS1_27merge_sort_block_merge_implIS3_PlN6thrust23THRUST_200600_302600_NS10device_ptrIlEEjNS1_19radix_merge_compareILb0ELb0ElNS0_19identity_decomposerEEEEE10hipError_tT0_T1_T2_jT3_P12ihipStream_tbPNSt15iterator_traitsISG_E10value_typeEPNSM_ISH_E10value_typeEPSI_NS1_7vsmem_tEENKUlT_SG_SH_SI_E_clIS7_S7_SB_S7_EESF_SV_SG_SH_SI_EUlSV_E_NS1_11comp_targetILNS1_3genE9ELNS1_11target_archE1100ELNS1_3gpuE3ELNS1_3repE0EEENS1_48merge_mergepath_partition_config_static_selectorELNS0_4arch9wavefront6targetE1EEEvSH_, .Lfunc_end1040-_ZN7rocprim17ROCPRIM_400000_NS6detail17trampoline_kernelINS0_14default_configENS1_38merge_sort_block_merge_config_selectorIllEEZZNS1_27merge_sort_block_merge_implIS3_PlN6thrust23THRUST_200600_302600_NS10device_ptrIlEEjNS1_19radix_merge_compareILb0ELb0ElNS0_19identity_decomposerEEEEE10hipError_tT0_T1_T2_jT3_P12ihipStream_tbPNSt15iterator_traitsISG_E10value_typeEPNSM_ISH_E10value_typeEPSI_NS1_7vsmem_tEENKUlT_SG_SH_SI_E_clIS7_S7_SB_S7_EESF_SV_SG_SH_SI_EUlSV_E_NS1_11comp_targetILNS1_3genE9ELNS1_11target_archE1100ELNS1_3gpuE3ELNS1_3repE0EEENS1_48merge_mergepath_partition_config_static_selectorELNS0_4arch9wavefront6targetE1EEEvSH_
                                        ; -- End function
	.section	.AMDGPU.csdata,"",@progbits
; Kernel info:
; codeLenInByte = 0
; NumSgprs: 4
; NumVgprs: 0
; NumAgprs: 0
; TotalNumVgprs: 0
; ScratchSize: 0
; MemoryBound: 0
; FloatMode: 240
; IeeeMode: 1
; LDSByteSize: 0 bytes/workgroup (compile time only)
; SGPRBlocks: 0
; VGPRBlocks: 0
; NumSGPRsForWavesPerEU: 4
; NumVGPRsForWavesPerEU: 1
; AccumOffset: 4
; Occupancy: 8
; WaveLimiterHint : 0
; COMPUTE_PGM_RSRC2:SCRATCH_EN: 0
; COMPUTE_PGM_RSRC2:USER_SGPR: 6
; COMPUTE_PGM_RSRC2:TRAP_HANDLER: 0
; COMPUTE_PGM_RSRC2:TGID_X_EN: 1
; COMPUTE_PGM_RSRC2:TGID_Y_EN: 0
; COMPUTE_PGM_RSRC2:TGID_Z_EN: 0
; COMPUTE_PGM_RSRC2:TIDIG_COMP_CNT: 0
; COMPUTE_PGM_RSRC3_GFX90A:ACCUM_OFFSET: 0
; COMPUTE_PGM_RSRC3_GFX90A:TG_SPLIT: 0
	.section	.text._ZN7rocprim17ROCPRIM_400000_NS6detail17trampoline_kernelINS0_14default_configENS1_38merge_sort_block_merge_config_selectorIllEEZZNS1_27merge_sort_block_merge_implIS3_PlN6thrust23THRUST_200600_302600_NS10device_ptrIlEEjNS1_19radix_merge_compareILb0ELb0ElNS0_19identity_decomposerEEEEE10hipError_tT0_T1_T2_jT3_P12ihipStream_tbPNSt15iterator_traitsISG_E10value_typeEPNSM_ISH_E10value_typeEPSI_NS1_7vsmem_tEENKUlT_SG_SH_SI_E_clIS7_S7_SB_S7_EESF_SV_SG_SH_SI_EUlSV_E_NS1_11comp_targetILNS1_3genE8ELNS1_11target_archE1030ELNS1_3gpuE2ELNS1_3repE0EEENS1_48merge_mergepath_partition_config_static_selectorELNS0_4arch9wavefront6targetE1EEEvSH_,"axG",@progbits,_ZN7rocprim17ROCPRIM_400000_NS6detail17trampoline_kernelINS0_14default_configENS1_38merge_sort_block_merge_config_selectorIllEEZZNS1_27merge_sort_block_merge_implIS3_PlN6thrust23THRUST_200600_302600_NS10device_ptrIlEEjNS1_19radix_merge_compareILb0ELb0ElNS0_19identity_decomposerEEEEE10hipError_tT0_T1_T2_jT3_P12ihipStream_tbPNSt15iterator_traitsISG_E10value_typeEPNSM_ISH_E10value_typeEPSI_NS1_7vsmem_tEENKUlT_SG_SH_SI_E_clIS7_S7_SB_S7_EESF_SV_SG_SH_SI_EUlSV_E_NS1_11comp_targetILNS1_3genE8ELNS1_11target_archE1030ELNS1_3gpuE2ELNS1_3repE0EEENS1_48merge_mergepath_partition_config_static_selectorELNS0_4arch9wavefront6targetE1EEEvSH_,comdat
	.protected	_ZN7rocprim17ROCPRIM_400000_NS6detail17trampoline_kernelINS0_14default_configENS1_38merge_sort_block_merge_config_selectorIllEEZZNS1_27merge_sort_block_merge_implIS3_PlN6thrust23THRUST_200600_302600_NS10device_ptrIlEEjNS1_19radix_merge_compareILb0ELb0ElNS0_19identity_decomposerEEEEE10hipError_tT0_T1_T2_jT3_P12ihipStream_tbPNSt15iterator_traitsISG_E10value_typeEPNSM_ISH_E10value_typeEPSI_NS1_7vsmem_tEENKUlT_SG_SH_SI_E_clIS7_S7_SB_S7_EESF_SV_SG_SH_SI_EUlSV_E_NS1_11comp_targetILNS1_3genE8ELNS1_11target_archE1030ELNS1_3gpuE2ELNS1_3repE0EEENS1_48merge_mergepath_partition_config_static_selectorELNS0_4arch9wavefront6targetE1EEEvSH_ ; -- Begin function _ZN7rocprim17ROCPRIM_400000_NS6detail17trampoline_kernelINS0_14default_configENS1_38merge_sort_block_merge_config_selectorIllEEZZNS1_27merge_sort_block_merge_implIS3_PlN6thrust23THRUST_200600_302600_NS10device_ptrIlEEjNS1_19radix_merge_compareILb0ELb0ElNS0_19identity_decomposerEEEEE10hipError_tT0_T1_T2_jT3_P12ihipStream_tbPNSt15iterator_traitsISG_E10value_typeEPNSM_ISH_E10value_typeEPSI_NS1_7vsmem_tEENKUlT_SG_SH_SI_E_clIS7_S7_SB_S7_EESF_SV_SG_SH_SI_EUlSV_E_NS1_11comp_targetILNS1_3genE8ELNS1_11target_archE1030ELNS1_3gpuE2ELNS1_3repE0EEENS1_48merge_mergepath_partition_config_static_selectorELNS0_4arch9wavefront6targetE1EEEvSH_
	.globl	_ZN7rocprim17ROCPRIM_400000_NS6detail17trampoline_kernelINS0_14default_configENS1_38merge_sort_block_merge_config_selectorIllEEZZNS1_27merge_sort_block_merge_implIS3_PlN6thrust23THRUST_200600_302600_NS10device_ptrIlEEjNS1_19radix_merge_compareILb0ELb0ElNS0_19identity_decomposerEEEEE10hipError_tT0_T1_T2_jT3_P12ihipStream_tbPNSt15iterator_traitsISG_E10value_typeEPNSM_ISH_E10value_typeEPSI_NS1_7vsmem_tEENKUlT_SG_SH_SI_E_clIS7_S7_SB_S7_EESF_SV_SG_SH_SI_EUlSV_E_NS1_11comp_targetILNS1_3genE8ELNS1_11target_archE1030ELNS1_3gpuE2ELNS1_3repE0EEENS1_48merge_mergepath_partition_config_static_selectorELNS0_4arch9wavefront6targetE1EEEvSH_
	.p2align	8
	.type	_ZN7rocprim17ROCPRIM_400000_NS6detail17trampoline_kernelINS0_14default_configENS1_38merge_sort_block_merge_config_selectorIllEEZZNS1_27merge_sort_block_merge_implIS3_PlN6thrust23THRUST_200600_302600_NS10device_ptrIlEEjNS1_19radix_merge_compareILb0ELb0ElNS0_19identity_decomposerEEEEE10hipError_tT0_T1_T2_jT3_P12ihipStream_tbPNSt15iterator_traitsISG_E10value_typeEPNSM_ISH_E10value_typeEPSI_NS1_7vsmem_tEENKUlT_SG_SH_SI_E_clIS7_S7_SB_S7_EESF_SV_SG_SH_SI_EUlSV_E_NS1_11comp_targetILNS1_3genE8ELNS1_11target_archE1030ELNS1_3gpuE2ELNS1_3repE0EEENS1_48merge_mergepath_partition_config_static_selectorELNS0_4arch9wavefront6targetE1EEEvSH_,@function
_ZN7rocprim17ROCPRIM_400000_NS6detail17trampoline_kernelINS0_14default_configENS1_38merge_sort_block_merge_config_selectorIllEEZZNS1_27merge_sort_block_merge_implIS3_PlN6thrust23THRUST_200600_302600_NS10device_ptrIlEEjNS1_19radix_merge_compareILb0ELb0ElNS0_19identity_decomposerEEEEE10hipError_tT0_T1_T2_jT3_P12ihipStream_tbPNSt15iterator_traitsISG_E10value_typeEPNSM_ISH_E10value_typeEPSI_NS1_7vsmem_tEENKUlT_SG_SH_SI_E_clIS7_S7_SB_S7_EESF_SV_SG_SH_SI_EUlSV_E_NS1_11comp_targetILNS1_3genE8ELNS1_11target_archE1030ELNS1_3gpuE2ELNS1_3repE0EEENS1_48merge_mergepath_partition_config_static_selectorELNS0_4arch9wavefront6targetE1EEEvSH_: ; @_ZN7rocprim17ROCPRIM_400000_NS6detail17trampoline_kernelINS0_14default_configENS1_38merge_sort_block_merge_config_selectorIllEEZZNS1_27merge_sort_block_merge_implIS3_PlN6thrust23THRUST_200600_302600_NS10device_ptrIlEEjNS1_19radix_merge_compareILb0ELb0ElNS0_19identity_decomposerEEEEE10hipError_tT0_T1_T2_jT3_P12ihipStream_tbPNSt15iterator_traitsISG_E10value_typeEPNSM_ISH_E10value_typeEPSI_NS1_7vsmem_tEENKUlT_SG_SH_SI_E_clIS7_S7_SB_S7_EESF_SV_SG_SH_SI_EUlSV_E_NS1_11comp_targetILNS1_3genE8ELNS1_11target_archE1030ELNS1_3gpuE2ELNS1_3repE0EEENS1_48merge_mergepath_partition_config_static_selectorELNS0_4arch9wavefront6targetE1EEEvSH_
; %bb.0:
	.section	.rodata,"a",@progbits
	.p2align	6, 0x0
	.amdhsa_kernel _ZN7rocprim17ROCPRIM_400000_NS6detail17trampoline_kernelINS0_14default_configENS1_38merge_sort_block_merge_config_selectorIllEEZZNS1_27merge_sort_block_merge_implIS3_PlN6thrust23THRUST_200600_302600_NS10device_ptrIlEEjNS1_19radix_merge_compareILb0ELb0ElNS0_19identity_decomposerEEEEE10hipError_tT0_T1_T2_jT3_P12ihipStream_tbPNSt15iterator_traitsISG_E10value_typeEPNSM_ISH_E10value_typeEPSI_NS1_7vsmem_tEENKUlT_SG_SH_SI_E_clIS7_S7_SB_S7_EESF_SV_SG_SH_SI_EUlSV_E_NS1_11comp_targetILNS1_3genE8ELNS1_11target_archE1030ELNS1_3gpuE2ELNS1_3repE0EEENS1_48merge_mergepath_partition_config_static_selectorELNS0_4arch9wavefront6targetE1EEEvSH_
		.amdhsa_group_segment_fixed_size 0
		.amdhsa_private_segment_fixed_size 0
		.amdhsa_kernarg_size 40
		.amdhsa_user_sgpr_count 6
		.amdhsa_user_sgpr_private_segment_buffer 1
		.amdhsa_user_sgpr_dispatch_ptr 0
		.amdhsa_user_sgpr_queue_ptr 0
		.amdhsa_user_sgpr_kernarg_segment_ptr 1
		.amdhsa_user_sgpr_dispatch_id 0
		.amdhsa_user_sgpr_flat_scratch_init 0
		.amdhsa_user_sgpr_kernarg_preload_length 0
		.amdhsa_user_sgpr_kernarg_preload_offset 0
		.amdhsa_user_sgpr_private_segment_size 0
		.amdhsa_uses_dynamic_stack 0
		.amdhsa_system_sgpr_private_segment_wavefront_offset 0
		.amdhsa_system_sgpr_workgroup_id_x 1
		.amdhsa_system_sgpr_workgroup_id_y 0
		.amdhsa_system_sgpr_workgroup_id_z 0
		.amdhsa_system_sgpr_workgroup_info 0
		.amdhsa_system_vgpr_workitem_id 0
		.amdhsa_next_free_vgpr 1
		.amdhsa_next_free_sgpr 0
		.amdhsa_accum_offset 4
		.amdhsa_reserve_vcc 0
		.amdhsa_reserve_flat_scratch 0
		.amdhsa_float_round_mode_32 0
		.amdhsa_float_round_mode_16_64 0
		.amdhsa_float_denorm_mode_32 3
		.amdhsa_float_denorm_mode_16_64 3
		.amdhsa_dx10_clamp 1
		.amdhsa_ieee_mode 1
		.amdhsa_fp16_overflow 0
		.amdhsa_tg_split 0
		.amdhsa_exception_fp_ieee_invalid_op 0
		.amdhsa_exception_fp_denorm_src 0
		.amdhsa_exception_fp_ieee_div_zero 0
		.amdhsa_exception_fp_ieee_overflow 0
		.amdhsa_exception_fp_ieee_underflow 0
		.amdhsa_exception_fp_ieee_inexact 0
		.amdhsa_exception_int_div_zero 0
	.end_amdhsa_kernel
	.section	.text._ZN7rocprim17ROCPRIM_400000_NS6detail17trampoline_kernelINS0_14default_configENS1_38merge_sort_block_merge_config_selectorIllEEZZNS1_27merge_sort_block_merge_implIS3_PlN6thrust23THRUST_200600_302600_NS10device_ptrIlEEjNS1_19radix_merge_compareILb0ELb0ElNS0_19identity_decomposerEEEEE10hipError_tT0_T1_T2_jT3_P12ihipStream_tbPNSt15iterator_traitsISG_E10value_typeEPNSM_ISH_E10value_typeEPSI_NS1_7vsmem_tEENKUlT_SG_SH_SI_E_clIS7_S7_SB_S7_EESF_SV_SG_SH_SI_EUlSV_E_NS1_11comp_targetILNS1_3genE8ELNS1_11target_archE1030ELNS1_3gpuE2ELNS1_3repE0EEENS1_48merge_mergepath_partition_config_static_selectorELNS0_4arch9wavefront6targetE1EEEvSH_,"axG",@progbits,_ZN7rocprim17ROCPRIM_400000_NS6detail17trampoline_kernelINS0_14default_configENS1_38merge_sort_block_merge_config_selectorIllEEZZNS1_27merge_sort_block_merge_implIS3_PlN6thrust23THRUST_200600_302600_NS10device_ptrIlEEjNS1_19radix_merge_compareILb0ELb0ElNS0_19identity_decomposerEEEEE10hipError_tT0_T1_T2_jT3_P12ihipStream_tbPNSt15iterator_traitsISG_E10value_typeEPNSM_ISH_E10value_typeEPSI_NS1_7vsmem_tEENKUlT_SG_SH_SI_E_clIS7_S7_SB_S7_EESF_SV_SG_SH_SI_EUlSV_E_NS1_11comp_targetILNS1_3genE8ELNS1_11target_archE1030ELNS1_3gpuE2ELNS1_3repE0EEENS1_48merge_mergepath_partition_config_static_selectorELNS0_4arch9wavefront6targetE1EEEvSH_,comdat
.Lfunc_end1041:
	.size	_ZN7rocprim17ROCPRIM_400000_NS6detail17trampoline_kernelINS0_14default_configENS1_38merge_sort_block_merge_config_selectorIllEEZZNS1_27merge_sort_block_merge_implIS3_PlN6thrust23THRUST_200600_302600_NS10device_ptrIlEEjNS1_19radix_merge_compareILb0ELb0ElNS0_19identity_decomposerEEEEE10hipError_tT0_T1_T2_jT3_P12ihipStream_tbPNSt15iterator_traitsISG_E10value_typeEPNSM_ISH_E10value_typeEPSI_NS1_7vsmem_tEENKUlT_SG_SH_SI_E_clIS7_S7_SB_S7_EESF_SV_SG_SH_SI_EUlSV_E_NS1_11comp_targetILNS1_3genE8ELNS1_11target_archE1030ELNS1_3gpuE2ELNS1_3repE0EEENS1_48merge_mergepath_partition_config_static_selectorELNS0_4arch9wavefront6targetE1EEEvSH_, .Lfunc_end1041-_ZN7rocprim17ROCPRIM_400000_NS6detail17trampoline_kernelINS0_14default_configENS1_38merge_sort_block_merge_config_selectorIllEEZZNS1_27merge_sort_block_merge_implIS3_PlN6thrust23THRUST_200600_302600_NS10device_ptrIlEEjNS1_19radix_merge_compareILb0ELb0ElNS0_19identity_decomposerEEEEE10hipError_tT0_T1_T2_jT3_P12ihipStream_tbPNSt15iterator_traitsISG_E10value_typeEPNSM_ISH_E10value_typeEPSI_NS1_7vsmem_tEENKUlT_SG_SH_SI_E_clIS7_S7_SB_S7_EESF_SV_SG_SH_SI_EUlSV_E_NS1_11comp_targetILNS1_3genE8ELNS1_11target_archE1030ELNS1_3gpuE2ELNS1_3repE0EEENS1_48merge_mergepath_partition_config_static_selectorELNS0_4arch9wavefront6targetE1EEEvSH_
                                        ; -- End function
	.section	.AMDGPU.csdata,"",@progbits
; Kernel info:
; codeLenInByte = 0
; NumSgprs: 4
; NumVgprs: 0
; NumAgprs: 0
; TotalNumVgprs: 0
; ScratchSize: 0
; MemoryBound: 0
; FloatMode: 240
; IeeeMode: 1
; LDSByteSize: 0 bytes/workgroup (compile time only)
; SGPRBlocks: 0
; VGPRBlocks: 0
; NumSGPRsForWavesPerEU: 4
; NumVGPRsForWavesPerEU: 1
; AccumOffset: 4
; Occupancy: 8
; WaveLimiterHint : 0
; COMPUTE_PGM_RSRC2:SCRATCH_EN: 0
; COMPUTE_PGM_RSRC2:USER_SGPR: 6
; COMPUTE_PGM_RSRC2:TRAP_HANDLER: 0
; COMPUTE_PGM_RSRC2:TGID_X_EN: 1
; COMPUTE_PGM_RSRC2:TGID_Y_EN: 0
; COMPUTE_PGM_RSRC2:TGID_Z_EN: 0
; COMPUTE_PGM_RSRC2:TIDIG_COMP_CNT: 0
; COMPUTE_PGM_RSRC3_GFX90A:ACCUM_OFFSET: 0
; COMPUTE_PGM_RSRC3_GFX90A:TG_SPLIT: 0
	.section	.text._ZN7rocprim17ROCPRIM_400000_NS6detail17trampoline_kernelINS0_14default_configENS1_38merge_sort_block_merge_config_selectorIllEEZZNS1_27merge_sort_block_merge_implIS3_PlN6thrust23THRUST_200600_302600_NS10device_ptrIlEEjNS1_19radix_merge_compareILb0ELb0ElNS0_19identity_decomposerEEEEE10hipError_tT0_T1_T2_jT3_P12ihipStream_tbPNSt15iterator_traitsISG_E10value_typeEPNSM_ISH_E10value_typeEPSI_NS1_7vsmem_tEENKUlT_SG_SH_SI_E_clIS7_S7_SB_S7_EESF_SV_SG_SH_SI_EUlSV_E0_NS1_11comp_targetILNS1_3genE0ELNS1_11target_archE4294967295ELNS1_3gpuE0ELNS1_3repE0EEENS1_38merge_mergepath_config_static_selectorELNS0_4arch9wavefront6targetE1EEEvSH_,"axG",@progbits,_ZN7rocprim17ROCPRIM_400000_NS6detail17trampoline_kernelINS0_14default_configENS1_38merge_sort_block_merge_config_selectorIllEEZZNS1_27merge_sort_block_merge_implIS3_PlN6thrust23THRUST_200600_302600_NS10device_ptrIlEEjNS1_19radix_merge_compareILb0ELb0ElNS0_19identity_decomposerEEEEE10hipError_tT0_T1_T2_jT3_P12ihipStream_tbPNSt15iterator_traitsISG_E10value_typeEPNSM_ISH_E10value_typeEPSI_NS1_7vsmem_tEENKUlT_SG_SH_SI_E_clIS7_S7_SB_S7_EESF_SV_SG_SH_SI_EUlSV_E0_NS1_11comp_targetILNS1_3genE0ELNS1_11target_archE4294967295ELNS1_3gpuE0ELNS1_3repE0EEENS1_38merge_mergepath_config_static_selectorELNS0_4arch9wavefront6targetE1EEEvSH_,comdat
	.protected	_ZN7rocprim17ROCPRIM_400000_NS6detail17trampoline_kernelINS0_14default_configENS1_38merge_sort_block_merge_config_selectorIllEEZZNS1_27merge_sort_block_merge_implIS3_PlN6thrust23THRUST_200600_302600_NS10device_ptrIlEEjNS1_19radix_merge_compareILb0ELb0ElNS0_19identity_decomposerEEEEE10hipError_tT0_T1_T2_jT3_P12ihipStream_tbPNSt15iterator_traitsISG_E10value_typeEPNSM_ISH_E10value_typeEPSI_NS1_7vsmem_tEENKUlT_SG_SH_SI_E_clIS7_S7_SB_S7_EESF_SV_SG_SH_SI_EUlSV_E0_NS1_11comp_targetILNS1_3genE0ELNS1_11target_archE4294967295ELNS1_3gpuE0ELNS1_3repE0EEENS1_38merge_mergepath_config_static_selectorELNS0_4arch9wavefront6targetE1EEEvSH_ ; -- Begin function _ZN7rocprim17ROCPRIM_400000_NS6detail17trampoline_kernelINS0_14default_configENS1_38merge_sort_block_merge_config_selectorIllEEZZNS1_27merge_sort_block_merge_implIS3_PlN6thrust23THRUST_200600_302600_NS10device_ptrIlEEjNS1_19radix_merge_compareILb0ELb0ElNS0_19identity_decomposerEEEEE10hipError_tT0_T1_T2_jT3_P12ihipStream_tbPNSt15iterator_traitsISG_E10value_typeEPNSM_ISH_E10value_typeEPSI_NS1_7vsmem_tEENKUlT_SG_SH_SI_E_clIS7_S7_SB_S7_EESF_SV_SG_SH_SI_EUlSV_E0_NS1_11comp_targetILNS1_3genE0ELNS1_11target_archE4294967295ELNS1_3gpuE0ELNS1_3repE0EEENS1_38merge_mergepath_config_static_selectorELNS0_4arch9wavefront6targetE1EEEvSH_
	.globl	_ZN7rocprim17ROCPRIM_400000_NS6detail17trampoline_kernelINS0_14default_configENS1_38merge_sort_block_merge_config_selectorIllEEZZNS1_27merge_sort_block_merge_implIS3_PlN6thrust23THRUST_200600_302600_NS10device_ptrIlEEjNS1_19radix_merge_compareILb0ELb0ElNS0_19identity_decomposerEEEEE10hipError_tT0_T1_T2_jT3_P12ihipStream_tbPNSt15iterator_traitsISG_E10value_typeEPNSM_ISH_E10value_typeEPSI_NS1_7vsmem_tEENKUlT_SG_SH_SI_E_clIS7_S7_SB_S7_EESF_SV_SG_SH_SI_EUlSV_E0_NS1_11comp_targetILNS1_3genE0ELNS1_11target_archE4294967295ELNS1_3gpuE0ELNS1_3repE0EEENS1_38merge_mergepath_config_static_selectorELNS0_4arch9wavefront6targetE1EEEvSH_
	.p2align	8
	.type	_ZN7rocprim17ROCPRIM_400000_NS6detail17trampoline_kernelINS0_14default_configENS1_38merge_sort_block_merge_config_selectorIllEEZZNS1_27merge_sort_block_merge_implIS3_PlN6thrust23THRUST_200600_302600_NS10device_ptrIlEEjNS1_19radix_merge_compareILb0ELb0ElNS0_19identity_decomposerEEEEE10hipError_tT0_T1_T2_jT3_P12ihipStream_tbPNSt15iterator_traitsISG_E10value_typeEPNSM_ISH_E10value_typeEPSI_NS1_7vsmem_tEENKUlT_SG_SH_SI_E_clIS7_S7_SB_S7_EESF_SV_SG_SH_SI_EUlSV_E0_NS1_11comp_targetILNS1_3genE0ELNS1_11target_archE4294967295ELNS1_3gpuE0ELNS1_3repE0EEENS1_38merge_mergepath_config_static_selectorELNS0_4arch9wavefront6targetE1EEEvSH_,@function
_ZN7rocprim17ROCPRIM_400000_NS6detail17trampoline_kernelINS0_14default_configENS1_38merge_sort_block_merge_config_selectorIllEEZZNS1_27merge_sort_block_merge_implIS3_PlN6thrust23THRUST_200600_302600_NS10device_ptrIlEEjNS1_19radix_merge_compareILb0ELb0ElNS0_19identity_decomposerEEEEE10hipError_tT0_T1_T2_jT3_P12ihipStream_tbPNSt15iterator_traitsISG_E10value_typeEPNSM_ISH_E10value_typeEPSI_NS1_7vsmem_tEENKUlT_SG_SH_SI_E_clIS7_S7_SB_S7_EESF_SV_SG_SH_SI_EUlSV_E0_NS1_11comp_targetILNS1_3genE0ELNS1_11target_archE4294967295ELNS1_3gpuE0ELNS1_3repE0EEENS1_38merge_mergepath_config_static_selectorELNS0_4arch9wavefront6targetE1EEEvSH_: ; @_ZN7rocprim17ROCPRIM_400000_NS6detail17trampoline_kernelINS0_14default_configENS1_38merge_sort_block_merge_config_selectorIllEEZZNS1_27merge_sort_block_merge_implIS3_PlN6thrust23THRUST_200600_302600_NS10device_ptrIlEEjNS1_19radix_merge_compareILb0ELb0ElNS0_19identity_decomposerEEEEE10hipError_tT0_T1_T2_jT3_P12ihipStream_tbPNSt15iterator_traitsISG_E10value_typeEPNSM_ISH_E10value_typeEPSI_NS1_7vsmem_tEENKUlT_SG_SH_SI_E_clIS7_S7_SB_S7_EESF_SV_SG_SH_SI_EUlSV_E0_NS1_11comp_targetILNS1_3genE0ELNS1_11target_archE4294967295ELNS1_3gpuE0ELNS1_3repE0EEENS1_38merge_mergepath_config_static_selectorELNS0_4arch9wavefront6targetE1EEEvSH_
; %bb.0:
	.section	.rodata,"a",@progbits
	.p2align	6, 0x0
	.amdhsa_kernel _ZN7rocprim17ROCPRIM_400000_NS6detail17trampoline_kernelINS0_14default_configENS1_38merge_sort_block_merge_config_selectorIllEEZZNS1_27merge_sort_block_merge_implIS3_PlN6thrust23THRUST_200600_302600_NS10device_ptrIlEEjNS1_19radix_merge_compareILb0ELb0ElNS0_19identity_decomposerEEEEE10hipError_tT0_T1_T2_jT3_P12ihipStream_tbPNSt15iterator_traitsISG_E10value_typeEPNSM_ISH_E10value_typeEPSI_NS1_7vsmem_tEENKUlT_SG_SH_SI_E_clIS7_S7_SB_S7_EESF_SV_SG_SH_SI_EUlSV_E0_NS1_11comp_targetILNS1_3genE0ELNS1_11target_archE4294967295ELNS1_3gpuE0ELNS1_3repE0EEENS1_38merge_mergepath_config_static_selectorELNS0_4arch9wavefront6targetE1EEEvSH_
		.amdhsa_group_segment_fixed_size 0
		.amdhsa_private_segment_fixed_size 0
		.amdhsa_kernarg_size 64
		.amdhsa_user_sgpr_count 6
		.amdhsa_user_sgpr_private_segment_buffer 1
		.amdhsa_user_sgpr_dispatch_ptr 0
		.amdhsa_user_sgpr_queue_ptr 0
		.amdhsa_user_sgpr_kernarg_segment_ptr 1
		.amdhsa_user_sgpr_dispatch_id 0
		.amdhsa_user_sgpr_flat_scratch_init 0
		.amdhsa_user_sgpr_kernarg_preload_length 0
		.amdhsa_user_sgpr_kernarg_preload_offset 0
		.amdhsa_user_sgpr_private_segment_size 0
		.amdhsa_uses_dynamic_stack 0
		.amdhsa_system_sgpr_private_segment_wavefront_offset 0
		.amdhsa_system_sgpr_workgroup_id_x 1
		.amdhsa_system_sgpr_workgroup_id_y 0
		.amdhsa_system_sgpr_workgroup_id_z 0
		.amdhsa_system_sgpr_workgroup_info 0
		.amdhsa_system_vgpr_workitem_id 0
		.amdhsa_next_free_vgpr 1
		.amdhsa_next_free_sgpr 0
		.amdhsa_accum_offset 4
		.amdhsa_reserve_vcc 0
		.amdhsa_reserve_flat_scratch 0
		.amdhsa_float_round_mode_32 0
		.amdhsa_float_round_mode_16_64 0
		.amdhsa_float_denorm_mode_32 3
		.amdhsa_float_denorm_mode_16_64 3
		.amdhsa_dx10_clamp 1
		.amdhsa_ieee_mode 1
		.amdhsa_fp16_overflow 0
		.amdhsa_tg_split 0
		.amdhsa_exception_fp_ieee_invalid_op 0
		.amdhsa_exception_fp_denorm_src 0
		.amdhsa_exception_fp_ieee_div_zero 0
		.amdhsa_exception_fp_ieee_overflow 0
		.amdhsa_exception_fp_ieee_underflow 0
		.amdhsa_exception_fp_ieee_inexact 0
		.amdhsa_exception_int_div_zero 0
	.end_amdhsa_kernel
	.section	.text._ZN7rocprim17ROCPRIM_400000_NS6detail17trampoline_kernelINS0_14default_configENS1_38merge_sort_block_merge_config_selectorIllEEZZNS1_27merge_sort_block_merge_implIS3_PlN6thrust23THRUST_200600_302600_NS10device_ptrIlEEjNS1_19radix_merge_compareILb0ELb0ElNS0_19identity_decomposerEEEEE10hipError_tT0_T1_T2_jT3_P12ihipStream_tbPNSt15iterator_traitsISG_E10value_typeEPNSM_ISH_E10value_typeEPSI_NS1_7vsmem_tEENKUlT_SG_SH_SI_E_clIS7_S7_SB_S7_EESF_SV_SG_SH_SI_EUlSV_E0_NS1_11comp_targetILNS1_3genE0ELNS1_11target_archE4294967295ELNS1_3gpuE0ELNS1_3repE0EEENS1_38merge_mergepath_config_static_selectorELNS0_4arch9wavefront6targetE1EEEvSH_,"axG",@progbits,_ZN7rocprim17ROCPRIM_400000_NS6detail17trampoline_kernelINS0_14default_configENS1_38merge_sort_block_merge_config_selectorIllEEZZNS1_27merge_sort_block_merge_implIS3_PlN6thrust23THRUST_200600_302600_NS10device_ptrIlEEjNS1_19radix_merge_compareILb0ELb0ElNS0_19identity_decomposerEEEEE10hipError_tT0_T1_T2_jT3_P12ihipStream_tbPNSt15iterator_traitsISG_E10value_typeEPNSM_ISH_E10value_typeEPSI_NS1_7vsmem_tEENKUlT_SG_SH_SI_E_clIS7_S7_SB_S7_EESF_SV_SG_SH_SI_EUlSV_E0_NS1_11comp_targetILNS1_3genE0ELNS1_11target_archE4294967295ELNS1_3gpuE0ELNS1_3repE0EEENS1_38merge_mergepath_config_static_selectorELNS0_4arch9wavefront6targetE1EEEvSH_,comdat
.Lfunc_end1042:
	.size	_ZN7rocprim17ROCPRIM_400000_NS6detail17trampoline_kernelINS0_14default_configENS1_38merge_sort_block_merge_config_selectorIllEEZZNS1_27merge_sort_block_merge_implIS3_PlN6thrust23THRUST_200600_302600_NS10device_ptrIlEEjNS1_19radix_merge_compareILb0ELb0ElNS0_19identity_decomposerEEEEE10hipError_tT0_T1_T2_jT3_P12ihipStream_tbPNSt15iterator_traitsISG_E10value_typeEPNSM_ISH_E10value_typeEPSI_NS1_7vsmem_tEENKUlT_SG_SH_SI_E_clIS7_S7_SB_S7_EESF_SV_SG_SH_SI_EUlSV_E0_NS1_11comp_targetILNS1_3genE0ELNS1_11target_archE4294967295ELNS1_3gpuE0ELNS1_3repE0EEENS1_38merge_mergepath_config_static_selectorELNS0_4arch9wavefront6targetE1EEEvSH_, .Lfunc_end1042-_ZN7rocprim17ROCPRIM_400000_NS6detail17trampoline_kernelINS0_14default_configENS1_38merge_sort_block_merge_config_selectorIllEEZZNS1_27merge_sort_block_merge_implIS3_PlN6thrust23THRUST_200600_302600_NS10device_ptrIlEEjNS1_19radix_merge_compareILb0ELb0ElNS0_19identity_decomposerEEEEE10hipError_tT0_T1_T2_jT3_P12ihipStream_tbPNSt15iterator_traitsISG_E10value_typeEPNSM_ISH_E10value_typeEPSI_NS1_7vsmem_tEENKUlT_SG_SH_SI_E_clIS7_S7_SB_S7_EESF_SV_SG_SH_SI_EUlSV_E0_NS1_11comp_targetILNS1_3genE0ELNS1_11target_archE4294967295ELNS1_3gpuE0ELNS1_3repE0EEENS1_38merge_mergepath_config_static_selectorELNS0_4arch9wavefront6targetE1EEEvSH_
                                        ; -- End function
	.section	.AMDGPU.csdata,"",@progbits
; Kernel info:
; codeLenInByte = 0
; NumSgprs: 4
; NumVgprs: 0
; NumAgprs: 0
; TotalNumVgprs: 0
; ScratchSize: 0
; MemoryBound: 0
; FloatMode: 240
; IeeeMode: 1
; LDSByteSize: 0 bytes/workgroup (compile time only)
; SGPRBlocks: 0
; VGPRBlocks: 0
; NumSGPRsForWavesPerEU: 4
; NumVGPRsForWavesPerEU: 1
; AccumOffset: 4
; Occupancy: 8
; WaveLimiterHint : 0
; COMPUTE_PGM_RSRC2:SCRATCH_EN: 0
; COMPUTE_PGM_RSRC2:USER_SGPR: 6
; COMPUTE_PGM_RSRC2:TRAP_HANDLER: 0
; COMPUTE_PGM_RSRC2:TGID_X_EN: 1
; COMPUTE_PGM_RSRC2:TGID_Y_EN: 0
; COMPUTE_PGM_RSRC2:TGID_Z_EN: 0
; COMPUTE_PGM_RSRC2:TIDIG_COMP_CNT: 0
; COMPUTE_PGM_RSRC3_GFX90A:ACCUM_OFFSET: 0
; COMPUTE_PGM_RSRC3_GFX90A:TG_SPLIT: 0
	.section	.text._ZN7rocprim17ROCPRIM_400000_NS6detail17trampoline_kernelINS0_14default_configENS1_38merge_sort_block_merge_config_selectorIllEEZZNS1_27merge_sort_block_merge_implIS3_PlN6thrust23THRUST_200600_302600_NS10device_ptrIlEEjNS1_19radix_merge_compareILb0ELb0ElNS0_19identity_decomposerEEEEE10hipError_tT0_T1_T2_jT3_P12ihipStream_tbPNSt15iterator_traitsISG_E10value_typeEPNSM_ISH_E10value_typeEPSI_NS1_7vsmem_tEENKUlT_SG_SH_SI_E_clIS7_S7_SB_S7_EESF_SV_SG_SH_SI_EUlSV_E0_NS1_11comp_targetILNS1_3genE10ELNS1_11target_archE1201ELNS1_3gpuE5ELNS1_3repE0EEENS1_38merge_mergepath_config_static_selectorELNS0_4arch9wavefront6targetE1EEEvSH_,"axG",@progbits,_ZN7rocprim17ROCPRIM_400000_NS6detail17trampoline_kernelINS0_14default_configENS1_38merge_sort_block_merge_config_selectorIllEEZZNS1_27merge_sort_block_merge_implIS3_PlN6thrust23THRUST_200600_302600_NS10device_ptrIlEEjNS1_19radix_merge_compareILb0ELb0ElNS0_19identity_decomposerEEEEE10hipError_tT0_T1_T2_jT3_P12ihipStream_tbPNSt15iterator_traitsISG_E10value_typeEPNSM_ISH_E10value_typeEPSI_NS1_7vsmem_tEENKUlT_SG_SH_SI_E_clIS7_S7_SB_S7_EESF_SV_SG_SH_SI_EUlSV_E0_NS1_11comp_targetILNS1_3genE10ELNS1_11target_archE1201ELNS1_3gpuE5ELNS1_3repE0EEENS1_38merge_mergepath_config_static_selectorELNS0_4arch9wavefront6targetE1EEEvSH_,comdat
	.protected	_ZN7rocprim17ROCPRIM_400000_NS6detail17trampoline_kernelINS0_14default_configENS1_38merge_sort_block_merge_config_selectorIllEEZZNS1_27merge_sort_block_merge_implIS3_PlN6thrust23THRUST_200600_302600_NS10device_ptrIlEEjNS1_19radix_merge_compareILb0ELb0ElNS0_19identity_decomposerEEEEE10hipError_tT0_T1_T2_jT3_P12ihipStream_tbPNSt15iterator_traitsISG_E10value_typeEPNSM_ISH_E10value_typeEPSI_NS1_7vsmem_tEENKUlT_SG_SH_SI_E_clIS7_S7_SB_S7_EESF_SV_SG_SH_SI_EUlSV_E0_NS1_11comp_targetILNS1_3genE10ELNS1_11target_archE1201ELNS1_3gpuE5ELNS1_3repE0EEENS1_38merge_mergepath_config_static_selectorELNS0_4arch9wavefront6targetE1EEEvSH_ ; -- Begin function _ZN7rocprim17ROCPRIM_400000_NS6detail17trampoline_kernelINS0_14default_configENS1_38merge_sort_block_merge_config_selectorIllEEZZNS1_27merge_sort_block_merge_implIS3_PlN6thrust23THRUST_200600_302600_NS10device_ptrIlEEjNS1_19radix_merge_compareILb0ELb0ElNS0_19identity_decomposerEEEEE10hipError_tT0_T1_T2_jT3_P12ihipStream_tbPNSt15iterator_traitsISG_E10value_typeEPNSM_ISH_E10value_typeEPSI_NS1_7vsmem_tEENKUlT_SG_SH_SI_E_clIS7_S7_SB_S7_EESF_SV_SG_SH_SI_EUlSV_E0_NS1_11comp_targetILNS1_3genE10ELNS1_11target_archE1201ELNS1_3gpuE5ELNS1_3repE0EEENS1_38merge_mergepath_config_static_selectorELNS0_4arch9wavefront6targetE1EEEvSH_
	.globl	_ZN7rocprim17ROCPRIM_400000_NS6detail17trampoline_kernelINS0_14default_configENS1_38merge_sort_block_merge_config_selectorIllEEZZNS1_27merge_sort_block_merge_implIS3_PlN6thrust23THRUST_200600_302600_NS10device_ptrIlEEjNS1_19radix_merge_compareILb0ELb0ElNS0_19identity_decomposerEEEEE10hipError_tT0_T1_T2_jT3_P12ihipStream_tbPNSt15iterator_traitsISG_E10value_typeEPNSM_ISH_E10value_typeEPSI_NS1_7vsmem_tEENKUlT_SG_SH_SI_E_clIS7_S7_SB_S7_EESF_SV_SG_SH_SI_EUlSV_E0_NS1_11comp_targetILNS1_3genE10ELNS1_11target_archE1201ELNS1_3gpuE5ELNS1_3repE0EEENS1_38merge_mergepath_config_static_selectorELNS0_4arch9wavefront6targetE1EEEvSH_
	.p2align	8
	.type	_ZN7rocprim17ROCPRIM_400000_NS6detail17trampoline_kernelINS0_14default_configENS1_38merge_sort_block_merge_config_selectorIllEEZZNS1_27merge_sort_block_merge_implIS3_PlN6thrust23THRUST_200600_302600_NS10device_ptrIlEEjNS1_19radix_merge_compareILb0ELb0ElNS0_19identity_decomposerEEEEE10hipError_tT0_T1_T2_jT3_P12ihipStream_tbPNSt15iterator_traitsISG_E10value_typeEPNSM_ISH_E10value_typeEPSI_NS1_7vsmem_tEENKUlT_SG_SH_SI_E_clIS7_S7_SB_S7_EESF_SV_SG_SH_SI_EUlSV_E0_NS1_11comp_targetILNS1_3genE10ELNS1_11target_archE1201ELNS1_3gpuE5ELNS1_3repE0EEENS1_38merge_mergepath_config_static_selectorELNS0_4arch9wavefront6targetE1EEEvSH_,@function
_ZN7rocprim17ROCPRIM_400000_NS6detail17trampoline_kernelINS0_14default_configENS1_38merge_sort_block_merge_config_selectorIllEEZZNS1_27merge_sort_block_merge_implIS3_PlN6thrust23THRUST_200600_302600_NS10device_ptrIlEEjNS1_19radix_merge_compareILb0ELb0ElNS0_19identity_decomposerEEEEE10hipError_tT0_T1_T2_jT3_P12ihipStream_tbPNSt15iterator_traitsISG_E10value_typeEPNSM_ISH_E10value_typeEPSI_NS1_7vsmem_tEENKUlT_SG_SH_SI_E_clIS7_S7_SB_S7_EESF_SV_SG_SH_SI_EUlSV_E0_NS1_11comp_targetILNS1_3genE10ELNS1_11target_archE1201ELNS1_3gpuE5ELNS1_3repE0EEENS1_38merge_mergepath_config_static_selectorELNS0_4arch9wavefront6targetE1EEEvSH_: ; @_ZN7rocprim17ROCPRIM_400000_NS6detail17trampoline_kernelINS0_14default_configENS1_38merge_sort_block_merge_config_selectorIllEEZZNS1_27merge_sort_block_merge_implIS3_PlN6thrust23THRUST_200600_302600_NS10device_ptrIlEEjNS1_19radix_merge_compareILb0ELb0ElNS0_19identity_decomposerEEEEE10hipError_tT0_T1_T2_jT3_P12ihipStream_tbPNSt15iterator_traitsISG_E10value_typeEPNSM_ISH_E10value_typeEPSI_NS1_7vsmem_tEENKUlT_SG_SH_SI_E_clIS7_S7_SB_S7_EESF_SV_SG_SH_SI_EUlSV_E0_NS1_11comp_targetILNS1_3genE10ELNS1_11target_archE1201ELNS1_3gpuE5ELNS1_3repE0EEENS1_38merge_mergepath_config_static_selectorELNS0_4arch9wavefront6targetE1EEEvSH_
; %bb.0:
	.section	.rodata,"a",@progbits
	.p2align	6, 0x0
	.amdhsa_kernel _ZN7rocprim17ROCPRIM_400000_NS6detail17trampoline_kernelINS0_14default_configENS1_38merge_sort_block_merge_config_selectorIllEEZZNS1_27merge_sort_block_merge_implIS3_PlN6thrust23THRUST_200600_302600_NS10device_ptrIlEEjNS1_19radix_merge_compareILb0ELb0ElNS0_19identity_decomposerEEEEE10hipError_tT0_T1_T2_jT3_P12ihipStream_tbPNSt15iterator_traitsISG_E10value_typeEPNSM_ISH_E10value_typeEPSI_NS1_7vsmem_tEENKUlT_SG_SH_SI_E_clIS7_S7_SB_S7_EESF_SV_SG_SH_SI_EUlSV_E0_NS1_11comp_targetILNS1_3genE10ELNS1_11target_archE1201ELNS1_3gpuE5ELNS1_3repE0EEENS1_38merge_mergepath_config_static_selectorELNS0_4arch9wavefront6targetE1EEEvSH_
		.amdhsa_group_segment_fixed_size 0
		.amdhsa_private_segment_fixed_size 0
		.amdhsa_kernarg_size 64
		.amdhsa_user_sgpr_count 6
		.amdhsa_user_sgpr_private_segment_buffer 1
		.amdhsa_user_sgpr_dispatch_ptr 0
		.amdhsa_user_sgpr_queue_ptr 0
		.amdhsa_user_sgpr_kernarg_segment_ptr 1
		.amdhsa_user_sgpr_dispatch_id 0
		.amdhsa_user_sgpr_flat_scratch_init 0
		.amdhsa_user_sgpr_kernarg_preload_length 0
		.amdhsa_user_sgpr_kernarg_preload_offset 0
		.amdhsa_user_sgpr_private_segment_size 0
		.amdhsa_uses_dynamic_stack 0
		.amdhsa_system_sgpr_private_segment_wavefront_offset 0
		.amdhsa_system_sgpr_workgroup_id_x 1
		.amdhsa_system_sgpr_workgroup_id_y 0
		.amdhsa_system_sgpr_workgroup_id_z 0
		.amdhsa_system_sgpr_workgroup_info 0
		.amdhsa_system_vgpr_workitem_id 0
		.amdhsa_next_free_vgpr 1
		.amdhsa_next_free_sgpr 0
		.amdhsa_accum_offset 4
		.amdhsa_reserve_vcc 0
		.amdhsa_reserve_flat_scratch 0
		.amdhsa_float_round_mode_32 0
		.amdhsa_float_round_mode_16_64 0
		.amdhsa_float_denorm_mode_32 3
		.amdhsa_float_denorm_mode_16_64 3
		.amdhsa_dx10_clamp 1
		.amdhsa_ieee_mode 1
		.amdhsa_fp16_overflow 0
		.amdhsa_tg_split 0
		.amdhsa_exception_fp_ieee_invalid_op 0
		.amdhsa_exception_fp_denorm_src 0
		.amdhsa_exception_fp_ieee_div_zero 0
		.amdhsa_exception_fp_ieee_overflow 0
		.amdhsa_exception_fp_ieee_underflow 0
		.amdhsa_exception_fp_ieee_inexact 0
		.amdhsa_exception_int_div_zero 0
	.end_amdhsa_kernel
	.section	.text._ZN7rocprim17ROCPRIM_400000_NS6detail17trampoline_kernelINS0_14default_configENS1_38merge_sort_block_merge_config_selectorIllEEZZNS1_27merge_sort_block_merge_implIS3_PlN6thrust23THRUST_200600_302600_NS10device_ptrIlEEjNS1_19radix_merge_compareILb0ELb0ElNS0_19identity_decomposerEEEEE10hipError_tT0_T1_T2_jT3_P12ihipStream_tbPNSt15iterator_traitsISG_E10value_typeEPNSM_ISH_E10value_typeEPSI_NS1_7vsmem_tEENKUlT_SG_SH_SI_E_clIS7_S7_SB_S7_EESF_SV_SG_SH_SI_EUlSV_E0_NS1_11comp_targetILNS1_3genE10ELNS1_11target_archE1201ELNS1_3gpuE5ELNS1_3repE0EEENS1_38merge_mergepath_config_static_selectorELNS0_4arch9wavefront6targetE1EEEvSH_,"axG",@progbits,_ZN7rocprim17ROCPRIM_400000_NS6detail17trampoline_kernelINS0_14default_configENS1_38merge_sort_block_merge_config_selectorIllEEZZNS1_27merge_sort_block_merge_implIS3_PlN6thrust23THRUST_200600_302600_NS10device_ptrIlEEjNS1_19radix_merge_compareILb0ELb0ElNS0_19identity_decomposerEEEEE10hipError_tT0_T1_T2_jT3_P12ihipStream_tbPNSt15iterator_traitsISG_E10value_typeEPNSM_ISH_E10value_typeEPSI_NS1_7vsmem_tEENKUlT_SG_SH_SI_E_clIS7_S7_SB_S7_EESF_SV_SG_SH_SI_EUlSV_E0_NS1_11comp_targetILNS1_3genE10ELNS1_11target_archE1201ELNS1_3gpuE5ELNS1_3repE0EEENS1_38merge_mergepath_config_static_selectorELNS0_4arch9wavefront6targetE1EEEvSH_,comdat
.Lfunc_end1043:
	.size	_ZN7rocprim17ROCPRIM_400000_NS6detail17trampoline_kernelINS0_14default_configENS1_38merge_sort_block_merge_config_selectorIllEEZZNS1_27merge_sort_block_merge_implIS3_PlN6thrust23THRUST_200600_302600_NS10device_ptrIlEEjNS1_19radix_merge_compareILb0ELb0ElNS0_19identity_decomposerEEEEE10hipError_tT0_T1_T2_jT3_P12ihipStream_tbPNSt15iterator_traitsISG_E10value_typeEPNSM_ISH_E10value_typeEPSI_NS1_7vsmem_tEENKUlT_SG_SH_SI_E_clIS7_S7_SB_S7_EESF_SV_SG_SH_SI_EUlSV_E0_NS1_11comp_targetILNS1_3genE10ELNS1_11target_archE1201ELNS1_3gpuE5ELNS1_3repE0EEENS1_38merge_mergepath_config_static_selectorELNS0_4arch9wavefront6targetE1EEEvSH_, .Lfunc_end1043-_ZN7rocprim17ROCPRIM_400000_NS6detail17trampoline_kernelINS0_14default_configENS1_38merge_sort_block_merge_config_selectorIllEEZZNS1_27merge_sort_block_merge_implIS3_PlN6thrust23THRUST_200600_302600_NS10device_ptrIlEEjNS1_19radix_merge_compareILb0ELb0ElNS0_19identity_decomposerEEEEE10hipError_tT0_T1_T2_jT3_P12ihipStream_tbPNSt15iterator_traitsISG_E10value_typeEPNSM_ISH_E10value_typeEPSI_NS1_7vsmem_tEENKUlT_SG_SH_SI_E_clIS7_S7_SB_S7_EESF_SV_SG_SH_SI_EUlSV_E0_NS1_11comp_targetILNS1_3genE10ELNS1_11target_archE1201ELNS1_3gpuE5ELNS1_3repE0EEENS1_38merge_mergepath_config_static_selectorELNS0_4arch9wavefront6targetE1EEEvSH_
                                        ; -- End function
	.section	.AMDGPU.csdata,"",@progbits
; Kernel info:
; codeLenInByte = 0
; NumSgprs: 4
; NumVgprs: 0
; NumAgprs: 0
; TotalNumVgprs: 0
; ScratchSize: 0
; MemoryBound: 0
; FloatMode: 240
; IeeeMode: 1
; LDSByteSize: 0 bytes/workgroup (compile time only)
; SGPRBlocks: 0
; VGPRBlocks: 0
; NumSGPRsForWavesPerEU: 4
; NumVGPRsForWavesPerEU: 1
; AccumOffset: 4
; Occupancy: 8
; WaveLimiterHint : 0
; COMPUTE_PGM_RSRC2:SCRATCH_EN: 0
; COMPUTE_PGM_RSRC2:USER_SGPR: 6
; COMPUTE_PGM_RSRC2:TRAP_HANDLER: 0
; COMPUTE_PGM_RSRC2:TGID_X_EN: 1
; COMPUTE_PGM_RSRC2:TGID_Y_EN: 0
; COMPUTE_PGM_RSRC2:TGID_Z_EN: 0
; COMPUTE_PGM_RSRC2:TIDIG_COMP_CNT: 0
; COMPUTE_PGM_RSRC3_GFX90A:ACCUM_OFFSET: 0
; COMPUTE_PGM_RSRC3_GFX90A:TG_SPLIT: 0
	.section	.text._ZN7rocprim17ROCPRIM_400000_NS6detail17trampoline_kernelINS0_14default_configENS1_38merge_sort_block_merge_config_selectorIllEEZZNS1_27merge_sort_block_merge_implIS3_PlN6thrust23THRUST_200600_302600_NS10device_ptrIlEEjNS1_19radix_merge_compareILb0ELb0ElNS0_19identity_decomposerEEEEE10hipError_tT0_T1_T2_jT3_P12ihipStream_tbPNSt15iterator_traitsISG_E10value_typeEPNSM_ISH_E10value_typeEPSI_NS1_7vsmem_tEENKUlT_SG_SH_SI_E_clIS7_S7_SB_S7_EESF_SV_SG_SH_SI_EUlSV_E0_NS1_11comp_targetILNS1_3genE5ELNS1_11target_archE942ELNS1_3gpuE9ELNS1_3repE0EEENS1_38merge_mergepath_config_static_selectorELNS0_4arch9wavefront6targetE1EEEvSH_,"axG",@progbits,_ZN7rocprim17ROCPRIM_400000_NS6detail17trampoline_kernelINS0_14default_configENS1_38merge_sort_block_merge_config_selectorIllEEZZNS1_27merge_sort_block_merge_implIS3_PlN6thrust23THRUST_200600_302600_NS10device_ptrIlEEjNS1_19radix_merge_compareILb0ELb0ElNS0_19identity_decomposerEEEEE10hipError_tT0_T1_T2_jT3_P12ihipStream_tbPNSt15iterator_traitsISG_E10value_typeEPNSM_ISH_E10value_typeEPSI_NS1_7vsmem_tEENKUlT_SG_SH_SI_E_clIS7_S7_SB_S7_EESF_SV_SG_SH_SI_EUlSV_E0_NS1_11comp_targetILNS1_3genE5ELNS1_11target_archE942ELNS1_3gpuE9ELNS1_3repE0EEENS1_38merge_mergepath_config_static_selectorELNS0_4arch9wavefront6targetE1EEEvSH_,comdat
	.protected	_ZN7rocprim17ROCPRIM_400000_NS6detail17trampoline_kernelINS0_14default_configENS1_38merge_sort_block_merge_config_selectorIllEEZZNS1_27merge_sort_block_merge_implIS3_PlN6thrust23THRUST_200600_302600_NS10device_ptrIlEEjNS1_19radix_merge_compareILb0ELb0ElNS0_19identity_decomposerEEEEE10hipError_tT0_T1_T2_jT3_P12ihipStream_tbPNSt15iterator_traitsISG_E10value_typeEPNSM_ISH_E10value_typeEPSI_NS1_7vsmem_tEENKUlT_SG_SH_SI_E_clIS7_S7_SB_S7_EESF_SV_SG_SH_SI_EUlSV_E0_NS1_11comp_targetILNS1_3genE5ELNS1_11target_archE942ELNS1_3gpuE9ELNS1_3repE0EEENS1_38merge_mergepath_config_static_selectorELNS0_4arch9wavefront6targetE1EEEvSH_ ; -- Begin function _ZN7rocprim17ROCPRIM_400000_NS6detail17trampoline_kernelINS0_14default_configENS1_38merge_sort_block_merge_config_selectorIllEEZZNS1_27merge_sort_block_merge_implIS3_PlN6thrust23THRUST_200600_302600_NS10device_ptrIlEEjNS1_19radix_merge_compareILb0ELb0ElNS0_19identity_decomposerEEEEE10hipError_tT0_T1_T2_jT3_P12ihipStream_tbPNSt15iterator_traitsISG_E10value_typeEPNSM_ISH_E10value_typeEPSI_NS1_7vsmem_tEENKUlT_SG_SH_SI_E_clIS7_S7_SB_S7_EESF_SV_SG_SH_SI_EUlSV_E0_NS1_11comp_targetILNS1_3genE5ELNS1_11target_archE942ELNS1_3gpuE9ELNS1_3repE0EEENS1_38merge_mergepath_config_static_selectorELNS0_4arch9wavefront6targetE1EEEvSH_
	.globl	_ZN7rocprim17ROCPRIM_400000_NS6detail17trampoline_kernelINS0_14default_configENS1_38merge_sort_block_merge_config_selectorIllEEZZNS1_27merge_sort_block_merge_implIS3_PlN6thrust23THRUST_200600_302600_NS10device_ptrIlEEjNS1_19radix_merge_compareILb0ELb0ElNS0_19identity_decomposerEEEEE10hipError_tT0_T1_T2_jT3_P12ihipStream_tbPNSt15iterator_traitsISG_E10value_typeEPNSM_ISH_E10value_typeEPSI_NS1_7vsmem_tEENKUlT_SG_SH_SI_E_clIS7_S7_SB_S7_EESF_SV_SG_SH_SI_EUlSV_E0_NS1_11comp_targetILNS1_3genE5ELNS1_11target_archE942ELNS1_3gpuE9ELNS1_3repE0EEENS1_38merge_mergepath_config_static_selectorELNS0_4arch9wavefront6targetE1EEEvSH_
	.p2align	8
	.type	_ZN7rocprim17ROCPRIM_400000_NS6detail17trampoline_kernelINS0_14default_configENS1_38merge_sort_block_merge_config_selectorIllEEZZNS1_27merge_sort_block_merge_implIS3_PlN6thrust23THRUST_200600_302600_NS10device_ptrIlEEjNS1_19radix_merge_compareILb0ELb0ElNS0_19identity_decomposerEEEEE10hipError_tT0_T1_T2_jT3_P12ihipStream_tbPNSt15iterator_traitsISG_E10value_typeEPNSM_ISH_E10value_typeEPSI_NS1_7vsmem_tEENKUlT_SG_SH_SI_E_clIS7_S7_SB_S7_EESF_SV_SG_SH_SI_EUlSV_E0_NS1_11comp_targetILNS1_3genE5ELNS1_11target_archE942ELNS1_3gpuE9ELNS1_3repE0EEENS1_38merge_mergepath_config_static_selectorELNS0_4arch9wavefront6targetE1EEEvSH_,@function
_ZN7rocprim17ROCPRIM_400000_NS6detail17trampoline_kernelINS0_14default_configENS1_38merge_sort_block_merge_config_selectorIllEEZZNS1_27merge_sort_block_merge_implIS3_PlN6thrust23THRUST_200600_302600_NS10device_ptrIlEEjNS1_19radix_merge_compareILb0ELb0ElNS0_19identity_decomposerEEEEE10hipError_tT0_T1_T2_jT3_P12ihipStream_tbPNSt15iterator_traitsISG_E10value_typeEPNSM_ISH_E10value_typeEPSI_NS1_7vsmem_tEENKUlT_SG_SH_SI_E_clIS7_S7_SB_S7_EESF_SV_SG_SH_SI_EUlSV_E0_NS1_11comp_targetILNS1_3genE5ELNS1_11target_archE942ELNS1_3gpuE9ELNS1_3repE0EEENS1_38merge_mergepath_config_static_selectorELNS0_4arch9wavefront6targetE1EEEvSH_: ; @_ZN7rocprim17ROCPRIM_400000_NS6detail17trampoline_kernelINS0_14default_configENS1_38merge_sort_block_merge_config_selectorIllEEZZNS1_27merge_sort_block_merge_implIS3_PlN6thrust23THRUST_200600_302600_NS10device_ptrIlEEjNS1_19radix_merge_compareILb0ELb0ElNS0_19identity_decomposerEEEEE10hipError_tT0_T1_T2_jT3_P12ihipStream_tbPNSt15iterator_traitsISG_E10value_typeEPNSM_ISH_E10value_typeEPSI_NS1_7vsmem_tEENKUlT_SG_SH_SI_E_clIS7_S7_SB_S7_EESF_SV_SG_SH_SI_EUlSV_E0_NS1_11comp_targetILNS1_3genE5ELNS1_11target_archE942ELNS1_3gpuE9ELNS1_3repE0EEENS1_38merge_mergepath_config_static_selectorELNS0_4arch9wavefront6targetE1EEEvSH_
; %bb.0:
	.section	.rodata,"a",@progbits
	.p2align	6, 0x0
	.amdhsa_kernel _ZN7rocprim17ROCPRIM_400000_NS6detail17trampoline_kernelINS0_14default_configENS1_38merge_sort_block_merge_config_selectorIllEEZZNS1_27merge_sort_block_merge_implIS3_PlN6thrust23THRUST_200600_302600_NS10device_ptrIlEEjNS1_19radix_merge_compareILb0ELb0ElNS0_19identity_decomposerEEEEE10hipError_tT0_T1_T2_jT3_P12ihipStream_tbPNSt15iterator_traitsISG_E10value_typeEPNSM_ISH_E10value_typeEPSI_NS1_7vsmem_tEENKUlT_SG_SH_SI_E_clIS7_S7_SB_S7_EESF_SV_SG_SH_SI_EUlSV_E0_NS1_11comp_targetILNS1_3genE5ELNS1_11target_archE942ELNS1_3gpuE9ELNS1_3repE0EEENS1_38merge_mergepath_config_static_selectorELNS0_4arch9wavefront6targetE1EEEvSH_
		.amdhsa_group_segment_fixed_size 0
		.amdhsa_private_segment_fixed_size 0
		.amdhsa_kernarg_size 64
		.amdhsa_user_sgpr_count 6
		.amdhsa_user_sgpr_private_segment_buffer 1
		.amdhsa_user_sgpr_dispatch_ptr 0
		.amdhsa_user_sgpr_queue_ptr 0
		.amdhsa_user_sgpr_kernarg_segment_ptr 1
		.amdhsa_user_sgpr_dispatch_id 0
		.amdhsa_user_sgpr_flat_scratch_init 0
		.amdhsa_user_sgpr_kernarg_preload_length 0
		.amdhsa_user_sgpr_kernarg_preload_offset 0
		.amdhsa_user_sgpr_private_segment_size 0
		.amdhsa_uses_dynamic_stack 0
		.amdhsa_system_sgpr_private_segment_wavefront_offset 0
		.amdhsa_system_sgpr_workgroup_id_x 1
		.amdhsa_system_sgpr_workgroup_id_y 0
		.amdhsa_system_sgpr_workgroup_id_z 0
		.amdhsa_system_sgpr_workgroup_info 0
		.amdhsa_system_vgpr_workitem_id 0
		.amdhsa_next_free_vgpr 1
		.amdhsa_next_free_sgpr 0
		.amdhsa_accum_offset 4
		.amdhsa_reserve_vcc 0
		.amdhsa_reserve_flat_scratch 0
		.amdhsa_float_round_mode_32 0
		.amdhsa_float_round_mode_16_64 0
		.amdhsa_float_denorm_mode_32 3
		.amdhsa_float_denorm_mode_16_64 3
		.amdhsa_dx10_clamp 1
		.amdhsa_ieee_mode 1
		.amdhsa_fp16_overflow 0
		.amdhsa_tg_split 0
		.amdhsa_exception_fp_ieee_invalid_op 0
		.amdhsa_exception_fp_denorm_src 0
		.amdhsa_exception_fp_ieee_div_zero 0
		.amdhsa_exception_fp_ieee_overflow 0
		.amdhsa_exception_fp_ieee_underflow 0
		.amdhsa_exception_fp_ieee_inexact 0
		.amdhsa_exception_int_div_zero 0
	.end_amdhsa_kernel
	.section	.text._ZN7rocprim17ROCPRIM_400000_NS6detail17trampoline_kernelINS0_14default_configENS1_38merge_sort_block_merge_config_selectorIllEEZZNS1_27merge_sort_block_merge_implIS3_PlN6thrust23THRUST_200600_302600_NS10device_ptrIlEEjNS1_19radix_merge_compareILb0ELb0ElNS0_19identity_decomposerEEEEE10hipError_tT0_T1_T2_jT3_P12ihipStream_tbPNSt15iterator_traitsISG_E10value_typeEPNSM_ISH_E10value_typeEPSI_NS1_7vsmem_tEENKUlT_SG_SH_SI_E_clIS7_S7_SB_S7_EESF_SV_SG_SH_SI_EUlSV_E0_NS1_11comp_targetILNS1_3genE5ELNS1_11target_archE942ELNS1_3gpuE9ELNS1_3repE0EEENS1_38merge_mergepath_config_static_selectorELNS0_4arch9wavefront6targetE1EEEvSH_,"axG",@progbits,_ZN7rocprim17ROCPRIM_400000_NS6detail17trampoline_kernelINS0_14default_configENS1_38merge_sort_block_merge_config_selectorIllEEZZNS1_27merge_sort_block_merge_implIS3_PlN6thrust23THRUST_200600_302600_NS10device_ptrIlEEjNS1_19radix_merge_compareILb0ELb0ElNS0_19identity_decomposerEEEEE10hipError_tT0_T1_T2_jT3_P12ihipStream_tbPNSt15iterator_traitsISG_E10value_typeEPNSM_ISH_E10value_typeEPSI_NS1_7vsmem_tEENKUlT_SG_SH_SI_E_clIS7_S7_SB_S7_EESF_SV_SG_SH_SI_EUlSV_E0_NS1_11comp_targetILNS1_3genE5ELNS1_11target_archE942ELNS1_3gpuE9ELNS1_3repE0EEENS1_38merge_mergepath_config_static_selectorELNS0_4arch9wavefront6targetE1EEEvSH_,comdat
.Lfunc_end1044:
	.size	_ZN7rocprim17ROCPRIM_400000_NS6detail17trampoline_kernelINS0_14default_configENS1_38merge_sort_block_merge_config_selectorIllEEZZNS1_27merge_sort_block_merge_implIS3_PlN6thrust23THRUST_200600_302600_NS10device_ptrIlEEjNS1_19radix_merge_compareILb0ELb0ElNS0_19identity_decomposerEEEEE10hipError_tT0_T1_T2_jT3_P12ihipStream_tbPNSt15iterator_traitsISG_E10value_typeEPNSM_ISH_E10value_typeEPSI_NS1_7vsmem_tEENKUlT_SG_SH_SI_E_clIS7_S7_SB_S7_EESF_SV_SG_SH_SI_EUlSV_E0_NS1_11comp_targetILNS1_3genE5ELNS1_11target_archE942ELNS1_3gpuE9ELNS1_3repE0EEENS1_38merge_mergepath_config_static_selectorELNS0_4arch9wavefront6targetE1EEEvSH_, .Lfunc_end1044-_ZN7rocprim17ROCPRIM_400000_NS6detail17trampoline_kernelINS0_14default_configENS1_38merge_sort_block_merge_config_selectorIllEEZZNS1_27merge_sort_block_merge_implIS3_PlN6thrust23THRUST_200600_302600_NS10device_ptrIlEEjNS1_19radix_merge_compareILb0ELb0ElNS0_19identity_decomposerEEEEE10hipError_tT0_T1_T2_jT3_P12ihipStream_tbPNSt15iterator_traitsISG_E10value_typeEPNSM_ISH_E10value_typeEPSI_NS1_7vsmem_tEENKUlT_SG_SH_SI_E_clIS7_S7_SB_S7_EESF_SV_SG_SH_SI_EUlSV_E0_NS1_11comp_targetILNS1_3genE5ELNS1_11target_archE942ELNS1_3gpuE9ELNS1_3repE0EEENS1_38merge_mergepath_config_static_selectorELNS0_4arch9wavefront6targetE1EEEvSH_
                                        ; -- End function
	.section	.AMDGPU.csdata,"",@progbits
; Kernel info:
; codeLenInByte = 0
; NumSgprs: 4
; NumVgprs: 0
; NumAgprs: 0
; TotalNumVgprs: 0
; ScratchSize: 0
; MemoryBound: 0
; FloatMode: 240
; IeeeMode: 1
; LDSByteSize: 0 bytes/workgroup (compile time only)
; SGPRBlocks: 0
; VGPRBlocks: 0
; NumSGPRsForWavesPerEU: 4
; NumVGPRsForWavesPerEU: 1
; AccumOffset: 4
; Occupancy: 8
; WaveLimiterHint : 0
; COMPUTE_PGM_RSRC2:SCRATCH_EN: 0
; COMPUTE_PGM_RSRC2:USER_SGPR: 6
; COMPUTE_PGM_RSRC2:TRAP_HANDLER: 0
; COMPUTE_PGM_RSRC2:TGID_X_EN: 1
; COMPUTE_PGM_RSRC2:TGID_Y_EN: 0
; COMPUTE_PGM_RSRC2:TGID_Z_EN: 0
; COMPUTE_PGM_RSRC2:TIDIG_COMP_CNT: 0
; COMPUTE_PGM_RSRC3_GFX90A:ACCUM_OFFSET: 0
; COMPUTE_PGM_RSRC3_GFX90A:TG_SPLIT: 0
	.section	.text._ZN7rocprim17ROCPRIM_400000_NS6detail17trampoline_kernelINS0_14default_configENS1_38merge_sort_block_merge_config_selectorIllEEZZNS1_27merge_sort_block_merge_implIS3_PlN6thrust23THRUST_200600_302600_NS10device_ptrIlEEjNS1_19radix_merge_compareILb0ELb0ElNS0_19identity_decomposerEEEEE10hipError_tT0_T1_T2_jT3_P12ihipStream_tbPNSt15iterator_traitsISG_E10value_typeEPNSM_ISH_E10value_typeEPSI_NS1_7vsmem_tEENKUlT_SG_SH_SI_E_clIS7_S7_SB_S7_EESF_SV_SG_SH_SI_EUlSV_E0_NS1_11comp_targetILNS1_3genE4ELNS1_11target_archE910ELNS1_3gpuE8ELNS1_3repE0EEENS1_38merge_mergepath_config_static_selectorELNS0_4arch9wavefront6targetE1EEEvSH_,"axG",@progbits,_ZN7rocprim17ROCPRIM_400000_NS6detail17trampoline_kernelINS0_14default_configENS1_38merge_sort_block_merge_config_selectorIllEEZZNS1_27merge_sort_block_merge_implIS3_PlN6thrust23THRUST_200600_302600_NS10device_ptrIlEEjNS1_19radix_merge_compareILb0ELb0ElNS0_19identity_decomposerEEEEE10hipError_tT0_T1_T2_jT3_P12ihipStream_tbPNSt15iterator_traitsISG_E10value_typeEPNSM_ISH_E10value_typeEPSI_NS1_7vsmem_tEENKUlT_SG_SH_SI_E_clIS7_S7_SB_S7_EESF_SV_SG_SH_SI_EUlSV_E0_NS1_11comp_targetILNS1_3genE4ELNS1_11target_archE910ELNS1_3gpuE8ELNS1_3repE0EEENS1_38merge_mergepath_config_static_selectorELNS0_4arch9wavefront6targetE1EEEvSH_,comdat
	.protected	_ZN7rocprim17ROCPRIM_400000_NS6detail17trampoline_kernelINS0_14default_configENS1_38merge_sort_block_merge_config_selectorIllEEZZNS1_27merge_sort_block_merge_implIS3_PlN6thrust23THRUST_200600_302600_NS10device_ptrIlEEjNS1_19radix_merge_compareILb0ELb0ElNS0_19identity_decomposerEEEEE10hipError_tT0_T1_T2_jT3_P12ihipStream_tbPNSt15iterator_traitsISG_E10value_typeEPNSM_ISH_E10value_typeEPSI_NS1_7vsmem_tEENKUlT_SG_SH_SI_E_clIS7_S7_SB_S7_EESF_SV_SG_SH_SI_EUlSV_E0_NS1_11comp_targetILNS1_3genE4ELNS1_11target_archE910ELNS1_3gpuE8ELNS1_3repE0EEENS1_38merge_mergepath_config_static_selectorELNS0_4arch9wavefront6targetE1EEEvSH_ ; -- Begin function _ZN7rocprim17ROCPRIM_400000_NS6detail17trampoline_kernelINS0_14default_configENS1_38merge_sort_block_merge_config_selectorIllEEZZNS1_27merge_sort_block_merge_implIS3_PlN6thrust23THRUST_200600_302600_NS10device_ptrIlEEjNS1_19radix_merge_compareILb0ELb0ElNS0_19identity_decomposerEEEEE10hipError_tT0_T1_T2_jT3_P12ihipStream_tbPNSt15iterator_traitsISG_E10value_typeEPNSM_ISH_E10value_typeEPSI_NS1_7vsmem_tEENKUlT_SG_SH_SI_E_clIS7_S7_SB_S7_EESF_SV_SG_SH_SI_EUlSV_E0_NS1_11comp_targetILNS1_3genE4ELNS1_11target_archE910ELNS1_3gpuE8ELNS1_3repE0EEENS1_38merge_mergepath_config_static_selectorELNS0_4arch9wavefront6targetE1EEEvSH_
	.globl	_ZN7rocprim17ROCPRIM_400000_NS6detail17trampoline_kernelINS0_14default_configENS1_38merge_sort_block_merge_config_selectorIllEEZZNS1_27merge_sort_block_merge_implIS3_PlN6thrust23THRUST_200600_302600_NS10device_ptrIlEEjNS1_19radix_merge_compareILb0ELb0ElNS0_19identity_decomposerEEEEE10hipError_tT0_T1_T2_jT3_P12ihipStream_tbPNSt15iterator_traitsISG_E10value_typeEPNSM_ISH_E10value_typeEPSI_NS1_7vsmem_tEENKUlT_SG_SH_SI_E_clIS7_S7_SB_S7_EESF_SV_SG_SH_SI_EUlSV_E0_NS1_11comp_targetILNS1_3genE4ELNS1_11target_archE910ELNS1_3gpuE8ELNS1_3repE0EEENS1_38merge_mergepath_config_static_selectorELNS0_4arch9wavefront6targetE1EEEvSH_
	.p2align	8
	.type	_ZN7rocprim17ROCPRIM_400000_NS6detail17trampoline_kernelINS0_14default_configENS1_38merge_sort_block_merge_config_selectorIllEEZZNS1_27merge_sort_block_merge_implIS3_PlN6thrust23THRUST_200600_302600_NS10device_ptrIlEEjNS1_19radix_merge_compareILb0ELb0ElNS0_19identity_decomposerEEEEE10hipError_tT0_T1_T2_jT3_P12ihipStream_tbPNSt15iterator_traitsISG_E10value_typeEPNSM_ISH_E10value_typeEPSI_NS1_7vsmem_tEENKUlT_SG_SH_SI_E_clIS7_S7_SB_S7_EESF_SV_SG_SH_SI_EUlSV_E0_NS1_11comp_targetILNS1_3genE4ELNS1_11target_archE910ELNS1_3gpuE8ELNS1_3repE0EEENS1_38merge_mergepath_config_static_selectorELNS0_4arch9wavefront6targetE1EEEvSH_,@function
_ZN7rocprim17ROCPRIM_400000_NS6detail17trampoline_kernelINS0_14default_configENS1_38merge_sort_block_merge_config_selectorIllEEZZNS1_27merge_sort_block_merge_implIS3_PlN6thrust23THRUST_200600_302600_NS10device_ptrIlEEjNS1_19radix_merge_compareILb0ELb0ElNS0_19identity_decomposerEEEEE10hipError_tT0_T1_T2_jT3_P12ihipStream_tbPNSt15iterator_traitsISG_E10value_typeEPNSM_ISH_E10value_typeEPSI_NS1_7vsmem_tEENKUlT_SG_SH_SI_E_clIS7_S7_SB_S7_EESF_SV_SG_SH_SI_EUlSV_E0_NS1_11comp_targetILNS1_3genE4ELNS1_11target_archE910ELNS1_3gpuE8ELNS1_3repE0EEENS1_38merge_mergepath_config_static_selectorELNS0_4arch9wavefront6targetE1EEEvSH_: ; @_ZN7rocprim17ROCPRIM_400000_NS6detail17trampoline_kernelINS0_14default_configENS1_38merge_sort_block_merge_config_selectorIllEEZZNS1_27merge_sort_block_merge_implIS3_PlN6thrust23THRUST_200600_302600_NS10device_ptrIlEEjNS1_19radix_merge_compareILb0ELb0ElNS0_19identity_decomposerEEEEE10hipError_tT0_T1_T2_jT3_P12ihipStream_tbPNSt15iterator_traitsISG_E10value_typeEPNSM_ISH_E10value_typeEPSI_NS1_7vsmem_tEENKUlT_SG_SH_SI_E_clIS7_S7_SB_S7_EESF_SV_SG_SH_SI_EUlSV_E0_NS1_11comp_targetILNS1_3genE4ELNS1_11target_archE910ELNS1_3gpuE8ELNS1_3repE0EEENS1_38merge_mergepath_config_static_selectorELNS0_4arch9wavefront6targetE1EEEvSH_
; %bb.0:
	s_load_dwordx2 s[24:25], s[4:5], 0x40
	s_load_dword s0, s[4:5], 0x30
	s_add_u32 s20, s4, 64
	s_addc_u32 s21, s5, 0
	s_waitcnt lgkmcnt(0)
	s_mul_i32 s1, s25, s8
	s_add_i32 s1, s1, s7
	s_mul_i32 s1, s1, s24
	s_add_i32 s22, s1, s6
	s_cmp_ge_u32 s22, s0
	s_cbranch_scc1 .LBB1045_39
; %bb.1:
	s_load_dwordx8 s[8:15], s[4:5], 0x10
	s_load_dwordx2 s[28:29], s[4:5], 0x8
	s_load_dwordx2 s[0:1], s[4:5], 0x38
	s_mov_b32 s23, 0
	v_mov_b32_e32 v3, 0
	s_waitcnt lgkmcnt(0)
	s_lshr_b32 s30, s14, 10
	s_cmp_lg_u32 s22, s30
	s_cselect_b64 s[16:17], -1, 0
	s_lshl_b64 s[2:3], s[22:23], 2
	s_add_u32 s0, s0, s2
	s_addc_u32 s1, s1, s3
	s_load_dwordx2 s[2:3], s[0:1], 0x0
	s_lshr_b32 s0, s15, 9
	s_and_b32 s0, s0, 0x7ffffe
	s_sub_i32 s1, 0, s0
	s_and_b32 s0, s22, s1
	s_lshl_b32 s5, s0, 10
	s_lshl_b32 s4, s22, 10
	;; [unrolled: 1-line block ×3, first 2 shown]
	s_sub_i32 s7, s4, s5
	s_add_i32 s18, s0, s15
	s_add_i32 s7, s18, s7
	s_waitcnt lgkmcnt(0)
	s_sub_i32 s0, s7, s2
	s_sub_i32 s7, s7, s3
	;; [unrolled: 1-line block ×3, first 2 shown]
	s_min_u32 s0, s14, s0
	s_addk_i32 s7, 0x400
	s_or_b32 s1, s22, s1
	s_min_u32 s18, s14, s5
	s_add_i32 s5, s5, s15
	s_cmp_eq_u32 s1, -1
	s_cselect_b32 s3, s18, s3
	s_cselect_b32 s1, s5, s7
	s_sub_i32 s5, s3, s2
	s_mov_b32 s3, s23
	s_min_u32 s15, s1, s14
	s_lshl_b64 s[2:3], s[2:3], 3
	s_add_u32 s26, s28, s2
	s_mov_b32 s1, s23
	s_addc_u32 s27, s29, s3
	s_lshl_b64 s[18:19], s[0:1], 3
	s_add_u32 s23, s28, s18
	s_addc_u32 s25, s29, s19
	s_cmp_lt_u32 s6, s24
	s_cselect_b32 s1, 12, 18
	global_load_dword v1, v3, s[20:21] offset:14
	s_add_u32 s6, s20, s1
	s_addc_u32 s7, s21, 0
	global_load_ushort v2, v3, s[6:7]
	s_cmp_eq_u32 s22, s30
	s_waitcnt vmcnt(1)
	v_lshrrev_b32_e32 v4, 16, v1
	v_and_b32_e32 v1, 0xffff, v1
	v_mul_lo_u32 v1, v1, v4
	s_waitcnt vmcnt(0)
	v_mul_lo_u32 v9, v1, v2
	v_lshlrev_b32_e32 v1, 3, v0
	v_add_u32_e32 v8, v9, v0
	s_cbranch_scc1 .LBB1045_3
; %bb.2:
	v_mov_b32_e32 v2, s27
	v_add_co_u32_e32 v4, vcc, s26, v1
	v_addc_co_u32_e32 v5, vcc, 0, v2, vcc
	v_subrev_u32_e32 v2, s5, v0
	v_lshlrev_b64 v[2:3], 3, v[2:3]
	v_mov_b32_e32 v6, s25
	v_add_co_u32_e32 v2, vcc, s23, v2
	v_addc_co_u32_e32 v3, vcc, v6, v3, vcc
	v_cmp_gt_u32_e32 vcc, s5, v0
	v_cndmask_b32_e32 v3, v3, v5, vcc
	v_cndmask_b32_e32 v2, v2, v4, vcc
	global_load_dwordx2 v[6:7], v[2:3], off
	v_add_u32_e32 v10, v9, v0
	s_mov_b64 s[6:7], -1
	s_sub_i32 s15, s15, s0
	s_cbranch_execz .LBB1045_4
	s_branch .LBB1045_7
.LBB1045_3:
	s_mov_b64 s[6:7], 0
                                        ; implicit-def: $vgpr6_vgpr7
                                        ; implicit-def: $vgpr10
	s_sub_i32 s15, s15, s0
.LBB1045_4:
	s_add_i32 s6, s15, s5
	v_cmp_gt_u32_e32 vcc, s6, v0
                                        ; implicit-def: $vgpr6_vgpr7
	s_and_saveexec_b64 s[0:1], vcc
	s_cbranch_execz .LBB1045_6
; %bb.5:
	v_mov_b32_e32 v2, s27
	v_add_co_u32_e32 v4, vcc, s26, v1
	v_mov_b32_e32 v3, 0
	v_addc_co_u32_e32 v5, vcc, 0, v2, vcc
	v_subrev_u32_e32 v2, s5, v0
	v_lshlrev_b64 v[2:3], 3, v[2:3]
	s_waitcnt vmcnt(0)
	v_mov_b32_e32 v6, s25
	v_add_co_u32_e32 v2, vcc, s23, v2
	v_addc_co_u32_e32 v3, vcc, v6, v3, vcc
	v_cmp_gt_u32_e32 vcc, s5, v0
	v_cndmask_b32_e32 v3, v3, v5, vcc
	v_cndmask_b32_e32 v2, v2, v4, vcc
	global_load_dwordx2 v[6:7], v[2:3], off
.LBB1045_6:
	s_or_b64 exec, exec, s[0:1]
	v_add_u32_e32 v10, v9, v0
	v_cmp_gt_u32_e64 s[6:7], s6, v10
.LBB1045_7:
	s_and_saveexec_b64 s[20:21], s[6:7]
                                        ; implicit-def: $vgpr2_vgpr3_vgpr4_vgpr5
	s_cbranch_execz .LBB1045_9
; %bb.8:
	v_mov_b32_e32 v11, 0
	v_lshlrev_b64 v[2:3], 3, v[10:11]
	v_mov_b32_e32 v4, s27
	v_add_co_u32_e32 v5, vcc, s26, v2
	v_addc_co_u32_e32 v4, vcc, v4, v3, vcc
	v_cmp_gt_u32_e32 vcc, s5, v10
	v_subrev_u32_e32 v10, s5, v10
	v_lshlrev_b64 v[2:3], 3, v[10:11]
	v_mov_b32_e32 v10, s25
	v_add_co_u32_e64 v2, s[0:1], s23, v2
	v_addc_co_u32_e64 v3, s[0:1], v10, v3, s[0:1]
	v_cndmask_b32_e32 v3, v3, v4, vcc
	v_cndmask_b32_e32 v2, v2, v5, vcc
	global_load_dwordx2 v[4:5], v[2:3], off
.LBB1045_9:
	s_or_b64 exec, exec, s[20:21]
	s_add_u32 s6, s10, s2
	s_addc_u32 s7, s11, s3
	s_add_u32 s10, s10, s18
	s_addc_u32 s11, s11, s19
	s_andn2_b64 vcc, exec, s[16:17]
	s_waitcnt vmcnt(0)
	ds_write2st64_b64 v1, v[6:7], v[4:5] offset1:8
	s_cbranch_vccnz .LBB1045_12
; %bb.10:
	v_subrev_u32_e32 v2, s5, v0
	v_mov_b32_e32 v3, 0
	v_lshlrev_b64 v[2:3], 3, v[2:3]
	v_mov_b32_e32 v10, s11
	v_add_co_u32_e32 v2, vcc, s10, v2
	v_addc_co_u32_e32 v3, vcc, v10, v3, vcc
	v_mov_b32_e32 v10, s7
	v_add_co_u32_e32 v11, vcc, s6, v1
	v_addc_co_u32_e32 v10, vcc, 0, v10, vcc
	v_cmp_gt_u32_e32 vcc, s5, v0
	v_cndmask_b32_e32 v3, v3, v10, vcc
	v_cndmask_b32_e32 v2, v2, v11, vcc
	global_load_dwordx2 v[2:3], v[2:3], off
	v_add_u32_e32 v9, v9, v0
	s_add_i32 s18, s15, s5
	s_mov_b64 s[0:1], -1
	s_cbranch_execz .LBB1045_13
; %bb.11:
	v_mov_b32_e32 v8, v9
	v_mov_b32_e32 v13, s18
                                        ; implicit-def: $vgpr10_vgpr11
	s_and_saveexec_b64 s[2:3], s[0:1]
	s_cbranch_execnz .LBB1045_16
	s_branch .LBB1045_17
.LBB1045_12:
	s_mov_b64 s[0:1], 0
                                        ; implicit-def: $vgpr2_vgpr3
                                        ; implicit-def: $vgpr9
                                        ; implicit-def: $sgpr18
.LBB1045_13:
	s_add_i32 s18, s15, s5
	v_cmp_gt_u32_e32 vcc, s18, v0
                                        ; implicit-def: $vgpr2_vgpr3
	s_and_saveexec_b64 s[0:1], vcc
	s_cbranch_execz .LBB1045_15
; %bb.14:
	s_waitcnt vmcnt(0)
	v_mov_b32_e32 v2, s7
	v_add_co_u32_e32 v9, vcc, s6, v1
	v_mov_b32_e32 v3, 0
	v_addc_co_u32_e32 v10, vcc, 0, v2, vcc
	v_subrev_u32_e32 v2, s5, v0
	v_lshlrev_b64 v[2:3], 3, v[2:3]
	v_mov_b32_e32 v11, s11
	v_add_co_u32_e32 v2, vcc, s10, v2
	v_addc_co_u32_e32 v3, vcc, v11, v3, vcc
	v_cmp_gt_u32_e32 vcc, s5, v0
	v_cndmask_b32_e32 v3, v3, v10, vcc
	v_cndmask_b32_e32 v2, v2, v9, vcc
	global_load_dwordx2 v[2:3], v[2:3], off
.LBB1045_15:
	s_or_b64 exec, exec, s[0:1]
	v_cmp_gt_u32_e64 s[0:1], s18, v8
	v_mov_b32_e32 v13, s18
                                        ; implicit-def: $vgpr10_vgpr11
	s_and_saveexec_b64 s[2:3], s[0:1]
	s_cbranch_execz .LBB1045_17
.LBB1045_16:
	v_subrev_u32_e32 v10, s5, v8
	v_mov_b32_e32 v11, 0
	v_lshlrev_b64 v[12:13], 3, v[10:11]
	v_mov_b32_e32 v9, s11
	v_add_co_u32_e32 v12, vcc, s10, v12
	v_addc_co_u32_e32 v13, vcc, v9, v13, vcc
	v_mov_b32_e32 v9, v11
	v_lshlrev_b64 v[10:11], 3, v[8:9]
	v_mov_b32_e32 v9, s7
	v_add_co_u32_e32 v10, vcc, s6, v10
	v_addc_co_u32_e32 v9, vcc, v9, v11, vcc
	v_cmp_gt_u32_e32 vcc, s5, v8
	v_cndmask_b32_e32 v9, v13, v9, vcc
	v_cndmask_b32_e32 v8, v12, v10, vcc
	global_load_dwordx2 v[10:11], v[8:9], off
	v_mov_b32_e32 v13, s18
.LBB1045_17:
	s_or_b64 exec, exec, s[2:3]
	v_lshlrev_b32_e32 v12, 1, v0
	v_min_u32_e32 v8, v13, v12
	v_sub_u32_e64 v14, v8, s15 clamp
	v_min_u32_e32 v9, s5, v8
	v_cmp_lt_u32_e32 vcc, v14, v9
	s_waitcnt lgkmcnt(0)
	s_barrier
	s_and_saveexec_b64 s[0:1], vcc
	s_cbranch_execz .LBB1045_21
; %bb.18:
	v_lshlrev_b32_e32 v15, 3, v8
	v_lshl_add_u32 v15, s5, 3, v15
	s_mov_b64 s[2:3], 0
.LBB1045_19:                            ; =>This Inner Loop Header: Depth=1
	v_add_u32_e32 v16, v9, v14
	v_lshrrev_b32_e32 v20, 1, v16
	v_not_b32_e32 v16, v20
	v_lshlrev_b32_e32 v17, 3, v20
	v_lshl_add_u32 v18, v16, 3, v15
	ds_read_b64 v[16:17], v17
	ds_read_b64 v[18:19], v18
	v_add_u32_e32 v21, 1, v20
	s_waitcnt lgkmcnt(0)
	v_cmp_gt_i64_e32 vcc, v[16:17], v[18:19]
	v_cndmask_b32_e32 v9, v9, v20, vcc
	v_cndmask_b32_e32 v14, v21, v14, vcc
	v_cmp_ge_u32_e32 vcc, v14, v9
	s_or_b64 s[2:3], vcc, s[2:3]
	s_andn2_b64 exec, exec, s[2:3]
	s_cbranch_execnz .LBB1045_19
; %bb.20:
	s_or_b64 exec, exec, s[2:3]
.LBB1045_21:
	s_or_b64 exec, exec, s[0:1]
	v_sub_u32_e32 v8, v8, v14
	v_add_u32_e32 v15, s5, v8
	v_cmp_ge_u32_e32 vcc, s5, v14
	v_cmp_le_u32_e64 s[0:1], v15, v13
	s_or_b64 s[0:1], vcc, s[0:1]
                                        ; implicit-def: $vgpr8
                                        ; implicit-def: $vgpr16
	s_and_saveexec_b64 s[6:7], s[0:1]
	s_cbranch_execz .LBB1045_27
; %bb.22:
	v_cmp_gt_u32_e32 vcc, s5, v14
                                        ; implicit-def: $vgpr4_vgpr5
	s_and_saveexec_b64 s[0:1], vcc
	s_cbranch_execz .LBB1045_24
; %bb.23:
	v_lshlrev_b32_e32 v4, 3, v14
	ds_read_b64 v[4:5], v4
.LBB1045_24:
	s_or_b64 exec, exec, s[0:1]
	v_cmp_ge_u32_e64 s[0:1], v15, v13
	v_cmp_lt_u32_e64 s[2:3], v15, v13
                                        ; implicit-def: $vgpr8_vgpr9
	s_and_saveexec_b64 s[10:11], s[2:3]
	s_cbranch_execz .LBB1045_26
; %bb.25:
	v_lshlrev_b32_e32 v6, 3, v15
	ds_read_b64 v[8:9], v6
.LBB1045_26:
	s_or_b64 exec, exec, s[10:11]
	s_waitcnt lgkmcnt(0)
	v_cmp_le_i64_e64 s[2:3], v[4:5], v[8:9]
	s_and_b64 s[2:3], vcc, s[2:3]
	s_or_b64 vcc, s[0:1], s[2:3]
	v_mov_b32_e32 v6, s5
	v_cndmask_b32_e32 v16, v15, v14, vcc
	v_cndmask_b32_e32 v6, v13, v6, vcc
	v_add_u32_e32 v17, 1, v16
	v_add_u32_e32 v6, -1, v6
	v_min_u32_e32 v6, v17, v6
	v_lshlrev_b32_e32 v6, 3, v6
	ds_read_b64 v[18:19], v6
	v_cndmask_b32_e32 v7, v9, v5, vcc
	v_cndmask_b32_e32 v6, v8, v4, vcc
	s_waitcnt lgkmcnt(0)
	v_cndmask_b32_e32 v21, v19, v9, vcc
	v_cndmask_b32_e32 v20, v18, v8, vcc
	;; [unrolled: 1-line block ×6, first 2 shown]
	v_cmp_gt_u32_e64 s[0:1], s5, v9
	v_cmp_le_i64_e64 s[2:3], v[4:5], v[20:21]
	v_cmp_ge_u32_e32 vcc, v8, v13
	s_and_b64 s[0:1], s[0:1], s[2:3]
	s_or_b64 vcc, vcc, s[0:1]
	v_cndmask_b32_e32 v8, v8, v9, vcc
	v_cndmask_b32_e32 v5, v21, v5, vcc
	;; [unrolled: 1-line block ×3, first 2 shown]
.LBB1045_27:
	s_or_b64 exec, exec, s[6:7]
	s_barrier
	s_waitcnt vmcnt(0)
	ds_write2st64_b64 v1, v[2:3], v[10:11] offset1:8
	v_lshrrev_b32_e32 v10, 1, v0
	v_and_b32_e32 v10, 0xf8, v10
	v_lshlrev_b32_e32 v2, 3, v16
	v_lshlrev_b32_e32 v8, 3, v8
	v_lshl_add_u32 v11, v12, 3, v10
	s_waitcnt lgkmcnt(0)
	s_barrier
	ds_read_b64 v[2:3], v2
	ds_read_b64 v[8:9], v8
	s_waitcnt lgkmcnt(0)
	s_barrier
	s_barrier
	s_mov_b32 s5, 0
	ds_write2_b64 v11, v[6:7], v[4:5] offset1:1
	v_lshrrev_b32_e32 v4, 2, v0
	s_lshl_b64 s[2:3], s[4:5], 3
	v_and_b32_e32 v4, 0x78, v4
	v_or_b32_e32 v13, 0x200, v0
	s_add_u32 s0, s8, s2
	v_add_u32_e32 v10, v1, v4
	v_lshrrev_b32_e32 v4, 2, v13
	s_addc_u32 s1, s9, s3
	v_and_b32_e32 v4, 0xf8, v4
	v_add_u32_e32 v12, v1, v4
	v_mov_b32_e32 v5, s1
	v_add_co_u32_e32 v4, vcc, s0, v1
	v_addc_co_u32_e32 v5, vcc, 0, v5, vcc
	s_and_b64 vcc, exec, s[16:17]
	s_waitcnt lgkmcnt(0)
	s_cbranch_vccz .LBB1045_29
; %bb.28:
	s_barrier
	ds_read_b64 v[6:7], v10
	ds_read_b64 v[14:15], v12 offset:4096
	s_add_u32 s0, s12, s2
	s_addc_u32 s1, s13, s3
	s_mov_b64 s[6:7], -1
	s_waitcnt lgkmcnt(1)
	global_store_dwordx2 v[4:5], v[6:7], off
	v_add_co_u32_e32 v6, vcc, 0x1000, v4
	v_addc_co_u32_e32 v7, vcc, 0, v5, vcc
	s_waitcnt lgkmcnt(0)
	global_store_dwordx2 v[6:7], v[14:15], off
	s_barrier
	ds_write2_b64 v11, v[2:3], v[8:9] offset1:1
	s_waitcnt lgkmcnt(0)
	s_barrier
	ds_read_b64 v[14:15], v10
	ds_read_b64 v[6:7], v12 offset:4096
	s_waitcnt lgkmcnt(1)
	global_store_dwordx2 v1, v[14:15], s[0:1]
	s_cbranch_execz .LBB1045_30
	s_branch .LBB1045_37
.LBB1045_29:
	s_mov_b64 s[6:7], 0
                                        ; implicit-def: $vgpr6_vgpr7
.LBB1045_30:
	s_barrier
	s_waitcnt lgkmcnt(0)
	ds_read_b64 v[6:7], v12 offset:4096
	s_sub_i32 s6, s14, s4
	v_cmp_gt_u32_e64 s[0:1], s6, v0
	s_and_saveexec_b64 s[4:5], s[0:1]
	s_cbranch_execz .LBB1045_32
; %bb.31:
	ds_read_b64 v[14:15], v10
	s_waitcnt lgkmcnt(0)
	global_store_dwordx2 v[4:5], v[14:15], off
.LBB1045_32:
	s_or_b64 exec, exec, s[4:5]
	v_cmp_gt_u32_e64 s[6:7], s6, v13
	s_and_saveexec_b64 s[4:5], s[6:7]
	s_cbranch_execz .LBB1045_34
; %bb.33:
	v_add_co_u32_e32 v4, vcc, 0x1000, v4
	v_addc_co_u32_e32 v5, vcc, 0, v5, vcc
	s_waitcnt lgkmcnt(0)
	global_store_dwordx2 v[4:5], v[6:7], off
.LBB1045_34:
	s_or_b64 exec, exec, s[4:5]
	s_waitcnt lgkmcnt(0)
	s_barrier
	ds_write2_b64 v11, v[2:3], v[8:9] offset1:1
	s_waitcnt lgkmcnt(0)
	s_barrier
	ds_read_b64 v[6:7], v12 offset:4096
	s_and_saveexec_b64 s[4:5], s[0:1]
	s_cbranch_execz .LBB1045_36
; %bb.35:
	ds_read_b64 v[2:3], v10
	s_add_u32 s0, s12, s2
	s_addc_u32 s1, s13, s3
	s_waitcnt lgkmcnt(0)
	global_store_dwordx2 v1, v[2:3], s[0:1]
.LBB1045_36:
	s_or_b64 exec, exec, s[4:5]
.LBB1045_37:
	s_and_saveexec_b64 s[0:1], s[6:7]
	s_cbranch_execz .LBB1045_39
; %bb.38:
	s_add_u32 s0, s12, s2
	s_addc_u32 s1, s13, s3
	v_mov_b32_e32 v0, s1
	v_add_co_u32_e32 v1, vcc, s0, v1
	v_addc_co_u32_e32 v2, vcc, 0, v0, vcc
	v_add_co_u32_e32 v0, vcc, 0x1000, v1
	v_addc_co_u32_e32 v1, vcc, 0, v2, vcc
	s_waitcnt lgkmcnt(0)
	global_store_dwordx2 v[0:1], v[6:7], off
.LBB1045_39:
	s_endpgm
	.section	.rodata,"a",@progbits
	.p2align	6, 0x0
	.amdhsa_kernel _ZN7rocprim17ROCPRIM_400000_NS6detail17trampoline_kernelINS0_14default_configENS1_38merge_sort_block_merge_config_selectorIllEEZZNS1_27merge_sort_block_merge_implIS3_PlN6thrust23THRUST_200600_302600_NS10device_ptrIlEEjNS1_19radix_merge_compareILb0ELb0ElNS0_19identity_decomposerEEEEE10hipError_tT0_T1_T2_jT3_P12ihipStream_tbPNSt15iterator_traitsISG_E10value_typeEPNSM_ISH_E10value_typeEPSI_NS1_7vsmem_tEENKUlT_SG_SH_SI_E_clIS7_S7_SB_S7_EESF_SV_SG_SH_SI_EUlSV_E0_NS1_11comp_targetILNS1_3genE4ELNS1_11target_archE910ELNS1_3gpuE8ELNS1_3repE0EEENS1_38merge_mergepath_config_static_selectorELNS0_4arch9wavefront6targetE1EEEvSH_
		.amdhsa_group_segment_fixed_size 8448
		.amdhsa_private_segment_fixed_size 0
		.amdhsa_kernarg_size 320
		.amdhsa_user_sgpr_count 6
		.amdhsa_user_sgpr_private_segment_buffer 1
		.amdhsa_user_sgpr_dispatch_ptr 0
		.amdhsa_user_sgpr_queue_ptr 0
		.amdhsa_user_sgpr_kernarg_segment_ptr 1
		.amdhsa_user_sgpr_dispatch_id 0
		.amdhsa_user_sgpr_flat_scratch_init 0
		.amdhsa_user_sgpr_kernarg_preload_length 0
		.amdhsa_user_sgpr_kernarg_preload_offset 0
		.amdhsa_user_sgpr_private_segment_size 0
		.amdhsa_uses_dynamic_stack 0
		.amdhsa_system_sgpr_private_segment_wavefront_offset 0
		.amdhsa_system_sgpr_workgroup_id_x 1
		.amdhsa_system_sgpr_workgroup_id_y 1
		.amdhsa_system_sgpr_workgroup_id_z 1
		.amdhsa_system_sgpr_workgroup_info 0
		.amdhsa_system_vgpr_workitem_id 0
		.amdhsa_next_free_vgpr 22
		.amdhsa_next_free_sgpr 31
		.amdhsa_accum_offset 24
		.amdhsa_reserve_vcc 1
		.amdhsa_reserve_flat_scratch 0
		.amdhsa_float_round_mode_32 0
		.amdhsa_float_round_mode_16_64 0
		.amdhsa_float_denorm_mode_32 3
		.amdhsa_float_denorm_mode_16_64 3
		.amdhsa_dx10_clamp 1
		.amdhsa_ieee_mode 1
		.amdhsa_fp16_overflow 0
		.amdhsa_tg_split 0
		.amdhsa_exception_fp_ieee_invalid_op 0
		.amdhsa_exception_fp_denorm_src 0
		.amdhsa_exception_fp_ieee_div_zero 0
		.amdhsa_exception_fp_ieee_overflow 0
		.amdhsa_exception_fp_ieee_underflow 0
		.amdhsa_exception_fp_ieee_inexact 0
		.amdhsa_exception_int_div_zero 0
	.end_amdhsa_kernel
	.section	.text._ZN7rocprim17ROCPRIM_400000_NS6detail17trampoline_kernelINS0_14default_configENS1_38merge_sort_block_merge_config_selectorIllEEZZNS1_27merge_sort_block_merge_implIS3_PlN6thrust23THRUST_200600_302600_NS10device_ptrIlEEjNS1_19radix_merge_compareILb0ELb0ElNS0_19identity_decomposerEEEEE10hipError_tT0_T1_T2_jT3_P12ihipStream_tbPNSt15iterator_traitsISG_E10value_typeEPNSM_ISH_E10value_typeEPSI_NS1_7vsmem_tEENKUlT_SG_SH_SI_E_clIS7_S7_SB_S7_EESF_SV_SG_SH_SI_EUlSV_E0_NS1_11comp_targetILNS1_3genE4ELNS1_11target_archE910ELNS1_3gpuE8ELNS1_3repE0EEENS1_38merge_mergepath_config_static_selectorELNS0_4arch9wavefront6targetE1EEEvSH_,"axG",@progbits,_ZN7rocprim17ROCPRIM_400000_NS6detail17trampoline_kernelINS0_14default_configENS1_38merge_sort_block_merge_config_selectorIllEEZZNS1_27merge_sort_block_merge_implIS3_PlN6thrust23THRUST_200600_302600_NS10device_ptrIlEEjNS1_19radix_merge_compareILb0ELb0ElNS0_19identity_decomposerEEEEE10hipError_tT0_T1_T2_jT3_P12ihipStream_tbPNSt15iterator_traitsISG_E10value_typeEPNSM_ISH_E10value_typeEPSI_NS1_7vsmem_tEENKUlT_SG_SH_SI_E_clIS7_S7_SB_S7_EESF_SV_SG_SH_SI_EUlSV_E0_NS1_11comp_targetILNS1_3genE4ELNS1_11target_archE910ELNS1_3gpuE8ELNS1_3repE0EEENS1_38merge_mergepath_config_static_selectorELNS0_4arch9wavefront6targetE1EEEvSH_,comdat
.Lfunc_end1045:
	.size	_ZN7rocprim17ROCPRIM_400000_NS6detail17trampoline_kernelINS0_14default_configENS1_38merge_sort_block_merge_config_selectorIllEEZZNS1_27merge_sort_block_merge_implIS3_PlN6thrust23THRUST_200600_302600_NS10device_ptrIlEEjNS1_19radix_merge_compareILb0ELb0ElNS0_19identity_decomposerEEEEE10hipError_tT0_T1_T2_jT3_P12ihipStream_tbPNSt15iterator_traitsISG_E10value_typeEPNSM_ISH_E10value_typeEPSI_NS1_7vsmem_tEENKUlT_SG_SH_SI_E_clIS7_S7_SB_S7_EESF_SV_SG_SH_SI_EUlSV_E0_NS1_11comp_targetILNS1_3genE4ELNS1_11target_archE910ELNS1_3gpuE8ELNS1_3repE0EEENS1_38merge_mergepath_config_static_selectorELNS0_4arch9wavefront6targetE1EEEvSH_, .Lfunc_end1045-_ZN7rocprim17ROCPRIM_400000_NS6detail17trampoline_kernelINS0_14default_configENS1_38merge_sort_block_merge_config_selectorIllEEZZNS1_27merge_sort_block_merge_implIS3_PlN6thrust23THRUST_200600_302600_NS10device_ptrIlEEjNS1_19radix_merge_compareILb0ELb0ElNS0_19identity_decomposerEEEEE10hipError_tT0_T1_T2_jT3_P12ihipStream_tbPNSt15iterator_traitsISG_E10value_typeEPNSM_ISH_E10value_typeEPSI_NS1_7vsmem_tEENKUlT_SG_SH_SI_E_clIS7_S7_SB_S7_EESF_SV_SG_SH_SI_EUlSV_E0_NS1_11comp_targetILNS1_3genE4ELNS1_11target_archE910ELNS1_3gpuE8ELNS1_3repE0EEENS1_38merge_mergepath_config_static_selectorELNS0_4arch9wavefront6targetE1EEEvSH_
                                        ; -- End function
	.section	.AMDGPU.csdata,"",@progbits
; Kernel info:
; codeLenInByte = 1828
; NumSgprs: 35
; NumVgprs: 22
; NumAgprs: 0
; TotalNumVgprs: 22
; ScratchSize: 0
; MemoryBound: 0
; FloatMode: 240
; IeeeMode: 1
; LDSByteSize: 8448 bytes/workgroup (compile time only)
; SGPRBlocks: 4
; VGPRBlocks: 2
; NumSGPRsForWavesPerEU: 35
; NumVGPRsForWavesPerEU: 22
; AccumOffset: 24
; Occupancy: 8
; WaveLimiterHint : 1
; COMPUTE_PGM_RSRC2:SCRATCH_EN: 0
; COMPUTE_PGM_RSRC2:USER_SGPR: 6
; COMPUTE_PGM_RSRC2:TRAP_HANDLER: 0
; COMPUTE_PGM_RSRC2:TGID_X_EN: 1
; COMPUTE_PGM_RSRC2:TGID_Y_EN: 1
; COMPUTE_PGM_RSRC2:TGID_Z_EN: 1
; COMPUTE_PGM_RSRC2:TIDIG_COMP_CNT: 0
; COMPUTE_PGM_RSRC3_GFX90A:ACCUM_OFFSET: 5
; COMPUTE_PGM_RSRC3_GFX90A:TG_SPLIT: 0
	.section	.text._ZN7rocprim17ROCPRIM_400000_NS6detail17trampoline_kernelINS0_14default_configENS1_38merge_sort_block_merge_config_selectorIllEEZZNS1_27merge_sort_block_merge_implIS3_PlN6thrust23THRUST_200600_302600_NS10device_ptrIlEEjNS1_19radix_merge_compareILb0ELb0ElNS0_19identity_decomposerEEEEE10hipError_tT0_T1_T2_jT3_P12ihipStream_tbPNSt15iterator_traitsISG_E10value_typeEPNSM_ISH_E10value_typeEPSI_NS1_7vsmem_tEENKUlT_SG_SH_SI_E_clIS7_S7_SB_S7_EESF_SV_SG_SH_SI_EUlSV_E0_NS1_11comp_targetILNS1_3genE3ELNS1_11target_archE908ELNS1_3gpuE7ELNS1_3repE0EEENS1_38merge_mergepath_config_static_selectorELNS0_4arch9wavefront6targetE1EEEvSH_,"axG",@progbits,_ZN7rocprim17ROCPRIM_400000_NS6detail17trampoline_kernelINS0_14default_configENS1_38merge_sort_block_merge_config_selectorIllEEZZNS1_27merge_sort_block_merge_implIS3_PlN6thrust23THRUST_200600_302600_NS10device_ptrIlEEjNS1_19radix_merge_compareILb0ELb0ElNS0_19identity_decomposerEEEEE10hipError_tT0_T1_T2_jT3_P12ihipStream_tbPNSt15iterator_traitsISG_E10value_typeEPNSM_ISH_E10value_typeEPSI_NS1_7vsmem_tEENKUlT_SG_SH_SI_E_clIS7_S7_SB_S7_EESF_SV_SG_SH_SI_EUlSV_E0_NS1_11comp_targetILNS1_3genE3ELNS1_11target_archE908ELNS1_3gpuE7ELNS1_3repE0EEENS1_38merge_mergepath_config_static_selectorELNS0_4arch9wavefront6targetE1EEEvSH_,comdat
	.protected	_ZN7rocprim17ROCPRIM_400000_NS6detail17trampoline_kernelINS0_14default_configENS1_38merge_sort_block_merge_config_selectorIllEEZZNS1_27merge_sort_block_merge_implIS3_PlN6thrust23THRUST_200600_302600_NS10device_ptrIlEEjNS1_19radix_merge_compareILb0ELb0ElNS0_19identity_decomposerEEEEE10hipError_tT0_T1_T2_jT3_P12ihipStream_tbPNSt15iterator_traitsISG_E10value_typeEPNSM_ISH_E10value_typeEPSI_NS1_7vsmem_tEENKUlT_SG_SH_SI_E_clIS7_S7_SB_S7_EESF_SV_SG_SH_SI_EUlSV_E0_NS1_11comp_targetILNS1_3genE3ELNS1_11target_archE908ELNS1_3gpuE7ELNS1_3repE0EEENS1_38merge_mergepath_config_static_selectorELNS0_4arch9wavefront6targetE1EEEvSH_ ; -- Begin function _ZN7rocprim17ROCPRIM_400000_NS6detail17trampoline_kernelINS0_14default_configENS1_38merge_sort_block_merge_config_selectorIllEEZZNS1_27merge_sort_block_merge_implIS3_PlN6thrust23THRUST_200600_302600_NS10device_ptrIlEEjNS1_19radix_merge_compareILb0ELb0ElNS0_19identity_decomposerEEEEE10hipError_tT0_T1_T2_jT3_P12ihipStream_tbPNSt15iterator_traitsISG_E10value_typeEPNSM_ISH_E10value_typeEPSI_NS1_7vsmem_tEENKUlT_SG_SH_SI_E_clIS7_S7_SB_S7_EESF_SV_SG_SH_SI_EUlSV_E0_NS1_11comp_targetILNS1_3genE3ELNS1_11target_archE908ELNS1_3gpuE7ELNS1_3repE0EEENS1_38merge_mergepath_config_static_selectorELNS0_4arch9wavefront6targetE1EEEvSH_
	.globl	_ZN7rocprim17ROCPRIM_400000_NS6detail17trampoline_kernelINS0_14default_configENS1_38merge_sort_block_merge_config_selectorIllEEZZNS1_27merge_sort_block_merge_implIS3_PlN6thrust23THRUST_200600_302600_NS10device_ptrIlEEjNS1_19radix_merge_compareILb0ELb0ElNS0_19identity_decomposerEEEEE10hipError_tT0_T1_T2_jT3_P12ihipStream_tbPNSt15iterator_traitsISG_E10value_typeEPNSM_ISH_E10value_typeEPSI_NS1_7vsmem_tEENKUlT_SG_SH_SI_E_clIS7_S7_SB_S7_EESF_SV_SG_SH_SI_EUlSV_E0_NS1_11comp_targetILNS1_3genE3ELNS1_11target_archE908ELNS1_3gpuE7ELNS1_3repE0EEENS1_38merge_mergepath_config_static_selectorELNS0_4arch9wavefront6targetE1EEEvSH_
	.p2align	8
	.type	_ZN7rocprim17ROCPRIM_400000_NS6detail17trampoline_kernelINS0_14default_configENS1_38merge_sort_block_merge_config_selectorIllEEZZNS1_27merge_sort_block_merge_implIS3_PlN6thrust23THRUST_200600_302600_NS10device_ptrIlEEjNS1_19radix_merge_compareILb0ELb0ElNS0_19identity_decomposerEEEEE10hipError_tT0_T1_T2_jT3_P12ihipStream_tbPNSt15iterator_traitsISG_E10value_typeEPNSM_ISH_E10value_typeEPSI_NS1_7vsmem_tEENKUlT_SG_SH_SI_E_clIS7_S7_SB_S7_EESF_SV_SG_SH_SI_EUlSV_E0_NS1_11comp_targetILNS1_3genE3ELNS1_11target_archE908ELNS1_3gpuE7ELNS1_3repE0EEENS1_38merge_mergepath_config_static_selectorELNS0_4arch9wavefront6targetE1EEEvSH_,@function
_ZN7rocprim17ROCPRIM_400000_NS6detail17trampoline_kernelINS0_14default_configENS1_38merge_sort_block_merge_config_selectorIllEEZZNS1_27merge_sort_block_merge_implIS3_PlN6thrust23THRUST_200600_302600_NS10device_ptrIlEEjNS1_19radix_merge_compareILb0ELb0ElNS0_19identity_decomposerEEEEE10hipError_tT0_T1_T2_jT3_P12ihipStream_tbPNSt15iterator_traitsISG_E10value_typeEPNSM_ISH_E10value_typeEPSI_NS1_7vsmem_tEENKUlT_SG_SH_SI_E_clIS7_S7_SB_S7_EESF_SV_SG_SH_SI_EUlSV_E0_NS1_11comp_targetILNS1_3genE3ELNS1_11target_archE908ELNS1_3gpuE7ELNS1_3repE0EEENS1_38merge_mergepath_config_static_selectorELNS0_4arch9wavefront6targetE1EEEvSH_: ; @_ZN7rocprim17ROCPRIM_400000_NS6detail17trampoline_kernelINS0_14default_configENS1_38merge_sort_block_merge_config_selectorIllEEZZNS1_27merge_sort_block_merge_implIS3_PlN6thrust23THRUST_200600_302600_NS10device_ptrIlEEjNS1_19radix_merge_compareILb0ELb0ElNS0_19identity_decomposerEEEEE10hipError_tT0_T1_T2_jT3_P12ihipStream_tbPNSt15iterator_traitsISG_E10value_typeEPNSM_ISH_E10value_typeEPSI_NS1_7vsmem_tEENKUlT_SG_SH_SI_E_clIS7_S7_SB_S7_EESF_SV_SG_SH_SI_EUlSV_E0_NS1_11comp_targetILNS1_3genE3ELNS1_11target_archE908ELNS1_3gpuE7ELNS1_3repE0EEENS1_38merge_mergepath_config_static_selectorELNS0_4arch9wavefront6targetE1EEEvSH_
; %bb.0:
	.section	.rodata,"a",@progbits
	.p2align	6, 0x0
	.amdhsa_kernel _ZN7rocprim17ROCPRIM_400000_NS6detail17trampoline_kernelINS0_14default_configENS1_38merge_sort_block_merge_config_selectorIllEEZZNS1_27merge_sort_block_merge_implIS3_PlN6thrust23THRUST_200600_302600_NS10device_ptrIlEEjNS1_19radix_merge_compareILb0ELb0ElNS0_19identity_decomposerEEEEE10hipError_tT0_T1_T2_jT3_P12ihipStream_tbPNSt15iterator_traitsISG_E10value_typeEPNSM_ISH_E10value_typeEPSI_NS1_7vsmem_tEENKUlT_SG_SH_SI_E_clIS7_S7_SB_S7_EESF_SV_SG_SH_SI_EUlSV_E0_NS1_11comp_targetILNS1_3genE3ELNS1_11target_archE908ELNS1_3gpuE7ELNS1_3repE0EEENS1_38merge_mergepath_config_static_selectorELNS0_4arch9wavefront6targetE1EEEvSH_
		.amdhsa_group_segment_fixed_size 0
		.amdhsa_private_segment_fixed_size 0
		.amdhsa_kernarg_size 64
		.amdhsa_user_sgpr_count 6
		.amdhsa_user_sgpr_private_segment_buffer 1
		.amdhsa_user_sgpr_dispatch_ptr 0
		.amdhsa_user_sgpr_queue_ptr 0
		.amdhsa_user_sgpr_kernarg_segment_ptr 1
		.amdhsa_user_sgpr_dispatch_id 0
		.amdhsa_user_sgpr_flat_scratch_init 0
		.amdhsa_user_sgpr_kernarg_preload_length 0
		.amdhsa_user_sgpr_kernarg_preload_offset 0
		.amdhsa_user_sgpr_private_segment_size 0
		.amdhsa_uses_dynamic_stack 0
		.amdhsa_system_sgpr_private_segment_wavefront_offset 0
		.amdhsa_system_sgpr_workgroup_id_x 1
		.amdhsa_system_sgpr_workgroup_id_y 0
		.amdhsa_system_sgpr_workgroup_id_z 0
		.amdhsa_system_sgpr_workgroup_info 0
		.amdhsa_system_vgpr_workitem_id 0
		.amdhsa_next_free_vgpr 1
		.amdhsa_next_free_sgpr 0
		.amdhsa_accum_offset 4
		.amdhsa_reserve_vcc 0
		.amdhsa_reserve_flat_scratch 0
		.amdhsa_float_round_mode_32 0
		.amdhsa_float_round_mode_16_64 0
		.amdhsa_float_denorm_mode_32 3
		.amdhsa_float_denorm_mode_16_64 3
		.amdhsa_dx10_clamp 1
		.amdhsa_ieee_mode 1
		.amdhsa_fp16_overflow 0
		.amdhsa_tg_split 0
		.amdhsa_exception_fp_ieee_invalid_op 0
		.amdhsa_exception_fp_denorm_src 0
		.amdhsa_exception_fp_ieee_div_zero 0
		.amdhsa_exception_fp_ieee_overflow 0
		.amdhsa_exception_fp_ieee_underflow 0
		.amdhsa_exception_fp_ieee_inexact 0
		.amdhsa_exception_int_div_zero 0
	.end_amdhsa_kernel
	.section	.text._ZN7rocprim17ROCPRIM_400000_NS6detail17trampoline_kernelINS0_14default_configENS1_38merge_sort_block_merge_config_selectorIllEEZZNS1_27merge_sort_block_merge_implIS3_PlN6thrust23THRUST_200600_302600_NS10device_ptrIlEEjNS1_19radix_merge_compareILb0ELb0ElNS0_19identity_decomposerEEEEE10hipError_tT0_T1_T2_jT3_P12ihipStream_tbPNSt15iterator_traitsISG_E10value_typeEPNSM_ISH_E10value_typeEPSI_NS1_7vsmem_tEENKUlT_SG_SH_SI_E_clIS7_S7_SB_S7_EESF_SV_SG_SH_SI_EUlSV_E0_NS1_11comp_targetILNS1_3genE3ELNS1_11target_archE908ELNS1_3gpuE7ELNS1_3repE0EEENS1_38merge_mergepath_config_static_selectorELNS0_4arch9wavefront6targetE1EEEvSH_,"axG",@progbits,_ZN7rocprim17ROCPRIM_400000_NS6detail17trampoline_kernelINS0_14default_configENS1_38merge_sort_block_merge_config_selectorIllEEZZNS1_27merge_sort_block_merge_implIS3_PlN6thrust23THRUST_200600_302600_NS10device_ptrIlEEjNS1_19radix_merge_compareILb0ELb0ElNS0_19identity_decomposerEEEEE10hipError_tT0_T1_T2_jT3_P12ihipStream_tbPNSt15iterator_traitsISG_E10value_typeEPNSM_ISH_E10value_typeEPSI_NS1_7vsmem_tEENKUlT_SG_SH_SI_E_clIS7_S7_SB_S7_EESF_SV_SG_SH_SI_EUlSV_E0_NS1_11comp_targetILNS1_3genE3ELNS1_11target_archE908ELNS1_3gpuE7ELNS1_3repE0EEENS1_38merge_mergepath_config_static_selectorELNS0_4arch9wavefront6targetE1EEEvSH_,comdat
.Lfunc_end1046:
	.size	_ZN7rocprim17ROCPRIM_400000_NS6detail17trampoline_kernelINS0_14default_configENS1_38merge_sort_block_merge_config_selectorIllEEZZNS1_27merge_sort_block_merge_implIS3_PlN6thrust23THRUST_200600_302600_NS10device_ptrIlEEjNS1_19radix_merge_compareILb0ELb0ElNS0_19identity_decomposerEEEEE10hipError_tT0_T1_T2_jT3_P12ihipStream_tbPNSt15iterator_traitsISG_E10value_typeEPNSM_ISH_E10value_typeEPSI_NS1_7vsmem_tEENKUlT_SG_SH_SI_E_clIS7_S7_SB_S7_EESF_SV_SG_SH_SI_EUlSV_E0_NS1_11comp_targetILNS1_3genE3ELNS1_11target_archE908ELNS1_3gpuE7ELNS1_3repE0EEENS1_38merge_mergepath_config_static_selectorELNS0_4arch9wavefront6targetE1EEEvSH_, .Lfunc_end1046-_ZN7rocprim17ROCPRIM_400000_NS6detail17trampoline_kernelINS0_14default_configENS1_38merge_sort_block_merge_config_selectorIllEEZZNS1_27merge_sort_block_merge_implIS3_PlN6thrust23THRUST_200600_302600_NS10device_ptrIlEEjNS1_19radix_merge_compareILb0ELb0ElNS0_19identity_decomposerEEEEE10hipError_tT0_T1_T2_jT3_P12ihipStream_tbPNSt15iterator_traitsISG_E10value_typeEPNSM_ISH_E10value_typeEPSI_NS1_7vsmem_tEENKUlT_SG_SH_SI_E_clIS7_S7_SB_S7_EESF_SV_SG_SH_SI_EUlSV_E0_NS1_11comp_targetILNS1_3genE3ELNS1_11target_archE908ELNS1_3gpuE7ELNS1_3repE0EEENS1_38merge_mergepath_config_static_selectorELNS0_4arch9wavefront6targetE1EEEvSH_
                                        ; -- End function
	.section	.AMDGPU.csdata,"",@progbits
; Kernel info:
; codeLenInByte = 0
; NumSgprs: 4
; NumVgprs: 0
; NumAgprs: 0
; TotalNumVgprs: 0
; ScratchSize: 0
; MemoryBound: 0
; FloatMode: 240
; IeeeMode: 1
; LDSByteSize: 0 bytes/workgroup (compile time only)
; SGPRBlocks: 0
; VGPRBlocks: 0
; NumSGPRsForWavesPerEU: 4
; NumVGPRsForWavesPerEU: 1
; AccumOffset: 4
; Occupancy: 8
; WaveLimiterHint : 0
; COMPUTE_PGM_RSRC2:SCRATCH_EN: 0
; COMPUTE_PGM_RSRC2:USER_SGPR: 6
; COMPUTE_PGM_RSRC2:TRAP_HANDLER: 0
; COMPUTE_PGM_RSRC2:TGID_X_EN: 1
; COMPUTE_PGM_RSRC2:TGID_Y_EN: 0
; COMPUTE_PGM_RSRC2:TGID_Z_EN: 0
; COMPUTE_PGM_RSRC2:TIDIG_COMP_CNT: 0
; COMPUTE_PGM_RSRC3_GFX90A:ACCUM_OFFSET: 0
; COMPUTE_PGM_RSRC3_GFX90A:TG_SPLIT: 0
	.section	.text._ZN7rocprim17ROCPRIM_400000_NS6detail17trampoline_kernelINS0_14default_configENS1_38merge_sort_block_merge_config_selectorIllEEZZNS1_27merge_sort_block_merge_implIS3_PlN6thrust23THRUST_200600_302600_NS10device_ptrIlEEjNS1_19radix_merge_compareILb0ELb0ElNS0_19identity_decomposerEEEEE10hipError_tT0_T1_T2_jT3_P12ihipStream_tbPNSt15iterator_traitsISG_E10value_typeEPNSM_ISH_E10value_typeEPSI_NS1_7vsmem_tEENKUlT_SG_SH_SI_E_clIS7_S7_SB_S7_EESF_SV_SG_SH_SI_EUlSV_E0_NS1_11comp_targetILNS1_3genE2ELNS1_11target_archE906ELNS1_3gpuE6ELNS1_3repE0EEENS1_38merge_mergepath_config_static_selectorELNS0_4arch9wavefront6targetE1EEEvSH_,"axG",@progbits,_ZN7rocprim17ROCPRIM_400000_NS6detail17trampoline_kernelINS0_14default_configENS1_38merge_sort_block_merge_config_selectorIllEEZZNS1_27merge_sort_block_merge_implIS3_PlN6thrust23THRUST_200600_302600_NS10device_ptrIlEEjNS1_19radix_merge_compareILb0ELb0ElNS0_19identity_decomposerEEEEE10hipError_tT0_T1_T2_jT3_P12ihipStream_tbPNSt15iterator_traitsISG_E10value_typeEPNSM_ISH_E10value_typeEPSI_NS1_7vsmem_tEENKUlT_SG_SH_SI_E_clIS7_S7_SB_S7_EESF_SV_SG_SH_SI_EUlSV_E0_NS1_11comp_targetILNS1_3genE2ELNS1_11target_archE906ELNS1_3gpuE6ELNS1_3repE0EEENS1_38merge_mergepath_config_static_selectorELNS0_4arch9wavefront6targetE1EEEvSH_,comdat
	.protected	_ZN7rocprim17ROCPRIM_400000_NS6detail17trampoline_kernelINS0_14default_configENS1_38merge_sort_block_merge_config_selectorIllEEZZNS1_27merge_sort_block_merge_implIS3_PlN6thrust23THRUST_200600_302600_NS10device_ptrIlEEjNS1_19radix_merge_compareILb0ELb0ElNS0_19identity_decomposerEEEEE10hipError_tT0_T1_T2_jT3_P12ihipStream_tbPNSt15iterator_traitsISG_E10value_typeEPNSM_ISH_E10value_typeEPSI_NS1_7vsmem_tEENKUlT_SG_SH_SI_E_clIS7_S7_SB_S7_EESF_SV_SG_SH_SI_EUlSV_E0_NS1_11comp_targetILNS1_3genE2ELNS1_11target_archE906ELNS1_3gpuE6ELNS1_3repE0EEENS1_38merge_mergepath_config_static_selectorELNS0_4arch9wavefront6targetE1EEEvSH_ ; -- Begin function _ZN7rocprim17ROCPRIM_400000_NS6detail17trampoline_kernelINS0_14default_configENS1_38merge_sort_block_merge_config_selectorIllEEZZNS1_27merge_sort_block_merge_implIS3_PlN6thrust23THRUST_200600_302600_NS10device_ptrIlEEjNS1_19radix_merge_compareILb0ELb0ElNS0_19identity_decomposerEEEEE10hipError_tT0_T1_T2_jT3_P12ihipStream_tbPNSt15iterator_traitsISG_E10value_typeEPNSM_ISH_E10value_typeEPSI_NS1_7vsmem_tEENKUlT_SG_SH_SI_E_clIS7_S7_SB_S7_EESF_SV_SG_SH_SI_EUlSV_E0_NS1_11comp_targetILNS1_3genE2ELNS1_11target_archE906ELNS1_3gpuE6ELNS1_3repE0EEENS1_38merge_mergepath_config_static_selectorELNS0_4arch9wavefront6targetE1EEEvSH_
	.globl	_ZN7rocprim17ROCPRIM_400000_NS6detail17trampoline_kernelINS0_14default_configENS1_38merge_sort_block_merge_config_selectorIllEEZZNS1_27merge_sort_block_merge_implIS3_PlN6thrust23THRUST_200600_302600_NS10device_ptrIlEEjNS1_19radix_merge_compareILb0ELb0ElNS0_19identity_decomposerEEEEE10hipError_tT0_T1_T2_jT3_P12ihipStream_tbPNSt15iterator_traitsISG_E10value_typeEPNSM_ISH_E10value_typeEPSI_NS1_7vsmem_tEENKUlT_SG_SH_SI_E_clIS7_S7_SB_S7_EESF_SV_SG_SH_SI_EUlSV_E0_NS1_11comp_targetILNS1_3genE2ELNS1_11target_archE906ELNS1_3gpuE6ELNS1_3repE0EEENS1_38merge_mergepath_config_static_selectorELNS0_4arch9wavefront6targetE1EEEvSH_
	.p2align	8
	.type	_ZN7rocprim17ROCPRIM_400000_NS6detail17trampoline_kernelINS0_14default_configENS1_38merge_sort_block_merge_config_selectorIllEEZZNS1_27merge_sort_block_merge_implIS3_PlN6thrust23THRUST_200600_302600_NS10device_ptrIlEEjNS1_19radix_merge_compareILb0ELb0ElNS0_19identity_decomposerEEEEE10hipError_tT0_T1_T2_jT3_P12ihipStream_tbPNSt15iterator_traitsISG_E10value_typeEPNSM_ISH_E10value_typeEPSI_NS1_7vsmem_tEENKUlT_SG_SH_SI_E_clIS7_S7_SB_S7_EESF_SV_SG_SH_SI_EUlSV_E0_NS1_11comp_targetILNS1_3genE2ELNS1_11target_archE906ELNS1_3gpuE6ELNS1_3repE0EEENS1_38merge_mergepath_config_static_selectorELNS0_4arch9wavefront6targetE1EEEvSH_,@function
_ZN7rocprim17ROCPRIM_400000_NS6detail17trampoline_kernelINS0_14default_configENS1_38merge_sort_block_merge_config_selectorIllEEZZNS1_27merge_sort_block_merge_implIS3_PlN6thrust23THRUST_200600_302600_NS10device_ptrIlEEjNS1_19radix_merge_compareILb0ELb0ElNS0_19identity_decomposerEEEEE10hipError_tT0_T1_T2_jT3_P12ihipStream_tbPNSt15iterator_traitsISG_E10value_typeEPNSM_ISH_E10value_typeEPSI_NS1_7vsmem_tEENKUlT_SG_SH_SI_E_clIS7_S7_SB_S7_EESF_SV_SG_SH_SI_EUlSV_E0_NS1_11comp_targetILNS1_3genE2ELNS1_11target_archE906ELNS1_3gpuE6ELNS1_3repE0EEENS1_38merge_mergepath_config_static_selectorELNS0_4arch9wavefront6targetE1EEEvSH_: ; @_ZN7rocprim17ROCPRIM_400000_NS6detail17trampoline_kernelINS0_14default_configENS1_38merge_sort_block_merge_config_selectorIllEEZZNS1_27merge_sort_block_merge_implIS3_PlN6thrust23THRUST_200600_302600_NS10device_ptrIlEEjNS1_19radix_merge_compareILb0ELb0ElNS0_19identity_decomposerEEEEE10hipError_tT0_T1_T2_jT3_P12ihipStream_tbPNSt15iterator_traitsISG_E10value_typeEPNSM_ISH_E10value_typeEPSI_NS1_7vsmem_tEENKUlT_SG_SH_SI_E_clIS7_S7_SB_S7_EESF_SV_SG_SH_SI_EUlSV_E0_NS1_11comp_targetILNS1_3genE2ELNS1_11target_archE906ELNS1_3gpuE6ELNS1_3repE0EEENS1_38merge_mergepath_config_static_selectorELNS0_4arch9wavefront6targetE1EEEvSH_
; %bb.0:
	.section	.rodata,"a",@progbits
	.p2align	6, 0x0
	.amdhsa_kernel _ZN7rocprim17ROCPRIM_400000_NS6detail17trampoline_kernelINS0_14default_configENS1_38merge_sort_block_merge_config_selectorIllEEZZNS1_27merge_sort_block_merge_implIS3_PlN6thrust23THRUST_200600_302600_NS10device_ptrIlEEjNS1_19radix_merge_compareILb0ELb0ElNS0_19identity_decomposerEEEEE10hipError_tT0_T1_T2_jT3_P12ihipStream_tbPNSt15iterator_traitsISG_E10value_typeEPNSM_ISH_E10value_typeEPSI_NS1_7vsmem_tEENKUlT_SG_SH_SI_E_clIS7_S7_SB_S7_EESF_SV_SG_SH_SI_EUlSV_E0_NS1_11comp_targetILNS1_3genE2ELNS1_11target_archE906ELNS1_3gpuE6ELNS1_3repE0EEENS1_38merge_mergepath_config_static_selectorELNS0_4arch9wavefront6targetE1EEEvSH_
		.amdhsa_group_segment_fixed_size 0
		.amdhsa_private_segment_fixed_size 0
		.amdhsa_kernarg_size 64
		.amdhsa_user_sgpr_count 6
		.amdhsa_user_sgpr_private_segment_buffer 1
		.amdhsa_user_sgpr_dispatch_ptr 0
		.amdhsa_user_sgpr_queue_ptr 0
		.amdhsa_user_sgpr_kernarg_segment_ptr 1
		.amdhsa_user_sgpr_dispatch_id 0
		.amdhsa_user_sgpr_flat_scratch_init 0
		.amdhsa_user_sgpr_kernarg_preload_length 0
		.amdhsa_user_sgpr_kernarg_preload_offset 0
		.amdhsa_user_sgpr_private_segment_size 0
		.amdhsa_uses_dynamic_stack 0
		.amdhsa_system_sgpr_private_segment_wavefront_offset 0
		.amdhsa_system_sgpr_workgroup_id_x 1
		.amdhsa_system_sgpr_workgroup_id_y 0
		.amdhsa_system_sgpr_workgroup_id_z 0
		.amdhsa_system_sgpr_workgroup_info 0
		.amdhsa_system_vgpr_workitem_id 0
		.amdhsa_next_free_vgpr 1
		.amdhsa_next_free_sgpr 0
		.amdhsa_accum_offset 4
		.amdhsa_reserve_vcc 0
		.amdhsa_reserve_flat_scratch 0
		.amdhsa_float_round_mode_32 0
		.amdhsa_float_round_mode_16_64 0
		.amdhsa_float_denorm_mode_32 3
		.amdhsa_float_denorm_mode_16_64 3
		.amdhsa_dx10_clamp 1
		.amdhsa_ieee_mode 1
		.amdhsa_fp16_overflow 0
		.amdhsa_tg_split 0
		.amdhsa_exception_fp_ieee_invalid_op 0
		.amdhsa_exception_fp_denorm_src 0
		.amdhsa_exception_fp_ieee_div_zero 0
		.amdhsa_exception_fp_ieee_overflow 0
		.amdhsa_exception_fp_ieee_underflow 0
		.amdhsa_exception_fp_ieee_inexact 0
		.amdhsa_exception_int_div_zero 0
	.end_amdhsa_kernel
	.section	.text._ZN7rocprim17ROCPRIM_400000_NS6detail17trampoline_kernelINS0_14default_configENS1_38merge_sort_block_merge_config_selectorIllEEZZNS1_27merge_sort_block_merge_implIS3_PlN6thrust23THRUST_200600_302600_NS10device_ptrIlEEjNS1_19radix_merge_compareILb0ELb0ElNS0_19identity_decomposerEEEEE10hipError_tT0_T1_T2_jT3_P12ihipStream_tbPNSt15iterator_traitsISG_E10value_typeEPNSM_ISH_E10value_typeEPSI_NS1_7vsmem_tEENKUlT_SG_SH_SI_E_clIS7_S7_SB_S7_EESF_SV_SG_SH_SI_EUlSV_E0_NS1_11comp_targetILNS1_3genE2ELNS1_11target_archE906ELNS1_3gpuE6ELNS1_3repE0EEENS1_38merge_mergepath_config_static_selectorELNS0_4arch9wavefront6targetE1EEEvSH_,"axG",@progbits,_ZN7rocprim17ROCPRIM_400000_NS6detail17trampoline_kernelINS0_14default_configENS1_38merge_sort_block_merge_config_selectorIllEEZZNS1_27merge_sort_block_merge_implIS3_PlN6thrust23THRUST_200600_302600_NS10device_ptrIlEEjNS1_19radix_merge_compareILb0ELb0ElNS0_19identity_decomposerEEEEE10hipError_tT0_T1_T2_jT3_P12ihipStream_tbPNSt15iterator_traitsISG_E10value_typeEPNSM_ISH_E10value_typeEPSI_NS1_7vsmem_tEENKUlT_SG_SH_SI_E_clIS7_S7_SB_S7_EESF_SV_SG_SH_SI_EUlSV_E0_NS1_11comp_targetILNS1_3genE2ELNS1_11target_archE906ELNS1_3gpuE6ELNS1_3repE0EEENS1_38merge_mergepath_config_static_selectorELNS0_4arch9wavefront6targetE1EEEvSH_,comdat
.Lfunc_end1047:
	.size	_ZN7rocprim17ROCPRIM_400000_NS6detail17trampoline_kernelINS0_14default_configENS1_38merge_sort_block_merge_config_selectorIllEEZZNS1_27merge_sort_block_merge_implIS3_PlN6thrust23THRUST_200600_302600_NS10device_ptrIlEEjNS1_19radix_merge_compareILb0ELb0ElNS0_19identity_decomposerEEEEE10hipError_tT0_T1_T2_jT3_P12ihipStream_tbPNSt15iterator_traitsISG_E10value_typeEPNSM_ISH_E10value_typeEPSI_NS1_7vsmem_tEENKUlT_SG_SH_SI_E_clIS7_S7_SB_S7_EESF_SV_SG_SH_SI_EUlSV_E0_NS1_11comp_targetILNS1_3genE2ELNS1_11target_archE906ELNS1_3gpuE6ELNS1_3repE0EEENS1_38merge_mergepath_config_static_selectorELNS0_4arch9wavefront6targetE1EEEvSH_, .Lfunc_end1047-_ZN7rocprim17ROCPRIM_400000_NS6detail17trampoline_kernelINS0_14default_configENS1_38merge_sort_block_merge_config_selectorIllEEZZNS1_27merge_sort_block_merge_implIS3_PlN6thrust23THRUST_200600_302600_NS10device_ptrIlEEjNS1_19radix_merge_compareILb0ELb0ElNS0_19identity_decomposerEEEEE10hipError_tT0_T1_T2_jT3_P12ihipStream_tbPNSt15iterator_traitsISG_E10value_typeEPNSM_ISH_E10value_typeEPSI_NS1_7vsmem_tEENKUlT_SG_SH_SI_E_clIS7_S7_SB_S7_EESF_SV_SG_SH_SI_EUlSV_E0_NS1_11comp_targetILNS1_3genE2ELNS1_11target_archE906ELNS1_3gpuE6ELNS1_3repE0EEENS1_38merge_mergepath_config_static_selectorELNS0_4arch9wavefront6targetE1EEEvSH_
                                        ; -- End function
	.section	.AMDGPU.csdata,"",@progbits
; Kernel info:
; codeLenInByte = 0
; NumSgprs: 4
; NumVgprs: 0
; NumAgprs: 0
; TotalNumVgprs: 0
; ScratchSize: 0
; MemoryBound: 0
; FloatMode: 240
; IeeeMode: 1
; LDSByteSize: 0 bytes/workgroup (compile time only)
; SGPRBlocks: 0
; VGPRBlocks: 0
; NumSGPRsForWavesPerEU: 4
; NumVGPRsForWavesPerEU: 1
; AccumOffset: 4
; Occupancy: 8
; WaveLimiterHint : 0
; COMPUTE_PGM_RSRC2:SCRATCH_EN: 0
; COMPUTE_PGM_RSRC2:USER_SGPR: 6
; COMPUTE_PGM_RSRC2:TRAP_HANDLER: 0
; COMPUTE_PGM_RSRC2:TGID_X_EN: 1
; COMPUTE_PGM_RSRC2:TGID_Y_EN: 0
; COMPUTE_PGM_RSRC2:TGID_Z_EN: 0
; COMPUTE_PGM_RSRC2:TIDIG_COMP_CNT: 0
; COMPUTE_PGM_RSRC3_GFX90A:ACCUM_OFFSET: 0
; COMPUTE_PGM_RSRC3_GFX90A:TG_SPLIT: 0
	.section	.text._ZN7rocprim17ROCPRIM_400000_NS6detail17trampoline_kernelINS0_14default_configENS1_38merge_sort_block_merge_config_selectorIllEEZZNS1_27merge_sort_block_merge_implIS3_PlN6thrust23THRUST_200600_302600_NS10device_ptrIlEEjNS1_19radix_merge_compareILb0ELb0ElNS0_19identity_decomposerEEEEE10hipError_tT0_T1_T2_jT3_P12ihipStream_tbPNSt15iterator_traitsISG_E10value_typeEPNSM_ISH_E10value_typeEPSI_NS1_7vsmem_tEENKUlT_SG_SH_SI_E_clIS7_S7_SB_S7_EESF_SV_SG_SH_SI_EUlSV_E0_NS1_11comp_targetILNS1_3genE9ELNS1_11target_archE1100ELNS1_3gpuE3ELNS1_3repE0EEENS1_38merge_mergepath_config_static_selectorELNS0_4arch9wavefront6targetE1EEEvSH_,"axG",@progbits,_ZN7rocprim17ROCPRIM_400000_NS6detail17trampoline_kernelINS0_14default_configENS1_38merge_sort_block_merge_config_selectorIllEEZZNS1_27merge_sort_block_merge_implIS3_PlN6thrust23THRUST_200600_302600_NS10device_ptrIlEEjNS1_19radix_merge_compareILb0ELb0ElNS0_19identity_decomposerEEEEE10hipError_tT0_T1_T2_jT3_P12ihipStream_tbPNSt15iterator_traitsISG_E10value_typeEPNSM_ISH_E10value_typeEPSI_NS1_7vsmem_tEENKUlT_SG_SH_SI_E_clIS7_S7_SB_S7_EESF_SV_SG_SH_SI_EUlSV_E0_NS1_11comp_targetILNS1_3genE9ELNS1_11target_archE1100ELNS1_3gpuE3ELNS1_3repE0EEENS1_38merge_mergepath_config_static_selectorELNS0_4arch9wavefront6targetE1EEEvSH_,comdat
	.protected	_ZN7rocprim17ROCPRIM_400000_NS6detail17trampoline_kernelINS0_14default_configENS1_38merge_sort_block_merge_config_selectorIllEEZZNS1_27merge_sort_block_merge_implIS3_PlN6thrust23THRUST_200600_302600_NS10device_ptrIlEEjNS1_19radix_merge_compareILb0ELb0ElNS0_19identity_decomposerEEEEE10hipError_tT0_T1_T2_jT3_P12ihipStream_tbPNSt15iterator_traitsISG_E10value_typeEPNSM_ISH_E10value_typeEPSI_NS1_7vsmem_tEENKUlT_SG_SH_SI_E_clIS7_S7_SB_S7_EESF_SV_SG_SH_SI_EUlSV_E0_NS1_11comp_targetILNS1_3genE9ELNS1_11target_archE1100ELNS1_3gpuE3ELNS1_3repE0EEENS1_38merge_mergepath_config_static_selectorELNS0_4arch9wavefront6targetE1EEEvSH_ ; -- Begin function _ZN7rocprim17ROCPRIM_400000_NS6detail17trampoline_kernelINS0_14default_configENS1_38merge_sort_block_merge_config_selectorIllEEZZNS1_27merge_sort_block_merge_implIS3_PlN6thrust23THRUST_200600_302600_NS10device_ptrIlEEjNS1_19radix_merge_compareILb0ELb0ElNS0_19identity_decomposerEEEEE10hipError_tT0_T1_T2_jT3_P12ihipStream_tbPNSt15iterator_traitsISG_E10value_typeEPNSM_ISH_E10value_typeEPSI_NS1_7vsmem_tEENKUlT_SG_SH_SI_E_clIS7_S7_SB_S7_EESF_SV_SG_SH_SI_EUlSV_E0_NS1_11comp_targetILNS1_3genE9ELNS1_11target_archE1100ELNS1_3gpuE3ELNS1_3repE0EEENS1_38merge_mergepath_config_static_selectorELNS0_4arch9wavefront6targetE1EEEvSH_
	.globl	_ZN7rocprim17ROCPRIM_400000_NS6detail17trampoline_kernelINS0_14default_configENS1_38merge_sort_block_merge_config_selectorIllEEZZNS1_27merge_sort_block_merge_implIS3_PlN6thrust23THRUST_200600_302600_NS10device_ptrIlEEjNS1_19radix_merge_compareILb0ELb0ElNS0_19identity_decomposerEEEEE10hipError_tT0_T1_T2_jT3_P12ihipStream_tbPNSt15iterator_traitsISG_E10value_typeEPNSM_ISH_E10value_typeEPSI_NS1_7vsmem_tEENKUlT_SG_SH_SI_E_clIS7_S7_SB_S7_EESF_SV_SG_SH_SI_EUlSV_E0_NS1_11comp_targetILNS1_3genE9ELNS1_11target_archE1100ELNS1_3gpuE3ELNS1_3repE0EEENS1_38merge_mergepath_config_static_selectorELNS0_4arch9wavefront6targetE1EEEvSH_
	.p2align	8
	.type	_ZN7rocprim17ROCPRIM_400000_NS6detail17trampoline_kernelINS0_14default_configENS1_38merge_sort_block_merge_config_selectorIllEEZZNS1_27merge_sort_block_merge_implIS3_PlN6thrust23THRUST_200600_302600_NS10device_ptrIlEEjNS1_19radix_merge_compareILb0ELb0ElNS0_19identity_decomposerEEEEE10hipError_tT0_T1_T2_jT3_P12ihipStream_tbPNSt15iterator_traitsISG_E10value_typeEPNSM_ISH_E10value_typeEPSI_NS1_7vsmem_tEENKUlT_SG_SH_SI_E_clIS7_S7_SB_S7_EESF_SV_SG_SH_SI_EUlSV_E0_NS1_11comp_targetILNS1_3genE9ELNS1_11target_archE1100ELNS1_3gpuE3ELNS1_3repE0EEENS1_38merge_mergepath_config_static_selectorELNS0_4arch9wavefront6targetE1EEEvSH_,@function
_ZN7rocprim17ROCPRIM_400000_NS6detail17trampoline_kernelINS0_14default_configENS1_38merge_sort_block_merge_config_selectorIllEEZZNS1_27merge_sort_block_merge_implIS3_PlN6thrust23THRUST_200600_302600_NS10device_ptrIlEEjNS1_19radix_merge_compareILb0ELb0ElNS0_19identity_decomposerEEEEE10hipError_tT0_T1_T2_jT3_P12ihipStream_tbPNSt15iterator_traitsISG_E10value_typeEPNSM_ISH_E10value_typeEPSI_NS1_7vsmem_tEENKUlT_SG_SH_SI_E_clIS7_S7_SB_S7_EESF_SV_SG_SH_SI_EUlSV_E0_NS1_11comp_targetILNS1_3genE9ELNS1_11target_archE1100ELNS1_3gpuE3ELNS1_3repE0EEENS1_38merge_mergepath_config_static_selectorELNS0_4arch9wavefront6targetE1EEEvSH_: ; @_ZN7rocprim17ROCPRIM_400000_NS6detail17trampoline_kernelINS0_14default_configENS1_38merge_sort_block_merge_config_selectorIllEEZZNS1_27merge_sort_block_merge_implIS3_PlN6thrust23THRUST_200600_302600_NS10device_ptrIlEEjNS1_19radix_merge_compareILb0ELb0ElNS0_19identity_decomposerEEEEE10hipError_tT0_T1_T2_jT3_P12ihipStream_tbPNSt15iterator_traitsISG_E10value_typeEPNSM_ISH_E10value_typeEPSI_NS1_7vsmem_tEENKUlT_SG_SH_SI_E_clIS7_S7_SB_S7_EESF_SV_SG_SH_SI_EUlSV_E0_NS1_11comp_targetILNS1_3genE9ELNS1_11target_archE1100ELNS1_3gpuE3ELNS1_3repE0EEENS1_38merge_mergepath_config_static_selectorELNS0_4arch9wavefront6targetE1EEEvSH_
; %bb.0:
	.section	.rodata,"a",@progbits
	.p2align	6, 0x0
	.amdhsa_kernel _ZN7rocprim17ROCPRIM_400000_NS6detail17trampoline_kernelINS0_14default_configENS1_38merge_sort_block_merge_config_selectorIllEEZZNS1_27merge_sort_block_merge_implIS3_PlN6thrust23THRUST_200600_302600_NS10device_ptrIlEEjNS1_19radix_merge_compareILb0ELb0ElNS0_19identity_decomposerEEEEE10hipError_tT0_T1_T2_jT3_P12ihipStream_tbPNSt15iterator_traitsISG_E10value_typeEPNSM_ISH_E10value_typeEPSI_NS1_7vsmem_tEENKUlT_SG_SH_SI_E_clIS7_S7_SB_S7_EESF_SV_SG_SH_SI_EUlSV_E0_NS1_11comp_targetILNS1_3genE9ELNS1_11target_archE1100ELNS1_3gpuE3ELNS1_3repE0EEENS1_38merge_mergepath_config_static_selectorELNS0_4arch9wavefront6targetE1EEEvSH_
		.amdhsa_group_segment_fixed_size 0
		.amdhsa_private_segment_fixed_size 0
		.amdhsa_kernarg_size 64
		.amdhsa_user_sgpr_count 6
		.amdhsa_user_sgpr_private_segment_buffer 1
		.amdhsa_user_sgpr_dispatch_ptr 0
		.amdhsa_user_sgpr_queue_ptr 0
		.amdhsa_user_sgpr_kernarg_segment_ptr 1
		.amdhsa_user_sgpr_dispatch_id 0
		.amdhsa_user_sgpr_flat_scratch_init 0
		.amdhsa_user_sgpr_kernarg_preload_length 0
		.amdhsa_user_sgpr_kernarg_preload_offset 0
		.amdhsa_user_sgpr_private_segment_size 0
		.amdhsa_uses_dynamic_stack 0
		.amdhsa_system_sgpr_private_segment_wavefront_offset 0
		.amdhsa_system_sgpr_workgroup_id_x 1
		.amdhsa_system_sgpr_workgroup_id_y 0
		.amdhsa_system_sgpr_workgroup_id_z 0
		.amdhsa_system_sgpr_workgroup_info 0
		.amdhsa_system_vgpr_workitem_id 0
		.amdhsa_next_free_vgpr 1
		.amdhsa_next_free_sgpr 0
		.amdhsa_accum_offset 4
		.amdhsa_reserve_vcc 0
		.amdhsa_reserve_flat_scratch 0
		.amdhsa_float_round_mode_32 0
		.amdhsa_float_round_mode_16_64 0
		.amdhsa_float_denorm_mode_32 3
		.amdhsa_float_denorm_mode_16_64 3
		.amdhsa_dx10_clamp 1
		.amdhsa_ieee_mode 1
		.amdhsa_fp16_overflow 0
		.amdhsa_tg_split 0
		.amdhsa_exception_fp_ieee_invalid_op 0
		.amdhsa_exception_fp_denorm_src 0
		.amdhsa_exception_fp_ieee_div_zero 0
		.amdhsa_exception_fp_ieee_overflow 0
		.amdhsa_exception_fp_ieee_underflow 0
		.amdhsa_exception_fp_ieee_inexact 0
		.amdhsa_exception_int_div_zero 0
	.end_amdhsa_kernel
	.section	.text._ZN7rocprim17ROCPRIM_400000_NS6detail17trampoline_kernelINS0_14default_configENS1_38merge_sort_block_merge_config_selectorIllEEZZNS1_27merge_sort_block_merge_implIS3_PlN6thrust23THRUST_200600_302600_NS10device_ptrIlEEjNS1_19radix_merge_compareILb0ELb0ElNS0_19identity_decomposerEEEEE10hipError_tT0_T1_T2_jT3_P12ihipStream_tbPNSt15iterator_traitsISG_E10value_typeEPNSM_ISH_E10value_typeEPSI_NS1_7vsmem_tEENKUlT_SG_SH_SI_E_clIS7_S7_SB_S7_EESF_SV_SG_SH_SI_EUlSV_E0_NS1_11comp_targetILNS1_3genE9ELNS1_11target_archE1100ELNS1_3gpuE3ELNS1_3repE0EEENS1_38merge_mergepath_config_static_selectorELNS0_4arch9wavefront6targetE1EEEvSH_,"axG",@progbits,_ZN7rocprim17ROCPRIM_400000_NS6detail17trampoline_kernelINS0_14default_configENS1_38merge_sort_block_merge_config_selectorIllEEZZNS1_27merge_sort_block_merge_implIS3_PlN6thrust23THRUST_200600_302600_NS10device_ptrIlEEjNS1_19radix_merge_compareILb0ELb0ElNS0_19identity_decomposerEEEEE10hipError_tT0_T1_T2_jT3_P12ihipStream_tbPNSt15iterator_traitsISG_E10value_typeEPNSM_ISH_E10value_typeEPSI_NS1_7vsmem_tEENKUlT_SG_SH_SI_E_clIS7_S7_SB_S7_EESF_SV_SG_SH_SI_EUlSV_E0_NS1_11comp_targetILNS1_3genE9ELNS1_11target_archE1100ELNS1_3gpuE3ELNS1_3repE0EEENS1_38merge_mergepath_config_static_selectorELNS0_4arch9wavefront6targetE1EEEvSH_,comdat
.Lfunc_end1048:
	.size	_ZN7rocprim17ROCPRIM_400000_NS6detail17trampoline_kernelINS0_14default_configENS1_38merge_sort_block_merge_config_selectorIllEEZZNS1_27merge_sort_block_merge_implIS3_PlN6thrust23THRUST_200600_302600_NS10device_ptrIlEEjNS1_19radix_merge_compareILb0ELb0ElNS0_19identity_decomposerEEEEE10hipError_tT0_T1_T2_jT3_P12ihipStream_tbPNSt15iterator_traitsISG_E10value_typeEPNSM_ISH_E10value_typeEPSI_NS1_7vsmem_tEENKUlT_SG_SH_SI_E_clIS7_S7_SB_S7_EESF_SV_SG_SH_SI_EUlSV_E0_NS1_11comp_targetILNS1_3genE9ELNS1_11target_archE1100ELNS1_3gpuE3ELNS1_3repE0EEENS1_38merge_mergepath_config_static_selectorELNS0_4arch9wavefront6targetE1EEEvSH_, .Lfunc_end1048-_ZN7rocprim17ROCPRIM_400000_NS6detail17trampoline_kernelINS0_14default_configENS1_38merge_sort_block_merge_config_selectorIllEEZZNS1_27merge_sort_block_merge_implIS3_PlN6thrust23THRUST_200600_302600_NS10device_ptrIlEEjNS1_19radix_merge_compareILb0ELb0ElNS0_19identity_decomposerEEEEE10hipError_tT0_T1_T2_jT3_P12ihipStream_tbPNSt15iterator_traitsISG_E10value_typeEPNSM_ISH_E10value_typeEPSI_NS1_7vsmem_tEENKUlT_SG_SH_SI_E_clIS7_S7_SB_S7_EESF_SV_SG_SH_SI_EUlSV_E0_NS1_11comp_targetILNS1_3genE9ELNS1_11target_archE1100ELNS1_3gpuE3ELNS1_3repE0EEENS1_38merge_mergepath_config_static_selectorELNS0_4arch9wavefront6targetE1EEEvSH_
                                        ; -- End function
	.section	.AMDGPU.csdata,"",@progbits
; Kernel info:
; codeLenInByte = 0
; NumSgprs: 4
; NumVgprs: 0
; NumAgprs: 0
; TotalNumVgprs: 0
; ScratchSize: 0
; MemoryBound: 0
; FloatMode: 240
; IeeeMode: 1
; LDSByteSize: 0 bytes/workgroup (compile time only)
; SGPRBlocks: 0
; VGPRBlocks: 0
; NumSGPRsForWavesPerEU: 4
; NumVGPRsForWavesPerEU: 1
; AccumOffset: 4
; Occupancy: 8
; WaveLimiterHint : 0
; COMPUTE_PGM_RSRC2:SCRATCH_EN: 0
; COMPUTE_PGM_RSRC2:USER_SGPR: 6
; COMPUTE_PGM_RSRC2:TRAP_HANDLER: 0
; COMPUTE_PGM_RSRC2:TGID_X_EN: 1
; COMPUTE_PGM_RSRC2:TGID_Y_EN: 0
; COMPUTE_PGM_RSRC2:TGID_Z_EN: 0
; COMPUTE_PGM_RSRC2:TIDIG_COMP_CNT: 0
; COMPUTE_PGM_RSRC3_GFX90A:ACCUM_OFFSET: 0
; COMPUTE_PGM_RSRC3_GFX90A:TG_SPLIT: 0
	.section	.text._ZN7rocprim17ROCPRIM_400000_NS6detail17trampoline_kernelINS0_14default_configENS1_38merge_sort_block_merge_config_selectorIllEEZZNS1_27merge_sort_block_merge_implIS3_PlN6thrust23THRUST_200600_302600_NS10device_ptrIlEEjNS1_19radix_merge_compareILb0ELb0ElNS0_19identity_decomposerEEEEE10hipError_tT0_T1_T2_jT3_P12ihipStream_tbPNSt15iterator_traitsISG_E10value_typeEPNSM_ISH_E10value_typeEPSI_NS1_7vsmem_tEENKUlT_SG_SH_SI_E_clIS7_S7_SB_S7_EESF_SV_SG_SH_SI_EUlSV_E0_NS1_11comp_targetILNS1_3genE8ELNS1_11target_archE1030ELNS1_3gpuE2ELNS1_3repE0EEENS1_38merge_mergepath_config_static_selectorELNS0_4arch9wavefront6targetE1EEEvSH_,"axG",@progbits,_ZN7rocprim17ROCPRIM_400000_NS6detail17trampoline_kernelINS0_14default_configENS1_38merge_sort_block_merge_config_selectorIllEEZZNS1_27merge_sort_block_merge_implIS3_PlN6thrust23THRUST_200600_302600_NS10device_ptrIlEEjNS1_19radix_merge_compareILb0ELb0ElNS0_19identity_decomposerEEEEE10hipError_tT0_T1_T2_jT3_P12ihipStream_tbPNSt15iterator_traitsISG_E10value_typeEPNSM_ISH_E10value_typeEPSI_NS1_7vsmem_tEENKUlT_SG_SH_SI_E_clIS7_S7_SB_S7_EESF_SV_SG_SH_SI_EUlSV_E0_NS1_11comp_targetILNS1_3genE8ELNS1_11target_archE1030ELNS1_3gpuE2ELNS1_3repE0EEENS1_38merge_mergepath_config_static_selectorELNS0_4arch9wavefront6targetE1EEEvSH_,comdat
	.protected	_ZN7rocprim17ROCPRIM_400000_NS6detail17trampoline_kernelINS0_14default_configENS1_38merge_sort_block_merge_config_selectorIllEEZZNS1_27merge_sort_block_merge_implIS3_PlN6thrust23THRUST_200600_302600_NS10device_ptrIlEEjNS1_19radix_merge_compareILb0ELb0ElNS0_19identity_decomposerEEEEE10hipError_tT0_T1_T2_jT3_P12ihipStream_tbPNSt15iterator_traitsISG_E10value_typeEPNSM_ISH_E10value_typeEPSI_NS1_7vsmem_tEENKUlT_SG_SH_SI_E_clIS7_S7_SB_S7_EESF_SV_SG_SH_SI_EUlSV_E0_NS1_11comp_targetILNS1_3genE8ELNS1_11target_archE1030ELNS1_3gpuE2ELNS1_3repE0EEENS1_38merge_mergepath_config_static_selectorELNS0_4arch9wavefront6targetE1EEEvSH_ ; -- Begin function _ZN7rocprim17ROCPRIM_400000_NS6detail17trampoline_kernelINS0_14default_configENS1_38merge_sort_block_merge_config_selectorIllEEZZNS1_27merge_sort_block_merge_implIS3_PlN6thrust23THRUST_200600_302600_NS10device_ptrIlEEjNS1_19radix_merge_compareILb0ELb0ElNS0_19identity_decomposerEEEEE10hipError_tT0_T1_T2_jT3_P12ihipStream_tbPNSt15iterator_traitsISG_E10value_typeEPNSM_ISH_E10value_typeEPSI_NS1_7vsmem_tEENKUlT_SG_SH_SI_E_clIS7_S7_SB_S7_EESF_SV_SG_SH_SI_EUlSV_E0_NS1_11comp_targetILNS1_3genE8ELNS1_11target_archE1030ELNS1_3gpuE2ELNS1_3repE0EEENS1_38merge_mergepath_config_static_selectorELNS0_4arch9wavefront6targetE1EEEvSH_
	.globl	_ZN7rocprim17ROCPRIM_400000_NS6detail17trampoline_kernelINS0_14default_configENS1_38merge_sort_block_merge_config_selectorIllEEZZNS1_27merge_sort_block_merge_implIS3_PlN6thrust23THRUST_200600_302600_NS10device_ptrIlEEjNS1_19radix_merge_compareILb0ELb0ElNS0_19identity_decomposerEEEEE10hipError_tT0_T1_T2_jT3_P12ihipStream_tbPNSt15iterator_traitsISG_E10value_typeEPNSM_ISH_E10value_typeEPSI_NS1_7vsmem_tEENKUlT_SG_SH_SI_E_clIS7_S7_SB_S7_EESF_SV_SG_SH_SI_EUlSV_E0_NS1_11comp_targetILNS1_3genE8ELNS1_11target_archE1030ELNS1_3gpuE2ELNS1_3repE0EEENS1_38merge_mergepath_config_static_selectorELNS0_4arch9wavefront6targetE1EEEvSH_
	.p2align	8
	.type	_ZN7rocprim17ROCPRIM_400000_NS6detail17trampoline_kernelINS0_14default_configENS1_38merge_sort_block_merge_config_selectorIllEEZZNS1_27merge_sort_block_merge_implIS3_PlN6thrust23THRUST_200600_302600_NS10device_ptrIlEEjNS1_19radix_merge_compareILb0ELb0ElNS0_19identity_decomposerEEEEE10hipError_tT0_T1_T2_jT3_P12ihipStream_tbPNSt15iterator_traitsISG_E10value_typeEPNSM_ISH_E10value_typeEPSI_NS1_7vsmem_tEENKUlT_SG_SH_SI_E_clIS7_S7_SB_S7_EESF_SV_SG_SH_SI_EUlSV_E0_NS1_11comp_targetILNS1_3genE8ELNS1_11target_archE1030ELNS1_3gpuE2ELNS1_3repE0EEENS1_38merge_mergepath_config_static_selectorELNS0_4arch9wavefront6targetE1EEEvSH_,@function
_ZN7rocprim17ROCPRIM_400000_NS6detail17trampoline_kernelINS0_14default_configENS1_38merge_sort_block_merge_config_selectorIllEEZZNS1_27merge_sort_block_merge_implIS3_PlN6thrust23THRUST_200600_302600_NS10device_ptrIlEEjNS1_19radix_merge_compareILb0ELb0ElNS0_19identity_decomposerEEEEE10hipError_tT0_T1_T2_jT3_P12ihipStream_tbPNSt15iterator_traitsISG_E10value_typeEPNSM_ISH_E10value_typeEPSI_NS1_7vsmem_tEENKUlT_SG_SH_SI_E_clIS7_S7_SB_S7_EESF_SV_SG_SH_SI_EUlSV_E0_NS1_11comp_targetILNS1_3genE8ELNS1_11target_archE1030ELNS1_3gpuE2ELNS1_3repE0EEENS1_38merge_mergepath_config_static_selectorELNS0_4arch9wavefront6targetE1EEEvSH_: ; @_ZN7rocprim17ROCPRIM_400000_NS6detail17trampoline_kernelINS0_14default_configENS1_38merge_sort_block_merge_config_selectorIllEEZZNS1_27merge_sort_block_merge_implIS3_PlN6thrust23THRUST_200600_302600_NS10device_ptrIlEEjNS1_19radix_merge_compareILb0ELb0ElNS0_19identity_decomposerEEEEE10hipError_tT0_T1_T2_jT3_P12ihipStream_tbPNSt15iterator_traitsISG_E10value_typeEPNSM_ISH_E10value_typeEPSI_NS1_7vsmem_tEENKUlT_SG_SH_SI_E_clIS7_S7_SB_S7_EESF_SV_SG_SH_SI_EUlSV_E0_NS1_11comp_targetILNS1_3genE8ELNS1_11target_archE1030ELNS1_3gpuE2ELNS1_3repE0EEENS1_38merge_mergepath_config_static_selectorELNS0_4arch9wavefront6targetE1EEEvSH_
; %bb.0:
	.section	.rodata,"a",@progbits
	.p2align	6, 0x0
	.amdhsa_kernel _ZN7rocprim17ROCPRIM_400000_NS6detail17trampoline_kernelINS0_14default_configENS1_38merge_sort_block_merge_config_selectorIllEEZZNS1_27merge_sort_block_merge_implIS3_PlN6thrust23THRUST_200600_302600_NS10device_ptrIlEEjNS1_19radix_merge_compareILb0ELb0ElNS0_19identity_decomposerEEEEE10hipError_tT0_T1_T2_jT3_P12ihipStream_tbPNSt15iterator_traitsISG_E10value_typeEPNSM_ISH_E10value_typeEPSI_NS1_7vsmem_tEENKUlT_SG_SH_SI_E_clIS7_S7_SB_S7_EESF_SV_SG_SH_SI_EUlSV_E0_NS1_11comp_targetILNS1_3genE8ELNS1_11target_archE1030ELNS1_3gpuE2ELNS1_3repE0EEENS1_38merge_mergepath_config_static_selectorELNS0_4arch9wavefront6targetE1EEEvSH_
		.amdhsa_group_segment_fixed_size 0
		.amdhsa_private_segment_fixed_size 0
		.amdhsa_kernarg_size 64
		.amdhsa_user_sgpr_count 6
		.amdhsa_user_sgpr_private_segment_buffer 1
		.amdhsa_user_sgpr_dispatch_ptr 0
		.amdhsa_user_sgpr_queue_ptr 0
		.amdhsa_user_sgpr_kernarg_segment_ptr 1
		.amdhsa_user_sgpr_dispatch_id 0
		.amdhsa_user_sgpr_flat_scratch_init 0
		.amdhsa_user_sgpr_kernarg_preload_length 0
		.amdhsa_user_sgpr_kernarg_preload_offset 0
		.amdhsa_user_sgpr_private_segment_size 0
		.amdhsa_uses_dynamic_stack 0
		.amdhsa_system_sgpr_private_segment_wavefront_offset 0
		.amdhsa_system_sgpr_workgroup_id_x 1
		.amdhsa_system_sgpr_workgroup_id_y 0
		.amdhsa_system_sgpr_workgroup_id_z 0
		.amdhsa_system_sgpr_workgroup_info 0
		.amdhsa_system_vgpr_workitem_id 0
		.amdhsa_next_free_vgpr 1
		.amdhsa_next_free_sgpr 0
		.amdhsa_accum_offset 4
		.amdhsa_reserve_vcc 0
		.amdhsa_reserve_flat_scratch 0
		.amdhsa_float_round_mode_32 0
		.amdhsa_float_round_mode_16_64 0
		.amdhsa_float_denorm_mode_32 3
		.amdhsa_float_denorm_mode_16_64 3
		.amdhsa_dx10_clamp 1
		.amdhsa_ieee_mode 1
		.amdhsa_fp16_overflow 0
		.amdhsa_tg_split 0
		.amdhsa_exception_fp_ieee_invalid_op 0
		.amdhsa_exception_fp_denorm_src 0
		.amdhsa_exception_fp_ieee_div_zero 0
		.amdhsa_exception_fp_ieee_overflow 0
		.amdhsa_exception_fp_ieee_underflow 0
		.amdhsa_exception_fp_ieee_inexact 0
		.amdhsa_exception_int_div_zero 0
	.end_amdhsa_kernel
	.section	.text._ZN7rocprim17ROCPRIM_400000_NS6detail17trampoline_kernelINS0_14default_configENS1_38merge_sort_block_merge_config_selectorIllEEZZNS1_27merge_sort_block_merge_implIS3_PlN6thrust23THRUST_200600_302600_NS10device_ptrIlEEjNS1_19radix_merge_compareILb0ELb0ElNS0_19identity_decomposerEEEEE10hipError_tT0_T1_T2_jT3_P12ihipStream_tbPNSt15iterator_traitsISG_E10value_typeEPNSM_ISH_E10value_typeEPSI_NS1_7vsmem_tEENKUlT_SG_SH_SI_E_clIS7_S7_SB_S7_EESF_SV_SG_SH_SI_EUlSV_E0_NS1_11comp_targetILNS1_3genE8ELNS1_11target_archE1030ELNS1_3gpuE2ELNS1_3repE0EEENS1_38merge_mergepath_config_static_selectorELNS0_4arch9wavefront6targetE1EEEvSH_,"axG",@progbits,_ZN7rocprim17ROCPRIM_400000_NS6detail17trampoline_kernelINS0_14default_configENS1_38merge_sort_block_merge_config_selectorIllEEZZNS1_27merge_sort_block_merge_implIS3_PlN6thrust23THRUST_200600_302600_NS10device_ptrIlEEjNS1_19radix_merge_compareILb0ELb0ElNS0_19identity_decomposerEEEEE10hipError_tT0_T1_T2_jT3_P12ihipStream_tbPNSt15iterator_traitsISG_E10value_typeEPNSM_ISH_E10value_typeEPSI_NS1_7vsmem_tEENKUlT_SG_SH_SI_E_clIS7_S7_SB_S7_EESF_SV_SG_SH_SI_EUlSV_E0_NS1_11comp_targetILNS1_3genE8ELNS1_11target_archE1030ELNS1_3gpuE2ELNS1_3repE0EEENS1_38merge_mergepath_config_static_selectorELNS0_4arch9wavefront6targetE1EEEvSH_,comdat
.Lfunc_end1049:
	.size	_ZN7rocprim17ROCPRIM_400000_NS6detail17trampoline_kernelINS0_14default_configENS1_38merge_sort_block_merge_config_selectorIllEEZZNS1_27merge_sort_block_merge_implIS3_PlN6thrust23THRUST_200600_302600_NS10device_ptrIlEEjNS1_19radix_merge_compareILb0ELb0ElNS0_19identity_decomposerEEEEE10hipError_tT0_T1_T2_jT3_P12ihipStream_tbPNSt15iterator_traitsISG_E10value_typeEPNSM_ISH_E10value_typeEPSI_NS1_7vsmem_tEENKUlT_SG_SH_SI_E_clIS7_S7_SB_S7_EESF_SV_SG_SH_SI_EUlSV_E0_NS1_11comp_targetILNS1_3genE8ELNS1_11target_archE1030ELNS1_3gpuE2ELNS1_3repE0EEENS1_38merge_mergepath_config_static_selectorELNS0_4arch9wavefront6targetE1EEEvSH_, .Lfunc_end1049-_ZN7rocprim17ROCPRIM_400000_NS6detail17trampoline_kernelINS0_14default_configENS1_38merge_sort_block_merge_config_selectorIllEEZZNS1_27merge_sort_block_merge_implIS3_PlN6thrust23THRUST_200600_302600_NS10device_ptrIlEEjNS1_19radix_merge_compareILb0ELb0ElNS0_19identity_decomposerEEEEE10hipError_tT0_T1_T2_jT3_P12ihipStream_tbPNSt15iterator_traitsISG_E10value_typeEPNSM_ISH_E10value_typeEPSI_NS1_7vsmem_tEENKUlT_SG_SH_SI_E_clIS7_S7_SB_S7_EESF_SV_SG_SH_SI_EUlSV_E0_NS1_11comp_targetILNS1_3genE8ELNS1_11target_archE1030ELNS1_3gpuE2ELNS1_3repE0EEENS1_38merge_mergepath_config_static_selectorELNS0_4arch9wavefront6targetE1EEEvSH_
                                        ; -- End function
	.section	.AMDGPU.csdata,"",@progbits
; Kernel info:
; codeLenInByte = 0
; NumSgprs: 4
; NumVgprs: 0
; NumAgprs: 0
; TotalNumVgprs: 0
; ScratchSize: 0
; MemoryBound: 0
; FloatMode: 240
; IeeeMode: 1
; LDSByteSize: 0 bytes/workgroup (compile time only)
; SGPRBlocks: 0
; VGPRBlocks: 0
; NumSGPRsForWavesPerEU: 4
; NumVGPRsForWavesPerEU: 1
; AccumOffset: 4
; Occupancy: 8
; WaveLimiterHint : 0
; COMPUTE_PGM_RSRC2:SCRATCH_EN: 0
; COMPUTE_PGM_RSRC2:USER_SGPR: 6
; COMPUTE_PGM_RSRC2:TRAP_HANDLER: 0
; COMPUTE_PGM_RSRC2:TGID_X_EN: 1
; COMPUTE_PGM_RSRC2:TGID_Y_EN: 0
; COMPUTE_PGM_RSRC2:TGID_Z_EN: 0
; COMPUTE_PGM_RSRC2:TIDIG_COMP_CNT: 0
; COMPUTE_PGM_RSRC3_GFX90A:ACCUM_OFFSET: 0
; COMPUTE_PGM_RSRC3_GFX90A:TG_SPLIT: 0
	.section	.text._ZN7rocprim17ROCPRIM_400000_NS6detail17trampoline_kernelINS0_14default_configENS1_38merge_sort_block_merge_config_selectorIllEEZZNS1_27merge_sort_block_merge_implIS3_PlN6thrust23THRUST_200600_302600_NS10device_ptrIlEEjNS1_19radix_merge_compareILb0ELb0ElNS0_19identity_decomposerEEEEE10hipError_tT0_T1_T2_jT3_P12ihipStream_tbPNSt15iterator_traitsISG_E10value_typeEPNSM_ISH_E10value_typeEPSI_NS1_7vsmem_tEENKUlT_SG_SH_SI_E_clIS7_S7_SB_S7_EESF_SV_SG_SH_SI_EUlSV_E1_NS1_11comp_targetILNS1_3genE0ELNS1_11target_archE4294967295ELNS1_3gpuE0ELNS1_3repE0EEENS1_36merge_oddeven_config_static_selectorELNS0_4arch9wavefront6targetE1EEEvSH_,"axG",@progbits,_ZN7rocprim17ROCPRIM_400000_NS6detail17trampoline_kernelINS0_14default_configENS1_38merge_sort_block_merge_config_selectorIllEEZZNS1_27merge_sort_block_merge_implIS3_PlN6thrust23THRUST_200600_302600_NS10device_ptrIlEEjNS1_19radix_merge_compareILb0ELb0ElNS0_19identity_decomposerEEEEE10hipError_tT0_T1_T2_jT3_P12ihipStream_tbPNSt15iterator_traitsISG_E10value_typeEPNSM_ISH_E10value_typeEPSI_NS1_7vsmem_tEENKUlT_SG_SH_SI_E_clIS7_S7_SB_S7_EESF_SV_SG_SH_SI_EUlSV_E1_NS1_11comp_targetILNS1_3genE0ELNS1_11target_archE4294967295ELNS1_3gpuE0ELNS1_3repE0EEENS1_36merge_oddeven_config_static_selectorELNS0_4arch9wavefront6targetE1EEEvSH_,comdat
	.protected	_ZN7rocprim17ROCPRIM_400000_NS6detail17trampoline_kernelINS0_14default_configENS1_38merge_sort_block_merge_config_selectorIllEEZZNS1_27merge_sort_block_merge_implIS3_PlN6thrust23THRUST_200600_302600_NS10device_ptrIlEEjNS1_19radix_merge_compareILb0ELb0ElNS0_19identity_decomposerEEEEE10hipError_tT0_T1_T2_jT3_P12ihipStream_tbPNSt15iterator_traitsISG_E10value_typeEPNSM_ISH_E10value_typeEPSI_NS1_7vsmem_tEENKUlT_SG_SH_SI_E_clIS7_S7_SB_S7_EESF_SV_SG_SH_SI_EUlSV_E1_NS1_11comp_targetILNS1_3genE0ELNS1_11target_archE4294967295ELNS1_3gpuE0ELNS1_3repE0EEENS1_36merge_oddeven_config_static_selectorELNS0_4arch9wavefront6targetE1EEEvSH_ ; -- Begin function _ZN7rocprim17ROCPRIM_400000_NS6detail17trampoline_kernelINS0_14default_configENS1_38merge_sort_block_merge_config_selectorIllEEZZNS1_27merge_sort_block_merge_implIS3_PlN6thrust23THRUST_200600_302600_NS10device_ptrIlEEjNS1_19radix_merge_compareILb0ELb0ElNS0_19identity_decomposerEEEEE10hipError_tT0_T1_T2_jT3_P12ihipStream_tbPNSt15iterator_traitsISG_E10value_typeEPNSM_ISH_E10value_typeEPSI_NS1_7vsmem_tEENKUlT_SG_SH_SI_E_clIS7_S7_SB_S7_EESF_SV_SG_SH_SI_EUlSV_E1_NS1_11comp_targetILNS1_3genE0ELNS1_11target_archE4294967295ELNS1_3gpuE0ELNS1_3repE0EEENS1_36merge_oddeven_config_static_selectorELNS0_4arch9wavefront6targetE1EEEvSH_
	.globl	_ZN7rocprim17ROCPRIM_400000_NS6detail17trampoline_kernelINS0_14default_configENS1_38merge_sort_block_merge_config_selectorIllEEZZNS1_27merge_sort_block_merge_implIS3_PlN6thrust23THRUST_200600_302600_NS10device_ptrIlEEjNS1_19radix_merge_compareILb0ELb0ElNS0_19identity_decomposerEEEEE10hipError_tT0_T1_T2_jT3_P12ihipStream_tbPNSt15iterator_traitsISG_E10value_typeEPNSM_ISH_E10value_typeEPSI_NS1_7vsmem_tEENKUlT_SG_SH_SI_E_clIS7_S7_SB_S7_EESF_SV_SG_SH_SI_EUlSV_E1_NS1_11comp_targetILNS1_3genE0ELNS1_11target_archE4294967295ELNS1_3gpuE0ELNS1_3repE0EEENS1_36merge_oddeven_config_static_selectorELNS0_4arch9wavefront6targetE1EEEvSH_
	.p2align	8
	.type	_ZN7rocprim17ROCPRIM_400000_NS6detail17trampoline_kernelINS0_14default_configENS1_38merge_sort_block_merge_config_selectorIllEEZZNS1_27merge_sort_block_merge_implIS3_PlN6thrust23THRUST_200600_302600_NS10device_ptrIlEEjNS1_19radix_merge_compareILb0ELb0ElNS0_19identity_decomposerEEEEE10hipError_tT0_T1_T2_jT3_P12ihipStream_tbPNSt15iterator_traitsISG_E10value_typeEPNSM_ISH_E10value_typeEPSI_NS1_7vsmem_tEENKUlT_SG_SH_SI_E_clIS7_S7_SB_S7_EESF_SV_SG_SH_SI_EUlSV_E1_NS1_11comp_targetILNS1_3genE0ELNS1_11target_archE4294967295ELNS1_3gpuE0ELNS1_3repE0EEENS1_36merge_oddeven_config_static_selectorELNS0_4arch9wavefront6targetE1EEEvSH_,@function
_ZN7rocprim17ROCPRIM_400000_NS6detail17trampoline_kernelINS0_14default_configENS1_38merge_sort_block_merge_config_selectorIllEEZZNS1_27merge_sort_block_merge_implIS3_PlN6thrust23THRUST_200600_302600_NS10device_ptrIlEEjNS1_19radix_merge_compareILb0ELb0ElNS0_19identity_decomposerEEEEE10hipError_tT0_T1_T2_jT3_P12ihipStream_tbPNSt15iterator_traitsISG_E10value_typeEPNSM_ISH_E10value_typeEPSI_NS1_7vsmem_tEENKUlT_SG_SH_SI_E_clIS7_S7_SB_S7_EESF_SV_SG_SH_SI_EUlSV_E1_NS1_11comp_targetILNS1_3genE0ELNS1_11target_archE4294967295ELNS1_3gpuE0ELNS1_3repE0EEENS1_36merge_oddeven_config_static_selectorELNS0_4arch9wavefront6targetE1EEEvSH_: ; @_ZN7rocprim17ROCPRIM_400000_NS6detail17trampoline_kernelINS0_14default_configENS1_38merge_sort_block_merge_config_selectorIllEEZZNS1_27merge_sort_block_merge_implIS3_PlN6thrust23THRUST_200600_302600_NS10device_ptrIlEEjNS1_19radix_merge_compareILb0ELb0ElNS0_19identity_decomposerEEEEE10hipError_tT0_T1_T2_jT3_P12ihipStream_tbPNSt15iterator_traitsISG_E10value_typeEPNSM_ISH_E10value_typeEPSI_NS1_7vsmem_tEENKUlT_SG_SH_SI_E_clIS7_S7_SB_S7_EESF_SV_SG_SH_SI_EUlSV_E1_NS1_11comp_targetILNS1_3genE0ELNS1_11target_archE4294967295ELNS1_3gpuE0ELNS1_3repE0EEENS1_36merge_oddeven_config_static_selectorELNS0_4arch9wavefront6targetE1EEEvSH_
; %bb.0:
	.section	.rodata,"a",@progbits
	.p2align	6, 0x0
	.amdhsa_kernel _ZN7rocprim17ROCPRIM_400000_NS6detail17trampoline_kernelINS0_14default_configENS1_38merge_sort_block_merge_config_selectorIllEEZZNS1_27merge_sort_block_merge_implIS3_PlN6thrust23THRUST_200600_302600_NS10device_ptrIlEEjNS1_19radix_merge_compareILb0ELb0ElNS0_19identity_decomposerEEEEE10hipError_tT0_T1_T2_jT3_P12ihipStream_tbPNSt15iterator_traitsISG_E10value_typeEPNSM_ISH_E10value_typeEPSI_NS1_7vsmem_tEENKUlT_SG_SH_SI_E_clIS7_S7_SB_S7_EESF_SV_SG_SH_SI_EUlSV_E1_NS1_11comp_targetILNS1_3genE0ELNS1_11target_archE4294967295ELNS1_3gpuE0ELNS1_3repE0EEENS1_36merge_oddeven_config_static_selectorELNS0_4arch9wavefront6targetE1EEEvSH_
		.amdhsa_group_segment_fixed_size 0
		.amdhsa_private_segment_fixed_size 0
		.amdhsa_kernarg_size 48
		.amdhsa_user_sgpr_count 6
		.amdhsa_user_sgpr_private_segment_buffer 1
		.amdhsa_user_sgpr_dispatch_ptr 0
		.amdhsa_user_sgpr_queue_ptr 0
		.amdhsa_user_sgpr_kernarg_segment_ptr 1
		.amdhsa_user_sgpr_dispatch_id 0
		.amdhsa_user_sgpr_flat_scratch_init 0
		.amdhsa_user_sgpr_kernarg_preload_length 0
		.amdhsa_user_sgpr_kernarg_preload_offset 0
		.amdhsa_user_sgpr_private_segment_size 0
		.amdhsa_uses_dynamic_stack 0
		.amdhsa_system_sgpr_private_segment_wavefront_offset 0
		.amdhsa_system_sgpr_workgroup_id_x 1
		.amdhsa_system_sgpr_workgroup_id_y 0
		.amdhsa_system_sgpr_workgroup_id_z 0
		.amdhsa_system_sgpr_workgroup_info 0
		.amdhsa_system_vgpr_workitem_id 0
		.amdhsa_next_free_vgpr 1
		.amdhsa_next_free_sgpr 0
		.amdhsa_accum_offset 4
		.amdhsa_reserve_vcc 0
		.amdhsa_reserve_flat_scratch 0
		.amdhsa_float_round_mode_32 0
		.amdhsa_float_round_mode_16_64 0
		.amdhsa_float_denorm_mode_32 3
		.amdhsa_float_denorm_mode_16_64 3
		.amdhsa_dx10_clamp 1
		.amdhsa_ieee_mode 1
		.amdhsa_fp16_overflow 0
		.amdhsa_tg_split 0
		.amdhsa_exception_fp_ieee_invalid_op 0
		.amdhsa_exception_fp_denorm_src 0
		.amdhsa_exception_fp_ieee_div_zero 0
		.amdhsa_exception_fp_ieee_overflow 0
		.amdhsa_exception_fp_ieee_underflow 0
		.amdhsa_exception_fp_ieee_inexact 0
		.amdhsa_exception_int_div_zero 0
	.end_amdhsa_kernel
	.section	.text._ZN7rocprim17ROCPRIM_400000_NS6detail17trampoline_kernelINS0_14default_configENS1_38merge_sort_block_merge_config_selectorIllEEZZNS1_27merge_sort_block_merge_implIS3_PlN6thrust23THRUST_200600_302600_NS10device_ptrIlEEjNS1_19radix_merge_compareILb0ELb0ElNS0_19identity_decomposerEEEEE10hipError_tT0_T1_T2_jT3_P12ihipStream_tbPNSt15iterator_traitsISG_E10value_typeEPNSM_ISH_E10value_typeEPSI_NS1_7vsmem_tEENKUlT_SG_SH_SI_E_clIS7_S7_SB_S7_EESF_SV_SG_SH_SI_EUlSV_E1_NS1_11comp_targetILNS1_3genE0ELNS1_11target_archE4294967295ELNS1_3gpuE0ELNS1_3repE0EEENS1_36merge_oddeven_config_static_selectorELNS0_4arch9wavefront6targetE1EEEvSH_,"axG",@progbits,_ZN7rocprim17ROCPRIM_400000_NS6detail17trampoline_kernelINS0_14default_configENS1_38merge_sort_block_merge_config_selectorIllEEZZNS1_27merge_sort_block_merge_implIS3_PlN6thrust23THRUST_200600_302600_NS10device_ptrIlEEjNS1_19radix_merge_compareILb0ELb0ElNS0_19identity_decomposerEEEEE10hipError_tT0_T1_T2_jT3_P12ihipStream_tbPNSt15iterator_traitsISG_E10value_typeEPNSM_ISH_E10value_typeEPSI_NS1_7vsmem_tEENKUlT_SG_SH_SI_E_clIS7_S7_SB_S7_EESF_SV_SG_SH_SI_EUlSV_E1_NS1_11comp_targetILNS1_3genE0ELNS1_11target_archE4294967295ELNS1_3gpuE0ELNS1_3repE0EEENS1_36merge_oddeven_config_static_selectorELNS0_4arch9wavefront6targetE1EEEvSH_,comdat
.Lfunc_end1050:
	.size	_ZN7rocprim17ROCPRIM_400000_NS6detail17trampoline_kernelINS0_14default_configENS1_38merge_sort_block_merge_config_selectorIllEEZZNS1_27merge_sort_block_merge_implIS3_PlN6thrust23THRUST_200600_302600_NS10device_ptrIlEEjNS1_19radix_merge_compareILb0ELb0ElNS0_19identity_decomposerEEEEE10hipError_tT0_T1_T2_jT3_P12ihipStream_tbPNSt15iterator_traitsISG_E10value_typeEPNSM_ISH_E10value_typeEPSI_NS1_7vsmem_tEENKUlT_SG_SH_SI_E_clIS7_S7_SB_S7_EESF_SV_SG_SH_SI_EUlSV_E1_NS1_11comp_targetILNS1_3genE0ELNS1_11target_archE4294967295ELNS1_3gpuE0ELNS1_3repE0EEENS1_36merge_oddeven_config_static_selectorELNS0_4arch9wavefront6targetE1EEEvSH_, .Lfunc_end1050-_ZN7rocprim17ROCPRIM_400000_NS6detail17trampoline_kernelINS0_14default_configENS1_38merge_sort_block_merge_config_selectorIllEEZZNS1_27merge_sort_block_merge_implIS3_PlN6thrust23THRUST_200600_302600_NS10device_ptrIlEEjNS1_19radix_merge_compareILb0ELb0ElNS0_19identity_decomposerEEEEE10hipError_tT0_T1_T2_jT3_P12ihipStream_tbPNSt15iterator_traitsISG_E10value_typeEPNSM_ISH_E10value_typeEPSI_NS1_7vsmem_tEENKUlT_SG_SH_SI_E_clIS7_S7_SB_S7_EESF_SV_SG_SH_SI_EUlSV_E1_NS1_11comp_targetILNS1_3genE0ELNS1_11target_archE4294967295ELNS1_3gpuE0ELNS1_3repE0EEENS1_36merge_oddeven_config_static_selectorELNS0_4arch9wavefront6targetE1EEEvSH_
                                        ; -- End function
	.section	.AMDGPU.csdata,"",@progbits
; Kernel info:
; codeLenInByte = 0
; NumSgprs: 4
; NumVgprs: 0
; NumAgprs: 0
; TotalNumVgprs: 0
; ScratchSize: 0
; MemoryBound: 0
; FloatMode: 240
; IeeeMode: 1
; LDSByteSize: 0 bytes/workgroup (compile time only)
; SGPRBlocks: 0
; VGPRBlocks: 0
; NumSGPRsForWavesPerEU: 4
; NumVGPRsForWavesPerEU: 1
; AccumOffset: 4
; Occupancy: 8
; WaveLimiterHint : 0
; COMPUTE_PGM_RSRC2:SCRATCH_EN: 0
; COMPUTE_PGM_RSRC2:USER_SGPR: 6
; COMPUTE_PGM_RSRC2:TRAP_HANDLER: 0
; COMPUTE_PGM_RSRC2:TGID_X_EN: 1
; COMPUTE_PGM_RSRC2:TGID_Y_EN: 0
; COMPUTE_PGM_RSRC2:TGID_Z_EN: 0
; COMPUTE_PGM_RSRC2:TIDIG_COMP_CNT: 0
; COMPUTE_PGM_RSRC3_GFX90A:ACCUM_OFFSET: 0
; COMPUTE_PGM_RSRC3_GFX90A:TG_SPLIT: 0
	.section	.text._ZN7rocprim17ROCPRIM_400000_NS6detail17trampoline_kernelINS0_14default_configENS1_38merge_sort_block_merge_config_selectorIllEEZZNS1_27merge_sort_block_merge_implIS3_PlN6thrust23THRUST_200600_302600_NS10device_ptrIlEEjNS1_19radix_merge_compareILb0ELb0ElNS0_19identity_decomposerEEEEE10hipError_tT0_T1_T2_jT3_P12ihipStream_tbPNSt15iterator_traitsISG_E10value_typeEPNSM_ISH_E10value_typeEPSI_NS1_7vsmem_tEENKUlT_SG_SH_SI_E_clIS7_S7_SB_S7_EESF_SV_SG_SH_SI_EUlSV_E1_NS1_11comp_targetILNS1_3genE10ELNS1_11target_archE1201ELNS1_3gpuE5ELNS1_3repE0EEENS1_36merge_oddeven_config_static_selectorELNS0_4arch9wavefront6targetE1EEEvSH_,"axG",@progbits,_ZN7rocprim17ROCPRIM_400000_NS6detail17trampoline_kernelINS0_14default_configENS1_38merge_sort_block_merge_config_selectorIllEEZZNS1_27merge_sort_block_merge_implIS3_PlN6thrust23THRUST_200600_302600_NS10device_ptrIlEEjNS1_19radix_merge_compareILb0ELb0ElNS0_19identity_decomposerEEEEE10hipError_tT0_T1_T2_jT3_P12ihipStream_tbPNSt15iterator_traitsISG_E10value_typeEPNSM_ISH_E10value_typeEPSI_NS1_7vsmem_tEENKUlT_SG_SH_SI_E_clIS7_S7_SB_S7_EESF_SV_SG_SH_SI_EUlSV_E1_NS1_11comp_targetILNS1_3genE10ELNS1_11target_archE1201ELNS1_3gpuE5ELNS1_3repE0EEENS1_36merge_oddeven_config_static_selectorELNS0_4arch9wavefront6targetE1EEEvSH_,comdat
	.protected	_ZN7rocprim17ROCPRIM_400000_NS6detail17trampoline_kernelINS0_14default_configENS1_38merge_sort_block_merge_config_selectorIllEEZZNS1_27merge_sort_block_merge_implIS3_PlN6thrust23THRUST_200600_302600_NS10device_ptrIlEEjNS1_19radix_merge_compareILb0ELb0ElNS0_19identity_decomposerEEEEE10hipError_tT0_T1_T2_jT3_P12ihipStream_tbPNSt15iterator_traitsISG_E10value_typeEPNSM_ISH_E10value_typeEPSI_NS1_7vsmem_tEENKUlT_SG_SH_SI_E_clIS7_S7_SB_S7_EESF_SV_SG_SH_SI_EUlSV_E1_NS1_11comp_targetILNS1_3genE10ELNS1_11target_archE1201ELNS1_3gpuE5ELNS1_3repE0EEENS1_36merge_oddeven_config_static_selectorELNS0_4arch9wavefront6targetE1EEEvSH_ ; -- Begin function _ZN7rocprim17ROCPRIM_400000_NS6detail17trampoline_kernelINS0_14default_configENS1_38merge_sort_block_merge_config_selectorIllEEZZNS1_27merge_sort_block_merge_implIS3_PlN6thrust23THRUST_200600_302600_NS10device_ptrIlEEjNS1_19radix_merge_compareILb0ELb0ElNS0_19identity_decomposerEEEEE10hipError_tT0_T1_T2_jT3_P12ihipStream_tbPNSt15iterator_traitsISG_E10value_typeEPNSM_ISH_E10value_typeEPSI_NS1_7vsmem_tEENKUlT_SG_SH_SI_E_clIS7_S7_SB_S7_EESF_SV_SG_SH_SI_EUlSV_E1_NS1_11comp_targetILNS1_3genE10ELNS1_11target_archE1201ELNS1_3gpuE5ELNS1_3repE0EEENS1_36merge_oddeven_config_static_selectorELNS0_4arch9wavefront6targetE1EEEvSH_
	.globl	_ZN7rocprim17ROCPRIM_400000_NS6detail17trampoline_kernelINS0_14default_configENS1_38merge_sort_block_merge_config_selectorIllEEZZNS1_27merge_sort_block_merge_implIS3_PlN6thrust23THRUST_200600_302600_NS10device_ptrIlEEjNS1_19radix_merge_compareILb0ELb0ElNS0_19identity_decomposerEEEEE10hipError_tT0_T1_T2_jT3_P12ihipStream_tbPNSt15iterator_traitsISG_E10value_typeEPNSM_ISH_E10value_typeEPSI_NS1_7vsmem_tEENKUlT_SG_SH_SI_E_clIS7_S7_SB_S7_EESF_SV_SG_SH_SI_EUlSV_E1_NS1_11comp_targetILNS1_3genE10ELNS1_11target_archE1201ELNS1_3gpuE5ELNS1_3repE0EEENS1_36merge_oddeven_config_static_selectorELNS0_4arch9wavefront6targetE1EEEvSH_
	.p2align	8
	.type	_ZN7rocprim17ROCPRIM_400000_NS6detail17trampoline_kernelINS0_14default_configENS1_38merge_sort_block_merge_config_selectorIllEEZZNS1_27merge_sort_block_merge_implIS3_PlN6thrust23THRUST_200600_302600_NS10device_ptrIlEEjNS1_19radix_merge_compareILb0ELb0ElNS0_19identity_decomposerEEEEE10hipError_tT0_T1_T2_jT3_P12ihipStream_tbPNSt15iterator_traitsISG_E10value_typeEPNSM_ISH_E10value_typeEPSI_NS1_7vsmem_tEENKUlT_SG_SH_SI_E_clIS7_S7_SB_S7_EESF_SV_SG_SH_SI_EUlSV_E1_NS1_11comp_targetILNS1_3genE10ELNS1_11target_archE1201ELNS1_3gpuE5ELNS1_3repE0EEENS1_36merge_oddeven_config_static_selectorELNS0_4arch9wavefront6targetE1EEEvSH_,@function
_ZN7rocprim17ROCPRIM_400000_NS6detail17trampoline_kernelINS0_14default_configENS1_38merge_sort_block_merge_config_selectorIllEEZZNS1_27merge_sort_block_merge_implIS3_PlN6thrust23THRUST_200600_302600_NS10device_ptrIlEEjNS1_19radix_merge_compareILb0ELb0ElNS0_19identity_decomposerEEEEE10hipError_tT0_T1_T2_jT3_P12ihipStream_tbPNSt15iterator_traitsISG_E10value_typeEPNSM_ISH_E10value_typeEPSI_NS1_7vsmem_tEENKUlT_SG_SH_SI_E_clIS7_S7_SB_S7_EESF_SV_SG_SH_SI_EUlSV_E1_NS1_11comp_targetILNS1_3genE10ELNS1_11target_archE1201ELNS1_3gpuE5ELNS1_3repE0EEENS1_36merge_oddeven_config_static_selectorELNS0_4arch9wavefront6targetE1EEEvSH_: ; @_ZN7rocprim17ROCPRIM_400000_NS6detail17trampoline_kernelINS0_14default_configENS1_38merge_sort_block_merge_config_selectorIllEEZZNS1_27merge_sort_block_merge_implIS3_PlN6thrust23THRUST_200600_302600_NS10device_ptrIlEEjNS1_19radix_merge_compareILb0ELb0ElNS0_19identity_decomposerEEEEE10hipError_tT0_T1_T2_jT3_P12ihipStream_tbPNSt15iterator_traitsISG_E10value_typeEPNSM_ISH_E10value_typeEPSI_NS1_7vsmem_tEENKUlT_SG_SH_SI_E_clIS7_S7_SB_S7_EESF_SV_SG_SH_SI_EUlSV_E1_NS1_11comp_targetILNS1_3genE10ELNS1_11target_archE1201ELNS1_3gpuE5ELNS1_3repE0EEENS1_36merge_oddeven_config_static_selectorELNS0_4arch9wavefront6targetE1EEEvSH_
; %bb.0:
	.section	.rodata,"a",@progbits
	.p2align	6, 0x0
	.amdhsa_kernel _ZN7rocprim17ROCPRIM_400000_NS6detail17trampoline_kernelINS0_14default_configENS1_38merge_sort_block_merge_config_selectorIllEEZZNS1_27merge_sort_block_merge_implIS3_PlN6thrust23THRUST_200600_302600_NS10device_ptrIlEEjNS1_19radix_merge_compareILb0ELb0ElNS0_19identity_decomposerEEEEE10hipError_tT0_T1_T2_jT3_P12ihipStream_tbPNSt15iterator_traitsISG_E10value_typeEPNSM_ISH_E10value_typeEPSI_NS1_7vsmem_tEENKUlT_SG_SH_SI_E_clIS7_S7_SB_S7_EESF_SV_SG_SH_SI_EUlSV_E1_NS1_11comp_targetILNS1_3genE10ELNS1_11target_archE1201ELNS1_3gpuE5ELNS1_3repE0EEENS1_36merge_oddeven_config_static_selectorELNS0_4arch9wavefront6targetE1EEEvSH_
		.amdhsa_group_segment_fixed_size 0
		.amdhsa_private_segment_fixed_size 0
		.amdhsa_kernarg_size 48
		.amdhsa_user_sgpr_count 6
		.amdhsa_user_sgpr_private_segment_buffer 1
		.amdhsa_user_sgpr_dispatch_ptr 0
		.amdhsa_user_sgpr_queue_ptr 0
		.amdhsa_user_sgpr_kernarg_segment_ptr 1
		.amdhsa_user_sgpr_dispatch_id 0
		.amdhsa_user_sgpr_flat_scratch_init 0
		.amdhsa_user_sgpr_kernarg_preload_length 0
		.amdhsa_user_sgpr_kernarg_preload_offset 0
		.amdhsa_user_sgpr_private_segment_size 0
		.amdhsa_uses_dynamic_stack 0
		.amdhsa_system_sgpr_private_segment_wavefront_offset 0
		.amdhsa_system_sgpr_workgroup_id_x 1
		.amdhsa_system_sgpr_workgroup_id_y 0
		.amdhsa_system_sgpr_workgroup_id_z 0
		.amdhsa_system_sgpr_workgroup_info 0
		.amdhsa_system_vgpr_workitem_id 0
		.amdhsa_next_free_vgpr 1
		.amdhsa_next_free_sgpr 0
		.amdhsa_accum_offset 4
		.amdhsa_reserve_vcc 0
		.amdhsa_reserve_flat_scratch 0
		.amdhsa_float_round_mode_32 0
		.amdhsa_float_round_mode_16_64 0
		.amdhsa_float_denorm_mode_32 3
		.amdhsa_float_denorm_mode_16_64 3
		.amdhsa_dx10_clamp 1
		.amdhsa_ieee_mode 1
		.amdhsa_fp16_overflow 0
		.amdhsa_tg_split 0
		.amdhsa_exception_fp_ieee_invalid_op 0
		.amdhsa_exception_fp_denorm_src 0
		.amdhsa_exception_fp_ieee_div_zero 0
		.amdhsa_exception_fp_ieee_overflow 0
		.amdhsa_exception_fp_ieee_underflow 0
		.amdhsa_exception_fp_ieee_inexact 0
		.amdhsa_exception_int_div_zero 0
	.end_amdhsa_kernel
	.section	.text._ZN7rocprim17ROCPRIM_400000_NS6detail17trampoline_kernelINS0_14default_configENS1_38merge_sort_block_merge_config_selectorIllEEZZNS1_27merge_sort_block_merge_implIS3_PlN6thrust23THRUST_200600_302600_NS10device_ptrIlEEjNS1_19radix_merge_compareILb0ELb0ElNS0_19identity_decomposerEEEEE10hipError_tT0_T1_T2_jT3_P12ihipStream_tbPNSt15iterator_traitsISG_E10value_typeEPNSM_ISH_E10value_typeEPSI_NS1_7vsmem_tEENKUlT_SG_SH_SI_E_clIS7_S7_SB_S7_EESF_SV_SG_SH_SI_EUlSV_E1_NS1_11comp_targetILNS1_3genE10ELNS1_11target_archE1201ELNS1_3gpuE5ELNS1_3repE0EEENS1_36merge_oddeven_config_static_selectorELNS0_4arch9wavefront6targetE1EEEvSH_,"axG",@progbits,_ZN7rocprim17ROCPRIM_400000_NS6detail17trampoline_kernelINS0_14default_configENS1_38merge_sort_block_merge_config_selectorIllEEZZNS1_27merge_sort_block_merge_implIS3_PlN6thrust23THRUST_200600_302600_NS10device_ptrIlEEjNS1_19radix_merge_compareILb0ELb0ElNS0_19identity_decomposerEEEEE10hipError_tT0_T1_T2_jT3_P12ihipStream_tbPNSt15iterator_traitsISG_E10value_typeEPNSM_ISH_E10value_typeEPSI_NS1_7vsmem_tEENKUlT_SG_SH_SI_E_clIS7_S7_SB_S7_EESF_SV_SG_SH_SI_EUlSV_E1_NS1_11comp_targetILNS1_3genE10ELNS1_11target_archE1201ELNS1_3gpuE5ELNS1_3repE0EEENS1_36merge_oddeven_config_static_selectorELNS0_4arch9wavefront6targetE1EEEvSH_,comdat
.Lfunc_end1051:
	.size	_ZN7rocprim17ROCPRIM_400000_NS6detail17trampoline_kernelINS0_14default_configENS1_38merge_sort_block_merge_config_selectorIllEEZZNS1_27merge_sort_block_merge_implIS3_PlN6thrust23THRUST_200600_302600_NS10device_ptrIlEEjNS1_19radix_merge_compareILb0ELb0ElNS0_19identity_decomposerEEEEE10hipError_tT0_T1_T2_jT3_P12ihipStream_tbPNSt15iterator_traitsISG_E10value_typeEPNSM_ISH_E10value_typeEPSI_NS1_7vsmem_tEENKUlT_SG_SH_SI_E_clIS7_S7_SB_S7_EESF_SV_SG_SH_SI_EUlSV_E1_NS1_11comp_targetILNS1_3genE10ELNS1_11target_archE1201ELNS1_3gpuE5ELNS1_3repE0EEENS1_36merge_oddeven_config_static_selectorELNS0_4arch9wavefront6targetE1EEEvSH_, .Lfunc_end1051-_ZN7rocprim17ROCPRIM_400000_NS6detail17trampoline_kernelINS0_14default_configENS1_38merge_sort_block_merge_config_selectorIllEEZZNS1_27merge_sort_block_merge_implIS3_PlN6thrust23THRUST_200600_302600_NS10device_ptrIlEEjNS1_19radix_merge_compareILb0ELb0ElNS0_19identity_decomposerEEEEE10hipError_tT0_T1_T2_jT3_P12ihipStream_tbPNSt15iterator_traitsISG_E10value_typeEPNSM_ISH_E10value_typeEPSI_NS1_7vsmem_tEENKUlT_SG_SH_SI_E_clIS7_S7_SB_S7_EESF_SV_SG_SH_SI_EUlSV_E1_NS1_11comp_targetILNS1_3genE10ELNS1_11target_archE1201ELNS1_3gpuE5ELNS1_3repE0EEENS1_36merge_oddeven_config_static_selectorELNS0_4arch9wavefront6targetE1EEEvSH_
                                        ; -- End function
	.section	.AMDGPU.csdata,"",@progbits
; Kernel info:
; codeLenInByte = 0
; NumSgprs: 4
; NumVgprs: 0
; NumAgprs: 0
; TotalNumVgprs: 0
; ScratchSize: 0
; MemoryBound: 0
; FloatMode: 240
; IeeeMode: 1
; LDSByteSize: 0 bytes/workgroup (compile time only)
; SGPRBlocks: 0
; VGPRBlocks: 0
; NumSGPRsForWavesPerEU: 4
; NumVGPRsForWavesPerEU: 1
; AccumOffset: 4
; Occupancy: 8
; WaveLimiterHint : 0
; COMPUTE_PGM_RSRC2:SCRATCH_EN: 0
; COMPUTE_PGM_RSRC2:USER_SGPR: 6
; COMPUTE_PGM_RSRC2:TRAP_HANDLER: 0
; COMPUTE_PGM_RSRC2:TGID_X_EN: 1
; COMPUTE_PGM_RSRC2:TGID_Y_EN: 0
; COMPUTE_PGM_RSRC2:TGID_Z_EN: 0
; COMPUTE_PGM_RSRC2:TIDIG_COMP_CNT: 0
; COMPUTE_PGM_RSRC3_GFX90A:ACCUM_OFFSET: 0
; COMPUTE_PGM_RSRC3_GFX90A:TG_SPLIT: 0
	.section	.text._ZN7rocprim17ROCPRIM_400000_NS6detail17trampoline_kernelINS0_14default_configENS1_38merge_sort_block_merge_config_selectorIllEEZZNS1_27merge_sort_block_merge_implIS3_PlN6thrust23THRUST_200600_302600_NS10device_ptrIlEEjNS1_19radix_merge_compareILb0ELb0ElNS0_19identity_decomposerEEEEE10hipError_tT0_T1_T2_jT3_P12ihipStream_tbPNSt15iterator_traitsISG_E10value_typeEPNSM_ISH_E10value_typeEPSI_NS1_7vsmem_tEENKUlT_SG_SH_SI_E_clIS7_S7_SB_S7_EESF_SV_SG_SH_SI_EUlSV_E1_NS1_11comp_targetILNS1_3genE5ELNS1_11target_archE942ELNS1_3gpuE9ELNS1_3repE0EEENS1_36merge_oddeven_config_static_selectorELNS0_4arch9wavefront6targetE1EEEvSH_,"axG",@progbits,_ZN7rocprim17ROCPRIM_400000_NS6detail17trampoline_kernelINS0_14default_configENS1_38merge_sort_block_merge_config_selectorIllEEZZNS1_27merge_sort_block_merge_implIS3_PlN6thrust23THRUST_200600_302600_NS10device_ptrIlEEjNS1_19radix_merge_compareILb0ELb0ElNS0_19identity_decomposerEEEEE10hipError_tT0_T1_T2_jT3_P12ihipStream_tbPNSt15iterator_traitsISG_E10value_typeEPNSM_ISH_E10value_typeEPSI_NS1_7vsmem_tEENKUlT_SG_SH_SI_E_clIS7_S7_SB_S7_EESF_SV_SG_SH_SI_EUlSV_E1_NS1_11comp_targetILNS1_3genE5ELNS1_11target_archE942ELNS1_3gpuE9ELNS1_3repE0EEENS1_36merge_oddeven_config_static_selectorELNS0_4arch9wavefront6targetE1EEEvSH_,comdat
	.protected	_ZN7rocprim17ROCPRIM_400000_NS6detail17trampoline_kernelINS0_14default_configENS1_38merge_sort_block_merge_config_selectorIllEEZZNS1_27merge_sort_block_merge_implIS3_PlN6thrust23THRUST_200600_302600_NS10device_ptrIlEEjNS1_19radix_merge_compareILb0ELb0ElNS0_19identity_decomposerEEEEE10hipError_tT0_T1_T2_jT3_P12ihipStream_tbPNSt15iterator_traitsISG_E10value_typeEPNSM_ISH_E10value_typeEPSI_NS1_7vsmem_tEENKUlT_SG_SH_SI_E_clIS7_S7_SB_S7_EESF_SV_SG_SH_SI_EUlSV_E1_NS1_11comp_targetILNS1_3genE5ELNS1_11target_archE942ELNS1_3gpuE9ELNS1_3repE0EEENS1_36merge_oddeven_config_static_selectorELNS0_4arch9wavefront6targetE1EEEvSH_ ; -- Begin function _ZN7rocprim17ROCPRIM_400000_NS6detail17trampoline_kernelINS0_14default_configENS1_38merge_sort_block_merge_config_selectorIllEEZZNS1_27merge_sort_block_merge_implIS3_PlN6thrust23THRUST_200600_302600_NS10device_ptrIlEEjNS1_19radix_merge_compareILb0ELb0ElNS0_19identity_decomposerEEEEE10hipError_tT0_T1_T2_jT3_P12ihipStream_tbPNSt15iterator_traitsISG_E10value_typeEPNSM_ISH_E10value_typeEPSI_NS1_7vsmem_tEENKUlT_SG_SH_SI_E_clIS7_S7_SB_S7_EESF_SV_SG_SH_SI_EUlSV_E1_NS1_11comp_targetILNS1_3genE5ELNS1_11target_archE942ELNS1_3gpuE9ELNS1_3repE0EEENS1_36merge_oddeven_config_static_selectorELNS0_4arch9wavefront6targetE1EEEvSH_
	.globl	_ZN7rocprim17ROCPRIM_400000_NS6detail17trampoline_kernelINS0_14default_configENS1_38merge_sort_block_merge_config_selectorIllEEZZNS1_27merge_sort_block_merge_implIS3_PlN6thrust23THRUST_200600_302600_NS10device_ptrIlEEjNS1_19radix_merge_compareILb0ELb0ElNS0_19identity_decomposerEEEEE10hipError_tT0_T1_T2_jT3_P12ihipStream_tbPNSt15iterator_traitsISG_E10value_typeEPNSM_ISH_E10value_typeEPSI_NS1_7vsmem_tEENKUlT_SG_SH_SI_E_clIS7_S7_SB_S7_EESF_SV_SG_SH_SI_EUlSV_E1_NS1_11comp_targetILNS1_3genE5ELNS1_11target_archE942ELNS1_3gpuE9ELNS1_3repE0EEENS1_36merge_oddeven_config_static_selectorELNS0_4arch9wavefront6targetE1EEEvSH_
	.p2align	8
	.type	_ZN7rocprim17ROCPRIM_400000_NS6detail17trampoline_kernelINS0_14default_configENS1_38merge_sort_block_merge_config_selectorIllEEZZNS1_27merge_sort_block_merge_implIS3_PlN6thrust23THRUST_200600_302600_NS10device_ptrIlEEjNS1_19radix_merge_compareILb0ELb0ElNS0_19identity_decomposerEEEEE10hipError_tT0_T1_T2_jT3_P12ihipStream_tbPNSt15iterator_traitsISG_E10value_typeEPNSM_ISH_E10value_typeEPSI_NS1_7vsmem_tEENKUlT_SG_SH_SI_E_clIS7_S7_SB_S7_EESF_SV_SG_SH_SI_EUlSV_E1_NS1_11comp_targetILNS1_3genE5ELNS1_11target_archE942ELNS1_3gpuE9ELNS1_3repE0EEENS1_36merge_oddeven_config_static_selectorELNS0_4arch9wavefront6targetE1EEEvSH_,@function
_ZN7rocprim17ROCPRIM_400000_NS6detail17trampoline_kernelINS0_14default_configENS1_38merge_sort_block_merge_config_selectorIllEEZZNS1_27merge_sort_block_merge_implIS3_PlN6thrust23THRUST_200600_302600_NS10device_ptrIlEEjNS1_19radix_merge_compareILb0ELb0ElNS0_19identity_decomposerEEEEE10hipError_tT0_T1_T2_jT3_P12ihipStream_tbPNSt15iterator_traitsISG_E10value_typeEPNSM_ISH_E10value_typeEPSI_NS1_7vsmem_tEENKUlT_SG_SH_SI_E_clIS7_S7_SB_S7_EESF_SV_SG_SH_SI_EUlSV_E1_NS1_11comp_targetILNS1_3genE5ELNS1_11target_archE942ELNS1_3gpuE9ELNS1_3repE0EEENS1_36merge_oddeven_config_static_selectorELNS0_4arch9wavefront6targetE1EEEvSH_: ; @_ZN7rocprim17ROCPRIM_400000_NS6detail17trampoline_kernelINS0_14default_configENS1_38merge_sort_block_merge_config_selectorIllEEZZNS1_27merge_sort_block_merge_implIS3_PlN6thrust23THRUST_200600_302600_NS10device_ptrIlEEjNS1_19radix_merge_compareILb0ELb0ElNS0_19identity_decomposerEEEEE10hipError_tT0_T1_T2_jT3_P12ihipStream_tbPNSt15iterator_traitsISG_E10value_typeEPNSM_ISH_E10value_typeEPSI_NS1_7vsmem_tEENKUlT_SG_SH_SI_E_clIS7_S7_SB_S7_EESF_SV_SG_SH_SI_EUlSV_E1_NS1_11comp_targetILNS1_3genE5ELNS1_11target_archE942ELNS1_3gpuE9ELNS1_3repE0EEENS1_36merge_oddeven_config_static_selectorELNS0_4arch9wavefront6targetE1EEEvSH_
; %bb.0:
	.section	.rodata,"a",@progbits
	.p2align	6, 0x0
	.amdhsa_kernel _ZN7rocprim17ROCPRIM_400000_NS6detail17trampoline_kernelINS0_14default_configENS1_38merge_sort_block_merge_config_selectorIllEEZZNS1_27merge_sort_block_merge_implIS3_PlN6thrust23THRUST_200600_302600_NS10device_ptrIlEEjNS1_19radix_merge_compareILb0ELb0ElNS0_19identity_decomposerEEEEE10hipError_tT0_T1_T2_jT3_P12ihipStream_tbPNSt15iterator_traitsISG_E10value_typeEPNSM_ISH_E10value_typeEPSI_NS1_7vsmem_tEENKUlT_SG_SH_SI_E_clIS7_S7_SB_S7_EESF_SV_SG_SH_SI_EUlSV_E1_NS1_11comp_targetILNS1_3genE5ELNS1_11target_archE942ELNS1_3gpuE9ELNS1_3repE0EEENS1_36merge_oddeven_config_static_selectorELNS0_4arch9wavefront6targetE1EEEvSH_
		.amdhsa_group_segment_fixed_size 0
		.amdhsa_private_segment_fixed_size 0
		.amdhsa_kernarg_size 48
		.amdhsa_user_sgpr_count 6
		.amdhsa_user_sgpr_private_segment_buffer 1
		.amdhsa_user_sgpr_dispatch_ptr 0
		.amdhsa_user_sgpr_queue_ptr 0
		.amdhsa_user_sgpr_kernarg_segment_ptr 1
		.amdhsa_user_sgpr_dispatch_id 0
		.amdhsa_user_sgpr_flat_scratch_init 0
		.amdhsa_user_sgpr_kernarg_preload_length 0
		.amdhsa_user_sgpr_kernarg_preload_offset 0
		.amdhsa_user_sgpr_private_segment_size 0
		.amdhsa_uses_dynamic_stack 0
		.amdhsa_system_sgpr_private_segment_wavefront_offset 0
		.amdhsa_system_sgpr_workgroup_id_x 1
		.amdhsa_system_sgpr_workgroup_id_y 0
		.amdhsa_system_sgpr_workgroup_id_z 0
		.amdhsa_system_sgpr_workgroup_info 0
		.amdhsa_system_vgpr_workitem_id 0
		.amdhsa_next_free_vgpr 1
		.amdhsa_next_free_sgpr 0
		.amdhsa_accum_offset 4
		.amdhsa_reserve_vcc 0
		.amdhsa_reserve_flat_scratch 0
		.amdhsa_float_round_mode_32 0
		.amdhsa_float_round_mode_16_64 0
		.amdhsa_float_denorm_mode_32 3
		.amdhsa_float_denorm_mode_16_64 3
		.amdhsa_dx10_clamp 1
		.amdhsa_ieee_mode 1
		.amdhsa_fp16_overflow 0
		.amdhsa_tg_split 0
		.amdhsa_exception_fp_ieee_invalid_op 0
		.amdhsa_exception_fp_denorm_src 0
		.amdhsa_exception_fp_ieee_div_zero 0
		.amdhsa_exception_fp_ieee_overflow 0
		.amdhsa_exception_fp_ieee_underflow 0
		.amdhsa_exception_fp_ieee_inexact 0
		.amdhsa_exception_int_div_zero 0
	.end_amdhsa_kernel
	.section	.text._ZN7rocprim17ROCPRIM_400000_NS6detail17trampoline_kernelINS0_14default_configENS1_38merge_sort_block_merge_config_selectorIllEEZZNS1_27merge_sort_block_merge_implIS3_PlN6thrust23THRUST_200600_302600_NS10device_ptrIlEEjNS1_19radix_merge_compareILb0ELb0ElNS0_19identity_decomposerEEEEE10hipError_tT0_T1_T2_jT3_P12ihipStream_tbPNSt15iterator_traitsISG_E10value_typeEPNSM_ISH_E10value_typeEPSI_NS1_7vsmem_tEENKUlT_SG_SH_SI_E_clIS7_S7_SB_S7_EESF_SV_SG_SH_SI_EUlSV_E1_NS1_11comp_targetILNS1_3genE5ELNS1_11target_archE942ELNS1_3gpuE9ELNS1_3repE0EEENS1_36merge_oddeven_config_static_selectorELNS0_4arch9wavefront6targetE1EEEvSH_,"axG",@progbits,_ZN7rocprim17ROCPRIM_400000_NS6detail17trampoline_kernelINS0_14default_configENS1_38merge_sort_block_merge_config_selectorIllEEZZNS1_27merge_sort_block_merge_implIS3_PlN6thrust23THRUST_200600_302600_NS10device_ptrIlEEjNS1_19radix_merge_compareILb0ELb0ElNS0_19identity_decomposerEEEEE10hipError_tT0_T1_T2_jT3_P12ihipStream_tbPNSt15iterator_traitsISG_E10value_typeEPNSM_ISH_E10value_typeEPSI_NS1_7vsmem_tEENKUlT_SG_SH_SI_E_clIS7_S7_SB_S7_EESF_SV_SG_SH_SI_EUlSV_E1_NS1_11comp_targetILNS1_3genE5ELNS1_11target_archE942ELNS1_3gpuE9ELNS1_3repE0EEENS1_36merge_oddeven_config_static_selectorELNS0_4arch9wavefront6targetE1EEEvSH_,comdat
.Lfunc_end1052:
	.size	_ZN7rocprim17ROCPRIM_400000_NS6detail17trampoline_kernelINS0_14default_configENS1_38merge_sort_block_merge_config_selectorIllEEZZNS1_27merge_sort_block_merge_implIS3_PlN6thrust23THRUST_200600_302600_NS10device_ptrIlEEjNS1_19radix_merge_compareILb0ELb0ElNS0_19identity_decomposerEEEEE10hipError_tT0_T1_T2_jT3_P12ihipStream_tbPNSt15iterator_traitsISG_E10value_typeEPNSM_ISH_E10value_typeEPSI_NS1_7vsmem_tEENKUlT_SG_SH_SI_E_clIS7_S7_SB_S7_EESF_SV_SG_SH_SI_EUlSV_E1_NS1_11comp_targetILNS1_3genE5ELNS1_11target_archE942ELNS1_3gpuE9ELNS1_3repE0EEENS1_36merge_oddeven_config_static_selectorELNS0_4arch9wavefront6targetE1EEEvSH_, .Lfunc_end1052-_ZN7rocprim17ROCPRIM_400000_NS6detail17trampoline_kernelINS0_14default_configENS1_38merge_sort_block_merge_config_selectorIllEEZZNS1_27merge_sort_block_merge_implIS3_PlN6thrust23THRUST_200600_302600_NS10device_ptrIlEEjNS1_19radix_merge_compareILb0ELb0ElNS0_19identity_decomposerEEEEE10hipError_tT0_T1_T2_jT3_P12ihipStream_tbPNSt15iterator_traitsISG_E10value_typeEPNSM_ISH_E10value_typeEPSI_NS1_7vsmem_tEENKUlT_SG_SH_SI_E_clIS7_S7_SB_S7_EESF_SV_SG_SH_SI_EUlSV_E1_NS1_11comp_targetILNS1_3genE5ELNS1_11target_archE942ELNS1_3gpuE9ELNS1_3repE0EEENS1_36merge_oddeven_config_static_selectorELNS0_4arch9wavefront6targetE1EEEvSH_
                                        ; -- End function
	.section	.AMDGPU.csdata,"",@progbits
; Kernel info:
; codeLenInByte = 0
; NumSgprs: 4
; NumVgprs: 0
; NumAgprs: 0
; TotalNumVgprs: 0
; ScratchSize: 0
; MemoryBound: 0
; FloatMode: 240
; IeeeMode: 1
; LDSByteSize: 0 bytes/workgroup (compile time only)
; SGPRBlocks: 0
; VGPRBlocks: 0
; NumSGPRsForWavesPerEU: 4
; NumVGPRsForWavesPerEU: 1
; AccumOffset: 4
; Occupancy: 8
; WaveLimiterHint : 0
; COMPUTE_PGM_RSRC2:SCRATCH_EN: 0
; COMPUTE_PGM_RSRC2:USER_SGPR: 6
; COMPUTE_PGM_RSRC2:TRAP_HANDLER: 0
; COMPUTE_PGM_RSRC2:TGID_X_EN: 1
; COMPUTE_PGM_RSRC2:TGID_Y_EN: 0
; COMPUTE_PGM_RSRC2:TGID_Z_EN: 0
; COMPUTE_PGM_RSRC2:TIDIG_COMP_CNT: 0
; COMPUTE_PGM_RSRC3_GFX90A:ACCUM_OFFSET: 0
; COMPUTE_PGM_RSRC3_GFX90A:TG_SPLIT: 0
	.section	.text._ZN7rocprim17ROCPRIM_400000_NS6detail17trampoline_kernelINS0_14default_configENS1_38merge_sort_block_merge_config_selectorIllEEZZNS1_27merge_sort_block_merge_implIS3_PlN6thrust23THRUST_200600_302600_NS10device_ptrIlEEjNS1_19radix_merge_compareILb0ELb0ElNS0_19identity_decomposerEEEEE10hipError_tT0_T1_T2_jT3_P12ihipStream_tbPNSt15iterator_traitsISG_E10value_typeEPNSM_ISH_E10value_typeEPSI_NS1_7vsmem_tEENKUlT_SG_SH_SI_E_clIS7_S7_SB_S7_EESF_SV_SG_SH_SI_EUlSV_E1_NS1_11comp_targetILNS1_3genE4ELNS1_11target_archE910ELNS1_3gpuE8ELNS1_3repE0EEENS1_36merge_oddeven_config_static_selectorELNS0_4arch9wavefront6targetE1EEEvSH_,"axG",@progbits,_ZN7rocprim17ROCPRIM_400000_NS6detail17trampoline_kernelINS0_14default_configENS1_38merge_sort_block_merge_config_selectorIllEEZZNS1_27merge_sort_block_merge_implIS3_PlN6thrust23THRUST_200600_302600_NS10device_ptrIlEEjNS1_19radix_merge_compareILb0ELb0ElNS0_19identity_decomposerEEEEE10hipError_tT0_T1_T2_jT3_P12ihipStream_tbPNSt15iterator_traitsISG_E10value_typeEPNSM_ISH_E10value_typeEPSI_NS1_7vsmem_tEENKUlT_SG_SH_SI_E_clIS7_S7_SB_S7_EESF_SV_SG_SH_SI_EUlSV_E1_NS1_11comp_targetILNS1_3genE4ELNS1_11target_archE910ELNS1_3gpuE8ELNS1_3repE0EEENS1_36merge_oddeven_config_static_selectorELNS0_4arch9wavefront6targetE1EEEvSH_,comdat
	.protected	_ZN7rocprim17ROCPRIM_400000_NS6detail17trampoline_kernelINS0_14default_configENS1_38merge_sort_block_merge_config_selectorIllEEZZNS1_27merge_sort_block_merge_implIS3_PlN6thrust23THRUST_200600_302600_NS10device_ptrIlEEjNS1_19radix_merge_compareILb0ELb0ElNS0_19identity_decomposerEEEEE10hipError_tT0_T1_T2_jT3_P12ihipStream_tbPNSt15iterator_traitsISG_E10value_typeEPNSM_ISH_E10value_typeEPSI_NS1_7vsmem_tEENKUlT_SG_SH_SI_E_clIS7_S7_SB_S7_EESF_SV_SG_SH_SI_EUlSV_E1_NS1_11comp_targetILNS1_3genE4ELNS1_11target_archE910ELNS1_3gpuE8ELNS1_3repE0EEENS1_36merge_oddeven_config_static_selectorELNS0_4arch9wavefront6targetE1EEEvSH_ ; -- Begin function _ZN7rocprim17ROCPRIM_400000_NS6detail17trampoline_kernelINS0_14default_configENS1_38merge_sort_block_merge_config_selectorIllEEZZNS1_27merge_sort_block_merge_implIS3_PlN6thrust23THRUST_200600_302600_NS10device_ptrIlEEjNS1_19radix_merge_compareILb0ELb0ElNS0_19identity_decomposerEEEEE10hipError_tT0_T1_T2_jT3_P12ihipStream_tbPNSt15iterator_traitsISG_E10value_typeEPNSM_ISH_E10value_typeEPSI_NS1_7vsmem_tEENKUlT_SG_SH_SI_E_clIS7_S7_SB_S7_EESF_SV_SG_SH_SI_EUlSV_E1_NS1_11comp_targetILNS1_3genE4ELNS1_11target_archE910ELNS1_3gpuE8ELNS1_3repE0EEENS1_36merge_oddeven_config_static_selectorELNS0_4arch9wavefront6targetE1EEEvSH_
	.globl	_ZN7rocprim17ROCPRIM_400000_NS6detail17trampoline_kernelINS0_14default_configENS1_38merge_sort_block_merge_config_selectorIllEEZZNS1_27merge_sort_block_merge_implIS3_PlN6thrust23THRUST_200600_302600_NS10device_ptrIlEEjNS1_19radix_merge_compareILb0ELb0ElNS0_19identity_decomposerEEEEE10hipError_tT0_T1_T2_jT3_P12ihipStream_tbPNSt15iterator_traitsISG_E10value_typeEPNSM_ISH_E10value_typeEPSI_NS1_7vsmem_tEENKUlT_SG_SH_SI_E_clIS7_S7_SB_S7_EESF_SV_SG_SH_SI_EUlSV_E1_NS1_11comp_targetILNS1_3genE4ELNS1_11target_archE910ELNS1_3gpuE8ELNS1_3repE0EEENS1_36merge_oddeven_config_static_selectorELNS0_4arch9wavefront6targetE1EEEvSH_
	.p2align	8
	.type	_ZN7rocprim17ROCPRIM_400000_NS6detail17trampoline_kernelINS0_14default_configENS1_38merge_sort_block_merge_config_selectorIllEEZZNS1_27merge_sort_block_merge_implIS3_PlN6thrust23THRUST_200600_302600_NS10device_ptrIlEEjNS1_19radix_merge_compareILb0ELb0ElNS0_19identity_decomposerEEEEE10hipError_tT0_T1_T2_jT3_P12ihipStream_tbPNSt15iterator_traitsISG_E10value_typeEPNSM_ISH_E10value_typeEPSI_NS1_7vsmem_tEENKUlT_SG_SH_SI_E_clIS7_S7_SB_S7_EESF_SV_SG_SH_SI_EUlSV_E1_NS1_11comp_targetILNS1_3genE4ELNS1_11target_archE910ELNS1_3gpuE8ELNS1_3repE0EEENS1_36merge_oddeven_config_static_selectorELNS0_4arch9wavefront6targetE1EEEvSH_,@function
_ZN7rocprim17ROCPRIM_400000_NS6detail17trampoline_kernelINS0_14default_configENS1_38merge_sort_block_merge_config_selectorIllEEZZNS1_27merge_sort_block_merge_implIS3_PlN6thrust23THRUST_200600_302600_NS10device_ptrIlEEjNS1_19radix_merge_compareILb0ELb0ElNS0_19identity_decomposerEEEEE10hipError_tT0_T1_T2_jT3_P12ihipStream_tbPNSt15iterator_traitsISG_E10value_typeEPNSM_ISH_E10value_typeEPSI_NS1_7vsmem_tEENKUlT_SG_SH_SI_E_clIS7_S7_SB_S7_EESF_SV_SG_SH_SI_EUlSV_E1_NS1_11comp_targetILNS1_3genE4ELNS1_11target_archE910ELNS1_3gpuE8ELNS1_3repE0EEENS1_36merge_oddeven_config_static_selectorELNS0_4arch9wavefront6targetE1EEEvSH_: ; @_ZN7rocprim17ROCPRIM_400000_NS6detail17trampoline_kernelINS0_14default_configENS1_38merge_sort_block_merge_config_selectorIllEEZZNS1_27merge_sort_block_merge_implIS3_PlN6thrust23THRUST_200600_302600_NS10device_ptrIlEEjNS1_19radix_merge_compareILb0ELb0ElNS0_19identity_decomposerEEEEE10hipError_tT0_T1_T2_jT3_P12ihipStream_tbPNSt15iterator_traitsISG_E10value_typeEPNSM_ISH_E10value_typeEPSI_NS1_7vsmem_tEENKUlT_SG_SH_SI_E_clIS7_S7_SB_S7_EESF_SV_SG_SH_SI_EUlSV_E1_NS1_11comp_targetILNS1_3genE4ELNS1_11target_archE910ELNS1_3gpuE8ELNS1_3repE0EEENS1_36merge_oddeven_config_static_selectorELNS0_4arch9wavefront6targetE1EEEvSH_
; %bb.0:
	s_load_dword s20, s[4:5], 0x20
	s_waitcnt lgkmcnt(0)
	s_lshr_b32 s2, s20, 8
	s_cmp_lg_u32 s6, s2
	s_cselect_b64 s[0:1], -1, 0
	s_cmp_eq_u32 s6, s2
	s_cselect_b64 s[16:17], -1, 0
	s_lshl_b32 s18, s6, 8
	s_sub_i32 s2, s20, s18
	v_cmp_gt_u32_e64 s[2:3], s2, v0
	s_or_b64 s[0:1], s[0:1], s[2:3]
	s_and_saveexec_b64 s[8:9], s[0:1]
	s_cbranch_execz .LBB1053_26
; %bb.1:
	s_load_dwordx8 s[8:15], s[4:5], 0x0
	s_mov_b32 s19, 0
	s_lshl_b64 s[0:1], s[18:19], 3
	v_lshlrev_b32_e32 v1, 3, v0
	s_load_dword s21, s[4:5], 0x24
	s_waitcnt lgkmcnt(0)
	s_add_u32 s22, s8, s0
	s_addc_u32 s23, s9, s1
	s_add_u32 s0, s12, s0
	s_addc_u32 s1, s13, s1
	global_load_dwordx2 v[2:3], v1, s[0:1]
	global_load_dwordx2 v[4:5], v1, s[22:23]
	s_lshr_b32 s0, s21, 8
	s_sub_i32 s1, 0, s0
	s_and_b32 s1, s6, s1
	s_and_b32 s0, s1, s0
	s_lshl_b32 s22, s1, 8
	s_sub_i32 s6, 0, s21
	s_cmp_eq_u32 s0, 0
	s_cselect_b64 s[0:1], -1, 0
	s_and_b64 s[4:5], s[0:1], exec
	s_cselect_b32 s19, s21, s6
	s_add_i32 s19, s19, s22
	s_cmp_lt_u32 s19, s20
	v_add_u32_e32 v6, s18, v0
	s_cbranch_scc1 .LBB1053_6
; %bb.2:
	s_and_b64 vcc, exec, s[16:17]
	s_cbranch_vccz .LBB1053_7
; %bb.3:
	v_cmp_gt_u32_e32 vcc, s20, v6
	s_mov_b64 s[6:7], 0
	s_mov_b64 s[4:5], 0
                                        ; implicit-def: $vgpr0_vgpr1
	s_and_saveexec_b64 s[12:13], vcc
	s_cbranch_execz .LBB1053_5
; %bb.4:
	v_mov_b32_e32 v7, 0
	v_lshlrev_b64 v[8:9], 3, v[6:7]
	v_mov_b32_e32 v1, s15
	v_add_co_u32_e32 v0, vcc, s14, v8
	v_addc_co_u32_e32 v1, vcc, v1, v9, vcc
	v_mov_b32_e32 v7, s11
	v_add_co_u32_e32 v8, vcc, s10, v8
	s_mov_b64 s[4:5], exec
	v_addc_co_u32_e32 v9, vcc, v7, v9, vcc
	s_waitcnt vmcnt(0)
	global_store_dwordx2 v[8:9], v[4:5], off
.LBB1053_5:
	s_or_b64 exec, exec, s[12:13]
	s_and_b64 vcc, exec, s[6:7]
	s_cbranch_vccnz .LBB1053_8
	s_branch .LBB1053_9
.LBB1053_6:
	s_mov_b64 s[4:5], 0
                                        ; implicit-def: $vgpr0_vgpr1
	s_cbranch_execnz .LBB1053_10
	s_branch .LBB1053_24
.LBB1053_7:
	s_mov_b64 s[4:5], 0
                                        ; implicit-def: $vgpr0_vgpr1
	s_cbranch_execz .LBB1053_9
.LBB1053_8:
	v_mov_b32_e32 v7, 0
	v_lshlrev_b64 v[0:1], 3, v[6:7]
	v_mov_b32_e32 v7, s11
	v_add_co_u32_e32 v8, vcc, s10, v0
	v_addc_co_u32_e32 v9, vcc, v7, v1, vcc
	v_mov_b32_e32 v7, s15
	v_add_co_u32_e32 v0, vcc, s14, v0
	v_addc_co_u32_e32 v1, vcc, v7, v1, vcc
	s_or_b64 s[4:5], s[4:5], exec
	s_waitcnt vmcnt(0)
	global_store_dwordx2 v[8:9], v[4:5], off
.LBB1053_9:
	s_branch .LBB1053_24
.LBB1053_10:
	s_min_u32 s12, s19, s20
	s_add_i32 s6, s12, s21
	s_min_u32 s13, s6, s20
	s_min_u32 s6, s22, s12
	s_add_i32 s22, s22, s12
	v_subrev_u32_e32 v0, s22, v6
	v_add_u32_e32 v6, s6, v0
	s_and_b64 vcc, exec, s[16:17]
	s_cbranch_vccz .LBB1053_18
; %bb.11:
                                        ; implicit-def: $vgpr0_vgpr1
	s_and_saveexec_b64 s[6:7], s[2:3]
	s_cbranch_execz .LBB1053_17
; %bb.12:
	s_cmp_ge_u32 s19, s13
	v_mov_b32_e32 v7, s12
	s_cbranch_scc1 .LBB1053_16
; %bb.13:
	s_mov_b64 s[2:3], 0
	v_mov_b32_e32 v8, s13
	v_mov_b32_e32 v7, s12
	;; [unrolled: 1-line block ×4, first 2 shown]
.LBB1053_14:                            ; =>This Inner Loop Header: Depth=1
	v_add_u32_e32 v0, v7, v8
	v_lshrrev_b32_e32 v0, 1, v0
	v_lshlrev_b64 v[10:11], 3, v[0:1]
	v_add_co_u32_e32 v10, vcc, s8, v10
	v_addc_co_u32_e32 v11, vcc, v9, v11, vcc
	global_load_dwordx2 v[10:11], v[10:11], off
	v_add_u32_e32 v12, 1, v0
	s_waitcnt vmcnt(0)
	v_cmp_gt_i64_e32 vcc, v[4:5], v[10:11]
	v_cndmask_b32_e64 v13, 0, 1, vcc
	v_cmp_le_i64_e32 vcc, v[10:11], v[4:5]
	v_cndmask_b32_e64 v10, 0, 1, vcc
	v_cndmask_b32_e64 v10, v10, v13, s[0:1]
	v_and_b32_e32 v10, 1, v10
	v_cmp_eq_u32_e32 vcc, 1, v10
	v_cndmask_b32_e32 v8, v0, v8, vcc
	v_cndmask_b32_e32 v7, v7, v12, vcc
	v_cmp_ge_u32_e32 vcc, v7, v8
	s_or_b64 s[2:3], vcc, s[2:3]
	s_andn2_b64 exec, exec, s[2:3]
	s_cbranch_execnz .LBB1053_14
; %bb.15:
	s_or_b64 exec, exec, s[2:3]
.LBB1053_16:
	v_add_u32_e32 v0, v7, v6
	v_mov_b32_e32 v1, 0
	v_lshlrev_b64 v[0:1], 3, v[0:1]
	v_mov_b32_e32 v7, s11
	v_add_co_u32_e32 v8, vcc, s10, v0
	v_addc_co_u32_e32 v9, vcc, v7, v1, vcc
	v_mov_b32_e32 v7, s15
	v_add_co_u32_e32 v0, vcc, s14, v0
	s_waitcnt vmcnt(0)
	global_store_dwordx2 v[8:9], v[4:5], off
	v_addc_co_u32_e32 v1, vcc, v7, v1, vcc
	s_or_b64 s[4:5], s[4:5], exec
.LBB1053_17:
	s_or_b64 exec, exec, s[6:7]
	s_branch .LBB1053_24
.LBB1053_18:
                                        ; implicit-def: $vgpr0_vgpr1
	s_cbranch_execz .LBB1053_24
; %bb.19:
	s_cmp_ge_u32 s19, s13
	v_mov_b32_e32 v7, s12
	s_cbranch_scc1 .LBB1053_23
; %bb.20:
	s_mov_b64 s[2:3], 0
	v_mov_b32_e32 v8, s13
	v_mov_b32_e32 v7, s12
	v_mov_b32_e32 v1, 0
	v_mov_b32_e32 v9, s9
.LBB1053_21:                            ; =>This Inner Loop Header: Depth=1
	v_add_u32_e32 v0, v7, v8
	v_lshrrev_b32_e32 v0, 1, v0
	v_lshlrev_b64 v[10:11], 3, v[0:1]
	v_add_co_u32_e32 v10, vcc, s8, v10
	v_addc_co_u32_e32 v11, vcc, v9, v11, vcc
	global_load_dwordx2 v[10:11], v[10:11], off
	v_add_u32_e32 v12, 1, v0
	s_waitcnt vmcnt(0)
	v_cmp_gt_i64_e32 vcc, v[4:5], v[10:11]
	v_cndmask_b32_e64 v13, 0, 1, vcc
	v_cmp_le_i64_e32 vcc, v[10:11], v[4:5]
	v_cndmask_b32_e64 v10, 0, 1, vcc
	v_cndmask_b32_e64 v10, v10, v13, s[0:1]
	v_and_b32_e32 v10, 1, v10
	v_cmp_eq_u32_e32 vcc, 1, v10
	v_cndmask_b32_e32 v8, v0, v8, vcc
	v_cndmask_b32_e32 v7, v7, v12, vcc
	v_cmp_ge_u32_e32 vcc, v7, v8
	s_or_b64 s[2:3], vcc, s[2:3]
	s_andn2_b64 exec, exec, s[2:3]
	s_cbranch_execnz .LBB1053_21
; %bb.22:
	s_or_b64 exec, exec, s[2:3]
.LBB1053_23:
	v_add_u32_e32 v0, v7, v6
	v_mov_b32_e32 v1, 0
	v_lshlrev_b64 v[0:1], 3, v[0:1]
	v_mov_b32_e32 v7, s11
	v_add_co_u32_e32 v6, vcc, s10, v0
	v_addc_co_u32_e32 v7, vcc, v7, v1, vcc
	s_waitcnt vmcnt(0)
	global_store_dwordx2 v[6:7], v[4:5], off
	v_mov_b32_e32 v4, s15
	v_add_co_u32_e32 v0, vcc, s14, v0
	v_addc_co_u32_e32 v1, vcc, v4, v1, vcc
	s_mov_b64 s[4:5], -1
.LBB1053_24:
	s_and_b64 exec, exec, s[4:5]
	s_cbranch_execz .LBB1053_26
; %bb.25:
	s_waitcnt vmcnt(1)
	global_store_dwordx2 v[0:1], v[2:3], off
.LBB1053_26:
	s_endpgm
	.section	.rodata,"a",@progbits
	.p2align	6, 0x0
	.amdhsa_kernel _ZN7rocprim17ROCPRIM_400000_NS6detail17trampoline_kernelINS0_14default_configENS1_38merge_sort_block_merge_config_selectorIllEEZZNS1_27merge_sort_block_merge_implIS3_PlN6thrust23THRUST_200600_302600_NS10device_ptrIlEEjNS1_19radix_merge_compareILb0ELb0ElNS0_19identity_decomposerEEEEE10hipError_tT0_T1_T2_jT3_P12ihipStream_tbPNSt15iterator_traitsISG_E10value_typeEPNSM_ISH_E10value_typeEPSI_NS1_7vsmem_tEENKUlT_SG_SH_SI_E_clIS7_S7_SB_S7_EESF_SV_SG_SH_SI_EUlSV_E1_NS1_11comp_targetILNS1_3genE4ELNS1_11target_archE910ELNS1_3gpuE8ELNS1_3repE0EEENS1_36merge_oddeven_config_static_selectorELNS0_4arch9wavefront6targetE1EEEvSH_
		.amdhsa_group_segment_fixed_size 0
		.amdhsa_private_segment_fixed_size 0
		.amdhsa_kernarg_size 48
		.amdhsa_user_sgpr_count 6
		.amdhsa_user_sgpr_private_segment_buffer 1
		.amdhsa_user_sgpr_dispatch_ptr 0
		.amdhsa_user_sgpr_queue_ptr 0
		.amdhsa_user_sgpr_kernarg_segment_ptr 1
		.amdhsa_user_sgpr_dispatch_id 0
		.amdhsa_user_sgpr_flat_scratch_init 0
		.amdhsa_user_sgpr_kernarg_preload_length 0
		.amdhsa_user_sgpr_kernarg_preload_offset 0
		.amdhsa_user_sgpr_private_segment_size 0
		.amdhsa_uses_dynamic_stack 0
		.amdhsa_system_sgpr_private_segment_wavefront_offset 0
		.amdhsa_system_sgpr_workgroup_id_x 1
		.amdhsa_system_sgpr_workgroup_id_y 0
		.amdhsa_system_sgpr_workgroup_id_z 0
		.amdhsa_system_sgpr_workgroup_info 0
		.amdhsa_system_vgpr_workitem_id 0
		.amdhsa_next_free_vgpr 14
		.amdhsa_next_free_sgpr 24
		.amdhsa_accum_offset 16
		.amdhsa_reserve_vcc 1
		.amdhsa_reserve_flat_scratch 0
		.amdhsa_float_round_mode_32 0
		.amdhsa_float_round_mode_16_64 0
		.amdhsa_float_denorm_mode_32 3
		.amdhsa_float_denorm_mode_16_64 3
		.amdhsa_dx10_clamp 1
		.amdhsa_ieee_mode 1
		.amdhsa_fp16_overflow 0
		.amdhsa_tg_split 0
		.amdhsa_exception_fp_ieee_invalid_op 0
		.amdhsa_exception_fp_denorm_src 0
		.amdhsa_exception_fp_ieee_div_zero 0
		.amdhsa_exception_fp_ieee_overflow 0
		.amdhsa_exception_fp_ieee_underflow 0
		.amdhsa_exception_fp_ieee_inexact 0
		.amdhsa_exception_int_div_zero 0
	.end_amdhsa_kernel
	.section	.text._ZN7rocprim17ROCPRIM_400000_NS6detail17trampoline_kernelINS0_14default_configENS1_38merge_sort_block_merge_config_selectorIllEEZZNS1_27merge_sort_block_merge_implIS3_PlN6thrust23THRUST_200600_302600_NS10device_ptrIlEEjNS1_19radix_merge_compareILb0ELb0ElNS0_19identity_decomposerEEEEE10hipError_tT0_T1_T2_jT3_P12ihipStream_tbPNSt15iterator_traitsISG_E10value_typeEPNSM_ISH_E10value_typeEPSI_NS1_7vsmem_tEENKUlT_SG_SH_SI_E_clIS7_S7_SB_S7_EESF_SV_SG_SH_SI_EUlSV_E1_NS1_11comp_targetILNS1_3genE4ELNS1_11target_archE910ELNS1_3gpuE8ELNS1_3repE0EEENS1_36merge_oddeven_config_static_selectorELNS0_4arch9wavefront6targetE1EEEvSH_,"axG",@progbits,_ZN7rocprim17ROCPRIM_400000_NS6detail17trampoline_kernelINS0_14default_configENS1_38merge_sort_block_merge_config_selectorIllEEZZNS1_27merge_sort_block_merge_implIS3_PlN6thrust23THRUST_200600_302600_NS10device_ptrIlEEjNS1_19radix_merge_compareILb0ELb0ElNS0_19identity_decomposerEEEEE10hipError_tT0_T1_T2_jT3_P12ihipStream_tbPNSt15iterator_traitsISG_E10value_typeEPNSM_ISH_E10value_typeEPSI_NS1_7vsmem_tEENKUlT_SG_SH_SI_E_clIS7_S7_SB_S7_EESF_SV_SG_SH_SI_EUlSV_E1_NS1_11comp_targetILNS1_3genE4ELNS1_11target_archE910ELNS1_3gpuE8ELNS1_3repE0EEENS1_36merge_oddeven_config_static_selectorELNS0_4arch9wavefront6targetE1EEEvSH_,comdat
.Lfunc_end1053:
	.size	_ZN7rocprim17ROCPRIM_400000_NS6detail17trampoline_kernelINS0_14default_configENS1_38merge_sort_block_merge_config_selectorIllEEZZNS1_27merge_sort_block_merge_implIS3_PlN6thrust23THRUST_200600_302600_NS10device_ptrIlEEjNS1_19radix_merge_compareILb0ELb0ElNS0_19identity_decomposerEEEEE10hipError_tT0_T1_T2_jT3_P12ihipStream_tbPNSt15iterator_traitsISG_E10value_typeEPNSM_ISH_E10value_typeEPSI_NS1_7vsmem_tEENKUlT_SG_SH_SI_E_clIS7_S7_SB_S7_EESF_SV_SG_SH_SI_EUlSV_E1_NS1_11comp_targetILNS1_3genE4ELNS1_11target_archE910ELNS1_3gpuE8ELNS1_3repE0EEENS1_36merge_oddeven_config_static_selectorELNS0_4arch9wavefront6targetE1EEEvSH_, .Lfunc_end1053-_ZN7rocprim17ROCPRIM_400000_NS6detail17trampoline_kernelINS0_14default_configENS1_38merge_sort_block_merge_config_selectorIllEEZZNS1_27merge_sort_block_merge_implIS3_PlN6thrust23THRUST_200600_302600_NS10device_ptrIlEEjNS1_19radix_merge_compareILb0ELb0ElNS0_19identity_decomposerEEEEE10hipError_tT0_T1_T2_jT3_P12ihipStream_tbPNSt15iterator_traitsISG_E10value_typeEPNSM_ISH_E10value_typeEPSI_NS1_7vsmem_tEENKUlT_SG_SH_SI_E_clIS7_S7_SB_S7_EESF_SV_SG_SH_SI_EUlSV_E1_NS1_11comp_targetILNS1_3genE4ELNS1_11target_archE910ELNS1_3gpuE8ELNS1_3repE0EEENS1_36merge_oddeven_config_static_selectorELNS0_4arch9wavefront6targetE1EEEvSH_
                                        ; -- End function
	.section	.AMDGPU.csdata,"",@progbits
; Kernel info:
; codeLenInByte = 824
; NumSgprs: 28
; NumVgprs: 14
; NumAgprs: 0
; TotalNumVgprs: 14
; ScratchSize: 0
; MemoryBound: 0
; FloatMode: 240
; IeeeMode: 1
; LDSByteSize: 0 bytes/workgroup (compile time only)
; SGPRBlocks: 3
; VGPRBlocks: 1
; NumSGPRsForWavesPerEU: 28
; NumVGPRsForWavesPerEU: 14
; AccumOffset: 16
; Occupancy: 8
; WaveLimiterHint : 0
; COMPUTE_PGM_RSRC2:SCRATCH_EN: 0
; COMPUTE_PGM_RSRC2:USER_SGPR: 6
; COMPUTE_PGM_RSRC2:TRAP_HANDLER: 0
; COMPUTE_PGM_RSRC2:TGID_X_EN: 1
; COMPUTE_PGM_RSRC2:TGID_Y_EN: 0
; COMPUTE_PGM_RSRC2:TGID_Z_EN: 0
; COMPUTE_PGM_RSRC2:TIDIG_COMP_CNT: 0
; COMPUTE_PGM_RSRC3_GFX90A:ACCUM_OFFSET: 3
; COMPUTE_PGM_RSRC3_GFX90A:TG_SPLIT: 0
	.section	.text._ZN7rocprim17ROCPRIM_400000_NS6detail17trampoline_kernelINS0_14default_configENS1_38merge_sort_block_merge_config_selectorIllEEZZNS1_27merge_sort_block_merge_implIS3_PlN6thrust23THRUST_200600_302600_NS10device_ptrIlEEjNS1_19radix_merge_compareILb0ELb0ElNS0_19identity_decomposerEEEEE10hipError_tT0_T1_T2_jT3_P12ihipStream_tbPNSt15iterator_traitsISG_E10value_typeEPNSM_ISH_E10value_typeEPSI_NS1_7vsmem_tEENKUlT_SG_SH_SI_E_clIS7_S7_SB_S7_EESF_SV_SG_SH_SI_EUlSV_E1_NS1_11comp_targetILNS1_3genE3ELNS1_11target_archE908ELNS1_3gpuE7ELNS1_3repE0EEENS1_36merge_oddeven_config_static_selectorELNS0_4arch9wavefront6targetE1EEEvSH_,"axG",@progbits,_ZN7rocprim17ROCPRIM_400000_NS6detail17trampoline_kernelINS0_14default_configENS1_38merge_sort_block_merge_config_selectorIllEEZZNS1_27merge_sort_block_merge_implIS3_PlN6thrust23THRUST_200600_302600_NS10device_ptrIlEEjNS1_19radix_merge_compareILb0ELb0ElNS0_19identity_decomposerEEEEE10hipError_tT0_T1_T2_jT3_P12ihipStream_tbPNSt15iterator_traitsISG_E10value_typeEPNSM_ISH_E10value_typeEPSI_NS1_7vsmem_tEENKUlT_SG_SH_SI_E_clIS7_S7_SB_S7_EESF_SV_SG_SH_SI_EUlSV_E1_NS1_11comp_targetILNS1_3genE3ELNS1_11target_archE908ELNS1_3gpuE7ELNS1_3repE0EEENS1_36merge_oddeven_config_static_selectorELNS0_4arch9wavefront6targetE1EEEvSH_,comdat
	.protected	_ZN7rocprim17ROCPRIM_400000_NS6detail17trampoline_kernelINS0_14default_configENS1_38merge_sort_block_merge_config_selectorIllEEZZNS1_27merge_sort_block_merge_implIS3_PlN6thrust23THRUST_200600_302600_NS10device_ptrIlEEjNS1_19radix_merge_compareILb0ELb0ElNS0_19identity_decomposerEEEEE10hipError_tT0_T1_T2_jT3_P12ihipStream_tbPNSt15iterator_traitsISG_E10value_typeEPNSM_ISH_E10value_typeEPSI_NS1_7vsmem_tEENKUlT_SG_SH_SI_E_clIS7_S7_SB_S7_EESF_SV_SG_SH_SI_EUlSV_E1_NS1_11comp_targetILNS1_3genE3ELNS1_11target_archE908ELNS1_3gpuE7ELNS1_3repE0EEENS1_36merge_oddeven_config_static_selectorELNS0_4arch9wavefront6targetE1EEEvSH_ ; -- Begin function _ZN7rocprim17ROCPRIM_400000_NS6detail17trampoline_kernelINS0_14default_configENS1_38merge_sort_block_merge_config_selectorIllEEZZNS1_27merge_sort_block_merge_implIS3_PlN6thrust23THRUST_200600_302600_NS10device_ptrIlEEjNS1_19radix_merge_compareILb0ELb0ElNS0_19identity_decomposerEEEEE10hipError_tT0_T1_T2_jT3_P12ihipStream_tbPNSt15iterator_traitsISG_E10value_typeEPNSM_ISH_E10value_typeEPSI_NS1_7vsmem_tEENKUlT_SG_SH_SI_E_clIS7_S7_SB_S7_EESF_SV_SG_SH_SI_EUlSV_E1_NS1_11comp_targetILNS1_3genE3ELNS1_11target_archE908ELNS1_3gpuE7ELNS1_3repE0EEENS1_36merge_oddeven_config_static_selectorELNS0_4arch9wavefront6targetE1EEEvSH_
	.globl	_ZN7rocprim17ROCPRIM_400000_NS6detail17trampoline_kernelINS0_14default_configENS1_38merge_sort_block_merge_config_selectorIllEEZZNS1_27merge_sort_block_merge_implIS3_PlN6thrust23THRUST_200600_302600_NS10device_ptrIlEEjNS1_19radix_merge_compareILb0ELb0ElNS0_19identity_decomposerEEEEE10hipError_tT0_T1_T2_jT3_P12ihipStream_tbPNSt15iterator_traitsISG_E10value_typeEPNSM_ISH_E10value_typeEPSI_NS1_7vsmem_tEENKUlT_SG_SH_SI_E_clIS7_S7_SB_S7_EESF_SV_SG_SH_SI_EUlSV_E1_NS1_11comp_targetILNS1_3genE3ELNS1_11target_archE908ELNS1_3gpuE7ELNS1_3repE0EEENS1_36merge_oddeven_config_static_selectorELNS0_4arch9wavefront6targetE1EEEvSH_
	.p2align	8
	.type	_ZN7rocprim17ROCPRIM_400000_NS6detail17trampoline_kernelINS0_14default_configENS1_38merge_sort_block_merge_config_selectorIllEEZZNS1_27merge_sort_block_merge_implIS3_PlN6thrust23THRUST_200600_302600_NS10device_ptrIlEEjNS1_19radix_merge_compareILb0ELb0ElNS0_19identity_decomposerEEEEE10hipError_tT0_T1_T2_jT3_P12ihipStream_tbPNSt15iterator_traitsISG_E10value_typeEPNSM_ISH_E10value_typeEPSI_NS1_7vsmem_tEENKUlT_SG_SH_SI_E_clIS7_S7_SB_S7_EESF_SV_SG_SH_SI_EUlSV_E1_NS1_11comp_targetILNS1_3genE3ELNS1_11target_archE908ELNS1_3gpuE7ELNS1_3repE0EEENS1_36merge_oddeven_config_static_selectorELNS0_4arch9wavefront6targetE1EEEvSH_,@function
_ZN7rocprim17ROCPRIM_400000_NS6detail17trampoline_kernelINS0_14default_configENS1_38merge_sort_block_merge_config_selectorIllEEZZNS1_27merge_sort_block_merge_implIS3_PlN6thrust23THRUST_200600_302600_NS10device_ptrIlEEjNS1_19radix_merge_compareILb0ELb0ElNS0_19identity_decomposerEEEEE10hipError_tT0_T1_T2_jT3_P12ihipStream_tbPNSt15iterator_traitsISG_E10value_typeEPNSM_ISH_E10value_typeEPSI_NS1_7vsmem_tEENKUlT_SG_SH_SI_E_clIS7_S7_SB_S7_EESF_SV_SG_SH_SI_EUlSV_E1_NS1_11comp_targetILNS1_3genE3ELNS1_11target_archE908ELNS1_3gpuE7ELNS1_3repE0EEENS1_36merge_oddeven_config_static_selectorELNS0_4arch9wavefront6targetE1EEEvSH_: ; @_ZN7rocprim17ROCPRIM_400000_NS6detail17trampoline_kernelINS0_14default_configENS1_38merge_sort_block_merge_config_selectorIllEEZZNS1_27merge_sort_block_merge_implIS3_PlN6thrust23THRUST_200600_302600_NS10device_ptrIlEEjNS1_19radix_merge_compareILb0ELb0ElNS0_19identity_decomposerEEEEE10hipError_tT0_T1_T2_jT3_P12ihipStream_tbPNSt15iterator_traitsISG_E10value_typeEPNSM_ISH_E10value_typeEPSI_NS1_7vsmem_tEENKUlT_SG_SH_SI_E_clIS7_S7_SB_S7_EESF_SV_SG_SH_SI_EUlSV_E1_NS1_11comp_targetILNS1_3genE3ELNS1_11target_archE908ELNS1_3gpuE7ELNS1_3repE0EEENS1_36merge_oddeven_config_static_selectorELNS0_4arch9wavefront6targetE1EEEvSH_
; %bb.0:
	.section	.rodata,"a",@progbits
	.p2align	6, 0x0
	.amdhsa_kernel _ZN7rocprim17ROCPRIM_400000_NS6detail17trampoline_kernelINS0_14default_configENS1_38merge_sort_block_merge_config_selectorIllEEZZNS1_27merge_sort_block_merge_implIS3_PlN6thrust23THRUST_200600_302600_NS10device_ptrIlEEjNS1_19radix_merge_compareILb0ELb0ElNS0_19identity_decomposerEEEEE10hipError_tT0_T1_T2_jT3_P12ihipStream_tbPNSt15iterator_traitsISG_E10value_typeEPNSM_ISH_E10value_typeEPSI_NS1_7vsmem_tEENKUlT_SG_SH_SI_E_clIS7_S7_SB_S7_EESF_SV_SG_SH_SI_EUlSV_E1_NS1_11comp_targetILNS1_3genE3ELNS1_11target_archE908ELNS1_3gpuE7ELNS1_3repE0EEENS1_36merge_oddeven_config_static_selectorELNS0_4arch9wavefront6targetE1EEEvSH_
		.amdhsa_group_segment_fixed_size 0
		.amdhsa_private_segment_fixed_size 0
		.amdhsa_kernarg_size 48
		.amdhsa_user_sgpr_count 6
		.amdhsa_user_sgpr_private_segment_buffer 1
		.amdhsa_user_sgpr_dispatch_ptr 0
		.amdhsa_user_sgpr_queue_ptr 0
		.amdhsa_user_sgpr_kernarg_segment_ptr 1
		.amdhsa_user_sgpr_dispatch_id 0
		.amdhsa_user_sgpr_flat_scratch_init 0
		.amdhsa_user_sgpr_kernarg_preload_length 0
		.amdhsa_user_sgpr_kernarg_preload_offset 0
		.amdhsa_user_sgpr_private_segment_size 0
		.amdhsa_uses_dynamic_stack 0
		.amdhsa_system_sgpr_private_segment_wavefront_offset 0
		.amdhsa_system_sgpr_workgroup_id_x 1
		.amdhsa_system_sgpr_workgroup_id_y 0
		.amdhsa_system_sgpr_workgroup_id_z 0
		.amdhsa_system_sgpr_workgroup_info 0
		.amdhsa_system_vgpr_workitem_id 0
		.amdhsa_next_free_vgpr 1
		.amdhsa_next_free_sgpr 0
		.amdhsa_accum_offset 4
		.amdhsa_reserve_vcc 0
		.amdhsa_reserve_flat_scratch 0
		.amdhsa_float_round_mode_32 0
		.amdhsa_float_round_mode_16_64 0
		.amdhsa_float_denorm_mode_32 3
		.amdhsa_float_denorm_mode_16_64 3
		.amdhsa_dx10_clamp 1
		.amdhsa_ieee_mode 1
		.amdhsa_fp16_overflow 0
		.amdhsa_tg_split 0
		.amdhsa_exception_fp_ieee_invalid_op 0
		.amdhsa_exception_fp_denorm_src 0
		.amdhsa_exception_fp_ieee_div_zero 0
		.amdhsa_exception_fp_ieee_overflow 0
		.amdhsa_exception_fp_ieee_underflow 0
		.amdhsa_exception_fp_ieee_inexact 0
		.amdhsa_exception_int_div_zero 0
	.end_amdhsa_kernel
	.section	.text._ZN7rocprim17ROCPRIM_400000_NS6detail17trampoline_kernelINS0_14default_configENS1_38merge_sort_block_merge_config_selectorIllEEZZNS1_27merge_sort_block_merge_implIS3_PlN6thrust23THRUST_200600_302600_NS10device_ptrIlEEjNS1_19radix_merge_compareILb0ELb0ElNS0_19identity_decomposerEEEEE10hipError_tT0_T1_T2_jT3_P12ihipStream_tbPNSt15iterator_traitsISG_E10value_typeEPNSM_ISH_E10value_typeEPSI_NS1_7vsmem_tEENKUlT_SG_SH_SI_E_clIS7_S7_SB_S7_EESF_SV_SG_SH_SI_EUlSV_E1_NS1_11comp_targetILNS1_3genE3ELNS1_11target_archE908ELNS1_3gpuE7ELNS1_3repE0EEENS1_36merge_oddeven_config_static_selectorELNS0_4arch9wavefront6targetE1EEEvSH_,"axG",@progbits,_ZN7rocprim17ROCPRIM_400000_NS6detail17trampoline_kernelINS0_14default_configENS1_38merge_sort_block_merge_config_selectorIllEEZZNS1_27merge_sort_block_merge_implIS3_PlN6thrust23THRUST_200600_302600_NS10device_ptrIlEEjNS1_19radix_merge_compareILb0ELb0ElNS0_19identity_decomposerEEEEE10hipError_tT0_T1_T2_jT3_P12ihipStream_tbPNSt15iterator_traitsISG_E10value_typeEPNSM_ISH_E10value_typeEPSI_NS1_7vsmem_tEENKUlT_SG_SH_SI_E_clIS7_S7_SB_S7_EESF_SV_SG_SH_SI_EUlSV_E1_NS1_11comp_targetILNS1_3genE3ELNS1_11target_archE908ELNS1_3gpuE7ELNS1_3repE0EEENS1_36merge_oddeven_config_static_selectorELNS0_4arch9wavefront6targetE1EEEvSH_,comdat
.Lfunc_end1054:
	.size	_ZN7rocprim17ROCPRIM_400000_NS6detail17trampoline_kernelINS0_14default_configENS1_38merge_sort_block_merge_config_selectorIllEEZZNS1_27merge_sort_block_merge_implIS3_PlN6thrust23THRUST_200600_302600_NS10device_ptrIlEEjNS1_19radix_merge_compareILb0ELb0ElNS0_19identity_decomposerEEEEE10hipError_tT0_T1_T2_jT3_P12ihipStream_tbPNSt15iterator_traitsISG_E10value_typeEPNSM_ISH_E10value_typeEPSI_NS1_7vsmem_tEENKUlT_SG_SH_SI_E_clIS7_S7_SB_S7_EESF_SV_SG_SH_SI_EUlSV_E1_NS1_11comp_targetILNS1_3genE3ELNS1_11target_archE908ELNS1_3gpuE7ELNS1_3repE0EEENS1_36merge_oddeven_config_static_selectorELNS0_4arch9wavefront6targetE1EEEvSH_, .Lfunc_end1054-_ZN7rocprim17ROCPRIM_400000_NS6detail17trampoline_kernelINS0_14default_configENS1_38merge_sort_block_merge_config_selectorIllEEZZNS1_27merge_sort_block_merge_implIS3_PlN6thrust23THRUST_200600_302600_NS10device_ptrIlEEjNS1_19radix_merge_compareILb0ELb0ElNS0_19identity_decomposerEEEEE10hipError_tT0_T1_T2_jT3_P12ihipStream_tbPNSt15iterator_traitsISG_E10value_typeEPNSM_ISH_E10value_typeEPSI_NS1_7vsmem_tEENKUlT_SG_SH_SI_E_clIS7_S7_SB_S7_EESF_SV_SG_SH_SI_EUlSV_E1_NS1_11comp_targetILNS1_3genE3ELNS1_11target_archE908ELNS1_3gpuE7ELNS1_3repE0EEENS1_36merge_oddeven_config_static_selectorELNS0_4arch9wavefront6targetE1EEEvSH_
                                        ; -- End function
	.section	.AMDGPU.csdata,"",@progbits
; Kernel info:
; codeLenInByte = 0
; NumSgprs: 4
; NumVgprs: 0
; NumAgprs: 0
; TotalNumVgprs: 0
; ScratchSize: 0
; MemoryBound: 0
; FloatMode: 240
; IeeeMode: 1
; LDSByteSize: 0 bytes/workgroup (compile time only)
; SGPRBlocks: 0
; VGPRBlocks: 0
; NumSGPRsForWavesPerEU: 4
; NumVGPRsForWavesPerEU: 1
; AccumOffset: 4
; Occupancy: 8
; WaveLimiterHint : 0
; COMPUTE_PGM_RSRC2:SCRATCH_EN: 0
; COMPUTE_PGM_RSRC2:USER_SGPR: 6
; COMPUTE_PGM_RSRC2:TRAP_HANDLER: 0
; COMPUTE_PGM_RSRC2:TGID_X_EN: 1
; COMPUTE_PGM_RSRC2:TGID_Y_EN: 0
; COMPUTE_PGM_RSRC2:TGID_Z_EN: 0
; COMPUTE_PGM_RSRC2:TIDIG_COMP_CNT: 0
; COMPUTE_PGM_RSRC3_GFX90A:ACCUM_OFFSET: 0
; COMPUTE_PGM_RSRC3_GFX90A:TG_SPLIT: 0
	.section	.text._ZN7rocprim17ROCPRIM_400000_NS6detail17trampoline_kernelINS0_14default_configENS1_38merge_sort_block_merge_config_selectorIllEEZZNS1_27merge_sort_block_merge_implIS3_PlN6thrust23THRUST_200600_302600_NS10device_ptrIlEEjNS1_19radix_merge_compareILb0ELb0ElNS0_19identity_decomposerEEEEE10hipError_tT0_T1_T2_jT3_P12ihipStream_tbPNSt15iterator_traitsISG_E10value_typeEPNSM_ISH_E10value_typeEPSI_NS1_7vsmem_tEENKUlT_SG_SH_SI_E_clIS7_S7_SB_S7_EESF_SV_SG_SH_SI_EUlSV_E1_NS1_11comp_targetILNS1_3genE2ELNS1_11target_archE906ELNS1_3gpuE6ELNS1_3repE0EEENS1_36merge_oddeven_config_static_selectorELNS0_4arch9wavefront6targetE1EEEvSH_,"axG",@progbits,_ZN7rocprim17ROCPRIM_400000_NS6detail17trampoline_kernelINS0_14default_configENS1_38merge_sort_block_merge_config_selectorIllEEZZNS1_27merge_sort_block_merge_implIS3_PlN6thrust23THRUST_200600_302600_NS10device_ptrIlEEjNS1_19radix_merge_compareILb0ELb0ElNS0_19identity_decomposerEEEEE10hipError_tT0_T1_T2_jT3_P12ihipStream_tbPNSt15iterator_traitsISG_E10value_typeEPNSM_ISH_E10value_typeEPSI_NS1_7vsmem_tEENKUlT_SG_SH_SI_E_clIS7_S7_SB_S7_EESF_SV_SG_SH_SI_EUlSV_E1_NS1_11comp_targetILNS1_3genE2ELNS1_11target_archE906ELNS1_3gpuE6ELNS1_3repE0EEENS1_36merge_oddeven_config_static_selectorELNS0_4arch9wavefront6targetE1EEEvSH_,comdat
	.protected	_ZN7rocprim17ROCPRIM_400000_NS6detail17trampoline_kernelINS0_14default_configENS1_38merge_sort_block_merge_config_selectorIllEEZZNS1_27merge_sort_block_merge_implIS3_PlN6thrust23THRUST_200600_302600_NS10device_ptrIlEEjNS1_19radix_merge_compareILb0ELb0ElNS0_19identity_decomposerEEEEE10hipError_tT0_T1_T2_jT3_P12ihipStream_tbPNSt15iterator_traitsISG_E10value_typeEPNSM_ISH_E10value_typeEPSI_NS1_7vsmem_tEENKUlT_SG_SH_SI_E_clIS7_S7_SB_S7_EESF_SV_SG_SH_SI_EUlSV_E1_NS1_11comp_targetILNS1_3genE2ELNS1_11target_archE906ELNS1_3gpuE6ELNS1_3repE0EEENS1_36merge_oddeven_config_static_selectorELNS0_4arch9wavefront6targetE1EEEvSH_ ; -- Begin function _ZN7rocprim17ROCPRIM_400000_NS6detail17trampoline_kernelINS0_14default_configENS1_38merge_sort_block_merge_config_selectorIllEEZZNS1_27merge_sort_block_merge_implIS3_PlN6thrust23THRUST_200600_302600_NS10device_ptrIlEEjNS1_19radix_merge_compareILb0ELb0ElNS0_19identity_decomposerEEEEE10hipError_tT0_T1_T2_jT3_P12ihipStream_tbPNSt15iterator_traitsISG_E10value_typeEPNSM_ISH_E10value_typeEPSI_NS1_7vsmem_tEENKUlT_SG_SH_SI_E_clIS7_S7_SB_S7_EESF_SV_SG_SH_SI_EUlSV_E1_NS1_11comp_targetILNS1_3genE2ELNS1_11target_archE906ELNS1_3gpuE6ELNS1_3repE0EEENS1_36merge_oddeven_config_static_selectorELNS0_4arch9wavefront6targetE1EEEvSH_
	.globl	_ZN7rocprim17ROCPRIM_400000_NS6detail17trampoline_kernelINS0_14default_configENS1_38merge_sort_block_merge_config_selectorIllEEZZNS1_27merge_sort_block_merge_implIS3_PlN6thrust23THRUST_200600_302600_NS10device_ptrIlEEjNS1_19radix_merge_compareILb0ELb0ElNS0_19identity_decomposerEEEEE10hipError_tT0_T1_T2_jT3_P12ihipStream_tbPNSt15iterator_traitsISG_E10value_typeEPNSM_ISH_E10value_typeEPSI_NS1_7vsmem_tEENKUlT_SG_SH_SI_E_clIS7_S7_SB_S7_EESF_SV_SG_SH_SI_EUlSV_E1_NS1_11comp_targetILNS1_3genE2ELNS1_11target_archE906ELNS1_3gpuE6ELNS1_3repE0EEENS1_36merge_oddeven_config_static_selectorELNS0_4arch9wavefront6targetE1EEEvSH_
	.p2align	8
	.type	_ZN7rocprim17ROCPRIM_400000_NS6detail17trampoline_kernelINS0_14default_configENS1_38merge_sort_block_merge_config_selectorIllEEZZNS1_27merge_sort_block_merge_implIS3_PlN6thrust23THRUST_200600_302600_NS10device_ptrIlEEjNS1_19radix_merge_compareILb0ELb0ElNS0_19identity_decomposerEEEEE10hipError_tT0_T1_T2_jT3_P12ihipStream_tbPNSt15iterator_traitsISG_E10value_typeEPNSM_ISH_E10value_typeEPSI_NS1_7vsmem_tEENKUlT_SG_SH_SI_E_clIS7_S7_SB_S7_EESF_SV_SG_SH_SI_EUlSV_E1_NS1_11comp_targetILNS1_3genE2ELNS1_11target_archE906ELNS1_3gpuE6ELNS1_3repE0EEENS1_36merge_oddeven_config_static_selectorELNS0_4arch9wavefront6targetE1EEEvSH_,@function
_ZN7rocprim17ROCPRIM_400000_NS6detail17trampoline_kernelINS0_14default_configENS1_38merge_sort_block_merge_config_selectorIllEEZZNS1_27merge_sort_block_merge_implIS3_PlN6thrust23THRUST_200600_302600_NS10device_ptrIlEEjNS1_19radix_merge_compareILb0ELb0ElNS0_19identity_decomposerEEEEE10hipError_tT0_T1_T2_jT3_P12ihipStream_tbPNSt15iterator_traitsISG_E10value_typeEPNSM_ISH_E10value_typeEPSI_NS1_7vsmem_tEENKUlT_SG_SH_SI_E_clIS7_S7_SB_S7_EESF_SV_SG_SH_SI_EUlSV_E1_NS1_11comp_targetILNS1_3genE2ELNS1_11target_archE906ELNS1_3gpuE6ELNS1_3repE0EEENS1_36merge_oddeven_config_static_selectorELNS0_4arch9wavefront6targetE1EEEvSH_: ; @_ZN7rocprim17ROCPRIM_400000_NS6detail17trampoline_kernelINS0_14default_configENS1_38merge_sort_block_merge_config_selectorIllEEZZNS1_27merge_sort_block_merge_implIS3_PlN6thrust23THRUST_200600_302600_NS10device_ptrIlEEjNS1_19radix_merge_compareILb0ELb0ElNS0_19identity_decomposerEEEEE10hipError_tT0_T1_T2_jT3_P12ihipStream_tbPNSt15iterator_traitsISG_E10value_typeEPNSM_ISH_E10value_typeEPSI_NS1_7vsmem_tEENKUlT_SG_SH_SI_E_clIS7_S7_SB_S7_EESF_SV_SG_SH_SI_EUlSV_E1_NS1_11comp_targetILNS1_3genE2ELNS1_11target_archE906ELNS1_3gpuE6ELNS1_3repE0EEENS1_36merge_oddeven_config_static_selectorELNS0_4arch9wavefront6targetE1EEEvSH_
; %bb.0:
	.section	.rodata,"a",@progbits
	.p2align	6, 0x0
	.amdhsa_kernel _ZN7rocprim17ROCPRIM_400000_NS6detail17trampoline_kernelINS0_14default_configENS1_38merge_sort_block_merge_config_selectorIllEEZZNS1_27merge_sort_block_merge_implIS3_PlN6thrust23THRUST_200600_302600_NS10device_ptrIlEEjNS1_19radix_merge_compareILb0ELb0ElNS0_19identity_decomposerEEEEE10hipError_tT0_T1_T2_jT3_P12ihipStream_tbPNSt15iterator_traitsISG_E10value_typeEPNSM_ISH_E10value_typeEPSI_NS1_7vsmem_tEENKUlT_SG_SH_SI_E_clIS7_S7_SB_S7_EESF_SV_SG_SH_SI_EUlSV_E1_NS1_11comp_targetILNS1_3genE2ELNS1_11target_archE906ELNS1_3gpuE6ELNS1_3repE0EEENS1_36merge_oddeven_config_static_selectorELNS0_4arch9wavefront6targetE1EEEvSH_
		.amdhsa_group_segment_fixed_size 0
		.amdhsa_private_segment_fixed_size 0
		.amdhsa_kernarg_size 48
		.amdhsa_user_sgpr_count 6
		.amdhsa_user_sgpr_private_segment_buffer 1
		.amdhsa_user_sgpr_dispatch_ptr 0
		.amdhsa_user_sgpr_queue_ptr 0
		.amdhsa_user_sgpr_kernarg_segment_ptr 1
		.amdhsa_user_sgpr_dispatch_id 0
		.amdhsa_user_sgpr_flat_scratch_init 0
		.amdhsa_user_sgpr_kernarg_preload_length 0
		.amdhsa_user_sgpr_kernarg_preload_offset 0
		.amdhsa_user_sgpr_private_segment_size 0
		.amdhsa_uses_dynamic_stack 0
		.amdhsa_system_sgpr_private_segment_wavefront_offset 0
		.amdhsa_system_sgpr_workgroup_id_x 1
		.amdhsa_system_sgpr_workgroup_id_y 0
		.amdhsa_system_sgpr_workgroup_id_z 0
		.amdhsa_system_sgpr_workgroup_info 0
		.amdhsa_system_vgpr_workitem_id 0
		.amdhsa_next_free_vgpr 1
		.amdhsa_next_free_sgpr 0
		.amdhsa_accum_offset 4
		.amdhsa_reserve_vcc 0
		.amdhsa_reserve_flat_scratch 0
		.amdhsa_float_round_mode_32 0
		.amdhsa_float_round_mode_16_64 0
		.amdhsa_float_denorm_mode_32 3
		.amdhsa_float_denorm_mode_16_64 3
		.amdhsa_dx10_clamp 1
		.amdhsa_ieee_mode 1
		.amdhsa_fp16_overflow 0
		.amdhsa_tg_split 0
		.amdhsa_exception_fp_ieee_invalid_op 0
		.amdhsa_exception_fp_denorm_src 0
		.amdhsa_exception_fp_ieee_div_zero 0
		.amdhsa_exception_fp_ieee_overflow 0
		.amdhsa_exception_fp_ieee_underflow 0
		.amdhsa_exception_fp_ieee_inexact 0
		.amdhsa_exception_int_div_zero 0
	.end_amdhsa_kernel
	.section	.text._ZN7rocprim17ROCPRIM_400000_NS6detail17trampoline_kernelINS0_14default_configENS1_38merge_sort_block_merge_config_selectorIllEEZZNS1_27merge_sort_block_merge_implIS3_PlN6thrust23THRUST_200600_302600_NS10device_ptrIlEEjNS1_19radix_merge_compareILb0ELb0ElNS0_19identity_decomposerEEEEE10hipError_tT0_T1_T2_jT3_P12ihipStream_tbPNSt15iterator_traitsISG_E10value_typeEPNSM_ISH_E10value_typeEPSI_NS1_7vsmem_tEENKUlT_SG_SH_SI_E_clIS7_S7_SB_S7_EESF_SV_SG_SH_SI_EUlSV_E1_NS1_11comp_targetILNS1_3genE2ELNS1_11target_archE906ELNS1_3gpuE6ELNS1_3repE0EEENS1_36merge_oddeven_config_static_selectorELNS0_4arch9wavefront6targetE1EEEvSH_,"axG",@progbits,_ZN7rocprim17ROCPRIM_400000_NS6detail17trampoline_kernelINS0_14default_configENS1_38merge_sort_block_merge_config_selectorIllEEZZNS1_27merge_sort_block_merge_implIS3_PlN6thrust23THRUST_200600_302600_NS10device_ptrIlEEjNS1_19radix_merge_compareILb0ELb0ElNS0_19identity_decomposerEEEEE10hipError_tT0_T1_T2_jT3_P12ihipStream_tbPNSt15iterator_traitsISG_E10value_typeEPNSM_ISH_E10value_typeEPSI_NS1_7vsmem_tEENKUlT_SG_SH_SI_E_clIS7_S7_SB_S7_EESF_SV_SG_SH_SI_EUlSV_E1_NS1_11comp_targetILNS1_3genE2ELNS1_11target_archE906ELNS1_3gpuE6ELNS1_3repE0EEENS1_36merge_oddeven_config_static_selectorELNS0_4arch9wavefront6targetE1EEEvSH_,comdat
.Lfunc_end1055:
	.size	_ZN7rocprim17ROCPRIM_400000_NS6detail17trampoline_kernelINS0_14default_configENS1_38merge_sort_block_merge_config_selectorIllEEZZNS1_27merge_sort_block_merge_implIS3_PlN6thrust23THRUST_200600_302600_NS10device_ptrIlEEjNS1_19radix_merge_compareILb0ELb0ElNS0_19identity_decomposerEEEEE10hipError_tT0_T1_T2_jT3_P12ihipStream_tbPNSt15iterator_traitsISG_E10value_typeEPNSM_ISH_E10value_typeEPSI_NS1_7vsmem_tEENKUlT_SG_SH_SI_E_clIS7_S7_SB_S7_EESF_SV_SG_SH_SI_EUlSV_E1_NS1_11comp_targetILNS1_3genE2ELNS1_11target_archE906ELNS1_3gpuE6ELNS1_3repE0EEENS1_36merge_oddeven_config_static_selectorELNS0_4arch9wavefront6targetE1EEEvSH_, .Lfunc_end1055-_ZN7rocprim17ROCPRIM_400000_NS6detail17trampoline_kernelINS0_14default_configENS1_38merge_sort_block_merge_config_selectorIllEEZZNS1_27merge_sort_block_merge_implIS3_PlN6thrust23THRUST_200600_302600_NS10device_ptrIlEEjNS1_19radix_merge_compareILb0ELb0ElNS0_19identity_decomposerEEEEE10hipError_tT0_T1_T2_jT3_P12ihipStream_tbPNSt15iterator_traitsISG_E10value_typeEPNSM_ISH_E10value_typeEPSI_NS1_7vsmem_tEENKUlT_SG_SH_SI_E_clIS7_S7_SB_S7_EESF_SV_SG_SH_SI_EUlSV_E1_NS1_11comp_targetILNS1_3genE2ELNS1_11target_archE906ELNS1_3gpuE6ELNS1_3repE0EEENS1_36merge_oddeven_config_static_selectorELNS0_4arch9wavefront6targetE1EEEvSH_
                                        ; -- End function
	.section	.AMDGPU.csdata,"",@progbits
; Kernel info:
; codeLenInByte = 0
; NumSgprs: 4
; NumVgprs: 0
; NumAgprs: 0
; TotalNumVgprs: 0
; ScratchSize: 0
; MemoryBound: 0
; FloatMode: 240
; IeeeMode: 1
; LDSByteSize: 0 bytes/workgroup (compile time only)
; SGPRBlocks: 0
; VGPRBlocks: 0
; NumSGPRsForWavesPerEU: 4
; NumVGPRsForWavesPerEU: 1
; AccumOffset: 4
; Occupancy: 8
; WaveLimiterHint : 0
; COMPUTE_PGM_RSRC2:SCRATCH_EN: 0
; COMPUTE_PGM_RSRC2:USER_SGPR: 6
; COMPUTE_PGM_RSRC2:TRAP_HANDLER: 0
; COMPUTE_PGM_RSRC2:TGID_X_EN: 1
; COMPUTE_PGM_RSRC2:TGID_Y_EN: 0
; COMPUTE_PGM_RSRC2:TGID_Z_EN: 0
; COMPUTE_PGM_RSRC2:TIDIG_COMP_CNT: 0
; COMPUTE_PGM_RSRC3_GFX90A:ACCUM_OFFSET: 0
; COMPUTE_PGM_RSRC3_GFX90A:TG_SPLIT: 0
	.section	.text._ZN7rocprim17ROCPRIM_400000_NS6detail17trampoline_kernelINS0_14default_configENS1_38merge_sort_block_merge_config_selectorIllEEZZNS1_27merge_sort_block_merge_implIS3_PlN6thrust23THRUST_200600_302600_NS10device_ptrIlEEjNS1_19radix_merge_compareILb0ELb0ElNS0_19identity_decomposerEEEEE10hipError_tT0_T1_T2_jT3_P12ihipStream_tbPNSt15iterator_traitsISG_E10value_typeEPNSM_ISH_E10value_typeEPSI_NS1_7vsmem_tEENKUlT_SG_SH_SI_E_clIS7_S7_SB_S7_EESF_SV_SG_SH_SI_EUlSV_E1_NS1_11comp_targetILNS1_3genE9ELNS1_11target_archE1100ELNS1_3gpuE3ELNS1_3repE0EEENS1_36merge_oddeven_config_static_selectorELNS0_4arch9wavefront6targetE1EEEvSH_,"axG",@progbits,_ZN7rocprim17ROCPRIM_400000_NS6detail17trampoline_kernelINS0_14default_configENS1_38merge_sort_block_merge_config_selectorIllEEZZNS1_27merge_sort_block_merge_implIS3_PlN6thrust23THRUST_200600_302600_NS10device_ptrIlEEjNS1_19radix_merge_compareILb0ELb0ElNS0_19identity_decomposerEEEEE10hipError_tT0_T1_T2_jT3_P12ihipStream_tbPNSt15iterator_traitsISG_E10value_typeEPNSM_ISH_E10value_typeEPSI_NS1_7vsmem_tEENKUlT_SG_SH_SI_E_clIS7_S7_SB_S7_EESF_SV_SG_SH_SI_EUlSV_E1_NS1_11comp_targetILNS1_3genE9ELNS1_11target_archE1100ELNS1_3gpuE3ELNS1_3repE0EEENS1_36merge_oddeven_config_static_selectorELNS0_4arch9wavefront6targetE1EEEvSH_,comdat
	.protected	_ZN7rocprim17ROCPRIM_400000_NS6detail17trampoline_kernelINS0_14default_configENS1_38merge_sort_block_merge_config_selectorIllEEZZNS1_27merge_sort_block_merge_implIS3_PlN6thrust23THRUST_200600_302600_NS10device_ptrIlEEjNS1_19radix_merge_compareILb0ELb0ElNS0_19identity_decomposerEEEEE10hipError_tT0_T1_T2_jT3_P12ihipStream_tbPNSt15iterator_traitsISG_E10value_typeEPNSM_ISH_E10value_typeEPSI_NS1_7vsmem_tEENKUlT_SG_SH_SI_E_clIS7_S7_SB_S7_EESF_SV_SG_SH_SI_EUlSV_E1_NS1_11comp_targetILNS1_3genE9ELNS1_11target_archE1100ELNS1_3gpuE3ELNS1_3repE0EEENS1_36merge_oddeven_config_static_selectorELNS0_4arch9wavefront6targetE1EEEvSH_ ; -- Begin function _ZN7rocprim17ROCPRIM_400000_NS6detail17trampoline_kernelINS0_14default_configENS1_38merge_sort_block_merge_config_selectorIllEEZZNS1_27merge_sort_block_merge_implIS3_PlN6thrust23THRUST_200600_302600_NS10device_ptrIlEEjNS1_19radix_merge_compareILb0ELb0ElNS0_19identity_decomposerEEEEE10hipError_tT0_T1_T2_jT3_P12ihipStream_tbPNSt15iterator_traitsISG_E10value_typeEPNSM_ISH_E10value_typeEPSI_NS1_7vsmem_tEENKUlT_SG_SH_SI_E_clIS7_S7_SB_S7_EESF_SV_SG_SH_SI_EUlSV_E1_NS1_11comp_targetILNS1_3genE9ELNS1_11target_archE1100ELNS1_3gpuE3ELNS1_3repE0EEENS1_36merge_oddeven_config_static_selectorELNS0_4arch9wavefront6targetE1EEEvSH_
	.globl	_ZN7rocprim17ROCPRIM_400000_NS6detail17trampoline_kernelINS0_14default_configENS1_38merge_sort_block_merge_config_selectorIllEEZZNS1_27merge_sort_block_merge_implIS3_PlN6thrust23THRUST_200600_302600_NS10device_ptrIlEEjNS1_19radix_merge_compareILb0ELb0ElNS0_19identity_decomposerEEEEE10hipError_tT0_T1_T2_jT3_P12ihipStream_tbPNSt15iterator_traitsISG_E10value_typeEPNSM_ISH_E10value_typeEPSI_NS1_7vsmem_tEENKUlT_SG_SH_SI_E_clIS7_S7_SB_S7_EESF_SV_SG_SH_SI_EUlSV_E1_NS1_11comp_targetILNS1_3genE9ELNS1_11target_archE1100ELNS1_3gpuE3ELNS1_3repE0EEENS1_36merge_oddeven_config_static_selectorELNS0_4arch9wavefront6targetE1EEEvSH_
	.p2align	8
	.type	_ZN7rocprim17ROCPRIM_400000_NS6detail17trampoline_kernelINS0_14default_configENS1_38merge_sort_block_merge_config_selectorIllEEZZNS1_27merge_sort_block_merge_implIS3_PlN6thrust23THRUST_200600_302600_NS10device_ptrIlEEjNS1_19radix_merge_compareILb0ELb0ElNS0_19identity_decomposerEEEEE10hipError_tT0_T1_T2_jT3_P12ihipStream_tbPNSt15iterator_traitsISG_E10value_typeEPNSM_ISH_E10value_typeEPSI_NS1_7vsmem_tEENKUlT_SG_SH_SI_E_clIS7_S7_SB_S7_EESF_SV_SG_SH_SI_EUlSV_E1_NS1_11comp_targetILNS1_3genE9ELNS1_11target_archE1100ELNS1_3gpuE3ELNS1_3repE0EEENS1_36merge_oddeven_config_static_selectorELNS0_4arch9wavefront6targetE1EEEvSH_,@function
_ZN7rocprim17ROCPRIM_400000_NS6detail17trampoline_kernelINS0_14default_configENS1_38merge_sort_block_merge_config_selectorIllEEZZNS1_27merge_sort_block_merge_implIS3_PlN6thrust23THRUST_200600_302600_NS10device_ptrIlEEjNS1_19radix_merge_compareILb0ELb0ElNS0_19identity_decomposerEEEEE10hipError_tT0_T1_T2_jT3_P12ihipStream_tbPNSt15iterator_traitsISG_E10value_typeEPNSM_ISH_E10value_typeEPSI_NS1_7vsmem_tEENKUlT_SG_SH_SI_E_clIS7_S7_SB_S7_EESF_SV_SG_SH_SI_EUlSV_E1_NS1_11comp_targetILNS1_3genE9ELNS1_11target_archE1100ELNS1_3gpuE3ELNS1_3repE0EEENS1_36merge_oddeven_config_static_selectorELNS0_4arch9wavefront6targetE1EEEvSH_: ; @_ZN7rocprim17ROCPRIM_400000_NS6detail17trampoline_kernelINS0_14default_configENS1_38merge_sort_block_merge_config_selectorIllEEZZNS1_27merge_sort_block_merge_implIS3_PlN6thrust23THRUST_200600_302600_NS10device_ptrIlEEjNS1_19radix_merge_compareILb0ELb0ElNS0_19identity_decomposerEEEEE10hipError_tT0_T1_T2_jT3_P12ihipStream_tbPNSt15iterator_traitsISG_E10value_typeEPNSM_ISH_E10value_typeEPSI_NS1_7vsmem_tEENKUlT_SG_SH_SI_E_clIS7_S7_SB_S7_EESF_SV_SG_SH_SI_EUlSV_E1_NS1_11comp_targetILNS1_3genE9ELNS1_11target_archE1100ELNS1_3gpuE3ELNS1_3repE0EEENS1_36merge_oddeven_config_static_selectorELNS0_4arch9wavefront6targetE1EEEvSH_
; %bb.0:
	.section	.rodata,"a",@progbits
	.p2align	6, 0x0
	.amdhsa_kernel _ZN7rocprim17ROCPRIM_400000_NS6detail17trampoline_kernelINS0_14default_configENS1_38merge_sort_block_merge_config_selectorIllEEZZNS1_27merge_sort_block_merge_implIS3_PlN6thrust23THRUST_200600_302600_NS10device_ptrIlEEjNS1_19radix_merge_compareILb0ELb0ElNS0_19identity_decomposerEEEEE10hipError_tT0_T1_T2_jT3_P12ihipStream_tbPNSt15iterator_traitsISG_E10value_typeEPNSM_ISH_E10value_typeEPSI_NS1_7vsmem_tEENKUlT_SG_SH_SI_E_clIS7_S7_SB_S7_EESF_SV_SG_SH_SI_EUlSV_E1_NS1_11comp_targetILNS1_3genE9ELNS1_11target_archE1100ELNS1_3gpuE3ELNS1_3repE0EEENS1_36merge_oddeven_config_static_selectorELNS0_4arch9wavefront6targetE1EEEvSH_
		.amdhsa_group_segment_fixed_size 0
		.amdhsa_private_segment_fixed_size 0
		.amdhsa_kernarg_size 48
		.amdhsa_user_sgpr_count 6
		.amdhsa_user_sgpr_private_segment_buffer 1
		.amdhsa_user_sgpr_dispatch_ptr 0
		.amdhsa_user_sgpr_queue_ptr 0
		.amdhsa_user_sgpr_kernarg_segment_ptr 1
		.amdhsa_user_sgpr_dispatch_id 0
		.amdhsa_user_sgpr_flat_scratch_init 0
		.amdhsa_user_sgpr_kernarg_preload_length 0
		.amdhsa_user_sgpr_kernarg_preload_offset 0
		.amdhsa_user_sgpr_private_segment_size 0
		.amdhsa_uses_dynamic_stack 0
		.amdhsa_system_sgpr_private_segment_wavefront_offset 0
		.amdhsa_system_sgpr_workgroup_id_x 1
		.amdhsa_system_sgpr_workgroup_id_y 0
		.amdhsa_system_sgpr_workgroup_id_z 0
		.amdhsa_system_sgpr_workgroup_info 0
		.amdhsa_system_vgpr_workitem_id 0
		.amdhsa_next_free_vgpr 1
		.amdhsa_next_free_sgpr 0
		.amdhsa_accum_offset 4
		.amdhsa_reserve_vcc 0
		.amdhsa_reserve_flat_scratch 0
		.amdhsa_float_round_mode_32 0
		.amdhsa_float_round_mode_16_64 0
		.amdhsa_float_denorm_mode_32 3
		.amdhsa_float_denorm_mode_16_64 3
		.amdhsa_dx10_clamp 1
		.amdhsa_ieee_mode 1
		.amdhsa_fp16_overflow 0
		.amdhsa_tg_split 0
		.amdhsa_exception_fp_ieee_invalid_op 0
		.amdhsa_exception_fp_denorm_src 0
		.amdhsa_exception_fp_ieee_div_zero 0
		.amdhsa_exception_fp_ieee_overflow 0
		.amdhsa_exception_fp_ieee_underflow 0
		.amdhsa_exception_fp_ieee_inexact 0
		.amdhsa_exception_int_div_zero 0
	.end_amdhsa_kernel
	.section	.text._ZN7rocprim17ROCPRIM_400000_NS6detail17trampoline_kernelINS0_14default_configENS1_38merge_sort_block_merge_config_selectorIllEEZZNS1_27merge_sort_block_merge_implIS3_PlN6thrust23THRUST_200600_302600_NS10device_ptrIlEEjNS1_19radix_merge_compareILb0ELb0ElNS0_19identity_decomposerEEEEE10hipError_tT0_T1_T2_jT3_P12ihipStream_tbPNSt15iterator_traitsISG_E10value_typeEPNSM_ISH_E10value_typeEPSI_NS1_7vsmem_tEENKUlT_SG_SH_SI_E_clIS7_S7_SB_S7_EESF_SV_SG_SH_SI_EUlSV_E1_NS1_11comp_targetILNS1_3genE9ELNS1_11target_archE1100ELNS1_3gpuE3ELNS1_3repE0EEENS1_36merge_oddeven_config_static_selectorELNS0_4arch9wavefront6targetE1EEEvSH_,"axG",@progbits,_ZN7rocprim17ROCPRIM_400000_NS6detail17trampoline_kernelINS0_14default_configENS1_38merge_sort_block_merge_config_selectorIllEEZZNS1_27merge_sort_block_merge_implIS3_PlN6thrust23THRUST_200600_302600_NS10device_ptrIlEEjNS1_19radix_merge_compareILb0ELb0ElNS0_19identity_decomposerEEEEE10hipError_tT0_T1_T2_jT3_P12ihipStream_tbPNSt15iterator_traitsISG_E10value_typeEPNSM_ISH_E10value_typeEPSI_NS1_7vsmem_tEENKUlT_SG_SH_SI_E_clIS7_S7_SB_S7_EESF_SV_SG_SH_SI_EUlSV_E1_NS1_11comp_targetILNS1_3genE9ELNS1_11target_archE1100ELNS1_3gpuE3ELNS1_3repE0EEENS1_36merge_oddeven_config_static_selectorELNS0_4arch9wavefront6targetE1EEEvSH_,comdat
.Lfunc_end1056:
	.size	_ZN7rocprim17ROCPRIM_400000_NS6detail17trampoline_kernelINS0_14default_configENS1_38merge_sort_block_merge_config_selectorIllEEZZNS1_27merge_sort_block_merge_implIS3_PlN6thrust23THRUST_200600_302600_NS10device_ptrIlEEjNS1_19radix_merge_compareILb0ELb0ElNS0_19identity_decomposerEEEEE10hipError_tT0_T1_T2_jT3_P12ihipStream_tbPNSt15iterator_traitsISG_E10value_typeEPNSM_ISH_E10value_typeEPSI_NS1_7vsmem_tEENKUlT_SG_SH_SI_E_clIS7_S7_SB_S7_EESF_SV_SG_SH_SI_EUlSV_E1_NS1_11comp_targetILNS1_3genE9ELNS1_11target_archE1100ELNS1_3gpuE3ELNS1_3repE0EEENS1_36merge_oddeven_config_static_selectorELNS0_4arch9wavefront6targetE1EEEvSH_, .Lfunc_end1056-_ZN7rocprim17ROCPRIM_400000_NS6detail17trampoline_kernelINS0_14default_configENS1_38merge_sort_block_merge_config_selectorIllEEZZNS1_27merge_sort_block_merge_implIS3_PlN6thrust23THRUST_200600_302600_NS10device_ptrIlEEjNS1_19radix_merge_compareILb0ELb0ElNS0_19identity_decomposerEEEEE10hipError_tT0_T1_T2_jT3_P12ihipStream_tbPNSt15iterator_traitsISG_E10value_typeEPNSM_ISH_E10value_typeEPSI_NS1_7vsmem_tEENKUlT_SG_SH_SI_E_clIS7_S7_SB_S7_EESF_SV_SG_SH_SI_EUlSV_E1_NS1_11comp_targetILNS1_3genE9ELNS1_11target_archE1100ELNS1_3gpuE3ELNS1_3repE0EEENS1_36merge_oddeven_config_static_selectorELNS0_4arch9wavefront6targetE1EEEvSH_
                                        ; -- End function
	.section	.AMDGPU.csdata,"",@progbits
; Kernel info:
; codeLenInByte = 0
; NumSgprs: 4
; NumVgprs: 0
; NumAgprs: 0
; TotalNumVgprs: 0
; ScratchSize: 0
; MemoryBound: 0
; FloatMode: 240
; IeeeMode: 1
; LDSByteSize: 0 bytes/workgroup (compile time only)
; SGPRBlocks: 0
; VGPRBlocks: 0
; NumSGPRsForWavesPerEU: 4
; NumVGPRsForWavesPerEU: 1
; AccumOffset: 4
; Occupancy: 8
; WaveLimiterHint : 0
; COMPUTE_PGM_RSRC2:SCRATCH_EN: 0
; COMPUTE_PGM_RSRC2:USER_SGPR: 6
; COMPUTE_PGM_RSRC2:TRAP_HANDLER: 0
; COMPUTE_PGM_RSRC2:TGID_X_EN: 1
; COMPUTE_PGM_RSRC2:TGID_Y_EN: 0
; COMPUTE_PGM_RSRC2:TGID_Z_EN: 0
; COMPUTE_PGM_RSRC2:TIDIG_COMP_CNT: 0
; COMPUTE_PGM_RSRC3_GFX90A:ACCUM_OFFSET: 0
; COMPUTE_PGM_RSRC3_GFX90A:TG_SPLIT: 0
	.section	.text._ZN7rocprim17ROCPRIM_400000_NS6detail17trampoline_kernelINS0_14default_configENS1_38merge_sort_block_merge_config_selectorIllEEZZNS1_27merge_sort_block_merge_implIS3_PlN6thrust23THRUST_200600_302600_NS10device_ptrIlEEjNS1_19radix_merge_compareILb0ELb0ElNS0_19identity_decomposerEEEEE10hipError_tT0_T1_T2_jT3_P12ihipStream_tbPNSt15iterator_traitsISG_E10value_typeEPNSM_ISH_E10value_typeEPSI_NS1_7vsmem_tEENKUlT_SG_SH_SI_E_clIS7_S7_SB_S7_EESF_SV_SG_SH_SI_EUlSV_E1_NS1_11comp_targetILNS1_3genE8ELNS1_11target_archE1030ELNS1_3gpuE2ELNS1_3repE0EEENS1_36merge_oddeven_config_static_selectorELNS0_4arch9wavefront6targetE1EEEvSH_,"axG",@progbits,_ZN7rocprim17ROCPRIM_400000_NS6detail17trampoline_kernelINS0_14default_configENS1_38merge_sort_block_merge_config_selectorIllEEZZNS1_27merge_sort_block_merge_implIS3_PlN6thrust23THRUST_200600_302600_NS10device_ptrIlEEjNS1_19radix_merge_compareILb0ELb0ElNS0_19identity_decomposerEEEEE10hipError_tT0_T1_T2_jT3_P12ihipStream_tbPNSt15iterator_traitsISG_E10value_typeEPNSM_ISH_E10value_typeEPSI_NS1_7vsmem_tEENKUlT_SG_SH_SI_E_clIS7_S7_SB_S7_EESF_SV_SG_SH_SI_EUlSV_E1_NS1_11comp_targetILNS1_3genE8ELNS1_11target_archE1030ELNS1_3gpuE2ELNS1_3repE0EEENS1_36merge_oddeven_config_static_selectorELNS0_4arch9wavefront6targetE1EEEvSH_,comdat
	.protected	_ZN7rocprim17ROCPRIM_400000_NS6detail17trampoline_kernelINS0_14default_configENS1_38merge_sort_block_merge_config_selectorIllEEZZNS1_27merge_sort_block_merge_implIS3_PlN6thrust23THRUST_200600_302600_NS10device_ptrIlEEjNS1_19radix_merge_compareILb0ELb0ElNS0_19identity_decomposerEEEEE10hipError_tT0_T1_T2_jT3_P12ihipStream_tbPNSt15iterator_traitsISG_E10value_typeEPNSM_ISH_E10value_typeEPSI_NS1_7vsmem_tEENKUlT_SG_SH_SI_E_clIS7_S7_SB_S7_EESF_SV_SG_SH_SI_EUlSV_E1_NS1_11comp_targetILNS1_3genE8ELNS1_11target_archE1030ELNS1_3gpuE2ELNS1_3repE0EEENS1_36merge_oddeven_config_static_selectorELNS0_4arch9wavefront6targetE1EEEvSH_ ; -- Begin function _ZN7rocprim17ROCPRIM_400000_NS6detail17trampoline_kernelINS0_14default_configENS1_38merge_sort_block_merge_config_selectorIllEEZZNS1_27merge_sort_block_merge_implIS3_PlN6thrust23THRUST_200600_302600_NS10device_ptrIlEEjNS1_19radix_merge_compareILb0ELb0ElNS0_19identity_decomposerEEEEE10hipError_tT0_T1_T2_jT3_P12ihipStream_tbPNSt15iterator_traitsISG_E10value_typeEPNSM_ISH_E10value_typeEPSI_NS1_7vsmem_tEENKUlT_SG_SH_SI_E_clIS7_S7_SB_S7_EESF_SV_SG_SH_SI_EUlSV_E1_NS1_11comp_targetILNS1_3genE8ELNS1_11target_archE1030ELNS1_3gpuE2ELNS1_3repE0EEENS1_36merge_oddeven_config_static_selectorELNS0_4arch9wavefront6targetE1EEEvSH_
	.globl	_ZN7rocprim17ROCPRIM_400000_NS6detail17trampoline_kernelINS0_14default_configENS1_38merge_sort_block_merge_config_selectorIllEEZZNS1_27merge_sort_block_merge_implIS3_PlN6thrust23THRUST_200600_302600_NS10device_ptrIlEEjNS1_19radix_merge_compareILb0ELb0ElNS0_19identity_decomposerEEEEE10hipError_tT0_T1_T2_jT3_P12ihipStream_tbPNSt15iterator_traitsISG_E10value_typeEPNSM_ISH_E10value_typeEPSI_NS1_7vsmem_tEENKUlT_SG_SH_SI_E_clIS7_S7_SB_S7_EESF_SV_SG_SH_SI_EUlSV_E1_NS1_11comp_targetILNS1_3genE8ELNS1_11target_archE1030ELNS1_3gpuE2ELNS1_3repE0EEENS1_36merge_oddeven_config_static_selectorELNS0_4arch9wavefront6targetE1EEEvSH_
	.p2align	8
	.type	_ZN7rocprim17ROCPRIM_400000_NS6detail17trampoline_kernelINS0_14default_configENS1_38merge_sort_block_merge_config_selectorIllEEZZNS1_27merge_sort_block_merge_implIS3_PlN6thrust23THRUST_200600_302600_NS10device_ptrIlEEjNS1_19radix_merge_compareILb0ELb0ElNS0_19identity_decomposerEEEEE10hipError_tT0_T1_T2_jT3_P12ihipStream_tbPNSt15iterator_traitsISG_E10value_typeEPNSM_ISH_E10value_typeEPSI_NS1_7vsmem_tEENKUlT_SG_SH_SI_E_clIS7_S7_SB_S7_EESF_SV_SG_SH_SI_EUlSV_E1_NS1_11comp_targetILNS1_3genE8ELNS1_11target_archE1030ELNS1_3gpuE2ELNS1_3repE0EEENS1_36merge_oddeven_config_static_selectorELNS0_4arch9wavefront6targetE1EEEvSH_,@function
_ZN7rocprim17ROCPRIM_400000_NS6detail17trampoline_kernelINS0_14default_configENS1_38merge_sort_block_merge_config_selectorIllEEZZNS1_27merge_sort_block_merge_implIS3_PlN6thrust23THRUST_200600_302600_NS10device_ptrIlEEjNS1_19radix_merge_compareILb0ELb0ElNS0_19identity_decomposerEEEEE10hipError_tT0_T1_T2_jT3_P12ihipStream_tbPNSt15iterator_traitsISG_E10value_typeEPNSM_ISH_E10value_typeEPSI_NS1_7vsmem_tEENKUlT_SG_SH_SI_E_clIS7_S7_SB_S7_EESF_SV_SG_SH_SI_EUlSV_E1_NS1_11comp_targetILNS1_3genE8ELNS1_11target_archE1030ELNS1_3gpuE2ELNS1_3repE0EEENS1_36merge_oddeven_config_static_selectorELNS0_4arch9wavefront6targetE1EEEvSH_: ; @_ZN7rocprim17ROCPRIM_400000_NS6detail17trampoline_kernelINS0_14default_configENS1_38merge_sort_block_merge_config_selectorIllEEZZNS1_27merge_sort_block_merge_implIS3_PlN6thrust23THRUST_200600_302600_NS10device_ptrIlEEjNS1_19radix_merge_compareILb0ELb0ElNS0_19identity_decomposerEEEEE10hipError_tT0_T1_T2_jT3_P12ihipStream_tbPNSt15iterator_traitsISG_E10value_typeEPNSM_ISH_E10value_typeEPSI_NS1_7vsmem_tEENKUlT_SG_SH_SI_E_clIS7_S7_SB_S7_EESF_SV_SG_SH_SI_EUlSV_E1_NS1_11comp_targetILNS1_3genE8ELNS1_11target_archE1030ELNS1_3gpuE2ELNS1_3repE0EEENS1_36merge_oddeven_config_static_selectorELNS0_4arch9wavefront6targetE1EEEvSH_
; %bb.0:
	.section	.rodata,"a",@progbits
	.p2align	6, 0x0
	.amdhsa_kernel _ZN7rocprim17ROCPRIM_400000_NS6detail17trampoline_kernelINS0_14default_configENS1_38merge_sort_block_merge_config_selectorIllEEZZNS1_27merge_sort_block_merge_implIS3_PlN6thrust23THRUST_200600_302600_NS10device_ptrIlEEjNS1_19radix_merge_compareILb0ELb0ElNS0_19identity_decomposerEEEEE10hipError_tT0_T1_T2_jT3_P12ihipStream_tbPNSt15iterator_traitsISG_E10value_typeEPNSM_ISH_E10value_typeEPSI_NS1_7vsmem_tEENKUlT_SG_SH_SI_E_clIS7_S7_SB_S7_EESF_SV_SG_SH_SI_EUlSV_E1_NS1_11comp_targetILNS1_3genE8ELNS1_11target_archE1030ELNS1_3gpuE2ELNS1_3repE0EEENS1_36merge_oddeven_config_static_selectorELNS0_4arch9wavefront6targetE1EEEvSH_
		.amdhsa_group_segment_fixed_size 0
		.amdhsa_private_segment_fixed_size 0
		.amdhsa_kernarg_size 48
		.amdhsa_user_sgpr_count 6
		.amdhsa_user_sgpr_private_segment_buffer 1
		.amdhsa_user_sgpr_dispatch_ptr 0
		.amdhsa_user_sgpr_queue_ptr 0
		.amdhsa_user_sgpr_kernarg_segment_ptr 1
		.amdhsa_user_sgpr_dispatch_id 0
		.amdhsa_user_sgpr_flat_scratch_init 0
		.amdhsa_user_sgpr_kernarg_preload_length 0
		.amdhsa_user_sgpr_kernarg_preload_offset 0
		.amdhsa_user_sgpr_private_segment_size 0
		.amdhsa_uses_dynamic_stack 0
		.amdhsa_system_sgpr_private_segment_wavefront_offset 0
		.amdhsa_system_sgpr_workgroup_id_x 1
		.amdhsa_system_sgpr_workgroup_id_y 0
		.amdhsa_system_sgpr_workgroup_id_z 0
		.amdhsa_system_sgpr_workgroup_info 0
		.amdhsa_system_vgpr_workitem_id 0
		.amdhsa_next_free_vgpr 1
		.amdhsa_next_free_sgpr 0
		.amdhsa_accum_offset 4
		.amdhsa_reserve_vcc 0
		.amdhsa_reserve_flat_scratch 0
		.amdhsa_float_round_mode_32 0
		.amdhsa_float_round_mode_16_64 0
		.amdhsa_float_denorm_mode_32 3
		.amdhsa_float_denorm_mode_16_64 3
		.amdhsa_dx10_clamp 1
		.amdhsa_ieee_mode 1
		.amdhsa_fp16_overflow 0
		.amdhsa_tg_split 0
		.amdhsa_exception_fp_ieee_invalid_op 0
		.amdhsa_exception_fp_denorm_src 0
		.amdhsa_exception_fp_ieee_div_zero 0
		.amdhsa_exception_fp_ieee_overflow 0
		.amdhsa_exception_fp_ieee_underflow 0
		.amdhsa_exception_fp_ieee_inexact 0
		.amdhsa_exception_int_div_zero 0
	.end_amdhsa_kernel
	.section	.text._ZN7rocprim17ROCPRIM_400000_NS6detail17trampoline_kernelINS0_14default_configENS1_38merge_sort_block_merge_config_selectorIllEEZZNS1_27merge_sort_block_merge_implIS3_PlN6thrust23THRUST_200600_302600_NS10device_ptrIlEEjNS1_19radix_merge_compareILb0ELb0ElNS0_19identity_decomposerEEEEE10hipError_tT0_T1_T2_jT3_P12ihipStream_tbPNSt15iterator_traitsISG_E10value_typeEPNSM_ISH_E10value_typeEPSI_NS1_7vsmem_tEENKUlT_SG_SH_SI_E_clIS7_S7_SB_S7_EESF_SV_SG_SH_SI_EUlSV_E1_NS1_11comp_targetILNS1_3genE8ELNS1_11target_archE1030ELNS1_3gpuE2ELNS1_3repE0EEENS1_36merge_oddeven_config_static_selectorELNS0_4arch9wavefront6targetE1EEEvSH_,"axG",@progbits,_ZN7rocprim17ROCPRIM_400000_NS6detail17trampoline_kernelINS0_14default_configENS1_38merge_sort_block_merge_config_selectorIllEEZZNS1_27merge_sort_block_merge_implIS3_PlN6thrust23THRUST_200600_302600_NS10device_ptrIlEEjNS1_19radix_merge_compareILb0ELb0ElNS0_19identity_decomposerEEEEE10hipError_tT0_T1_T2_jT3_P12ihipStream_tbPNSt15iterator_traitsISG_E10value_typeEPNSM_ISH_E10value_typeEPSI_NS1_7vsmem_tEENKUlT_SG_SH_SI_E_clIS7_S7_SB_S7_EESF_SV_SG_SH_SI_EUlSV_E1_NS1_11comp_targetILNS1_3genE8ELNS1_11target_archE1030ELNS1_3gpuE2ELNS1_3repE0EEENS1_36merge_oddeven_config_static_selectorELNS0_4arch9wavefront6targetE1EEEvSH_,comdat
.Lfunc_end1057:
	.size	_ZN7rocprim17ROCPRIM_400000_NS6detail17trampoline_kernelINS0_14default_configENS1_38merge_sort_block_merge_config_selectorIllEEZZNS1_27merge_sort_block_merge_implIS3_PlN6thrust23THRUST_200600_302600_NS10device_ptrIlEEjNS1_19radix_merge_compareILb0ELb0ElNS0_19identity_decomposerEEEEE10hipError_tT0_T1_T2_jT3_P12ihipStream_tbPNSt15iterator_traitsISG_E10value_typeEPNSM_ISH_E10value_typeEPSI_NS1_7vsmem_tEENKUlT_SG_SH_SI_E_clIS7_S7_SB_S7_EESF_SV_SG_SH_SI_EUlSV_E1_NS1_11comp_targetILNS1_3genE8ELNS1_11target_archE1030ELNS1_3gpuE2ELNS1_3repE0EEENS1_36merge_oddeven_config_static_selectorELNS0_4arch9wavefront6targetE1EEEvSH_, .Lfunc_end1057-_ZN7rocprim17ROCPRIM_400000_NS6detail17trampoline_kernelINS0_14default_configENS1_38merge_sort_block_merge_config_selectorIllEEZZNS1_27merge_sort_block_merge_implIS3_PlN6thrust23THRUST_200600_302600_NS10device_ptrIlEEjNS1_19radix_merge_compareILb0ELb0ElNS0_19identity_decomposerEEEEE10hipError_tT0_T1_T2_jT3_P12ihipStream_tbPNSt15iterator_traitsISG_E10value_typeEPNSM_ISH_E10value_typeEPSI_NS1_7vsmem_tEENKUlT_SG_SH_SI_E_clIS7_S7_SB_S7_EESF_SV_SG_SH_SI_EUlSV_E1_NS1_11comp_targetILNS1_3genE8ELNS1_11target_archE1030ELNS1_3gpuE2ELNS1_3repE0EEENS1_36merge_oddeven_config_static_selectorELNS0_4arch9wavefront6targetE1EEEvSH_
                                        ; -- End function
	.section	.AMDGPU.csdata,"",@progbits
; Kernel info:
; codeLenInByte = 0
; NumSgprs: 4
; NumVgprs: 0
; NumAgprs: 0
; TotalNumVgprs: 0
; ScratchSize: 0
; MemoryBound: 0
; FloatMode: 240
; IeeeMode: 1
; LDSByteSize: 0 bytes/workgroup (compile time only)
; SGPRBlocks: 0
; VGPRBlocks: 0
; NumSGPRsForWavesPerEU: 4
; NumVGPRsForWavesPerEU: 1
; AccumOffset: 4
; Occupancy: 8
; WaveLimiterHint : 0
; COMPUTE_PGM_RSRC2:SCRATCH_EN: 0
; COMPUTE_PGM_RSRC2:USER_SGPR: 6
; COMPUTE_PGM_RSRC2:TRAP_HANDLER: 0
; COMPUTE_PGM_RSRC2:TGID_X_EN: 1
; COMPUTE_PGM_RSRC2:TGID_Y_EN: 0
; COMPUTE_PGM_RSRC2:TGID_Z_EN: 0
; COMPUTE_PGM_RSRC2:TIDIG_COMP_CNT: 0
; COMPUTE_PGM_RSRC3_GFX90A:ACCUM_OFFSET: 0
; COMPUTE_PGM_RSRC3_GFX90A:TG_SPLIT: 0
	.section	.text._ZN7rocprim17ROCPRIM_400000_NS6detail17trampoline_kernelINS0_14default_configENS1_25transform_config_selectorIlLb1EEEZNS1_14transform_implILb1ES3_S5_PlS7_NS0_8identityIlEEEE10hipError_tT2_T3_mT4_P12ihipStream_tbEUlT_E_NS1_11comp_targetILNS1_3genE0ELNS1_11target_archE4294967295ELNS1_3gpuE0ELNS1_3repE0EEENS1_30default_config_static_selectorELNS0_4arch9wavefront6targetE1EEEvT1_,"axG",@progbits,_ZN7rocprim17ROCPRIM_400000_NS6detail17trampoline_kernelINS0_14default_configENS1_25transform_config_selectorIlLb1EEEZNS1_14transform_implILb1ES3_S5_PlS7_NS0_8identityIlEEEE10hipError_tT2_T3_mT4_P12ihipStream_tbEUlT_E_NS1_11comp_targetILNS1_3genE0ELNS1_11target_archE4294967295ELNS1_3gpuE0ELNS1_3repE0EEENS1_30default_config_static_selectorELNS0_4arch9wavefront6targetE1EEEvT1_,comdat
	.protected	_ZN7rocprim17ROCPRIM_400000_NS6detail17trampoline_kernelINS0_14default_configENS1_25transform_config_selectorIlLb1EEEZNS1_14transform_implILb1ES3_S5_PlS7_NS0_8identityIlEEEE10hipError_tT2_T3_mT4_P12ihipStream_tbEUlT_E_NS1_11comp_targetILNS1_3genE0ELNS1_11target_archE4294967295ELNS1_3gpuE0ELNS1_3repE0EEENS1_30default_config_static_selectorELNS0_4arch9wavefront6targetE1EEEvT1_ ; -- Begin function _ZN7rocprim17ROCPRIM_400000_NS6detail17trampoline_kernelINS0_14default_configENS1_25transform_config_selectorIlLb1EEEZNS1_14transform_implILb1ES3_S5_PlS7_NS0_8identityIlEEEE10hipError_tT2_T3_mT4_P12ihipStream_tbEUlT_E_NS1_11comp_targetILNS1_3genE0ELNS1_11target_archE4294967295ELNS1_3gpuE0ELNS1_3repE0EEENS1_30default_config_static_selectorELNS0_4arch9wavefront6targetE1EEEvT1_
	.globl	_ZN7rocprim17ROCPRIM_400000_NS6detail17trampoline_kernelINS0_14default_configENS1_25transform_config_selectorIlLb1EEEZNS1_14transform_implILb1ES3_S5_PlS7_NS0_8identityIlEEEE10hipError_tT2_T3_mT4_P12ihipStream_tbEUlT_E_NS1_11comp_targetILNS1_3genE0ELNS1_11target_archE4294967295ELNS1_3gpuE0ELNS1_3repE0EEENS1_30default_config_static_selectorELNS0_4arch9wavefront6targetE1EEEvT1_
	.p2align	8
	.type	_ZN7rocprim17ROCPRIM_400000_NS6detail17trampoline_kernelINS0_14default_configENS1_25transform_config_selectorIlLb1EEEZNS1_14transform_implILb1ES3_S5_PlS7_NS0_8identityIlEEEE10hipError_tT2_T3_mT4_P12ihipStream_tbEUlT_E_NS1_11comp_targetILNS1_3genE0ELNS1_11target_archE4294967295ELNS1_3gpuE0ELNS1_3repE0EEENS1_30default_config_static_selectorELNS0_4arch9wavefront6targetE1EEEvT1_,@function
_ZN7rocprim17ROCPRIM_400000_NS6detail17trampoline_kernelINS0_14default_configENS1_25transform_config_selectorIlLb1EEEZNS1_14transform_implILb1ES3_S5_PlS7_NS0_8identityIlEEEE10hipError_tT2_T3_mT4_P12ihipStream_tbEUlT_E_NS1_11comp_targetILNS1_3genE0ELNS1_11target_archE4294967295ELNS1_3gpuE0ELNS1_3repE0EEENS1_30default_config_static_selectorELNS0_4arch9wavefront6targetE1EEEvT1_: ; @_ZN7rocprim17ROCPRIM_400000_NS6detail17trampoline_kernelINS0_14default_configENS1_25transform_config_selectorIlLb1EEEZNS1_14transform_implILb1ES3_S5_PlS7_NS0_8identityIlEEEE10hipError_tT2_T3_mT4_P12ihipStream_tbEUlT_E_NS1_11comp_targetILNS1_3genE0ELNS1_11target_archE4294967295ELNS1_3gpuE0ELNS1_3repE0EEENS1_30default_config_static_selectorELNS0_4arch9wavefront6targetE1EEEvT1_
; %bb.0:
	.section	.rodata,"a",@progbits
	.p2align	6, 0x0
	.amdhsa_kernel _ZN7rocprim17ROCPRIM_400000_NS6detail17trampoline_kernelINS0_14default_configENS1_25transform_config_selectorIlLb1EEEZNS1_14transform_implILb1ES3_S5_PlS7_NS0_8identityIlEEEE10hipError_tT2_T3_mT4_P12ihipStream_tbEUlT_E_NS1_11comp_targetILNS1_3genE0ELNS1_11target_archE4294967295ELNS1_3gpuE0ELNS1_3repE0EEENS1_30default_config_static_selectorELNS0_4arch9wavefront6targetE1EEEvT1_
		.amdhsa_group_segment_fixed_size 0
		.amdhsa_private_segment_fixed_size 0
		.amdhsa_kernarg_size 40
		.amdhsa_user_sgpr_count 6
		.amdhsa_user_sgpr_private_segment_buffer 1
		.amdhsa_user_sgpr_dispatch_ptr 0
		.amdhsa_user_sgpr_queue_ptr 0
		.amdhsa_user_sgpr_kernarg_segment_ptr 1
		.amdhsa_user_sgpr_dispatch_id 0
		.amdhsa_user_sgpr_flat_scratch_init 0
		.amdhsa_user_sgpr_kernarg_preload_length 0
		.amdhsa_user_sgpr_kernarg_preload_offset 0
		.amdhsa_user_sgpr_private_segment_size 0
		.amdhsa_uses_dynamic_stack 0
		.amdhsa_system_sgpr_private_segment_wavefront_offset 0
		.amdhsa_system_sgpr_workgroup_id_x 1
		.amdhsa_system_sgpr_workgroup_id_y 0
		.amdhsa_system_sgpr_workgroup_id_z 0
		.amdhsa_system_sgpr_workgroup_info 0
		.amdhsa_system_vgpr_workitem_id 0
		.amdhsa_next_free_vgpr 1
		.amdhsa_next_free_sgpr 0
		.amdhsa_accum_offset 4
		.amdhsa_reserve_vcc 0
		.amdhsa_reserve_flat_scratch 0
		.amdhsa_float_round_mode_32 0
		.amdhsa_float_round_mode_16_64 0
		.amdhsa_float_denorm_mode_32 3
		.amdhsa_float_denorm_mode_16_64 3
		.amdhsa_dx10_clamp 1
		.amdhsa_ieee_mode 1
		.amdhsa_fp16_overflow 0
		.amdhsa_tg_split 0
		.amdhsa_exception_fp_ieee_invalid_op 0
		.amdhsa_exception_fp_denorm_src 0
		.amdhsa_exception_fp_ieee_div_zero 0
		.amdhsa_exception_fp_ieee_overflow 0
		.amdhsa_exception_fp_ieee_underflow 0
		.amdhsa_exception_fp_ieee_inexact 0
		.amdhsa_exception_int_div_zero 0
	.end_amdhsa_kernel
	.section	.text._ZN7rocprim17ROCPRIM_400000_NS6detail17trampoline_kernelINS0_14default_configENS1_25transform_config_selectorIlLb1EEEZNS1_14transform_implILb1ES3_S5_PlS7_NS0_8identityIlEEEE10hipError_tT2_T3_mT4_P12ihipStream_tbEUlT_E_NS1_11comp_targetILNS1_3genE0ELNS1_11target_archE4294967295ELNS1_3gpuE0ELNS1_3repE0EEENS1_30default_config_static_selectorELNS0_4arch9wavefront6targetE1EEEvT1_,"axG",@progbits,_ZN7rocprim17ROCPRIM_400000_NS6detail17trampoline_kernelINS0_14default_configENS1_25transform_config_selectorIlLb1EEEZNS1_14transform_implILb1ES3_S5_PlS7_NS0_8identityIlEEEE10hipError_tT2_T3_mT4_P12ihipStream_tbEUlT_E_NS1_11comp_targetILNS1_3genE0ELNS1_11target_archE4294967295ELNS1_3gpuE0ELNS1_3repE0EEENS1_30default_config_static_selectorELNS0_4arch9wavefront6targetE1EEEvT1_,comdat
.Lfunc_end1058:
	.size	_ZN7rocprim17ROCPRIM_400000_NS6detail17trampoline_kernelINS0_14default_configENS1_25transform_config_selectorIlLb1EEEZNS1_14transform_implILb1ES3_S5_PlS7_NS0_8identityIlEEEE10hipError_tT2_T3_mT4_P12ihipStream_tbEUlT_E_NS1_11comp_targetILNS1_3genE0ELNS1_11target_archE4294967295ELNS1_3gpuE0ELNS1_3repE0EEENS1_30default_config_static_selectorELNS0_4arch9wavefront6targetE1EEEvT1_, .Lfunc_end1058-_ZN7rocprim17ROCPRIM_400000_NS6detail17trampoline_kernelINS0_14default_configENS1_25transform_config_selectorIlLb1EEEZNS1_14transform_implILb1ES3_S5_PlS7_NS0_8identityIlEEEE10hipError_tT2_T3_mT4_P12ihipStream_tbEUlT_E_NS1_11comp_targetILNS1_3genE0ELNS1_11target_archE4294967295ELNS1_3gpuE0ELNS1_3repE0EEENS1_30default_config_static_selectorELNS0_4arch9wavefront6targetE1EEEvT1_
                                        ; -- End function
	.section	.AMDGPU.csdata,"",@progbits
; Kernel info:
; codeLenInByte = 0
; NumSgprs: 4
; NumVgprs: 0
; NumAgprs: 0
; TotalNumVgprs: 0
; ScratchSize: 0
; MemoryBound: 0
; FloatMode: 240
; IeeeMode: 1
; LDSByteSize: 0 bytes/workgroup (compile time only)
; SGPRBlocks: 0
; VGPRBlocks: 0
; NumSGPRsForWavesPerEU: 4
; NumVGPRsForWavesPerEU: 1
; AccumOffset: 4
; Occupancy: 8
; WaveLimiterHint : 0
; COMPUTE_PGM_RSRC2:SCRATCH_EN: 0
; COMPUTE_PGM_RSRC2:USER_SGPR: 6
; COMPUTE_PGM_RSRC2:TRAP_HANDLER: 0
; COMPUTE_PGM_RSRC2:TGID_X_EN: 1
; COMPUTE_PGM_RSRC2:TGID_Y_EN: 0
; COMPUTE_PGM_RSRC2:TGID_Z_EN: 0
; COMPUTE_PGM_RSRC2:TIDIG_COMP_CNT: 0
; COMPUTE_PGM_RSRC3_GFX90A:ACCUM_OFFSET: 0
; COMPUTE_PGM_RSRC3_GFX90A:TG_SPLIT: 0
	.section	.text._ZN7rocprim17ROCPRIM_400000_NS6detail17trampoline_kernelINS0_14default_configENS1_25transform_config_selectorIlLb1EEEZNS1_14transform_implILb1ES3_S5_PlS7_NS0_8identityIlEEEE10hipError_tT2_T3_mT4_P12ihipStream_tbEUlT_E_NS1_11comp_targetILNS1_3genE10ELNS1_11target_archE1201ELNS1_3gpuE5ELNS1_3repE0EEENS1_30default_config_static_selectorELNS0_4arch9wavefront6targetE1EEEvT1_,"axG",@progbits,_ZN7rocprim17ROCPRIM_400000_NS6detail17trampoline_kernelINS0_14default_configENS1_25transform_config_selectorIlLb1EEEZNS1_14transform_implILb1ES3_S5_PlS7_NS0_8identityIlEEEE10hipError_tT2_T3_mT4_P12ihipStream_tbEUlT_E_NS1_11comp_targetILNS1_3genE10ELNS1_11target_archE1201ELNS1_3gpuE5ELNS1_3repE0EEENS1_30default_config_static_selectorELNS0_4arch9wavefront6targetE1EEEvT1_,comdat
	.protected	_ZN7rocprim17ROCPRIM_400000_NS6detail17trampoline_kernelINS0_14default_configENS1_25transform_config_selectorIlLb1EEEZNS1_14transform_implILb1ES3_S5_PlS7_NS0_8identityIlEEEE10hipError_tT2_T3_mT4_P12ihipStream_tbEUlT_E_NS1_11comp_targetILNS1_3genE10ELNS1_11target_archE1201ELNS1_3gpuE5ELNS1_3repE0EEENS1_30default_config_static_selectorELNS0_4arch9wavefront6targetE1EEEvT1_ ; -- Begin function _ZN7rocprim17ROCPRIM_400000_NS6detail17trampoline_kernelINS0_14default_configENS1_25transform_config_selectorIlLb1EEEZNS1_14transform_implILb1ES3_S5_PlS7_NS0_8identityIlEEEE10hipError_tT2_T3_mT4_P12ihipStream_tbEUlT_E_NS1_11comp_targetILNS1_3genE10ELNS1_11target_archE1201ELNS1_3gpuE5ELNS1_3repE0EEENS1_30default_config_static_selectorELNS0_4arch9wavefront6targetE1EEEvT1_
	.globl	_ZN7rocprim17ROCPRIM_400000_NS6detail17trampoline_kernelINS0_14default_configENS1_25transform_config_selectorIlLb1EEEZNS1_14transform_implILb1ES3_S5_PlS7_NS0_8identityIlEEEE10hipError_tT2_T3_mT4_P12ihipStream_tbEUlT_E_NS1_11comp_targetILNS1_3genE10ELNS1_11target_archE1201ELNS1_3gpuE5ELNS1_3repE0EEENS1_30default_config_static_selectorELNS0_4arch9wavefront6targetE1EEEvT1_
	.p2align	8
	.type	_ZN7rocprim17ROCPRIM_400000_NS6detail17trampoline_kernelINS0_14default_configENS1_25transform_config_selectorIlLb1EEEZNS1_14transform_implILb1ES3_S5_PlS7_NS0_8identityIlEEEE10hipError_tT2_T3_mT4_P12ihipStream_tbEUlT_E_NS1_11comp_targetILNS1_3genE10ELNS1_11target_archE1201ELNS1_3gpuE5ELNS1_3repE0EEENS1_30default_config_static_selectorELNS0_4arch9wavefront6targetE1EEEvT1_,@function
_ZN7rocprim17ROCPRIM_400000_NS6detail17trampoline_kernelINS0_14default_configENS1_25transform_config_selectorIlLb1EEEZNS1_14transform_implILb1ES3_S5_PlS7_NS0_8identityIlEEEE10hipError_tT2_T3_mT4_P12ihipStream_tbEUlT_E_NS1_11comp_targetILNS1_3genE10ELNS1_11target_archE1201ELNS1_3gpuE5ELNS1_3repE0EEENS1_30default_config_static_selectorELNS0_4arch9wavefront6targetE1EEEvT1_: ; @_ZN7rocprim17ROCPRIM_400000_NS6detail17trampoline_kernelINS0_14default_configENS1_25transform_config_selectorIlLb1EEEZNS1_14transform_implILb1ES3_S5_PlS7_NS0_8identityIlEEEE10hipError_tT2_T3_mT4_P12ihipStream_tbEUlT_E_NS1_11comp_targetILNS1_3genE10ELNS1_11target_archE1201ELNS1_3gpuE5ELNS1_3repE0EEENS1_30default_config_static_selectorELNS0_4arch9wavefront6targetE1EEEvT1_
; %bb.0:
	.section	.rodata,"a",@progbits
	.p2align	6, 0x0
	.amdhsa_kernel _ZN7rocprim17ROCPRIM_400000_NS6detail17trampoline_kernelINS0_14default_configENS1_25transform_config_selectorIlLb1EEEZNS1_14transform_implILb1ES3_S5_PlS7_NS0_8identityIlEEEE10hipError_tT2_T3_mT4_P12ihipStream_tbEUlT_E_NS1_11comp_targetILNS1_3genE10ELNS1_11target_archE1201ELNS1_3gpuE5ELNS1_3repE0EEENS1_30default_config_static_selectorELNS0_4arch9wavefront6targetE1EEEvT1_
		.amdhsa_group_segment_fixed_size 0
		.amdhsa_private_segment_fixed_size 0
		.amdhsa_kernarg_size 40
		.amdhsa_user_sgpr_count 6
		.amdhsa_user_sgpr_private_segment_buffer 1
		.amdhsa_user_sgpr_dispatch_ptr 0
		.amdhsa_user_sgpr_queue_ptr 0
		.amdhsa_user_sgpr_kernarg_segment_ptr 1
		.amdhsa_user_sgpr_dispatch_id 0
		.amdhsa_user_sgpr_flat_scratch_init 0
		.amdhsa_user_sgpr_kernarg_preload_length 0
		.amdhsa_user_sgpr_kernarg_preload_offset 0
		.amdhsa_user_sgpr_private_segment_size 0
		.amdhsa_uses_dynamic_stack 0
		.amdhsa_system_sgpr_private_segment_wavefront_offset 0
		.amdhsa_system_sgpr_workgroup_id_x 1
		.amdhsa_system_sgpr_workgroup_id_y 0
		.amdhsa_system_sgpr_workgroup_id_z 0
		.amdhsa_system_sgpr_workgroup_info 0
		.amdhsa_system_vgpr_workitem_id 0
		.amdhsa_next_free_vgpr 1
		.amdhsa_next_free_sgpr 0
		.amdhsa_accum_offset 4
		.amdhsa_reserve_vcc 0
		.amdhsa_reserve_flat_scratch 0
		.amdhsa_float_round_mode_32 0
		.amdhsa_float_round_mode_16_64 0
		.amdhsa_float_denorm_mode_32 3
		.amdhsa_float_denorm_mode_16_64 3
		.amdhsa_dx10_clamp 1
		.amdhsa_ieee_mode 1
		.amdhsa_fp16_overflow 0
		.amdhsa_tg_split 0
		.amdhsa_exception_fp_ieee_invalid_op 0
		.amdhsa_exception_fp_denorm_src 0
		.amdhsa_exception_fp_ieee_div_zero 0
		.amdhsa_exception_fp_ieee_overflow 0
		.amdhsa_exception_fp_ieee_underflow 0
		.amdhsa_exception_fp_ieee_inexact 0
		.amdhsa_exception_int_div_zero 0
	.end_amdhsa_kernel
	.section	.text._ZN7rocprim17ROCPRIM_400000_NS6detail17trampoline_kernelINS0_14default_configENS1_25transform_config_selectorIlLb1EEEZNS1_14transform_implILb1ES3_S5_PlS7_NS0_8identityIlEEEE10hipError_tT2_T3_mT4_P12ihipStream_tbEUlT_E_NS1_11comp_targetILNS1_3genE10ELNS1_11target_archE1201ELNS1_3gpuE5ELNS1_3repE0EEENS1_30default_config_static_selectorELNS0_4arch9wavefront6targetE1EEEvT1_,"axG",@progbits,_ZN7rocprim17ROCPRIM_400000_NS6detail17trampoline_kernelINS0_14default_configENS1_25transform_config_selectorIlLb1EEEZNS1_14transform_implILb1ES3_S5_PlS7_NS0_8identityIlEEEE10hipError_tT2_T3_mT4_P12ihipStream_tbEUlT_E_NS1_11comp_targetILNS1_3genE10ELNS1_11target_archE1201ELNS1_3gpuE5ELNS1_3repE0EEENS1_30default_config_static_selectorELNS0_4arch9wavefront6targetE1EEEvT1_,comdat
.Lfunc_end1059:
	.size	_ZN7rocprim17ROCPRIM_400000_NS6detail17trampoline_kernelINS0_14default_configENS1_25transform_config_selectorIlLb1EEEZNS1_14transform_implILb1ES3_S5_PlS7_NS0_8identityIlEEEE10hipError_tT2_T3_mT4_P12ihipStream_tbEUlT_E_NS1_11comp_targetILNS1_3genE10ELNS1_11target_archE1201ELNS1_3gpuE5ELNS1_3repE0EEENS1_30default_config_static_selectorELNS0_4arch9wavefront6targetE1EEEvT1_, .Lfunc_end1059-_ZN7rocprim17ROCPRIM_400000_NS6detail17trampoline_kernelINS0_14default_configENS1_25transform_config_selectorIlLb1EEEZNS1_14transform_implILb1ES3_S5_PlS7_NS0_8identityIlEEEE10hipError_tT2_T3_mT4_P12ihipStream_tbEUlT_E_NS1_11comp_targetILNS1_3genE10ELNS1_11target_archE1201ELNS1_3gpuE5ELNS1_3repE0EEENS1_30default_config_static_selectorELNS0_4arch9wavefront6targetE1EEEvT1_
                                        ; -- End function
	.section	.AMDGPU.csdata,"",@progbits
; Kernel info:
; codeLenInByte = 0
; NumSgprs: 4
; NumVgprs: 0
; NumAgprs: 0
; TotalNumVgprs: 0
; ScratchSize: 0
; MemoryBound: 0
; FloatMode: 240
; IeeeMode: 1
; LDSByteSize: 0 bytes/workgroup (compile time only)
; SGPRBlocks: 0
; VGPRBlocks: 0
; NumSGPRsForWavesPerEU: 4
; NumVGPRsForWavesPerEU: 1
; AccumOffset: 4
; Occupancy: 8
; WaveLimiterHint : 0
; COMPUTE_PGM_RSRC2:SCRATCH_EN: 0
; COMPUTE_PGM_RSRC2:USER_SGPR: 6
; COMPUTE_PGM_RSRC2:TRAP_HANDLER: 0
; COMPUTE_PGM_RSRC2:TGID_X_EN: 1
; COMPUTE_PGM_RSRC2:TGID_Y_EN: 0
; COMPUTE_PGM_RSRC2:TGID_Z_EN: 0
; COMPUTE_PGM_RSRC2:TIDIG_COMP_CNT: 0
; COMPUTE_PGM_RSRC3_GFX90A:ACCUM_OFFSET: 0
; COMPUTE_PGM_RSRC3_GFX90A:TG_SPLIT: 0
	.section	.text._ZN7rocprim17ROCPRIM_400000_NS6detail17trampoline_kernelINS0_14default_configENS1_25transform_config_selectorIlLb1EEEZNS1_14transform_implILb1ES3_S5_PlS7_NS0_8identityIlEEEE10hipError_tT2_T3_mT4_P12ihipStream_tbEUlT_E_NS1_11comp_targetILNS1_3genE5ELNS1_11target_archE942ELNS1_3gpuE9ELNS1_3repE0EEENS1_30default_config_static_selectorELNS0_4arch9wavefront6targetE1EEEvT1_,"axG",@progbits,_ZN7rocprim17ROCPRIM_400000_NS6detail17trampoline_kernelINS0_14default_configENS1_25transform_config_selectorIlLb1EEEZNS1_14transform_implILb1ES3_S5_PlS7_NS0_8identityIlEEEE10hipError_tT2_T3_mT4_P12ihipStream_tbEUlT_E_NS1_11comp_targetILNS1_3genE5ELNS1_11target_archE942ELNS1_3gpuE9ELNS1_3repE0EEENS1_30default_config_static_selectorELNS0_4arch9wavefront6targetE1EEEvT1_,comdat
	.protected	_ZN7rocprim17ROCPRIM_400000_NS6detail17trampoline_kernelINS0_14default_configENS1_25transform_config_selectorIlLb1EEEZNS1_14transform_implILb1ES3_S5_PlS7_NS0_8identityIlEEEE10hipError_tT2_T3_mT4_P12ihipStream_tbEUlT_E_NS1_11comp_targetILNS1_3genE5ELNS1_11target_archE942ELNS1_3gpuE9ELNS1_3repE0EEENS1_30default_config_static_selectorELNS0_4arch9wavefront6targetE1EEEvT1_ ; -- Begin function _ZN7rocprim17ROCPRIM_400000_NS6detail17trampoline_kernelINS0_14default_configENS1_25transform_config_selectorIlLb1EEEZNS1_14transform_implILb1ES3_S5_PlS7_NS0_8identityIlEEEE10hipError_tT2_T3_mT4_P12ihipStream_tbEUlT_E_NS1_11comp_targetILNS1_3genE5ELNS1_11target_archE942ELNS1_3gpuE9ELNS1_3repE0EEENS1_30default_config_static_selectorELNS0_4arch9wavefront6targetE1EEEvT1_
	.globl	_ZN7rocprim17ROCPRIM_400000_NS6detail17trampoline_kernelINS0_14default_configENS1_25transform_config_selectorIlLb1EEEZNS1_14transform_implILb1ES3_S5_PlS7_NS0_8identityIlEEEE10hipError_tT2_T3_mT4_P12ihipStream_tbEUlT_E_NS1_11comp_targetILNS1_3genE5ELNS1_11target_archE942ELNS1_3gpuE9ELNS1_3repE0EEENS1_30default_config_static_selectorELNS0_4arch9wavefront6targetE1EEEvT1_
	.p2align	8
	.type	_ZN7rocprim17ROCPRIM_400000_NS6detail17trampoline_kernelINS0_14default_configENS1_25transform_config_selectorIlLb1EEEZNS1_14transform_implILb1ES3_S5_PlS7_NS0_8identityIlEEEE10hipError_tT2_T3_mT4_P12ihipStream_tbEUlT_E_NS1_11comp_targetILNS1_3genE5ELNS1_11target_archE942ELNS1_3gpuE9ELNS1_3repE0EEENS1_30default_config_static_selectorELNS0_4arch9wavefront6targetE1EEEvT1_,@function
_ZN7rocprim17ROCPRIM_400000_NS6detail17trampoline_kernelINS0_14default_configENS1_25transform_config_selectorIlLb1EEEZNS1_14transform_implILb1ES3_S5_PlS7_NS0_8identityIlEEEE10hipError_tT2_T3_mT4_P12ihipStream_tbEUlT_E_NS1_11comp_targetILNS1_3genE5ELNS1_11target_archE942ELNS1_3gpuE9ELNS1_3repE0EEENS1_30default_config_static_selectorELNS0_4arch9wavefront6targetE1EEEvT1_: ; @_ZN7rocprim17ROCPRIM_400000_NS6detail17trampoline_kernelINS0_14default_configENS1_25transform_config_selectorIlLb1EEEZNS1_14transform_implILb1ES3_S5_PlS7_NS0_8identityIlEEEE10hipError_tT2_T3_mT4_P12ihipStream_tbEUlT_E_NS1_11comp_targetILNS1_3genE5ELNS1_11target_archE942ELNS1_3gpuE9ELNS1_3repE0EEENS1_30default_config_static_selectorELNS0_4arch9wavefront6targetE1EEEvT1_
; %bb.0:
	.section	.rodata,"a",@progbits
	.p2align	6, 0x0
	.amdhsa_kernel _ZN7rocprim17ROCPRIM_400000_NS6detail17trampoline_kernelINS0_14default_configENS1_25transform_config_selectorIlLb1EEEZNS1_14transform_implILb1ES3_S5_PlS7_NS0_8identityIlEEEE10hipError_tT2_T3_mT4_P12ihipStream_tbEUlT_E_NS1_11comp_targetILNS1_3genE5ELNS1_11target_archE942ELNS1_3gpuE9ELNS1_3repE0EEENS1_30default_config_static_selectorELNS0_4arch9wavefront6targetE1EEEvT1_
		.amdhsa_group_segment_fixed_size 0
		.amdhsa_private_segment_fixed_size 0
		.amdhsa_kernarg_size 40
		.amdhsa_user_sgpr_count 6
		.amdhsa_user_sgpr_private_segment_buffer 1
		.amdhsa_user_sgpr_dispatch_ptr 0
		.amdhsa_user_sgpr_queue_ptr 0
		.amdhsa_user_sgpr_kernarg_segment_ptr 1
		.amdhsa_user_sgpr_dispatch_id 0
		.amdhsa_user_sgpr_flat_scratch_init 0
		.amdhsa_user_sgpr_kernarg_preload_length 0
		.amdhsa_user_sgpr_kernarg_preload_offset 0
		.amdhsa_user_sgpr_private_segment_size 0
		.amdhsa_uses_dynamic_stack 0
		.amdhsa_system_sgpr_private_segment_wavefront_offset 0
		.amdhsa_system_sgpr_workgroup_id_x 1
		.amdhsa_system_sgpr_workgroup_id_y 0
		.amdhsa_system_sgpr_workgroup_id_z 0
		.amdhsa_system_sgpr_workgroup_info 0
		.amdhsa_system_vgpr_workitem_id 0
		.amdhsa_next_free_vgpr 1
		.amdhsa_next_free_sgpr 0
		.amdhsa_accum_offset 4
		.amdhsa_reserve_vcc 0
		.amdhsa_reserve_flat_scratch 0
		.amdhsa_float_round_mode_32 0
		.amdhsa_float_round_mode_16_64 0
		.amdhsa_float_denorm_mode_32 3
		.amdhsa_float_denorm_mode_16_64 3
		.amdhsa_dx10_clamp 1
		.amdhsa_ieee_mode 1
		.amdhsa_fp16_overflow 0
		.amdhsa_tg_split 0
		.amdhsa_exception_fp_ieee_invalid_op 0
		.amdhsa_exception_fp_denorm_src 0
		.amdhsa_exception_fp_ieee_div_zero 0
		.amdhsa_exception_fp_ieee_overflow 0
		.amdhsa_exception_fp_ieee_underflow 0
		.amdhsa_exception_fp_ieee_inexact 0
		.amdhsa_exception_int_div_zero 0
	.end_amdhsa_kernel
	.section	.text._ZN7rocprim17ROCPRIM_400000_NS6detail17trampoline_kernelINS0_14default_configENS1_25transform_config_selectorIlLb1EEEZNS1_14transform_implILb1ES3_S5_PlS7_NS0_8identityIlEEEE10hipError_tT2_T3_mT4_P12ihipStream_tbEUlT_E_NS1_11comp_targetILNS1_3genE5ELNS1_11target_archE942ELNS1_3gpuE9ELNS1_3repE0EEENS1_30default_config_static_selectorELNS0_4arch9wavefront6targetE1EEEvT1_,"axG",@progbits,_ZN7rocprim17ROCPRIM_400000_NS6detail17trampoline_kernelINS0_14default_configENS1_25transform_config_selectorIlLb1EEEZNS1_14transform_implILb1ES3_S5_PlS7_NS0_8identityIlEEEE10hipError_tT2_T3_mT4_P12ihipStream_tbEUlT_E_NS1_11comp_targetILNS1_3genE5ELNS1_11target_archE942ELNS1_3gpuE9ELNS1_3repE0EEENS1_30default_config_static_selectorELNS0_4arch9wavefront6targetE1EEEvT1_,comdat
.Lfunc_end1060:
	.size	_ZN7rocprim17ROCPRIM_400000_NS6detail17trampoline_kernelINS0_14default_configENS1_25transform_config_selectorIlLb1EEEZNS1_14transform_implILb1ES3_S5_PlS7_NS0_8identityIlEEEE10hipError_tT2_T3_mT4_P12ihipStream_tbEUlT_E_NS1_11comp_targetILNS1_3genE5ELNS1_11target_archE942ELNS1_3gpuE9ELNS1_3repE0EEENS1_30default_config_static_selectorELNS0_4arch9wavefront6targetE1EEEvT1_, .Lfunc_end1060-_ZN7rocprim17ROCPRIM_400000_NS6detail17trampoline_kernelINS0_14default_configENS1_25transform_config_selectorIlLb1EEEZNS1_14transform_implILb1ES3_S5_PlS7_NS0_8identityIlEEEE10hipError_tT2_T3_mT4_P12ihipStream_tbEUlT_E_NS1_11comp_targetILNS1_3genE5ELNS1_11target_archE942ELNS1_3gpuE9ELNS1_3repE0EEENS1_30default_config_static_selectorELNS0_4arch9wavefront6targetE1EEEvT1_
                                        ; -- End function
	.section	.AMDGPU.csdata,"",@progbits
; Kernel info:
; codeLenInByte = 0
; NumSgprs: 4
; NumVgprs: 0
; NumAgprs: 0
; TotalNumVgprs: 0
; ScratchSize: 0
; MemoryBound: 0
; FloatMode: 240
; IeeeMode: 1
; LDSByteSize: 0 bytes/workgroup (compile time only)
; SGPRBlocks: 0
; VGPRBlocks: 0
; NumSGPRsForWavesPerEU: 4
; NumVGPRsForWavesPerEU: 1
; AccumOffset: 4
; Occupancy: 8
; WaveLimiterHint : 0
; COMPUTE_PGM_RSRC2:SCRATCH_EN: 0
; COMPUTE_PGM_RSRC2:USER_SGPR: 6
; COMPUTE_PGM_RSRC2:TRAP_HANDLER: 0
; COMPUTE_PGM_RSRC2:TGID_X_EN: 1
; COMPUTE_PGM_RSRC2:TGID_Y_EN: 0
; COMPUTE_PGM_RSRC2:TGID_Z_EN: 0
; COMPUTE_PGM_RSRC2:TIDIG_COMP_CNT: 0
; COMPUTE_PGM_RSRC3_GFX90A:ACCUM_OFFSET: 0
; COMPUTE_PGM_RSRC3_GFX90A:TG_SPLIT: 0
	.section	.text._ZN7rocprim17ROCPRIM_400000_NS6detail17trampoline_kernelINS0_14default_configENS1_25transform_config_selectorIlLb1EEEZNS1_14transform_implILb1ES3_S5_PlS7_NS0_8identityIlEEEE10hipError_tT2_T3_mT4_P12ihipStream_tbEUlT_E_NS1_11comp_targetILNS1_3genE4ELNS1_11target_archE910ELNS1_3gpuE8ELNS1_3repE0EEENS1_30default_config_static_selectorELNS0_4arch9wavefront6targetE1EEEvT1_,"axG",@progbits,_ZN7rocprim17ROCPRIM_400000_NS6detail17trampoline_kernelINS0_14default_configENS1_25transform_config_selectorIlLb1EEEZNS1_14transform_implILb1ES3_S5_PlS7_NS0_8identityIlEEEE10hipError_tT2_T3_mT4_P12ihipStream_tbEUlT_E_NS1_11comp_targetILNS1_3genE4ELNS1_11target_archE910ELNS1_3gpuE8ELNS1_3repE0EEENS1_30default_config_static_selectorELNS0_4arch9wavefront6targetE1EEEvT1_,comdat
	.protected	_ZN7rocprim17ROCPRIM_400000_NS6detail17trampoline_kernelINS0_14default_configENS1_25transform_config_selectorIlLb1EEEZNS1_14transform_implILb1ES3_S5_PlS7_NS0_8identityIlEEEE10hipError_tT2_T3_mT4_P12ihipStream_tbEUlT_E_NS1_11comp_targetILNS1_3genE4ELNS1_11target_archE910ELNS1_3gpuE8ELNS1_3repE0EEENS1_30default_config_static_selectorELNS0_4arch9wavefront6targetE1EEEvT1_ ; -- Begin function _ZN7rocprim17ROCPRIM_400000_NS6detail17trampoline_kernelINS0_14default_configENS1_25transform_config_selectorIlLb1EEEZNS1_14transform_implILb1ES3_S5_PlS7_NS0_8identityIlEEEE10hipError_tT2_T3_mT4_P12ihipStream_tbEUlT_E_NS1_11comp_targetILNS1_3genE4ELNS1_11target_archE910ELNS1_3gpuE8ELNS1_3repE0EEENS1_30default_config_static_selectorELNS0_4arch9wavefront6targetE1EEEvT1_
	.globl	_ZN7rocprim17ROCPRIM_400000_NS6detail17trampoline_kernelINS0_14default_configENS1_25transform_config_selectorIlLb1EEEZNS1_14transform_implILb1ES3_S5_PlS7_NS0_8identityIlEEEE10hipError_tT2_T3_mT4_P12ihipStream_tbEUlT_E_NS1_11comp_targetILNS1_3genE4ELNS1_11target_archE910ELNS1_3gpuE8ELNS1_3repE0EEENS1_30default_config_static_selectorELNS0_4arch9wavefront6targetE1EEEvT1_
	.p2align	8
	.type	_ZN7rocprim17ROCPRIM_400000_NS6detail17trampoline_kernelINS0_14default_configENS1_25transform_config_selectorIlLb1EEEZNS1_14transform_implILb1ES3_S5_PlS7_NS0_8identityIlEEEE10hipError_tT2_T3_mT4_P12ihipStream_tbEUlT_E_NS1_11comp_targetILNS1_3genE4ELNS1_11target_archE910ELNS1_3gpuE8ELNS1_3repE0EEENS1_30default_config_static_selectorELNS0_4arch9wavefront6targetE1EEEvT1_,@function
_ZN7rocprim17ROCPRIM_400000_NS6detail17trampoline_kernelINS0_14default_configENS1_25transform_config_selectorIlLb1EEEZNS1_14transform_implILb1ES3_S5_PlS7_NS0_8identityIlEEEE10hipError_tT2_T3_mT4_P12ihipStream_tbEUlT_E_NS1_11comp_targetILNS1_3genE4ELNS1_11target_archE910ELNS1_3gpuE8ELNS1_3repE0EEENS1_30default_config_static_selectorELNS0_4arch9wavefront6targetE1EEEvT1_: ; @_ZN7rocprim17ROCPRIM_400000_NS6detail17trampoline_kernelINS0_14default_configENS1_25transform_config_selectorIlLb1EEEZNS1_14transform_implILb1ES3_S5_PlS7_NS0_8identityIlEEEE10hipError_tT2_T3_mT4_P12ihipStream_tbEUlT_E_NS1_11comp_targetILNS1_3genE4ELNS1_11target_archE910ELNS1_3gpuE8ELNS1_3repE0EEENS1_30default_config_static_selectorELNS0_4arch9wavefront6targetE1EEEvT1_
; %bb.0:
	s_load_dwordx8 s[8:15], s[4:5], 0x0
	s_load_dword s2, s[4:5], 0x28
	s_waitcnt lgkmcnt(0)
	s_lshl_b64 s[0:1], s[10:11], 3
	s_add_u32 s4, s8, s0
	s_addc_u32 s5, s9, s1
	s_add_u32 s8, s14, s0
	s_addc_u32 s9, s15, s1
	s_lshl_b32 s0, s6, 11
	s_mov_b32 s1, 0
	s_add_i32 s7, s2, -1
	s_lshl_b64 s[2:3], s[0:1], 3
	s_add_u32 s4, s4, s2
	s_addc_u32 s5, s5, s3
	s_cmp_lg_u32 s6, s7
	s_mov_b64 s[6:7], -1
	s_cbranch_scc0 .LBB1061_2
; %bb.1:
	v_lshlrev_b32_e32 v1, 4, v0
	global_load_dwordx4 v[2:5], v1, s[4:5]
	s_add_u32 s6, s8, s2
	s_addc_u32 s7, s9, s3
	s_waitcnt vmcnt(0)
	global_store_dwordx4 v1, v[2:5], s[6:7]
	s_mov_b64 s[6:7], 0
.LBB1061_2:
	s_andn2_b64 vcc, exec, s[6:7]
	s_cbranch_vccnz .LBB1061_11
; %bb.3:
	s_sub_i32 s6, s12, s0
	v_cmp_gt_u32_e32 vcc, s6, v0
	v_lshlrev_b32_e32 v1, 3, v0
                                        ; implicit-def: $vgpr2_vgpr3_vgpr4_vgpr5
	s_and_saveexec_b64 s[0:1], vcc
	s_cbranch_execz .LBB1061_5
; %bb.4:
	global_load_dwordx2 v[2:3], v1, s[4:5]
.LBB1061_5:
	s_or_b64 exec, exec, s[0:1]
	v_or_b32_e32 v0, 0x400, v0
	v_cmp_gt_u32_e64 s[0:1], s6, v0
	s_and_saveexec_b64 s[6:7], s[0:1]
	s_cbranch_execz .LBB1061_7
; %bb.6:
	v_lshlrev_b32_e32 v0, 3, v0
	global_load_dwordx2 v[4:5], v0, s[4:5]
.LBB1061_7:
	s_or_b64 exec, exec, s[6:7]
	s_add_u32 s2, s8, s2
	s_addc_u32 s3, s9, s3
	v_mov_b32_e32 v6, s3
	v_add_co_u32_e64 v0, s[2:3], s2, v1
	v_addc_co_u32_e64 v1, s[2:3], 0, v6, s[2:3]
	s_and_saveexec_b64 s[2:3], vcc
	s_cbranch_execz .LBB1061_9
; %bb.8:
	s_waitcnt vmcnt(0)
	global_store_dwordx2 v[0:1], v[2:3], off
.LBB1061_9:
	s_or_b64 exec, exec, s[2:3]
	s_and_saveexec_b64 s[2:3], s[0:1]
	s_cbranch_execz .LBB1061_11
; %bb.10:
	v_add_co_u32_e32 v0, vcc, 0x2000, v0
	v_addc_co_u32_e32 v1, vcc, 0, v1, vcc
	s_waitcnt vmcnt(0)
	global_store_dwordx2 v[0:1], v[4:5], off
.LBB1061_11:
	s_endpgm
	.section	.rodata,"a",@progbits
	.p2align	6, 0x0
	.amdhsa_kernel _ZN7rocprim17ROCPRIM_400000_NS6detail17trampoline_kernelINS0_14default_configENS1_25transform_config_selectorIlLb1EEEZNS1_14transform_implILb1ES3_S5_PlS7_NS0_8identityIlEEEE10hipError_tT2_T3_mT4_P12ihipStream_tbEUlT_E_NS1_11comp_targetILNS1_3genE4ELNS1_11target_archE910ELNS1_3gpuE8ELNS1_3repE0EEENS1_30default_config_static_selectorELNS0_4arch9wavefront6targetE1EEEvT1_
		.amdhsa_group_segment_fixed_size 0
		.amdhsa_private_segment_fixed_size 0
		.amdhsa_kernarg_size 296
		.amdhsa_user_sgpr_count 6
		.amdhsa_user_sgpr_private_segment_buffer 1
		.amdhsa_user_sgpr_dispatch_ptr 0
		.amdhsa_user_sgpr_queue_ptr 0
		.amdhsa_user_sgpr_kernarg_segment_ptr 1
		.amdhsa_user_sgpr_dispatch_id 0
		.amdhsa_user_sgpr_flat_scratch_init 0
		.amdhsa_user_sgpr_kernarg_preload_length 0
		.amdhsa_user_sgpr_kernarg_preload_offset 0
		.amdhsa_user_sgpr_private_segment_size 0
		.amdhsa_uses_dynamic_stack 0
		.amdhsa_system_sgpr_private_segment_wavefront_offset 0
		.amdhsa_system_sgpr_workgroup_id_x 1
		.amdhsa_system_sgpr_workgroup_id_y 0
		.amdhsa_system_sgpr_workgroup_id_z 0
		.amdhsa_system_sgpr_workgroup_info 0
		.amdhsa_system_vgpr_workitem_id 0
		.amdhsa_next_free_vgpr 7
		.amdhsa_next_free_sgpr 16
		.amdhsa_accum_offset 8
		.amdhsa_reserve_vcc 1
		.amdhsa_reserve_flat_scratch 0
		.amdhsa_float_round_mode_32 0
		.amdhsa_float_round_mode_16_64 0
		.amdhsa_float_denorm_mode_32 3
		.amdhsa_float_denorm_mode_16_64 3
		.amdhsa_dx10_clamp 1
		.amdhsa_ieee_mode 1
		.amdhsa_fp16_overflow 0
		.amdhsa_tg_split 0
		.amdhsa_exception_fp_ieee_invalid_op 0
		.amdhsa_exception_fp_denorm_src 0
		.amdhsa_exception_fp_ieee_div_zero 0
		.amdhsa_exception_fp_ieee_overflow 0
		.amdhsa_exception_fp_ieee_underflow 0
		.amdhsa_exception_fp_ieee_inexact 0
		.amdhsa_exception_int_div_zero 0
	.end_amdhsa_kernel
	.section	.text._ZN7rocprim17ROCPRIM_400000_NS6detail17trampoline_kernelINS0_14default_configENS1_25transform_config_selectorIlLb1EEEZNS1_14transform_implILb1ES3_S5_PlS7_NS0_8identityIlEEEE10hipError_tT2_T3_mT4_P12ihipStream_tbEUlT_E_NS1_11comp_targetILNS1_3genE4ELNS1_11target_archE910ELNS1_3gpuE8ELNS1_3repE0EEENS1_30default_config_static_selectorELNS0_4arch9wavefront6targetE1EEEvT1_,"axG",@progbits,_ZN7rocprim17ROCPRIM_400000_NS6detail17trampoline_kernelINS0_14default_configENS1_25transform_config_selectorIlLb1EEEZNS1_14transform_implILb1ES3_S5_PlS7_NS0_8identityIlEEEE10hipError_tT2_T3_mT4_P12ihipStream_tbEUlT_E_NS1_11comp_targetILNS1_3genE4ELNS1_11target_archE910ELNS1_3gpuE8ELNS1_3repE0EEENS1_30default_config_static_selectorELNS0_4arch9wavefront6targetE1EEEvT1_,comdat
.Lfunc_end1061:
	.size	_ZN7rocprim17ROCPRIM_400000_NS6detail17trampoline_kernelINS0_14default_configENS1_25transform_config_selectorIlLb1EEEZNS1_14transform_implILb1ES3_S5_PlS7_NS0_8identityIlEEEE10hipError_tT2_T3_mT4_P12ihipStream_tbEUlT_E_NS1_11comp_targetILNS1_3genE4ELNS1_11target_archE910ELNS1_3gpuE8ELNS1_3repE0EEENS1_30default_config_static_selectorELNS0_4arch9wavefront6targetE1EEEvT1_, .Lfunc_end1061-_ZN7rocprim17ROCPRIM_400000_NS6detail17trampoline_kernelINS0_14default_configENS1_25transform_config_selectorIlLb1EEEZNS1_14transform_implILb1ES3_S5_PlS7_NS0_8identityIlEEEE10hipError_tT2_T3_mT4_P12ihipStream_tbEUlT_E_NS1_11comp_targetILNS1_3genE4ELNS1_11target_archE910ELNS1_3gpuE8ELNS1_3repE0EEENS1_30default_config_static_selectorELNS0_4arch9wavefront6targetE1EEEvT1_
                                        ; -- End function
	.section	.AMDGPU.csdata,"",@progbits
; Kernel info:
; codeLenInByte = 280
; NumSgprs: 20
; NumVgprs: 7
; NumAgprs: 0
; TotalNumVgprs: 7
; ScratchSize: 0
; MemoryBound: 1
; FloatMode: 240
; IeeeMode: 1
; LDSByteSize: 0 bytes/workgroup (compile time only)
; SGPRBlocks: 2
; VGPRBlocks: 0
; NumSGPRsForWavesPerEU: 20
; NumVGPRsForWavesPerEU: 7
; AccumOffset: 8
; Occupancy: 8
; WaveLimiterHint : 0
; COMPUTE_PGM_RSRC2:SCRATCH_EN: 0
; COMPUTE_PGM_RSRC2:USER_SGPR: 6
; COMPUTE_PGM_RSRC2:TRAP_HANDLER: 0
; COMPUTE_PGM_RSRC2:TGID_X_EN: 1
; COMPUTE_PGM_RSRC2:TGID_Y_EN: 0
; COMPUTE_PGM_RSRC2:TGID_Z_EN: 0
; COMPUTE_PGM_RSRC2:TIDIG_COMP_CNT: 0
; COMPUTE_PGM_RSRC3_GFX90A:ACCUM_OFFSET: 1
; COMPUTE_PGM_RSRC3_GFX90A:TG_SPLIT: 0
	.section	.text._ZN7rocprim17ROCPRIM_400000_NS6detail17trampoline_kernelINS0_14default_configENS1_25transform_config_selectorIlLb1EEEZNS1_14transform_implILb1ES3_S5_PlS7_NS0_8identityIlEEEE10hipError_tT2_T3_mT4_P12ihipStream_tbEUlT_E_NS1_11comp_targetILNS1_3genE3ELNS1_11target_archE908ELNS1_3gpuE7ELNS1_3repE0EEENS1_30default_config_static_selectorELNS0_4arch9wavefront6targetE1EEEvT1_,"axG",@progbits,_ZN7rocprim17ROCPRIM_400000_NS6detail17trampoline_kernelINS0_14default_configENS1_25transform_config_selectorIlLb1EEEZNS1_14transform_implILb1ES3_S5_PlS7_NS0_8identityIlEEEE10hipError_tT2_T3_mT4_P12ihipStream_tbEUlT_E_NS1_11comp_targetILNS1_3genE3ELNS1_11target_archE908ELNS1_3gpuE7ELNS1_3repE0EEENS1_30default_config_static_selectorELNS0_4arch9wavefront6targetE1EEEvT1_,comdat
	.protected	_ZN7rocprim17ROCPRIM_400000_NS6detail17trampoline_kernelINS0_14default_configENS1_25transform_config_selectorIlLb1EEEZNS1_14transform_implILb1ES3_S5_PlS7_NS0_8identityIlEEEE10hipError_tT2_T3_mT4_P12ihipStream_tbEUlT_E_NS1_11comp_targetILNS1_3genE3ELNS1_11target_archE908ELNS1_3gpuE7ELNS1_3repE0EEENS1_30default_config_static_selectorELNS0_4arch9wavefront6targetE1EEEvT1_ ; -- Begin function _ZN7rocprim17ROCPRIM_400000_NS6detail17trampoline_kernelINS0_14default_configENS1_25transform_config_selectorIlLb1EEEZNS1_14transform_implILb1ES3_S5_PlS7_NS0_8identityIlEEEE10hipError_tT2_T3_mT4_P12ihipStream_tbEUlT_E_NS1_11comp_targetILNS1_3genE3ELNS1_11target_archE908ELNS1_3gpuE7ELNS1_3repE0EEENS1_30default_config_static_selectorELNS0_4arch9wavefront6targetE1EEEvT1_
	.globl	_ZN7rocprim17ROCPRIM_400000_NS6detail17trampoline_kernelINS0_14default_configENS1_25transform_config_selectorIlLb1EEEZNS1_14transform_implILb1ES3_S5_PlS7_NS0_8identityIlEEEE10hipError_tT2_T3_mT4_P12ihipStream_tbEUlT_E_NS1_11comp_targetILNS1_3genE3ELNS1_11target_archE908ELNS1_3gpuE7ELNS1_3repE0EEENS1_30default_config_static_selectorELNS0_4arch9wavefront6targetE1EEEvT1_
	.p2align	8
	.type	_ZN7rocprim17ROCPRIM_400000_NS6detail17trampoline_kernelINS0_14default_configENS1_25transform_config_selectorIlLb1EEEZNS1_14transform_implILb1ES3_S5_PlS7_NS0_8identityIlEEEE10hipError_tT2_T3_mT4_P12ihipStream_tbEUlT_E_NS1_11comp_targetILNS1_3genE3ELNS1_11target_archE908ELNS1_3gpuE7ELNS1_3repE0EEENS1_30default_config_static_selectorELNS0_4arch9wavefront6targetE1EEEvT1_,@function
_ZN7rocprim17ROCPRIM_400000_NS6detail17trampoline_kernelINS0_14default_configENS1_25transform_config_selectorIlLb1EEEZNS1_14transform_implILb1ES3_S5_PlS7_NS0_8identityIlEEEE10hipError_tT2_T3_mT4_P12ihipStream_tbEUlT_E_NS1_11comp_targetILNS1_3genE3ELNS1_11target_archE908ELNS1_3gpuE7ELNS1_3repE0EEENS1_30default_config_static_selectorELNS0_4arch9wavefront6targetE1EEEvT1_: ; @_ZN7rocprim17ROCPRIM_400000_NS6detail17trampoline_kernelINS0_14default_configENS1_25transform_config_selectorIlLb1EEEZNS1_14transform_implILb1ES3_S5_PlS7_NS0_8identityIlEEEE10hipError_tT2_T3_mT4_P12ihipStream_tbEUlT_E_NS1_11comp_targetILNS1_3genE3ELNS1_11target_archE908ELNS1_3gpuE7ELNS1_3repE0EEENS1_30default_config_static_selectorELNS0_4arch9wavefront6targetE1EEEvT1_
; %bb.0:
	.section	.rodata,"a",@progbits
	.p2align	6, 0x0
	.amdhsa_kernel _ZN7rocprim17ROCPRIM_400000_NS6detail17trampoline_kernelINS0_14default_configENS1_25transform_config_selectorIlLb1EEEZNS1_14transform_implILb1ES3_S5_PlS7_NS0_8identityIlEEEE10hipError_tT2_T3_mT4_P12ihipStream_tbEUlT_E_NS1_11comp_targetILNS1_3genE3ELNS1_11target_archE908ELNS1_3gpuE7ELNS1_3repE0EEENS1_30default_config_static_selectorELNS0_4arch9wavefront6targetE1EEEvT1_
		.amdhsa_group_segment_fixed_size 0
		.amdhsa_private_segment_fixed_size 0
		.amdhsa_kernarg_size 40
		.amdhsa_user_sgpr_count 6
		.amdhsa_user_sgpr_private_segment_buffer 1
		.amdhsa_user_sgpr_dispatch_ptr 0
		.amdhsa_user_sgpr_queue_ptr 0
		.amdhsa_user_sgpr_kernarg_segment_ptr 1
		.amdhsa_user_sgpr_dispatch_id 0
		.amdhsa_user_sgpr_flat_scratch_init 0
		.amdhsa_user_sgpr_kernarg_preload_length 0
		.amdhsa_user_sgpr_kernarg_preload_offset 0
		.amdhsa_user_sgpr_private_segment_size 0
		.amdhsa_uses_dynamic_stack 0
		.amdhsa_system_sgpr_private_segment_wavefront_offset 0
		.amdhsa_system_sgpr_workgroup_id_x 1
		.amdhsa_system_sgpr_workgroup_id_y 0
		.amdhsa_system_sgpr_workgroup_id_z 0
		.amdhsa_system_sgpr_workgroup_info 0
		.amdhsa_system_vgpr_workitem_id 0
		.amdhsa_next_free_vgpr 1
		.amdhsa_next_free_sgpr 0
		.amdhsa_accum_offset 4
		.amdhsa_reserve_vcc 0
		.amdhsa_reserve_flat_scratch 0
		.amdhsa_float_round_mode_32 0
		.amdhsa_float_round_mode_16_64 0
		.amdhsa_float_denorm_mode_32 3
		.amdhsa_float_denorm_mode_16_64 3
		.amdhsa_dx10_clamp 1
		.amdhsa_ieee_mode 1
		.amdhsa_fp16_overflow 0
		.amdhsa_tg_split 0
		.amdhsa_exception_fp_ieee_invalid_op 0
		.amdhsa_exception_fp_denorm_src 0
		.amdhsa_exception_fp_ieee_div_zero 0
		.amdhsa_exception_fp_ieee_overflow 0
		.amdhsa_exception_fp_ieee_underflow 0
		.amdhsa_exception_fp_ieee_inexact 0
		.amdhsa_exception_int_div_zero 0
	.end_amdhsa_kernel
	.section	.text._ZN7rocprim17ROCPRIM_400000_NS6detail17trampoline_kernelINS0_14default_configENS1_25transform_config_selectorIlLb1EEEZNS1_14transform_implILb1ES3_S5_PlS7_NS0_8identityIlEEEE10hipError_tT2_T3_mT4_P12ihipStream_tbEUlT_E_NS1_11comp_targetILNS1_3genE3ELNS1_11target_archE908ELNS1_3gpuE7ELNS1_3repE0EEENS1_30default_config_static_selectorELNS0_4arch9wavefront6targetE1EEEvT1_,"axG",@progbits,_ZN7rocprim17ROCPRIM_400000_NS6detail17trampoline_kernelINS0_14default_configENS1_25transform_config_selectorIlLb1EEEZNS1_14transform_implILb1ES3_S5_PlS7_NS0_8identityIlEEEE10hipError_tT2_T3_mT4_P12ihipStream_tbEUlT_E_NS1_11comp_targetILNS1_3genE3ELNS1_11target_archE908ELNS1_3gpuE7ELNS1_3repE0EEENS1_30default_config_static_selectorELNS0_4arch9wavefront6targetE1EEEvT1_,comdat
.Lfunc_end1062:
	.size	_ZN7rocprim17ROCPRIM_400000_NS6detail17trampoline_kernelINS0_14default_configENS1_25transform_config_selectorIlLb1EEEZNS1_14transform_implILb1ES3_S5_PlS7_NS0_8identityIlEEEE10hipError_tT2_T3_mT4_P12ihipStream_tbEUlT_E_NS1_11comp_targetILNS1_3genE3ELNS1_11target_archE908ELNS1_3gpuE7ELNS1_3repE0EEENS1_30default_config_static_selectorELNS0_4arch9wavefront6targetE1EEEvT1_, .Lfunc_end1062-_ZN7rocprim17ROCPRIM_400000_NS6detail17trampoline_kernelINS0_14default_configENS1_25transform_config_selectorIlLb1EEEZNS1_14transform_implILb1ES3_S5_PlS7_NS0_8identityIlEEEE10hipError_tT2_T3_mT4_P12ihipStream_tbEUlT_E_NS1_11comp_targetILNS1_3genE3ELNS1_11target_archE908ELNS1_3gpuE7ELNS1_3repE0EEENS1_30default_config_static_selectorELNS0_4arch9wavefront6targetE1EEEvT1_
                                        ; -- End function
	.section	.AMDGPU.csdata,"",@progbits
; Kernel info:
; codeLenInByte = 0
; NumSgprs: 4
; NumVgprs: 0
; NumAgprs: 0
; TotalNumVgprs: 0
; ScratchSize: 0
; MemoryBound: 0
; FloatMode: 240
; IeeeMode: 1
; LDSByteSize: 0 bytes/workgroup (compile time only)
; SGPRBlocks: 0
; VGPRBlocks: 0
; NumSGPRsForWavesPerEU: 4
; NumVGPRsForWavesPerEU: 1
; AccumOffset: 4
; Occupancy: 8
; WaveLimiterHint : 0
; COMPUTE_PGM_RSRC2:SCRATCH_EN: 0
; COMPUTE_PGM_RSRC2:USER_SGPR: 6
; COMPUTE_PGM_RSRC2:TRAP_HANDLER: 0
; COMPUTE_PGM_RSRC2:TGID_X_EN: 1
; COMPUTE_PGM_RSRC2:TGID_Y_EN: 0
; COMPUTE_PGM_RSRC2:TGID_Z_EN: 0
; COMPUTE_PGM_RSRC2:TIDIG_COMP_CNT: 0
; COMPUTE_PGM_RSRC3_GFX90A:ACCUM_OFFSET: 0
; COMPUTE_PGM_RSRC3_GFX90A:TG_SPLIT: 0
	.section	.text._ZN7rocprim17ROCPRIM_400000_NS6detail17trampoline_kernelINS0_14default_configENS1_25transform_config_selectorIlLb1EEEZNS1_14transform_implILb1ES3_S5_PlS7_NS0_8identityIlEEEE10hipError_tT2_T3_mT4_P12ihipStream_tbEUlT_E_NS1_11comp_targetILNS1_3genE2ELNS1_11target_archE906ELNS1_3gpuE6ELNS1_3repE0EEENS1_30default_config_static_selectorELNS0_4arch9wavefront6targetE1EEEvT1_,"axG",@progbits,_ZN7rocprim17ROCPRIM_400000_NS6detail17trampoline_kernelINS0_14default_configENS1_25transform_config_selectorIlLb1EEEZNS1_14transform_implILb1ES3_S5_PlS7_NS0_8identityIlEEEE10hipError_tT2_T3_mT4_P12ihipStream_tbEUlT_E_NS1_11comp_targetILNS1_3genE2ELNS1_11target_archE906ELNS1_3gpuE6ELNS1_3repE0EEENS1_30default_config_static_selectorELNS0_4arch9wavefront6targetE1EEEvT1_,comdat
	.protected	_ZN7rocprim17ROCPRIM_400000_NS6detail17trampoline_kernelINS0_14default_configENS1_25transform_config_selectorIlLb1EEEZNS1_14transform_implILb1ES3_S5_PlS7_NS0_8identityIlEEEE10hipError_tT2_T3_mT4_P12ihipStream_tbEUlT_E_NS1_11comp_targetILNS1_3genE2ELNS1_11target_archE906ELNS1_3gpuE6ELNS1_3repE0EEENS1_30default_config_static_selectorELNS0_4arch9wavefront6targetE1EEEvT1_ ; -- Begin function _ZN7rocprim17ROCPRIM_400000_NS6detail17trampoline_kernelINS0_14default_configENS1_25transform_config_selectorIlLb1EEEZNS1_14transform_implILb1ES3_S5_PlS7_NS0_8identityIlEEEE10hipError_tT2_T3_mT4_P12ihipStream_tbEUlT_E_NS1_11comp_targetILNS1_3genE2ELNS1_11target_archE906ELNS1_3gpuE6ELNS1_3repE0EEENS1_30default_config_static_selectorELNS0_4arch9wavefront6targetE1EEEvT1_
	.globl	_ZN7rocprim17ROCPRIM_400000_NS6detail17trampoline_kernelINS0_14default_configENS1_25transform_config_selectorIlLb1EEEZNS1_14transform_implILb1ES3_S5_PlS7_NS0_8identityIlEEEE10hipError_tT2_T3_mT4_P12ihipStream_tbEUlT_E_NS1_11comp_targetILNS1_3genE2ELNS1_11target_archE906ELNS1_3gpuE6ELNS1_3repE0EEENS1_30default_config_static_selectorELNS0_4arch9wavefront6targetE1EEEvT1_
	.p2align	8
	.type	_ZN7rocprim17ROCPRIM_400000_NS6detail17trampoline_kernelINS0_14default_configENS1_25transform_config_selectorIlLb1EEEZNS1_14transform_implILb1ES3_S5_PlS7_NS0_8identityIlEEEE10hipError_tT2_T3_mT4_P12ihipStream_tbEUlT_E_NS1_11comp_targetILNS1_3genE2ELNS1_11target_archE906ELNS1_3gpuE6ELNS1_3repE0EEENS1_30default_config_static_selectorELNS0_4arch9wavefront6targetE1EEEvT1_,@function
_ZN7rocprim17ROCPRIM_400000_NS6detail17trampoline_kernelINS0_14default_configENS1_25transform_config_selectorIlLb1EEEZNS1_14transform_implILb1ES3_S5_PlS7_NS0_8identityIlEEEE10hipError_tT2_T3_mT4_P12ihipStream_tbEUlT_E_NS1_11comp_targetILNS1_3genE2ELNS1_11target_archE906ELNS1_3gpuE6ELNS1_3repE0EEENS1_30default_config_static_selectorELNS0_4arch9wavefront6targetE1EEEvT1_: ; @_ZN7rocprim17ROCPRIM_400000_NS6detail17trampoline_kernelINS0_14default_configENS1_25transform_config_selectorIlLb1EEEZNS1_14transform_implILb1ES3_S5_PlS7_NS0_8identityIlEEEE10hipError_tT2_T3_mT4_P12ihipStream_tbEUlT_E_NS1_11comp_targetILNS1_3genE2ELNS1_11target_archE906ELNS1_3gpuE6ELNS1_3repE0EEENS1_30default_config_static_selectorELNS0_4arch9wavefront6targetE1EEEvT1_
; %bb.0:
	.section	.rodata,"a",@progbits
	.p2align	6, 0x0
	.amdhsa_kernel _ZN7rocprim17ROCPRIM_400000_NS6detail17trampoline_kernelINS0_14default_configENS1_25transform_config_selectorIlLb1EEEZNS1_14transform_implILb1ES3_S5_PlS7_NS0_8identityIlEEEE10hipError_tT2_T3_mT4_P12ihipStream_tbEUlT_E_NS1_11comp_targetILNS1_3genE2ELNS1_11target_archE906ELNS1_3gpuE6ELNS1_3repE0EEENS1_30default_config_static_selectorELNS0_4arch9wavefront6targetE1EEEvT1_
		.amdhsa_group_segment_fixed_size 0
		.amdhsa_private_segment_fixed_size 0
		.amdhsa_kernarg_size 40
		.amdhsa_user_sgpr_count 6
		.amdhsa_user_sgpr_private_segment_buffer 1
		.amdhsa_user_sgpr_dispatch_ptr 0
		.amdhsa_user_sgpr_queue_ptr 0
		.amdhsa_user_sgpr_kernarg_segment_ptr 1
		.amdhsa_user_sgpr_dispatch_id 0
		.amdhsa_user_sgpr_flat_scratch_init 0
		.amdhsa_user_sgpr_kernarg_preload_length 0
		.amdhsa_user_sgpr_kernarg_preload_offset 0
		.amdhsa_user_sgpr_private_segment_size 0
		.amdhsa_uses_dynamic_stack 0
		.amdhsa_system_sgpr_private_segment_wavefront_offset 0
		.amdhsa_system_sgpr_workgroup_id_x 1
		.amdhsa_system_sgpr_workgroup_id_y 0
		.amdhsa_system_sgpr_workgroup_id_z 0
		.amdhsa_system_sgpr_workgroup_info 0
		.amdhsa_system_vgpr_workitem_id 0
		.amdhsa_next_free_vgpr 1
		.amdhsa_next_free_sgpr 0
		.amdhsa_accum_offset 4
		.amdhsa_reserve_vcc 0
		.amdhsa_reserve_flat_scratch 0
		.amdhsa_float_round_mode_32 0
		.amdhsa_float_round_mode_16_64 0
		.amdhsa_float_denorm_mode_32 3
		.amdhsa_float_denorm_mode_16_64 3
		.amdhsa_dx10_clamp 1
		.amdhsa_ieee_mode 1
		.amdhsa_fp16_overflow 0
		.amdhsa_tg_split 0
		.amdhsa_exception_fp_ieee_invalid_op 0
		.amdhsa_exception_fp_denorm_src 0
		.amdhsa_exception_fp_ieee_div_zero 0
		.amdhsa_exception_fp_ieee_overflow 0
		.amdhsa_exception_fp_ieee_underflow 0
		.amdhsa_exception_fp_ieee_inexact 0
		.amdhsa_exception_int_div_zero 0
	.end_amdhsa_kernel
	.section	.text._ZN7rocprim17ROCPRIM_400000_NS6detail17trampoline_kernelINS0_14default_configENS1_25transform_config_selectorIlLb1EEEZNS1_14transform_implILb1ES3_S5_PlS7_NS0_8identityIlEEEE10hipError_tT2_T3_mT4_P12ihipStream_tbEUlT_E_NS1_11comp_targetILNS1_3genE2ELNS1_11target_archE906ELNS1_3gpuE6ELNS1_3repE0EEENS1_30default_config_static_selectorELNS0_4arch9wavefront6targetE1EEEvT1_,"axG",@progbits,_ZN7rocprim17ROCPRIM_400000_NS6detail17trampoline_kernelINS0_14default_configENS1_25transform_config_selectorIlLb1EEEZNS1_14transform_implILb1ES3_S5_PlS7_NS0_8identityIlEEEE10hipError_tT2_T3_mT4_P12ihipStream_tbEUlT_E_NS1_11comp_targetILNS1_3genE2ELNS1_11target_archE906ELNS1_3gpuE6ELNS1_3repE0EEENS1_30default_config_static_selectorELNS0_4arch9wavefront6targetE1EEEvT1_,comdat
.Lfunc_end1063:
	.size	_ZN7rocprim17ROCPRIM_400000_NS6detail17trampoline_kernelINS0_14default_configENS1_25transform_config_selectorIlLb1EEEZNS1_14transform_implILb1ES3_S5_PlS7_NS0_8identityIlEEEE10hipError_tT2_T3_mT4_P12ihipStream_tbEUlT_E_NS1_11comp_targetILNS1_3genE2ELNS1_11target_archE906ELNS1_3gpuE6ELNS1_3repE0EEENS1_30default_config_static_selectorELNS0_4arch9wavefront6targetE1EEEvT1_, .Lfunc_end1063-_ZN7rocprim17ROCPRIM_400000_NS6detail17trampoline_kernelINS0_14default_configENS1_25transform_config_selectorIlLb1EEEZNS1_14transform_implILb1ES3_S5_PlS7_NS0_8identityIlEEEE10hipError_tT2_T3_mT4_P12ihipStream_tbEUlT_E_NS1_11comp_targetILNS1_3genE2ELNS1_11target_archE906ELNS1_3gpuE6ELNS1_3repE0EEENS1_30default_config_static_selectorELNS0_4arch9wavefront6targetE1EEEvT1_
                                        ; -- End function
	.section	.AMDGPU.csdata,"",@progbits
; Kernel info:
; codeLenInByte = 0
; NumSgprs: 4
; NumVgprs: 0
; NumAgprs: 0
; TotalNumVgprs: 0
; ScratchSize: 0
; MemoryBound: 0
; FloatMode: 240
; IeeeMode: 1
; LDSByteSize: 0 bytes/workgroup (compile time only)
; SGPRBlocks: 0
; VGPRBlocks: 0
; NumSGPRsForWavesPerEU: 4
; NumVGPRsForWavesPerEU: 1
; AccumOffset: 4
; Occupancy: 8
; WaveLimiterHint : 0
; COMPUTE_PGM_RSRC2:SCRATCH_EN: 0
; COMPUTE_PGM_RSRC2:USER_SGPR: 6
; COMPUTE_PGM_RSRC2:TRAP_HANDLER: 0
; COMPUTE_PGM_RSRC2:TGID_X_EN: 1
; COMPUTE_PGM_RSRC2:TGID_Y_EN: 0
; COMPUTE_PGM_RSRC2:TGID_Z_EN: 0
; COMPUTE_PGM_RSRC2:TIDIG_COMP_CNT: 0
; COMPUTE_PGM_RSRC3_GFX90A:ACCUM_OFFSET: 0
; COMPUTE_PGM_RSRC3_GFX90A:TG_SPLIT: 0
	.section	.text._ZN7rocprim17ROCPRIM_400000_NS6detail17trampoline_kernelINS0_14default_configENS1_25transform_config_selectorIlLb1EEEZNS1_14transform_implILb1ES3_S5_PlS7_NS0_8identityIlEEEE10hipError_tT2_T3_mT4_P12ihipStream_tbEUlT_E_NS1_11comp_targetILNS1_3genE9ELNS1_11target_archE1100ELNS1_3gpuE3ELNS1_3repE0EEENS1_30default_config_static_selectorELNS0_4arch9wavefront6targetE1EEEvT1_,"axG",@progbits,_ZN7rocprim17ROCPRIM_400000_NS6detail17trampoline_kernelINS0_14default_configENS1_25transform_config_selectorIlLb1EEEZNS1_14transform_implILb1ES3_S5_PlS7_NS0_8identityIlEEEE10hipError_tT2_T3_mT4_P12ihipStream_tbEUlT_E_NS1_11comp_targetILNS1_3genE9ELNS1_11target_archE1100ELNS1_3gpuE3ELNS1_3repE0EEENS1_30default_config_static_selectorELNS0_4arch9wavefront6targetE1EEEvT1_,comdat
	.protected	_ZN7rocprim17ROCPRIM_400000_NS6detail17trampoline_kernelINS0_14default_configENS1_25transform_config_selectorIlLb1EEEZNS1_14transform_implILb1ES3_S5_PlS7_NS0_8identityIlEEEE10hipError_tT2_T3_mT4_P12ihipStream_tbEUlT_E_NS1_11comp_targetILNS1_3genE9ELNS1_11target_archE1100ELNS1_3gpuE3ELNS1_3repE0EEENS1_30default_config_static_selectorELNS0_4arch9wavefront6targetE1EEEvT1_ ; -- Begin function _ZN7rocprim17ROCPRIM_400000_NS6detail17trampoline_kernelINS0_14default_configENS1_25transform_config_selectorIlLb1EEEZNS1_14transform_implILb1ES3_S5_PlS7_NS0_8identityIlEEEE10hipError_tT2_T3_mT4_P12ihipStream_tbEUlT_E_NS1_11comp_targetILNS1_3genE9ELNS1_11target_archE1100ELNS1_3gpuE3ELNS1_3repE0EEENS1_30default_config_static_selectorELNS0_4arch9wavefront6targetE1EEEvT1_
	.globl	_ZN7rocprim17ROCPRIM_400000_NS6detail17trampoline_kernelINS0_14default_configENS1_25transform_config_selectorIlLb1EEEZNS1_14transform_implILb1ES3_S5_PlS7_NS0_8identityIlEEEE10hipError_tT2_T3_mT4_P12ihipStream_tbEUlT_E_NS1_11comp_targetILNS1_3genE9ELNS1_11target_archE1100ELNS1_3gpuE3ELNS1_3repE0EEENS1_30default_config_static_selectorELNS0_4arch9wavefront6targetE1EEEvT1_
	.p2align	8
	.type	_ZN7rocprim17ROCPRIM_400000_NS6detail17trampoline_kernelINS0_14default_configENS1_25transform_config_selectorIlLb1EEEZNS1_14transform_implILb1ES3_S5_PlS7_NS0_8identityIlEEEE10hipError_tT2_T3_mT4_P12ihipStream_tbEUlT_E_NS1_11comp_targetILNS1_3genE9ELNS1_11target_archE1100ELNS1_3gpuE3ELNS1_3repE0EEENS1_30default_config_static_selectorELNS0_4arch9wavefront6targetE1EEEvT1_,@function
_ZN7rocprim17ROCPRIM_400000_NS6detail17trampoline_kernelINS0_14default_configENS1_25transform_config_selectorIlLb1EEEZNS1_14transform_implILb1ES3_S5_PlS7_NS0_8identityIlEEEE10hipError_tT2_T3_mT4_P12ihipStream_tbEUlT_E_NS1_11comp_targetILNS1_3genE9ELNS1_11target_archE1100ELNS1_3gpuE3ELNS1_3repE0EEENS1_30default_config_static_selectorELNS0_4arch9wavefront6targetE1EEEvT1_: ; @_ZN7rocprim17ROCPRIM_400000_NS6detail17trampoline_kernelINS0_14default_configENS1_25transform_config_selectorIlLb1EEEZNS1_14transform_implILb1ES3_S5_PlS7_NS0_8identityIlEEEE10hipError_tT2_T3_mT4_P12ihipStream_tbEUlT_E_NS1_11comp_targetILNS1_3genE9ELNS1_11target_archE1100ELNS1_3gpuE3ELNS1_3repE0EEENS1_30default_config_static_selectorELNS0_4arch9wavefront6targetE1EEEvT1_
; %bb.0:
	.section	.rodata,"a",@progbits
	.p2align	6, 0x0
	.amdhsa_kernel _ZN7rocprim17ROCPRIM_400000_NS6detail17trampoline_kernelINS0_14default_configENS1_25transform_config_selectorIlLb1EEEZNS1_14transform_implILb1ES3_S5_PlS7_NS0_8identityIlEEEE10hipError_tT2_T3_mT4_P12ihipStream_tbEUlT_E_NS1_11comp_targetILNS1_3genE9ELNS1_11target_archE1100ELNS1_3gpuE3ELNS1_3repE0EEENS1_30default_config_static_selectorELNS0_4arch9wavefront6targetE1EEEvT1_
		.amdhsa_group_segment_fixed_size 0
		.amdhsa_private_segment_fixed_size 0
		.amdhsa_kernarg_size 40
		.amdhsa_user_sgpr_count 6
		.amdhsa_user_sgpr_private_segment_buffer 1
		.amdhsa_user_sgpr_dispatch_ptr 0
		.amdhsa_user_sgpr_queue_ptr 0
		.amdhsa_user_sgpr_kernarg_segment_ptr 1
		.amdhsa_user_sgpr_dispatch_id 0
		.amdhsa_user_sgpr_flat_scratch_init 0
		.amdhsa_user_sgpr_kernarg_preload_length 0
		.amdhsa_user_sgpr_kernarg_preload_offset 0
		.amdhsa_user_sgpr_private_segment_size 0
		.amdhsa_uses_dynamic_stack 0
		.amdhsa_system_sgpr_private_segment_wavefront_offset 0
		.amdhsa_system_sgpr_workgroup_id_x 1
		.amdhsa_system_sgpr_workgroup_id_y 0
		.amdhsa_system_sgpr_workgroup_id_z 0
		.amdhsa_system_sgpr_workgroup_info 0
		.amdhsa_system_vgpr_workitem_id 0
		.amdhsa_next_free_vgpr 1
		.amdhsa_next_free_sgpr 0
		.amdhsa_accum_offset 4
		.amdhsa_reserve_vcc 0
		.amdhsa_reserve_flat_scratch 0
		.amdhsa_float_round_mode_32 0
		.amdhsa_float_round_mode_16_64 0
		.amdhsa_float_denorm_mode_32 3
		.amdhsa_float_denorm_mode_16_64 3
		.amdhsa_dx10_clamp 1
		.amdhsa_ieee_mode 1
		.amdhsa_fp16_overflow 0
		.amdhsa_tg_split 0
		.amdhsa_exception_fp_ieee_invalid_op 0
		.amdhsa_exception_fp_denorm_src 0
		.amdhsa_exception_fp_ieee_div_zero 0
		.amdhsa_exception_fp_ieee_overflow 0
		.amdhsa_exception_fp_ieee_underflow 0
		.amdhsa_exception_fp_ieee_inexact 0
		.amdhsa_exception_int_div_zero 0
	.end_amdhsa_kernel
	.section	.text._ZN7rocprim17ROCPRIM_400000_NS6detail17trampoline_kernelINS0_14default_configENS1_25transform_config_selectorIlLb1EEEZNS1_14transform_implILb1ES3_S5_PlS7_NS0_8identityIlEEEE10hipError_tT2_T3_mT4_P12ihipStream_tbEUlT_E_NS1_11comp_targetILNS1_3genE9ELNS1_11target_archE1100ELNS1_3gpuE3ELNS1_3repE0EEENS1_30default_config_static_selectorELNS0_4arch9wavefront6targetE1EEEvT1_,"axG",@progbits,_ZN7rocprim17ROCPRIM_400000_NS6detail17trampoline_kernelINS0_14default_configENS1_25transform_config_selectorIlLb1EEEZNS1_14transform_implILb1ES3_S5_PlS7_NS0_8identityIlEEEE10hipError_tT2_T3_mT4_P12ihipStream_tbEUlT_E_NS1_11comp_targetILNS1_3genE9ELNS1_11target_archE1100ELNS1_3gpuE3ELNS1_3repE0EEENS1_30default_config_static_selectorELNS0_4arch9wavefront6targetE1EEEvT1_,comdat
.Lfunc_end1064:
	.size	_ZN7rocprim17ROCPRIM_400000_NS6detail17trampoline_kernelINS0_14default_configENS1_25transform_config_selectorIlLb1EEEZNS1_14transform_implILb1ES3_S5_PlS7_NS0_8identityIlEEEE10hipError_tT2_T3_mT4_P12ihipStream_tbEUlT_E_NS1_11comp_targetILNS1_3genE9ELNS1_11target_archE1100ELNS1_3gpuE3ELNS1_3repE0EEENS1_30default_config_static_selectorELNS0_4arch9wavefront6targetE1EEEvT1_, .Lfunc_end1064-_ZN7rocprim17ROCPRIM_400000_NS6detail17trampoline_kernelINS0_14default_configENS1_25transform_config_selectorIlLb1EEEZNS1_14transform_implILb1ES3_S5_PlS7_NS0_8identityIlEEEE10hipError_tT2_T3_mT4_P12ihipStream_tbEUlT_E_NS1_11comp_targetILNS1_3genE9ELNS1_11target_archE1100ELNS1_3gpuE3ELNS1_3repE0EEENS1_30default_config_static_selectorELNS0_4arch9wavefront6targetE1EEEvT1_
                                        ; -- End function
	.section	.AMDGPU.csdata,"",@progbits
; Kernel info:
; codeLenInByte = 0
; NumSgprs: 4
; NumVgprs: 0
; NumAgprs: 0
; TotalNumVgprs: 0
; ScratchSize: 0
; MemoryBound: 0
; FloatMode: 240
; IeeeMode: 1
; LDSByteSize: 0 bytes/workgroup (compile time only)
; SGPRBlocks: 0
; VGPRBlocks: 0
; NumSGPRsForWavesPerEU: 4
; NumVGPRsForWavesPerEU: 1
; AccumOffset: 4
; Occupancy: 8
; WaveLimiterHint : 0
; COMPUTE_PGM_RSRC2:SCRATCH_EN: 0
; COMPUTE_PGM_RSRC2:USER_SGPR: 6
; COMPUTE_PGM_RSRC2:TRAP_HANDLER: 0
; COMPUTE_PGM_RSRC2:TGID_X_EN: 1
; COMPUTE_PGM_RSRC2:TGID_Y_EN: 0
; COMPUTE_PGM_RSRC2:TGID_Z_EN: 0
; COMPUTE_PGM_RSRC2:TIDIG_COMP_CNT: 0
; COMPUTE_PGM_RSRC3_GFX90A:ACCUM_OFFSET: 0
; COMPUTE_PGM_RSRC3_GFX90A:TG_SPLIT: 0
	.section	.text._ZN7rocprim17ROCPRIM_400000_NS6detail17trampoline_kernelINS0_14default_configENS1_25transform_config_selectorIlLb1EEEZNS1_14transform_implILb1ES3_S5_PlS7_NS0_8identityIlEEEE10hipError_tT2_T3_mT4_P12ihipStream_tbEUlT_E_NS1_11comp_targetILNS1_3genE8ELNS1_11target_archE1030ELNS1_3gpuE2ELNS1_3repE0EEENS1_30default_config_static_selectorELNS0_4arch9wavefront6targetE1EEEvT1_,"axG",@progbits,_ZN7rocprim17ROCPRIM_400000_NS6detail17trampoline_kernelINS0_14default_configENS1_25transform_config_selectorIlLb1EEEZNS1_14transform_implILb1ES3_S5_PlS7_NS0_8identityIlEEEE10hipError_tT2_T3_mT4_P12ihipStream_tbEUlT_E_NS1_11comp_targetILNS1_3genE8ELNS1_11target_archE1030ELNS1_3gpuE2ELNS1_3repE0EEENS1_30default_config_static_selectorELNS0_4arch9wavefront6targetE1EEEvT1_,comdat
	.protected	_ZN7rocprim17ROCPRIM_400000_NS6detail17trampoline_kernelINS0_14default_configENS1_25transform_config_selectorIlLb1EEEZNS1_14transform_implILb1ES3_S5_PlS7_NS0_8identityIlEEEE10hipError_tT2_T3_mT4_P12ihipStream_tbEUlT_E_NS1_11comp_targetILNS1_3genE8ELNS1_11target_archE1030ELNS1_3gpuE2ELNS1_3repE0EEENS1_30default_config_static_selectorELNS0_4arch9wavefront6targetE1EEEvT1_ ; -- Begin function _ZN7rocprim17ROCPRIM_400000_NS6detail17trampoline_kernelINS0_14default_configENS1_25transform_config_selectorIlLb1EEEZNS1_14transform_implILb1ES3_S5_PlS7_NS0_8identityIlEEEE10hipError_tT2_T3_mT4_P12ihipStream_tbEUlT_E_NS1_11comp_targetILNS1_3genE8ELNS1_11target_archE1030ELNS1_3gpuE2ELNS1_3repE0EEENS1_30default_config_static_selectorELNS0_4arch9wavefront6targetE1EEEvT1_
	.globl	_ZN7rocprim17ROCPRIM_400000_NS6detail17trampoline_kernelINS0_14default_configENS1_25transform_config_selectorIlLb1EEEZNS1_14transform_implILb1ES3_S5_PlS7_NS0_8identityIlEEEE10hipError_tT2_T3_mT4_P12ihipStream_tbEUlT_E_NS1_11comp_targetILNS1_3genE8ELNS1_11target_archE1030ELNS1_3gpuE2ELNS1_3repE0EEENS1_30default_config_static_selectorELNS0_4arch9wavefront6targetE1EEEvT1_
	.p2align	8
	.type	_ZN7rocprim17ROCPRIM_400000_NS6detail17trampoline_kernelINS0_14default_configENS1_25transform_config_selectorIlLb1EEEZNS1_14transform_implILb1ES3_S5_PlS7_NS0_8identityIlEEEE10hipError_tT2_T3_mT4_P12ihipStream_tbEUlT_E_NS1_11comp_targetILNS1_3genE8ELNS1_11target_archE1030ELNS1_3gpuE2ELNS1_3repE0EEENS1_30default_config_static_selectorELNS0_4arch9wavefront6targetE1EEEvT1_,@function
_ZN7rocprim17ROCPRIM_400000_NS6detail17trampoline_kernelINS0_14default_configENS1_25transform_config_selectorIlLb1EEEZNS1_14transform_implILb1ES3_S5_PlS7_NS0_8identityIlEEEE10hipError_tT2_T3_mT4_P12ihipStream_tbEUlT_E_NS1_11comp_targetILNS1_3genE8ELNS1_11target_archE1030ELNS1_3gpuE2ELNS1_3repE0EEENS1_30default_config_static_selectorELNS0_4arch9wavefront6targetE1EEEvT1_: ; @_ZN7rocprim17ROCPRIM_400000_NS6detail17trampoline_kernelINS0_14default_configENS1_25transform_config_selectorIlLb1EEEZNS1_14transform_implILb1ES3_S5_PlS7_NS0_8identityIlEEEE10hipError_tT2_T3_mT4_P12ihipStream_tbEUlT_E_NS1_11comp_targetILNS1_3genE8ELNS1_11target_archE1030ELNS1_3gpuE2ELNS1_3repE0EEENS1_30default_config_static_selectorELNS0_4arch9wavefront6targetE1EEEvT1_
; %bb.0:
	.section	.rodata,"a",@progbits
	.p2align	6, 0x0
	.amdhsa_kernel _ZN7rocprim17ROCPRIM_400000_NS6detail17trampoline_kernelINS0_14default_configENS1_25transform_config_selectorIlLb1EEEZNS1_14transform_implILb1ES3_S5_PlS7_NS0_8identityIlEEEE10hipError_tT2_T3_mT4_P12ihipStream_tbEUlT_E_NS1_11comp_targetILNS1_3genE8ELNS1_11target_archE1030ELNS1_3gpuE2ELNS1_3repE0EEENS1_30default_config_static_selectorELNS0_4arch9wavefront6targetE1EEEvT1_
		.amdhsa_group_segment_fixed_size 0
		.amdhsa_private_segment_fixed_size 0
		.amdhsa_kernarg_size 40
		.amdhsa_user_sgpr_count 6
		.amdhsa_user_sgpr_private_segment_buffer 1
		.amdhsa_user_sgpr_dispatch_ptr 0
		.amdhsa_user_sgpr_queue_ptr 0
		.amdhsa_user_sgpr_kernarg_segment_ptr 1
		.amdhsa_user_sgpr_dispatch_id 0
		.amdhsa_user_sgpr_flat_scratch_init 0
		.amdhsa_user_sgpr_kernarg_preload_length 0
		.amdhsa_user_sgpr_kernarg_preload_offset 0
		.amdhsa_user_sgpr_private_segment_size 0
		.amdhsa_uses_dynamic_stack 0
		.amdhsa_system_sgpr_private_segment_wavefront_offset 0
		.amdhsa_system_sgpr_workgroup_id_x 1
		.amdhsa_system_sgpr_workgroup_id_y 0
		.amdhsa_system_sgpr_workgroup_id_z 0
		.amdhsa_system_sgpr_workgroup_info 0
		.amdhsa_system_vgpr_workitem_id 0
		.amdhsa_next_free_vgpr 1
		.amdhsa_next_free_sgpr 0
		.amdhsa_accum_offset 4
		.amdhsa_reserve_vcc 0
		.amdhsa_reserve_flat_scratch 0
		.amdhsa_float_round_mode_32 0
		.amdhsa_float_round_mode_16_64 0
		.amdhsa_float_denorm_mode_32 3
		.amdhsa_float_denorm_mode_16_64 3
		.amdhsa_dx10_clamp 1
		.amdhsa_ieee_mode 1
		.amdhsa_fp16_overflow 0
		.amdhsa_tg_split 0
		.amdhsa_exception_fp_ieee_invalid_op 0
		.amdhsa_exception_fp_denorm_src 0
		.amdhsa_exception_fp_ieee_div_zero 0
		.amdhsa_exception_fp_ieee_overflow 0
		.amdhsa_exception_fp_ieee_underflow 0
		.amdhsa_exception_fp_ieee_inexact 0
		.amdhsa_exception_int_div_zero 0
	.end_amdhsa_kernel
	.section	.text._ZN7rocprim17ROCPRIM_400000_NS6detail17trampoline_kernelINS0_14default_configENS1_25transform_config_selectorIlLb1EEEZNS1_14transform_implILb1ES3_S5_PlS7_NS0_8identityIlEEEE10hipError_tT2_T3_mT4_P12ihipStream_tbEUlT_E_NS1_11comp_targetILNS1_3genE8ELNS1_11target_archE1030ELNS1_3gpuE2ELNS1_3repE0EEENS1_30default_config_static_selectorELNS0_4arch9wavefront6targetE1EEEvT1_,"axG",@progbits,_ZN7rocprim17ROCPRIM_400000_NS6detail17trampoline_kernelINS0_14default_configENS1_25transform_config_selectorIlLb1EEEZNS1_14transform_implILb1ES3_S5_PlS7_NS0_8identityIlEEEE10hipError_tT2_T3_mT4_P12ihipStream_tbEUlT_E_NS1_11comp_targetILNS1_3genE8ELNS1_11target_archE1030ELNS1_3gpuE2ELNS1_3repE0EEENS1_30default_config_static_selectorELNS0_4arch9wavefront6targetE1EEEvT1_,comdat
.Lfunc_end1065:
	.size	_ZN7rocprim17ROCPRIM_400000_NS6detail17trampoline_kernelINS0_14default_configENS1_25transform_config_selectorIlLb1EEEZNS1_14transform_implILb1ES3_S5_PlS7_NS0_8identityIlEEEE10hipError_tT2_T3_mT4_P12ihipStream_tbEUlT_E_NS1_11comp_targetILNS1_3genE8ELNS1_11target_archE1030ELNS1_3gpuE2ELNS1_3repE0EEENS1_30default_config_static_selectorELNS0_4arch9wavefront6targetE1EEEvT1_, .Lfunc_end1065-_ZN7rocprim17ROCPRIM_400000_NS6detail17trampoline_kernelINS0_14default_configENS1_25transform_config_selectorIlLb1EEEZNS1_14transform_implILb1ES3_S5_PlS7_NS0_8identityIlEEEE10hipError_tT2_T3_mT4_P12ihipStream_tbEUlT_E_NS1_11comp_targetILNS1_3genE8ELNS1_11target_archE1030ELNS1_3gpuE2ELNS1_3repE0EEENS1_30default_config_static_selectorELNS0_4arch9wavefront6targetE1EEEvT1_
                                        ; -- End function
	.section	.AMDGPU.csdata,"",@progbits
; Kernel info:
; codeLenInByte = 0
; NumSgprs: 4
; NumVgprs: 0
; NumAgprs: 0
; TotalNumVgprs: 0
; ScratchSize: 0
; MemoryBound: 0
; FloatMode: 240
; IeeeMode: 1
; LDSByteSize: 0 bytes/workgroup (compile time only)
; SGPRBlocks: 0
; VGPRBlocks: 0
; NumSGPRsForWavesPerEU: 4
; NumVGPRsForWavesPerEU: 1
; AccumOffset: 4
; Occupancy: 8
; WaveLimiterHint : 0
; COMPUTE_PGM_RSRC2:SCRATCH_EN: 0
; COMPUTE_PGM_RSRC2:USER_SGPR: 6
; COMPUTE_PGM_RSRC2:TRAP_HANDLER: 0
; COMPUTE_PGM_RSRC2:TGID_X_EN: 1
; COMPUTE_PGM_RSRC2:TGID_Y_EN: 0
; COMPUTE_PGM_RSRC2:TGID_Z_EN: 0
; COMPUTE_PGM_RSRC2:TIDIG_COMP_CNT: 0
; COMPUTE_PGM_RSRC3_GFX90A:ACCUM_OFFSET: 0
; COMPUTE_PGM_RSRC3_GFX90A:TG_SPLIT: 0
	.section	.text._ZN7rocprim17ROCPRIM_400000_NS6detail17trampoline_kernelINS0_14default_configENS1_38merge_sort_block_merge_config_selectorIllEEZZNS1_27merge_sort_block_merge_implIS3_PlN6thrust23THRUST_200600_302600_NS10device_ptrIlEEjNS1_19radix_merge_compareILb0ELb1ElNS0_19identity_decomposerEEEEE10hipError_tT0_T1_T2_jT3_P12ihipStream_tbPNSt15iterator_traitsISG_E10value_typeEPNSM_ISH_E10value_typeEPSI_NS1_7vsmem_tEENKUlT_SG_SH_SI_E_clIS7_S7_S7_SB_EESF_SV_SG_SH_SI_EUlSV_E_NS1_11comp_targetILNS1_3genE0ELNS1_11target_archE4294967295ELNS1_3gpuE0ELNS1_3repE0EEENS1_48merge_mergepath_partition_config_static_selectorELNS0_4arch9wavefront6targetE1EEEvSH_,"axG",@progbits,_ZN7rocprim17ROCPRIM_400000_NS6detail17trampoline_kernelINS0_14default_configENS1_38merge_sort_block_merge_config_selectorIllEEZZNS1_27merge_sort_block_merge_implIS3_PlN6thrust23THRUST_200600_302600_NS10device_ptrIlEEjNS1_19radix_merge_compareILb0ELb1ElNS0_19identity_decomposerEEEEE10hipError_tT0_T1_T2_jT3_P12ihipStream_tbPNSt15iterator_traitsISG_E10value_typeEPNSM_ISH_E10value_typeEPSI_NS1_7vsmem_tEENKUlT_SG_SH_SI_E_clIS7_S7_S7_SB_EESF_SV_SG_SH_SI_EUlSV_E_NS1_11comp_targetILNS1_3genE0ELNS1_11target_archE4294967295ELNS1_3gpuE0ELNS1_3repE0EEENS1_48merge_mergepath_partition_config_static_selectorELNS0_4arch9wavefront6targetE1EEEvSH_,comdat
	.protected	_ZN7rocprim17ROCPRIM_400000_NS6detail17trampoline_kernelINS0_14default_configENS1_38merge_sort_block_merge_config_selectorIllEEZZNS1_27merge_sort_block_merge_implIS3_PlN6thrust23THRUST_200600_302600_NS10device_ptrIlEEjNS1_19radix_merge_compareILb0ELb1ElNS0_19identity_decomposerEEEEE10hipError_tT0_T1_T2_jT3_P12ihipStream_tbPNSt15iterator_traitsISG_E10value_typeEPNSM_ISH_E10value_typeEPSI_NS1_7vsmem_tEENKUlT_SG_SH_SI_E_clIS7_S7_S7_SB_EESF_SV_SG_SH_SI_EUlSV_E_NS1_11comp_targetILNS1_3genE0ELNS1_11target_archE4294967295ELNS1_3gpuE0ELNS1_3repE0EEENS1_48merge_mergepath_partition_config_static_selectorELNS0_4arch9wavefront6targetE1EEEvSH_ ; -- Begin function _ZN7rocprim17ROCPRIM_400000_NS6detail17trampoline_kernelINS0_14default_configENS1_38merge_sort_block_merge_config_selectorIllEEZZNS1_27merge_sort_block_merge_implIS3_PlN6thrust23THRUST_200600_302600_NS10device_ptrIlEEjNS1_19radix_merge_compareILb0ELb1ElNS0_19identity_decomposerEEEEE10hipError_tT0_T1_T2_jT3_P12ihipStream_tbPNSt15iterator_traitsISG_E10value_typeEPNSM_ISH_E10value_typeEPSI_NS1_7vsmem_tEENKUlT_SG_SH_SI_E_clIS7_S7_S7_SB_EESF_SV_SG_SH_SI_EUlSV_E_NS1_11comp_targetILNS1_3genE0ELNS1_11target_archE4294967295ELNS1_3gpuE0ELNS1_3repE0EEENS1_48merge_mergepath_partition_config_static_selectorELNS0_4arch9wavefront6targetE1EEEvSH_
	.globl	_ZN7rocprim17ROCPRIM_400000_NS6detail17trampoline_kernelINS0_14default_configENS1_38merge_sort_block_merge_config_selectorIllEEZZNS1_27merge_sort_block_merge_implIS3_PlN6thrust23THRUST_200600_302600_NS10device_ptrIlEEjNS1_19radix_merge_compareILb0ELb1ElNS0_19identity_decomposerEEEEE10hipError_tT0_T1_T2_jT3_P12ihipStream_tbPNSt15iterator_traitsISG_E10value_typeEPNSM_ISH_E10value_typeEPSI_NS1_7vsmem_tEENKUlT_SG_SH_SI_E_clIS7_S7_S7_SB_EESF_SV_SG_SH_SI_EUlSV_E_NS1_11comp_targetILNS1_3genE0ELNS1_11target_archE4294967295ELNS1_3gpuE0ELNS1_3repE0EEENS1_48merge_mergepath_partition_config_static_selectorELNS0_4arch9wavefront6targetE1EEEvSH_
	.p2align	8
	.type	_ZN7rocprim17ROCPRIM_400000_NS6detail17trampoline_kernelINS0_14default_configENS1_38merge_sort_block_merge_config_selectorIllEEZZNS1_27merge_sort_block_merge_implIS3_PlN6thrust23THRUST_200600_302600_NS10device_ptrIlEEjNS1_19radix_merge_compareILb0ELb1ElNS0_19identity_decomposerEEEEE10hipError_tT0_T1_T2_jT3_P12ihipStream_tbPNSt15iterator_traitsISG_E10value_typeEPNSM_ISH_E10value_typeEPSI_NS1_7vsmem_tEENKUlT_SG_SH_SI_E_clIS7_S7_S7_SB_EESF_SV_SG_SH_SI_EUlSV_E_NS1_11comp_targetILNS1_3genE0ELNS1_11target_archE4294967295ELNS1_3gpuE0ELNS1_3repE0EEENS1_48merge_mergepath_partition_config_static_selectorELNS0_4arch9wavefront6targetE1EEEvSH_,@function
_ZN7rocprim17ROCPRIM_400000_NS6detail17trampoline_kernelINS0_14default_configENS1_38merge_sort_block_merge_config_selectorIllEEZZNS1_27merge_sort_block_merge_implIS3_PlN6thrust23THRUST_200600_302600_NS10device_ptrIlEEjNS1_19radix_merge_compareILb0ELb1ElNS0_19identity_decomposerEEEEE10hipError_tT0_T1_T2_jT3_P12ihipStream_tbPNSt15iterator_traitsISG_E10value_typeEPNSM_ISH_E10value_typeEPSI_NS1_7vsmem_tEENKUlT_SG_SH_SI_E_clIS7_S7_S7_SB_EESF_SV_SG_SH_SI_EUlSV_E_NS1_11comp_targetILNS1_3genE0ELNS1_11target_archE4294967295ELNS1_3gpuE0ELNS1_3repE0EEENS1_48merge_mergepath_partition_config_static_selectorELNS0_4arch9wavefront6targetE1EEEvSH_: ; @_ZN7rocprim17ROCPRIM_400000_NS6detail17trampoline_kernelINS0_14default_configENS1_38merge_sort_block_merge_config_selectorIllEEZZNS1_27merge_sort_block_merge_implIS3_PlN6thrust23THRUST_200600_302600_NS10device_ptrIlEEjNS1_19radix_merge_compareILb0ELb1ElNS0_19identity_decomposerEEEEE10hipError_tT0_T1_T2_jT3_P12ihipStream_tbPNSt15iterator_traitsISG_E10value_typeEPNSM_ISH_E10value_typeEPSI_NS1_7vsmem_tEENKUlT_SG_SH_SI_E_clIS7_S7_S7_SB_EESF_SV_SG_SH_SI_EUlSV_E_NS1_11comp_targetILNS1_3genE0ELNS1_11target_archE4294967295ELNS1_3gpuE0ELNS1_3repE0EEENS1_48merge_mergepath_partition_config_static_selectorELNS0_4arch9wavefront6targetE1EEEvSH_
; %bb.0:
	.section	.rodata,"a",@progbits
	.p2align	6, 0x0
	.amdhsa_kernel _ZN7rocprim17ROCPRIM_400000_NS6detail17trampoline_kernelINS0_14default_configENS1_38merge_sort_block_merge_config_selectorIllEEZZNS1_27merge_sort_block_merge_implIS3_PlN6thrust23THRUST_200600_302600_NS10device_ptrIlEEjNS1_19radix_merge_compareILb0ELb1ElNS0_19identity_decomposerEEEEE10hipError_tT0_T1_T2_jT3_P12ihipStream_tbPNSt15iterator_traitsISG_E10value_typeEPNSM_ISH_E10value_typeEPSI_NS1_7vsmem_tEENKUlT_SG_SH_SI_E_clIS7_S7_S7_SB_EESF_SV_SG_SH_SI_EUlSV_E_NS1_11comp_targetILNS1_3genE0ELNS1_11target_archE4294967295ELNS1_3gpuE0ELNS1_3repE0EEENS1_48merge_mergepath_partition_config_static_selectorELNS0_4arch9wavefront6targetE1EEEvSH_
		.amdhsa_group_segment_fixed_size 0
		.amdhsa_private_segment_fixed_size 0
		.amdhsa_kernarg_size 40
		.amdhsa_user_sgpr_count 6
		.amdhsa_user_sgpr_private_segment_buffer 1
		.amdhsa_user_sgpr_dispatch_ptr 0
		.amdhsa_user_sgpr_queue_ptr 0
		.amdhsa_user_sgpr_kernarg_segment_ptr 1
		.amdhsa_user_sgpr_dispatch_id 0
		.amdhsa_user_sgpr_flat_scratch_init 0
		.amdhsa_user_sgpr_kernarg_preload_length 0
		.amdhsa_user_sgpr_kernarg_preload_offset 0
		.amdhsa_user_sgpr_private_segment_size 0
		.amdhsa_uses_dynamic_stack 0
		.amdhsa_system_sgpr_private_segment_wavefront_offset 0
		.amdhsa_system_sgpr_workgroup_id_x 1
		.amdhsa_system_sgpr_workgroup_id_y 0
		.amdhsa_system_sgpr_workgroup_id_z 0
		.amdhsa_system_sgpr_workgroup_info 0
		.amdhsa_system_vgpr_workitem_id 0
		.amdhsa_next_free_vgpr 1
		.amdhsa_next_free_sgpr 0
		.amdhsa_accum_offset 4
		.amdhsa_reserve_vcc 0
		.amdhsa_reserve_flat_scratch 0
		.amdhsa_float_round_mode_32 0
		.amdhsa_float_round_mode_16_64 0
		.amdhsa_float_denorm_mode_32 3
		.amdhsa_float_denorm_mode_16_64 3
		.amdhsa_dx10_clamp 1
		.amdhsa_ieee_mode 1
		.amdhsa_fp16_overflow 0
		.amdhsa_tg_split 0
		.amdhsa_exception_fp_ieee_invalid_op 0
		.amdhsa_exception_fp_denorm_src 0
		.amdhsa_exception_fp_ieee_div_zero 0
		.amdhsa_exception_fp_ieee_overflow 0
		.amdhsa_exception_fp_ieee_underflow 0
		.amdhsa_exception_fp_ieee_inexact 0
		.amdhsa_exception_int_div_zero 0
	.end_amdhsa_kernel
	.section	.text._ZN7rocprim17ROCPRIM_400000_NS6detail17trampoline_kernelINS0_14default_configENS1_38merge_sort_block_merge_config_selectorIllEEZZNS1_27merge_sort_block_merge_implIS3_PlN6thrust23THRUST_200600_302600_NS10device_ptrIlEEjNS1_19radix_merge_compareILb0ELb1ElNS0_19identity_decomposerEEEEE10hipError_tT0_T1_T2_jT3_P12ihipStream_tbPNSt15iterator_traitsISG_E10value_typeEPNSM_ISH_E10value_typeEPSI_NS1_7vsmem_tEENKUlT_SG_SH_SI_E_clIS7_S7_S7_SB_EESF_SV_SG_SH_SI_EUlSV_E_NS1_11comp_targetILNS1_3genE0ELNS1_11target_archE4294967295ELNS1_3gpuE0ELNS1_3repE0EEENS1_48merge_mergepath_partition_config_static_selectorELNS0_4arch9wavefront6targetE1EEEvSH_,"axG",@progbits,_ZN7rocprim17ROCPRIM_400000_NS6detail17trampoline_kernelINS0_14default_configENS1_38merge_sort_block_merge_config_selectorIllEEZZNS1_27merge_sort_block_merge_implIS3_PlN6thrust23THRUST_200600_302600_NS10device_ptrIlEEjNS1_19radix_merge_compareILb0ELb1ElNS0_19identity_decomposerEEEEE10hipError_tT0_T1_T2_jT3_P12ihipStream_tbPNSt15iterator_traitsISG_E10value_typeEPNSM_ISH_E10value_typeEPSI_NS1_7vsmem_tEENKUlT_SG_SH_SI_E_clIS7_S7_S7_SB_EESF_SV_SG_SH_SI_EUlSV_E_NS1_11comp_targetILNS1_3genE0ELNS1_11target_archE4294967295ELNS1_3gpuE0ELNS1_3repE0EEENS1_48merge_mergepath_partition_config_static_selectorELNS0_4arch9wavefront6targetE1EEEvSH_,comdat
.Lfunc_end1066:
	.size	_ZN7rocprim17ROCPRIM_400000_NS6detail17trampoline_kernelINS0_14default_configENS1_38merge_sort_block_merge_config_selectorIllEEZZNS1_27merge_sort_block_merge_implIS3_PlN6thrust23THRUST_200600_302600_NS10device_ptrIlEEjNS1_19radix_merge_compareILb0ELb1ElNS0_19identity_decomposerEEEEE10hipError_tT0_T1_T2_jT3_P12ihipStream_tbPNSt15iterator_traitsISG_E10value_typeEPNSM_ISH_E10value_typeEPSI_NS1_7vsmem_tEENKUlT_SG_SH_SI_E_clIS7_S7_S7_SB_EESF_SV_SG_SH_SI_EUlSV_E_NS1_11comp_targetILNS1_3genE0ELNS1_11target_archE4294967295ELNS1_3gpuE0ELNS1_3repE0EEENS1_48merge_mergepath_partition_config_static_selectorELNS0_4arch9wavefront6targetE1EEEvSH_, .Lfunc_end1066-_ZN7rocprim17ROCPRIM_400000_NS6detail17trampoline_kernelINS0_14default_configENS1_38merge_sort_block_merge_config_selectorIllEEZZNS1_27merge_sort_block_merge_implIS3_PlN6thrust23THRUST_200600_302600_NS10device_ptrIlEEjNS1_19radix_merge_compareILb0ELb1ElNS0_19identity_decomposerEEEEE10hipError_tT0_T1_T2_jT3_P12ihipStream_tbPNSt15iterator_traitsISG_E10value_typeEPNSM_ISH_E10value_typeEPSI_NS1_7vsmem_tEENKUlT_SG_SH_SI_E_clIS7_S7_S7_SB_EESF_SV_SG_SH_SI_EUlSV_E_NS1_11comp_targetILNS1_3genE0ELNS1_11target_archE4294967295ELNS1_3gpuE0ELNS1_3repE0EEENS1_48merge_mergepath_partition_config_static_selectorELNS0_4arch9wavefront6targetE1EEEvSH_
                                        ; -- End function
	.section	.AMDGPU.csdata,"",@progbits
; Kernel info:
; codeLenInByte = 0
; NumSgprs: 4
; NumVgprs: 0
; NumAgprs: 0
; TotalNumVgprs: 0
; ScratchSize: 0
; MemoryBound: 0
; FloatMode: 240
; IeeeMode: 1
; LDSByteSize: 0 bytes/workgroup (compile time only)
; SGPRBlocks: 0
; VGPRBlocks: 0
; NumSGPRsForWavesPerEU: 4
; NumVGPRsForWavesPerEU: 1
; AccumOffset: 4
; Occupancy: 8
; WaveLimiterHint : 0
; COMPUTE_PGM_RSRC2:SCRATCH_EN: 0
; COMPUTE_PGM_RSRC2:USER_SGPR: 6
; COMPUTE_PGM_RSRC2:TRAP_HANDLER: 0
; COMPUTE_PGM_RSRC2:TGID_X_EN: 1
; COMPUTE_PGM_RSRC2:TGID_Y_EN: 0
; COMPUTE_PGM_RSRC2:TGID_Z_EN: 0
; COMPUTE_PGM_RSRC2:TIDIG_COMP_CNT: 0
; COMPUTE_PGM_RSRC3_GFX90A:ACCUM_OFFSET: 0
; COMPUTE_PGM_RSRC3_GFX90A:TG_SPLIT: 0
	.section	.text._ZN7rocprim17ROCPRIM_400000_NS6detail17trampoline_kernelINS0_14default_configENS1_38merge_sort_block_merge_config_selectorIllEEZZNS1_27merge_sort_block_merge_implIS3_PlN6thrust23THRUST_200600_302600_NS10device_ptrIlEEjNS1_19radix_merge_compareILb0ELb1ElNS0_19identity_decomposerEEEEE10hipError_tT0_T1_T2_jT3_P12ihipStream_tbPNSt15iterator_traitsISG_E10value_typeEPNSM_ISH_E10value_typeEPSI_NS1_7vsmem_tEENKUlT_SG_SH_SI_E_clIS7_S7_S7_SB_EESF_SV_SG_SH_SI_EUlSV_E_NS1_11comp_targetILNS1_3genE10ELNS1_11target_archE1201ELNS1_3gpuE5ELNS1_3repE0EEENS1_48merge_mergepath_partition_config_static_selectorELNS0_4arch9wavefront6targetE1EEEvSH_,"axG",@progbits,_ZN7rocprim17ROCPRIM_400000_NS6detail17trampoline_kernelINS0_14default_configENS1_38merge_sort_block_merge_config_selectorIllEEZZNS1_27merge_sort_block_merge_implIS3_PlN6thrust23THRUST_200600_302600_NS10device_ptrIlEEjNS1_19radix_merge_compareILb0ELb1ElNS0_19identity_decomposerEEEEE10hipError_tT0_T1_T2_jT3_P12ihipStream_tbPNSt15iterator_traitsISG_E10value_typeEPNSM_ISH_E10value_typeEPSI_NS1_7vsmem_tEENKUlT_SG_SH_SI_E_clIS7_S7_S7_SB_EESF_SV_SG_SH_SI_EUlSV_E_NS1_11comp_targetILNS1_3genE10ELNS1_11target_archE1201ELNS1_3gpuE5ELNS1_3repE0EEENS1_48merge_mergepath_partition_config_static_selectorELNS0_4arch9wavefront6targetE1EEEvSH_,comdat
	.protected	_ZN7rocprim17ROCPRIM_400000_NS6detail17trampoline_kernelINS0_14default_configENS1_38merge_sort_block_merge_config_selectorIllEEZZNS1_27merge_sort_block_merge_implIS3_PlN6thrust23THRUST_200600_302600_NS10device_ptrIlEEjNS1_19radix_merge_compareILb0ELb1ElNS0_19identity_decomposerEEEEE10hipError_tT0_T1_T2_jT3_P12ihipStream_tbPNSt15iterator_traitsISG_E10value_typeEPNSM_ISH_E10value_typeEPSI_NS1_7vsmem_tEENKUlT_SG_SH_SI_E_clIS7_S7_S7_SB_EESF_SV_SG_SH_SI_EUlSV_E_NS1_11comp_targetILNS1_3genE10ELNS1_11target_archE1201ELNS1_3gpuE5ELNS1_3repE0EEENS1_48merge_mergepath_partition_config_static_selectorELNS0_4arch9wavefront6targetE1EEEvSH_ ; -- Begin function _ZN7rocprim17ROCPRIM_400000_NS6detail17trampoline_kernelINS0_14default_configENS1_38merge_sort_block_merge_config_selectorIllEEZZNS1_27merge_sort_block_merge_implIS3_PlN6thrust23THRUST_200600_302600_NS10device_ptrIlEEjNS1_19radix_merge_compareILb0ELb1ElNS0_19identity_decomposerEEEEE10hipError_tT0_T1_T2_jT3_P12ihipStream_tbPNSt15iterator_traitsISG_E10value_typeEPNSM_ISH_E10value_typeEPSI_NS1_7vsmem_tEENKUlT_SG_SH_SI_E_clIS7_S7_S7_SB_EESF_SV_SG_SH_SI_EUlSV_E_NS1_11comp_targetILNS1_3genE10ELNS1_11target_archE1201ELNS1_3gpuE5ELNS1_3repE0EEENS1_48merge_mergepath_partition_config_static_selectorELNS0_4arch9wavefront6targetE1EEEvSH_
	.globl	_ZN7rocprim17ROCPRIM_400000_NS6detail17trampoline_kernelINS0_14default_configENS1_38merge_sort_block_merge_config_selectorIllEEZZNS1_27merge_sort_block_merge_implIS3_PlN6thrust23THRUST_200600_302600_NS10device_ptrIlEEjNS1_19radix_merge_compareILb0ELb1ElNS0_19identity_decomposerEEEEE10hipError_tT0_T1_T2_jT3_P12ihipStream_tbPNSt15iterator_traitsISG_E10value_typeEPNSM_ISH_E10value_typeEPSI_NS1_7vsmem_tEENKUlT_SG_SH_SI_E_clIS7_S7_S7_SB_EESF_SV_SG_SH_SI_EUlSV_E_NS1_11comp_targetILNS1_3genE10ELNS1_11target_archE1201ELNS1_3gpuE5ELNS1_3repE0EEENS1_48merge_mergepath_partition_config_static_selectorELNS0_4arch9wavefront6targetE1EEEvSH_
	.p2align	8
	.type	_ZN7rocprim17ROCPRIM_400000_NS6detail17trampoline_kernelINS0_14default_configENS1_38merge_sort_block_merge_config_selectorIllEEZZNS1_27merge_sort_block_merge_implIS3_PlN6thrust23THRUST_200600_302600_NS10device_ptrIlEEjNS1_19radix_merge_compareILb0ELb1ElNS0_19identity_decomposerEEEEE10hipError_tT0_T1_T2_jT3_P12ihipStream_tbPNSt15iterator_traitsISG_E10value_typeEPNSM_ISH_E10value_typeEPSI_NS1_7vsmem_tEENKUlT_SG_SH_SI_E_clIS7_S7_S7_SB_EESF_SV_SG_SH_SI_EUlSV_E_NS1_11comp_targetILNS1_3genE10ELNS1_11target_archE1201ELNS1_3gpuE5ELNS1_3repE0EEENS1_48merge_mergepath_partition_config_static_selectorELNS0_4arch9wavefront6targetE1EEEvSH_,@function
_ZN7rocprim17ROCPRIM_400000_NS6detail17trampoline_kernelINS0_14default_configENS1_38merge_sort_block_merge_config_selectorIllEEZZNS1_27merge_sort_block_merge_implIS3_PlN6thrust23THRUST_200600_302600_NS10device_ptrIlEEjNS1_19radix_merge_compareILb0ELb1ElNS0_19identity_decomposerEEEEE10hipError_tT0_T1_T2_jT3_P12ihipStream_tbPNSt15iterator_traitsISG_E10value_typeEPNSM_ISH_E10value_typeEPSI_NS1_7vsmem_tEENKUlT_SG_SH_SI_E_clIS7_S7_S7_SB_EESF_SV_SG_SH_SI_EUlSV_E_NS1_11comp_targetILNS1_3genE10ELNS1_11target_archE1201ELNS1_3gpuE5ELNS1_3repE0EEENS1_48merge_mergepath_partition_config_static_selectorELNS0_4arch9wavefront6targetE1EEEvSH_: ; @_ZN7rocprim17ROCPRIM_400000_NS6detail17trampoline_kernelINS0_14default_configENS1_38merge_sort_block_merge_config_selectorIllEEZZNS1_27merge_sort_block_merge_implIS3_PlN6thrust23THRUST_200600_302600_NS10device_ptrIlEEjNS1_19radix_merge_compareILb0ELb1ElNS0_19identity_decomposerEEEEE10hipError_tT0_T1_T2_jT3_P12ihipStream_tbPNSt15iterator_traitsISG_E10value_typeEPNSM_ISH_E10value_typeEPSI_NS1_7vsmem_tEENKUlT_SG_SH_SI_E_clIS7_S7_S7_SB_EESF_SV_SG_SH_SI_EUlSV_E_NS1_11comp_targetILNS1_3genE10ELNS1_11target_archE1201ELNS1_3gpuE5ELNS1_3repE0EEENS1_48merge_mergepath_partition_config_static_selectorELNS0_4arch9wavefront6targetE1EEEvSH_
; %bb.0:
	.section	.rodata,"a",@progbits
	.p2align	6, 0x0
	.amdhsa_kernel _ZN7rocprim17ROCPRIM_400000_NS6detail17trampoline_kernelINS0_14default_configENS1_38merge_sort_block_merge_config_selectorIllEEZZNS1_27merge_sort_block_merge_implIS3_PlN6thrust23THRUST_200600_302600_NS10device_ptrIlEEjNS1_19radix_merge_compareILb0ELb1ElNS0_19identity_decomposerEEEEE10hipError_tT0_T1_T2_jT3_P12ihipStream_tbPNSt15iterator_traitsISG_E10value_typeEPNSM_ISH_E10value_typeEPSI_NS1_7vsmem_tEENKUlT_SG_SH_SI_E_clIS7_S7_S7_SB_EESF_SV_SG_SH_SI_EUlSV_E_NS1_11comp_targetILNS1_3genE10ELNS1_11target_archE1201ELNS1_3gpuE5ELNS1_3repE0EEENS1_48merge_mergepath_partition_config_static_selectorELNS0_4arch9wavefront6targetE1EEEvSH_
		.amdhsa_group_segment_fixed_size 0
		.amdhsa_private_segment_fixed_size 0
		.amdhsa_kernarg_size 40
		.amdhsa_user_sgpr_count 6
		.amdhsa_user_sgpr_private_segment_buffer 1
		.amdhsa_user_sgpr_dispatch_ptr 0
		.amdhsa_user_sgpr_queue_ptr 0
		.amdhsa_user_sgpr_kernarg_segment_ptr 1
		.amdhsa_user_sgpr_dispatch_id 0
		.amdhsa_user_sgpr_flat_scratch_init 0
		.amdhsa_user_sgpr_kernarg_preload_length 0
		.amdhsa_user_sgpr_kernarg_preload_offset 0
		.amdhsa_user_sgpr_private_segment_size 0
		.amdhsa_uses_dynamic_stack 0
		.amdhsa_system_sgpr_private_segment_wavefront_offset 0
		.amdhsa_system_sgpr_workgroup_id_x 1
		.amdhsa_system_sgpr_workgroup_id_y 0
		.amdhsa_system_sgpr_workgroup_id_z 0
		.amdhsa_system_sgpr_workgroup_info 0
		.amdhsa_system_vgpr_workitem_id 0
		.amdhsa_next_free_vgpr 1
		.amdhsa_next_free_sgpr 0
		.amdhsa_accum_offset 4
		.amdhsa_reserve_vcc 0
		.amdhsa_reserve_flat_scratch 0
		.amdhsa_float_round_mode_32 0
		.amdhsa_float_round_mode_16_64 0
		.amdhsa_float_denorm_mode_32 3
		.amdhsa_float_denorm_mode_16_64 3
		.amdhsa_dx10_clamp 1
		.amdhsa_ieee_mode 1
		.amdhsa_fp16_overflow 0
		.amdhsa_tg_split 0
		.amdhsa_exception_fp_ieee_invalid_op 0
		.amdhsa_exception_fp_denorm_src 0
		.amdhsa_exception_fp_ieee_div_zero 0
		.amdhsa_exception_fp_ieee_overflow 0
		.amdhsa_exception_fp_ieee_underflow 0
		.amdhsa_exception_fp_ieee_inexact 0
		.amdhsa_exception_int_div_zero 0
	.end_amdhsa_kernel
	.section	.text._ZN7rocprim17ROCPRIM_400000_NS6detail17trampoline_kernelINS0_14default_configENS1_38merge_sort_block_merge_config_selectorIllEEZZNS1_27merge_sort_block_merge_implIS3_PlN6thrust23THRUST_200600_302600_NS10device_ptrIlEEjNS1_19radix_merge_compareILb0ELb1ElNS0_19identity_decomposerEEEEE10hipError_tT0_T1_T2_jT3_P12ihipStream_tbPNSt15iterator_traitsISG_E10value_typeEPNSM_ISH_E10value_typeEPSI_NS1_7vsmem_tEENKUlT_SG_SH_SI_E_clIS7_S7_S7_SB_EESF_SV_SG_SH_SI_EUlSV_E_NS1_11comp_targetILNS1_3genE10ELNS1_11target_archE1201ELNS1_3gpuE5ELNS1_3repE0EEENS1_48merge_mergepath_partition_config_static_selectorELNS0_4arch9wavefront6targetE1EEEvSH_,"axG",@progbits,_ZN7rocprim17ROCPRIM_400000_NS6detail17trampoline_kernelINS0_14default_configENS1_38merge_sort_block_merge_config_selectorIllEEZZNS1_27merge_sort_block_merge_implIS3_PlN6thrust23THRUST_200600_302600_NS10device_ptrIlEEjNS1_19radix_merge_compareILb0ELb1ElNS0_19identity_decomposerEEEEE10hipError_tT0_T1_T2_jT3_P12ihipStream_tbPNSt15iterator_traitsISG_E10value_typeEPNSM_ISH_E10value_typeEPSI_NS1_7vsmem_tEENKUlT_SG_SH_SI_E_clIS7_S7_S7_SB_EESF_SV_SG_SH_SI_EUlSV_E_NS1_11comp_targetILNS1_3genE10ELNS1_11target_archE1201ELNS1_3gpuE5ELNS1_3repE0EEENS1_48merge_mergepath_partition_config_static_selectorELNS0_4arch9wavefront6targetE1EEEvSH_,comdat
.Lfunc_end1067:
	.size	_ZN7rocprim17ROCPRIM_400000_NS6detail17trampoline_kernelINS0_14default_configENS1_38merge_sort_block_merge_config_selectorIllEEZZNS1_27merge_sort_block_merge_implIS3_PlN6thrust23THRUST_200600_302600_NS10device_ptrIlEEjNS1_19radix_merge_compareILb0ELb1ElNS0_19identity_decomposerEEEEE10hipError_tT0_T1_T2_jT3_P12ihipStream_tbPNSt15iterator_traitsISG_E10value_typeEPNSM_ISH_E10value_typeEPSI_NS1_7vsmem_tEENKUlT_SG_SH_SI_E_clIS7_S7_S7_SB_EESF_SV_SG_SH_SI_EUlSV_E_NS1_11comp_targetILNS1_3genE10ELNS1_11target_archE1201ELNS1_3gpuE5ELNS1_3repE0EEENS1_48merge_mergepath_partition_config_static_selectorELNS0_4arch9wavefront6targetE1EEEvSH_, .Lfunc_end1067-_ZN7rocprim17ROCPRIM_400000_NS6detail17trampoline_kernelINS0_14default_configENS1_38merge_sort_block_merge_config_selectorIllEEZZNS1_27merge_sort_block_merge_implIS3_PlN6thrust23THRUST_200600_302600_NS10device_ptrIlEEjNS1_19radix_merge_compareILb0ELb1ElNS0_19identity_decomposerEEEEE10hipError_tT0_T1_T2_jT3_P12ihipStream_tbPNSt15iterator_traitsISG_E10value_typeEPNSM_ISH_E10value_typeEPSI_NS1_7vsmem_tEENKUlT_SG_SH_SI_E_clIS7_S7_S7_SB_EESF_SV_SG_SH_SI_EUlSV_E_NS1_11comp_targetILNS1_3genE10ELNS1_11target_archE1201ELNS1_3gpuE5ELNS1_3repE0EEENS1_48merge_mergepath_partition_config_static_selectorELNS0_4arch9wavefront6targetE1EEEvSH_
                                        ; -- End function
	.section	.AMDGPU.csdata,"",@progbits
; Kernel info:
; codeLenInByte = 0
; NumSgprs: 4
; NumVgprs: 0
; NumAgprs: 0
; TotalNumVgprs: 0
; ScratchSize: 0
; MemoryBound: 0
; FloatMode: 240
; IeeeMode: 1
; LDSByteSize: 0 bytes/workgroup (compile time only)
; SGPRBlocks: 0
; VGPRBlocks: 0
; NumSGPRsForWavesPerEU: 4
; NumVGPRsForWavesPerEU: 1
; AccumOffset: 4
; Occupancy: 8
; WaveLimiterHint : 0
; COMPUTE_PGM_RSRC2:SCRATCH_EN: 0
; COMPUTE_PGM_RSRC2:USER_SGPR: 6
; COMPUTE_PGM_RSRC2:TRAP_HANDLER: 0
; COMPUTE_PGM_RSRC2:TGID_X_EN: 1
; COMPUTE_PGM_RSRC2:TGID_Y_EN: 0
; COMPUTE_PGM_RSRC2:TGID_Z_EN: 0
; COMPUTE_PGM_RSRC2:TIDIG_COMP_CNT: 0
; COMPUTE_PGM_RSRC3_GFX90A:ACCUM_OFFSET: 0
; COMPUTE_PGM_RSRC3_GFX90A:TG_SPLIT: 0
	.section	.text._ZN7rocprim17ROCPRIM_400000_NS6detail17trampoline_kernelINS0_14default_configENS1_38merge_sort_block_merge_config_selectorIllEEZZNS1_27merge_sort_block_merge_implIS3_PlN6thrust23THRUST_200600_302600_NS10device_ptrIlEEjNS1_19radix_merge_compareILb0ELb1ElNS0_19identity_decomposerEEEEE10hipError_tT0_T1_T2_jT3_P12ihipStream_tbPNSt15iterator_traitsISG_E10value_typeEPNSM_ISH_E10value_typeEPSI_NS1_7vsmem_tEENKUlT_SG_SH_SI_E_clIS7_S7_S7_SB_EESF_SV_SG_SH_SI_EUlSV_E_NS1_11comp_targetILNS1_3genE5ELNS1_11target_archE942ELNS1_3gpuE9ELNS1_3repE0EEENS1_48merge_mergepath_partition_config_static_selectorELNS0_4arch9wavefront6targetE1EEEvSH_,"axG",@progbits,_ZN7rocprim17ROCPRIM_400000_NS6detail17trampoline_kernelINS0_14default_configENS1_38merge_sort_block_merge_config_selectorIllEEZZNS1_27merge_sort_block_merge_implIS3_PlN6thrust23THRUST_200600_302600_NS10device_ptrIlEEjNS1_19radix_merge_compareILb0ELb1ElNS0_19identity_decomposerEEEEE10hipError_tT0_T1_T2_jT3_P12ihipStream_tbPNSt15iterator_traitsISG_E10value_typeEPNSM_ISH_E10value_typeEPSI_NS1_7vsmem_tEENKUlT_SG_SH_SI_E_clIS7_S7_S7_SB_EESF_SV_SG_SH_SI_EUlSV_E_NS1_11comp_targetILNS1_3genE5ELNS1_11target_archE942ELNS1_3gpuE9ELNS1_3repE0EEENS1_48merge_mergepath_partition_config_static_selectorELNS0_4arch9wavefront6targetE1EEEvSH_,comdat
	.protected	_ZN7rocprim17ROCPRIM_400000_NS6detail17trampoline_kernelINS0_14default_configENS1_38merge_sort_block_merge_config_selectorIllEEZZNS1_27merge_sort_block_merge_implIS3_PlN6thrust23THRUST_200600_302600_NS10device_ptrIlEEjNS1_19radix_merge_compareILb0ELb1ElNS0_19identity_decomposerEEEEE10hipError_tT0_T1_T2_jT3_P12ihipStream_tbPNSt15iterator_traitsISG_E10value_typeEPNSM_ISH_E10value_typeEPSI_NS1_7vsmem_tEENKUlT_SG_SH_SI_E_clIS7_S7_S7_SB_EESF_SV_SG_SH_SI_EUlSV_E_NS1_11comp_targetILNS1_3genE5ELNS1_11target_archE942ELNS1_3gpuE9ELNS1_3repE0EEENS1_48merge_mergepath_partition_config_static_selectorELNS0_4arch9wavefront6targetE1EEEvSH_ ; -- Begin function _ZN7rocprim17ROCPRIM_400000_NS6detail17trampoline_kernelINS0_14default_configENS1_38merge_sort_block_merge_config_selectorIllEEZZNS1_27merge_sort_block_merge_implIS3_PlN6thrust23THRUST_200600_302600_NS10device_ptrIlEEjNS1_19radix_merge_compareILb0ELb1ElNS0_19identity_decomposerEEEEE10hipError_tT0_T1_T2_jT3_P12ihipStream_tbPNSt15iterator_traitsISG_E10value_typeEPNSM_ISH_E10value_typeEPSI_NS1_7vsmem_tEENKUlT_SG_SH_SI_E_clIS7_S7_S7_SB_EESF_SV_SG_SH_SI_EUlSV_E_NS1_11comp_targetILNS1_3genE5ELNS1_11target_archE942ELNS1_3gpuE9ELNS1_3repE0EEENS1_48merge_mergepath_partition_config_static_selectorELNS0_4arch9wavefront6targetE1EEEvSH_
	.globl	_ZN7rocprim17ROCPRIM_400000_NS6detail17trampoline_kernelINS0_14default_configENS1_38merge_sort_block_merge_config_selectorIllEEZZNS1_27merge_sort_block_merge_implIS3_PlN6thrust23THRUST_200600_302600_NS10device_ptrIlEEjNS1_19radix_merge_compareILb0ELb1ElNS0_19identity_decomposerEEEEE10hipError_tT0_T1_T2_jT3_P12ihipStream_tbPNSt15iterator_traitsISG_E10value_typeEPNSM_ISH_E10value_typeEPSI_NS1_7vsmem_tEENKUlT_SG_SH_SI_E_clIS7_S7_S7_SB_EESF_SV_SG_SH_SI_EUlSV_E_NS1_11comp_targetILNS1_3genE5ELNS1_11target_archE942ELNS1_3gpuE9ELNS1_3repE0EEENS1_48merge_mergepath_partition_config_static_selectorELNS0_4arch9wavefront6targetE1EEEvSH_
	.p2align	8
	.type	_ZN7rocprim17ROCPRIM_400000_NS6detail17trampoline_kernelINS0_14default_configENS1_38merge_sort_block_merge_config_selectorIllEEZZNS1_27merge_sort_block_merge_implIS3_PlN6thrust23THRUST_200600_302600_NS10device_ptrIlEEjNS1_19radix_merge_compareILb0ELb1ElNS0_19identity_decomposerEEEEE10hipError_tT0_T1_T2_jT3_P12ihipStream_tbPNSt15iterator_traitsISG_E10value_typeEPNSM_ISH_E10value_typeEPSI_NS1_7vsmem_tEENKUlT_SG_SH_SI_E_clIS7_S7_S7_SB_EESF_SV_SG_SH_SI_EUlSV_E_NS1_11comp_targetILNS1_3genE5ELNS1_11target_archE942ELNS1_3gpuE9ELNS1_3repE0EEENS1_48merge_mergepath_partition_config_static_selectorELNS0_4arch9wavefront6targetE1EEEvSH_,@function
_ZN7rocprim17ROCPRIM_400000_NS6detail17trampoline_kernelINS0_14default_configENS1_38merge_sort_block_merge_config_selectorIllEEZZNS1_27merge_sort_block_merge_implIS3_PlN6thrust23THRUST_200600_302600_NS10device_ptrIlEEjNS1_19radix_merge_compareILb0ELb1ElNS0_19identity_decomposerEEEEE10hipError_tT0_T1_T2_jT3_P12ihipStream_tbPNSt15iterator_traitsISG_E10value_typeEPNSM_ISH_E10value_typeEPSI_NS1_7vsmem_tEENKUlT_SG_SH_SI_E_clIS7_S7_S7_SB_EESF_SV_SG_SH_SI_EUlSV_E_NS1_11comp_targetILNS1_3genE5ELNS1_11target_archE942ELNS1_3gpuE9ELNS1_3repE0EEENS1_48merge_mergepath_partition_config_static_selectorELNS0_4arch9wavefront6targetE1EEEvSH_: ; @_ZN7rocprim17ROCPRIM_400000_NS6detail17trampoline_kernelINS0_14default_configENS1_38merge_sort_block_merge_config_selectorIllEEZZNS1_27merge_sort_block_merge_implIS3_PlN6thrust23THRUST_200600_302600_NS10device_ptrIlEEjNS1_19radix_merge_compareILb0ELb1ElNS0_19identity_decomposerEEEEE10hipError_tT0_T1_T2_jT3_P12ihipStream_tbPNSt15iterator_traitsISG_E10value_typeEPNSM_ISH_E10value_typeEPSI_NS1_7vsmem_tEENKUlT_SG_SH_SI_E_clIS7_S7_S7_SB_EESF_SV_SG_SH_SI_EUlSV_E_NS1_11comp_targetILNS1_3genE5ELNS1_11target_archE942ELNS1_3gpuE9ELNS1_3repE0EEENS1_48merge_mergepath_partition_config_static_selectorELNS0_4arch9wavefront6targetE1EEEvSH_
; %bb.0:
	.section	.rodata,"a",@progbits
	.p2align	6, 0x0
	.amdhsa_kernel _ZN7rocprim17ROCPRIM_400000_NS6detail17trampoline_kernelINS0_14default_configENS1_38merge_sort_block_merge_config_selectorIllEEZZNS1_27merge_sort_block_merge_implIS3_PlN6thrust23THRUST_200600_302600_NS10device_ptrIlEEjNS1_19radix_merge_compareILb0ELb1ElNS0_19identity_decomposerEEEEE10hipError_tT0_T1_T2_jT3_P12ihipStream_tbPNSt15iterator_traitsISG_E10value_typeEPNSM_ISH_E10value_typeEPSI_NS1_7vsmem_tEENKUlT_SG_SH_SI_E_clIS7_S7_S7_SB_EESF_SV_SG_SH_SI_EUlSV_E_NS1_11comp_targetILNS1_3genE5ELNS1_11target_archE942ELNS1_3gpuE9ELNS1_3repE0EEENS1_48merge_mergepath_partition_config_static_selectorELNS0_4arch9wavefront6targetE1EEEvSH_
		.amdhsa_group_segment_fixed_size 0
		.amdhsa_private_segment_fixed_size 0
		.amdhsa_kernarg_size 40
		.amdhsa_user_sgpr_count 6
		.amdhsa_user_sgpr_private_segment_buffer 1
		.amdhsa_user_sgpr_dispatch_ptr 0
		.amdhsa_user_sgpr_queue_ptr 0
		.amdhsa_user_sgpr_kernarg_segment_ptr 1
		.amdhsa_user_sgpr_dispatch_id 0
		.amdhsa_user_sgpr_flat_scratch_init 0
		.amdhsa_user_sgpr_kernarg_preload_length 0
		.amdhsa_user_sgpr_kernarg_preload_offset 0
		.amdhsa_user_sgpr_private_segment_size 0
		.amdhsa_uses_dynamic_stack 0
		.amdhsa_system_sgpr_private_segment_wavefront_offset 0
		.amdhsa_system_sgpr_workgroup_id_x 1
		.amdhsa_system_sgpr_workgroup_id_y 0
		.amdhsa_system_sgpr_workgroup_id_z 0
		.amdhsa_system_sgpr_workgroup_info 0
		.amdhsa_system_vgpr_workitem_id 0
		.amdhsa_next_free_vgpr 1
		.amdhsa_next_free_sgpr 0
		.amdhsa_accum_offset 4
		.amdhsa_reserve_vcc 0
		.amdhsa_reserve_flat_scratch 0
		.amdhsa_float_round_mode_32 0
		.amdhsa_float_round_mode_16_64 0
		.amdhsa_float_denorm_mode_32 3
		.amdhsa_float_denorm_mode_16_64 3
		.amdhsa_dx10_clamp 1
		.amdhsa_ieee_mode 1
		.amdhsa_fp16_overflow 0
		.amdhsa_tg_split 0
		.amdhsa_exception_fp_ieee_invalid_op 0
		.amdhsa_exception_fp_denorm_src 0
		.amdhsa_exception_fp_ieee_div_zero 0
		.amdhsa_exception_fp_ieee_overflow 0
		.amdhsa_exception_fp_ieee_underflow 0
		.amdhsa_exception_fp_ieee_inexact 0
		.amdhsa_exception_int_div_zero 0
	.end_amdhsa_kernel
	.section	.text._ZN7rocprim17ROCPRIM_400000_NS6detail17trampoline_kernelINS0_14default_configENS1_38merge_sort_block_merge_config_selectorIllEEZZNS1_27merge_sort_block_merge_implIS3_PlN6thrust23THRUST_200600_302600_NS10device_ptrIlEEjNS1_19radix_merge_compareILb0ELb1ElNS0_19identity_decomposerEEEEE10hipError_tT0_T1_T2_jT3_P12ihipStream_tbPNSt15iterator_traitsISG_E10value_typeEPNSM_ISH_E10value_typeEPSI_NS1_7vsmem_tEENKUlT_SG_SH_SI_E_clIS7_S7_S7_SB_EESF_SV_SG_SH_SI_EUlSV_E_NS1_11comp_targetILNS1_3genE5ELNS1_11target_archE942ELNS1_3gpuE9ELNS1_3repE0EEENS1_48merge_mergepath_partition_config_static_selectorELNS0_4arch9wavefront6targetE1EEEvSH_,"axG",@progbits,_ZN7rocprim17ROCPRIM_400000_NS6detail17trampoline_kernelINS0_14default_configENS1_38merge_sort_block_merge_config_selectorIllEEZZNS1_27merge_sort_block_merge_implIS3_PlN6thrust23THRUST_200600_302600_NS10device_ptrIlEEjNS1_19radix_merge_compareILb0ELb1ElNS0_19identity_decomposerEEEEE10hipError_tT0_T1_T2_jT3_P12ihipStream_tbPNSt15iterator_traitsISG_E10value_typeEPNSM_ISH_E10value_typeEPSI_NS1_7vsmem_tEENKUlT_SG_SH_SI_E_clIS7_S7_S7_SB_EESF_SV_SG_SH_SI_EUlSV_E_NS1_11comp_targetILNS1_3genE5ELNS1_11target_archE942ELNS1_3gpuE9ELNS1_3repE0EEENS1_48merge_mergepath_partition_config_static_selectorELNS0_4arch9wavefront6targetE1EEEvSH_,comdat
.Lfunc_end1068:
	.size	_ZN7rocprim17ROCPRIM_400000_NS6detail17trampoline_kernelINS0_14default_configENS1_38merge_sort_block_merge_config_selectorIllEEZZNS1_27merge_sort_block_merge_implIS3_PlN6thrust23THRUST_200600_302600_NS10device_ptrIlEEjNS1_19radix_merge_compareILb0ELb1ElNS0_19identity_decomposerEEEEE10hipError_tT0_T1_T2_jT3_P12ihipStream_tbPNSt15iterator_traitsISG_E10value_typeEPNSM_ISH_E10value_typeEPSI_NS1_7vsmem_tEENKUlT_SG_SH_SI_E_clIS7_S7_S7_SB_EESF_SV_SG_SH_SI_EUlSV_E_NS1_11comp_targetILNS1_3genE5ELNS1_11target_archE942ELNS1_3gpuE9ELNS1_3repE0EEENS1_48merge_mergepath_partition_config_static_selectorELNS0_4arch9wavefront6targetE1EEEvSH_, .Lfunc_end1068-_ZN7rocprim17ROCPRIM_400000_NS6detail17trampoline_kernelINS0_14default_configENS1_38merge_sort_block_merge_config_selectorIllEEZZNS1_27merge_sort_block_merge_implIS3_PlN6thrust23THRUST_200600_302600_NS10device_ptrIlEEjNS1_19radix_merge_compareILb0ELb1ElNS0_19identity_decomposerEEEEE10hipError_tT0_T1_T2_jT3_P12ihipStream_tbPNSt15iterator_traitsISG_E10value_typeEPNSM_ISH_E10value_typeEPSI_NS1_7vsmem_tEENKUlT_SG_SH_SI_E_clIS7_S7_S7_SB_EESF_SV_SG_SH_SI_EUlSV_E_NS1_11comp_targetILNS1_3genE5ELNS1_11target_archE942ELNS1_3gpuE9ELNS1_3repE0EEENS1_48merge_mergepath_partition_config_static_selectorELNS0_4arch9wavefront6targetE1EEEvSH_
                                        ; -- End function
	.section	.AMDGPU.csdata,"",@progbits
; Kernel info:
; codeLenInByte = 0
; NumSgprs: 4
; NumVgprs: 0
; NumAgprs: 0
; TotalNumVgprs: 0
; ScratchSize: 0
; MemoryBound: 0
; FloatMode: 240
; IeeeMode: 1
; LDSByteSize: 0 bytes/workgroup (compile time only)
; SGPRBlocks: 0
; VGPRBlocks: 0
; NumSGPRsForWavesPerEU: 4
; NumVGPRsForWavesPerEU: 1
; AccumOffset: 4
; Occupancy: 8
; WaveLimiterHint : 0
; COMPUTE_PGM_RSRC2:SCRATCH_EN: 0
; COMPUTE_PGM_RSRC2:USER_SGPR: 6
; COMPUTE_PGM_RSRC2:TRAP_HANDLER: 0
; COMPUTE_PGM_RSRC2:TGID_X_EN: 1
; COMPUTE_PGM_RSRC2:TGID_Y_EN: 0
; COMPUTE_PGM_RSRC2:TGID_Z_EN: 0
; COMPUTE_PGM_RSRC2:TIDIG_COMP_CNT: 0
; COMPUTE_PGM_RSRC3_GFX90A:ACCUM_OFFSET: 0
; COMPUTE_PGM_RSRC3_GFX90A:TG_SPLIT: 0
	.section	.text._ZN7rocprim17ROCPRIM_400000_NS6detail17trampoline_kernelINS0_14default_configENS1_38merge_sort_block_merge_config_selectorIllEEZZNS1_27merge_sort_block_merge_implIS3_PlN6thrust23THRUST_200600_302600_NS10device_ptrIlEEjNS1_19radix_merge_compareILb0ELb1ElNS0_19identity_decomposerEEEEE10hipError_tT0_T1_T2_jT3_P12ihipStream_tbPNSt15iterator_traitsISG_E10value_typeEPNSM_ISH_E10value_typeEPSI_NS1_7vsmem_tEENKUlT_SG_SH_SI_E_clIS7_S7_S7_SB_EESF_SV_SG_SH_SI_EUlSV_E_NS1_11comp_targetILNS1_3genE4ELNS1_11target_archE910ELNS1_3gpuE8ELNS1_3repE0EEENS1_48merge_mergepath_partition_config_static_selectorELNS0_4arch9wavefront6targetE1EEEvSH_,"axG",@progbits,_ZN7rocprim17ROCPRIM_400000_NS6detail17trampoline_kernelINS0_14default_configENS1_38merge_sort_block_merge_config_selectorIllEEZZNS1_27merge_sort_block_merge_implIS3_PlN6thrust23THRUST_200600_302600_NS10device_ptrIlEEjNS1_19radix_merge_compareILb0ELb1ElNS0_19identity_decomposerEEEEE10hipError_tT0_T1_T2_jT3_P12ihipStream_tbPNSt15iterator_traitsISG_E10value_typeEPNSM_ISH_E10value_typeEPSI_NS1_7vsmem_tEENKUlT_SG_SH_SI_E_clIS7_S7_S7_SB_EESF_SV_SG_SH_SI_EUlSV_E_NS1_11comp_targetILNS1_3genE4ELNS1_11target_archE910ELNS1_3gpuE8ELNS1_3repE0EEENS1_48merge_mergepath_partition_config_static_selectorELNS0_4arch9wavefront6targetE1EEEvSH_,comdat
	.protected	_ZN7rocprim17ROCPRIM_400000_NS6detail17trampoline_kernelINS0_14default_configENS1_38merge_sort_block_merge_config_selectorIllEEZZNS1_27merge_sort_block_merge_implIS3_PlN6thrust23THRUST_200600_302600_NS10device_ptrIlEEjNS1_19radix_merge_compareILb0ELb1ElNS0_19identity_decomposerEEEEE10hipError_tT0_T1_T2_jT3_P12ihipStream_tbPNSt15iterator_traitsISG_E10value_typeEPNSM_ISH_E10value_typeEPSI_NS1_7vsmem_tEENKUlT_SG_SH_SI_E_clIS7_S7_S7_SB_EESF_SV_SG_SH_SI_EUlSV_E_NS1_11comp_targetILNS1_3genE4ELNS1_11target_archE910ELNS1_3gpuE8ELNS1_3repE0EEENS1_48merge_mergepath_partition_config_static_selectorELNS0_4arch9wavefront6targetE1EEEvSH_ ; -- Begin function _ZN7rocprim17ROCPRIM_400000_NS6detail17trampoline_kernelINS0_14default_configENS1_38merge_sort_block_merge_config_selectorIllEEZZNS1_27merge_sort_block_merge_implIS3_PlN6thrust23THRUST_200600_302600_NS10device_ptrIlEEjNS1_19radix_merge_compareILb0ELb1ElNS0_19identity_decomposerEEEEE10hipError_tT0_T1_T2_jT3_P12ihipStream_tbPNSt15iterator_traitsISG_E10value_typeEPNSM_ISH_E10value_typeEPSI_NS1_7vsmem_tEENKUlT_SG_SH_SI_E_clIS7_S7_S7_SB_EESF_SV_SG_SH_SI_EUlSV_E_NS1_11comp_targetILNS1_3genE4ELNS1_11target_archE910ELNS1_3gpuE8ELNS1_3repE0EEENS1_48merge_mergepath_partition_config_static_selectorELNS0_4arch9wavefront6targetE1EEEvSH_
	.globl	_ZN7rocprim17ROCPRIM_400000_NS6detail17trampoline_kernelINS0_14default_configENS1_38merge_sort_block_merge_config_selectorIllEEZZNS1_27merge_sort_block_merge_implIS3_PlN6thrust23THRUST_200600_302600_NS10device_ptrIlEEjNS1_19radix_merge_compareILb0ELb1ElNS0_19identity_decomposerEEEEE10hipError_tT0_T1_T2_jT3_P12ihipStream_tbPNSt15iterator_traitsISG_E10value_typeEPNSM_ISH_E10value_typeEPSI_NS1_7vsmem_tEENKUlT_SG_SH_SI_E_clIS7_S7_S7_SB_EESF_SV_SG_SH_SI_EUlSV_E_NS1_11comp_targetILNS1_3genE4ELNS1_11target_archE910ELNS1_3gpuE8ELNS1_3repE0EEENS1_48merge_mergepath_partition_config_static_selectorELNS0_4arch9wavefront6targetE1EEEvSH_
	.p2align	8
	.type	_ZN7rocprim17ROCPRIM_400000_NS6detail17trampoline_kernelINS0_14default_configENS1_38merge_sort_block_merge_config_selectorIllEEZZNS1_27merge_sort_block_merge_implIS3_PlN6thrust23THRUST_200600_302600_NS10device_ptrIlEEjNS1_19radix_merge_compareILb0ELb1ElNS0_19identity_decomposerEEEEE10hipError_tT0_T1_T2_jT3_P12ihipStream_tbPNSt15iterator_traitsISG_E10value_typeEPNSM_ISH_E10value_typeEPSI_NS1_7vsmem_tEENKUlT_SG_SH_SI_E_clIS7_S7_S7_SB_EESF_SV_SG_SH_SI_EUlSV_E_NS1_11comp_targetILNS1_3genE4ELNS1_11target_archE910ELNS1_3gpuE8ELNS1_3repE0EEENS1_48merge_mergepath_partition_config_static_selectorELNS0_4arch9wavefront6targetE1EEEvSH_,@function
_ZN7rocprim17ROCPRIM_400000_NS6detail17trampoline_kernelINS0_14default_configENS1_38merge_sort_block_merge_config_selectorIllEEZZNS1_27merge_sort_block_merge_implIS3_PlN6thrust23THRUST_200600_302600_NS10device_ptrIlEEjNS1_19radix_merge_compareILb0ELb1ElNS0_19identity_decomposerEEEEE10hipError_tT0_T1_T2_jT3_P12ihipStream_tbPNSt15iterator_traitsISG_E10value_typeEPNSM_ISH_E10value_typeEPSI_NS1_7vsmem_tEENKUlT_SG_SH_SI_E_clIS7_S7_S7_SB_EESF_SV_SG_SH_SI_EUlSV_E_NS1_11comp_targetILNS1_3genE4ELNS1_11target_archE910ELNS1_3gpuE8ELNS1_3repE0EEENS1_48merge_mergepath_partition_config_static_selectorELNS0_4arch9wavefront6targetE1EEEvSH_: ; @_ZN7rocprim17ROCPRIM_400000_NS6detail17trampoline_kernelINS0_14default_configENS1_38merge_sort_block_merge_config_selectorIllEEZZNS1_27merge_sort_block_merge_implIS3_PlN6thrust23THRUST_200600_302600_NS10device_ptrIlEEjNS1_19radix_merge_compareILb0ELb1ElNS0_19identity_decomposerEEEEE10hipError_tT0_T1_T2_jT3_P12ihipStream_tbPNSt15iterator_traitsISG_E10value_typeEPNSM_ISH_E10value_typeEPSI_NS1_7vsmem_tEENKUlT_SG_SH_SI_E_clIS7_S7_S7_SB_EESF_SV_SG_SH_SI_EUlSV_E_NS1_11comp_targetILNS1_3genE4ELNS1_11target_archE910ELNS1_3gpuE8ELNS1_3repE0EEENS1_48merge_mergepath_partition_config_static_selectorELNS0_4arch9wavefront6targetE1EEEvSH_
; %bb.0:
	s_load_dword s0, s[4:5], 0x0
	v_lshl_or_b32 v0, s6, 7, v0
	s_waitcnt lgkmcnt(0)
	v_cmp_gt_u32_e32 vcc, s0, v0
	s_and_saveexec_b64 s[0:1], vcc
	s_cbranch_execz .LBB1069_6
; %bb.1:
	s_load_dwordx2 s[6:7], s[4:5], 0x4
	s_load_dwordx4 s[0:3], s[4:5], 0x18
	s_waitcnt lgkmcnt(0)
	s_lshr_b32 s8, s6, 9
	s_and_b32 s8, s8, 0x7ffffe
	s_add_i32 s9, s8, -1
	s_sub_i32 s8, 0, s8
	v_and_b32_e32 v1, s8, v0
	v_lshlrev_b32_e32 v1, 10, v1
	v_min_u32_e32 v2, s7, v1
	v_add_u32_e32 v1, s6, v1
	v_min_u32_e32 v4, s7, v1
	v_add_u32_e32 v1, s6, v4
	v_and_b32_e32 v3, s9, v0
	v_min_u32_e32 v1, s7, v1
	v_sub_u32_e32 v5, v1, v2
	v_lshlrev_b32_e32 v3, 10, v3
	v_min_u32_e32 v6, v5, v3
	v_sub_u32_e32 v3, v4, v2
	v_sub_u32_e32 v1, v1, v4
	v_sub_u32_e64 v1, v6, v1 clamp
	v_min_u32_e32 v7, v6, v3
	v_cmp_lt_u32_e32 vcc, v1, v7
	s_and_saveexec_b64 s[6:7], vcc
	s_cbranch_execz .LBB1069_5
; %bb.2:
	s_load_dwordx2 s[4:5], s[4:5], 0x10
	v_mov_b32_e32 v5, 0
	v_mov_b32_e32 v3, v5
	v_lshlrev_b64 v[8:9], 3, v[2:3]
	v_lshlrev_b64 v[10:11], 3, v[4:5]
	s_waitcnt lgkmcnt(0)
	v_mov_b32_e32 v12, s5
	v_add_co_u32_e32 v3, vcc, s4, v8
	v_addc_co_u32_e32 v8, vcc, v12, v9, vcc
	v_add_co_u32_e32 v9, vcc, s4, v10
	v_addc_co_u32_e32 v10, vcc, v12, v11, vcc
	s_mov_b64 s[4:5], 0
.LBB1069_3:                             ; =>This Inner Loop Header: Depth=1
	v_add_u32_e32 v4, v7, v1
	v_lshrrev_b32_e32 v4, 1, v4
	v_lshlrev_b64 v[14:15], 3, v[4:5]
	v_mov_b32_e32 v13, v5
	v_xad_u32 v12, v4, -1, v6
	v_add_co_u32_e32 v14, vcc, v3, v14
	v_addc_co_u32_e32 v15, vcc, v8, v15, vcc
	v_lshlrev_b64 v[12:13], 3, v[12:13]
	v_add_co_u32_e32 v12, vcc, v9, v12
	v_addc_co_u32_e32 v13, vcc, v10, v13, vcc
	global_load_dwordx2 v[14:15], v[14:15], off
	v_add_u32_e32 v11, 1, v4
	global_load_dwordx2 v[12:13], v[12:13], off
	s_waitcnt vmcnt(1)
	v_and_b32_e32 v15, s1, v15
	v_and_b32_e32 v14, s0, v14
	s_waitcnt vmcnt(0)
	v_and_b32_e32 v13, s1, v13
	v_and_b32_e32 v12, s0, v12
	v_cmp_gt_i64_e32 vcc, v[14:15], v[12:13]
	v_cndmask_b32_e32 v7, v7, v4, vcc
	v_cndmask_b32_e32 v1, v11, v1, vcc
	v_cmp_ge_u32_e32 vcc, v1, v7
	s_or_b64 s[4:5], vcc, s[4:5]
	s_andn2_b64 exec, exec, s[4:5]
	s_cbranch_execnz .LBB1069_3
; %bb.4:
	s_or_b64 exec, exec, s[4:5]
.LBB1069_5:
	s_or_b64 exec, exec, s[6:7]
	v_add_u32_e32 v2, v1, v2
	v_mov_b32_e32 v1, 0
	v_lshlrev_b64 v[0:1], 2, v[0:1]
	v_mov_b32_e32 v3, s3
	v_add_co_u32_e32 v0, vcc, s2, v0
	v_addc_co_u32_e32 v1, vcc, v3, v1, vcc
	global_store_dword v[0:1], v2, off
.LBB1069_6:
	s_endpgm
	.section	.rodata,"a",@progbits
	.p2align	6, 0x0
	.amdhsa_kernel _ZN7rocprim17ROCPRIM_400000_NS6detail17trampoline_kernelINS0_14default_configENS1_38merge_sort_block_merge_config_selectorIllEEZZNS1_27merge_sort_block_merge_implIS3_PlN6thrust23THRUST_200600_302600_NS10device_ptrIlEEjNS1_19radix_merge_compareILb0ELb1ElNS0_19identity_decomposerEEEEE10hipError_tT0_T1_T2_jT3_P12ihipStream_tbPNSt15iterator_traitsISG_E10value_typeEPNSM_ISH_E10value_typeEPSI_NS1_7vsmem_tEENKUlT_SG_SH_SI_E_clIS7_S7_S7_SB_EESF_SV_SG_SH_SI_EUlSV_E_NS1_11comp_targetILNS1_3genE4ELNS1_11target_archE910ELNS1_3gpuE8ELNS1_3repE0EEENS1_48merge_mergepath_partition_config_static_selectorELNS0_4arch9wavefront6targetE1EEEvSH_
		.amdhsa_group_segment_fixed_size 0
		.amdhsa_private_segment_fixed_size 0
		.amdhsa_kernarg_size 40
		.amdhsa_user_sgpr_count 6
		.amdhsa_user_sgpr_private_segment_buffer 1
		.amdhsa_user_sgpr_dispatch_ptr 0
		.amdhsa_user_sgpr_queue_ptr 0
		.amdhsa_user_sgpr_kernarg_segment_ptr 1
		.amdhsa_user_sgpr_dispatch_id 0
		.amdhsa_user_sgpr_flat_scratch_init 0
		.amdhsa_user_sgpr_kernarg_preload_length 0
		.amdhsa_user_sgpr_kernarg_preload_offset 0
		.amdhsa_user_sgpr_private_segment_size 0
		.amdhsa_uses_dynamic_stack 0
		.amdhsa_system_sgpr_private_segment_wavefront_offset 0
		.amdhsa_system_sgpr_workgroup_id_x 1
		.amdhsa_system_sgpr_workgroup_id_y 0
		.amdhsa_system_sgpr_workgroup_id_z 0
		.amdhsa_system_sgpr_workgroup_info 0
		.amdhsa_system_vgpr_workitem_id 0
		.amdhsa_next_free_vgpr 16
		.amdhsa_next_free_sgpr 10
		.amdhsa_accum_offset 16
		.amdhsa_reserve_vcc 1
		.amdhsa_reserve_flat_scratch 0
		.amdhsa_float_round_mode_32 0
		.amdhsa_float_round_mode_16_64 0
		.amdhsa_float_denorm_mode_32 3
		.amdhsa_float_denorm_mode_16_64 3
		.amdhsa_dx10_clamp 1
		.amdhsa_ieee_mode 1
		.amdhsa_fp16_overflow 0
		.amdhsa_tg_split 0
		.amdhsa_exception_fp_ieee_invalid_op 0
		.amdhsa_exception_fp_denorm_src 0
		.amdhsa_exception_fp_ieee_div_zero 0
		.amdhsa_exception_fp_ieee_overflow 0
		.amdhsa_exception_fp_ieee_underflow 0
		.amdhsa_exception_fp_ieee_inexact 0
		.amdhsa_exception_int_div_zero 0
	.end_amdhsa_kernel
	.section	.text._ZN7rocprim17ROCPRIM_400000_NS6detail17trampoline_kernelINS0_14default_configENS1_38merge_sort_block_merge_config_selectorIllEEZZNS1_27merge_sort_block_merge_implIS3_PlN6thrust23THRUST_200600_302600_NS10device_ptrIlEEjNS1_19radix_merge_compareILb0ELb1ElNS0_19identity_decomposerEEEEE10hipError_tT0_T1_T2_jT3_P12ihipStream_tbPNSt15iterator_traitsISG_E10value_typeEPNSM_ISH_E10value_typeEPSI_NS1_7vsmem_tEENKUlT_SG_SH_SI_E_clIS7_S7_S7_SB_EESF_SV_SG_SH_SI_EUlSV_E_NS1_11comp_targetILNS1_3genE4ELNS1_11target_archE910ELNS1_3gpuE8ELNS1_3repE0EEENS1_48merge_mergepath_partition_config_static_selectorELNS0_4arch9wavefront6targetE1EEEvSH_,"axG",@progbits,_ZN7rocprim17ROCPRIM_400000_NS6detail17trampoline_kernelINS0_14default_configENS1_38merge_sort_block_merge_config_selectorIllEEZZNS1_27merge_sort_block_merge_implIS3_PlN6thrust23THRUST_200600_302600_NS10device_ptrIlEEjNS1_19radix_merge_compareILb0ELb1ElNS0_19identity_decomposerEEEEE10hipError_tT0_T1_T2_jT3_P12ihipStream_tbPNSt15iterator_traitsISG_E10value_typeEPNSM_ISH_E10value_typeEPSI_NS1_7vsmem_tEENKUlT_SG_SH_SI_E_clIS7_S7_S7_SB_EESF_SV_SG_SH_SI_EUlSV_E_NS1_11comp_targetILNS1_3genE4ELNS1_11target_archE910ELNS1_3gpuE8ELNS1_3repE0EEENS1_48merge_mergepath_partition_config_static_selectorELNS0_4arch9wavefront6targetE1EEEvSH_,comdat
.Lfunc_end1069:
	.size	_ZN7rocprim17ROCPRIM_400000_NS6detail17trampoline_kernelINS0_14default_configENS1_38merge_sort_block_merge_config_selectorIllEEZZNS1_27merge_sort_block_merge_implIS3_PlN6thrust23THRUST_200600_302600_NS10device_ptrIlEEjNS1_19radix_merge_compareILb0ELb1ElNS0_19identity_decomposerEEEEE10hipError_tT0_T1_T2_jT3_P12ihipStream_tbPNSt15iterator_traitsISG_E10value_typeEPNSM_ISH_E10value_typeEPSI_NS1_7vsmem_tEENKUlT_SG_SH_SI_E_clIS7_S7_S7_SB_EESF_SV_SG_SH_SI_EUlSV_E_NS1_11comp_targetILNS1_3genE4ELNS1_11target_archE910ELNS1_3gpuE8ELNS1_3repE0EEENS1_48merge_mergepath_partition_config_static_selectorELNS0_4arch9wavefront6targetE1EEEvSH_, .Lfunc_end1069-_ZN7rocprim17ROCPRIM_400000_NS6detail17trampoline_kernelINS0_14default_configENS1_38merge_sort_block_merge_config_selectorIllEEZZNS1_27merge_sort_block_merge_implIS3_PlN6thrust23THRUST_200600_302600_NS10device_ptrIlEEjNS1_19radix_merge_compareILb0ELb1ElNS0_19identity_decomposerEEEEE10hipError_tT0_T1_T2_jT3_P12ihipStream_tbPNSt15iterator_traitsISG_E10value_typeEPNSM_ISH_E10value_typeEPSI_NS1_7vsmem_tEENKUlT_SG_SH_SI_E_clIS7_S7_S7_SB_EESF_SV_SG_SH_SI_EUlSV_E_NS1_11comp_targetILNS1_3genE4ELNS1_11target_archE910ELNS1_3gpuE8ELNS1_3repE0EEENS1_48merge_mergepath_partition_config_static_selectorELNS0_4arch9wavefront6targetE1EEEvSH_
                                        ; -- End function
	.section	.AMDGPU.csdata,"",@progbits
; Kernel info:
; codeLenInByte = 380
; NumSgprs: 14
; NumVgprs: 16
; NumAgprs: 0
; TotalNumVgprs: 16
; ScratchSize: 0
; MemoryBound: 0
; FloatMode: 240
; IeeeMode: 1
; LDSByteSize: 0 bytes/workgroup (compile time only)
; SGPRBlocks: 1
; VGPRBlocks: 1
; NumSGPRsForWavesPerEU: 14
; NumVGPRsForWavesPerEU: 16
; AccumOffset: 16
; Occupancy: 8
; WaveLimiterHint : 0
; COMPUTE_PGM_RSRC2:SCRATCH_EN: 0
; COMPUTE_PGM_RSRC2:USER_SGPR: 6
; COMPUTE_PGM_RSRC2:TRAP_HANDLER: 0
; COMPUTE_PGM_RSRC2:TGID_X_EN: 1
; COMPUTE_PGM_RSRC2:TGID_Y_EN: 0
; COMPUTE_PGM_RSRC2:TGID_Z_EN: 0
; COMPUTE_PGM_RSRC2:TIDIG_COMP_CNT: 0
; COMPUTE_PGM_RSRC3_GFX90A:ACCUM_OFFSET: 3
; COMPUTE_PGM_RSRC3_GFX90A:TG_SPLIT: 0
	.section	.text._ZN7rocprim17ROCPRIM_400000_NS6detail17trampoline_kernelINS0_14default_configENS1_38merge_sort_block_merge_config_selectorIllEEZZNS1_27merge_sort_block_merge_implIS3_PlN6thrust23THRUST_200600_302600_NS10device_ptrIlEEjNS1_19radix_merge_compareILb0ELb1ElNS0_19identity_decomposerEEEEE10hipError_tT0_T1_T2_jT3_P12ihipStream_tbPNSt15iterator_traitsISG_E10value_typeEPNSM_ISH_E10value_typeEPSI_NS1_7vsmem_tEENKUlT_SG_SH_SI_E_clIS7_S7_S7_SB_EESF_SV_SG_SH_SI_EUlSV_E_NS1_11comp_targetILNS1_3genE3ELNS1_11target_archE908ELNS1_3gpuE7ELNS1_3repE0EEENS1_48merge_mergepath_partition_config_static_selectorELNS0_4arch9wavefront6targetE1EEEvSH_,"axG",@progbits,_ZN7rocprim17ROCPRIM_400000_NS6detail17trampoline_kernelINS0_14default_configENS1_38merge_sort_block_merge_config_selectorIllEEZZNS1_27merge_sort_block_merge_implIS3_PlN6thrust23THRUST_200600_302600_NS10device_ptrIlEEjNS1_19radix_merge_compareILb0ELb1ElNS0_19identity_decomposerEEEEE10hipError_tT0_T1_T2_jT3_P12ihipStream_tbPNSt15iterator_traitsISG_E10value_typeEPNSM_ISH_E10value_typeEPSI_NS1_7vsmem_tEENKUlT_SG_SH_SI_E_clIS7_S7_S7_SB_EESF_SV_SG_SH_SI_EUlSV_E_NS1_11comp_targetILNS1_3genE3ELNS1_11target_archE908ELNS1_3gpuE7ELNS1_3repE0EEENS1_48merge_mergepath_partition_config_static_selectorELNS0_4arch9wavefront6targetE1EEEvSH_,comdat
	.protected	_ZN7rocprim17ROCPRIM_400000_NS6detail17trampoline_kernelINS0_14default_configENS1_38merge_sort_block_merge_config_selectorIllEEZZNS1_27merge_sort_block_merge_implIS3_PlN6thrust23THRUST_200600_302600_NS10device_ptrIlEEjNS1_19radix_merge_compareILb0ELb1ElNS0_19identity_decomposerEEEEE10hipError_tT0_T1_T2_jT3_P12ihipStream_tbPNSt15iterator_traitsISG_E10value_typeEPNSM_ISH_E10value_typeEPSI_NS1_7vsmem_tEENKUlT_SG_SH_SI_E_clIS7_S7_S7_SB_EESF_SV_SG_SH_SI_EUlSV_E_NS1_11comp_targetILNS1_3genE3ELNS1_11target_archE908ELNS1_3gpuE7ELNS1_3repE0EEENS1_48merge_mergepath_partition_config_static_selectorELNS0_4arch9wavefront6targetE1EEEvSH_ ; -- Begin function _ZN7rocprim17ROCPRIM_400000_NS6detail17trampoline_kernelINS0_14default_configENS1_38merge_sort_block_merge_config_selectorIllEEZZNS1_27merge_sort_block_merge_implIS3_PlN6thrust23THRUST_200600_302600_NS10device_ptrIlEEjNS1_19radix_merge_compareILb0ELb1ElNS0_19identity_decomposerEEEEE10hipError_tT0_T1_T2_jT3_P12ihipStream_tbPNSt15iterator_traitsISG_E10value_typeEPNSM_ISH_E10value_typeEPSI_NS1_7vsmem_tEENKUlT_SG_SH_SI_E_clIS7_S7_S7_SB_EESF_SV_SG_SH_SI_EUlSV_E_NS1_11comp_targetILNS1_3genE3ELNS1_11target_archE908ELNS1_3gpuE7ELNS1_3repE0EEENS1_48merge_mergepath_partition_config_static_selectorELNS0_4arch9wavefront6targetE1EEEvSH_
	.globl	_ZN7rocprim17ROCPRIM_400000_NS6detail17trampoline_kernelINS0_14default_configENS1_38merge_sort_block_merge_config_selectorIllEEZZNS1_27merge_sort_block_merge_implIS3_PlN6thrust23THRUST_200600_302600_NS10device_ptrIlEEjNS1_19radix_merge_compareILb0ELb1ElNS0_19identity_decomposerEEEEE10hipError_tT0_T1_T2_jT3_P12ihipStream_tbPNSt15iterator_traitsISG_E10value_typeEPNSM_ISH_E10value_typeEPSI_NS1_7vsmem_tEENKUlT_SG_SH_SI_E_clIS7_S7_S7_SB_EESF_SV_SG_SH_SI_EUlSV_E_NS1_11comp_targetILNS1_3genE3ELNS1_11target_archE908ELNS1_3gpuE7ELNS1_3repE0EEENS1_48merge_mergepath_partition_config_static_selectorELNS0_4arch9wavefront6targetE1EEEvSH_
	.p2align	8
	.type	_ZN7rocprim17ROCPRIM_400000_NS6detail17trampoline_kernelINS0_14default_configENS1_38merge_sort_block_merge_config_selectorIllEEZZNS1_27merge_sort_block_merge_implIS3_PlN6thrust23THRUST_200600_302600_NS10device_ptrIlEEjNS1_19radix_merge_compareILb0ELb1ElNS0_19identity_decomposerEEEEE10hipError_tT0_T1_T2_jT3_P12ihipStream_tbPNSt15iterator_traitsISG_E10value_typeEPNSM_ISH_E10value_typeEPSI_NS1_7vsmem_tEENKUlT_SG_SH_SI_E_clIS7_S7_S7_SB_EESF_SV_SG_SH_SI_EUlSV_E_NS1_11comp_targetILNS1_3genE3ELNS1_11target_archE908ELNS1_3gpuE7ELNS1_3repE0EEENS1_48merge_mergepath_partition_config_static_selectorELNS0_4arch9wavefront6targetE1EEEvSH_,@function
_ZN7rocprim17ROCPRIM_400000_NS6detail17trampoline_kernelINS0_14default_configENS1_38merge_sort_block_merge_config_selectorIllEEZZNS1_27merge_sort_block_merge_implIS3_PlN6thrust23THRUST_200600_302600_NS10device_ptrIlEEjNS1_19radix_merge_compareILb0ELb1ElNS0_19identity_decomposerEEEEE10hipError_tT0_T1_T2_jT3_P12ihipStream_tbPNSt15iterator_traitsISG_E10value_typeEPNSM_ISH_E10value_typeEPSI_NS1_7vsmem_tEENKUlT_SG_SH_SI_E_clIS7_S7_S7_SB_EESF_SV_SG_SH_SI_EUlSV_E_NS1_11comp_targetILNS1_3genE3ELNS1_11target_archE908ELNS1_3gpuE7ELNS1_3repE0EEENS1_48merge_mergepath_partition_config_static_selectorELNS0_4arch9wavefront6targetE1EEEvSH_: ; @_ZN7rocprim17ROCPRIM_400000_NS6detail17trampoline_kernelINS0_14default_configENS1_38merge_sort_block_merge_config_selectorIllEEZZNS1_27merge_sort_block_merge_implIS3_PlN6thrust23THRUST_200600_302600_NS10device_ptrIlEEjNS1_19radix_merge_compareILb0ELb1ElNS0_19identity_decomposerEEEEE10hipError_tT0_T1_T2_jT3_P12ihipStream_tbPNSt15iterator_traitsISG_E10value_typeEPNSM_ISH_E10value_typeEPSI_NS1_7vsmem_tEENKUlT_SG_SH_SI_E_clIS7_S7_S7_SB_EESF_SV_SG_SH_SI_EUlSV_E_NS1_11comp_targetILNS1_3genE3ELNS1_11target_archE908ELNS1_3gpuE7ELNS1_3repE0EEENS1_48merge_mergepath_partition_config_static_selectorELNS0_4arch9wavefront6targetE1EEEvSH_
; %bb.0:
	.section	.rodata,"a",@progbits
	.p2align	6, 0x0
	.amdhsa_kernel _ZN7rocprim17ROCPRIM_400000_NS6detail17trampoline_kernelINS0_14default_configENS1_38merge_sort_block_merge_config_selectorIllEEZZNS1_27merge_sort_block_merge_implIS3_PlN6thrust23THRUST_200600_302600_NS10device_ptrIlEEjNS1_19radix_merge_compareILb0ELb1ElNS0_19identity_decomposerEEEEE10hipError_tT0_T1_T2_jT3_P12ihipStream_tbPNSt15iterator_traitsISG_E10value_typeEPNSM_ISH_E10value_typeEPSI_NS1_7vsmem_tEENKUlT_SG_SH_SI_E_clIS7_S7_S7_SB_EESF_SV_SG_SH_SI_EUlSV_E_NS1_11comp_targetILNS1_3genE3ELNS1_11target_archE908ELNS1_3gpuE7ELNS1_3repE0EEENS1_48merge_mergepath_partition_config_static_selectorELNS0_4arch9wavefront6targetE1EEEvSH_
		.amdhsa_group_segment_fixed_size 0
		.amdhsa_private_segment_fixed_size 0
		.amdhsa_kernarg_size 40
		.amdhsa_user_sgpr_count 6
		.amdhsa_user_sgpr_private_segment_buffer 1
		.amdhsa_user_sgpr_dispatch_ptr 0
		.amdhsa_user_sgpr_queue_ptr 0
		.amdhsa_user_sgpr_kernarg_segment_ptr 1
		.amdhsa_user_sgpr_dispatch_id 0
		.amdhsa_user_sgpr_flat_scratch_init 0
		.amdhsa_user_sgpr_kernarg_preload_length 0
		.amdhsa_user_sgpr_kernarg_preload_offset 0
		.amdhsa_user_sgpr_private_segment_size 0
		.amdhsa_uses_dynamic_stack 0
		.amdhsa_system_sgpr_private_segment_wavefront_offset 0
		.amdhsa_system_sgpr_workgroup_id_x 1
		.amdhsa_system_sgpr_workgroup_id_y 0
		.amdhsa_system_sgpr_workgroup_id_z 0
		.amdhsa_system_sgpr_workgroup_info 0
		.amdhsa_system_vgpr_workitem_id 0
		.amdhsa_next_free_vgpr 1
		.amdhsa_next_free_sgpr 0
		.amdhsa_accum_offset 4
		.amdhsa_reserve_vcc 0
		.amdhsa_reserve_flat_scratch 0
		.amdhsa_float_round_mode_32 0
		.amdhsa_float_round_mode_16_64 0
		.amdhsa_float_denorm_mode_32 3
		.amdhsa_float_denorm_mode_16_64 3
		.amdhsa_dx10_clamp 1
		.amdhsa_ieee_mode 1
		.amdhsa_fp16_overflow 0
		.amdhsa_tg_split 0
		.amdhsa_exception_fp_ieee_invalid_op 0
		.amdhsa_exception_fp_denorm_src 0
		.amdhsa_exception_fp_ieee_div_zero 0
		.amdhsa_exception_fp_ieee_overflow 0
		.amdhsa_exception_fp_ieee_underflow 0
		.amdhsa_exception_fp_ieee_inexact 0
		.amdhsa_exception_int_div_zero 0
	.end_amdhsa_kernel
	.section	.text._ZN7rocprim17ROCPRIM_400000_NS6detail17trampoline_kernelINS0_14default_configENS1_38merge_sort_block_merge_config_selectorIllEEZZNS1_27merge_sort_block_merge_implIS3_PlN6thrust23THRUST_200600_302600_NS10device_ptrIlEEjNS1_19radix_merge_compareILb0ELb1ElNS0_19identity_decomposerEEEEE10hipError_tT0_T1_T2_jT3_P12ihipStream_tbPNSt15iterator_traitsISG_E10value_typeEPNSM_ISH_E10value_typeEPSI_NS1_7vsmem_tEENKUlT_SG_SH_SI_E_clIS7_S7_S7_SB_EESF_SV_SG_SH_SI_EUlSV_E_NS1_11comp_targetILNS1_3genE3ELNS1_11target_archE908ELNS1_3gpuE7ELNS1_3repE0EEENS1_48merge_mergepath_partition_config_static_selectorELNS0_4arch9wavefront6targetE1EEEvSH_,"axG",@progbits,_ZN7rocprim17ROCPRIM_400000_NS6detail17trampoline_kernelINS0_14default_configENS1_38merge_sort_block_merge_config_selectorIllEEZZNS1_27merge_sort_block_merge_implIS3_PlN6thrust23THRUST_200600_302600_NS10device_ptrIlEEjNS1_19radix_merge_compareILb0ELb1ElNS0_19identity_decomposerEEEEE10hipError_tT0_T1_T2_jT3_P12ihipStream_tbPNSt15iterator_traitsISG_E10value_typeEPNSM_ISH_E10value_typeEPSI_NS1_7vsmem_tEENKUlT_SG_SH_SI_E_clIS7_S7_S7_SB_EESF_SV_SG_SH_SI_EUlSV_E_NS1_11comp_targetILNS1_3genE3ELNS1_11target_archE908ELNS1_3gpuE7ELNS1_3repE0EEENS1_48merge_mergepath_partition_config_static_selectorELNS0_4arch9wavefront6targetE1EEEvSH_,comdat
.Lfunc_end1070:
	.size	_ZN7rocprim17ROCPRIM_400000_NS6detail17trampoline_kernelINS0_14default_configENS1_38merge_sort_block_merge_config_selectorIllEEZZNS1_27merge_sort_block_merge_implIS3_PlN6thrust23THRUST_200600_302600_NS10device_ptrIlEEjNS1_19radix_merge_compareILb0ELb1ElNS0_19identity_decomposerEEEEE10hipError_tT0_T1_T2_jT3_P12ihipStream_tbPNSt15iterator_traitsISG_E10value_typeEPNSM_ISH_E10value_typeEPSI_NS1_7vsmem_tEENKUlT_SG_SH_SI_E_clIS7_S7_S7_SB_EESF_SV_SG_SH_SI_EUlSV_E_NS1_11comp_targetILNS1_3genE3ELNS1_11target_archE908ELNS1_3gpuE7ELNS1_3repE0EEENS1_48merge_mergepath_partition_config_static_selectorELNS0_4arch9wavefront6targetE1EEEvSH_, .Lfunc_end1070-_ZN7rocprim17ROCPRIM_400000_NS6detail17trampoline_kernelINS0_14default_configENS1_38merge_sort_block_merge_config_selectorIllEEZZNS1_27merge_sort_block_merge_implIS3_PlN6thrust23THRUST_200600_302600_NS10device_ptrIlEEjNS1_19radix_merge_compareILb0ELb1ElNS0_19identity_decomposerEEEEE10hipError_tT0_T1_T2_jT3_P12ihipStream_tbPNSt15iterator_traitsISG_E10value_typeEPNSM_ISH_E10value_typeEPSI_NS1_7vsmem_tEENKUlT_SG_SH_SI_E_clIS7_S7_S7_SB_EESF_SV_SG_SH_SI_EUlSV_E_NS1_11comp_targetILNS1_3genE3ELNS1_11target_archE908ELNS1_3gpuE7ELNS1_3repE0EEENS1_48merge_mergepath_partition_config_static_selectorELNS0_4arch9wavefront6targetE1EEEvSH_
                                        ; -- End function
	.section	.AMDGPU.csdata,"",@progbits
; Kernel info:
; codeLenInByte = 0
; NumSgprs: 4
; NumVgprs: 0
; NumAgprs: 0
; TotalNumVgprs: 0
; ScratchSize: 0
; MemoryBound: 0
; FloatMode: 240
; IeeeMode: 1
; LDSByteSize: 0 bytes/workgroup (compile time only)
; SGPRBlocks: 0
; VGPRBlocks: 0
; NumSGPRsForWavesPerEU: 4
; NumVGPRsForWavesPerEU: 1
; AccumOffset: 4
; Occupancy: 8
; WaveLimiterHint : 0
; COMPUTE_PGM_RSRC2:SCRATCH_EN: 0
; COMPUTE_PGM_RSRC2:USER_SGPR: 6
; COMPUTE_PGM_RSRC2:TRAP_HANDLER: 0
; COMPUTE_PGM_RSRC2:TGID_X_EN: 1
; COMPUTE_PGM_RSRC2:TGID_Y_EN: 0
; COMPUTE_PGM_RSRC2:TGID_Z_EN: 0
; COMPUTE_PGM_RSRC2:TIDIG_COMP_CNT: 0
; COMPUTE_PGM_RSRC3_GFX90A:ACCUM_OFFSET: 0
; COMPUTE_PGM_RSRC3_GFX90A:TG_SPLIT: 0
	.section	.text._ZN7rocprim17ROCPRIM_400000_NS6detail17trampoline_kernelINS0_14default_configENS1_38merge_sort_block_merge_config_selectorIllEEZZNS1_27merge_sort_block_merge_implIS3_PlN6thrust23THRUST_200600_302600_NS10device_ptrIlEEjNS1_19radix_merge_compareILb0ELb1ElNS0_19identity_decomposerEEEEE10hipError_tT0_T1_T2_jT3_P12ihipStream_tbPNSt15iterator_traitsISG_E10value_typeEPNSM_ISH_E10value_typeEPSI_NS1_7vsmem_tEENKUlT_SG_SH_SI_E_clIS7_S7_S7_SB_EESF_SV_SG_SH_SI_EUlSV_E_NS1_11comp_targetILNS1_3genE2ELNS1_11target_archE906ELNS1_3gpuE6ELNS1_3repE0EEENS1_48merge_mergepath_partition_config_static_selectorELNS0_4arch9wavefront6targetE1EEEvSH_,"axG",@progbits,_ZN7rocprim17ROCPRIM_400000_NS6detail17trampoline_kernelINS0_14default_configENS1_38merge_sort_block_merge_config_selectorIllEEZZNS1_27merge_sort_block_merge_implIS3_PlN6thrust23THRUST_200600_302600_NS10device_ptrIlEEjNS1_19radix_merge_compareILb0ELb1ElNS0_19identity_decomposerEEEEE10hipError_tT0_T1_T2_jT3_P12ihipStream_tbPNSt15iterator_traitsISG_E10value_typeEPNSM_ISH_E10value_typeEPSI_NS1_7vsmem_tEENKUlT_SG_SH_SI_E_clIS7_S7_S7_SB_EESF_SV_SG_SH_SI_EUlSV_E_NS1_11comp_targetILNS1_3genE2ELNS1_11target_archE906ELNS1_3gpuE6ELNS1_3repE0EEENS1_48merge_mergepath_partition_config_static_selectorELNS0_4arch9wavefront6targetE1EEEvSH_,comdat
	.protected	_ZN7rocprim17ROCPRIM_400000_NS6detail17trampoline_kernelINS0_14default_configENS1_38merge_sort_block_merge_config_selectorIllEEZZNS1_27merge_sort_block_merge_implIS3_PlN6thrust23THRUST_200600_302600_NS10device_ptrIlEEjNS1_19radix_merge_compareILb0ELb1ElNS0_19identity_decomposerEEEEE10hipError_tT0_T1_T2_jT3_P12ihipStream_tbPNSt15iterator_traitsISG_E10value_typeEPNSM_ISH_E10value_typeEPSI_NS1_7vsmem_tEENKUlT_SG_SH_SI_E_clIS7_S7_S7_SB_EESF_SV_SG_SH_SI_EUlSV_E_NS1_11comp_targetILNS1_3genE2ELNS1_11target_archE906ELNS1_3gpuE6ELNS1_3repE0EEENS1_48merge_mergepath_partition_config_static_selectorELNS0_4arch9wavefront6targetE1EEEvSH_ ; -- Begin function _ZN7rocprim17ROCPRIM_400000_NS6detail17trampoline_kernelINS0_14default_configENS1_38merge_sort_block_merge_config_selectorIllEEZZNS1_27merge_sort_block_merge_implIS3_PlN6thrust23THRUST_200600_302600_NS10device_ptrIlEEjNS1_19radix_merge_compareILb0ELb1ElNS0_19identity_decomposerEEEEE10hipError_tT0_T1_T2_jT3_P12ihipStream_tbPNSt15iterator_traitsISG_E10value_typeEPNSM_ISH_E10value_typeEPSI_NS1_7vsmem_tEENKUlT_SG_SH_SI_E_clIS7_S7_S7_SB_EESF_SV_SG_SH_SI_EUlSV_E_NS1_11comp_targetILNS1_3genE2ELNS1_11target_archE906ELNS1_3gpuE6ELNS1_3repE0EEENS1_48merge_mergepath_partition_config_static_selectorELNS0_4arch9wavefront6targetE1EEEvSH_
	.globl	_ZN7rocprim17ROCPRIM_400000_NS6detail17trampoline_kernelINS0_14default_configENS1_38merge_sort_block_merge_config_selectorIllEEZZNS1_27merge_sort_block_merge_implIS3_PlN6thrust23THRUST_200600_302600_NS10device_ptrIlEEjNS1_19radix_merge_compareILb0ELb1ElNS0_19identity_decomposerEEEEE10hipError_tT0_T1_T2_jT3_P12ihipStream_tbPNSt15iterator_traitsISG_E10value_typeEPNSM_ISH_E10value_typeEPSI_NS1_7vsmem_tEENKUlT_SG_SH_SI_E_clIS7_S7_S7_SB_EESF_SV_SG_SH_SI_EUlSV_E_NS1_11comp_targetILNS1_3genE2ELNS1_11target_archE906ELNS1_3gpuE6ELNS1_3repE0EEENS1_48merge_mergepath_partition_config_static_selectorELNS0_4arch9wavefront6targetE1EEEvSH_
	.p2align	8
	.type	_ZN7rocprim17ROCPRIM_400000_NS6detail17trampoline_kernelINS0_14default_configENS1_38merge_sort_block_merge_config_selectorIllEEZZNS1_27merge_sort_block_merge_implIS3_PlN6thrust23THRUST_200600_302600_NS10device_ptrIlEEjNS1_19radix_merge_compareILb0ELb1ElNS0_19identity_decomposerEEEEE10hipError_tT0_T1_T2_jT3_P12ihipStream_tbPNSt15iterator_traitsISG_E10value_typeEPNSM_ISH_E10value_typeEPSI_NS1_7vsmem_tEENKUlT_SG_SH_SI_E_clIS7_S7_S7_SB_EESF_SV_SG_SH_SI_EUlSV_E_NS1_11comp_targetILNS1_3genE2ELNS1_11target_archE906ELNS1_3gpuE6ELNS1_3repE0EEENS1_48merge_mergepath_partition_config_static_selectorELNS0_4arch9wavefront6targetE1EEEvSH_,@function
_ZN7rocprim17ROCPRIM_400000_NS6detail17trampoline_kernelINS0_14default_configENS1_38merge_sort_block_merge_config_selectorIllEEZZNS1_27merge_sort_block_merge_implIS3_PlN6thrust23THRUST_200600_302600_NS10device_ptrIlEEjNS1_19radix_merge_compareILb0ELb1ElNS0_19identity_decomposerEEEEE10hipError_tT0_T1_T2_jT3_P12ihipStream_tbPNSt15iterator_traitsISG_E10value_typeEPNSM_ISH_E10value_typeEPSI_NS1_7vsmem_tEENKUlT_SG_SH_SI_E_clIS7_S7_S7_SB_EESF_SV_SG_SH_SI_EUlSV_E_NS1_11comp_targetILNS1_3genE2ELNS1_11target_archE906ELNS1_3gpuE6ELNS1_3repE0EEENS1_48merge_mergepath_partition_config_static_selectorELNS0_4arch9wavefront6targetE1EEEvSH_: ; @_ZN7rocprim17ROCPRIM_400000_NS6detail17trampoline_kernelINS0_14default_configENS1_38merge_sort_block_merge_config_selectorIllEEZZNS1_27merge_sort_block_merge_implIS3_PlN6thrust23THRUST_200600_302600_NS10device_ptrIlEEjNS1_19radix_merge_compareILb0ELb1ElNS0_19identity_decomposerEEEEE10hipError_tT0_T1_T2_jT3_P12ihipStream_tbPNSt15iterator_traitsISG_E10value_typeEPNSM_ISH_E10value_typeEPSI_NS1_7vsmem_tEENKUlT_SG_SH_SI_E_clIS7_S7_S7_SB_EESF_SV_SG_SH_SI_EUlSV_E_NS1_11comp_targetILNS1_3genE2ELNS1_11target_archE906ELNS1_3gpuE6ELNS1_3repE0EEENS1_48merge_mergepath_partition_config_static_selectorELNS0_4arch9wavefront6targetE1EEEvSH_
; %bb.0:
	.section	.rodata,"a",@progbits
	.p2align	6, 0x0
	.amdhsa_kernel _ZN7rocprim17ROCPRIM_400000_NS6detail17trampoline_kernelINS0_14default_configENS1_38merge_sort_block_merge_config_selectorIllEEZZNS1_27merge_sort_block_merge_implIS3_PlN6thrust23THRUST_200600_302600_NS10device_ptrIlEEjNS1_19radix_merge_compareILb0ELb1ElNS0_19identity_decomposerEEEEE10hipError_tT0_T1_T2_jT3_P12ihipStream_tbPNSt15iterator_traitsISG_E10value_typeEPNSM_ISH_E10value_typeEPSI_NS1_7vsmem_tEENKUlT_SG_SH_SI_E_clIS7_S7_S7_SB_EESF_SV_SG_SH_SI_EUlSV_E_NS1_11comp_targetILNS1_3genE2ELNS1_11target_archE906ELNS1_3gpuE6ELNS1_3repE0EEENS1_48merge_mergepath_partition_config_static_selectorELNS0_4arch9wavefront6targetE1EEEvSH_
		.amdhsa_group_segment_fixed_size 0
		.amdhsa_private_segment_fixed_size 0
		.amdhsa_kernarg_size 40
		.amdhsa_user_sgpr_count 6
		.amdhsa_user_sgpr_private_segment_buffer 1
		.amdhsa_user_sgpr_dispatch_ptr 0
		.amdhsa_user_sgpr_queue_ptr 0
		.amdhsa_user_sgpr_kernarg_segment_ptr 1
		.amdhsa_user_sgpr_dispatch_id 0
		.amdhsa_user_sgpr_flat_scratch_init 0
		.amdhsa_user_sgpr_kernarg_preload_length 0
		.amdhsa_user_sgpr_kernarg_preload_offset 0
		.amdhsa_user_sgpr_private_segment_size 0
		.amdhsa_uses_dynamic_stack 0
		.amdhsa_system_sgpr_private_segment_wavefront_offset 0
		.amdhsa_system_sgpr_workgroup_id_x 1
		.amdhsa_system_sgpr_workgroup_id_y 0
		.amdhsa_system_sgpr_workgroup_id_z 0
		.amdhsa_system_sgpr_workgroup_info 0
		.amdhsa_system_vgpr_workitem_id 0
		.amdhsa_next_free_vgpr 1
		.amdhsa_next_free_sgpr 0
		.amdhsa_accum_offset 4
		.amdhsa_reserve_vcc 0
		.amdhsa_reserve_flat_scratch 0
		.amdhsa_float_round_mode_32 0
		.amdhsa_float_round_mode_16_64 0
		.amdhsa_float_denorm_mode_32 3
		.amdhsa_float_denorm_mode_16_64 3
		.amdhsa_dx10_clamp 1
		.amdhsa_ieee_mode 1
		.amdhsa_fp16_overflow 0
		.amdhsa_tg_split 0
		.amdhsa_exception_fp_ieee_invalid_op 0
		.amdhsa_exception_fp_denorm_src 0
		.amdhsa_exception_fp_ieee_div_zero 0
		.amdhsa_exception_fp_ieee_overflow 0
		.amdhsa_exception_fp_ieee_underflow 0
		.amdhsa_exception_fp_ieee_inexact 0
		.amdhsa_exception_int_div_zero 0
	.end_amdhsa_kernel
	.section	.text._ZN7rocprim17ROCPRIM_400000_NS6detail17trampoline_kernelINS0_14default_configENS1_38merge_sort_block_merge_config_selectorIllEEZZNS1_27merge_sort_block_merge_implIS3_PlN6thrust23THRUST_200600_302600_NS10device_ptrIlEEjNS1_19radix_merge_compareILb0ELb1ElNS0_19identity_decomposerEEEEE10hipError_tT0_T1_T2_jT3_P12ihipStream_tbPNSt15iterator_traitsISG_E10value_typeEPNSM_ISH_E10value_typeEPSI_NS1_7vsmem_tEENKUlT_SG_SH_SI_E_clIS7_S7_S7_SB_EESF_SV_SG_SH_SI_EUlSV_E_NS1_11comp_targetILNS1_3genE2ELNS1_11target_archE906ELNS1_3gpuE6ELNS1_3repE0EEENS1_48merge_mergepath_partition_config_static_selectorELNS0_4arch9wavefront6targetE1EEEvSH_,"axG",@progbits,_ZN7rocprim17ROCPRIM_400000_NS6detail17trampoline_kernelINS0_14default_configENS1_38merge_sort_block_merge_config_selectorIllEEZZNS1_27merge_sort_block_merge_implIS3_PlN6thrust23THRUST_200600_302600_NS10device_ptrIlEEjNS1_19radix_merge_compareILb0ELb1ElNS0_19identity_decomposerEEEEE10hipError_tT0_T1_T2_jT3_P12ihipStream_tbPNSt15iterator_traitsISG_E10value_typeEPNSM_ISH_E10value_typeEPSI_NS1_7vsmem_tEENKUlT_SG_SH_SI_E_clIS7_S7_S7_SB_EESF_SV_SG_SH_SI_EUlSV_E_NS1_11comp_targetILNS1_3genE2ELNS1_11target_archE906ELNS1_3gpuE6ELNS1_3repE0EEENS1_48merge_mergepath_partition_config_static_selectorELNS0_4arch9wavefront6targetE1EEEvSH_,comdat
.Lfunc_end1071:
	.size	_ZN7rocprim17ROCPRIM_400000_NS6detail17trampoline_kernelINS0_14default_configENS1_38merge_sort_block_merge_config_selectorIllEEZZNS1_27merge_sort_block_merge_implIS3_PlN6thrust23THRUST_200600_302600_NS10device_ptrIlEEjNS1_19radix_merge_compareILb0ELb1ElNS0_19identity_decomposerEEEEE10hipError_tT0_T1_T2_jT3_P12ihipStream_tbPNSt15iterator_traitsISG_E10value_typeEPNSM_ISH_E10value_typeEPSI_NS1_7vsmem_tEENKUlT_SG_SH_SI_E_clIS7_S7_S7_SB_EESF_SV_SG_SH_SI_EUlSV_E_NS1_11comp_targetILNS1_3genE2ELNS1_11target_archE906ELNS1_3gpuE6ELNS1_3repE0EEENS1_48merge_mergepath_partition_config_static_selectorELNS0_4arch9wavefront6targetE1EEEvSH_, .Lfunc_end1071-_ZN7rocprim17ROCPRIM_400000_NS6detail17trampoline_kernelINS0_14default_configENS1_38merge_sort_block_merge_config_selectorIllEEZZNS1_27merge_sort_block_merge_implIS3_PlN6thrust23THRUST_200600_302600_NS10device_ptrIlEEjNS1_19radix_merge_compareILb0ELb1ElNS0_19identity_decomposerEEEEE10hipError_tT0_T1_T2_jT3_P12ihipStream_tbPNSt15iterator_traitsISG_E10value_typeEPNSM_ISH_E10value_typeEPSI_NS1_7vsmem_tEENKUlT_SG_SH_SI_E_clIS7_S7_S7_SB_EESF_SV_SG_SH_SI_EUlSV_E_NS1_11comp_targetILNS1_3genE2ELNS1_11target_archE906ELNS1_3gpuE6ELNS1_3repE0EEENS1_48merge_mergepath_partition_config_static_selectorELNS0_4arch9wavefront6targetE1EEEvSH_
                                        ; -- End function
	.section	.AMDGPU.csdata,"",@progbits
; Kernel info:
; codeLenInByte = 0
; NumSgprs: 4
; NumVgprs: 0
; NumAgprs: 0
; TotalNumVgprs: 0
; ScratchSize: 0
; MemoryBound: 0
; FloatMode: 240
; IeeeMode: 1
; LDSByteSize: 0 bytes/workgroup (compile time only)
; SGPRBlocks: 0
; VGPRBlocks: 0
; NumSGPRsForWavesPerEU: 4
; NumVGPRsForWavesPerEU: 1
; AccumOffset: 4
; Occupancy: 8
; WaveLimiterHint : 0
; COMPUTE_PGM_RSRC2:SCRATCH_EN: 0
; COMPUTE_PGM_RSRC2:USER_SGPR: 6
; COMPUTE_PGM_RSRC2:TRAP_HANDLER: 0
; COMPUTE_PGM_RSRC2:TGID_X_EN: 1
; COMPUTE_PGM_RSRC2:TGID_Y_EN: 0
; COMPUTE_PGM_RSRC2:TGID_Z_EN: 0
; COMPUTE_PGM_RSRC2:TIDIG_COMP_CNT: 0
; COMPUTE_PGM_RSRC3_GFX90A:ACCUM_OFFSET: 0
; COMPUTE_PGM_RSRC3_GFX90A:TG_SPLIT: 0
	.section	.text._ZN7rocprim17ROCPRIM_400000_NS6detail17trampoline_kernelINS0_14default_configENS1_38merge_sort_block_merge_config_selectorIllEEZZNS1_27merge_sort_block_merge_implIS3_PlN6thrust23THRUST_200600_302600_NS10device_ptrIlEEjNS1_19radix_merge_compareILb0ELb1ElNS0_19identity_decomposerEEEEE10hipError_tT0_T1_T2_jT3_P12ihipStream_tbPNSt15iterator_traitsISG_E10value_typeEPNSM_ISH_E10value_typeEPSI_NS1_7vsmem_tEENKUlT_SG_SH_SI_E_clIS7_S7_S7_SB_EESF_SV_SG_SH_SI_EUlSV_E_NS1_11comp_targetILNS1_3genE9ELNS1_11target_archE1100ELNS1_3gpuE3ELNS1_3repE0EEENS1_48merge_mergepath_partition_config_static_selectorELNS0_4arch9wavefront6targetE1EEEvSH_,"axG",@progbits,_ZN7rocprim17ROCPRIM_400000_NS6detail17trampoline_kernelINS0_14default_configENS1_38merge_sort_block_merge_config_selectorIllEEZZNS1_27merge_sort_block_merge_implIS3_PlN6thrust23THRUST_200600_302600_NS10device_ptrIlEEjNS1_19radix_merge_compareILb0ELb1ElNS0_19identity_decomposerEEEEE10hipError_tT0_T1_T2_jT3_P12ihipStream_tbPNSt15iterator_traitsISG_E10value_typeEPNSM_ISH_E10value_typeEPSI_NS1_7vsmem_tEENKUlT_SG_SH_SI_E_clIS7_S7_S7_SB_EESF_SV_SG_SH_SI_EUlSV_E_NS1_11comp_targetILNS1_3genE9ELNS1_11target_archE1100ELNS1_3gpuE3ELNS1_3repE0EEENS1_48merge_mergepath_partition_config_static_selectorELNS0_4arch9wavefront6targetE1EEEvSH_,comdat
	.protected	_ZN7rocprim17ROCPRIM_400000_NS6detail17trampoline_kernelINS0_14default_configENS1_38merge_sort_block_merge_config_selectorIllEEZZNS1_27merge_sort_block_merge_implIS3_PlN6thrust23THRUST_200600_302600_NS10device_ptrIlEEjNS1_19radix_merge_compareILb0ELb1ElNS0_19identity_decomposerEEEEE10hipError_tT0_T1_T2_jT3_P12ihipStream_tbPNSt15iterator_traitsISG_E10value_typeEPNSM_ISH_E10value_typeEPSI_NS1_7vsmem_tEENKUlT_SG_SH_SI_E_clIS7_S7_S7_SB_EESF_SV_SG_SH_SI_EUlSV_E_NS1_11comp_targetILNS1_3genE9ELNS1_11target_archE1100ELNS1_3gpuE3ELNS1_3repE0EEENS1_48merge_mergepath_partition_config_static_selectorELNS0_4arch9wavefront6targetE1EEEvSH_ ; -- Begin function _ZN7rocprim17ROCPRIM_400000_NS6detail17trampoline_kernelINS0_14default_configENS1_38merge_sort_block_merge_config_selectorIllEEZZNS1_27merge_sort_block_merge_implIS3_PlN6thrust23THRUST_200600_302600_NS10device_ptrIlEEjNS1_19radix_merge_compareILb0ELb1ElNS0_19identity_decomposerEEEEE10hipError_tT0_T1_T2_jT3_P12ihipStream_tbPNSt15iterator_traitsISG_E10value_typeEPNSM_ISH_E10value_typeEPSI_NS1_7vsmem_tEENKUlT_SG_SH_SI_E_clIS7_S7_S7_SB_EESF_SV_SG_SH_SI_EUlSV_E_NS1_11comp_targetILNS1_3genE9ELNS1_11target_archE1100ELNS1_3gpuE3ELNS1_3repE0EEENS1_48merge_mergepath_partition_config_static_selectorELNS0_4arch9wavefront6targetE1EEEvSH_
	.globl	_ZN7rocprim17ROCPRIM_400000_NS6detail17trampoline_kernelINS0_14default_configENS1_38merge_sort_block_merge_config_selectorIllEEZZNS1_27merge_sort_block_merge_implIS3_PlN6thrust23THRUST_200600_302600_NS10device_ptrIlEEjNS1_19radix_merge_compareILb0ELb1ElNS0_19identity_decomposerEEEEE10hipError_tT0_T1_T2_jT3_P12ihipStream_tbPNSt15iterator_traitsISG_E10value_typeEPNSM_ISH_E10value_typeEPSI_NS1_7vsmem_tEENKUlT_SG_SH_SI_E_clIS7_S7_S7_SB_EESF_SV_SG_SH_SI_EUlSV_E_NS1_11comp_targetILNS1_3genE9ELNS1_11target_archE1100ELNS1_3gpuE3ELNS1_3repE0EEENS1_48merge_mergepath_partition_config_static_selectorELNS0_4arch9wavefront6targetE1EEEvSH_
	.p2align	8
	.type	_ZN7rocprim17ROCPRIM_400000_NS6detail17trampoline_kernelINS0_14default_configENS1_38merge_sort_block_merge_config_selectorIllEEZZNS1_27merge_sort_block_merge_implIS3_PlN6thrust23THRUST_200600_302600_NS10device_ptrIlEEjNS1_19radix_merge_compareILb0ELb1ElNS0_19identity_decomposerEEEEE10hipError_tT0_T1_T2_jT3_P12ihipStream_tbPNSt15iterator_traitsISG_E10value_typeEPNSM_ISH_E10value_typeEPSI_NS1_7vsmem_tEENKUlT_SG_SH_SI_E_clIS7_S7_S7_SB_EESF_SV_SG_SH_SI_EUlSV_E_NS1_11comp_targetILNS1_3genE9ELNS1_11target_archE1100ELNS1_3gpuE3ELNS1_3repE0EEENS1_48merge_mergepath_partition_config_static_selectorELNS0_4arch9wavefront6targetE1EEEvSH_,@function
_ZN7rocprim17ROCPRIM_400000_NS6detail17trampoline_kernelINS0_14default_configENS1_38merge_sort_block_merge_config_selectorIllEEZZNS1_27merge_sort_block_merge_implIS3_PlN6thrust23THRUST_200600_302600_NS10device_ptrIlEEjNS1_19radix_merge_compareILb0ELb1ElNS0_19identity_decomposerEEEEE10hipError_tT0_T1_T2_jT3_P12ihipStream_tbPNSt15iterator_traitsISG_E10value_typeEPNSM_ISH_E10value_typeEPSI_NS1_7vsmem_tEENKUlT_SG_SH_SI_E_clIS7_S7_S7_SB_EESF_SV_SG_SH_SI_EUlSV_E_NS1_11comp_targetILNS1_3genE9ELNS1_11target_archE1100ELNS1_3gpuE3ELNS1_3repE0EEENS1_48merge_mergepath_partition_config_static_selectorELNS0_4arch9wavefront6targetE1EEEvSH_: ; @_ZN7rocprim17ROCPRIM_400000_NS6detail17trampoline_kernelINS0_14default_configENS1_38merge_sort_block_merge_config_selectorIllEEZZNS1_27merge_sort_block_merge_implIS3_PlN6thrust23THRUST_200600_302600_NS10device_ptrIlEEjNS1_19radix_merge_compareILb0ELb1ElNS0_19identity_decomposerEEEEE10hipError_tT0_T1_T2_jT3_P12ihipStream_tbPNSt15iterator_traitsISG_E10value_typeEPNSM_ISH_E10value_typeEPSI_NS1_7vsmem_tEENKUlT_SG_SH_SI_E_clIS7_S7_S7_SB_EESF_SV_SG_SH_SI_EUlSV_E_NS1_11comp_targetILNS1_3genE9ELNS1_11target_archE1100ELNS1_3gpuE3ELNS1_3repE0EEENS1_48merge_mergepath_partition_config_static_selectorELNS0_4arch9wavefront6targetE1EEEvSH_
; %bb.0:
	.section	.rodata,"a",@progbits
	.p2align	6, 0x0
	.amdhsa_kernel _ZN7rocprim17ROCPRIM_400000_NS6detail17trampoline_kernelINS0_14default_configENS1_38merge_sort_block_merge_config_selectorIllEEZZNS1_27merge_sort_block_merge_implIS3_PlN6thrust23THRUST_200600_302600_NS10device_ptrIlEEjNS1_19radix_merge_compareILb0ELb1ElNS0_19identity_decomposerEEEEE10hipError_tT0_T1_T2_jT3_P12ihipStream_tbPNSt15iterator_traitsISG_E10value_typeEPNSM_ISH_E10value_typeEPSI_NS1_7vsmem_tEENKUlT_SG_SH_SI_E_clIS7_S7_S7_SB_EESF_SV_SG_SH_SI_EUlSV_E_NS1_11comp_targetILNS1_3genE9ELNS1_11target_archE1100ELNS1_3gpuE3ELNS1_3repE0EEENS1_48merge_mergepath_partition_config_static_selectorELNS0_4arch9wavefront6targetE1EEEvSH_
		.amdhsa_group_segment_fixed_size 0
		.amdhsa_private_segment_fixed_size 0
		.amdhsa_kernarg_size 40
		.amdhsa_user_sgpr_count 6
		.amdhsa_user_sgpr_private_segment_buffer 1
		.amdhsa_user_sgpr_dispatch_ptr 0
		.amdhsa_user_sgpr_queue_ptr 0
		.amdhsa_user_sgpr_kernarg_segment_ptr 1
		.amdhsa_user_sgpr_dispatch_id 0
		.amdhsa_user_sgpr_flat_scratch_init 0
		.amdhsa_user_sgpr_kernarg_preload_length 0
		.amdhsa_user_sgpr_kernarg_preload_offset 0
		.amdhsa_user_sgpr_private_segment_size 0
		.amdhsa_uses_dynamic_stack 0
		.amdhsa_system_sgpr_private_segment_wavefront_offset 0
		.amdhsa_system_sgpr_workgroup_id_x 1
		.amdhsa_system_sgpr_workgroup_id_y 0
		.amdhsa_system_sgpr_workgroup_id_z 0
		.amdhsa_system_sgpr_workgroup_info 0
		.amdhsa_system_vgpr_workitem_id 0
		.amdhsa_next_free_vgpr 1
		.amdhsa_next_free_sgpr 0
		.amdhsa_accum_offset 4
		.amdhsa_reserve_vcc 0
		.amdhsa_reserve_flat_scratch 0
		.amdhsa_float_round_mode_32 0
		.amdhsa_float_round_mode_16_64 0
		.amdhsa_float_denorm_mode_32 3
		.amdhsa_float_denorm_mode_16_64 3
		.amdhsa_dx10_clamp 1
		.amdhsa_ieee_mode 1
		.amdhsa_fp16_overflow 0
		.amdhsa_tg_split 0
		.amdhsa_exception_fp_ieee_invalid_op 0
		.amdhsa_exception_fp_denorm_src 0
		.amdhsa_exception_fp_ieee_div_zero 0
		.amdhsa_exception_fp_ieee_overflow 0
		.amdhsa_exception_fp_ieee_underflow 0
		.amdhsa_exception_fp_ieee_inexact 0
		.amdhsa_exception_int_div_zero 0
	.end_amdhsa_kernel
	.section	.text._ZN7rocprim17ROCPRIM_400000_NS6detail17trampoline_kernelINS0_14default_configENS1_38merge_sort_block_merge_config_selectorIllEEZZNS1_27merge_sort_block_merge_implIS3_PlN6thrust23THRUST_200600_302600_NS10device_ptrIlEEjNS1_19radix_merge_compareILb0ELb1ElNS0_19identity_decomposerEEEEE10hipError_tT0_T1_T2_jT3_P12ihipStream_tbPNSt15iterator_traitsISG_E10value_typeEPNSM_ISH_E10value_typeEPSI_NS1_7vsmem_tEENKUlT_SG_SH_SI_E_clIS7_S7_S7_SB_EESF_SV_SG_SH_SI_EUlSV_E_NS1_11comp_targetILNS1_3genE9ELNS1_11target_archE1100ELNS1_3gpuE3ELNS1_3repE0EEENS1_48merge_mergepath_partition_config_static_selectorELNS0_4arch9wavefront6targetE1EEEvSH_,"axG",@progbits,_ZN7rocprim17ROCPRIM_400000_NS6detail17trampoline_kernelINS0_14default_configENS1_38merge_sort_block_merge_config_selectorIllEEZZNS1_27merge_sort_block_merge_implIS3_PlN6thrust23THRUST_200600_302600_NS10device_ptrIlEEjNS1_19radix_merge_compareILb0ELb1ElNS0_19identity_decomposerEEEEE10hipError_tT0_T1_T2_jT3_P12ihipStream_tbPNSt15iterator_traitsISG_E10value_typeEPNSM_ISH_E10value_typeEPSI_NS1_7vsmem_tEENKUlT_SG_SH_SI_E_clIS7_S7_S7_SB_EESF_SV_SG_SH_SI_EUlSV_E_NS1_11comp_targetILNS1_3genE9ELNS1_11target_archE1100ELNS1_3gpuE3ELNS1_3repE0EEENS1_48merge_mergepath_partition_config_static_selectorELNS0_4arch9wavefront6targetE1EEEvSH_,comdat
.Lfunc_end1072:
	.size	_ZN7rocprim17ROCPRIM_400000_NS6detail17trampoline_kernelINS0_14default_configENS1_38merge_sort_block_merge_config_selectorIllEEZZNS1_27merge_sort_block_merge_implIS3_PlN6thrust23THRUST_200600_302600_NS10device_ptrIlEEjNS1_19radix_merge_compareILb0ELb1ElNS0_19identity_decomposerEEEEE10hipError_tT0_T1_T2_jT3_P12ihipStream_tbPNSt15iterator_traitsISG_E10value_typeEPNSM_ISH_E10value_typeEPSI_NS1_7vsmem_tEENKUlT_SG_SH_SI_E_clIS7_S7_S7_SB_EESF_SV_SG_SH_SI_EUlSV_E_NS1_11comp_targetILNS1_3genE9ELNS1_11target_archE1100ELNS1_3gpuE3ELNS1_3repE0EEENS1_48merge_mergepath_partition_config_static_selectorELNS0_4arch9wavefront6targetE1EEEvSH_, .Lfunc_end1072-_ZN7rocprim17ROCPRIM_400000_NS6detail17trampoline_kernelINS0_14default_configENS1_38merge_sort_block_merge_config_selectorIllEEZZNS1_27merge_sort_block_merge_implIS3_PlN6thrust23THRUST_200600_302600_NS10device_ptrIlEEjNS1_19radix_merge_compareILb0ELb1ElNS0_19identity_decomposerEEEEE10hipError_tT0_T1_T2_jT3_P12ihipStream_tbPNSt15iterator_traitsISG_E10value_typeEPNSM_ISH_E10value_typeEPSI_NS1_7vsmem_tEENKUlT_SG_SH_SI_E_clIS7_S7_S7_SB_EESF_SV_SG_SH_SI_EUlSV_E_NS1_11comp_targetILNS1_3genE9ELNS1_11target_archE1100ELNS1_3gpuE3ELNS1_3repE0EEENS1_48merge_mergepath_partition_config_static_selectorELNS0_4arch9wavefront6targetE1EEEvSH_
                                        ; -- End function
	.section	.AMDGPU.csdata,"",@progbits
; Kernel info:
; codeLenInByte = 0
; NumSgprs: 4
; NumVgprs: 0
; NumAgprs: 0
; TotalNumVgprs: 0
; ScratchSize: 0
; MemoryBound: 0
; FloatMode: 240
; IeeeMode: 1
; LDSByteSize: 0 bytes/workgroup (compile time only)
; SGPRBlocks: 0
; VGPRBlocks: 0
; NumSGPRsForWavesPerEU: 4
; NumVGPRsForWavesPerEU: 1
; AccumOffset: 4
; Occupancy: 8
; WaveLimiterHint : 0
; COMPUTE_PGM_RSRC2:SCRATCH_EN: 0
; COMPUTE_PGM_RSRC2:USER_SGPR: 6
; COMPUTE_PGM_RSRC2:TRAP_HANDLER: 0
; COMPUTE_PGM_RSRC2:TGID_X_EN: 1
; COMPUTE_PGM_RSRC2:TGID_Y_EN: 0
; COMPUTE_PGM_RSRC2:TGID_Z_EN: 0
; COMPUTE_PGM_RSRC2:TIDIG_COMP_CNT: 0
; COMPUTE_PGM_RSRC3_GFX90A:ACCUM_OFFSET: 0
; COMPUTE_PGM_RSRC3_GFX90A:TG_SPLIT: 0
	.section	.text._ZN7rocprim17ROCPRIM_400000_NS6detail17trampoline_kernelINS0_14default_configENS1_38merge_sort_block_merge_config_selectorIllEEZZNS1_27merge_sort_block_merge_implIS3_PlN6thrust23THRUST_200600_302600_NS10device_ptrIlEEjNS1_19radix_merge_compareILb0ELb1ElNS0_19identity_decomposerEEEEE10hipError_tT0_T1_T2_jT3_P12ihipStream_tbPNSt15iterator_traitsISG_E10value_typeEPNSM_ISH_E10value_typeEPSI_NS1_7vsmem_tEENKUlT_SG_SH_SI_E_clIS7_S7_S7_SB_EESF_SV_SG_SH_SI_EUlSV_E_NS1_11comp_targetILNS1_3genE8ELNS1_11target_archE1030ELNS1_3gpuE2ELNS1_3repE0EEENS1_48merge_mergepath_partition_config_static_selectorELNS0_4arch9wavefront6targetE1EEEvSH_,"axG",@progbits,_ZN7rocprim17ROCPRIM_400000_NS6detail17trampoline_kernelINS0_14default_configENS1_38merge_sort_block_merge_config_selectorIllEEZZNS1_27merge_sort_block_merge_implIS3_PlN6thrust23THRUST_200600_302600_NS10device_ptrIlEEjNS1_19radix_merge_compareILb0ELb1ElNS0_19identity_decomposerEEEEE10hipError_tT0_T1_T2_jT3_P12ihipStream_tbPNSt15iterator_traitsISG_E10value_typeEPNSM_ISH_E10value_typeEPSI_NS1_7vsmem_tEENKUlT_SG_SH_SI_E_clIS7_S7_S7_SB_EESF_SV_SG_SH_SI_EUlSV_E_NS1_11comp_targetILNS1_3genE8ELNS1_11target_archE1030ELNS1_3gpuE2ELNS1_3repE0EEENS1_48merge_mergepath_partition_config_static_selectorELNS0_4arch9wavefront6targetE1EEEvSH_,comdat
	.protected	_ZN7rocprim17ROCPRIM_400000_NS6detail17trampoline_kernelINS0_14default_configENS1_38merge_sort_block_merge_config_selectorIllEEZZNS1_27merge_sort_block_merge_implIS3_PlN6thrust23THRUST_200600_302600_NS10device_ptrIlEEjNS1_19radix_merge_compareILb0ELb1ElNS0_19identity_decomposerEEEEE10hipError_tT0_T1_T2_jT3_P12ihipStream_tbPNSt15iterator_traitsISG_E10value_typeEPNSM_ISH_E10value_typeEPSI_NS1_7vsmem_tEENKUlT_SG_SH_SI_E_clIS7_S7_S7_SB_EESF_SV_SG_SH_SI_EUlSV_E_NS1_11comp_targetILNS1_3genE8ELNS1_11target_archE1030ELNS1_3gpuE2ELNS1_3repE0EEENS1_48merge_mergepath_partition_config_static_selectorELNS0_4arch9wavefront6targetE1EEEvSH_ ; -- Begin function _ZN7rocprim17ROCPRIM_400000_NS6detail17trampoline_kernelINS0_14default_configENS1_38merge_sort_block_merge_config_selectorIllEEZZNS1_27merge_sort_block_merge_implIS3_PlN6thrust23THRUST_200600_302600_NS10device_ptrIlEEjNS1_19radix_merge_compareILb0ELb1ElNS0_19identity_decomposerEEEEE10hipError_tT0_T1_T2_jT3_P12ihipStream_tbPNSt15iterator_traitsISG_E10value_typeEPNSM_ISH_E10value_typeEPSI_NS1_7vsmem_tEENKUlT_SG_SH_SI_E_clIS7_S7_S7_SB_EESF_SV_SG_SH_SI_EUlSV_E_NS1_11comp_targetILNS1_3genE8ELNS1_11target_archE1030ELNS1_3gpuE2ELNS1_3repE0EEENS1_48merge_mergepath_partition_config_static_selectorELNS0_4arch9wavefront6targetE1EEEvSH_
	.globl	_ZN7rocprim17ROCPRIM_400000_NS6detail17trampoline_kernelINS0_14default_configENS1_38merge_sort_block_merge_config_selectorIllEEZZNS1_27merge_sort_block_merge_implIS3_PlN6thrust23THRUST_200600_302600_NS10device_ptrIlEEjNS1_19radix_merge_compareILb0ELb1ElNS0_19identity_decomposerEEEEE10hipError_tT0_T1_T2_jT3_P12ihipStream_tbPNSt15iterator_traitsISG_E10value_typeEPNSM_ISH_E10value_typeEPSI_NS1_7vsmem_tEENKUlT_SG_SH_SI_E_clIS7_S7_S7_SB_EESF_SV_SG_SH_SI_EUlSV_E_NS1_11comp_targetILNS1_3genE8ELNS1_11target_archE1030ELNS1_3gpuE2ELNS1_3repE0EEENS1_48merge_mergepath_partition_config_static_selectorELNS0_4arch9wavefront6targetE1EEEvSH_
	.p2align	8
	.type	_ZN7rocprim17ROCPRIM_400000_NS6detail17trampoline_kernelINS0_14default_configENS1_38merge_sort_block_merge_config_selectorIllEEZZNS1_27merge_sort_block_merge_implIS3_PlN6thrust23THRUST_200600_302600_NS10device_ptrIlEEjNS1_19radix_merge_compareILb0ELb1ElNS0_19identity_decomposerEEEEE10hipError_tT0_T1_T2_jT3_P12ihipStream_tbPNSt15iterator_traitsISG_E10value_typeEPNSM_ISH_E10value_typeEPSI_NS1_7vsmem_tEENKUlT_SG_SH_SI_E_clIS7_S7_S7_SB_EESF_SV_SG_SH_SI_EUlSV_E_NS1_11comp_targetILNS1_3genE8ELNS1_11target_archE1030ELNS1_3gpuE2ELNS1_3repE0EEENS1_48merge_mergepath_partition_config_static_selectorELNS0_4arch9wavefront6targetE1EEEvSH_,@function
_ZN7rocprim17ROCPRIM_400000_NS6detail17trampoline_kernelINS0_14default_configENS1_38merge_sort_block_merge_config_selectorIllEEZZNS1_27merge_sort_block_merge_implIS3_PlN6thrust23THRUST_200600_302600_NS10device_ptrIlEEjNS1_19radix_merge_compareILb0ELb1ElNS0_19identity_decomposerEEEEE10hipError_tT0_T1_T2_jT3_P12ihipStream_tbPNSt15iterator_traitsISG_E10value_typeEPNSM_ISH_E10value_typeEPSI_NS1_7vsmem_tEENKUlT_SG_SH_SI_E_clIS7_S7_S7_SB_EESF_SV_SG_SH_SI_EUlSV_E_NS1_11comp_targetILNS1_3genE8ELNS1_11target_archE1030ELNS1_3gpuE2ELNS1_3repE0EEENS1_48merge_mergepath_partition_config_static_selectorELNS0_4arch9wavefront6targetE1EEEvSH_: ; @_ZN7rocprim17ROCPRIM_400000_NS6detail17trampoline_kernelINS0_14default_configENS1_38merge_sort_block_merge_config_selectorIllEEZZNS1_27merge_sort_block_merge_implIS3_PlN6thrust23THRUST_200600_302600_NS10device_ptrIlEEjNS1_19radix_merge_compareILb0ELb1ElNS0_19identity_decomposerEEEEE10hipError_tT0_T1_T2_jT3_P12ihipStream_tbPNSt15iterator_traitsISG_E10value_typeEPNSM_ISH_E10value_typeEPSI_NS1_7vsmem_tEENKUlT_SG_SH_SI_E_clIS7_S7_S7_SB_EESF_SV_SG_SH_SI_EUlSV_E_NS1_11comp_targetILNS1_3genE8ELNS1_11target_archE1030ELNS1_3gpuE2ELNS1_3repE0EEENS1_48merge_mergepath_partition_config_static_selectorELNS0_4arch9wavefront6targetE1EEEvSH_
; %bb.0:
	.section	.rodata,"a",@progbits
	.p2align	6, 0x0
	.amdhsa_kernel _ZN7rocprim17ROCPRIM_400000_NS6detail17trampoline_kernelINS0_14default_configENS1_38merge_sort_block_merge_config_selectorIllEEZZNS1_27merge_sort_block_merge_implIS3_PlN6thrust23THRUST_200600_302600_NS10device_ptrIlEEjNS1_19radix_merge_compareILb0ELb1ElNS0_19identity_decomposerEEEEE10hipError_tT0_T1_T2_jT3_P12ihipStream_tbPNSt15iterator_traitsISG_E10value_typeEPNSM_ISH_E10value_typeEPSI_NS1_7vsmem_tEENKUlT_SG_SH_SI_E_clIS7_S7_S7_SB_EESF_SV_SG_SH_SI_EUlSV_E_NS1_11comp_targetILNS1_3genE8ELNS1_11target_archE1030ELNS1_3gpuE2ELNS1_3repE0EEENS1_48merge_mergepath_partition_config_static_selectorELNS0_4arch9wavefront6targetE1EEEvSH_
		.amdhsa_group_segment_fixed_size 0
		.amdhsa_private_segment_fixed_size 0
		.amdhsa_kernarg_size 40
		.amdhsa_user_sgpr_count 6
		.amdhsa_user_sgpr_private_segment_buffer 1
		.amdhsa_user_sgpr_dispatch_ptr 0
		.amdhsa_user_sgpr_queue_ptr 0
		.amdhsa_user_sgpr_kernarg_segment_ptr 1
		.amdhsa_user_sgpr_dispatch_id 0
		.amdhsa_user_sgpr_flat_scratch_init 0
		.amdhsa_user_sgpr_kernarg_preload_length 0
		.amdhsa_user_sgpr_kernarg_preload_offset 0
		.amdhsa_user_sgpr_private_segment_size 0
		.amdhsa_uses_dynamic_stack 0
		.amdhsa_system_sgpr_private_segment_wavefront_offset 0
		.amdhsa_system_sgpr_workgroup_id_x 1
		.amdhsa_system_sgpr_workgroup_id_y 0
		.amdhsa_system_sgpr_workgroup_id_z 0
		.amdhsa_system_sgpr_workgroup_info 0
		.amdhsa_system_vgpr_workitem_id 0
		.amdhsa_next_free_vgpr 1
		.amdhsa_next_free_sgpr 0
		.amdhsa_accum_offset 4
		.amdhsa_reserve_vcc 0
		.amdhsa_reserve_flat_scratch 0
		.amdhsa_float_round_mode_32 0
		.amdhsa_float_round_mode_16_64 0
		.amdhsa_float_denorm_mode_32 3
		.amdhsa_float_denorm_mode_16_64 3
		.amdhsa_dx10_clamp 1
		.amdhsa_ieee_mode 1
		.amdhsa_fp16_overflow 0
		.amdhsa_tg_split 0
		.amdhsa_exception_fp_ieee_invalid_op 0
		.amdhsa_exception_fp_denorm_src 0
		.amdhsa_exception_fp_ieee_div_zero 0
		.amdhsa_exception_fp_ieee_overflow 0
		.amdhsa_exception_fp_ieee_underflow 0
		.amdhsa_exception_fp_ieee_inexact 0
		.amdhsa_exception_int_div_zero 0
	.end_amdhsa_kernel
	.section	.text._ZN7rocprim17ROCPRIM_400000_NS6detail17trampoline_kernelINS0_14default_configENS1_38merge_sort_block_merge_config_selectorIllEEZZNS1_27merge_sort_block_merge_implIS3_PlN6thrust23THRUST_200600_302600_NS10device_ptrIlEEjNS1_19radix_merge_compareILb0ELb1ElNS0_19identity_decomposerEEEEE10hipError_tT0_T1_T2_jT3_P12ihipStream_tbPNSt15iterator_traitsISG_E10value_typeEPNSM_ISH_E10value_typeEPSI_NS1_7vsmem_tEENKUlT_SG_SH_SI_E_clIS7_S7_S7_SB_EESF_SV_SG_SH_SI_EUlSV_E_NS1_11comp_targetILNS1_3genE8ELNS1_11target_archE1030ELNS1_3gpuE2ELNS1_3repE0EEENS1_48merge_mergepath_partition_config_static_selectorELNS0_4arch9wavefront6targetE1EEEvSH_,"axG",@progbits,_ZN7rocprim17ROCPRIM_400000_NS6detail17trampoline_kernelINS0_14default_configENS1_38merge_sort_block_merge_config_selectorIllEEZZNS1_27merge_sort_block_merge_implIS3_PlN6thrust23THRUST_200600_302600_NS10device_ptrIlEEjNS1_19radix_merge_compareILb0ELb1ElNS0_19identity_decomposerEEEEE10hipError_tT0_T1_T2_jT3_P12ihipStream_tbPNSt15iterator_traitsISG_E10value_typeEPNSM_ISH_E10value_typeEPSI_NS1_7vsmem_tEENKUlT_SG_SH_SI_E_clIS7_S7_S7_SB_EESF_SV_SG_SH_SI_EUlSV_E_NS1_11comp_targetILNS1_3genE8ELNS1_11target_archE1030ELNS1_3gpuE2ELNS1_3repE0EEENS1_48merge_mergepath_partition_config_static_selectorELNS0_4arch9wavefront6targetE1EEEvSH_,comdat
.Lfunc_end1073:
	.size	_ZN7rocprim17ROCPRIM_400000_NS6detail17trampoline_kernelINS0_14default_configENS1_38merge_sort_block_merge_config_selectorIllEEZZNS1_27merge_sort_block_merge_implIS3_PlN6thrust23THRUST_200600_302600_NS10device_ptrIlEEjNS1_19radix_merge_compareILb0ELb1ElNS0_19identity_decomposerEEEEE10hipError_tT0_T1_T2_jT3_P12ihipStream_tbPNSt15iterator_traitsISG_E10value_typeEPNSM_ISH_E10value_typeEPSI_NS1_7vsmem_tEENKUlT_SG_SH_SI_E_clIS7_S7_S7_SB_EESF_SV_SG_SH_SI_EUlSV_E_NS1_11comp_targetILNS1_3genE8ELNS1_11target_archE1030ELNS1_3gpuE2ELNS1_3repE0EEENS1_48merge_mergepath_partition_config_static_selectorELNS0_4arch9wavefront6targetE1EEEvSH_, .Lfunc_end1073-_ZN7rocprim17ROCPRIM_400000_NS6detail17trampoline_kernelINS0_14default_configENS1_38merge_sort_block_merge_config_selectorIllEEZZNS1_27merge_sort_block_merge_implIS3_PlN6thrust23THRUST_200600_302600_NS10device_ptrIlEEjNS1_19radix_merge_compareILb0ELb1ElNS0_19identity_decomposerEEEEE10hipError_tT0_T1_T2_jT3_P12ihipStream_tbPNSt15iterator_traitsISG_E10value_typeEPNSM_ISH_E10value_typeEPSI_NS1_7vsmem_tEENKUlT_SG_SH_SI_E_clIS7_S7_S7_SB_EESF_SV_SG_SH_SI_EUlSV_E_NS1_11comp_targetILNS1_3genE8ELNS1_11target_archE1030ELNS1_3gpuE2ELNS1_3repE0EEENS1_48merge_mergepath_partition_config_static_selectorELNS0_4arch9wavefront6targetE1EEEvSH_
                                        ; -- End function
	.section	.AMDGPU.csdata,"",@progbits
; Kernel info:
; codeLenInByte = 0
; NumSgprs: 4
; NumVgprs: 0
; NumAgprs: 0
; TotalNumVgprs: 0
; ScratchSize: 0
; MemoryBound: 0
; FloatMode: 240
; IeeeMode: 1
; LDSByteSize: 0 bytes/workgroup (compile time only)
; SGPRBlocks: 0
; VGPRBlocks: 0
; NumSGPRsForWavesPerEU: 4
; NumVGPRsForWavesPerEU: 1
; AccumOffset: 4
; Occupancy: 8
; WaveLimiterHint : 0
; COMPUTE_PGM_RSRC2:SCRATCH_EN: 0
; COMPUTE_PGM_RSRC2:USER_SGPR: 6
; COMPUTE_PGM_RSRC2:TRAP_HANDLER: 0
; COMPUTE_PGM_RSRC2:TGID_X_EN: 1
; COMPUTE_PGM_RSRC2:TGID_Y_EN: 0
; COMPUTE_PGM_RSRC2:TGID_Z_EN: 0
; COMPUTE_PGM_RSRC2:TIDIG_COMP_CNT: 0
; COMPUTE_PGM_RSRC3_GFX90A:ACCUM_OFFSET: 0
; COMPUTE_PGM_RSRC3_GFX90A:TG_SPLIT: 0
	.section	.text._ZN7rocprim17ROCPRIM_400000_NS6detail17trampoline_kernelINS0_14default_configENS1_38merge_sort_block_merge_config_selectorIllEEZZNS1_27merge_sort_block_merge_implIS3_PlN6thrust23THRUST_200600_302600_NS10device_ptrIlEEjNS1_19radix_merge_compareILb0ELb1ElNS0_19identity_decomposerEEEEE10hipError_tT0_T1_T2_jT3_P12ihipStream_tbPNSt15iterator_traitsISG_E10value_typeEPNSM_ISH_E10value_typeEPSI_NS1_7vsmem_tEENKUlT_SG_SH_SI_E_clIS7_S7_S7_SB_EESF_SV_SG_SH_SI_EUlSV_E0_NS1_11comp_targetILNS1_3genE0ELNS1_11target_archE4294967295ELNS1_3gpuE0ELNS1_3repE0EEENS1_38merge_mergepath_config_static_selectorELNS0_4arch9wavefront6targetE1EEEvSH_,"axG",@progbits,_ZN7rocprim17ROCPRIM_400000_NS6detail17trampoline_kernelINS0_14default_configENS1_38merge_sort_block_merge_config_selectorIllEEZZNS1_27merge_sort_block_merge_implIS3_PlN6thrust23THRUST_200600_302600_NS10device_ptrIlEEjNS1_19radix_merge_compareILb0ELb1ElNS0_19identity_decomposerEEEEE10hipError_tT0_T1_T2_jT3_P12ihipStream_tbPNSt15iterator_traitsISG_E10value_typeEPNSM_ISH_E10value_typeEPSI_NS1_7vsmem_tEENKUlT_SG_SH_SI_E_clIS7_S7_S7_SB_EESF_SV_SG_SH_SI_EUlSV_E0_NS1_11comp_targetILNS1_3genE0ELNS1_11target_archE4294967295ELNS1_3gpuE0ELNS1_3repE0EEENS1_38merge_mergepath_config_static_selectorELNS0_4arch9wavefront6targetE1EEEvSH_,comdat
	.protected	_ZN7rocprim17ROCPRIM_400000_NS6detail17trampoline_kernelINS0_14default_configENS1_38merge_sort_block_merge_config_selectorIllEEZZNS1_27merge_sort_block_merge_implIS3_PlN6thrust23THRUST_200600_302600_NS10device_ptrIlEEjNS1_19radix_merge_compareILb0ELb1ElNS0_19identity_decomposerEEEEE10hipError_tT0_T1_T2_jT3_P12ihipStream_tbPNSt15iterator_traitsISG_E10value_typeEPNSM_ISH_E10value_typeEPSI_NS1_7vsmem_tEENKUlT_SG_SH_SI_E_clIS7_S7_S7_SB_EESF_SV_SG_SH_SI_EUlSV_E0_NS1_11comp_targetILNS1_3genE0ELNS1_11target_archE4294967295ELNS1_3gpuE0ELNS1_3repE0EEENS1_38merge_mergepath_config_static_selectorELNS0_4arch9wavefront6targetE1EEEvSH_ ; -- Begin function _ZN7rocprim17ROCPRIM_400000_NS6detail17trampoline_kernelINS0_14default_configENS1_38merge_sort_block_merge_config_selectorIllEEZZNS1_27merge_sort_block_merge_implIS3_PlN6thrust23THRUST_200600_302600_NS10device_ptrIlEEjNS1_19radix_merge_compareILb0ELb1ElNS0_19identity_decomposerEEEEE10hipError_tT0_T1_T2_jT3_P12ihipStream_tbPNSt15iterator_traitsISG_E10value_typeEPNSM_ISH_E10value_typeEPSI_NS1_7vsmem_tEENKUlT_SG_SH_SI_E_clIS7_S7_S7_SB_EESF_SV_SG_SH_SI_EUlSV_E0_NS1_11comp_targetILNS1_3genE0ELNS1_11target_archE4294967295ELNS1_3gpuE0ELNS1_3repE0EEENS1_38merge_mergepath_config_static_selectorELNS0_4arch9wavefront6targetE1EEEvSH_
	.globl	_ZN7rocprim17ROCPRIM_400000_NS6detail17trampoline_kernelINS0_14default_configENS1_38merge_sort_block_merge_config_selectorIllEEZZNS1_27merge_sort_block_merge_implIS3_PlN6thrust23THRUST_200600_302600_NS10device_ptrIlEEjNS1_19radix_merge_compareILb0ELb1ElNS0_19identity_decomposerEEEEE10hipError_tT0_T1_T2_jT3_P12ihipStream_tbPNSt15iterator_traitsISG_E10value_typeEPNSM_ISH_E10value_typeEPSI_NS1_7vsmem_tEENKUlT_SG_SH_SI_E_clIS7_S7_S7_SB_EESF_SV_SG_SH_SI_EUlSV_E0_NS1_11comp_targetILNS1_3genE0ELNS1_11target_archE4294967295ELNS1_3gpuE0ELNS1_3repE0EEENS1_38merge_mergepath_config_static_selectorELNS0_4arch9wavefront6targetE1EEEvSH_
	.p2align	8
	.type	_ZN7rocprim17ROCPRIM_400000_NS6detail17trampoline_kernelINS0_14default_configENS1_38merge_sort_block_merge_config_selectorIllEEZZNS1_27merge_sort_block_merge_implIS3_PlN6thrust23THRUST_200600_302600_NS10device_ptrIlEEjNS1_19radix_merge_compareILb0ELb1ElNS0_19identity_decomposerEEEEE10hipError_tT0_T1_T2_jT3_P12ihipStream_tbPNSt15iterator_traitsISG_E10value_typeEPNSM_ISH_E10value_typeEPSI_NS1_7vsmem_tEENKUlT_SG_SH_SI_E_clIS7_S7_S7_SB_EESF_SV_SG_SH_SI_EUlSV_E0_NS1_11comp_targetILNS1_3genE0ELNS1_11target_archE4294967295ELNS1_3gpuE0ELNS1_3repE0EEENS1_38merge_mergepath_config_static_selectorELNS0_4arch9wavefront6targetE1EEEvSH_,@function
_ZN7rocprim17ROCPRIM_400000_NS6detail17trampoline_kernelINS0_14default_configENS1_38merge_sort_block_merge_config_selectorIllEEZZNS1_27merge_sort_block_merge_implIS3_PlN6thrust23THRUST_200600_302600_NS10device_ptrIlEEjNS1_19radix_merge_compareILb0ELb1ElNS0_19identity_decomposerEEEEE10hipError_tT0_T1_T2_jT3_P12ihipStream_tbPNSt15iterator_traitsISG_E10value_typeEPNSM_ISH_E10value_typeEPSI_NS1_7vsmem_tEENKUlT_SG_SH_SI_E_clIS7_S7_S7_SB_EESF_SV_SG_SH_SI_EUlSV_E0_NS1_11comp_targetILNS1_3genE0ELNS1_11target_archE4294967295ELNS1_3gpuE0ELNS1_3repE0EEENS1_38merge_mergepath_config_static_selectorELNS0_4arch9wavefront6targetE1EEEvSH_: ; @_ZN7rocprim17ROCPRIM_400000_NS6detail17trampoline_kernelINS0_14default_configENS1_38merge_sort_block_merge_config_selectorIllEEZZNS1_27merge_sort_block_merge_implIS3_PlN6thrust23THRUST_200600_302600_NS10device_ptrIlEEjNS1_19radix_merge_compareILb0ELb1ElNS0_19identity_decomposerEEEEE10hipError_tT0_T1_T2_jT3_P12ihipStream_tbPNSt15iterator_traitsISG_E10value_typeEPNSM_ISH_E10value_typeEPSI_NS1_7vsmem_tEENKUlT_SG_SH_SI_E_clIS7_S7_S7_SB_EESF_SV_SG_SH_SI_EUlSV_E0_NS1_11comp_targetILNS1_3genE0ELNS1_11target_archE4294967295ELNS1_3gpuE0ELNS1_3repE0EEENS1_38merge_mergepath_config_static_selectorELNS0_4arch9wavefront6targetE1EEEvSH_
; %bb.0:
	.section	.rodata,"a",@progbits
	.p2align	6, 0x0
	.amdhsa_kernel _ZN7rocprim17ROCPRIM_400000_NS6detail17trampoline_kernelINS0_14default_configENS1_38merge_sort_block_merge_config_selectorIllEEZZNS1_27merge_sort_block_merge_implIS3_PlN6thrust23THRUST_200600_302600_NS10device_ptrIlEEjNS1_19radix_merge_compareILb0ELb1ElNS0_19identity_decomposerEEEEE10hipError_tT0_T1_T2_jT3_P12ihipStream_tbPNSt15iterator_traitsISG_E10value_typeEPNSM_ISH_E10value_typeEPSI_NS1_7vsmem_tEENKUlT_SG_SH_SI_E_clIS7_S7_S7_SB_EESF_SV_SG_SH_SI_EUlSV_E0_NS1_11comp_targetILNS1_3genE0ELNS1_11target_archE4294967295ELNS1_3gpuE0ELNS1_3repE0EEENS1_38merge_mergepath_config_static_selectorELNS0_4arch9wavefront6targetE1EEEvSH_
		.amdhsa_group_segment_fixed_size 0
		.amdhsa_private_segment_fixed_size 0
		.amdhsa_kernarg_size 72
		.amdhsa_user_sgpr_count 6
		.amdhsa_user_sgpr_private_segment_buffer 1
		.amdhsa_user_sgpr_dispatch_ptr 0
		.amdhsa_user_sgpr_queue_ptr 0
		.amdhsa_user_sgpr_kernarg_segment_ptr 1
		.amdhsa_user_sgpr_dispatch_id 0
		.amdhsa_user_sgpr_flat_scratch_init 0
		.amdhsa_user_sgpr_kernarg_preload_length 0
		.amdhsa_user_sgpr_kernarg_preload_offset 0
		.amdhsa_user_sgpr_private_segment_size 0
		.amdhsa_uses_dynamic_stack 0
		.amdhsa_system_sgpr_private_segment_wavefront_offset 0
		.amdhsa_system_sgpr_workgroup_id_x 1
		.amdhsa_system_sgpr_workgroup_id_y 0
		.amdhsa_system_sgpr_workgroup_id_z 0
		.amdhsa_system_sgpr_workgroup_info 0
		.amdhsa_system_vgpr_workitem_id 0
		.amdhsa_next_free_vgpr 1
		.amdhsa_next_free_sgpr 0
		.amdhsa_accum_offset 4
		.amdhsa_reserve_vcc 0
		.amdhsa_reserve_flat_scratch 0
		.amdhsa_float_round_mode_32 0
		.amdhsa_float_round_mode_16_64 0
		.amdhsa_float_denorm_mode_32 3
		.amdhsa_float_denorm_mode_16_64 3
		.amdhsa_dx10_clamp 1
		.amdhsa_ieee_mode 1
		.amdhsa_fp16_overflow 0
		.amdhsa_tg_split 0
		.amdhsa_exception_fp_ieee_invalid_op 0
		.amdhsa_exception_fp_denorm_src 0
		.amdhsa_exception_fp_ieee_div_zero 0
		.amdhsa_exception_fp_ieee_overflow 0
		.amdhsa_exception_fp_ieee_underflow 0
		.amdhsa_exception_fp_ieee_inexact 0
		.amdhsa_exception_int_div_zero 0
	.end_amdhsa_kernel
	.section	.text._ZN7rocprim17ROCPRIM_400000_NS6detail17trampoline_kernelINS0_14default_configENS1_38merge_sort_block_merge_config_selectorIllEEZZNS1_27merge_sort_block_merge_implIS3_PlN6thrust23THRUST_200600_302600_NS10device_ptrIlEEjNS1_19radix_merge_compareILb0ELb1ElNS0_19identity_decomposerEEEEE10hipError_tT0_T1_T2_jT3_P12ihipStream_tbPNSt15iterator_traitsISG_E10value_typeEPNSM_ISH_E10value_typeEPSI_NS1_7vsmem_tEENKUlT_SG_SH_SI_E_clIS7_S7_S7_SB_EESF_SV_SG_SH_SI_EUlSV_E0_NS1_11comp_targetILNS1_3genE0ELNS1_11target_archE4294967295ELNS1_3gpuE0ELNS1_3repE0EEENS1_38merge_mergepath_config_static_selectorELNS0_4arch9wavefront6targetE1EEEvSH_,"axG",@progbits,_ZN7rocprim17ROCPRIM_400000_NS6detail17trampoline_kernelINS0_14default_configENS1_38merge_sort_block_merge_config_selectorIllEEZZNS1_27merge_sort_block_merge_implIS3_PlN6thrust23THRUST_200600_302600_NS10device_ptrIlEEjNS1_19radix_merge_compareILb0ELb1ElNS0_19identity_decomposerEEEEE10hipError_tT0_T1_T2_jT3_P12ihipStream_tbPNSt15iterator_traitsISG_E10value_typeEPNSM_ISH_E10value_typeEPSI_NS1_7vsmem_tEENKUlT_SG_SH_SI_E_clIS7_S7_S7_SB_EESF_SV_SG_SH_SI_EUlSV_E0_NS1_11comp_targetILNS1_3genE0ELNS1_11target_archE4294967295ELNS1_3gpuE0ELNS1_3repE0EEENS1_38merge_mergepath_config_static_selectorELNS0_4arch9wavefront6targetE1EEEvSH_,comdat
.Lfunc_end1074:
	.size	_ZN7rocprim17ROCPRIM_400000_NS6detail17trampoline_kernelINS0_14default_configENS1_38merge_sort_block_merge_config_selectorIllEEZZNS1_27merge_sort_block_merge_implIS3_PlN6thrust23THRUST_200600_302600_NS10device_ptrIlEEjNS1_19radix_merge_compareILb0ELb1ElNS0_19identity_decomposerEEEEE10hipError_tT0_T1_T2_jT3_P12ihipStream_tbPNSt15iterator_traitsISG_E10value_typeEPNSM_ISH_E10value_typeEPSI_NS1_7vsmem_tEENKUlT_SG_SH_SI_E_clIS7_S7_S7_SB_EESF_SV_SG_SH_SI_EUlSV_E0_NS1_11comp_targetILNS1_3genE0ELNS1_11target_archE4294967295ELNS1_3gpuE0ELNS1_3repE0EEENS1_38merge_mergepath_config_static_selectorELNS0_4arch9wavefront6targetE1EEEvSH_, .Lfunc_end1074-_ZN7rocprim17ROCPRIM_400000_NS6detail17trampoline_kernelINS0_14default_configENS1_38merge_sort_block_merge_config_selectorIllEEZZNS1_27merge_sort_block_merge_implIS3_PlN6thrust23THRUST_200600_302600_NS10device_ptrIlEEjNS1_19radix_merge_compareILb0ELb1ElNS0_19identity_decomposerEEEEE10hipError_tT0_T1_T2_jT3_P12ihipStream_tbPNSt15iterator_traitsISG_E10value_typeEPNSM_ISH_E10value_typeEPSI_NS1_7vsmem_tEENKUlT_SG_SH_SI_E_clIS7_S7_S7_SB_EESF_SV_SG_SH_SI_EUlSV_E0_NS1_11comp_targetILNS1_3genE0ELNS1_11target_archE4294967295ELNS1_3gpuE0ELNS1_3repE0EEENS1_38merge_mergepath_config_static_selectorELNS0_4arch9wavefront6targetE1EEEvSH_
                                        ; -- End function
	.section	.AMDGPU.csdata,"",@progbits
; Kernel info:
; codeLenInByte = 0
; NumSgprs: 4
; NumVgprs: 0
; NumAgprs: 0
; TotalNumVgprs: 0
; ScratchSize: 0
; MemoryBound: 0
; FloatMode: 240
; IeeeMode: 1
; LDSByteSize: 0 bytes/workgroup (compile time only)
; SGPRBlocks: 0
; VGPRBlocks: 0
; NumSGPRsForWavesPerEU: 4
; NumVGPRsForWavesPerEU: 1
; AccumOffset: 4
; Occupancy: 8
; WaveLimiterHint : 0
; COMPUTE_PGM_RSRC2:SCRATCH_EN: 0
; COMPUTE_PGM_RSRC2:USER_SGPR: 6
; COMPUTE_PGM_RSRC2:TRAP_HANDLER: 0
; COMPUTE_PGM_RSRC2:TGID_X_EN: 1
; COMPUTE_PGM_RSRC2:TGID_Y_EN: 0
; COMPUTE_PGM_RSRC2:TGID_Z_EN: 0
; COMPUTE_PGM_RSRC2:TIDIG_COMP_CNT: 0
; COMPUTE_PGM_RSRC3_GFX90A:ACCUM_OFFSET: 0
; COMPUTE_PGM_RSRC3_GFX90A:TG_SPLIT: 0
	.section	.text._ZN7rocprim17ROCPRIM_400000_NS6detail17trampoline_kernelINS0_14default_configENS1_38merge_sort_block_merge_config_selectorIllEEZZNS1_27merge_sort_block_merge_implIS3_PlN6thrust23THRUST_200600_302600_NS10device_ptrIlEEjNS1_19radix_merge_compareILb0ELb1ElNS0_19identity_decomposerEEEEE10hipError_tT0_T1_T2_jT3_P12ihipStream_tbPNSt15iterator_traitsISG_E10value_typeEPNSM_ISH_E10value_typeEPSI_NS1_7vsmem_tEENKUlT_SG_SH_SI_E_clIS7_S7_S7_SB_EESF_SV_SG_SH_SI_EUlSV_E0_NS1_11comp_targetILNS1_3genE10ELNS1_11target_archE1201ELNS1_3gpuE5ELNS1_3repE0EEENS1_38merge_mergepath_config_static_selectorELNS0_4arch9wavefront6targetE1EEEvSH_,"axG",@progbits,_ZN7rocprim17ROCPRIM_400000_NS6detail17trampoline_kernelINS0_14default_configENS1_38merge_sort_block_merge_config_selectorIllEEZZNS1_27merge_sort_block_merge_implIS3_PlN6thrust23THRUST_200600_302600_NS10device_ptrIlEEjNS1_19radix_merge_compareILb0ELb1ElNS0_19identity_decomposerEEEEE10hipError_tT0_T1_T2_jT3_P12ihipStream_tbPNSt15iterator_traitsISG_E10value_typeEPNSM_ISH_E10value_typeEPSI_NS1_7vsmem_tEENKUlT_SG_SH_SI_E_clIS7_S7_S7_SB_EESF_SV_SG_SH_SI_EUlSV_E0_NS1_11comp_targetILNS1_3genE10ELNS1_11target_archE1201ELNS1_3gpuE5ELNS1_3repE0EEENS1_38merge_mergepath_config_static_selectorELNS0_4arch9wavefront6targetE1EEEvSH_,comdat
	.protected	_ZN7rocprim17ROCPRIM_400000_NS6detail17trampoline_kernelINS0_14default_configENS1_38merge_sort_block_merge_config_selectorIllEEZZNS1_27merge_sort_block_merge_implIS3_PlN6thrust23THRUST_200600_302600_NS10device_ptrIlEEjNS1_19radix_merge_compareILb0ELb1ElNS0_19identity_decomposerEEEEE10hipError_tT0_T1_T2_jT3_P12ihipStream_tbPNSt15iterator_traitsISG_E10value_typeEPNSM_ISH_E10value_typeEPSI_NS1_7vsmem_tEENKUlT_SG_SH_SI_E_clIS7_S7_S7_SB_EESF_SV_SG_SH_SI_EUlSV_E0_NS1_11comp_targetILNS1_3genE10ELNS1_11target_archE1201ELNS1_3gpuE5ELNS1_3repE0EEENS1_38merge_mergepath_config_static_selectorELNS0_4arch9wavefront6targetE1EEEvSH_ ; -- Begin function _ZN7rocprim17ROCPRIM_400000_NS6detail17trampoline_kernelINS0_14default_configENS1_38merge_sort_block_merge_config_selectorIllEEZZNS1_27merge_sort_block_merge_implIS3_PlN6thrust23THRUST_200600_302600_NS10device_ptrIlEEjNS1_19radix_merge_compareILb0ELb1ElNS0_19identity_decomposerEEEEE10hipError_tT0_T1_T2_jT3_P12ihipStream_tbPNSt15iterator_traitsISG_E10value_typeEPNSM_ISH_E10value_typeEPSI_NS1_7vsmem_tEENKUlT_SG_SH_SI_E_clIS7_S7_S7_SB_EESF_SV_SG_SH_SI_EUlSV_E0_NS1_11comp_targetILNS1_3genE10ELNS1_11target_archE1201ELNS1_3gpuE5ELNS1_3repE0EEENS1_38merge_mergepath_config_static_selectorELNS0_4arch9wavefront6targetE1EEEvSH_
	.globl	_ZN7rocprim17ROCPRIM_400000_NS6detail17trampoline_kernelINS0_14default_configENS1_38merge_sort_block_merge_config_selectorIllEEZZNS1_27merge_sort_block_merge_implIS3_PlN6thrust23THRUST_200600_302600_NS10device_ptrIlEEjNS1_19radix_merge_compareILb0ELb1ElNS0_19identity_decomposerEEEEE10hipError_tT0_T1_T2_jT3_P12ihipStream_tbPNSt15iterator_traitsISG_E10value_typeEPNSM_ISH_E10value_typeEPSI_NS1_7vsmem_tEENKUlT_SG_SH_SI_E_clIS7_S7_S7_SB_EESF_SV_SG_SH_SI_EUlSV_E0_NS1_11comp_targetILNS1_3genE10ELNS1_11target_archE1201ELNS1_3gpuE5ELNS1_3repE0EEENS1_38merge_mergepath_config_static_selectorELNS0_4arch9wavefront6targetE1EEEvSH_
	.p2align	8
	.type	_ZN7rocprim17ROCPRIM_400000_NS6detail17trampoline_kernelINS0_14default_configENS1_38merge_sort_block_merge_config_selectorIllEEZZNS1_27merge_sort_block_merge_implIS3_PlN6thrust23THRUST_200600_302600_NS10device_ptrIlEEjNS1_19radix_merge_compareILb0ELb1ElNS0_19identity_decomposerEEEEE10hipError_tT0_T1_T2_jT3_P12ihipStream_tbPNSt15iterator_traitsISG_E10value_typeEPNSM_ISH_E10value_typeEPSI_NS1_7vsmem_tEENKUlT_SG_SH_SI_E_clIS7_S7_S7_SB_EESF_SV_SG_SH_SI_EUlSV_E0_NS1_11comp_targetILNS1_3genE10ELNS1_11target_archE1201ELNS1_3gpuE5ELNS1_3repE0EEENS1_38merge_mergepath_config_static_selectorELNS0_4arch9wavefront6targetE1EEEvSH_,@function
_ZN7rocprim17ROCPRIM_400000_NS6detail17trampoline_kernelINS0_14default_configENS1_38merge_sort_block_merge_config_selectorIllEEZZNS1_27merge_sort_block_merge_implIS3_PlN6thrust23THRUST_200600_302600_NS10device_ptrIlEEjNS1_19radix_merge_compareILb0ELb1ElNS0_19identity_decomposerEEEEE10hipError_tT0_T1_T2_jT3_P12ihipStream_tbPNSt15iterator_traitsISG_E10value_typeEPNSM_ISH_E10value_typeEPSI_NS1_7vsmem_tEENKUlT_SG_SH_SI_E_clIS7_S7_S7_SB_EESF_SV_SG_SH_SI_EUlSV_E0_NS1_11comp_targetILNS1_3genE10ELNS1_11target_archE1201ELNS1_3gpuE5ELNS1_3repE0EEENS1_38merge_mergepath_config_static_selectorELNS0_4arch9wavefront6targetE1EEEvSH_: ; @_ZN7rocprim17ROCPRIM_400000_NS6detail17trampoline_kernelINS0_14default_configENS1_38merge_sort_block_merge_config_selectorIllEEZZNS1_27merge_sort_block_merge_implIS3_PlN6thrust23THRUST_200600_302600_NS10device_ptrIlEEjNS1_19radix_merge_compareILb0ELb1ElNS0_19identity_decomposerEEEEE10hipError_tT0_T1_T2_jT3_P12ihipStream_tbPNSt15iterator_traitsISG_E10value_typeEPNSM_ISH_E10value_typeEPSI_NS1_7vsmem_tEENKUlT_SG_SH_SI_E_clIS7_S7_S7_SB_EESF_SV_SG_SH_SI_EUlSV_E0_NS1_11comp_targetILNS1_3genE10ELNS1_11target_archE1201ELNS1_3gpuE5ELNS1_3repE0EEENS1_38merge_mergepath_config_static_selectorELNS0_4arch9wavefront6targetE1EEEvSH_
; %bb.0:
	.section	.rodata,"a",@progbits
	.p2align	6, 0x0
	.amdhsa_kernel _ZN7rocprim17ROCPRIM_400000_NS6detail17trampoline_kernelINS0_14default_configENS1_38merge_sort_block_merge_config_selectorIllEEZZNS1_27merge_sort_block_merge_implIS3_PlN6thrust23THRUST_200600_302600_NS10device_ptrIlEEjNS1_19radix_merge_compareILb0ELb1ElNS0_19identity_decomposerEEEEE10hipError_tT0_T1_T2_jT3_P12ihipStream_tbPNSt15iterator_traitsISG_E10value_typeEPNSM_ISH_E10value_typeEPSI_NS1_7vsmem_tEENKUlT_SG_SH_SI_E_clIS7_S7_S7_SB_EESF_SV_SG_SH_SI_EUlSV_E0_NS1_11comp_targetILNS1_3genE10ELNS1_11target_archE1201ELNS1_3gpuE5ELNS1_3repE0EEENS1_38merge_mergepath_config_static_selectorELNS0_4arch9wavefront6targetE1EEEvSH_
		.amdhsa_group_segment_fixed_size 0
		.amdhsa_private_segment_fixed_size 0
		.amdhsa_kernarg_size 72
		.amdhsa_user_sgpr_count 6
		.amdhsa_user_sgpr_private_segment_buffer 1
		.amdhsa_user_sgpr_dispatch_ptr 0
		.amdhsa_user_sgpr_queue_ptr 0
		.amdhsa_user_sgpr_kernarg_segment_ptr 1
		.amdhsa_user_sgpr_dispatch_id 0
		.amdhsa_user_sgpr_flat_scratch_init 0
		.amdhsa_user_sgpr_kernarg_preload_length 0
		.amdhsa_user_sgpr_kernarg_preload_offset 0
		.amdhsa_user_sgpr_private_segment_size 0
		.amdhsa_uses_dynamic_stack 0
		.amdhsa_system_sgpr_private_segment_wavefront_offset 0
		.amdhsa_system_sgpr_workgroup_id_x 1
		.amdhsa_system_sgpr_workgroup_id_y 0
		.amdhsa_system_sgpr_workgroup_id_z 0
		.amdhsa_system_sgpr_workgroup_info 0
		.amdhsa_system_vgpr_workitem_id 0
		.amdhsa_next_free_vgpr 1
		.amdhsa_next_free_sgpr 0
		.amdhsa_accum_offset 4
		.amdhsa_reserve_vcc 0
		.amdhsa_reserve_flat_scratch 0
		.amdhsa_float_round_mode_32 0
		.amdhsa_float_round_mode_16_64 0
		.amdhsa_float_denorm_mode_32 3
		.amdhsa_float_denorm_mode_16_64 3
		.amdhsa_dx10_clamp 1
		.amdhsa_ieee_mode 1
		.amdhsa_fp16_overflow 0
		.amdhsa_tg_split 0
		.amdhsa_exception_fp_ieee_invalid_op 0
		.amdhsa_exception_fp_denorm_src 0
		.amdhsa_exception_fp_ieee_div_zero 0
		.amdhsa_exception_fp_ieee_overflow 0
		.amdhsa_exception_fp_ieee_underflow 0
		.amdhsa_exception_fp_ieee_inexact 0
		.amdhsa_exception_int_div_zero 0
	.end_amdhsa_kernel
	.section	.text._ZN7rocprim17ROCPRIM_400000_NS6detail17trampoline_kernelINS0_14default_configENS1_38merge_sort_block_merge_config_selectorIllEEZZNS1_27merge_sort_block_merge_implIS3_PlN6thrust23THRUST_200600_302600_NS10device_ptrIlEEjNS1_19radix_merge_compareILb0ELb1ElNS0_19identity_decomposerEEEEE10hipError_tT0_T1_T2_jT3_P12ihipStream_tbPNSt15iterator_traitsISG_E10value_typeEPNSM_ISH_E10value_typeEPSI_NS1_7vsmem_tEENKUlT_SG_SH_SI_E_clIS7_S7_S7_SB_EESF_SV_SG_SH_SI_EUlSV_E0_NS1_11comp_targetILNS1_3genE10ELNS1_11target_archE1201ELNS1_3gpuE5ELNS1_3repE0EEENS1_38merge_mergepath_config_static_selectorELNS0_4arch9wavefront6targetE1EEEvSH_,"axG",@progbits,_ZN7rocprim17ROCPRIM_400000_NS6detail17trampoline_kernelINS0_14default_configENS1_38merge_sort_block_merge_config_selectorIllEEZZNS1_27merge_sort_block_merge_implIS3_PlN6thrust23THRUST_200600_302600_NS10device_ptrIlEEjNS1_19radix_merge_compareILb0ELb1ElNS0_19identity_decomposerEEEEE10hipError_tT0_T1_T2_jT3_P12ihipStream_tbPNSt15iterator_traitsISG_E10value_typeEPNSM_ISH_E10value_typeEPSI_NS1_7vsmem_tEENKUlT_SG_SH_SI_E_clIS7_S7_S7_SB_EESF_SV_SG_SH_SI_EUlSV_E0_NS1_11comp_targetILNS1_3genE10ELNS1_11target_archE1201ELNS1_3gpuE5ELNS1_3repE0EEENS1_38merge_mergepath_config_static_selectorELNS0_4arch9wavefront6targetE1EEEvSH_,comdat
.Lfunc_end1075:
	.size	_ZN7rocprim17ROCPRIM_400000_NS6detail17trampoline_kernelINS0_14default_configENS1_38merge_sort_block_merge_config_selectorIllEEZZNS1_27merge_sort_block_merge_implIS3_PlN6thrust23THRUST_200600_302600_NS10device_ptrIlEEjNS1_19radix_merge_compareILb0ELb1ElNS0_19identity_decomposerEEEEE10hipError_tT0_T1_T2_jT3_P12ihipStream_tbPNSt15iterator_traitsISG_E10value_typeEPNSM_ISH_E10value_typeEPSI_NS1_7vsmem_tEENKUlT_SG_SH_SI_E_clIS7_S7_S7_SB_EESF_SV_SG_SH_SI_EUlSV_E0_NS1_11comp_targetILNS1_3genE10ELNS1_11target_archE1201ELNS1_3gpuE5ELNS1_3repE0EEENS1_38merge_mergepath_config_static_selectorELNS0_4arch9wavefront6targetE1EEEvSH_, .Lfunc_end1075-_ZN7rocprim17ROCPRIM_400000_NS6detail17trampoline_kernelINS0_14default_configENS1_38merge_sort_block_merge_config_selectorIllEEZZNS1_27merge_sort_block_merge_implIS3_PlN6thrust23THRUST_200600_302600_NS10device_ptrIlEEjNS1_19radix_merge_compareILb0ELb1ElNS0_19identity_decomposerEEEEE10hipError_tT0_T1_T2_jT3_P12ihipStream_tbPNSt15iterator_traitsISG_E10value_typeEPNSM_ISH_E10value_typeEPSI_NS1_7vsmem_tEENKUlT_SG_SH_SI_E_clIS7_S7_S7_SB_EESF_SV_SG_SH_SI_EUlSV_E0_NS1_11comp_targetILNS1_3genE10ELNS1_11target_archE1201ELNS1_3gpuE5ELNS1_3repE0EEENS1_38merge_mergepath_config_static_selectorELNS0_4arch9wavefront6targetE1EEEvSH_
                                        ; -- End function
	.section	.AMDGPU.csdata,"",@progbits
; Kernel info:
; codeLenInByte = 0
; NumSgprs: 4
; NumVgprs: 0
; NumAgprs: 0
; TotalNumVgprs: 0
; ScratchSize: 0
; MemoryBound: 0
; FloatMode: 240
; IeeeMode: 1
; LDSByteSize: 0 bytes/workgroup (compile time only)
; SGPRBlocks: 0
; VGPRBlocks: 0
; NumSGPRsForWavesPerEU: 4
; NumVGPRsForWavesPerEU: 1
; AccumOffset: 4
; Occupancy: 8
; WaveLimiterHint : 0
; COMPUTE_PGM_RSRC2:SCRATCH_EN: 0
; COMPUTE_PGM_RSRC2:USER_SGPR: 6
; COMPUTE_PGM_RSRC2:TRAP_HANDLER: 0
; COMPUTE_PGM_RSRC2:TGID_X_EN: 1
; COMPUTE_PGM_RSRC2:TGID_Y_EN: 0
; COMPUTE_PGM_RSRC2:TGID_Z_EN: 0
; COMPUTE_PGM_RSRC2:TIDIG_COMP_CNT: 0
; COMPUTE_PGM_RSRC3_GFX90A:ACCUM_OFFSET: 0
; COMPUTE_PGM_RSRC3_GFX90A:TG_SPLIT: 0
	.section	.text._ZN7rocprim17ROCPRIM_400000_NS6detail17trampoline_kernelINS0_14default_configENS1_38merge_sort_block_merge_config_selectorIllEEZZNS1_27merge_sort_block_merge_implIS3_PlN6thrust23THRUST_200600_302600_NS10device_ptrIlEEjNS1_19radix_merge_compareILb0ELb1ElNS0_19identity_decomposerEEEEE10hipError_tT0_T1_T2_jT3_P12ihipStream_tbPNSt15iterator_traitsISG_E10value_typeEPNSM_ISH_E10value_typeEPSI_NS1_7vsmem_tEENKUlT_SG_SH_SI_E_clIS7_S7_S7_SB_EESF_SV_SG_SH_SI_EUlSV_E0_NS1_11comp_targetILNS1_3genE5ELNS1_11target_archE942ELNS1_3gpuE9ELNS1_3repE0EEENS1_38merge_mergepath_config_static_selectorELNS0_4arch9wavefront6targetE1EEEvSH_,"axG",@progbits,_ZN7rocprim17ROCPRIM_400000_NS6detail17trampoline_kernelINS0_14default_configENS1_38merge_sort_block_merge_config_selectorIllEEZZNS1_27merge_sort_block_merge_implIS3_PlN6thrust23THRUST_200600_302600_NS10device_ptrIlEEjNS1_19radix_merge_compareILb0ELb1ElNS0_19identity_decomposerEEEEE10hipError_tT0_T1_T2_jT3_P12ihipStream_tbPNSt15iterator_traitsISG_E10value_typeEPNSM_ISH_E10value_typeEPSI_NS1_7vsmem_tEENKUlT_SG_SH_SI_E_clIS7_S7_S7_SB_EESF_SV_SG_SH_SI_EUlSV_E0_NS1_11comp_targetILNS1_3genE5ELNS1_11target_archE942ELNS1_3gpuE9ELNS1_3repE0EEENS1_38merge_mergepath_config_static_selectorELNS0_4arch9wavefront6targetE1EEEvSH_,comdat
	.protected	_ZN7rocprim17ROCPRIM_400000_NS6detail17trampoline_kernelINS0_14default_configENS1_38merge_sort_block_merge_config_selectorIllEEZZNS1_27merge_sort_block_merge_implIS3_PlN6thrust23THRUST_200600_302600_NS10device_ptrIlEEjNS1_19radix_merge_compareILb0ELb1ElNS0_19identity_decomposerEEEEE10hipError_tT0_T1_T2_jT3_P12ihipStream_tbPNSt15iterator_traitsISG_E10value_typeEPNSM_ISH_E10value_typeEPSI_NS1_7vsmem_tEENKUlT_SG_SH_SI_E_clIS7_S7_S7_SB_EESF_SV_SG_SH_SI_EUlSV_E0_NS1_11comp_targetILNS1_3genE5ELNS1_11target_archE942ELNS1_3gpuE9ELNS1_3repE0EEENS1_38merge_mergepath_config_static_selectorELNS0_4arch9wavefront6targetE1EEEvSH_ ; -- Begin function _ZN7rocprim17ROCPRIM_400000_NS6detail17trampoline_kernelINS0_14default_configENS1_38merge_sort_block_merge_config_selectorIllEEZZNS1_27merge_sort_block_merge_implIS3_PlN6thrust23THRUST_200600_302600_NS10device_ptrIlEEjNS1_19radix_merge_compareILb0ELb1ElNS0_19identity_decomposerEEEEE10hipError_tT0_T1_T2_jT3_P12ihipStream_tbPNSt15iterator_traitsISG_E10value_typeEPNSM_ISH_E10value_typeEPSI_NS1_7vsmem_tEENKUlT_SG_SH_SI_E_clIS7_S7_S7_SB_EESF_SV_SG_SH_SI_EUlSV_E0_NS1_11comp_targetILNS1_3genE5ELNS1_11target_archE942ELNS1_3gpuE9ELNS1_3repE0EEENS1_38merge_mergepath_config_static_selectorELNS0_4arch9wavefront6targetE1EEEvSH_
	.globl	_ZN7rocprim17ROCPRIM_400000_NS6detail17trampoline_kernelINS0_14default_configENS1_38merge_sort_block_merge_config_selectorIllEEZZNS1_27merge_sort_block_merge_implIS3_PlN6thrust23THRUST_200600_302600_NS10device_ptrIlEEjNS1_19radix_merge_compareILb0ELb1ElNS0_19identity_decomposerEEEEE10hipError_tT0_T1_T2_jT3_P12ihipStream_tbPNSt15iterator_traitsISG_E10value_typeEPNSM_ISH_E10value_typeEPSI_NS1_7vsmem_tEENKUlT_SG_SH_SI_E_clIS7_S7_S7_SB_EESF_SV_SG_SH_SI_EUlSV_E0_NS1_11comp_targetILNS1_3genE5ELNS1_11target_archE942ELNS1_3gpuE9ELNS1_3repE0EEENS1_38merge_mergepath_config_static_selectorELNS0_4arch9wavefront6targetE1EEEvSH_
	.p2align	8
	.type	_ZN7rocprim17ROCPRIM_400000_NS6detail17trampoline_kernelINS0_14default_configENS1_38merge_sort_block_merge_config_selectorIllEEZZNS1_27merge_sort_block_merge_implIS3_PlN6thrust23THRUST_200600_302600_NS10device_ptrIlEEjNS1_19radix_merge_compareILb0ELb1ElNS0_19identity_decomposerEEEEE10hipError_tT0_T1_T2_jT3_P12ihipStream_tbPNSt15iterator_traitsISG_E10value_typeEPNSM_ISH_E10value_typeEPSI_NS1_7vsmem_tEENKUlT_SG_SH_SI_E_clIS7_S7_S7_SB_EESF_SV_SG_SH_SI_EUlSV_E0_NS1_11comp_targetILNS1_3genE5ELNS1_11target_archE942ELNS1_3gpuE9ELNS1_3repE0EEENS1_38merge_mergepath_config_static_selectorELNS0_4arch9wavefront6targetE1EEEvSH_,@function
_ZN7rocprim17ROCPRIM_400000_NS6detail17trampoline_kernelINS0_14default_configENS1_38merge_sort_block_merge_config_selectorIllEEZZNS1_27merge_sort_block_merge_implIS3_PlN6thrust23THRUST_200600_302600_NS10device_ptrIlEEjNS1_19radix_merge_compareILb0ELb1ElNS0_19identity_decomposerEEEEE10hipError_tT0_T1_T2_jT3_P12ihipStream_tbPNSt15iterator_traitsISG_E10value_typeEPNSM_ISH_E10value_typeEPSI_NS1_7vsmem_tEENKUlT_SG_SH_SI_E_clIS7_S7_S7_SB_EESF_SV_SG_SH_SI_EUlSV_E0_NS1_11comp_targetILNS1_3genE5ELNS1_11target_archE942ELNS1_3gpuE9ELNS1_3repE0EEENS1_38merge_mergepath_config_static_selectorELNS0_4arch9wavefront6targetE1EEEvSH_: ; @_ZN7rocprim17ROCPRIM_400000_NS6detail17trampoline_kernelINS0_14default_configENS1_38merge_sort_block_merge_config_selectorIllEEZZNS1_27merge_sort_block_merge_implIS3_PlN6thrust23THRUST_200600_302600_NS10device_ptrIlEEjNS1_19radix_merge_compareILb0ELb1ElNS0_19identity_decomposerEEEEE10hipError_tT0_T1_T2_jT3_P12ihipStream_tbPNSt15iterator_traitsISG_E10value_typeEPNSM_ISH_E10value_typeEPSI_NS1_7vsmem_tEENKUlT_SG_SH_SI_E_clIS7_S7_S7_SB_EESF_SV_SG_SH_SI_EUlSV_E0_NS1_11comp_targetILNS1_3genE5ELNS1_11target_archE942ELNS1_3gpuE9ELNS1_3repE0EEENS1_38merge_mergepath_config_static_selectorELNS0_4arch9wavefront6targetE1EEEvSH_
; %bb.0:
	.section	.rodata,"a",@progbits
	.p2align	6, 0x0
	.amdhsa_kernel _ZN7rocprim17ROCPRIM_400000_NS6detail17trampoline_kernelINS0_14default_configENS1_38merge_sort_block_merge_config_selectorIllEEZZNS1_27merge_sort_block_merge_implIS3_PlN6thrust23THRUST_200600_302600_NS10device_ptrIlEEjNS1_19radix_merge_compareILb0ELb1ElNS0_19identity_decomposerEEEEE10hipError_tT0_T1_T2_jT3_P12ihipStream_tbPNSt15iterator_traitsISG_E10value_typeEPNSM_ISH_E10value_typeEPSI_NS1_7vsmem_tEENKUlT_SG_SH_SI_E_clIS7_S7_S7_SB_EESF_SV_SG_SH_SI_EUlSV_E0_NS1_11comp_targetILNS1_3genE5ELNS1_11target_archE942ELNS1_3gpuE9ELNS1_3repE0EEENS1_38merge_mergepath_config_static_selectorELNS0_4arch9wavefront6targetE1EEEvSH_
		.amdhsa_group_segment_fixed_size 0
		.amdhsa_private_segment_fixed_size 0
		.amdhsa_kernarg_size 72
		.amdhsa_user_sgpr_count 6
		.amdhsa_user_sgpr_private_segment_buffer 1
		.amdhsa_user_sgpr_dispatch_ptr 0
		.amdhsa_user_sgpr_queue_ptr 0
		.amdhsa_user_sgpr_kernarg_segment_ptr 1
		.amdhsa_user_sgpr_dispatch_id 0
		.amdhsa_user_sgpr_flat_scratch_init 0
		.amdhsa_user_sgpr_kernarg_preload_length 0
		.amdhsa_user_sgpr_kernarg_preload_offset 0
		.amdhsa_user_sgpr_private_segment_size 0
		.amdhsa_uses_dynamic_stack 0
		.amdhsa_system_sgpr_private_segment_wavefront_offset 0
		.amdhsa_system_sgpr_workgroup_id_x 1
		.amdhsa_system_sgpr_workgroup_id_y 0
		.amdhsa_system_sgpr_workgroup_id_z 0
		.amdhsa_system_sgpr_workgroup_info 0
		.amdhsa_system_vgpr_workitem_id 0
		.amdhsa_next_free_vgpr 1
		.amdhsa_next_free_sgpr 0
		.amdhsa_accum_offset 4
		.amdhsa_reserve_vcc 0
		.amdhsa_reserve_flat_scratch 0
		.amdhsa_float_round_mode_32 0
		.amdhsa_float_round_mode_16_64 0
		.amdhsa_float_denorm_mode_32 3
		.amdhsa_float_denorm_mode_16_64 3
		.amdhsa_dx10_clamp 1
		.amdhsa_ieee_mode 1
		.amdhsa_fp16_overflow 0
		.amdhsa_tg_split 0
		.amdhsa_exception_fp_ieee_invalid_op 0
		.amdhsa_exception_fp_denorm_src 0
		.amdhsa_exception_fp_ieee_div_zero 0
		.amdhsa_exception_fp_ieee_overflow 0
		.amdhsa_exception_fp_ieee_underflow 0
		.amdhsa_exception_fp_ieee_inexact 0
		.amdhsa_exception_int_div_zero 0
	.end_amdhsa_kernel
	.section	.text._ZN7rocprim17ROCPRIM_400000_NS6detail17trampoline_kernelINS0_14default_configENS1_38merge_sort_block_merge_config_selectorIllEEZZNS1_27merge_sort_block_merge_implIS3_PlN6thrust23THRUST_200600_302600_NS10device_ptrIlEEjNS1_19radix_merge_compareILb0ELb1ElNS0_19identity_decomposerEEEEE10hipError_tT0_T1_T2_jT3_P12ihipStream_tbPNSt15iterator_traitsISG_E10value_typeEPNSM_ISH_E10value_typeEPSI_NS1_7vsmem_tEENKUlT_SG_SH_SI_E_clIS7_S7_S7_SB_EESF_SV_SG_SH_SI_EUlSV_E0_NS1_11comp_targetILNS1_3genE5ELNS1_11target_archE942ELNS1_3gpuE9ELNS1_3repE0EEENS1_38merge_mergepath_config_static_selectorELNS0_4arch9wavefront6targetE1EEEvSH_,"axG",@progbits,_ZN7rocprim17ROCPRIM_400000_NS6detail17trampoline_kernelINS0_14default_configENS1_38merge_sort_block_merge_config_selectorIllEEZZNS1_27merge_sort_block_merge_implIS3_PlN6thrust23THRUST_200600_302600_NS10device_ptrIlEEjNS1_19radix_merge_compareILb0ELb1ElNS0_19identity_decomposerEEEEE10hipError_tT0_T1_T2_jT3_P12ihipStream_tbPNSt15iterator_traitsISG_E10value_typeEPNSM_ISH_E10value_typeEPSI_NS1_7vsmem_tEENKUlT_SG_SH_SI_E_clIS7_S7_S7_SB_EESF_SV_SG_SH_SI_EUlSV_E0_NS1_11comp_targetILNS1_3genE5ELNS1_11target_archE942ELNS1_3gpuE9ELNS1_3repE0EEENS1_38merge_mergepath_config_static_selectorELNS0_4arch9wavefront6targetE1EEEvSH_,comdat
.Lfunc_end1076:
	.size	_ZN7rocprim17ROCPRIM_400000_NS6detail17trampoline_kernelINS0_14default_configENS1_38merge_sort_block_merge_config_selectorIllEEZZNS1_27merge_sort_block_merge_implIS3_PlN6thrust23THRUST_200600_302600_NS10device_ptrIlEEjNS1_19radix_merge_compareILb0ELb1ElNS0_19identity_decomposerEEEEE10hipError_tT0_T1_T2_jT3_P12ihipStream_tbPNSt15iterator_traitsISG_E10value_typeEPNSM_ISH_E10value_typeEPSI_NS1_7vsmem_tEENKUlT_SG_SH_SI_E_clIS7_S7_S7_SB_EESF_SV_SG_SH_SI_EUlSV_E0_NS1_11comp_targetILNS1_3genE5ELNS1_11target_archE942ELNS1_3gpuE9ELNS1_3repE0EEENS1_38merge_mergepath_config_static_selectorELNS0_4arch9wavefront6targetE1EEEvSH_, .Lfunc_end1076-_ZN7rocprim17ROCPRIM_400000_NS6detail17trampoline_kernelINS0_14default_configENS1_38merge_sort_block_merge_config_selectorIllEEZZNS1_27merge_sort_block_merge_implIS3_PlN6thrust23THRUST_200600_302600_NS10device_ptrIlEEjNS1_19radix_merge_compareILb0ELb1ElNS0_19identity_decomposerEEEEE10hipError_tT0_T1_T2_jT3_P12ihipStream_tbPNSt15iterator_traitsISG_E10value_typeEPNSM_ISH_E10value_typeEPSI_NS1_7vsmem_tEENKUlT_SG_SH_SI_E_clIS7_S7_S7_SB_EESF_SV_SG_SH_SI_EUlSV_E0_NS1_11comp_targetILNS1_3genE5ELNS1_11target_archE942ELNS1_3gpuE9ELNS1_3repE0EEENS1_38merge_mergepath_config_static_selectorELNS0_4arch9wavefront6targetE1EEEvSH_
                                        ; -- End function
	.section	.AMDGPU.csdata,"",@progbits
; Kernel info:
; codeLenInByte = 0
; NumSgprs: 4
; NumVgprs: 0
; NumAgprs: 0
; TotalNumVgprs: 0
; ScratchSize: 0
; MemoryBound: 0
; FloatMode: 240
; IeeeMode: 1
; LDSByteSize: 0 bytes/workgroup (compile time only)
; SGPRBlocks: 0
; VGPRBlocks: 0
; NumSGPRsForWavesPerEU: 4
; NumVGPRsForWavesPerEU: 1
; AccumOffset: 4
; Occupancy: 8
; WaveLimiterHint : 0
; COMPUTE_PGM_RSRC2:SCRATCH_EN: 0
; COMPUTE_PGM_RSRC2:USER_SGPR: 6
; COMPUTE_PGM_RSRC2:TRAP_HANDLER: 0
; COMPUTE_PGM_RSRC2:TGID_X_EN: 1
; COMPUTE_PGM_RSRC2:TGID_Y_EN: 0
; COMPUTE_PGM_RSRC2:TGID_Z_EN: 0
; COMPUTE_PGM_RSRC2:TIDIG_COMP_CNT: 0
; COMPUTE_PGM_RSRC3_GFX90A:ACCUM_OFFSET: 0
; COMPUTE_PGM_RSRC3_GFX90A:TG_SPLIT: 0
	.section	.text._ZN7rocprim17ROCPRIM_400000_NS6detail17trampoline_kernelINS0_14default_configENS1_38merge_sort_block_merge_config_selectorIllEEZZNS1_27merge_sort_block_merge_implIS3_PlN6thrust23THRUST_200600_302600_NS10device_ptrIlEEjNS1_19radix_merge_compareILb0ELb1ElNS0_19identity_decomposerEEEEE10hipError_tT0_T1_T2_jT3_P12ihipStream_tbPNSt15iterator_traitsISG_E10value_typeEPNSM_ISH_E10value_typeEPSI_NS1_7vsmem_tEENKUlT_SG_SH_SI_E_clIS7_S7_S7_SB_EESF_SV_SG_SH_SI_EUlSV_E0_NS1_11comp_targetILNS1_3genE4ELNS1_11target_archE910ELNS1_3gpuE8ELNS1_3repE0EEENS1_38merge_mergepath_config_static_selectorELNS0_4arch9wavefront6targetE1EEEvSH_,"axG",@progbits,_ZN7rocprim17ROCPRIM_400000_NS6detail17trampoline_kernelINS0_14default_configENS1_38merge_sort_block_merge_config_selectorIllEEZZNS1_27merge_sort_block_merge_implIS3_PlN6thrust23THRUST_200600_302600_NS10device_ptrIlEEjNS1_19radix_merge_compareILb0ELb1ElNS0_19identity_decomposerEEEEE10hipError_tT0_T1_T2_jT3_P12ihipStream_tbPNSt15iterator_traitsISG_E10value_typeEPNSM_ISH_E10value_typeEPSI_NS1_7vsmem_tEENKUlT_SG_SH_SI_E_clIS7_S7_S7_SB_EESF_SV_SG_SH_SI_EUlSV_E0_NS1_11comp_targetILNS1_3genE4ELNS1_11target_archE910ELNS1_3gpuE8ELNS1_3repE0EEENS1_38merge_mergepath_config_static_selectorELNS0_4arch9wavefront6targetE1EEEvSH_,comdat
	.protected	_ZN7rocprim17ROCPRIM_400000_NS6detail17trampoline_kernelINS0_14default_configENS1_38merge_sort_block_merge_config_selectorIllEEZZNS1_27merge_sort_block_merge_implIS3_PlN6thrust23THRUST_200600_302600_NS10device_ptrIlEEjNS1_19radix_merge_compareILb0ELb1ElNS0_19identity_decomposerEEEEE10hipError_tT0_T1_T2_jT3_P12ihipStream_tbPNSt15iterator_traitsISG_E10value_typeEPNSM_ISH_E10value_typeEPSI_NS1_7vsmem_tEENKUlT_SG_SH_SI_E_clIS7_S7_S7_SB_EESF_SV_SG_SH_SI_EUlSV_E0_NS1_11comp_targetILNS1_3genE4ELNS1_11target_archE910ELNS1_3gpuE8ELNS1_3repE0EEENS1_38merge_mergepath_config_static_selectorELNS0_4arch9wavefront6targetE1EEEvSH_ ; -- Begin function _ZN7rocprim17ROCPRIM_400000_NS6detail17trampoline_kernelINS0_14default_configENS1_38merge_sort_block_merge_config_selectorIllEEZZNS1_27merge_sort_block_merge_implIS3_PlN6thrust23THRUST_200600_302600_NS10device_ptrIlEEjNS1_19radix_merge_compareILb0ELb1ElNS0_19identity_decomposerEEEEE10hipError_tT0_T1_T2_jT3_P12ihipStream_tbPNSt15iterator_traitsISG_E10value_typeEPNSM_ISH_E10value_typeEPSI_NS1_7vsmem_tEENKUlT_SG_SH_SI_E_clIS7_S7_S7_SB_EESF_SV_SG_SH_SI_EUlSV_E0_NS1_11comp_targetILNS1_3genE4ELNS1_11target_archE910ELNS1_3gpuE8ELNS1_3repE0EEENS1_38merge_mergepath_config_static_selectorELNS0_4arch9wavefront6targetE1EEEvSH_
	.globl	_ZN7rocprim17ROCPRIM_400000_NS6detail17trampoline_kernelINS0_14default_configENS1_38merge_sort_block_merge_config_selectorIllEEZZNS1_27merge_sort_block_merge_implIS3_PlN6thrust23THRUST_200600_302600_NS10device_ptrIlEEjNS1_19radix_merge_compareILb0ELb1ElNS0_19identity_decomposerEEEEE10hipError_tT0_T1_T2_jT3_P12ihipStream_tbPNSt15iterator_traitsISG_E10value_typeEPNSM_ISH_E10value_typeEPSI_NS1_7vsmem_tEENKUlT_SG_SH_SI_E_clIS7_S7_S7_SB_EESF_SV_SG_SH_SI_EUlSV_E0_NS1_11comp_targetILNS1_3genE4ELNS1_11target_archE910ELNS1_3gpuE8ELNS1_3repE0EEENS1_38merge_mergepath_config_static_selectorELNS0_4arch9wavefront6targetE1EEEvSH_
	.p2align	8
	.type	_ZN7rocprim17ROCPRIM_400000_NS6detail17trampoline_kernelINS0_14default_configENS1_38merge_sort_block_merge_config_selectorIllEEZZNS1_27merge_sort_block_merge_implIS3_PlN6thrust23THRUST_200600_302600_NS10device_ptrIlEEjNS1_19radix_merge_compareILb0ELb1ElNS0_19identity_decomposerEEEEE10hipError_tT0_T1_T2_jT3_P12ihipStream_tbPNSt15iterator_traitsISG_E10value_typeEPNSM_ISH_E10value_typeEPSI_NS1_7vsmem_tEENKUlT_SG_SH_SI_E_clIS7_S7_S7_SB_EESF_SV_SG_SH_SI_EUlSV_E0_NS1_11comp_targetILNS1_3genE4ELNS1_11target_archE910ELNS1_3gpuE8ELNS1_3repE0EEENS1_38merge_mergepath_config_static_selectorELNS0_4arch9wavefront6targetE1EEEvSH_,@function
_ZN7rocprim17ROCPRIM_400000_NS6detail17trampoline_kernelINS0_14default_configENS1_38merge_sort_block_merge_config_selectorIllEEZZNS1_27merge_sort_block_merge_implIS3_PlN6thrust23THRUST_200600_302600_NS10device_ptrIlEEjNS1_19radix_merge_compareILb0ELb1ElNS0_19identity_decomposerEEEEE10hipError_tT0_T1_T2_jT3_P12ihipStream_tbPNSt15iterator_traitsISG_E10value_typeEPNSM_ISH_E10value_typeEPSI_NS1_7vsmem_tEENKUlT_SG_SH_SI_E_clIS7_S7_S7_SB_EESF_SV_SG_SH_SI_EUlSV_E0_NS1_11comp_targetILNS1_3genE4ELNS1_11target_archE910ELNS1_3gpuE8ELNS1_3repE0EEENS1_38merge_mergepath_config_static_selectorELNS0_4arch9wavefront6targetE1EEEvSH_: ; @_ZN7rocprim17ROCPRIM_400000_NS6detail17trampoline_kernelINS0_14default_configENS1_38merge_sort_block_merge_config_selectorIllEEZZNS1_27merge_sort_block_merge_implIS3_PlN6thrust23THRUST_200600_302600_NS10device_ptrIlEEjNS1_19radix_merge_compareILb0ELb1ElNS0_19identity_decomposerEEEEE10hipError_tT0_T1_T2_jT3_P12ihipStream_tbPNSt15iterator_traitsISG_E10value_typeEPNSM_ISH_E10value_typeEPSI_NS1_7vsmem_tEENKUlT_SG_SH_SI_E_clIS7_S7_S7_SB_EESF_SV_SG_SH_SI_EUlSV_E0_NS1_11comp_targetILNS1_3genE4ELNS1_11target_archE910ELNS1_3gpuE8ELNS1_3repE0EEENS1_38merge_mergepath_config_static_selectorELNS0_4arch9wavefront6targetE1EEEvSH_
; %bb.0:
	s_load_dwordx2 s[26:27], s[4:5], 0x48
	s_load_dword s0, s[4:5], 0x30
	s_add_u32 s22, s4, 0x48
	s_addc_u32 s23, s5, 0
	s_waitcnt lgkmcnt(0)
	s_mul_i32 s1, s27, s8
	s_add_i32 s1, s1, s7
	s_mul_i32 s1, s1, s26
	s_add_i32 s24, s1, s6
	s_cmp_ge_u32 s24, s0
	s_cbranch_scc1 .LBB1077_39
; %bb.1:
	s_load_dwordx8 s[8:15], s[4:5], 0x10
	s_load_dwordx2 s[30:31], s[4:5], 0x8
	s_load_dwordx2 s[0:1], s[4:5], 0x40
	s_mov_b32 s25, 0
	v_mov_b32_e32 v3, 0
	s_waitcnt lgkmcnt(0)
	s_lshr_b32 s33, s14, 10
	s_cmp_lg_u32 s24, s33
	s_cselect_b64 s[18:19], -1, 0
	s_lshl_b64 s[2:3], s[24:25], 2
	s_add_u32 s0, s0, s2
	s_addc_u32 s1, s1, s3
	s_load_dwordx2 s[2:3], s[0:1], 0x0
	s_lshr_b32 s0, s15, 9
	s_and_b32 s0, s0, 0x7ffffe
	s_sub_i32 s1, 0, s0
	s_and_b32 s0, s24, s1
	s_lshl_b32 s7, s0, 10
	s_lshl_b32 s16, s24, 10
	;; [unrolled: 1-line block ×3, first 2 shown]
	s_sub_i32 s17, s16, s7
	s_add_i32 s20, s0, s15
	s_add_i32 s17, s20, s17
	s_waitcnt lgkmcnt(0)
	s_sub_i32 s0, s17, s2
	s_sub_i32 s17, s17, s3
	;; [unrolled: 1-line block ×3, first 2 shown]
	s_min_u32 s0, s14, s0
	s_addk_i32 s17, 0x400
	s_or_b32 s1, s24, s1
	s_min_u32 s20, s14, s7
	s_add_i32 s7, s7, s15
	s_cmp_eq_u32 s1, -1
	s_cselect_b32 s3, s20, s3
	s_cselect_b32 s1, s7, s17
	s_sub_i32 s15, s3, s2
	s_mov_b32 s3, s25
	s_min_u32 s17, s1, s14
	s_lshl_b64 s[2:3], s[2:3], 3
	s_add_u32 s28, s30, s2
	s_mov_b32 s1, s25
	s_addc_u32 s29, s31, s3
	s_lshl_b64 s[20:21], s[0:1], 3
	s_add_u32 s25, s30, s20
	s_addc_u32 s27, s31, s21
	s_cmp_lt_u32 s6, s26
	s_cselect_b32 s1, 12, 18
	global_load_dword v1, v3, s[22:23] offset:14
	s_add_u32 s6, s22, s1
	s_addc_u32 s7, s23, 0
	global_load_ushort v2, v3, s[6:7]
	s_cmp_eq_u32 s24, s33
	s_waitcnt vmcnt(1)
	v_lshrrev_b32_e32 v4, 16, v1
	v_and_b32_e32 v1, 0xffff, v1
	v_mul_lo_u32 v1, v1, v4
	s_waitcnt vmcnt(0)
	v_mul_lo_u32 v4, v1, v2
	v_lshlrev_b32_e32 v1, 3, v0
	v_add_u32_e32 v8, v4, v0
	s_cbranch_scc1 .LBB1077_3
; %bb.2:
	v_mov_b32_e32 v2, s29
	v_add_co_u32_e32 v5, vcc, s28, v1
	v_addc_co_u32_e32 v6, vcc, 0, v2, vcc
	v_subrev_u32_e32 v2, s15, v0
	v_lshlrev_b64 v[2:3], 3, v[2:3]
	v_mov_b32_e32 v7, s27
	v_add_co_u32_e32 v2, vcc, s25, v2
	v_addc_co_u32_e32 v3, vcc, v7, v3, vcc
	v_cmp_gt_u32_e32 vcc, s15, v0
	v_cndmask_b32_e32 v3, v3, v6, vcc
	v_cndmask_b32_e32 v2, v2, v5, vcc
	global_load_dwordx2 v[6:7], v[2:3], off
	v_add_u32_e32 v10, v4, v0
	s_mov_b64 s[6:7], -1
	s_sub_i32 s17, s17, s0
	s_cbranch_execz .LBB1077_4
	s_branch .LBB1077_7
.LBB1077_3:
	s_mov_b64 s[6:7], 0
                                        ; implicit-def: $vgpr6_vgpr7
                                        ; implicit-def: $vgpr10
	s_sub_i32 s17, s17, s0
.LBB1077_4:
	s_add_i32 s6, s17, s15
	v_cmp_gt_u32_e32 vcc, s6, v0
                                        ; implicit-def: $vgpr6_vgpr7
	s_and_saveexec_b64 s[0:1], vcc
	s_cbranch_execz .LBB1077_6
; %bb.5:
	v_mov_b32_e32 v2, s29
	v_add_co_u32_e32 v4, vcc, s28, v1
	v_mov_b32_e32 v3, 0
	v_addc_co_u32_e32 v5, vcc, 0, v2, vcc
	v_subrev_u32_e32 v2, s15, v0
	v_lshlrev_b64 v[2:3], 3, v[2:3]
	s_waitcnt vmcnt(0)
	v_mov_b32_e32 v6, s27
	v_add_co_u32_e32 v2, vcc, s25, v2
	v_addc_co_u32_e32 v3, vcc, v6, v3, vcc
	v_cmp_gt_u32_e32 vcc, s15, v0
	v_cndmask_b32_e32 v3, v3, v5, vcc
	v_cndmask_b32_e32 v2, v2, v4, vcc
	global_load_dwordx2 v[6:7], v[2:3], off
.LBB1077_6:
	s_or_b64 exec, exec, s[0:1]
	v_cmp_gt_u32_e64 s[6:7], s6, v8
	v_mov_b32_e32 v10, v8
.LBB1077_7:
	s_and_saveexec_b64 s[22:23], s[6:7]
                                        ; implicit-def: $vgpr2_vgpr3_vgpr4_vgpr5
	s_cbranch_execz .LBB1077_9
; %bb.8:
	v_mov_b32_e32 v11, 0
	v_lshlrev_b64 v[2:3], 3, v[10:11]
	v_mov_b32_e32 v4, s29
	v_add_co_u32_e32 v5, vcc, s28, v2
	v_addc_co_u32_e32 v4, vcc, v4, v3, vcc
	v_cmp_gt_u32_e32 vcc, s15, v10
	v_subrev_u32_e32 v10, s15, v10
	v_lshlrev_b64 v[2:3], 3, v[10:11]
	v_mov_b32_e32 v9, s27
	v_add_co_u32_e64 v2, s[0:1], s25, v2
	v_addc_co_u32_e64 v3, s[0:1], v9, v3, s[0:1]
	v_cndmask_b32_e32 v3, v3, v4, vcc
	v_cndmask_b32_e32 v2, v2, v5, vcc
	global_load_dwordx2 v[4:5], v[2:3], off
.LBB1077_9:
	s_or_b64 exec, exec, s[22:23]
	s_add_u32 s22, s10, s2
	s_addc_u32 s23, s11, s3
	s_add_u32 s6, s10, s20
	s_addc_u32 s7, s11, s21
	s_andn2_b64 vcc, exec, s[18:19]
	s_waitcnt vmcnt(0)
	ds_write2st64_b64 v1, v[6:7], v[4:5] offset1:8
	s_cbranch_vccnz .LBB1077_11
; %bb.10:
	v_mov_b32_e32 v11, 0
	v_mov_b32_e32 v2, s23
	v_add_co_u32_e32 v9, vcc, s22, v1
	v_subrev_u32_e32 v10, s15, v0
	v_addc_co_u32_e32 v12, vcc, 0, v2, vcc
	v_lshlrev_b64 v[2:3], 3, v[10:11]
	v_mov_b32_e32 v10, s7
	v_add_co_u32_e32 v2, vcc, s6, v2
	v_addc_co_u32_e32 v3, vcc, v10, v3, vcc
	v_cmp_gt_u32_e32 vcc, s15, v0
	v_cndmask_b32_e32 v2, v2, v9, vcc
	v_mov_b32_e32 v9, v11
	v_cndmask_b32_e32 v3, v3, v12, vcc
	v_lshlrev_b64 v[12:13], 3, v[8:9]
	v_mov_b32_e32 v9, s23
	v_add_co_u32_e32 v12, vcc, s22, v12
	v_subrev_u32_e32 v10, s15, v8
	v_addc_co_u32_e32 v9, vcc, v9, v13, vcc
	v_lshlrev_b64 v[10:11], 3, v[10:11]
	v_mov_b32_e32 v13, s7
	v_add_co_u32_e32 v10, vcc, s6, v10
	v_addc_co_u32_e32 v11, vcc, v13, v11, vcc
	v_cmp_gt_u32_e32 vcc, s15, v8
	v_cndmask_b32_e32 v11, v11, v9, vcc
	v_cndmask_b32_e32 v10, v10, v12, vcc
	global_load_dwordx2 v[2:3], v[2:3], off
	s_add_i32 s20, s17, s15
	global_load_dwordx2 v[10:11], v[10:11], off
	s_load_dwordx2 s[4:5], s[4:5], 0x38
	s_cbranch_execz .LBB1077_12
	s_branch .LBB1077_17
.LBB1077_11:
                                        ; implicit-def: $vgpr2_vgpr3
                                        ; implicit-def: $vgpr10_vgpr11
                                        ; implicit-def: $sgpr20
	s_load_dwordx2 s[4:5], s[4:5], 0x38
.LBB1077_12:
	s_add_i32 s20, s17, s15
	v_cmp_gt_u32_e32 vcc, s20, v0
                                        ; implicit-def: $vgpr2_vgpr3
	s_and_saveexec_b64 s[0:1], vcc
	s_cbranch_execz .LBB1077_14
; %bb.13:
	s_waitcnt vmcnt(1)
	v_mov_b32_e32 v2, s23
	v_add_co_u32_e32 v9, vcc, s22, v1
	v_mov_b32_e32 v3, 0
	s_waitcnt vmcnt(0)
	v_addc_co_u32_e32 v10, vcc, 0, v2, vcc
	v_subrev_u32_e32 v2, s15, v0
	v_lshlrev_b64 v[2:3], 3, v[2:3]
	v_mov_b32_e32 v11, s7
	v_add_co_u32_e32 v2, vcc, s6, v2
	v_addc_co_u32_e32 v3, vcc, v11, v3, vcc
	v_cmp_gt_u32_e32 vcc, s15, v0
	v_cndmask_b32_e32 v3, v3, v10, vcc
	v_cndmask_b32_e32 v2, v2, v9, vcc
	global_load_dwordx2 v[2:3], v[2:3], off
.LBB1077_14:
	s_or_b64 exec, exec, s[0:1]
	v_cmp_gt_u32_e32 vcc, s20, v8
                                        ; implicit-def: $vgpr10_vgpr11
	s_and_saveexec_b64 s[2:3], vcc
	s_cbranch_execz .LBB1077_16
; %bb.15:
	v_mov_b32_e32 v9, 0
	s_waitcnt vmcnt(0)
	v_lshlrev_b64 v[10:11], 3, v[8:9]
	v_mov_b32_e32 v12, s23
	v_add_co_u32_e32 v10, vcc, s22, v10
	v_addc_co_u32_e32 v11, vcc, v12, v11, vcc
	v_cmp_gt_u32_e32 vcc, s15, v8
	v_subrev_u32_e32 v8, s15, v8
	v_lshlrev_b64 v[8:9], 3, v[8:9]
	v_mov_b32_e32 v12, s7
	v_add_co_u32_e64 v8, s[0:1], s6, v8
	v_addc_co_u32_e64 v9, s[0:1], v12, v9, s[0:1]
	v_cndmask_b32_e32 v9, v9, v11, vcc
	v_cndmask_b32_e32 v8, v8, v10, vcc
	global_load_dwordx2 v[10:11], v[8:9], off
.LBB1077_16:
	s_or_b64 exec, exec, s[2:3]
.LBB1077_17:
	v_lshlrev_b32_e32 v12, 1, v0
	v_min_u32_e32 v8, s20, v12
	v_sub_u32_e64 v13, v8, s17 clamp
	v_min_u32_e32 v9, s15, v8
	v_cmp_lt_u32_e32 vcc, v13, v9
	s_waitcnt lgkmcnt(0)
	s_barrier
	s_and_saveexec_b64 s[0:1], vcc
	s_cbranch_execz .LBB1077_21
; %bb.18:
	v_lshlrev_b32_e32 v14, 3, v8
	v_lshl_add_u32 v14, s15, 3, v14
	s_mov_b64 s[2:3], 0
.LBB1077_19:                            ; =>This Inner Loop Header: Depth=1
	v_add_u32_e32 v15, v9, v13
	v_lshrrev_b32_e32 v15, 1, v15
	v_not_b32_e32 v18, v15
	v_lshlrev_b32_e32 v16, 3, v15
	v_lshl_add_u32 v18, v18, 3, v14
	ds_read_b64 v[16:17], v16
	ds_read_b64 v[18:19], v18
	v_add_u32_e32 v20, 1, v15
	s_waitcnt lgkmcnt(1)
	v_and_b32_e32 v17, s5, v17
	v_and_b32_e32 v16, s4, v16
	s_waitcnt lgkmcnt(0)
	v_and_b32_e32 v19, s5, v19
	v_and_b32_e32 v18, s4, v18
	v_cmp_gt_i64_e32 vcc, v[16:17], v[18:19]
	v_cndmask_b32_e32 v9, v9, v15, vcc
	v_cndmask_b32_e32 v13, v20, v13, vcc
	v_cmp_ge_u32_e32 vcc, v13, v9
	s_or_b64 s[2:3], vcc, s[2:3]
	s_andn2_b64 exec, exec, s[2:3]
	s_cbranch_execnz .LBB1077_19
; %bb.20:
	s_or_b64 exec, exec, s[2:3]
.LBB1077_21:
	s_or_b64 exec, exec, s[0:1]
	v_sub_u32_e32 v8, v8, v13
	v_add_u32_e32 v14, s15, v8
	v_cmp_ge_u32_e32 vcc, s15, v13
	v_cmp_ge_u32_e64 s[0:1], s20, v14
	s_or_b64 s[0:1], vcc, s[0:1]
                                        ; implicit-def: $vgpr8
                                        ; implicit-def: $vgpr15
	s_and_saveexec_b64 s[6:7], s[0:1]
	s_cbranch_execz .LBB1077_27
; %bb.22:
	v_cmp_gt_u32_e32 vcc, s15, v13
                                        ; implicit-def: $vgpr4_vgpr5
	s_and_saveexec_b64 s[0:1], vcc
	s_cbranch_execz .LBB1077_24
; %bb.23:
	v_lshlrev_b32_e32 v4, 3, v13
	ds_read_b64 v[4:5], v4
.LBB1077_24:
	s_or_b64 exec, exec, s[0:1]
	v_cmp_le_u32_e64 s[0:1], s20, v14
	v_cmp_gt_u32_e64 s[2:3], s20, v14
                                        ; implicit-def: $vgpr8_vgpr9
	s_and_saveexec_b64 s[10:11], s[2:3]
	s_cbranch_execz .LBB1077_26
; %bb.25:
	v_lshlrev_b32_e32 v6, 3, v14
	ds_read_b64 v[8:9], v6
.LBB1077_26:
	s_or_b64 exec, exec, s[10:11]
	s_waitcnt lgkmcnt(0)
	v_and_b32_e32 v7, s5, v9
	v_and_b32_e32 v6, s4, v8
	;; [unrolled: 1-line block ×4, first 2 shown]
	v_cmp_le_i64_e64 s[2:3], v[16:17], v[6:7]
	s_and_b64 s[2:3], vcc, s[2:3]
	s_or_b64 vcc, s[0:1], s[2:3]
	v_mov_b32_e32 v6, s20
	v_mov_b32_e32 v7, s15
	v_cndmask_b32_e32 v15, v14, v13, vcc
	v_cndmask_b32_e32 v6, v6, v7, vcc
	v_add_u32_e32 v18, 1, v15
	v_add_u32_e32 v6, -1, v6
	v_min_u32_e32 v6, v18, v6
	v_lshlrev_b32_e32 v6, 3, v6
	ds_read_b64 v[16:17], v6
	v_cndmask_b32_e32 v7, v9, v5, vcc
	v_cndmask_b32_e32 v6, v8, v4, vcc
	;; [unrolled: 1-line block ×4, first 2 shown]
	s_waitcnt lgkmcnt(0)
	v_cndmask_b32_e32 v19, v17, v9, vcc
	v_cndmask_b32_e32 v20, v16, v8, vcc
	;; [unrolled: 1-line block ×4, first 2 shown]
	v_and_b32_e32 v5, s5, v19
	v_and_b32_e32 v4, s4, v20
	;; [unrolled: 1-line block ×4, first 2 shown]
	v_cmp_gt_u32_e64 s[0:1], s15, v13
	v_cmp_le_i64_e64 s[2:3], v[8:9], v[4:5]
	v_cmp_le_u32_e32 vcc, s20, v14
	s_and_b64 s[0:1], s[0:1], s[2:3]
	s_or_b64 vcc, vcc, s[0:1]
	v_cndmask_b32_e32 v8, v14, v13, vcc
	v_cndmask_b32_e32 v5, v19, v17, vcc
	;; [unrolled: 1-line block ×3, first 2 shown]
.LBB1077_27:
	s_or_b64 exec, exec, s[6:7]
	s_barrier
	s_waitcnt vmcnt(0)
	ds_write2st64_b64 v1, v[2:3], v[10:11] offset1:8
	v_lshrrev_b32_e32 v10, 1, v0
	v_and_b32_e32 v10, 0xf8, v10
	v_lshlrev_b32_e32 v2, 3, v15
	v_lshlrev_b32_e32 v8, 3, v8
	v_lshl_add_u32 v11, v12, 3, v10
	s_waitcnt lgkmcnt(0)
	s_barrier
	ds_read_b64 v[2:3], v2
	ds_read_b64 v[8:9], v8
	s_waitcnt lgkmcnt(0)
	s_barrier
	s_barrier
	s_mov_b32 s17, 0
	ds_write2_b64 v11, v[6:7], v[4:5] offset1:1
	v_lshrrev_b32_e32 v4, 2, v0
	s_lshl_b64 s[2:3], s[16:17], 3
	v_and_b32_e32 v4, 0x78, v4
	v_or_b32_e32 v13, 0x200, v0
	s_add_u32 s0, s8, s2
	v_add_u32_e32 v10, v1, v4
	v_lshrrev_b32_e32 v4, 2, v13
	s_addc_u32 s1, s9, s3
	v_and_b32_e32 v4, 0xf8, v4
	v_add_u32_e32 v12, v1, v4
	v_mov_b32_e32 v5, s1
	v_add_co_u32_e32 v4, vcc, s0, v1
	v_addc_co_u32_e32 v5, vcc, 0, v5, vcc
	s_and_b64 vcc, exec, s[18:19]
	s_waitcnt lgkmcnt(0)
	s_cbranch_vccz .LBB1077_29
; %bb.28:
	s_barrier
	ds_read_b64 v[6:7], v10
	ds_read_b64 v[14:15], v12 offset:4096
	s_add_u32 s0, s12, s2
	s_addc_u32 s1, s13, s3
	s_mov_b64 s[4:5], -1
	s_waitcnt lgkmcnt(1)
	global_store_dwordx2 v[4:5], v[6:7], off
	v_add_co_u32_e32 v6, vcc, 0x1000, v4
	v_addc_co_u32_e32 v7, vcc, 0, v5, vcc
	s_waitcnt lgkmcnt(0)
	global_store_dwordx2 v[6:7], v[14:15], off
	s_barrier
	ds_write2_b64 v11, v[2:3], v[8:9] offset1:1
	s_waitcnt lgkmcnt(0)
	s_barrier
	ds_read_b64 v[14:15], v10
	ds_read_b64 v[6:7], v12 offset:4096
	s_waitcnt lgkmcnt(1)
	global_store_dwordx2 v1, v[14:15], s[0:1]
	s_cbranch_execz .LBB1077_30
	s_branch .LBB1077_37
.LBB1077_29:
	s_mov_b64 s[4:5], 0
                                        ; implicit-def: $vgpr6_vgpr7
.LBB1077_30:
	s_barrier
	s_waitcnt lgkmcnt(0)
	ds_read_b64 v[6:7], v12 offset:4096
	s_sub_i32 s6, s14, s16
	v_cmp_gt_u32_e64 s[0:1], s6, v0
	s_and_saveexec_b64 s[4:5], s[0:1]
	s_cbranch_execz .LBB1077_32
; %bb.31:
	ds_read_b64 v[14:15], v10
	s_waitcnt lgkmcnt(0)
	global_store_dwordx2 v[4:5], v[14:15], off
.LBB1077_32:
	s_or_b64 exec, exec, s[4:5]
	v_cmp_gt_u32_e64 s[4:5], s6, v13
	s_and_saveexec_b64 s[6:7], s[4:5]
	s_cbranch_execz .LBB1077_34
; %bb.33:
	v_add_co_u32_e32 v4, vcc, 0x1000, v4
	v_addc_co_u32_e32 v5, vcc, 0, v5, vcc
	s_waitcnt lgkmcnt(0)
	global_store_dwordx2 v[4:5], v[6:7], off
.LBB1077_34:
	s_or_b64 exec, exec, s[6:7]
	s_waitcnt lgkmcnt(0)
	s_barrier
	ds_write2_b64 v11, v[2:3], v[8:9] offset1:1
	s_waitcnt lgkmcnt(0)
	s_barrier
	ds_read_b64 v[6:7], v12 offset:4096
	s_and_saveexec_b64 s[6:7], s[0:1]
	s_cbranch_execz .LBB1077_36
; %bb.35:
	ds_read_b64 v[2:3], v10
	s_add_u32 s0, s12, s2
	s_addc_u32 s1, s13, s3
	s_waitcnt lgkmcnt(0)
	global_store_dwordx2 v1, v[2:3], s[0:1]
.LBB1077_36:
	s_or_b64 exec, exec, s[6:7]
.LBB1077_37:
	s_and_saveexec_b64 s[0:1], s[4:5]
	s_cbranch_execz .LBB1077_39
; %bb.38:
	s_add_u32 s0, s12, s2
	s_addc_u32 s1, s13, s3
	v_mov_b32_e32 v0, s1
	v_add_co_u32_e32 v1, vcc, s0, v1
	v_addc_co_u32_e32 v2, vcc, 0, v0, vcc
	v_add_co_u32_e32 v0, vcc, 0x1000, v1
	v_addc_co_u32_e32 v1, vcc, 0, v2, vcc
	s_waitcnt lgkmcnt(0)
	global_store_dwordx2 v[0:1], v[6:7], off
.LBB1077_39:
	s_endpgm
	.section	.rodata,"a",@progbits
	.p2align	6, 0x0
	.amdhsa_kernel _ZN7rocprim17ROCPRIM_400000_NS6detail17trampoline_kernelINS0_14default_configENS1_38merge_sort_block_merge_config_selectorIllEEZZNS1_27merge_sort_block_merge_implIS3_PlN6thrust23THRUST_200600_302600_NS10device_ptrIlEEjNS1_19radix_merge_compareILb0ELb1ElNS0_19identity_decomposerEEEEE10hipError_tT0_T1_T2_jT3_P12ihipStream_tbPNSt15iterator_traitsISG_E10value_typeEPNSM_ISH_E10value_typeEPSI_NS1_7vsmem_tEENKUlT_SG_SH_SI_E_clIS7_S7_S7_SB_EESF_SV_SG_SH_SI_EUlSV_E0_NS1_11comp_targetILNS1_3genE4ELNS1_11target_archE910ELNS1_3gpuE8ELNS1_3repE0EEENS1_38merge_mergepath_config_static_selectorELNS0_4arch9wavefront6targetE1EEEvSH_
		.amdhsa_group_segment_fixed_size 8448
		.amdhsa_private_segment_fixed_size 0
		.amdhsa_kernarg_size 328
		.amdhsa_user_sgpr_count 6
		.amdhsa_user_sgpr_private_segment_buffer 1
		.amdhsa_user_sgpr_dispatch_ptr 0
		.amdhsa_user_sgpr_queue_ptr 0
		.amdhsa_user_sgpr_kernarg_segment_ptr 1
		.amdhsa_user_sgpr_dispatch_id 0
		.amdhsa_user_sgpr_flat_scratch_init 0
		.amdhsa_user_sgpr_kernarg_preload_length 0
		.amdhsa_user_sgpr_kernarg_preload_offset 0
		.amdhsa_user_sgpr_private_segment_size 0
		.amdhsa_uses_dynamic_stack 0
		.amdhsa_system_sgpr_private_segment_wavefront_offset 0
		.amdhsa_system_sgpr_workgroup_id_x 1
		.amdhsa_system_sgpr_workgroup_id_y 1
		.amdhsa_system_sgpr_workgroup_id_z 1
		.amdhsa_system_sgpr_workgroup_info 0
		.amdhsa_system_vgpr_workitem_id 0
		.amdhsa_next_free_vgpr 21
		.amdhsa_next_free_sgpr 34
		.amdhsa_accum_offset 24
		.amdhsa_reserve_vcc 1
		.amdhsa_reserve_flat_scratch 0
		.amdhsa_float_round_mode_32 0
		.amdhsa_float_round_mode_16_64 0
		.amdhsa_float_denorm_mode_32 3
		.amdhsa_float_denorm_mode_16_64 3
		.amdhsa_dx10_clamp 1
		.amdhsa_ieee_mode 1
		.amdhsa_fp16_overflow 0
		.amdhsa_tg_split 0
		.amdhsa_exception_fp_ieee_invalid_op 0
		.amdhsa_exception_fp_denorm_src 0
		.amdhsa_exception_fp_ieee_div_zero 0
		.amdhsa_exception_fp_ieee_overflow 0
		.amdhsa_exception_fp_ieee_underflow 0
		.amdhsa_exception_fp_ieee_inexact 0
		.amdhsa_exception_int_div_zero 0
	.end_amdhsa_kernel
	.section	.text._ZN7rocprim17ROCPRIM_400000_NS6detail17trampoline_kernelINS0_14default_configENS1_38merge_sort_block_merge_config_selectorIllEEZZNS1_27merge_sort_block_merge_implIS3_PlN6thrust23THRUST_200600_302600_NS10device_ptrIlEEjNS1_19radix_merge_compareILb0ELb1ElNS0_19identity_decomposerEEEEE10hipError_tT0_T1_T2_jT3_P12ihipStream_tbPNSt15iterator_traitsISG_E10value_typeEPNSM_ISH_E10value_typeEPSI_NS1_7vsmem_tEENKUlT_SG_SH_SI_E_clIS7_S7_S7_SB_EESF_SV_SG_SH_SI_EUlSV_E0_NS1_11comp_targetILNS1_3genE4ELNS1_11target_archE910ELNS1_3gpuE8ELNS1_3repE0EEENS1_38merge_mergepath_config_static_selectorELNS0_4arch9wavefront6targetE1EEEvSH_,"axG",@progbits,_ZN7rocprim17ROCPRIM_400000_NS6detail17trampoline_kernelINS0_14default_configENS1_38merge_sort_block_merge_config_selectorIllEEZZNS1_27merge_sort_block_merge_implIS3_PlN6thrust23THRUST_200600_302600_NS10device_ptrIlEEjNS1_19radix_merge_compareILb0ELb1ElNS0_19identity_decomposerEEEEE10hipError_tT0_T1_T2_jT3_P12ihipStream_tbPNSt15iterator_traitsISG_E10value_typeEPNSM_ISH_E10value_typeEPSI_NS1_7vsmem_tEENKUlT_SG_SH_SI_E_clIS7_S7_S7_SB_EESF_SV_SG_SH_SI_EUlSV_E0_NS1_11comp_targetILNS1_3genE4ELNS1_11target_archE910ELNS1_3gpuE8ELNS1_3repE0EEENS1_38merge_mergepath_config_static_selectorELNS0_4arch9wavefront6targetE1EEEvSH_,comdat
.Lfunc_end1077:
	.size	_ZN7rocprim17ROCPRIM_400000_NS6detail17trampoline_kernelINS0_14default_configENS1_38merge_sort_block_merge_config_selectorIllEEZZNS1_27merge_sort_block_merge_implIS3_PlN6thrust23THRUST_200600_302600_NS10device_ptrIlEEjNS1_19radix_merge_compareILb0ELb1ElNS0_19identity_decomposerEEEEE10hipError_tT0_T1_T2_jT3_P12ihipStream_tbPNSt15iterator_traitsISG_E10value_typeEPNSM_ISH_E10value_typeEPSI_NS1_7vsmem_tEENKUlT_SG_SH_SI_E_clIS7_S7_S7_SB_EESF_SV_SG_SH_SI_EUlSV_E0_NS1_11comp_targetILNS1_3genE4ELNS1_11target_archE910ELNS1_3gpuE8ELNS1_3repE0EEENS1_38merge_mergepath_config_static_selectorELNS0_4arch9wavefront6targetE1EEEvSH_, .Lfunc_end1077-_ZN7rocprim17ROCPRIM_400000_NS6detail17trampoline_kernelINS0_14default_configENS1_38merge_sort_block_merge_config_selectorIllEEZZNS1_27merge_sort_block_merge_implIS3_PlN6thrust23THRUST_200600_302600_NS10device_ptrIlEEjNS1_19radix_merge_compareILb0ELb1ElNS0_19identity_decomposerEEEEE10hipError_tT0_T1_T2_jT3_P12ihipStream_tbPNSt15iterator_traitsISG_E10value_typeEPNSM_ISH_E10value_typeEPSI_NS1_7vsmem_tEENKUlT_SG_SH_SI_E_clIS7_S7_S7_SB_EESF_SV_SG_SH_SI_EUlSV_E0_NS1_11comp_targetILNS1_3genE4ELNS1_11target_archE910ELNS1_3gpuE8ELNS1_3repE0EEENS1_38merge_mergepath_config_static_selectorELNS0_4arch9wavefront6targetE1EEEvSH_
                                        ; -- End function
	.section	.AMDGPU.csdata,"",@progbits
; Kernel info:
; codeLenInByte = 1944
; NumSgprs: 38
; NumVgprs: 21
; NumAgprs: 0
; TotalNumVgprs: 21
; ScratchSize: 0
; MemoryBound: 0
; FloatMode: 240
; IeeeMode: 1
; LDSByteSize: 8448 bytes/workgroup (compile time only)
; SGPRBlocks: 4
; VGPRBlocks: 2
; NumSGPRsForWavesPerEU: 38
; NumVGPRsForWavesPerEU: 21
; AccumOffset: 24
; Occupancy: 8
; WaveLimiterHint : 1
; COMPUTE_PGM_RSRC2:SCRATCH_EN: 0
; COMPUTE_PGM_RSRC2:USER_SGPR: 6
; COMPUTE_PGM_RSRC2:TRAP_HANDLER: 0
; COMPUTE_PGM_RSRC2:TGID_X_EN: 1
; COMPUTE_PGM_RSRC2:TGID_Y_EN: 1
; COMPUTE_PGM_RSRC2:TGID_Z_EN: 1
; COMPUTE_PGM_RSRC2:TIDIG_COMP_CNT: 0
; COMPUTE_PGM_RSRC3_GFX90A:ACCUM_OFFSET: 5
; COMPUTE_PGM_RSRC3_GFX90A:TG_SPLIT: 0
	.section	.text._ZN7rocprim17ROCPRIM_400000_NS6detail17trampoline_kernelINS0_14default_configENS1_38merge_sort_block_merge_config_selectorIllEEZZNS1_27merge_sort_block_merge_implIS3_PlN6thrust23THRUST_200600_302600_NS10device_ptrIlEEjNS1_19radix_merge_compareILb0ELb1ElNS0_19identity_decomposerEEEEE10hipError_tT0_T1_T2_jT3_P12ihipStream_tbPNSt15iterator_traitsISG_E10value_typeEPNSM_ISH_E10value_typeEPSI_NS1_7vsmem_tEENKUlT_SG_SH_SI_E_clIS7_S7_S7_SB_EESF_SV_SG_SH_SI_EUlSV_E0_NS1_11comp_targetILNS1_3genE3ELNS1_11target_archE908ELNS1_3gpuE7ELNS1_3repE0EEENS1_38merge_mergepath_config_static_selectorELNS0_4arch9wavefront6targetE1EEEvSH_,"axG",@progbits,_ZN7rocprim17ROCPRIM_400000_NS6detail17trampoline_kernelINS0_14default_configENS1_38merge_sort_block_merge_config_selectorIllEEZZNS1_27merge_sort_block_merge_implIS3_PlN6thrust23THRUST_200600_302600_NS10device_ptrIlEEjNS1_19radix_merge_compareILb0ELb1ElNS0_19identity_decomposerEEEEE10hipError_tT0_T1_T2_jT3_P12ihipStream_tbPNSt15iterator_traitsISG_E10value_typeEPNSM_ISH_E10value_typeEPSI_NS1_7vsmem_tEENKUlT_SG_SH_SI_E_clIS7_S7_S7_SB_EESF_SV_SG_SH_SI_EUlSV_E0_NS1_11comp_targetILNS1_3genE3ELNS1_11target_archE908ELNS1_3gpuE7ELNS1_3repE0EEENS1_38merge_mergepath_config_static_selectorELNS0_4arch9wavefront6targetE1EEEvSH_,comdat
	.protected	_ZN7rocprim17ROCPRIM_400000_NS6detail17trampoline_kernelINS0_14default_configENS1_38merge_sort_block_merge_config_selectorIllEEZZNS1_27merge_sort_block_merge_implIS3_PlN6thrust23THRUST_200600_302600_NS10device_ptrIlEEjNS1_19radix_merge_compareILb0ELb1ElNS0_19identity_decomposerEEEEE10hipError_tT0_T1_T2_jT3_P12ihipStream_tbPNSt15iterator_traitsISG_E10value_typeEPNSM_ISH_E10value_typeEPSI_NS1_7vsmem_tEENKUlT_SG_SH_SI_E_clIS7_S7_S7_SB_EESF_SV_SG_SH_SI_EUlSV_E0_NS1_11comp_targetILNS1_3genE3ELNS1_11target_archE908ELNS1_3gpuE7ELNS1_3repE0EEENS1_38merge_mergepath_config_static_selectorELNS0_4arch9wavefront6targetE1EEEvSH_ ; -- Begin function _ZN7rocprim17ROCPRIM_400000_NS6detail17trampoline_kernelINS0_14default_configENS1_38merge_sort_block_merge_config_selectorIllEEZZNS1_27merge_sort_block_merge_implIS3_PlN6thrust23THRUST_200600_302600_NS10device_ptrIlEEjNS1_19radix_merge_compareILb0ELb1ElNS0_19identity_decomposerEEEEE10hipError_tT0_T1_T2_jT3_P12ihipStream_tbPNSt15iterator_traitsISG_E10value_typeEPNSM_ISH_E10value_typeEPSI_NS1_7vsmem_tEENKUlT_SG_SH_SI_E_clIS7_S7_S7_SB_EESF_SV_SG_SH_SI_EUlSV_E0_NS1_11comp_targetILNS1_3genE3ELNS1_11target_archE908ELNS1_3gpuE7ELNS1_3repE0EEENS1_38merge_mergepath_config_static_selectorELNS0_4arch9wavefront6targetE1EEEvSH_
	.globl	_ZN7rocprim17ROCPRIM_400000_NS6detail17trampoline_kernelINS0_14default_configENS1_38merge_sort_block_merge_config_selectorIllEEZZNS1_27merge_sort_block_merge_implIS3_PlN6thrust23THRUST_200600_302600_NS10device_ptrIlEEjNS1_19radix_merge_compareILb0ELb1ElNS0_19identity_decomposerEEEEE10hipError_tT0_T1_T2_jT3_P12ihipStream_tbPNSt15iterator_traitsISG_E10value_typeEPNSM_ISH_E10value_typeEPSI_NS1_7vsmem_tEENKUlT_SG_SH_SI_E_clIS7_S7_S7_SB_EESF_SV_SG_SH_SI_EUlSV_E0_NS1_11comp_targetILNS1_3genE3ELNS1_11target_archE908ELNS1_3gpuE7ELNS1_3repE0EEENS1_38merge_mergepath_config_static_selectorELNS0_4arch9wavefront6targetE1EEEvSH_
	.p2align	8
	.type	_ZN7rocprim17ROCPRIM_400000_NS6detail17trampoline_kernelINS0_14default_configENS1_38merge_sort_block_merge_config_selectorIllEEZZNS1_27merge_sort_block_merge_implIS3_PlN6thrust23THRUST_200600_302600_NS10device_ptrIlEEjNS1_19radix_merge_compareILb0ELb1ElNS0_19identity_decomposerEEEEE10hipError_tT0_T1_T2_jT3_P12ihipStream_tbPNSt15iterator_traitsISG_E10value_typeEPNSM_ISH_E10value_typeEPSI_NS1_7vsmem_tEENKUlT_SG_SH_SI_E_clIS7_S7_S7_SB_EESF_SV_SG_SH_SI_EUlSV_E0_NS1_11comp_targetILNS1_3genE3ELNS1_11target_archE908ELNS1_3gpuE7ELNS1_3repE0EEENS1_38merge_mergepath_config_static_selectorELNS0_4arch9wavefront6targetE1EEEvSH_,@function
_ZN7rocprim17ROCPRIM_400000_NS6detail17trampoline_kernelINS0_14default_configENS1_38merge_sort_block_merge_config_selectorIllEEZZNS1_27merge_sort_block_merge_implIS3_PlN6thrust23THRUST_200600_302600_NS10device_ptrIlEEjNS1_19radix_merge_compareILb0ELb1ElNS0_19identity_decomposerEEEEE10hipError_tT0_T1_T2_jT3_P12ihipStream_tbPNSt15iterator_traitsISG_E10value_typeEPNSM_ISH_E10value_typeEPSI_NS1_7vsmem_tEENKUlT_SG_SH_SI_E_clIS7_S7_S7_SB_EESF_SV_SG_SH_SI_EUlSV_E0_NS1_11comp_targetILNS1_3genE3ELNS1_11target_archE908ELNS1_3gpuE7ELNS1_3repE0EEENS1_38merge_mergepath_config_static_selectorELNS0_4arch9wavefront6targetE1EEEvSH_: ; @_ZN7rocprim17ROCPRIM_400000_NS6detail17trampoline_kernelINS0_14default_configENS1_38merge_sort_block_merge_config_selectorIllEEZZNS1_27merge_sort_block_merge_implIS3_PlN6thrust23THRUST_200600_302600_NS10device_ptrIlEEjNS1_19radix_merge_compareILb0ELb1ElNS0_19identity_decomposerEEEEE10hipError_tT0_T1_T2_jT3_P12ihipStream_tbPNSt15iterator_traitsISG_E10value_typeEPNSM_ISH_E10value_typeEPSI_NS1_7vsmem_tEENKUlT_SG_SH_SI_E_clIS7_S7_S7_SB_EESF_SV_SG_SH_SI_EUlSV_E0_NS1_11comp_targetILNS1_3genE3ELNS1_11target_archE908ELNS1_3gpuE7ELNS1_3repE0EEENS1_38merge_mergepath_config_static_selectorELNS0_4arch9wavefront6targetE1EEEvSH_
; %bb.0:
	.section	.rodata,"a",@progbits
	.p2align	6, 0x0
	.amdhsa_kernel _ZN7rocprim17ROCPRIM_400000_NS6detail17trampoline_kernelINS0_14default_configENS1_38merge_sort_block_merge_config_selectorIllEEZZNS1_27merge_sort_block_merge_implIS3_PlN6thrust23THRUST_200600_302600_NS10device_ptrIlEEjNS1_19radix_merge_compareILb0ELb1ElNS0_19identity_decomposerEEEEE10hipError_tT0_T1_T2_jT3_P12ihipStream_tbPNSt15iterator_traitsISG_E10value_typeEPNSM_ISH_E10value_typeEPSI_NS1_7vsmem_tEENKUlT_SG_SH_SI_E_clIS7_S7_S7_SB_EESF_SV_SG_SH_SI_EUlSV_E0_NS1_11comp_targetILNS1_3genE3ELNS1_11target_archE908ELNS1_3gpuE7ELNS1_3repE0EEENS1_38merge_mergepath_config_static_selectorELNS0_4arch9wavefront6targetE1EEEvSH_
		.amdhsa_group_segment_fixed_size 0
		.amdhsa_private_segment_fixed_size 0
		.amdhsa_kernarg_size 72
		.amdhsa_user_sgpr_count 6
		.amdhsa_user_sgpr_private_segment_buffer 1
		.amdhsa_user_sgpr_dispatch_ptr 0
		.amdhsa_user_sgpr_queue_ptr 0
		.amdhsa_user_sgpr_kernarg_segment_ptr 1
		.amdhsa_user_sgpr_dispatch_id 0
		.amdhsa_user_sgpr_flat_scratch_init 0
		.amdhsa_user_sgpr_kernarg_preload_length 0
		.amdhsa_user_sgpr_kernarg_preload_offset 0
		.amdhsa_user_sgpr_private_segment_size 0
		.amdhsa_uses_dynamic_stack 0
		.amdhsa_system_sgpr_private_segment_wavefront_offset 0
		.amdhsa_system_sgpr_workgroup_id_x 1
		.amdhsa_system_sgpr_workgroup_id_y 0
		.amdhsa_system_sgpr_workgroup_id_z 0
		.amdhsa_system_sgpr_workgroup_info 0
		.amdhsa_system_vgpr_workitem_id 0
		.amdhsa_next_free_vgpr 1
		.amdhsa_next_free_sgpr 0
		.amdhsa_accum_offset 4
		.amdhsa_reserve_vcc 0
		.amdhsa_reserve_flat_scratch 0
		.amdhsa_float_round_mode_32 0
		.amdhsa_float_round_mode_16_64 0
		.amdhsa_float_denorm_mode_32 3
		.amdhsa_float_denorm_mode_16_64 3
		.amdhsa_dx10_clamp 1
		.amdhsa_ieee_mode 1
		.amdhsa_fp16_overflow 0
		.amdhsa_tg_split 0
		.amdhsa_exception_fp_ieee_invalid_op 0
		.amdhsa_exception_fp_denorm_src 0
		.amdhsa_exception_fp_ieee_div_zero 0
		.amdhsa_exception_fp_ieee_overflow 0
		.amdhsa_exception_fp_ieee_underflow 0
		.amdhsa_exception_fp_ieee_inexact 0
		.amdhsa_exception_int_div_zero 0
	.end_amdhsa_kernel
	.section	.text._ZN7rocprim17ROCPRIM_400000_NS6detail17trampoline_kernelINS0_14default_configENS1_38merge_sort_block_merge_config_selectorIllEEZZNS1_27merge_sort_block_merge_implIS3_PlN6thrust23THRUST_200600_302600_NS10device_ptrIlEEjNS1_19radix_merge_compareILb0ELb1ElNS0_19identity_decomposerEEEEE10hipError_tT0_T1_T2_jT3_P12ihipStream_tbPNSt15iterator_traitsISG_E10value_typeEPNSM_ISH_E10value_typeEPSI_NS1_7vsmem_tEENKUlT_SG_SH_SI_E_clIS7_S7_S7_SB_EESF_SV_SG_SH_SI_EUlSV_E0_NS1_11comp_targetILNS1_3genE3ELNS1_11target_archE908ELNS1_3gpuE7ELNS1_3repE0EEENS1_38merge_mergepath_config_static_selectorELNS0_4arch9wavefront6targetE1EEEvSH_,"axG",@progbits,_ZN7rocprim17ROCPRIM_400000_NS6detail17trampoline_kernelINS0_14default_configENS1_38merge_sort_block_merge_config_selectorIllEEZZNS1_27merge_sort_block_merge_implIS3_PlN6thrust23THRUST_200600_302600_NS10device_ptrIlEEjNS1_19radix_merge_compareILb0ELb1ElNS0_19identity_decomposerEEEEE10hipError_tT0_T1_T2_jT3_P12ihipStream_tbPNSt15iterator_traitsISG_E10value_typeEPNSM_ISH_E10value_typeEPSI_NS1_7vsmem_tEENKUlT_SG_SH_SI_E_clIS7_S7_S7_SB_EESF_SV_SG_SH_SI_EUlSV_E0_NS1_11comp_targetILNS1_3genE3ELNS1_11target_archE908ELNS1_3gpuE7ELNS1_3repE0EEENS1_38merge_mergepath_config_static_selectorELNS0_4arch9wavefront6targetE1EEEvSH_,comdat
.Lfunc_end1078:
	.size	_ZN7rocprim17ROCPRIM_400000_NS6detail17trampoline_kernelINS0_14default_configENS1_38merge_sort_block_merge_config_selectorIllEEZZNS1_27merge_sort_block_merge_implIS3_PlN6thrust23THRUST_200600_302600_NS10device_ptrIlEEjNS1_19radix_merge_compareILb0ELb1ElNS0_19identity_decomposerEEEEE10hipError_tT0_T1_T2_jT3_P12ihipStream_tbPNSt15iterator_traitsISG_E10value_typeEPNSM_ISH_E10value_typeEPSI_NS1_7vsmem_tEENKUlT_SG_SH_SI_E_clIS7_S7_S7_SB_EESF_SV_SG_SH_SI_EUlSV_E0_NS1_11comp_targetILNS1_3genE3ELNS1_11target_archE908ELNS1_3gpuE7ELNS1_3repE0EEENS1_38merge_mergepath_config_static_selectorELNS0_4arch9wavefront6targetE1EEEvSH_, .Lfunc_end1078-_ZN7rocprim17ROCPRIM_400000_NS6detail17trampoline_kernelINS0_14default_configENS1_38merge_sort_block_merge_config_selectorIllEEZZNS1_27merge_sort_block_merge_implIS3_PlN6thrust23THRUST_200600_302600_NS10device_ptrIlEEjNS1_19radix_merge_compareILb0ELb1ElNS0_19identity_decomposerEEEEE10hipError_tT0_T1_T2_jT3_P12ihipStream_tbPNSt15iterator_traitsISG_E10value_typeEPNSM_ISH_E10value_typeEPSI_NS1_7vsmem_tEENKUlT_SG_SH_SI_E_clIS7_S7_S7_SB_EESF_SV_SG_SH_SI_EUlSV_E0_NS1_11comp_targetILNS1_3genE3ELNS1_11target_archE908ELNS1_3gpuE7ELNS1_3repE0EEENS1_38merge_mergepath_config_static_selectorELNS0_4arch9wavefront6targetE1EEEvSH_
                                        ; -- End function
	.section	.AMDGPU.csdata,"",@progbits
; Kernel info:
; codeLenInByte = 0
; NumSgprs: 4
; NumVgprs: 0
; NumAgprs: 0
; TotalNumVgprs: 0
; ScratchSize: 0
; MemoryBound: 0
; FloatMode: 240
; IeeeMode: 1
; LDSByteSize: 0 bytes/workgroup (compile time only)
; SGPRBlocks: 0
; VGPRBlocks: 0
; NumSGPRsForWavesPerEU: 4
; NumVGPRsForWavesPerEU: 1
; AccumOffset: 4
; Occupancy: 8
; WaveLimiterHint : 0
; COMPUTE_PGM_RSRC2:SCRATCH_EN: 0
; COMPUTE_PGM_RSRC2:USER_SGPR: 6
; COMPUTE_PGM_RSRC2:TRAP_HANDLER: 0
; COMPUTE_PGM_RSRC2:TGID_X_EN: 1
; COMPUTE_PGM_RSRC2:TGID_Y_EN: 0
; COMPUTE_PGM_RSRC2:TGID_Z_EN: 0
; COMPUTE_PGM_RSRC2:TIDIG_COMP_CNT: 0
; COMPUTE_PGM_RSRC3_GFX90A:ACCUM_OFFSET: 0
; COMPUTE_PGM_RSRC3_GFX90A:TG_SPLIT: 0
	.section	.text._ZN7rocprim17ROCPRIM_400000_NS6detail17trampoline_kernelINS0_14default_configENS1_38merge_sort_block_merge_config_selectorIllEEZZNS1_27merge_sort_block_merge_implIS3_PlN6thrust23THRUST_200600_302600_NS10device_ptrIlEEjNS1_19radix_merge_compareILb0ELb1ElNS0_19identity_decomposerEEEEE10hipError_tT0_T1_T2_jT3_P12ihipStream_tbPNSt15iterator_traitsISG_E10value_typeEPNSM_ISH_E10value_typeEPSI_NS1_7vsmem_tEENKUlT_SG_SH_SI_E_clIS7_S7_S7_SB_EESF_SV_SG_SH_SI_EUlSV_E0_NS1_11comp_targetILNS1_3genE2ELNS1_11target_archE906ELNS1_3gpuE6ELNS1_3repE0EEENS1_38merge_mergepath_config_static_selectorELNS0_4arch9wavefront6targetE1EEEvSH_,"axG",@progbits,_ZN7rocprim17ROCPRIM_400000_NS6detail17trampoline_kernelINS0_14default_configENS1_38merge_sort_block_merge_config_selectorIllEEZZNS1_27merge_sort_block_merge_implIS3_PlN6thrust23THRUST_200600_302600_NS10device_ptrIlEEjNS1_19radix_merge_compareILb0ELb1ElNS0_19identity_decomposerEEEEE10hipError_tT0_T1_T2_jT3_P12ihipStream_tbPNSt15iterator_traitsISG_E10value_typeEPNSM_ISH_E10value_typeEPSI_NS1_7vsmem_tEENKUlT_SG_SH_SI_E_clIS7_S7_S7_SB_EESF_SV_SG_SH_SI_EUlSV_E0_NS1_11comp_targetILNS1_3genE2ELNS1_11target_archE906ELNS1_3gpuE6ELNS1_3repE0EEENS1_38merge_mergepath_config_static_selectorELNS0_4arch9wavefront6targetE1EEEvSH_,comdat
	.protected	_ZN7rocprim17ROCPRIM_400000_NS6detail17trampoline_kernelINS0_14default_configENS1_38merge_sort_block_merge_config_selectorIllEEZZNS1_27merge_sort_block_merge_implIS3_PlN6thrust23THRUST_200600_302600_NS10device_ptrIlEEjNS1_19radix_merge_compareILb0ELb1ElNS0_19identity_decomposerEEEEE10hipError_tT0_T1_T2_jT3_P12ihipStream_tbPNSt15iterator_traitsISG_E10value_typeEPNSM_ISH_E10value_typeEPSI_NS1_7vsmem_tEENKUlT_SG_SH_SI_E_clIS7_S7_S7_SB_EESF_SV_SG_SH_SI_EUlSV_E0_NS1_11comp_targetILNS1_3genE2ELNS1_11target_archE906ELNS1_3gpuE6ELNS1_3repE0EEENS1_38merge_mergepath_config_static_selectorELNS0_4arch9wavefront6targetE1EEEvSH_ ; -- Begin function _ZN7rocprim17ROCPRIM_400000_NS6detail17trampoline_kernelINS0_14default_configENS1_38merge_sort_block_merge_config_selectorIllEEZZNS1_27merge_sort_block_merge_implIS3_PlN6thrust23THRUST_200600_302600_NS10device_ptrIlEEjNS1_19radix_merge_compareILb0ELb1ElNS0_19identity_decomposerEEEEE10hipError_tT0_T1_T2_jT3_P12ihipStream_tbPNSt15iterator_traitsISG_E10value_typeEPNSM_ISH_E10value_typeEPSI_NS1_7vsmem_tEENKUlT_SG_SH_SI_E_clIS7_S7_S7_SB_EESF_SV_SG_SH_SI_EUlSV_E0_NS1_11comp_targetILNS1_3genE2ELNS1_11target_archE906ELNS1_3gpuE6ELNS1_3repE0EEENS1_38merge_mergepath_config_static_selectorELNS0_4arch9wavefront6targetE1EEEvSH_
	.globl	_ZN7rocprim17ROCPRIM_400000_NS6detail17trampoline_kernelINS0_14default_configENS1_38merge_sort_block_merge_config_selectorIllEEZZNS1_27merge_sort_block_merge_implIS3_PlN6thrust23THRUST_200600_302600_NS10device_ptrIlEEjNS1_19radix_merge_compareILb0ELb1ElNS0_19identity_decomposerEEEEE10hipError_tT0_T1_T2_jT3_P12ihipStream_tbPNSt15iterator_traitsISG_E10value_typeEPNSM_ISH_E10value_typeEPSI_NS1_7vsmem_tEENKUlT_SG_SH_SI_E_clIS7_S7_S7_SB_EESF_SV_SG_SH_SI_EUlSV_E0_NS1_11comp_targetILNS1_3genE2ELNS1_11target_archE906ELNS1_3gpuE6ELNS1_3repE0EEENS1_38merge_mergepath_config_static_selectorELNS0_4arch9wavefront6targetE1EEEvSH_
	.p2align	8
	.type	_ZN7rocprim17ROCPRIM_400000_NS6detail17trampoline_kernelINS0_14default_configENS1_38merge_sort_block_merge_config_selectorIllEEZZNS1_27merge_sort_block_merge_implIS3_PlN6thrust23THRUST_200600_302600_NS10device_ptrIlEEjNS1_19radix_merge_compareILb0ELb1ElNS0_19identity_decomposerEEEEE10hipError_tT0_T1_T2_jT3_P12ihipStream_tbPNSt15iterator_traitsISG_E10value_typeEPNSM_ISH_E10value_typeEPSI_NS1_7vsmem_tEENKUlT_SG_SH_SI_E_clIS7_S7_S7_SB_EESF_SV_SG_SH_SI_EUlSV_E0_NS1_11comp_targetILNS1_3genE2ELNS1_11target_archE906ELNS1_3gpuE6ELNS1_3repE0EEENS1_38merge_mergepath_config_static_selectorELNS0_4arch9wavefront6targetE1EEEvSH_,@function
_ZN7rocprim17ROCPRIM_400000_NS6detail17trampoline_kernelINS0_14default_configENS1_38merge_sort_block_merge_config_selectorIllEEZZNS1_27merge_sort_block_merge_implIS3_PlN6thrust23THRUST_200600_302600_NS10device_ptrIlEEjNS1_19radix_merge_compareILb0ELb1ElNS0_19identity_decomposerEEEEE10hipError_tT0_T1_T2_jT3_P12ihipStream_tbPNSt15iterator_traitsISG_E10value_typeEPNSM_ISH_E10value_typeEPSI_NS1_7vsmem_tEENKUlT_SG_SH_SI_E_clIS7_S7_S7_SB_EESF_SV_SG_SH_SI_EUlSV_E0_NS1_11comp_targetILNS1_3genE2ELNS1_11target_archE906ELNS1_3gpuE6ELNS1_3repE0EEENS1_38merge_mergepath_config_static_selectorELNS0_4arch9wavefront6targetE1EEEvSH_: ; @_ZN7rocprim17ROCPRIM_400000_NS6detail17trampoline_kernelINS0_14default_configENS1_38merge_sort_block_merge_config_selectorIllEEZZNS1_27merge_sort_block_merge_implIS3_PlN6thrust23THRUST_200600_302600_NS10device_ptrIlEEjNS1_19radix_merge_compareILb0ELb1ElNS0_19identity_decomposerEEEEE10hipError_tT0_T1_T2_jT3_P12ihipStream_tbPNSt15iterator_traitsISG_E10value_typeEPNSM_ISH_E10value_typeEPSI_NS1_7vsmem_tEENKUlT_SG_SH_SI_E_clIS7_S7_S7_SB_EESF_SV_SG_SH_SI_EUlSV_E0_NS1_11comp_targetILNS1_3genE2ELNS1_11target_archE906ELNS1_3gpuE6ELNS1_3repE0EEENS1_38merge_mergepath_config_static_selectorELNS0_4arch9wavefront6targetE1EEEvSH_
; %bb.0:
	.section	.rodata,"a",@progbits
	.p2align	6, 0x0
	.amdhsa_kernel _ZN7rocprim17ROCPRIM_400000_NS6detail17trampoline_kernelINS0_14default_configENS1_38merge_sort_block_merge_config_selectorIllEEZZNS1_27merge_sort_block_merge_implIS3_PlN6thrust23THRUST_200600_302600_NS10device_ptrIlEEjNS1_19radix_merge_compareILb0ELb1ElNS0_19identity_decomposerEEEEE10hipError_tT0_T1_T2_jT3_P12ihipStream_tbPNSt15iterator_traitsISG_E10value_typeEPNSM_ISH_E10value_typeEPSI_NS1_7vsmem_tEENKUlT_SG_SH_SI_E_clIS7_S7_S7_SB_EESF_SV_SG_SH_SI_EUlSV_E0_NS1_11comp_targetILNS1_3genE2ELNS1_11target_archE906ELNS1_3gpuE6ELNS1_3repE0EEENS1_38merge_mergepath_config_static_selectorELNS0_4arch9wavefront6targetE1EEEvSH_
		.amdhsa_group_segment_fixed_size 0
		.amdhsa_private_segment_fixed_size 0
		.amdhsa_kernarg_size 72
		.amdhsa_user_sgpr_count 6
		.amdhsa_user_sgpr_private_segment_buffer 1
		.amdhsa_user_sgpr_dispatch_ptr 0
		.amdhsa_user_sgpr_queue_ptr 0
		.amdhsa_user_sgpr_kernarg_segment_ptr 1
		.amdhsa_user_sgpr_dispatch_id 0
		.amdhsa_user_sgpr_flat_scratch_init 0
		.amdhsa_user_sgpr_kernarg_preload_length 0
		.amdhsa_user_sgpr_kernarg_preload_offset 0
		.amdhsa_user_sgpr_private_segment_size 0
		.amdhsa_uses_dynamic_stack 0
		.amdhsa_system_sgpr_private_segment_wavefront_offset 0
		.amdhsa_system_sgpr_workgroup_id_x 1
		.amdhsa_system_sgpr_workgroup_id_y 0
		.amdhsa_system_sgpr_workgroup_id_z 0
		.amdhsa_system_sgpr_workgroup_info 0
		.amdhsa_system_vgpr_workitem_id 0
		.amdhsa_next_free_vgpr 1
		.amdhsa_next_free_sgpr 0
		.amdhsa_accum_offset 4
		.amdhsa_reserve_vcc 0
		.amdhsa_reserve_flat_scratch 0
		.amdhsa_float_round_mode_32 0
		.amdhsa_float_round_mode_16_64 0
		.amdhsa_float_denorm_mode_32 3
		.amdhsa_float_denorm_mode_16_64 3
		.amdhsa_dx10_clamp 1
		.amdhsa_ieee_mode 1
		.amdhsa_fp16_overflow 0
		.amdhsa_tg_split 0
		.amdhsa_exception_fp_ieee_invalid_op 0
		.amdhsa_exception_fp_denorm_src 0
		.amdhsa_exception_fp_ieee_div_zero 0
		.amdhsa_exception_fp_ieee_overflow 0
		.amdhsa_exception_fp_ieee_underflow 0
		.amdhsa_exception_fp_ieee_inexact 0
		.amdhsa_exception_int_div_zero 0
	.end_amdhsa_kernel
	.section	.text._ZN7rocprim17ROCPRIM_400000_NS6detail17trampoline_kernelINS0_14default_configENS1_38merge_sort_block_merge_config_selectorIllEEZZNS1_27merge_sort_block_merge_implIS3_PlN6thrust23THRUST_200600_302600_NS10device_ptrIlEEjNS1_19radix_merge_compareILb0ELb1ElNS0_19identity_decomposerEEEEE10hipError_tT0_T1_T2_jT3_P12ihipStream_tbPNSt15iterator_traitsISG_E10value_typeEPNSM_ISH_E10value_typeEPSI_NS1_7vsmem_tEENKUlT_SG_SH_SI_E_clIS7_S7_S7_SB_EESF_SV_SG_SH_SI_EUlSV_E0_NS1_11comp_targetILNS1_3genE2ELNS1_11target_archE906ELNS1_3gpuE6ELNS1_3repE0EEENS1_38merge_mergepath_config_static_selectorELNS0_4arch9wavefront6targetE1EEEvSH_,"axG",@progbits,_ZN7rocprim17ROCPRIM_400000_NS6detail17trampoline_kernelINS0_14default_configENS1_38merge_sort_block_merge_config_selectorIllEEZZNS1_27merge_sort_block_merge_implIS3_PlN6thrust23THRUST_200600_302600_NS10device_ptrIlEEjNS1_19radix_merge_compareILb0ELb1ElNS0_19identity_decomposerEEEEE10hipError_tT0_T1_T2_jT3_P12ihipStream_tbPNSt15iterator_traitsISG_E10value_typeEPNSM_ISH_E10value_typeEPSI_NS1_7vsmem_tEENKUlT_SG_SH_SI_E_clIS7_S7_S7_SB_EESF_SV_SG_SH_SI_EUlSV_E0_NS1_11comp_targetILNS1_3genE2ELNS1_11target_archE906ELNS1_3gpuE6ELNS1_3repE0EEENS1_38merge_mergepath_config_static_selectorELNS0_4arch9wavefront6targetE1EEEvSH_,comdat
.Lfunc_end1079:
	.size	_ZN7rocprim17ROCPRIM_400000_NS6detail17trampoline_kernelINS0_14default_configENS1_38merge_sort_block_merge_config_selectorIllEEZZNS1_27merge_sort_block_merge_implIS3_PlN6thrust23THRUST_200600_302600_NS10device_ptrIlEEjNS1_19radix_merge_compareILb0ELb1ElNS0_19identity_decomposerEEEEE10hipError_tT0_T1_T2_jT3_P12ihipStream_tbPNSt15iterator_traitsISG_E10value_typeEPNSM_ISH_E10value_typeEPSI_NS1_7vsmem_tEENKUlT_SG_SH_SI_E_clIS7_S7_S7_SB_EESF_SV_SG_SH_SI_EUlSV_E0_NS1_11comp_targetILNS1_3genE2ELNS1_11target_archE906ELNS1_3gpuE6ELNS1_3repE0EEENS1_38merge_mergepath_config_static_selectorELNS0_4arch9wavefront6targetE1EEEvSH_, .Lfunc_end1079-_ZN7rocprim17ROCPRIM_400000_NS6detail17trampoline_kernelINS0_14default_configENS1_38merge_sort_block_merge_config_selectorIllEEZZNS1_27merge_sort_block_merge_implIS3_PlN6thrust23THRUST_200600_302600_NS10device_ptrIlEEjNS1_19radix_merge_compareILb0ELb1ElNS0_19identity_decomposerEEEEE10hipError_tT0_T1_T2_jT3_P12ihipStream_tbPNSt15iterator_traitsISG_E10value_typeEPNSM_ISH_E10value_typeEPSI_NS1_7vsmem_tEENKUlT_SG_SH_SI_E_clIS7_S7_S7_SB_EESF_SV_SG_SH_SI_EUlSV_E0_NS1_11comp_targetILNS1_3genE2ELNS1_11target_archE906ELNS1_3gpuE6ELNS1_3repE0EEENS1_38merge_mergepath_config_static_selectorELNS0_4arch9wavefront6targetE1EEEvSH_
                                        ; -- End function
	.section	.AMDGPU.csdata,"",@progbits
; Kernel info:
; codeLenInByte = 0
; NumSgprs: 4
; NumVgprs: 0
; NumAgprs: 0
; TotalNumVgprs: 0
; ScratchSize: 0
; MemoryBound: 0
; FloatMode: 240
; IeeeMode: 1
; LDSByteSize: 0 bytes/workgroup (compile time only)
; SGPRBlocks: 0
; VGPRBlocks: 0
; NumSGPRsForWavesPerEU: 4
; NumVGPRsForWavesPerEU: 1
; AccumOffset: 4
; Occupancy: 8
; WaveLimiterHint : 0
; COMPUTE_PGM_RSRC2:SCRATCH_EN: 0
; COMPUTE_PGM_RSRC2:USER_SGPR: 6
; COMPUTE_PGM_RSRC2:TRAP_HANDLER: 0
; COMPUTE_PGM_RSRC2:TGID_X_EN: 1
; COMPUTE_PGM_RSRC2:TGID_Y_EN: 0
; COMPUTE_PGM_RSRC2:TGID_Z_EN: 0
; COMPUTE_PGM_RSRC2:TIDIG_COMP_CNT: 0
; COMPUTE_PGM_RSRC3_GFX90A:ACCUM_OFFSET: 0
; COMPUTE_PGM_RSRC3_GFX90A:TG_SPLIT: 0
	.section	.text._ZN7rocprim17ROCPRIM_400000_NS6detail17trampoline_kernelINS0_14default_configENS1_38merge_sort_block_merge_config_selectorIllEEZZNS1_27merge_sort_block_merge_implIS3_PlN6thrust23THRUST_200600_302600_NS10device_ptrIlEEjNS1_19radix_merge_compareILb0ELb1ElNS0_19identity_decomposerEEEEE10hipError_tT0_T1_T2_jT3_P12ihipStream_tbPNSt15iterator_traitsISG_E10value_typeEPNSM_ISH_E10value_typeEPSI_NS1_7vsmem_tEENKUlT_SG_SH_SI_E_clIS7_S7_S7_SB_EESF_SV_SG_SH_SI_EUlSV_E0_NS1_11comp_targetILNS1_3genE9ELNS1_11target_archE1100ELNS1_3gpuE3ELNS1_3repE0EEENS1_38merge_mergepath_config_static_selectorELNS0_4arch9wavefront6targetE1EEEvSH_,"axG",@progbits,_ZN7rocprim17ROCPRIM_400000_NS6detail17trampoline_kernelINS0_14default_configENS1_38merge_sort_block_merge_config_selectorIllEEZZNS1_27merge_sort_block_merge_implIS3_PlN6thrust23THRUST_200600_302600_NS10device_ptrIlEEjNS1_19radix_merge_compareILb0ELb1ElNS0_19identity_decomposerEEEEE10hipError_tT0_T1_T2_jT3_P12ihipStream_tbPNSt15iterator_traitsISG_E10value_typeEPNSM_ISH_E10value_typeEPSI_NS1_7vsmem_tEENKUlT_SG_SH_SI_E_clIS7_S7_S7_SB_EESF_SV_SG_SH_SI_EUlSV_E0_NS1_11comp_targetILNS1_3genE9ELNS1_11target_archE1100ELNS1_3gpuE3ELNS1_3repE0EEENS1_38merge_mergepath_config_static_selectorELNS0_4arch9wavefront6targetE1EEEvSH_,comdat
	.protected	_ZN7rocprim17ROCPRIM_400000_NS6detail17trampoline_kernelINS0_14default_configENS1_38merge_sort_block_merge_config_selectorIllEEZZNS1_27merge_sort_block_merge_implIS3_PlN6thrust23THRUST_200600_302600_NS10device_ptrIlEEjNS1_19radix_merge_compareILb0ELb1ElNS0_19identity_decomposerEEEEE10hipError_tT0_T1_T2_jT3_P12ihipStream_tbPNSt15iterator_traitsISG_E10value_typeEPNSM_ISH_E10value_typeEPSI_NS1_7vsmem_tEENKUlT_SG_SH_SI_E_clIS7_S7_S7_SB_EESF_SV_SG_SH_SI_EUlSV_E0_NS1_11comp_targetILNS1_3genE9ELNS1_11target_archE1100ELNS1_3gpuE3ELNS1_3repE0EEENS1_38merge_mergepath_config_static_selectorELNS0_4arch9wavefront6targetE1EEEvSH_ ; -- Begin function _ZN7rocprim17ROCPRIM_400000_NS6detail17trampoline_kernelINS0_14default_configENS1_38merge_sort_block_merge_config_selectorIllEEZZNS1_27merge_sort_block_merge_implIS3_PlN6thrust23THRUST_200600_302600_NS10device_ptrIlEEjNS1_19radix_merge_compareILb0ELb1ElNS0_19identity_decomposerEEEEE10hipError_tT0_T1_T2_jT3_P12ihipStream_tbPNSt15iterator_traitsISG_E10value_typeEPNSM_ISH_E10value_typeEPSI_NS1_7vsmem_tEENKUlT_SG_SH_SI_E_clIS7_S7_S7_SB_EESF_SV_SG_SH_SI_EUlSV_E0_NS1_11comp_targetILNS1_3genE9ELNS1_11target_archE1100ELNS1_3gpuE3ELNS1_3repE0EEENS1_38merge_mergepath_config_static_selectorELNS0_4arch9wavefront6targetE1EEEvSH_
	.globl	_ZN7rocprim17ROCPRIM_400000_NS6detail17trampoline_kernelINS0_14default_configENS1_38merge_sort_block_merge_config_selectorIllEEZZNS1_27merge_sort_block_merge_implIS3_PlN6thrust23THRUST_200600_302600_NS10device_ptrIlEEjNS1_19radix_merge_compareILb0ELb1ElNS0_19identity_decomposerEEEEE10hipError_tT0_T1_T2_jT3_P12ihipStream_tbPNSt15iterator_traitsISG_E10value_typeEPNSM_ISH_E10value_typeEPSI_NS1_7vsmem_tEENKUlT_SG_SH_SI_E_clIS7_S7_S7_SB_EESF_SV_SG_SH_SI_EUlSV_E0_NS1_11comp_targetILNS1_3genE9ELNS1_11target_archE1100ELNS1_3gpuE3ELNS1_3repE0EEENS1_38merge_mergepath_config_static_selectorELNS0_4arch9wavefront6targetE1EEEvSH_
	.p2align	8
	.type	_ZN7rocprim17ROCPRIM_400000_NS6detail17trampoline_kernelINS0_14default_configENS1_38merge_sort_block_merge_config_selectorIllEEZZNS1_27merge_sort_block_merge_implIS3_PlN6thrust23THRUST_200600_302600_NS10device_ptrIlEEjNS1_19radix_merge_compareILb0ELb1ElNS0_19identity_decomposerEEEEE10hipError_tT0_T1_T2_jT3_P12ihipStream_tbPNSt15iterator_traitsISG_E10value_typeEPNSM_ISH_E10value_typeEPSI_NS1_7vsmem_tEENKUlT_SG_SH_SI_E_clIS7_S7_S7_SB_EESF_SV_SG_SH_SI_EUlSV_E0_NS1_11comp_targetILNS1_3genE9ELNS1_11target_archE1100ELNS1_3gpuE3ELNS1_3repE0EEENS1_38merge_mergepath_config_static_selectorELNS0_4arch9wavefront6targetE1EEEvSH_,@function
_ZN7rocprim17ROCPRIM_400000_NS6detail17trampoline_kernelINS0_14default_configENS1_38merge_sort_block_merge_config_selectorIllEEZZNS1_27merge_sort_block_merge_implIS3_PlN6thrust23THRUST_200600_302600_NS10device_ptrIlEEjNS1_19radix_merge_compareILb0ELb1ElNS0_19identity_decomposerEEEEE10hipError_tT0_T1_T2_jT3_P12ihipStream_tbPNSt15iterator_traitsISG_E10value_typeEPNSM_ISH_E10value_typeEPSI_NS1_7vsmem_tEENKUlT_SG_SH_SI_E_clIS7_S7_S7_SB_EESF_SV_SG_SH_SI_EUlSV_E0_NS1_11comp_targetILNS1_3genE9ELNS1_11target_archE1100ELNS1_3gpuE3ELNS1_3repE0EEENS1_38merge_mergepath_config_static_selectorELNS0_4arch9wavefront6targetE1EEEvSH_: ; @_ZN7rocprim17ROCPRIM_400000_NS6detail17trampoline_kernelINS0_14default_configENS1_38merge_sort_block_merge_config_selectorIllEEZZNS1_27merge_sort_block_merge_implIS3_PlN6thrust23THRUST_200600_302600_NS10device_ptrIlEEjNS1_19radix_merge_compareILb0ELb1ElNS0_19identity_decomposerEEEEE10hipError_tT0_T1_T2_jT3_P12ihipStream_tbPNSt15iterator_traitsISG_E10value_typeEPNSM_ISH_E10value_typeEPSI_NS1_7vsmem_tEENKUlT_SG_SH_SI_E_clIS7_S7_S7_SB_EESF_SV_SG_SH_SI_EUlSV_E0_NS1_11comp_targetILNS1_3genE9ELNS1_11target_archE1100ELNS1_3gpuE3ELNS1_3repE0EEENS1_38merge_mergepath_config_static_selectorELNS0_4arch9wavefront6targetE1EEEvSH_
; %bb.0:
	.section	.rodata,"a",@progbits
	.p2align	6, 0x0
	.amdhsa_kernel _ZN7rocprim17ROCPRIM_400000_NS6detail17trampoline_kernelINS0_14default_configENS1_38merge_sort_block_merge_config_selectorIllEEZZNS1_27merge_sort_block_merge_implIS3_PlN6thrust23THRUST_200600_302600_NS10device_ptrIlEEjNS1_19radix_merge_compareILb0ELb1ElNS0_19identity_decomposerEEEEE10hipError_tT0_T1_T2_jT3_P12ihipStream_tbPNSt15iterator_traitsISG_E10value_typeEPNSM_ISH_E10value_typeEPSI_NS1_7vsmem_tEENKUlT_SG_SH_SI_E_clIS7_S7_S7_SB_EESF_SV_SG_SH_SI_EUlSV_E0_NS1_11comp_targetILNS1_3genE9ELNS1_11target_archE1100ELNS1_3gpuE3ELNS1_3repE0EEENS1_38merge_mergepath_config_static_selectorELNS0_4arch9wavefront6targetE1EEEvSH_
		.amdhsa_group_segment_fixed_size 0
		.amdhsa_private_segment_fixed_size 0
		.amdhsa_kernarg_size 72
		.amdhsa_user_sgpr_count 6
		.amdhsa_user_sgpr_private_segment_buffer 1
		.amdhsa_user_sgpr_dispatch_ptr 0
		.amdhsa_user_sgpr_queue_ptr 0
		.amdhsa_user_sgpr_kernarg_segment_ptr 1
		.amdhsa_user_sgpr_dispatch_id 0
		.amdhsa_user_sgpr_flat_scratch_init 0
		.amdhsa_user_sgpr_kernarg_preload_length 0
		.amdhsa_user_sgpr_kernarg_preload_offset 0
		.amdhsa_user_sgpr_private_segment_size 0
		.amdhsa_uses_dynamic_stack 0
		.amdhsa_system_sgpr_private_segment_wavefront_offset 0
		.amdhsa_system_sgpr_workgroup_id_x 1
		.amdhsa_system_sgpr_workgroup_id_y 0
		.amdhsa_system_sgpr_workgroup_id_z 0
		.amdhsa_system_sgpr_workgroup_info 0
		.amdhsa_system_vgpr_workitem_id 0
		.amdhsa_next_free_vgpr 1
		.amdhsa_next_free_sgpr 0
		.amdhsa_accum_offset 4
		.amdhsa_reserve_vcc 0
		.amdhsa_reserve_flat_scratch 0
		.amdhsa_float_round_mode_32 0
		.amdhsa_float_round_mode_16_64 0
		.amdhsa_float_denorm_mode_32 3
		.amdhsa_float_denorm_mode_16_64 3
		.amdhsa_dx10_clamp 1
		.amdhsa_ieee_mode 1
		.amdhsa_fp16_overflow 0
		.amdhsa_tg_split 0
		.amdhsa_exception_fp_ieee_invalid_op 0
		.amdhsa_exception_fp_denorm_src 0
		.amdhsa_exception_fp_ieee_div_zero 0
		.amdhsa_exception_fp_ieee_overflow 0
		.amdhsa_exception_fp_ieee_underflow 0
		.amdhsa_exception_fp_ieee_inexact 0
		.amdhsa_exception_int_div_zero 0
	.end_amdhsa_kernel
	.section	.text._ZN7rocprim17ROCPRIM_400000_NS6detail17trampoline_kernelINS0_14default_configENS1_38merge_sort_block_merge_config_selectorIllEEZZNS1_27merge_sort_block_merge_implIS3_PlN6thrust23THRUST_200600_302600_NS10device_ptrIlEEjNS1_19radix_merge_compareILb0ELb1ElNS0_19identity_decomposerEEEEE10hipError_tT0_T1_T2_jT3_P12ihipStream_tbPNSt15iterator_traitsISG_E10value_typeEPNSM_ISH_E10value_typeEPSI_NS1_7vsmem_tEENKUlT_SG_SH_SI_E_clIS7_S7_S7_SB_EESF_SV_SG_SH_SI_EUlSV_E0_NS1_11comp_targetILNS1_3genE9ELNS1_11target_archE1100ELNS1_3gpuE3ELNS1_3repE0EEENS1_38merge_mergepath_config_static_selectorELNS0_4arch9wavefront6targetE1EEEvSH_,"axG",@progbits,_ZN7rocprim17ROCPRIM_400000_NS6detail17trampoline_kernelINS0_14default_configENS1_38merge_sort_block_merge_config_selectorIllEEZZNS1_27merge_sort_block_merge_implIS3_PlN6thrust23THRUST_200600_302600_NS10device_ptrIlEEjNS1_19radix_merge_compareILb0ELb1ElNS0_19identity_decomposerEEEEE10hipError_tT0_T1_T2_jT3_P12ihipStream_tbPNSt15iterator_traitsISG_E10value_typeEPNSM_ISH_E10value_typeEPSI_NS1_7vsmem_tEENKUlT_SG_SH_SI_E_clIS7_S7_S7_SB_EESF_SV_SG_SH_SI_EUlSV_E0_NS1_11comp_targetILNS1_3genE9ELNS1_11target_archE1100ELNS1_3gpuE3ELNS1_3repE0EEENS1_38merge_mergepath_config_static_selectorELNS0_4arch9wavefront6targetE1EEEvSH_,comdat
.Lfunc_end1080:
	.size	_ZN7rocprim17ROCPRIM_400000_NS6detail17trampoline_kernelINS0_14default_configENS1_38merge_sort_block_merge_config_selectorIllEEZZNS1_27merge_sort_block_merge_implIS3_PlN6thrust23THRUST_200600_302600_NS10device_ptrIlEEjNS1_19radix_merge_compareILb0ELb1ElNS0_19identity_decomposerEEEEE10hipError_tT0_T1_T2_jT3_P12ihipStream_tbPNSt15iterator_traitsISG_E10value_typeEPNSM_ISH_E10value_typeEPSI_NS1_7vsmem_tEENKUlT_SG_SH_SI_E_clIS7_S7_S7_SB_EESF_SV_SG_SH_SI_EUlSV_E0_NS1_11comp_targetILNS1_3genE9ELNS1_11target_archE1100ELNS1_3gpuE3ELNS1_3repE0EEENS1_38merge_mergepath_config_static_selectorELNS0_4arch9wavefront6targetE1EEEvSH_, .Lfunc_end1080-_ZN7rocprim17ROCPRIM_400000_NS6detail17trampoline_kernelINS0_14default_configENS1_38merge_sort_block_merge_config_selectorIllEEZZNS1_27merge_sort_block_merge_implIS3_PlN6thrust23THRUST_200600_302600_NS10device_ptrIlEEjNS1_19radix_merge_compareILb0ELb1ElNS0_19identity_decomposerEEEEE10hipError_tT0_T1_T2_jT3_P12ihipStream_tbPNSt15iterator_traitsISG_E10value_typeEPNSM_ISH_E10value_typeEPSI_NS1_7vsmem_tEENKUlT_SG_SH_SI_E_clIS7_S7_S7_SB_EESF_SV_SG_SH_SI_EUlSV_E0_NS1_11comp_targetILNS1_3genE9ELNS1_11target_archE1100ELNS1_3gpuE3ELNS1_3repE0EEENS1_38merge_mergepath_config_static_selectorELNS0_4arch9wavefront6targetE1EEEvSH_
                                        ; -- End function
	.section	.AMDGPU.csdata,"",@progbits
; Kernel info:
; codeLenInByte = 0
; NumSgprs: 4
; NumVgprs: 0
; NumAgprs: 0
; TotalNumVgprs: 0
; ScratchSize: 0
; MemoryBound: 0
; FloatMode: 240
; IeeeMode: 1
; LDSByteSize: 0 bytes/workgroup (compile time only)
; SGPRBlocks: 0
; VGPRBlocks: 0
; NumSGPRsForWavesPerEU: 4
; NumVGPRsForWavesPerEU: 1
; AccumOffset: 4
; Occupancy: 8
; WaveLimiterHint : 0
; COMPUTE_PGM_RSRC2:SCRATCH_EN: 0
; COMPUTE_PGM_RSRC2:USER_SGPR: 6
; COMPUTE_PGM_RSRC2:TRAP_HANDLER: 0
; COMPUTE_PGM_RSRC2:TGID_X_EN: 1
; COMPUTE_PGM_RSRC2:TGID_Y_EN: 0
; COMPUTE_PGM_RSRC2:TGID_Z_EN: 0
; COMPUTE_PGM_RSRC2:TIDIG_COMP_CNT: 0
; COMPUTE_PGM_RSRC3_GFX90A:ACCUM_OFFSET: 0
; COMPUTE_PGM_RSRC3_GFX90A:TG_SPLIT: 0
	.section	.text._ZN7rocprim17ROCPRIM_400000_NS6detail17trampoline_kernelINS0_14default_configENS1_38merge_sort_block_merge_config_selectorIllEEZZNS1_27merge_sort_block_merge_implIS3_PlN6thrust23THRUST_200600_302600_NS10device_ptrIlEEjNS1_19radix_merge_compareILb0ELb1ElNS0_19identity_decomposerEEEEE10hipError_tT0_T1_T2_jT3_P12ihipStream_tbPNSt15iterator_traitsISG_E10value_typeEPNSM_ISH_E10value_typeEPSI_NS1_7vsmem_tEENKUlT_SG_SH_SI_E_clIS7_S7_S7_SB_EESF_SV_SG_SH_SI_EUlSV_E0_NS1_11comp_targetILNS1_3genE8ELNS1_11target_archE1030ELNS1_3gpuE2ELNS1_3repE0EEENS1_38merge_mergepath_config_static_selectorELNS0_4arch9wavefront6targetE1EEEvSH_,"axG",@progbits,_ZN7rocprim17ROCPRIM_400000_NS6detail17trampoline_kernelINS0_14default_configENS1_38merge_sort_block_merge_config_selectorIllEEZZNS1_27merge_sort_block_merge_implIS3_PlN6thrust23THRUST_200600_302600_NS10device_ptrIlEEjNS1_19radix_merge_compareILb0ELb1ElNS0_19identity_decomposerEEEEE10hipError_tT0_T1_T2_jT3_P12ihipStream_tbPNSt15iterator_traitsISG_E10value_typeEPNSM_ISH_E10value_typeEPSI_NS1_7vsmem_tEENKUlT_SG_SH_SI_E_clIS7_S7_S7_SB_EESF_SV_SG_SH_SI_EUlSV_E0_NS1_11comp_targetILNS1_3genE8ELNS1_11target_archE1030ELNS1_3gpuE2ELNS1_3repE0EEENS1_38merge_mergepath_config_static_selectorELNS0_4arch9wavefront6targetE1EEEvSH_,comdat
	.protected	_ZN7rocprim17ROCPRIM_400000_NS6detail17trampoline_kernelINS0_14default_configENS1_38merge_sort_block_merge_config_selectorIllEEZZNS1_27merge_sort_block_merge_implIS3_PlN6thrust23THRUST_200600_302600_NS10device_ptrIlEEjNS1_19radix_merge_compareILb0ELb1ElNS0_19identity_decomposerEEEEE10hipError_tT0_T1_T2_jT3_P12ihipStream_tbPNSt15iterator_traitsISG_E10value_typeEPNSM_ISH_E10value_typeEPSI_NS1_7vsmem_tEENKUlT_SG_SH_SI_E_clIS7_S7_S7_SB_EESF_SV_SG_SH_SI_EUlSV_E0_NS1_11comp_targetILNS1_3genE8ELNS1_11target_archE1030ELNS1_3gpuE2ELNS1_3repE0EEENS1_38merge_mergepath_config_static_selectorELNS0_4arch9wavefront6targetE1EEEvSH_ ; -- Begin function _ZN7rocprim17ROCPRIM_400000_NS6detail17trampoline_kernelINS0_14default_configENS1_38merge_sort_block_merge_config_selectorIllEEZZNS1_27merge_sort_block_merge_implIS3_PlN6thrust23THRUST_200600_302600_NS10device_ptrIlEEjNS1_19radix_merge_compareILb0ELb1ElNS0_19identity_decomposerEEEEE10hipError_tT0_T1_T2_jT3_P12ihipStream_tbPNSt15iterator_traitsISG_E10value_typeEPNSM_ISH_E10value_typeEPSI_NS1_7vsmem_tEENKUlT_SG_SH_SI_E_clIS7_S7_S7_SB_EESF_SV_SG_SH_SI_EUlSV_E0_NS1_11comp_targetILNS1_3genE8ELNS1_11target_archE1030ELNS1_3gpuE2ELNS1_3repE0EEENS1_38merge_mergepath_config_static_selectorELNS0_4arch9wavefront6targetE1EEEvSH_
	.globl	_ZN7rocprim17ROCPRIM_400000_NS6detail17trampoline_kernelINS0_14default_configENS1_38merge_sort_block_merge_config_selectorIllEEZZNS1_27merge_sort_block_merge_implIS3_PlN6thrust23THRUST_200600_302600_NS10device_ptrIlEEjNS1_19radix_merge_compareILb0ELb1ElNS0_19identity_decomposerEEEEE10hipError_tT0_T1_T2_jT3_P12ihipStream_tbPNSt15iterator_traitsISG_E10value_typeEPNSM_ISH_E10value_typeEPSI_NS1_7vsmem_tEENKUlT_SG_SH_SI_E_clIS7_S7_S7_SB_EESF_SV_SG_SH_SI_EUlSV_E0_NS1_11comp_targetILNS1_3genE8ELNS1_11target_archE1030ELNS1_3gpuE2ELNS1_3repE0EEENS1_38merge_mergepath_config_static_selectorELNS0_4arch9wavefront6targetE1EEEvSH_
	.p2align	8
	.type	_ZN7rocprim17ROCPRIM_400000_NS6detail17trampoline_kernelINS0_14default_configENS1_38merge_sort_block_merge_config_selectorIllEEZZNS1_27merge_sort_block_merge_implIS3_PlN6thrust23THRUST_200600_302600_NS10device_ptrIlEEjNS1_19radix_merge_compareILb0ELb1ElNS0_19identity_decomposerEEEEE10hipError_tT0_T1_T2_jT3_P12ihipStream_tbPNSt15iterator_traitsISG_E10value_typeEPNSM_ISH_E10value_typeEPSI_NS1_7vsmem_tEENKUlT_SG_SH_SI_E_clIS7_S7_S7_SB_EESF_SV_SG_SH_SI_EUlSV_E0_NS1_11comp_targetILNS1_3genE8ELNS1_11target_archE1030ELNS1_3gpuE2ELNS1_3repE0EEENS1_38merge_mergepath_config_static_selectorELNS0_4arch9wavefront6targetE1EEEvSH_,@function
_ZN7rocprim17ROCPRIM_400000_NS6detail17trampoline_kernelINS0_14default_configENS1_38merge_sort_block_merge_config_selectorIllEEZZNS1_27merge_sort_block_merge_implIS3_PlN6thrust23THRUST_200600_302600_NS10device_ptrIlEEjNS1_19radix_merge_compareILb0ELb1ElNS0_19identity_decomposerEEEEE10hipError_tT0_T1_T2_jT3_P12ihipStream_tbPNSt15iterator_traitsISG_E10value_typeEPNSM_ISH_E10value_typeEPSI_NS1_7vsmem_tEENKUlT_SG_SH_SI_E_clIS7_S7_S7_SB_EESF_SV_SG_SH_SI_EUlSV_E0_NS1_11comp_targetILNS1_3genE8ELNS1_11target_archE1030ELNS1_3gpuE2ELNS1_3repE0EEENS1_38merge_mergepath_config_static_selectorELNS0_4arch9wavefront6targetE1EEEvSH_: ; @_ZN7rocprim17ROCPRIM_400000_NS6detail17trampoline_kernelINS0_14default_configENS1_38merge_sort_block_merge_config_selectorIllEEZZNS1_27merge_sort_block_merge_implIS3_PlN6thrust23THRUST_200600_302600_NS10device_ptrIlEEjNS1_19radix_merge_compareILb0ELb1ElNS0_19identity_decomposerEEEEE10hipError_tT0_T1_T2_jT3_P12ihipStream_tbPNSt15iterator_traitsISG_E10value_typeEPNSM_ISH_E10value_typeEPSI_NS1_7vsmem_tEENKUlT_SG_SH_SI_E_clIS7_S7_S7_SB_EESF_SV_SG_SH_SI_EUlSV_E0_NS1_11comp_targetILNS1_3genE8ELNS1_11target_archE1030ELNS1_3gpuE2ELNS1_3repE0EEENS1_38merge_mergepath_config_static_selectorELNS0_4arch9wavefront6targetE1EEEvSH_
; %bb.0:
	.section	.rodata,"a",@progbits
	.p2align	6, 0x0
	.amdhsa_kernel _ZN7rocprim17ROCPRIM_400000_NS6detail17trampoline_kernelINS0_14default_configENS1_38merge_sort_block_merge_config_selectorIllEEZZNS1_27merge_sort_block_merge_implIS3_PlN6thrust23THRUST_200600_302600_NS10device_ptrIlEEjNS1_19radix_merge_compareILb0ELb1ElNS0_19identity_decomposerEEEEE10hipError_tT0_T1_T2_jT3_P12ihipStream_tbPNSt15iterator_traitsISG_E10value_typeEPNSM_ISH_E10value_typeEPSI_NS1_7vsmem_tEENKUlT_SG_SH_SI_E_clIS7_S7_S7_SB_EESF_SV_SG_SH_SI_EUlSV_E0_NS1_11comp_targetILNS1_3genE8ELNS1_11target_archE1030ELNS1_3gpuE2ELNS1_3repE0EEENS1_38merge_mergepath_config_static_selectorELNS0_4arch9wavefront6targetE1EEEvSH_
		.amdhsa_group_segment_fixed_size 0
		.amdhsa_private_segment_fixed_size 0
		.amdhsa_kernarg_size 72
		.amdhsa_user_sgpr_count 6
		.amdhsa_user_sgpr_private_segment_buffer 1
		.amdhsa_user_sgpr_dispatch_ptr 0
		.amdhsa_user_sgpr_queue_ptr 0
		.amdhsa_user_sgpr_kernarg_segment_ptr 1
		.amdhsa_user_sgpr_dispatch_id 0
		.amdhsa_user_sgpr_flat_scratch_init 0
		.amdhsa_user_sgpr_kernarg_preload_length 0
		.amdhsa_user_sgpr_kernarg_preload_offset 0
		.amdhsa_user_sgpr_private_segment_size 0
		.amdhsa_uses_dynamic_stack 0
		.amdhsa_system_sgpr_private_segment_wavefront_offset 0
		.amdhsa_system_sgpr_workgroup_id_x 1
		.amdhsa_system_sgpr_workgroup_id_y 0
		.amdhsa_system_sgpr_workgroup_id_z 0
		.amdhsa_system_sgpr_workgroup_info 0
		.amdhsa_system_vgpr_workitem_id 0
		.amdhsa_next_free_vgpr 1
		.amdhsa_next_free_sgpr 0
		.amdhsa_accum_offset 4
		.amdhsa_reserve_vcc 0
		.amdhsa_reserve_flat_scratch 0
		.amdhsa_float_round_mode_32 0
		.amdhsa_float_round_mode_16_64 0
		.amdhsa_float_denorm_mode_32 3
		.amdhsa_float_denorm_mode_16_64 3
		.amdhsa_dx10_clamp 1
		.amdhsa_ieee_mode 1
		.amdhsa_fp16_overflow 0
		.amdhsa_tg_split 0
		.amdhsa_exception_fp_ieee_invalid_op 0
		.amdhsa_exception_fp_denorm_src 0
		.amdhsa_exception_fp_ieee_div_zero 0
		.amdhsa_exception_fp_ieee_overflow 0
		.amdhsa_exception_fp_ieee_underflow 0
		.amdhsa_exception_fp_ieee_inexact 0
		.amdhsa_exception_int_div_zero 0
	.end_amdhsa_kernel
	.section	.text._ZN7rocprim17ROCPRIM_400000_NS6detail17trampoline_kernelINS0_14default_configENS1_38merge_sort_block_merge_config_selectorIllEEZZNS1_27merge_sort_block_merge_implIS3_PlN6thrust23THRUST_200600_302600_NS10device_ptrIlEEjNS1_19radix_merge_compareILb0ELb1ElNS0_19identity_decomposerEEEEE10hipError_tT0_T1_T2_jT3_P12ihipStream_tbPNSt15iterator_traitsISG_E10value_typeEPNSM_ISH_E10value_typeEPSI_NS1_7vsmem_tEENKUlT_SG_SH_SI_E_clIS7_S7_S7_SB_EESF_SV_SG_SH_SI_EUlSV_E0_NS1_11comp_targetILNS1_3genE8ELNS1_11target_archE1030ELNS1_3gpuE2ELNS1_3repE0EEENS1_38merge_mergepath_config_static_selectorELNS0_4arch9wavefront6targetE1EEEvSH_,"axG",@progbits,_ZN7rocprim17ROCPRIM_400000_NS6detail17trampoline_kernelINS0_14default_configENS1_38merge_sort_block_merge_config_selectorIllEEZZNS1_27merge_sort_block_merge_implIS3_PlN6thrust23THRUST_200600_302600_NS10device_ptrIlEEjNS1_19radix_merge_compareILb0ELb1ElNS0_19identity_decomposerEEEEE10hipError_tT0_T1_T2_jT3_P12ihipStream_tbPNSt15iterator_traitsISG_E10value_typeEPNSM_ISH_E10value_typeEPSI_NS1_7vsmem_tEENKUlT_SG_SH_SI_E_clIS7_S7_S7_SB_EESF_SV_SG_SH_SI_EUlSV_E0_NS1_11comp_targetILNS1_3genE8ELNS1_11target_archE1030ELNS1_3gpuE2ELNS1_3repE0EEENS1_38merge_mergepath_config_static_selectorELNS0_4arch9wavefront6targetE1EEEvSH_,comdat
.Lfunc_end1081:
	.size	_ZN7rocprim17ROCPRIM_400000_NS6detail17trampoline_kernelINS0_14default_configENS1_38merge_sort_block_merge_config_selectorIllEEZZNS1_27merge_sort_block_merge_implIS3_PlN6thrust23THRUST_200600_302600_NS10device_ptrIlEEjNS1_19radix_merge_compareILb0ELb1ElNS0_19identity_decomposerEEEEE10hipError_tT0_T1_T2_jT3_P12ihipStream_tbPNSt15iterator_traitsISG_E10value_typeEPNSM_ISH_E10value_typeEPSI_NS1_7vsmem_tEENKUlT_SG_SH_SI_E_clIS7_S7_S7_SB_EESF_SV_SG_SH_SI_EUlSV_E0_NS1_11comp_targetILNS1_3genE8ELNS1_11target_archE1030ELNS1_3gpuE2ELNS1_3repE0EEENS1_38merge_mergepath_config_static_selectorELNS0_4arch9wavefront6targetE1EEEvSH_, .Lfunc_end1081-_ZN7rocprim17ROCPRIM_400000_NS6detail17trampoline_kernelINS0_14default_configENS1_38merge_sort_block_merge_config_selectorIllEEZZNS1_27merge_sort_block_merge_implIS3_PlN6thrust23THRUST_200600_302600_NS10device_ptrIlEEjNS1_19radix_merge_compareILb0ELb1ElNS0_19identity_decomposerEEEEE10hipError_tT0_T1_T2_jT3_P12ihipStream_tbPNSt15iterator_traitsISG_E10value_typeEPNSM_ISH_E10value_typeEPSI_NS1_7vsmem_tEENKUlT_SG_SH_SI_E_clIS7_S7_S7_SB_EESF_SV_SG_SH_SI_EUlSV_E0_NS1_11comp_targetILNS1_3genE8ELNS1_11target_archE1030ELNS1_3gpuE2ELNS1_3repE0EEENS1_38merge_mergepath_config_static_selectorELNS0_4arch9wavefront6targetE1EEEvSH_
                                        ; -- End function
	.section	.AMDGPU.csdata,"",@progbits
; Kernel info:
; codeLenInByte = 0
; NumSgprs: 4
; NumVgprs: 0
; NumAgprs: 0
; TotalNumVgprs: 0
; ScratchSize: 0
; MemoryBound: 0
; FloatMode: 240
; IeeeMode: 1
; LDSByteSize: 0 bytes/workgroup (compile time only)
; SGPRBlocks: 0
; VGPRBlocks: 0
; NumSGPRsForWavesPerEU: 4
; NumVGPRsForWavesPerEU: 1
; AccumOffset: 4
; Occupancy: 8
; WaveLimiterHint : 0
; COMPUTE_PGM_RSRC2:SCRATCH_EN: 0
; COMPUTE_PGM_RSRC2:USER_SGPR: 6
; COMPUTE_PGM_RSRC2:TRAP_HANDLER: 0
; COMPUTE_PGM_RSRC2:TGID_X_EN: 1
; COMPUTE_PGM_RSRC2:TGID_Y_EN: 0
; COMPUTE_PGM_RSRC2:TGID_Z_EN: 0
; COMPUTE_PGM_RSRC2:TIDIG_COMP_CNT: 0
; COMPUTE_PGM_RSRC3_GFX90A:ACCUM_OFFSET: 0
; COMPUTE_PGM_RSRC3_GFX90A:TG_SPLIT: 0
	.section	.text._ZN7rocprim17ROCPRIM_400000_NS6detail17trampoline_kernelINS0_14default_configENS1_38merge_sort_block_merge_config_selectorIllEEZZNS1_27merge_sort_block_merge_implIS3_PlN6thrust23THRUST_200600_302600_NS10device_ptrIlEEjNS1_19radix_merge_compareILb0ELb1ElNS0_19identity_decomposerEEEEE10hipError_tT0_T1_T2_jT3_P12ihipStream_tbPNSt15iterator_traitsISG_E10value_typeEPNSM_ISH_E10value_typeEPSI_NS1_7vsmem_tEENKUlT_SG_SH_SI_E_clIS7_S7_S7_SB_EESF_SV_SG_SH_SI_EUlSV_E1_NS1_11comp_targetILNS1_3genE0ELNS1_11target_archE4294967295ELNS1_3gpuE0ELNS1_3repE0EEENS1_36merge_oddeven_config_static_selectorELNS0_4arch9wavefront6targetE1EEEvSH_,"axG",@progbits,_ZN7rocprim17ROCPRIM_400000_NS6detail17trampoline_kernelINS0_14default_configENS1_38merge_sort_block_merge_config_selectorIllEEZZNS1_27merge_sort_block_merge_implIS3_PlN6thrust23THRUST_200600_302600_NS10device_ptrIlEEjNS1_19radix_merge_compareILb0ELb1ElNS0_19identity_decomposerEEEEE10hipError_tT0_T1_T2_jT3_P12ihipStream_tbPNSt15iterator_traitsISG_E10value_typeEPNSM_ISH_E10value_typeEPSI_NS1_7vsmem_tEENKUlT_SG_SH_SI_E_clIS7_S7_S7_SB_EESF_SV_SG_SH_SI_EUlSV_E1_NS1_11comp_targetILNS1_3genE0ELNS1_11target_archE4294967295ELNS1_3gpuE0ELNS1_3repE0EEENS1_36merge_oddeven_config_static_selectorELNS0_4arch9wavefront6targetE1EEEvSH_,comdat
	.protected	_ZN7rocprim17ROCPRIM_400000_NS6detail17trampoline_kernelINS0_14default_configENS1_38merge_sort_block_merge_config_selectorIllEEZZNS1_27merge_sort_block_merge_implIS3_PlN6thrust23THRUST_200600_302600_NS10device_ptrIlEEjNS1_19radix_merge_compareILb0ELb1ElNS0_19identity_decomposerEEEEE10hipError_tT0_T1_T2_jT3_P12ihipStream_tbPNSt15iterator_traitsISG_E10value_typeEPNSM_ISH_E10value_typeEPSI_NS1_7vsmem_tEENKUlT_SG_SH_SI_E_clIS7_S7_S7_SB_EESF_SV_SG_SH_SI_EUlSV_E1_NS1_11comp_targetILNS1_3genE0ELNS1_11target_archE4294967295ELNS1_3gpuE0ELNS1_3repE0EEENS1_36merge_oddeven_config_static_selectorELNS0_4arch9wavefront6targetE1EEEvSH_ ; -- Begin function _ZN7rocprim17ROCPRIM_400000_NS6detail17trampoline_kernelINS0_14default_configENS1_38merge_sort_block_merge_config_selectorIllEEZZNS1_27merge_sort_block_merge_implIS3_PlN6thrust23THRUST_200600_302600_NS10device_ptrIlEEjNS1_19radix_merge_compareILb0ELb1ElNS0_19identity_decomposerEEEEE10hipError_tT0_T1_T2_jT3_P12ihipStream_tbPNSt15iterator_traitsISG_E10value_typeEPNSM_ISH_E10value_typeEPSI_NS1_7vsmem_tEENKUlT_SG_SH_SI_E_clIS7_S7_S7_SB_EESF_SV_SG_SH_SI_EUlSV_E1_NS1_11comp_targetILNS1_3genE0ELNS1_11target_archE4294967295ELNS1_3gpuE0ELNS1_3repE0EEENS1_36merge_oddeven_config_static_selectorELNS0_4arch9wavefront6targetE1EEEvSH_
	.globl	_ZN7rocprim17ROCPRIM_400000_NS6detail17trampoline_kernelINS0_14default_configENS1_38merge_sort_block_merge_config_selectorIllEEZZNS1_27merge_sort_block_merge_implIS3_PlN6thrust23THRUST_200600_302600_NS10device_ptrIlEEjNS1_19radix_merge_compareILb0ELb1ElNS0_19identity_decomposerEEEEE10hipError_tT0_T1_T2_jT3_P12ihipStream_tbPNSt15iterator_traitsISG_E10value_typeEPNSM_ISH_E10value_typeEPSI_NS1_7vsmem_tEENKUlT_SG_SH_SI_E_clIS7_S7_S7_SB_EESF_SV_SG_SH_SI_EUlSV_E1_NS1_11comp_targetILNS1_3genE0ELNS1_11target_archE4294967295ELNS1_3gpuE0ELNS1_3repE0EEENS1_36merge_oddeven_config_static_selectorELNS0_4arch9wavefront6targetE1EEEvSH_
	.p2align	8
	.type	_ZN7rocprim17ROCPRIM_400000_NS6detail17trampoline_kernelINS0_14default_configENS1_38merge_sort_block_merge_config_selectorIllEEZZNS1_27merge_sort_block_merge_implIS3_PlN6thrust23THRUST_200600_302600_NS10device_ptrIlEEjNS1_19radix_merge_compareILb0ELb1ElNS0_19identity_decomposerEEEEE10hipError_tT0_T1_T2_jT3_P12ihipStream_tbPNSt15iterator_traitsISG_E10value_typeEPNSM_ISH_E10value_typeEPSI_NS1_7vsmem_tEENKUlT_SG_SH_SI_E_clIS7_S7_S7_SB_EESF_SV_SG_SH_SI_EUlSV_E1_NS1_11comp_targetILNS1_3genE0ELNS1_11target_archE4294967295ELNS1_3gpuE0ELNS1_3repE0EEENS1_36merge_oddeven_config_static_selectorELNS0_4arch9wavefront6targetE1EEEvSH_,@function
_ZN7rocprim17ROCPRIM_400000_NS6detail17trampoline_kernelINS0_14default_configENS1_38merge_sort_block_merge_config_selectorIllEEZZNS1_27merge_sort_block_merge_implIS3_PlN6thrust23THRUST_200600_302600_NS10device_ptrIlEEjNS1_19radix_merge_compareILb0ELb1ElNS0_19identity_decomposerEEEEE10hipError_tT0_T1_T2_jT3_P12ihipStream_tbPNSt15iterator_traitsISG_E10value_typeEPNSM_ISH_E10value_typeEPSI_NS1_7vsmem_tEENKUlT_SG_SH_SI_E_clIS7_S7_S7_SB_EESF_SV_SG_SH_SI_EUlSV_E1_NS1_11comp_targetILNS1_3genE0ELNS1_11target_archE4294967295ELNS1_3gpuE0ELNS1_3repE0EEENS1_36merge_oddeven_config_static_selectorELNS0_4arch9wavefront6targetE1EEEvSH_: ; @_ZN7rocprim17ROCPRIM_400000_NS6detail17trampoline_kernelINS0_14default_configENS1_38merge_sort_block_merge_config_selectorIllEEZZNS1_27merge_sort_block_merge_implIS3_PlN6thrust23THRUST_200600_302600_NS10device_ptrIlEEjNS1_19radix_merge_compareILb0ELb1ElNS0_19identity_decomposerEEEEE10hipError_tT0_T1_T2_jT3_P12ihipStream_tbPNSt15iterator_traitsISG_E10value_typeEPNSM_ISH_E10value_typeEPSI_NS1_7vsmem_tEENKUlT_SG_SH_SI_E_clIS7_S7_S7_SB_EESF_SV_SG_SH_SI_EUlSV_E1_NS1_11comp_targetILNS1_3genE0ELNS1_11target_archE4294967295ELNS1_3gpuE0ELNS1_3repE0EEENS1_36merge_oddeven_config_static_selectorELNS0_4arch9wavefront6targetE1EEEvSH_
; %bb.0:
	.section	.rodata,"a",@progbits
	.p2align	6, 0x0
	.amdhsa_kernel _ZN7rocprim17ROCPRIM_400000_NS6detail17trampoline_kernelINS0_14default_configENS1_38merge_sort_block_merge_config_selectorIllEEZZNS1_27merge_sort_block_merge_implIS3_PlN6thrust23THRUST_200600_302600_NS10device_ptrIlEEjNS1_19radix_merge_compareILb0ELb1ElNS0_19identity_decomposerEEEEE10hipError_tT0_T1_T2_jT3_P12ihipStream_tbPNSt15iterator_traitsISG_E10value_typeEPNSM_ISH_E10value_typeEPSI_NS1_7vsmem_tEENKUlT_SG_SH_SI_E_clIS7_S7_S7_SB_EESF_SV_SG_SH_SI_EUlSV_E1_NS1_11comp_targetILNS1_3genE0ELNS1_11target_archE4294967295ELNS1_3gpuE0ELNS1_3repE0EEENS1_36merge_oddeven_config_static_selectorELNS0_4arch9wavefront6targetE1EEEvSH_
		.amdhsa_group_segment_fixed_size 0
		.amdhsa_private_segment_fixed_size 0
		.amdhsa_kernarg_size 48
		.amdhsa_user_sgpr_count 6
		.amdhsa_user_sgpr_private_segment_buffer 1
		.amdhsa_user_sgpr_dispatch_ptr 0
		.amdhsa_user_sgpr_queue_ptr 0
		.amdhsa_user_sgpr_kernarg_segment_ptr 1
		.amdhsa_user_sgpr_dispatch_id 0
		.amdhsa_user_sgpr_flat_scratch_init 0
		.amdhsa_user_sgpr_kernarg_preload_length 0
		.amdhsa_user_sgpr_kernarg_preload_offset 0
		.amdhsa_user_sgpr_private_segment_size 0
		.amdhsa_uses_dynamic_stack 0
		.amdhsa_system_sgpr_private_segment_wavefront_offset 0
		.amdhsa_system_sgpr_workgroup_id_x 1
		.amdhsa_system_sgpr_workgroup_id_y 0
		.amdhsa_system_sgpr_workgroup_id_z 0
		.amdhsa_system_sgpr_workgroup_info 0
		.amdhsa_system_vgpr_workitem_id 0
		.amdhsa_next_free_vgpr 1
		.amdhsa_next_free_sgpr 0
		.amdhsa_accum_offset 4
		.amdhsa_reserve_vcc 0
		.amdhsa_reserve_flat_scratch 0
		.amdhsa_float_round_mode_32 0
		.amdhsa_float_round_mode_16_64 0
		.amdhsa_float_denorm_mode_32 3
		.amdhsa_float_denorm_mode_16_64 3
		.amdhsa_dx10_clamp 1
		.amdhsa_ieee_mode 1
		.amdhsa_fp16_overflow 0
		.amdhsa_tg_split 0
		.amdhsa_exception_fp_ieee_invalid_op 0
		.amdhsa_exception_fp_denorm_src 0
		.amdhsa_exception_fp_ieee_div_zero 0
		.amdhsa_exception_fp_ieee_overflow 0
		.amdhsa_exception_fp_ieee_underflow 0
		.amdhsa_exception_fp_ieee_inexact 0
		.amdhsa_exception_int_div_zero 0
	.end_amdhsa_kernel
	.section	.text._ZN7rocprim17ROCPRIM_400000_NS6detail17trampoline_kernelINS0_14default_configENS1_38merge_sort_block_merge_config_selectorIllEEZZNS1_27merge_sort_block_merge_implIS3_PlN6thrust23THRUST_200600_302600_NS10device_ptrIlEEjNS1_19radix_merge_compareILb0ELb1ElNS0_19identity_decomposerEEEEE10hipError_tT0_T1_T2_jT3_P12ihipStream_tbPNSt15iterator_traitsISG_E10value_typeEPNSM_ISH_E10value_typeEPSI_NS1_7vsmem_tEENKUlT_SG_SH_SI_E_clIS7_S7_S7_SB_EESF_SV_SG_SH_SI_EUlSV_E1_NS1_11comp_targetILNS1_3genE0ELNS1_11target_archE4294967295ELNS1_3gpuE0ELNS1_3repE0EEENS1_36merge_oddeven_config_static_selectorELNS0_4arch9wavefront6targetE1EEEvSH_,"axG",@progbits,_ZN7rocprim17ROCPRIM_400000_NS6detail17trampoline_kernelINS0_14default_configENS1_38merge_sort_block_merge_config_selectorIllEEZZNS1_27merge_sort_block_merge_implIS3_PlN6thrust23THRUST_200600_302600_NS10device_ptrIlEEjNS1_19radix_merge_compareILb0ELb1ElNS0_19identity_decomposerEEEEE10hipError_tT0_T1_T2_jT3_P12ihipStream_tbPNSt15iterator_traitsISG_E10value_typeEPNSM_ISH_E10value_typeEPSI_NS1_7vsmem_tEENKUlT_SG_SH_SI_E_clIS7_S7_S7_SB_EESF_SV_SG_SH_SI_EUlSV_E1_NS1_11comp_targetILNS1_3genE0ELNS1_11target_archE4294967295ELNS1_3gpuE0ELNS1_3repE0EEENS1_36merge_oddeven_config_static_selectorELNS0_4arch9wavefront6targetE1EEEvSH_,comdat
.Lfunc_end1082:
	.size	_ZN7rocprim17ROCPRIM_400000_NS6detail17trampoline_kernelINS0_14default_configENS1_38merge_sort_block_merge_config_selectorIllEEZZNS1_27merge_sort_block_merge_implIS3_PlN6thrust23THRUST_200600_302600_NS10device_ptrIlEEjNS1_19radix_merge_compareILb0ELb1ElNS0_19identity_decomposerEEEEE10hipError_tT0_T1_T2_jT3_P12ihipStream_tbPNSt15iterator_traitsISG_E10value_typeEPNSM_ISH_E10value_typeEPSI_NS1_7vsmem_tEENKUlT_SG_SH_SI_E_clIS7_S7_S7_SB_EESF_SV_SG_SH_SI_EUlSV_E1_NS1_11comp_targetILNS1_3genE0ELNS1_11target_archE4294967295ELNS1_3gpuE0ELNS1_3repE0EEENS1_36merge_oddeven_config_static_selectorELNS0_4arch9wavefront6targetE1EEEvSH_, .Lfunc_end1082-_ZN7rocprim17ROCPRIM_400000_NS6detail17trampoline_kernelINS0_14default_configENS1_38merge_sort_block_merge_config_selectorIllEEZZNS1_27merge_sort_block_merge_implIS3_PlN6thrust23THRUST_200600_302600_NS10device_ptrIlEEjNS1_19radix_merge_compareILb0ELb1ElNS0_19identity_decomposerEEEEE10hipError_tT0_T1_T2_jT3_P12ihipStream_tbPNSt15iterator_traitsISG_E10value_typeEPNSM_ISH_E10value_typeEPSI_NS1_7vsmem_tEENKUlT_SG_SH_SI_E_clIS7_S7_S7_SB_EESF_SV_SG_SH_SI_EUlSV_E1_NS1_11comp_targetILNS1_3genE0ELNS1_11target_archE4294967295ELNS1_3gpuE0ELNS1_3repE0EEENS1_36merge_oddeven_config_static_selectorELNS0_4arch9wavefront6targetE1EEEvSH_
                                        ; -- End function
	.section	.AMDGPU.csdata,"",@progbits
; Kernel info:
; codeLenInByte = 0
; NumSgprs: 4
; NumVgprs: 0
; NumAgprs: 0
; TotalNumVgprs: 0
; ScratchSize: 0
; MemoryBound: 0
; FloatMode: 240
; IeeeMode: 1
; LDSByteSize: 0 bytes/workgroup (compile time only)
; SGPRBlocks: 0
; VGPRBlocks: 0
; NumSGPRsForWavesPerEU: 4
; NumVGPRsForWavesPerEU: 1
; AccumOffset: 4
; Occupancy: 8
; WaveLimiterHint : 0
; COMPUTE_PGM_RSRC2:SCRATCH_EN: 0
; COMPUTE_PGM_RSRC2:USER_SGPR: 6
; COMPUTE_PGM_RSRC2:TRAP_HANDLER: 0
; COMPUTE_PGM_RSRC2:TGID_X_EN: 1
; COMPUTE_PGM_RSRC2:TGID_Y_EN: 0
; COMPUTE_PGM_RSRC2:TGID_Z_EN: 0
; COMPUTE_PGM_RSRC2:TIDIG_COMP_CNT: 0
; COMPUTE_PGM_RSRC3_GFX90A:ACCUM_OFFSET: 0
; COMPUTE_PGM_RSRC3_GFX90A:TG_SPLIT: 0
	.section	.text._ZN7rocprim17ROCPRIM_400000_NS6detail17trampoline_kernelINS0_14default_configENS1_38merge_sort_block_merge_config_selectorIllEEZZNS1_27merge_sort_block_merge_implIS3_PlN6thrust23THRUST_200600_302600_NS10device_ptrIlEEjNS1_19radix_merge_compareILb0ELb1ElNS0_19identity_decomposerEEEEE10hipError_tT0_T1_T2_jT3_P12ihipStream_tbPNSt15iterator_traitsISG_E10value_typeEPNSM_ISH_E10value_typeEPSI_NS1_7vsmem_tEENKUlT_SG_SH_SI_E_clIS7_S7_S7_SB_EESF_SV_SG_SH_SI_EUlSV_E1_NS1_11comp_targetILNS1_3genE10ELNS1_11target_archE1201ELNS1_3gpuE5ELNS1_3repE0EEENS1_36merge_oddeven_config_static_selectorELNS0_4arch9wavefront6targetE1EEEvSH_,"axG",@progbits,_ZN7rocprim17ROCPRIM_400000_NS6detail17trampoline_kernelINS0_14default_configENS1_38merge_sort_block_merge_config_selectorIllEEZZNS1_27merge_sort_block_merge_implIS3_PlN6thrust23THRUST_200600_302600_NS10device_ptrIlEEjNS1_19radix_merge_compareILb0ELb1ElNS0_19identity_decomposerEEEEE10hipError_tT0_T1_T2_jT3_P12ihipStream_tbPNSt15iterator_traitsISG_E10value_typeEPNSM_ISH_E10value_typeEPSI_NS1_7vsmem_tEENKUlT_SG_SH_SI_E_clIS7_S7_S7_SB_EESF_SV_SG_SH_SI_EUlSV_E1_NS1_11comp_targetILNS1_3genE10ELNS1_11target_archE1201ELNS1_3gpuE5ELNS1_3repE0EEENS1_36merge_oddeven_config_static_selectorELNS0_4arch9wavefront6targetE1EEEvSH_,comdat
	.protected	_ZN7rocprim17ROCPRIM_400000_NS6detail17trampoline_kernelINS0_14default_configENS1_38merge_sort_block_merge_config_selectorIllEEZZNS1_27merge_sort_block_merge_implIS3_PlN6thrust23THRUST_200600_302600_NS10device_ptrIlEEjNS1_19radix_merge_compareILb0ELb1ElNS0_19identity_decomposerEEEEE10hipError_tT0_T1_T2_jT3_P12ihipStream_tbPNSt15iterator_traitsISG_E10value_typeEPNSM_ISH_E10value_typeEPSI_NS1_7vsmem_tEENKUlT_SG_SH_SI_E_clIS7_S7_S7_SB_EESF_SV_SG_SH_SI_EUlSV_E1_NS1_11comp_targetILNS1_3genE10ELNS1_11target_archE1201ELNS1_3gpuE5ELNS1_3repE0EEENS1_36merge_oddeven_config_static_selectorELNS0_4arch9wavefront6targetE1EEEvSH_ ; -- Begin function _ZN7rocprim17ROCPRIM_400000_NS6detail17trampoline_kernelINS0_14default_configENS1_38merge_sort_block_merge_config_selectorIllEEZZNS1_27merge_sort_block_merge_implIS3_PlN6thrust23THRUST_200600_302600_NS10device_ptrIlEEjNS1_19radix_merge_compareILb0ELb1ElNS0_19identity_decomposerEEEEE10hipError_tT0_T1_T2_jT3_P12ihipStream_tbPNSt15iterator_traitsISG_E10value_typeEPNSM_ISH_E10value_typeEPSI_NS1_7vsmem_tEENKUlT_SG_SH_SI_E_clIS7_S7_S7_SB_EESF_SV_SG_SH_SI_EUlSV_E1_NS1_11comp_targetILNS1_3genE10ELNS1_11target_archE1201ELNS1_3gpuE5ELNS1_3repE0EEENS1_36merge_oddeven_config_static_selectorELNS0_4arch9wavefront6targetE1EEEvSH_
	.globl	_ZN7rocprim17ROCPRIM_400000_NS6detail17trampoline_kernelINS0_14default_configENS1_38merge_sort_block_merge_config_selectorIllEEZZNS1_27merge_sort_block_merge_implIS3_PlN6thrust23THRUST_200600_302600_NS10device_ptrIlEEjNS1_19radix_merge_compareILb0ELb1ElNS0_19identity_decomposerEEEEE10hipError_tT0_T1_T2_jT3_P12ihipStream_tbPNSt15iterator_traitsISG_E10value_typeEPNSM_ISH_E10value_typeEPSI_NS1_7vsmem_tEENKUlT_SG_SH_SI_E_clIS7_S7_S7_SB_EESF_SV_SG_SH_SI_EUlSV_E1_NS1_11comp_targetILNS1_3genE10ELNS1_11target_archE1201ELNS1_3gpuE5ELNS1_3repE0EEENS1_36merge_oddeven_config_static_selectorELNS0_4arch9wavefront6targetE1EEEvSH_
	.p2align	8
	.type	_ZN7rocprim17ROCPRIM_400000_NS6detail17trampoline_kernelINS0_14default_configENS1_38merge_sort_block_merge_config_selectorIllEEZZNS1_27merge_sort_block_merge_implIS3_PlN6thrust23THRUST_200600_302600_NS10device_ptrIlEEjNS1_19radix_merge_compareILb0ELb1ElNS0_19identity_decomposerEEEEE10hipError_tT0_T1_T2_jT3_P12ihipStream_tbPNSt15iterator_traitsISG_E10value_typeEPNSM_ISH_E10value_typeEPSI_NS1_7vsmem_tEENKUlT_SG_SH_SI_E_clIS7_S7_S7_SB_EESF_SV_SG_SH_SI_EUlSV_E1_NS1_11comp_targetILNS1_3genE10ELNS1_11target_archE1201ELNS1_3gpuE5ELNS1_3repE0EEENS1_36merge_oddeven_config_static_selectorELNS0_4arch9wavefront6targetE1EEEvSH_,@function
_ZN7rocprim17ROCPRIM_400000_NS6detail17trampoline_kernelINS0_14default_configENS1_38merge_sort_block_merge_config_selectorIllEEZZNS1_27merge_sort_block_merge_implIS3_PlN6thrust23THRUST_200600_302600_NS10device_ptrIlEEjNS1_19radix_merge_compareILb0ELb1ElNS0_19identity_decomposerEEEEE10hipError_tT0_T1_T2_jT3_P12ihipStream_tbPNSt15iterator_traitsISG_E10value_typeEPNSM_ISH_E10value_typeEPSI_NS1_7vsmem_tEENKUlT_SG_SH_SI_E_clIS7_S7_S7_SB_EESF_SV_SG_SH_SI_EUlSV_E1_NS1_11comp_targetILNS1_3genE10ELNS1_11target_archE1201ELNS1_3gpuE5ELNS1_3repE0EEENS1_36merge_oddeven_config_static_selectorELNS0_4arch9wavefront6targetE1EEEvSH_: ; @_ZN7rocprim17ROCPRIM_400000_NS6detail17trampoline_kernelINS0_14default_configENS1_38merge_sort_block_merge_config_selectorIllEEZZNS1_27merge_sort_block_merge_implIS3_PlN6thrust23THRUST_200600_302600_NS10device_ptrIlEEjNS1_19radix_merge_compareILb0ELb1ElNS0_19identity_decomposerEEEEE10hipError_tT0_T1_T2_jT3_P12ihipStream_tbPNSt15iterator_traitsISG_E10value_typeEPNSM_ISH_E10value_typeEPSI_NS1_7vsmem_tEENKUlT_SG_SH_SI_E_clIS7_S7_S7_SB_EESF_SV_SG_SH_SI_EUlSV_E1_NS1_11comp_targetILNS1_3genE10ELNS1_11target_archE1201ELNS1_3gpuE5ELNS1_3repE0EEENS1_36merge_oddeven_config_static_selectorELNS0_4arch9wavefront6targetE1EEEvSH_
; %bb.0:
	.section	.rodata,"a",@progbits
	.p2align	6, 0x0
	.amdhsa_kernel _ZN7rocprim17ROCPRIM_400000_NS6detail17trampoline_kernelINS0_14default_configENS1_38merge_sort_block_merge_config_selectorIllEEZZNS1_27merge_sort_block_merge_implIS3_PlN6thrust23THRUST_200600_302600_NS10device_ptrIlEEjNS1_19radix_merge_compareILb0ELb1ElNS0_19identity_decomposerEEEEE10hipError_tT0_T1_T2_jT3_P12ihipStream_tbPNSt15iterator_traitsISG_E10value_typeEPNSM_ISH_E10value_typeEPSI_NS1_7vsmem_tEENKUlT_SG_SH_SI_E_clIS7_S7_S7_SB_EESF_SV_SG_SH_SI_EUlSV_E1_NS1_11comp_targetILNS1_3genE10ELNS1_11target_archE1201ELNS1_3gpuE5ELNS1_3repE0EEENS1_36merge_oddeven_config_static_selectorELNS0_4arch9wavefront6targetE1EEEvSH_
		.amdhsa_group_segment_fixed_size 0
		.amdhsa_private_segment_fixed_size 0
		.amdhsa_kernarg_size 48
		.amdhsa_user_sgpr_count 6
		.amdhsa_user_sgpr_private_segment_buffer 1
		.amdhsa_user_sgpr_dispatch_ptr 0
		.amdhsa_user_sgpr_queue_ptr 0
		.amdhsa_user_sgpr_kernarg_segment_ptr 1
		.amdhsa_user_sgpr_dispatch_id 0
		.amdhsa_user_sgpr_flat_scratch_init 0
		.amdhsa_user_sgpr_kernarg_preload_length 0
		.amdhsa_user_sgpr_kernarg_preload_offset 0
		.amdhsa_user_sgpr_private_segment_size 0
		.amdhsa_uses_dynamic_stack 0
		.amdhsa_system_sgpr_private_segment_wavefront_offset 0
		.amdhsa_system_sgpr_workgroup_id_x 1
		.amdhsa_system_sgpr_workgroup_id_y 0
		.amdhsa_system_sgpr_workgroup_id_z 0
		.amdhsa_system_sgpr_workgroup_info 0
		.amdhsa_system_vgpr_workitem_id 0
		.amdhsa_next_free_vgpr 1
		.amdhsa_next_free_sgpr 0
		.amdhsa_accum_offset 4
		.amdhsa_reserve_vcc 0
		.amdhsa_reserve_flat_scratch 0
		.amdhsa_float_round_mode_32 0
		.amdhsa_float_round_mode_16_64 0
		.amdhsa_float_denorm_mode_32 3
		.amdhsa_float_denorm_mode_16_64 3
		.amdhsa_dx10_clamp 1
		.amdhsa_ieee_mode 1
		.amdhsa_fp16_overflow 0
		.amdhsa_tg_split 0
		.amdhsa_exception_fp_ieee_invalid_op 0
		.amdhsa_exception_fp_denorm_src 0
		.amdhsa_exception_fp_ieee_div_zero 0
		.amdhsa_exception_fp_ieee_overflow 0
		.amdhsa_exception_fp_ieee_underflow 0
		.amdhsa_exception_fp_ieee_inexact 0
		.amdhsa_exception_int_div_zero 0
	.end_amdhsa_kernel
	.section	.text._ZN7rocprim17ROCPRIM_400000_NS6detail17trampoline_kernelINS0_14default_configENS1_38merge_sort_block_merge_config_selectorIllEEZZNS1_27merge_sort_block_merge_implIS3_PlN6thrust23THRUST_200600_302600_NS10device_ptrIlEEjNS1_19radix_merge_compareILb0ELb1ElNS0_19identity_decomposerEEEEE10hipError_tT0_T1_T2_jT3_P12ihipStream_tbPNSt15iterator_traitsISG_E10value_typeEPNSM_ISH_E10value_typeEPSI_NS1_7vsmem_tEENKUlT_SG_SH_SI_E_clIS7_S7_S7_SB_EESF_SV_SG_SH_SI_EUlSV_E1_NS1_11comp_targetILNS1_3genE10ELNS1_11target_archE1201ELNS1_3gpuE5ELNS1_3repE0EEENS1_36merge_oddeven_config_static_selectorELNS0_4arch9wavefront6targetE1EEEvSH_,"axG",@progbits,_ZN7rocprim17ROCPRIM_400000_NS6detail17trampoline_kernelINS0_14default_configENS1_38merge_sort_block_merge_config_selectorIllEEZZNS1_27merge_sort_block_merge_implIS3_PlN6thrust23THRUST_200600_302600_NS10device_ptrIlEEjNS1_19radix_merge_compareILb0ELb1ElNS0_19identity_decomposerEEEEE10hipError_tT0_T1_T2_jT3_P12ihipStream_tbPNSt15iterator_traitsISG_E10value_typeEPNSM_ISH_E10value_typeEPSI_NS1_7vsmem_tEENKUlT_SG_SH_SI_E_clIS7_S7_S7_SB_EESF_SV_SG_SH_SI_EUlSV_E1_NS1_11comp_targetILNS1_3genE10ELNS1_11target_archE1201ELNS1_3gpuE5ELNS1_3repE0EEENS1_36merge_oddeven_config_static_selectorELNS0_4arch9wavefront6targetE1EEEvSH_,comdat
.Lfunc_end1083:
	.size	_ZN7rocprim17ROCPRIM_400000_NS6detail17trampoline_kernelINS0_14default_configENS1_38merge_sort_block_merge_config_selectorIllEEZZNS1_27merge_sort_block_merge_implIS3_PlN6thrust23THRUST_200600_302600_NS10device_ptrIlEEjNS1_19radix_merge_compareILb0ELb1ElNS0_19identity_decomposerEEEEE10hipError_tT0_T1_T2_jT3_P12ihipStream_tbPNSt15iterator_traitsISG_E10value_typeEPNSM_ISH_E10value_typeEPSI_NS1_7vsmem_tEENKUlT_SG_SH_SI_E_clIS7_S7_S7_SB_EESF_SV_SG_SH_SI_EUlSV_E1_NS1_11comp_targetILNS1_3genE10ELNS1_11target_archE1201ELNS1_3gpuE5ELNS1_3repE0EEENS1_36merge_oddeven_config_static_selectorELNS0_4arch9wavefront6targetE1EEEvSH_, .Lfunc_end1083-_ZN7rocprim17ROCPRIM_400000_NS6detail17trampoline_kernelINS0_14default_configENS1_38merge_sort_block_merge_config_selectorIllEEZZNS1_27merge_sort_block_merge_implIS3_PlN6thrust23THRUST_200600_302600_NS10device_ptrIlEEjNS1_19radix_merge_compareILb0ELb1ElNS0_19identity_decomposerEEEEE10hipError_tT0_T1_T2_jT3_P12ihipStream_tbPNSt15iterator_traitsISG_E10value_typeEPNSM_ISH_E10value_typeEPSI_NS1_7vsmem_tEENKUlT_SG_SH_SI_E_clIS7_S7_S7_SB_EESF_SV_SG_SH_SI_EUlSV_E1_NS1_11comp_targetILNS1_3genE10ELNS1_11target_archE1201ELNS1_3gpuE5ELNS1_3repE0EEENS1_36merge_oddeven_config_static_selectorELNS0_4arch9wavefront6targetE1EEEvSH_
                                        ; -- End function
	.section	.AMDGPU.csdata,"",@progbits
; Kernel info:
; codeLenInByte = 0
; NumSgprs: 4
; NumVgprs: 0
; NumAgprs: 0
; TotalNumVgprs: 0
; ScratchSize: 0
; MemoryBound: 0
; FloatMode: 240
; IeeeMode: 1
; LDSByteSize: 0 bytes/workgroup (compile time only)
; SGPRBlocks: 0
; VGPRBlocks: 0
; NumSGPRsForWavesPerEU: 4
; NumVGPRsForWavesPerEU: 1
; AccumOffset: 4
; Occupancy: 8
; WaveLimiterHint : 0
; COMPUTE_PGM_RSRC2:SCRATCH_EN: 0
; COMPUTE_PGM_RSRC2:USER_SGPR: 6
; COMPUTE_PGM_RSRC2:TRAP_HANDLER: 0
; COMPUTE_PGM_RSRC2:TGID_X_EN: 1
; COMPUTE_PGM_RSRC2:TGID_Y_EN: 0
; COMPUTE_PGM_RSRC2:TGID_Z_EN: 0
; COMPUTE_PGM_RSRC2:TIDIG_COMP_CNT: 0
; COMPUTE_PGM_RSRC3_GFX90A:ACCUM_OFFSET: 0
; COMPUTE_PGM_RSRC3_GFX90A:TG_SPLIT: 0
	.section	.text._ZN7rocprim17ROCPRIM_400000_NS6detail17trampoline_kernelINS0_14default_configENS1_38merge_sort_block_merge_config_selectorIllEEZZNS1_27merge_sort_block_merge_implIS3_PlN6thrust23THRUST_200600_302600_NS10device_ptrIlEEjNS1_19radix_merge_compareILb0ELb1ElNS0_19identity_decomposerEEEEE10hipError_tT0_T1_T2_jT3_P12ihipStream_tbPNSt15iterator_traitsISG_E10value_typeEPNSM_ISH_E10value_typeEPSI_NS1_7vsmem_tEENKUlT_SG_SH_SI_E_clIS7_S7_S7_SB_EESF_SV_SG_SH_SI_EUlSV_E1_NS1_11comp_targetILNS1_3genE5ELNS1_11target_archE942ELNS1_3gpuE9ELNS1_3repE0EEENS1_36merge_oddeven_config_static_selectorELNS0_4arch9wavefront6targetE1EEEvSH_,"axG",@progbits,_ZN7rocprim17ROCPRIM_400000_NS6detail17trampoline_kernelINS0_14default_configENS1_38merge_sort_block_merge_config_selectorIllEEZZNS1_27merge_sort_block_merge_implIS3_PlN6thrust23THRUST_200600_302600_NS10device_ptrIlEEjNS1_19radix_merge_compareILb0ELb1ElNS0_19identity_decomposerEEEEE10hipError_tT0_T1_T2_jT3_P12ihipStream_tbPNSt15iterator_traitsISG_E10value_typeEPNSM_ISH_E10value_typeEPSI_NS1_7vsmem_tEENKUlT_SG_SH_SI_E_clIS7_S7_S7_SB_EESF_SV_SG_SH_SI_EUlSV_E1_NS1_11comp_targetILNS1_3genE5ELNS1_11target_archE942ELNS1_3gpuE9ELNS1_3repE0EEENS1_36merge_oddeven_config_static_selectorELNS0_4arch9wavefront6targetE1EEEvSH_,comdat
	.protected	_ZN7rocprim17ROCPRIM_400000_NS6detail17trampoline_kernelINS0_14default_configENS1_38merge_sort_block_merge_config_selectorIllEEZZNS1_27merge_sort_block_merge_implIS3_PlN6thrust23THRUST_200600_302600_NS10device_ptrIlEEjNS1_19radix_merge_compareILb0ELb1ElNS0_19identity_decomposerEEEEE10hipError_tT0_T1_T2_jT3_P12ihipStream_tbPNSt15iterator_traitsISG_E10value_typeEPNSM_ISH_E10value_typeEPSI_NS1_7vsmem_tEENKUlT_SG_SH_SI_E_clIS7_S7_S7_SB_EESF_SV_SG_SH_SI_EUlSV_E1_NS1_11comp_targetILNS1_3genE5ELNS1_11target_archE942ELNS1_3gpuE9ELNS1_3repE0EEENS1_36merge_oddeven_config_static_selectorELNS0_4arch9wavefront6targetE1EEEvSH_ ; -- Begin function _ZN7rocprim17ROCPRIM_400000_NS6detail17trampoline_kernelINS0_14default_configENS1_38merge_sort_block_merge_config_selectorIllEEZZNS1_27merge_sort_block_merge_implIS3_PlN6thrust23THRUST_200600_302600_NS10device_ptrIlEEjNS1_19radix_merge_compareILb0ELb1ElNS0_19identity_decomposerEEEEE10hipError_tT0_T1_T2_jT3_P12ihipStream_tbPNSt15iterator_traitsISG_E10value_typeEPNSM_ISH_E10value_typeEPSI_NS1_7vsmem_tEENKUlT_SG_SH_SI_E_clIS7_S7_S7_SB_EESF_SV_SG_SH_SI_EUlSV_E1_NS1_11comp_targetILNS1_3genE5ELNS1_11target_archE942ELNS1_3gpuE9ELNS1_3repE0EEENS1_36merge_oddeven_config_static_selectorELNS0_4arch9wavefront6targetE1EEEvSH_
	.globl	_ZN7rocprim17ROCPRIM_400000_NS6detail17trampoline_kernelINS0_14default_configENS1_38merge_sort_block_merge_config_selectorIllEEZZNS1_27merge_sort_block_merge_implIS3_PlN6thrust23THRUST_200600_302600_NS10device_ptrIlEEjNS1_19radix_merge_compareILb0ELb1ElNS0_19identity_decomposerEEEEE10hipError_tT0_T1_T2_jT3_P12ihipStream_tbPNSt15iterator_traitsISG_E10value_typeEPNSM_ISH_E10value_typeEPSI_NS1_7vsmem_tEENKUlT_SG_SH_SI_E_clIS7_S7_S7_SB_EESF_SV_SG_SH_SI_EUlSV_E1_NS1_11comp_targetILNS1_3genE5ELNS1_11target_archE942ELNS1_3gpuE9ELNS1_3repE0EEENS1_36merge_oddeven_config_static_selectorELNS0_4arch9wavefront6targetE1EEEvSH_
	.p2align	8
	.type	_ZN7rocprim17ROCPRIM_400000_NS6detail17trampoline_kernelINS0_14default_configENS1_38merge_sort_block_merge_config_selectorIllEEZZNS1_27merge_sort_block_merge_implIS3_PlN6thrust23THRUST_200600_302600_NS10device_ptrIlEEjNS1_19radix_merge_compareILb0ELb1ElNS0_19identity_decomposerEEEEE10hipError_tT0_T1_T2_jT3_P12ihipStream_tbPNSt15iterator_traitsISG_E10value_typeEPNSM_ISH_E10value_typeEPSI_NS1_7vsmem_tEENKUlT_SG_SH_SI_E_clIS7_S7_S7_SB_EESF_SV_SG_SH_SI_EUlSV_E1_NS1_11comp_targetILNS1_3genE5ELNS1_11target_archE942ELNS1_3gpuE9ELNS1_3repE0EEENS1_36merge_oddeven_config_static_selectorELNS0_4arch9wavefront6targetE1EEEvSH_,@function
_ZN7rocprim17ROCPRIM_400000_NS6detail17trampoline_kernelINS0_14default_configENS1_38merge_sort_block_merge_config_selectorIllEEZZNS1_27merge_sort_block_merge_implIS3_PlN6thrust23THRUST_200600_302600_NS10device_ptrIlEEjNS1_19radix_merge_compareILb0ELb1ElNS0_19identity_decomposerEEEEE10hipError_tT0_T1_T2_jT3_P12ihipStream_tbPNSt15iterator_traitsISG_E10value_typeEPNSM_ISH_E10value_typeEPSI_NS1_7vsmem_tEENKUlT_SG_SH_SI_E_clIS7_S7_S7_SB_EESF_SV_SG_SH_SI_EUlSV_E1_NS1_11comp_targetILNS1_3genE5ELNS1_11target_archE942ELNS1_3gpuE9ELNS1_3repE0EEENS1_36merge_oddeven_config_static_selectorELNS0_4arch9wavefront6targetE1EEEvSH_: ; @_ZN7rocprim17ROCPRIM_400000_NS6detail17trampoline_kernelINS0_14default_configENS1_38merge_sort_block_merge_config_selectorIllEEZZNS1_27merge_sort_block_merge_implIS3_PlN6thrust23THRUST_200600_302600_NS10device_ptrIlEEjNS1_19radix_merge_compareILb0ELb1ElNS0_19identity_decomposerEEEEE10hipError_tT0_T1_T2_jT3_P12ihipStream_tbPNSt15iterator_traitsISG_E10value_typeEPNSM_ISH_E10value_typeEPSI_NS1_7vsmem_tEENKUlT_SG_SH_SI_E_clIS7_S7_S7_SB_EESF_SV_SG_SH_SI_EUlSV_E1_NS1_11comp_targetILNS1_3genE5ELNS1_11target_archE942ELNS1_3gpuE9ELNS1_3repE0EEENS1_36merge_oddeven_config_static_selectorELNS0_4arch9wavefront6targetE1EEEvSH_
; %bb.0:
	.section	.rodata,"a",@progbits
	.p2align	6, 0x0
	.amdhsa_kernel _ZN7rocprim17ROCPRIM_400000_NS6detail17trampoline_kernelINS0_14default_configENS1_38merge_sort_block_merge_config_selectorIllEEZZNS1_27merge_sort_block_merge_implIS3_PlN6thrust23THRUST_200600_302600_NS10device_ptrIlEEjNS1_19radix_merge_compareILb0ELb1ElNS0_19identity_decomposerEEEEE10hipError_tT0_T1_T2_jT3_P12ihipStream_tbPNSt15iterator_traitsISG_E10value_typeEPNSM_ISH_E10value_typeEPSI_NS1_7vsmem_tEENKUlT_SG_SH_SI_E_clIS7_S7_S7_SB_EESF_SV_SG_SH_SI_EUlSV_E1_NS1_11comp_targetILNS1_3genE5ELNS1_11target_archE942ELNS1_3gpuE9ELNS1_3repE0EEENS1_36merge_oddeven_config_static_selectorELNS0_4arch9wavefront6targetE1EEEvSH_
		.amdhsa_group_segment_fixed_size 0
		.amdhsa_private_segment_fixed_size 0
		.amdhsa_kernarg_size 48
		.amdhsa_user_sgpr_count 6
		.amdhsa_user_sgpr_private_segment_buffer 1
		.amdhsa_user_sgpr_dispatch_ptr 0
		.amdhsa_user_sgpr_queue_ptr 0
		.amdhsa_user_sgpr_kernarg_segment_ptr 1
		.amdhsa_user_sgpr_dispatch_id 0
		.amdhsa_user_sgpr_flat_scratch_init 0
		.amdhsa_user_sgpr_kernarg_preload_length 0
		.amdhsa_user_sgpr_kernarg_preload_offset 0
		.amdhsa_user_sgpr_private_segment_size 0
		.amdhsa_uses_dynamic_stack 0
		.amdhsa_system_sgpr_private_segment_wavefront_offset 0
		.amdhsa_system_sgpr_workgroup_id_x 1
		.amdhsa_system_sgpr_workgroup_id_y 0
		.amdhsa_system_sgpr_workgroup_id_z 0
		.amdhsa_system_sgpr_workgroup_info 0
		.amdhsa_system_vgpr_workitem_id 0
		.amdhsa_next_free_vgpr 1
		.amdhsa_next_free_sgpr 0
		.amdhsa_accum_offset 4
		.amdhsa_reserve_vcc 0
		.amdhsa_reserve_flat_scratch 0
		.amdhsa_float_round_mode_32 0
		.amdhsa_float_round_mode_16_64 0
		.amdhsa_float_denorm_mode_32 3
		.amdhsa_float_denorm_mode_16_64 3
		.amdhsa_dx10_clamp 1
		.amdhsa_ieee_mode 1
		.amdhsa_fp16_overflow 0
		.amdhsa_tg_split 0
		.amdhsa_exception_fp_ieee_invalid_op 0
		.amdhsa_exception_fp_denorm_src 0
		.amdhsa_exception_fp_ieee_div_zero 0
		.amdhsa_exception_fp_ieee_overflow 0
		.amdhsa_exception_fp_ieee_underflow 0
		.amdhsa_exception_fp_ieee_inexact 0
		.amdhsa_exception_int_div_zero 0
	.end_amdhsa_kernel
	.section	.text._ZN7rocprim17ROCPRIM_400000_NS6detail17trampoline_kernelINS0_14default_configENS1_38merge_sort_block_merge_config_selectorIllEEZZNS1_27merge_sort_block_merge_implIS3_PlN6thrust23THRUST_200600_302600_NS10device_ptrIlEEjNS1_19radix_merge_compareILb0ELb1ElNS0_19identity_decomposerEEEEE10hipError_tT0_T1_T2_jT3_P12ihipStream_tbPNSt15iterator_traitsISG_E10value_typeEPNSM_ISH_E10value_typeEPSI_NS1_7vsmem_tEENKUlT_SG_SH_SI_E_clIS7_S7_S7_SB_EESF_SV_SG_SH_SI_EUlSV_E1_NS1_11comp_targetILNS1_3genE5ELNS1_11target_archE942ELNS1_3gpuE9ELNS1_3repE0EEENS1_36merge_oddeven_config_static_selectorELNS0_4arch9wavefront6targetE1EEEvSH_,"axG",@progbits,_ZN7rocprim17ROCPRIM_400000_NS6detail17trampoline_kernelINS0_14default_configENS1_38merge_sort_block_merge_config_selectorIllEEZZNS1_27merge_sort_block_merge_implIS3_PlN6thrust23THRUST_200600_302600_NS10device_ptrIlEEjNS1_19radix_merge_compareILb0ELb1ElNS0_19identity_decomposerEEEEE10hipError_tT0_T1_T2_jT3_P12ihipStream_tbPNSt15iterator_traitsISG_E10value_typeEPNSM_ISH_E10value_typeEPSI_NS1_7vsmem_tEENKUlT_SG_SH_SI_E_clIS7_S7_S7_SB_EESF_SV_SG_SH_SI_EUlSV_E1_NS1_11comp_targetILNS1_3genE5ELNS1_11target_archE942ELNS1_3gpuE9ELNS1_3repE0EEENS1_36merge_oddeven_config_static_selectorELNS0_4arch9wavefront6targetE1EEEvSH_,comdat
.Lfunc_end1084:
	.size	_ZN7rocprim17ROCPRIM_400000_NS6detail17trampoline_kernelINS0_14default_configENS1_38merge_sort_block_merge_config_selectorIllEEZZNS1_27merge_sort_block_merge_implIS3_PlN6thrust23THRUST_200600_302600_NS10device_ptrIlEEjNS1_19radix_merge_compareILb0ELb1ElNS0_19identity_decomposerEEEEE10hipError_tT0_T1_T2_jT3_P12ihipStream_tbPNSt15iterator_traitsISG_E10value_typeEPNSM_ISH_E10value_typeEPSI_NS1_7vsmem_tEENKUlT_SG_SH_SI_E_clIS7_S7_S7_SB_EESF_SV_SG_SH_SI_EUlSV_E1_NS1_11comp_targetILNS1_3genE5ELNS1_11target_archE942ELNS1_3gpuE9ELNS1_3repE0EEENS1_36merge_oddeven_config_static_selectorELNS0_4arch9wavefront6targetE1EEEvSH_, .Lfunc_end1084-_ZN7rocprim17ROCPRIM_400000_NS6detail17trampoline_kernelINS0_14default_configENS1_38merge_sort_block_merge_config_selectorIllEEZZNS1_27merge_sort_block_merge_implIS3_PlN6thrust23THRUST_200600_302600_NS10device_ptrIlEEjNS1_19radix_merge_compareILb0ELb1ElNS0_19identity_decomposerEEEEE10hipError_tT0_T1_T2_jT3_P12ihipStream_tbPNSt15iterator_traitsISG_E10value_typeEPNSM_ISH_E10value_typeEPSI_NS1_7vsmem_tEENKUlT_SG_SH_SI_E_clIS7_S7_S7_SB_EESF_SV_SG_SH_SI_EUlSV_E1_NS1_11comp_targetILNS1_3genE5ELNS1_11target_archE942ELNS1_3gpuE9ELNS1_3repE0EEENS1_36merge_oddeven_config_static_selectorELNS0_4arch9wavefront6targetE1EEEvSH_
                                        ; -- End function
	.section	.AMDGPU.csdata,"",@progbits
; Kernel info:
; codeLenInByte = 0
; NumSgprs: 4
; NumVgprs: 0
; NumAgprs: 0
; TotalNumVgprs: 0
; ScratchSize: 0
; MemoryBound: 0
; FloatMode: 240
; IeeeMode: 1
; LDSByteSize: 0 bytes/workgroup (compile time only)
; SGPRBlocks: 0
; VGPRBlocks: 0
; NumSGPRsForWavesPerEU: 4
; NumVGPRsForWavesPerEU: 1
; AccumOffset: 4
; Occupancy: 8
; WaveLimiterHint : 0
; COMPUTE_PGM_RSRC2:SCRATCH_EN: 0
; COMPUTE_PGM_RSRC2:USER_SGPR: 6
; COMPUTE_PGM_RSRC2:TRAP_HANDLER: 0
; COMPUTE_PGM_RSRC2:TGID_X_EN: 1
; COMPUTE_PGM_RSRC2:TGID_Y_EN: 0
; COMPUTE_PGM_RSRC2:TGID_Z_EN: 0
; COMPUTE_PGM_RSRC2:TIDIG_COMP_CNT: 0
; COMPUTE_PGM_RSRC3_GFX90A:ACCUM_OFFSET: 0
; COMPUTE_PGM_RSRC3_GFX90A:TG_SPLIT: 0
	.section	.text._ZN7rocprim17ROCPRIM_400000_NS6detail17trampoline_kernelINS0_14default_configENS1_38merge_sort_block_merge_config_selectorIllEEZZNS1_27merge_sort_block_merge_implIS3_PlN6thrust23THRUST_200600_302600_NS10device_ptrIlEEjNS1_19radix_merge_compareILb0ELb1ElNS0_19identity_decomposerEEEEE10hipError_tT0_T1_T2_jT3_P12ihipStream_tbPNSt15iterator_traitsISG_E10value_typeEPNSM_ISH_E10value_typeEPSI_NS1_7vsmem_tEENKUlT_SG_SH_SI_E_clIS7_S7_S7_SB_EESF_SV_SG_SH_SI_EUlSV_E1_NS1_11comp_targetILNS1_3genE4ELNS1_11target_archE910ELNS1_3gpuE8ELNS1_3repE0EEENS1_36merge_oddeven_config_static_selectorELNS0_4arch9wavefront6targetE1EEEvSH_,"axG",@progbits,_ZN7rocprim17ROCPRIM_400000_NS6detail17trampoline_kernelINS0_14default_configENS1_38merge_sort_block_merge_config_selectorIllEEZZNS1_27merge_sort_block_merge_implIS3_PlN6thrust23THRUST_200600_302600_NS10device_ptrIlEEjNS1_19radix_merge_compareILb0ELb1ElNS0_19identity_decomposerEEEEE10hipError_tT0_T1_T2_jT3_P12ihipStream_tbPNSt15iterator_traitsISG_E10value_typeEPNSM_ISH_E10value_typeEPSI_NS1_7vsmem_tEENKUlT_SG_SH_SI_E_clIS7_S7_S7_SB_EESF_SV_SG_SH_SI_EUlSV_E1_NS1_11comp_targetILNS1_3genE4ELNS1_11target_archE910ELNS1_3gpuE8ELNS1_3repE0EEENS1_36merge_oddeven_config_static_selectorELNS0_4arch9wavefront6targetE1EEEvSH_,comdat
	.protected	_ZN7rocprim17ROCPRIM_400000_NS6detail17trampoline_kernelINS0_14default_configENS1_38merge_sort_block_merge_config_selectorIllEEZZNS1_27merge_sort_block_merge_implIS3_PlN6thrust23THRUST_200600_302600_NS10device_ptrIlEEjNS1_19radix_merge_compareILb0ELb1ElNS0_19identity_decomposerEEEEE10hipError_tT0_T1_T2_jT3_P12ihipStream_tbPNSt15iterator_traitsISG_E10value_typeEPNSM_ISH_E10value_typeEPSI_NS1_7vsmem_tEENKUlT_SG_SH_SI_E_clIS7_S7_S7_SB_EESF_SV_SG_SH_SI_EUlSV_E1_NS1_11comp_targetILNS1_3genE4ELNS1_11target_archE910ELNS1_3gpuE8ELNS1_3repE0EEENS1_36merge_oddeven_config_static_selectorELNS0_4arch9wavefront6targetE1EEEvSH_ ; -- Begin function _ZN7rocprim17ROCPRIM_400000_NS6detail17trampoline_kernelINS0_14default_configENS1_38merge_sort_block_merge_config_selectorIllEEZZNS1_27merge_sort_block_merge_implIS3_PlN6thrust23THRUST_200600_302600_NS10device_ptrIlEEjNS1_19radix_merge_compareILb0ELb1ElNS0_19identity_decomposerEEEEE10hipError_tT0_T1_T2_jT3_P12ihipStream_tbPNSt15iterator_traitsISG_E10value_typeEPNSM_ISH_E10value_typeEPSI_NS1_7vsmem_tEENKUlT_SG_SH_SI_E_clIS7_S7_S7_SB_EESF_SV_SG_SH_SI_EUlSV_E1_NS1_11comp_targetILNS1_3genE4ELNS1_11target_archE910ELNS1_3gpuE8ELNS1_3repE0EEENS1_36merge_oddeven_config_static_selectorELNS0_4arch9wavefront6targetE1EEEvSH_
	.globl	_ZN7rocprim17ROCPRIM_400000_NS6detail17trampoline_kernelINS0_14default_configENS1_38merge_sort_block_merge_config_selectorIllEEZZNS1_27merge_sort_block_merge_implIS3_PlN6thrust23THRUST_200600_302600_NS10device_ptrIlEEjNS1_19radix_merge_compareILb0ELb1ElNS0_19identity_decomposerEEEEE10hipError_tT0_T1_T2_jT3_P12ihipStream_tbPNSt15iterator_traitsISG_E10value_typeEPNSM_ISH_E10value_typeEPSI_NS1_7vsmem_tEENKUlT_SG_SH_SI_E_clIS7_S7_S7_SB_EESF_SV_SG_SH_SI_EUlSV_E1_NS1_11comp_targetILNS1_3genE4ELNS1_11target_archE910ELNS1_3gpuE8ELNS1_3repE0EEENS1_36merge_oddeven_config_static_selectorELNS0_4arch9wavefront6targetE1EEEvSH_
	.p2align	8
	.type	_ZN7rocprim17ROCPRIM_400000_NS6detail17trampoline_kernelINS0_14default_configENS1_38merge_sort_block_merge_config_selectorIllEEZZNS1_27merge_sort_block_merge_implIS3_PlN6thrust23THRUST_200600_302600_NS10device_ptrIlEEjNS1_19radix_merge_compareILb0ELb1ElNS0_19identity_decomposerEEEEE10hipError_tT0_T1_T2_jT3_P12ihipStream_tbPNSt15iterator_traitsISG_E10value_typeEPNSM_ISH_E10value_typeEPSI_NS1_7vsmem_tEENKUlT_SG_SH_SI_E_clIS7_S7_S7_SB_EESF_SV_SG_SH_SI_EUlSV_E1_NS1_11comp_targetILNS1_3genE4ELNS1_11target_archE910ELNS1_3gpuE8ELNS1_3repE0EEENS1_36merge_oddeven_config_static_selectorELNS0_4arch9wavefront6targetE1EEEvSH_,@function
_ZN7rocprim17ROCPRIM_400000_NS6detail17trampoline_kernelINS0_14default_configENS1_38merge_sort_block_merge_config_selectorIllEEZZNS1_27merge_sort_block_merge_implIS3_PlN6thrust23THRUST_200600_302600_NS10device_ptrIlEEjNS1_19radix_merge_compareILb0ELb1ElNS0_19identity_decomposerEEEEE10hipError_tT0_T1_T2_jT3_P12ihipStream_tbPNSt15iterator_traitsISG_E10value_typeEPNSM_ISH_E10value_typeEPSI_NS1_7vsmem_tEENKUlT_SG_SH_SI_E_clIS7_S7_S7_SB_EESF_SV_SG_SH_SI_EUlSV_E1_NS1_11comp_targetILNS1_3genE4ELNS1_11target_archE910ELNS1_3gpuE8ELNS1_3repE0EEENS1_36merge_oddeven_config_static_selectorELNS0_4arch9wavefront6targetE1EEEvSH_: ; @_ZN7rocprim17ROCPRIM_400000_NS6detail17trampoline_kernelINS0_14default_configENS1_38merge_sort_block_merge_config_selectorIllEEZZNS1_27merge_sort_block_merge_implIS3_PlN6thrust23THRUST_200600_302600_NS10device_ptrIlEEjNS1_19radix_merge_compareILb0ELb1ElNS0_19identity_decomposerEEEEE10hipError_tT0_T1_T2_jT3_P12ihipStream_tbPNSt15iterator_traitsISG_E10value_typeEPNSM_ISH_E10value_typeEPSI_NS1_7vsmem_tEENKUlT_SG_SH_SI_E_clIS7_S7_S7_SB_EESF_SV_SG_SH_SI_EUlSV_E1_NS1_11comp_targetILNS1_3genE4ELNS1_11target_archE910ELNS1_3gpuE8ELNS1_3repE0EEENS1_36merge_oddeven_config_static_selectorELNS0_4arch9wavefront6targetE1EEEvSH_
; %bb.0:
	s_load_dword s21, s[4:5], 0x20
	s_waitcnt lgkmcnt(0)
	s_lshr_b32 s2, s21, 8
	s_cmp_lg_u32 s6, s2
	s_cselect_b64 s[0:1], -1, 0
	s_cmp_eq_u32 s6, s2
	s_cselect_b64 s[16:17], -1, 0
	s_lshl_b32 s18, s6, 8
	s_sub_i32 s2, s21, s18
	v_cmp_gt_u32_e64 s[2:3], s2, v0
	s_or_b64 s[0:1], s[0:1], s[2:3]
	s_and_saveexec_b64 s[8:9], s[0:1]
	s_cbranch_execz .LBB1085_26
; %bb.1:
	s_load_dwordx8 s[8:15], s[4:5], 0x0
	s_mov_b32 s19, 0
	s_lshl_b64 s[0:1], s[18:19], 3
	v_lshlrev_b32_e32 v1, 3, v0
	v_add_u32_e32 v6, s18, v0
	s_waitcnt lgkmcnt(0)
	s_add_u32 s22, s8, s0
	s_addc_u32 s23, s9, s1
	s_add_u32 s0, s12, s0
	s_addc_u32 s1, s13, s1
	global_load_dwordx2 v[2:3], v1, s[0:1]
	global_load_dwordx2 v[4:5], v1, s[22:23]
	s_load_dword s22, s[4:5], 0x24
	s_waitcnt lgkmcnt(0)
	s_lshr_b32 s0, s22, 8
	s_sub_i32 s1, 0, s0
	s_and_b32 s1, s6, s1
	s_and_b32 s0, s1, s0
	s_lshl_b32 s23, s1, 8
	s_sub_i32 s12, 0, s22
	s_cmp_eq_u32 s0, 0
	s_cselect_b64 s[0:1], -1, 0
	s_and_b64 s[6:7], s[0:1], exec
	s_cselect_b32 s20, s22, s12
	s_add_i32 s20, s20, s23
	s_cmp_lt_u32 s20, s21
	s_cbranch_scc1 .LBB1085_6
; %bb.2:
	s_and_b64 vcc, exec, s[16:17]
	s_cbranch_vccz .LBB1085_7
; %bb.3:
	v_cmp_gt_u32_e32 vcc, s21, v6
	s_mov_b64 s[12:13], 0
	s_mov_b64 s[6:7], 0
                                        ; implicit-def: $vgpr0_vgpr1
	s_and_saveexec_b64 s[18:19], vcc
	s_cbranch_execz .LBB1085_5
; %bb.4:
	v_mov_b32_e32 v7, 0
	v_lshlrev_b64 v[8:9], 3, v[6:7]
	v_mov_b32_e32 v1, s15
	v_add_co_u32_e32 v0, vcc, s14, v8
	v_addc_co_u32_e32 v1, vcc, v1, v9, vcc
	v_mov_b32_e32 v7, s11
	v_add_co_u32_e32 v8, vcc, s10, v8
	s_mov_b64 s[6:7], exec
	v_addc_co_u32_e32 v9, vcc, v7, v9, vcc
	s_waitcnt vmcnt(0)
	global_store_dwordx2 v[8:9], v[4:5], off
.LBB1085_5:
	s_or_b64 exec, exec, s[18:19]
	s_and_b64 vcc, exec, s[12:13]
	s_cbranch_vccnz .LBB1085_8
	s_branch .LBB1085_9
.LBB1085_6:
	s_mov_b64 s[6:7], 0
                                        ; implicit-def: $vgpr0_vgpr1
	s_cbranch_execnz .LBB1085_10
	s_branch .LBB1085_24
.LBB1085_7:
	s_mov_b64 s[6:7], 0
                                        ; implicit-def: $vgpr0_vgpr1
	s_cbranch_execz .LBB1085_9
.LBB1085_8:
	v_mov_b32_e32 v7, 0
	v_lshlrev_b64 v[0:1], 3, v[6:7]
	v_mov_b32_e32 v7, s11
	v_add_co_u32_e32 v8, vcc, s10, v0
	v_addc_co_u32_e32 v9, vcc, v7, v1, vcc
	v_mov_b32_e32 v7, s15
	v_add_co_u32_e32 v0, vcc, s14, v0
	v_addc_co_u32_e32 v1, vcc, v7, v1, vcc
	s_or_b64 s[6:7], s[6:7], exec
	s_waitcnt vmcnt(0)
	global_store_dwordx2 v[8:9], v[4:5], off
.LBB1085_9:
	s_branch .LBB1085_24
.LBB1085_10:
	s_load_dwordx2 s[4:5], s[4:5], 0x28
	s_min_u32 s18, s20, s21
	s_add_i32 s12, s18, s22
	s_min_u32 s19, s12, s21
	s_min_u32 s12, s23, s18
	s_add_i32 s23, s23, s18
	v_subrev_u32_e32 v0, s23, v6
	v_add_u32_e32 v8, s12, v0
	s_and_b64 vcc, exec, s[16:17]
	s_cbranch_vccz .LBB1085_18
; %bb.11:
                                        ; implicit-def: $vgpr0_vgpr1
	s_and_saveexec_b64 s[12:13], s[2:3]
	s_cbranch_execz .LBB1085_17
; %bb.12:
	s_cmp_ge_u32 s20, s19
	v_mov_b32_e32 v9, s18
	s_cbranch_scc1 .LBB1085_16
; %bb.13:
	s_waitcnt vmcnt(0) lgkmcnt(0)
	v_and_b32_e32 v1, s5, v5
	v_and_b32_e32 v0, s4, v4
	s_mov_b64 s[2:3], 0
	v_mov_b32_e32 v10, s19
	v_mov_b32_e32 v9, s18
	;; [unrolled: 1-line block ×4, first 2 shown]
.LBB1085_14:                            ; =>This Inner Loop Header: Depth=1
	v_add_u32_e32 v6, v9, v10
	v_lshrrev_b32_e32 v6, 1, v6
	v_lshlrev_b64 v[12:13], 3, v[6:7]
	v_add_co_u32_e32 v12, vcc, s8, v12
	v_addc_co_u32_e32 v13, vcc, v11, v13, vcc
	global_load_dwordx2 v[12:13], v[12:13], off
	v_add_u32_e32 v14, 1, v6
	s_waitcnt vmcnt(0)
	v_and_b32_e32 v13, s5, v13
	v_and_b32_e32 v12, s4, v12
	v_cmp_gt_i64_e32 vcc, v[0:1], v[12:13]
	v_cndmask_b32_e64 v15, 0, 1, vcc
	v_cmp_le_i64_e32 vcc, v[12:13], v[0:1]
	v_cndmask_b32_e64 v12, 0, 1, vcc
	v_cndmask_b32_e64 v12, v12, v15, s[0:1]
	v_and_b32_e32 v12, 1, v12
	v_cmp_eq_u32_e32 vcc, 1, v12
	v_cndmask_b32_e32 v10, v6, v10, vcc
	v_cndmask_b32_e32 v9, v9, v14, vcc
	v_cmp_ge_u32_e32 vcc, v9, v10
	s_or_b64 s[2:3], vcc, s[2:3]
	s_andn2_b64 exec, exec, s[2:3]
	s_cbranch_execnz .LBB1085_14
; %bb.15:
	s_or_b64 exec, exec, s[2:3]
.LBB1085_16:
	v_add_u32_e32 v0, v9, v8
	v_mov_b32_e32 v1, 0
	v_lshlrev_b64 v[0:1], 3, v[0:1]
	v_mov_b32_e32 v7, s11
	v_add_co_u32_e32 v6, vcc, s10, v0
	v_addc_co_u32_e32 v7, vcc, v7, v1, vcc
	s_waitcnt vmcnt(0)
	global_store_dwordx2 v[6:7], v[4:5], off
	v_mov_b32_e32 v6, s15
	v_add_co_u32_e32 v0, vcc, s14, v0
	v_addc_co_u32_e32 v1, vcc, v6, v1, vcc
	s_or_b64 s[6:7], s[6:7], exec
.LBB1085_17:
	s_or_b64 exec, exec, s[12:13]
	s_branch .LBB1085_24
.LBB1085_18:
                                        ; implicit-def: $vgpr0_vgpr1
	s_cbranch_execz .LBB1085_24
; %bb.19:
	s_cmp_ge_u32 s20, s19
	v_mov_b32_e32 v9, s18
	s_cbranch_scc1 .LBB1085_23
; %bb.20:
	s_waitcnt vmcnt(0) lgkmcnt(0)
	v_and_b32_e32 v1, s5, v5
	v_and_b32_e32 v0, s4, v4
	s_mov_b64 s[2:3], 0
	v_mov_b32_e32 v10, s19
	v_mov_b32_e32 v9, s18
	;; [unrolled: 1-line block ×4, first 2 shown]
.LBB1085_21:                            ; =>This Inner Loop Header: Depth=1
	v_add_u32_e32 v6, v9, v10
	v_lshrrev_b32_e32 v6, 1, v6
	v_lshlrev_b64 v[12:13], 3, v[6:7]
	v_add_co_u32_e32 v12, vcc, s8, v12
	v_addc_co_u32_e32 v13, vcc, v11, v13, vcc
	global_load_dwordx2 v[12:13], v[12:13], off
	v_add_u32_e32 v14, 1, v6
	s_waitcnt vmcnt(0)
	v_and_b32_e32 v13, s5, v13
	v_and_b32_e32 v12, s4, v12
	v_cmp_gt_i64_e32 vcc, v[0:1], v[12:13]
	v_cndmask_b32_e64 v15, 0, 1, vcc
	v_cmp_le_i64_e32 vcc, v[12:13], v[0:1]
	v_cndmask_b32_e64 v12, 0, 1, vcc
	v_cndmask_b32_e64 v12, v12, v15, s[0:1]
	v_and_b32_e32 v12, 1, v12
	v_cmp_eq_u32_e32 vcc, 1, v12
	v_cndmask_b32_e32 v10, v6, v10, vcc
	v_cndmask_b32_e32 v9, v9, v14, vcc
	v_cmp_ge_u32_e32 vcc, v9, v10
	s_or_b64 s[2:3], vcc, s[2:3]
	s_andn2_b64 exec, exec, s[2:3]
	s_cbranch_execnz .LBB1085_21
; %bb.22:
	s_or_b64 exec, exec, s[2:3]
.LBB1085_23:
	v_add_u32_e32 v0, v9, v8
	v_mov_b32_e32 v1, 0
	v_lshlrev_b64 v[0:1], 3, v[0:1]
	v_mov_b32_e32 v7, s11
	v_add_co_u32_e32 v6, vcc, s10, v0
	v_addc_co_u32_e32 v7, vcc, v7, v1, vcc
	s_waitcnt vmcnt(0)
	global_store_dwordx2 v[6:7], v[4:5], off
	v_mov_b32_e32 v4, s15
	v_add_co_u32_e32 v0, vcc, s14, v0
	v_addc_co_u32_e32 v1, vcc, v4, v1, vcc
	s_mov_b64 s[6:7], -1
.LBB1085_24:
	s_and_b64 exec, exec, s[6:7]
	s_cbranch_execz .LBB1085_26
; %bb.25:
	s_waitcnt vmcnt(1)
	global_store_dwordx2 v[0:1], v[2:3], off
.LBB1085_26:
	s_endpgm
	.section	.rodata,"a",@progbits
	.p2align	6, 0x0
	.amdhsa_kernel _ZN7rocprim17ROCPRIM_400000_NS6detail17trampoline_kernelINS0_14default_configENS1_38merge_sort_block_merge_config_selectorIllEEZZNS1_27merge_sort_block_merge_implIS3_PlN6thrust23THRUST_200600_302600_NS10device_ptrIlEEjNS1_19radix_merge_compareILb0ELb1ElNS0_19identity_decomposerEEEEE10hipError_tT0_T1_T2_jT3_P12ihipStream_tbPNSt15iterator_traitsISG_E10value_typeEPNSM_ISH_E10value_typeEPSI_NS1_7vsmem_tEENKUlT_SG_SH_SI_E_clIS7_S7_S7_SB_EESF_SV_SG_SH_SI_EUlSV_E1_NS1_11comp_targetILNS1_3genE4ELNS1_11target_archE910ELNS1_3gpuE8ELNS1_3repE0EEENS1_36merge_oddeven_config_static_selectorELNS0_4arch9wavefront6targetE1EEEvSH_
		.amdhsa_group_segment_fixed_size 0
		.amdhsa_private_segment_fixed_size 0
		.amdhsa_kernarg_size 48
		.amdhsa_user_sgpr_count 6
		.amdhsa_user_sgpr_private_segment_buffer 1
		.amdhsa_user_sgpr_dispatch_ptr 0
		.amdhsa_user_sgpr_queue_ptr 0
		.amdhsa_user_sgpr_kernarg_segment_ptr 1
		.amdhsa_user_sgpr_dispatch_id 0
		.amdhsa_user_sgpr_flat_scratch_init 0
		.amdhsa_user_sgpr_kernarg_preload_length 0
		.amdhsa_user_sgpr_kernarg_preload_offset 0
		.amdhsa_user_sgpr_private_segment_size 0
		.amdhsa_uses_dynamic_stack 0
		.amdhsa_system_sgpr_private_segment_wavefront_offset 0
		.amdhsa_system_sgpr_workgroup_id_x 1
		.amdhsa_system_sgpr_workgroup_id_y 0
		.amdhsa_system_sgpr_workgroup_id_z 0
		.amdhsa_system_sgpr_workgroup_info 0
		.amdhsa_system_vgpr_workitem_id 0
		.amdhsa_next_free_vgpr 16
		.amdhsa_next_free_sgpr 24
		.amdhsa_accum_offset 16
		.amdhsa_reserve_vcc 1
		.amdhsa_reserve_flat_scratch 0
		.amdhsa_float_round_mode_32 0
		.amdhsa_float_round_mode_16_64 0
		.amdhsa_float_denorm_mode_32 3
		.amdhsa_float_denorm_mode_16_64 3
		.amdhsa_dx10_clamp 1
		.amdhsa_ieee_mode 1
		.amdhsa_fp16_overflow 0
		.amdhsa_tg_split 0
		.amdhsa_exception_fp_ieee_invalid_op 0
		.amdhsa_exception_fp_denorm_src 0
		.amdhsa_exception_fp_ieee_div_zero 0
		.amdhsa_exception_fp_ieee_overflow 0
		.amdhsa_exception_fp_ieee_underflow 0
		.amdhsa_exception_fp_ieee_inexact 0
		.amdhsa_exception_int_div_zero 0
	.end_amdhsa_kernel
	.section	.text._ZN7rocprim17ROCPRIM_400000_NS6detail17trampoline_kernelINS0_14default_configENS1_38merge_sort_block_merge_config_selectorIllEEZZNS1_27merge_sort_block_merge_implIS3_PlN6thrust23THRUST_200600_302600_NS10device_ptrIlEEjNS1_19radix_merge_compareILb0ELb1ElNS0_19identity_decomposerEEEEE10hipError_tT0_T1_T2_jT3_P12ihipStream_tbPNSt15iterator_traitsISG_E10value_typeEPNSM_ISH_E10value_typeEPSI_NS1_7vsmem_tEENKUlT_SG_SH_SI_E_clIS7_S7_S7_SB_EESF_SV_SG_SH_SI_EUlSV_E1_NS1_11comp_targetILNS1_3genE4ELNS1_11target_archE910ELNS1_3gpuE8ELNS1_3repE0EEENS1_36merge_oddeven_config_static_selectorELNS0_4arch9wavefront6targetE1EEEvSH_,"axG",@progbits,_ZN7rocprim17ROCPRIM_400000_NS6detail17trampoline_kernelINS0_14default_configENS1_38merge_sort_block_merge_config_selectorIllEEZZNS1_27merge_sort_block_merge_implIS3_PlN6thrust23THRUST_200600_302600_NS10device_ptrIlEEjNS1_19radix_merge_compareILb0ELb1ElNS0_19identity_decomposerEEEEE10hipError_tT0_T1_T2_jT3_P12ihipStream_tbPNSt15iterator_traitsISG_E10value_typeEPNSM_ISH_E10value_typeEPSI_NS1_7vsmem_tEENKUlT_SG_SH_SI_E_clIS7_S7_S7_SB_EESF_SV_SG_SH_SI_EUlSV_E1_NS1_11comp_targetILNS1_3genE4ELNS1_11target_archE910ELNS1_3gpuE8ELNS1_3repE0EEENS1_36merge_oddeven_config_static_selectorELNS0_4arch9wavefront6targetE1EEEvSH_,comdat
.Lfunc_end1085:
	.size	_ZN7rocprim17ROCPRIM_400000_NS6detail17trampoline_kernelINS0_14default_configENS1_38merge_sort_block_merge_config_selectorIllEEZZNS1_27merge_sort_block_merge_implIS3_PlN6thrust23THRUST_200600_302600_NS10device_ptrIlEEjNS1_19radix_merge_compareILb0ELb1ElNS0_19identity_decomposerEEEEE10hipError_tT0_T1_T2_jT3_P12ihipStream_tbPNSt15iterator_traitsISG_E10value_typeEPNSM_ISH_E10value_typeEPSI_NS1_7vsmem_tEENKUlT_SG_SH_SI_E_clIS7_S7_S7_SB_EESF_SV_SG_SH_SI_EUlSV_E1_NS1_11comp_targetILNS1_3genE4ELNS1_11target_archE910ELNS1_3gpuE8ELNS1_3repE0EEENS1_36merge_oddeven_config_static_selectorELNS0_4arch9wavefront6targetE1EEEvSH_, .Lfunc_end1085-_ZN7rocprim17ROCPRIM_400000_NS6detail17trampoline_kernelINS0_14default_configENS1_38merge_sort_block_merge_config_selectorIllEEZZNS1_27merge_sort_block_merge_implIS3_PlN6thrust23THRUST_200600_302600_NS10device_ptrIlEEjNS1_19radix_merge_compareILb0ELb1ElNS0_19identity_decomposerEEEEE10hipError_tT0_T1_T2_jT3_P12ihipStream_tbPNSt15iterator_traitsISG_E10value_typeEPNSM_ISH_E10value_typeEPSI_NS1_7vsmem_tEENKUlT_SG_SH_SI_E_clIS7_S7_S7_SB_EESF_SV_SG_SH_SI_EUlSV_E1_NS1_11comp_targetILNS1_3genE4ELNS1_11target_archE910ELNS1_3gpuE8ELNS1_3repE0EEENS1_36merge_oddeven_config_static_selectorELNS0_4arch9wavefront6targetE1EEEvSH_
                                        ; -- End function
	.section	.AMDGPU.csdata,"",@progbits
; Kernel info:
; codeLenInByte = 876
; NumSgprs: 28
; NumVgprs: 16
; NumAgprs: 0
; TotalNumVgprs: 16
; ScratchSize: 0
; MemoryBound: 0
; FloatMode: 240
; IeeeMode: 1
; LDSByteSize: 0 bytes/workgroup (compile time only)
; SGPRBlocks: 3
; VGPRBlocks: 1
; NumSGPRsForWavesPerEU: 28
; NumVGPRsForWavesPerEU: 16
; AccumOffset: 16
; Occupancy: 8
; WaveLimiterHint : 0
; COMPUTE_PGM_RSRC2:SCRATCH_EN: 0
; COMPUTE_PGM_RSRC2:USER_SGPR: 6
; COMPUTE_PGM_RSRC2:TRAP_HANDLER: 0
; COMPUTE_PGM_RSRC2:TGID_X_EN: 1
; COMPUTE_PGM_RSRC2:TGID_Y_EN: 0
; COMPUTE_PGM_RSRC2:TGID_Z_EN: 0
; COMPUTE_PGM_RSRC2:TIDIG_COMP_CNT: 0
; COMPUTE_PGM_RSRC3_GFX90A:ACCUM_OFFSET: 3
; COMPUTE_PGM_RSRC3_GFX90A:TG_SPLIT: 0
	.section	.text._ZN7rocprim17ROCPRIM_400000_NS6detail17trampoline_kernelINS0_14default_configENS1_38merge_sort_block_merge_config_selectorIllEEZZNS1_27merge_sort_block_merge_implIS3_PlN6thrust23THRUST_200600_302600_NS10device_ptrIlEEjNS1_19radix_merge_compareILb0ELb1ElNS0_19identity_decomposerEEEEE10hipError_tT0_T1_T2_jT3_P12ihipStream_tbPNSt15iterator_traitsISG_E10value_typeEPNSM_ISH_E10value_typeEPSI_NS1_7vsmem_tEENKUlT_SG_SH_SI_E_clIS7_S7_S7_SB_EESF_SV_SG_SH_SI_EUlSV_E1_NS1_11comp_targetILNS1_3genE3ELNS1_11target_archE908ELNS1_3gpuE7ELNS1_3repE0EEENS1_36merge_oddeven_config_static_selectorELNS0_4arch9wavefront6targetE1EEEvSH_,"axG",@progbits,_ZN7rocprim17ROCPRIM_400000_NS6detail17trampoline_kernelINS0_14default_configENS1_38merge_sort_block_merge_config_selectorIllEEZZNS1_27merge_sort_block_merge_implIS3_PlN6thrust23THRUST_200600_302600_NS10device_ptrIlEEjNS1_19radix_merge_compareILb0ELb1ElNS0_19identity_decomposerEEEEE10hipError_tT0_T1_T2_jT3_P12ihipStream_tbPNSt15iterator_traitsISG_E10value_typeEPNSM_ISH_E10value_typeEPSI_NS1_7vsmem_tEENKUlT_SG_SH_SI_E_clIS7_S7_S7_SB_EESF_SV_SG_SH_SI_EUlSV_E1_NS1_11comp_targetILNS1_3genE3ELNS1_11target_archE908ELNS1_3gpuE7ELNS1_3repE0EEENS1_36merge_oddeven_config_static_selectorELNS0_4arch9wavefront6targetE1EEEvSH_,comdat
	.protected	_ZN7rocprim17ROCPRIM_400000_NS6detail17trampoline_kernelINS0_14default_configENS1_38merge_sort_block_merge_config_selectorIllEEZZNS1_27merge_sort_block_merge_implIS3_PlN6thrust23THRUST_200600_302600_NS10device_ptrIlEEjNS1_19radix_merge_compareILb0ELb1ElNS0_19identity_decomposerEEEEE10hipError_tT0_T1_T2_jT3_P12ihipStream_tbPNSt15iterator_traitsISG_E10value_typeEPNSM_ISH_E10value_typeEPSI_NS1_7vsmem_tEENKUlT_SG_SH_SI_E_clIS7_S7_S7_SB_EESF_SV_SG_SH_SI_EUlSV_E1_NS1_11comp_targetILNS1_3genE3ELNS1_11target_archE908ELNS1_3gpuE7ELNS1_3repE0EEENS1_36merge_oddeven_config_static_selectorELNS0_4arch9wavefront6targetE1EEEvSH_ ; -- Begin function _ZN7rocprim17ROCPRIM_400000_NS6detail17trampoline_kernelINS0_14default_configENS1_38merge_sort_block_merge_config_selectorIllEEZZNS1_27merge_sort_block_merge_implIS3_PlN6thrust23THRUST_200600_302600_NS10device_ptrIlEEjNS1_19radix_merge_compareILb0ELb1ElNS0_19identity_decomposerEEEEE10hipError_tT0_T1_T2_jT3_P12ihipStream_tbPNSt15iterator_traitsISG_E10value_typeEPNSM_ISH_E10value_typeEPSI_NS1_7vsmem_tEENKUlT_SG_SH_SI_E_clIS7_S7_S7_SB_EESF_SV_SG_SH_SI_EUlSV_E1_NS1_11comp_targetILNS1_3genE3ELNS1_11target_archE908ELNS1_3gpuE7ELNS1_3repE0EEENS1_36merge_oddeven_config_static_selectorELNS0_4arch9wavefront6targetE1EEEvSH_
	.globl	_ZN7rocprim17ROCPRIM_400000_NS6detail17trampoline_kernelINS0_14default_configENS1_38merge_sort_block_merge_config_selectorIllEEZZNS1_27merge_sort_block_merge_implIS3_PlN6thrust23THRUST_200600_302600_NS10device_ptrIlEEjNS1_19radix_merge_compareILb0ELb1ElNS0_19identity_decomposerEEEEE10hipError_tT0_T1_T2_jT3_P12ihipStream_tbPNSt15iterator_traitsISG_E10value_typeEPNSM_ISH_E10value_typeEPSI_NS1_7vsmem_tEENKUlT_SG_SH_SI_E_clIS7_S7_S7_SB_EESF_SV_SG_SH_SI_EUlSV_E1_NS1_11comp_targetILNS1_3genE3ELNS1_11target_archE908ELNS1_3gpuE7ELNS1_3repE0EEENS1_36merge_oddeven_config_static_selectorELNS0_4arch9wavefront6targetE1EEEvSH_
	.p2align	8
	.type	_ZN7rocprim17ROCPRIM_400000_NS6detail17trampoline_kernelINS0_14default_configENS1_38merge_sort_block_merge_config_selectorIllEEZZNS1_27merge_sort_block_merge_implIS3_PlN6thrust23THRUST_200600_302600_NS10device_ptrIlEEjNS1_19radix_merge_compareILb0ELb1ElNS0_19identity_decomposerEEEEE10hipError_tT0_T1_T2_jT3_P12ihipStream_tbPNSt15iterator_traitsISG_E10value_typeEPNSM_ISH_E10value_typeEPSI_NS1_7vsmem_tEENKUlT_SG_SH_SI_E_clIS7_S7_S7_SB_EESF_SV_SG_SH_SI_EUlSV_E1_NS1_11comp_targetILNS1_3genE3ELNS1_11target_archE908ELNS1_3gpuE7ELNS1_3repE0EEENS1_36merge_oddeven_config_static_selectorELNS0_4arch9wavefront6targetE1EEEvSH_,@function
_ZN7rocprim17ROCPRIM_400000_NS6detail17trampoline_kernelINS0_14default_configENS1_38merge_sort_block_merge_config_selectorIllEEZZNS1_27merge_sort_block_merge_implIS3_PlN6thrust23THRUST_200600_302600_NS10device_ptrIlEEjNS1_19radix_merge_compareILb0ELb1ElNS0_19identity_decomposerEEEEE10hipError_tT0_T1_T2_jT3_P12ihipStream_tbPNSt15iterator_traitsISG_E10value_typeEPNSM_ISH_E10value_typeEPSI_NS1_7vsmem_tEENKUlT_SG_SH_SI_E_clIS7_S7_S7_SB_EESF_SV_SG_SH_SI_EUlSV_E1_NS1_11comp_targetILNS1_3genE3ELNS1_11target_archE908ELNS1_3gpuE7ELNS1_3repE0EEENS1_36merge_oddeven_config_static_selectorELNS0_4arch9wavefront6targetE1EEEvSH_: ; @_ZN7rocprim17ROCPRIM_400000_NS6detail17trampoline_kernelINS0_14default_configENS1_38merge_sort_block_merge_config_selectorIllEEZZNS1_27merge_sort_block_merge_implIS3_PlN6thrust23THRUST_200600_302600_NS10device_ptrIlEEjNS1_19radix_merge_compareILb0ELb1ElNS0_19identity_decomposerEEEEE10hipError_tT0_T1_T2_jT3_P12ihipStream_tbPNSt15iterator_traitsISG_E10value_typeEPNSM_ISH_E10value_typeEPSI_NS1_7vsmem_tEENKUlT_SG_SH_SI_E_clIS7_S7_S7_SB_EESF_SV_SG_SH_SI_EUlSV_E1_NS1_11comp_targetILNS1_3genE3ELNS1_11target_archE908ELNS1_3gpuE7ELNS1_3repE0EEENS1_36merge_oddeven_config_static_selectorELNS0_4arch9wavefront6targetE1EEEvSH_
; %bb.0:
	.section	.rodata,"a",@progbits
	.p2align	6, 0x0
	.amdhsa_kernel _ZN7rocprim17ROCPRIM_400000_NS6detail17trampoline_kernelINS0_14default_configENS1_38merge_sort_block_merge_config_selectorIllEEZZNS1_27merge_sort_block_merge_implIS3_PlN6thrust23THRUST_200600_302600_NS10device_ptrIlEEjNS1_19radix_merge_compareILb0ELb1ElNS0_19identity_decomposerEEEEE10hipError_tT0_T1_T2_jT3_P12ihipStream_tbPNSt15iterator_traitsISG_E10value_typeEPNSM_ISH_E10value_typeEPSI_NS1_7vsmem_tEENKUlT_SG_SH_SI_E_clIS7_S7_S7_SB_EESF_SV_SG_SH_SI_EUlSV_E1_NS1_11comp_targetILNS1_3genE3ELNS1_11target_archE908ELNS1_3gpuE7ELNS1_3repE0EEENS1_36merge_oddeven_config_static_selectorELNS0_4arch9wavefront6targetE1EEEvSH_
		.amdhsa_group_segment_fixed_size 0
		.amdhsa_private_segment_fixed_size 0
		.amdhsa_kernarg_size 48
		.amdhsa_user_sgpr_count 6
		.amdhsa_user_sgpr_private_segment_buffer 1
		.amdhsa_user_sgpr_dispatch_ptr 0
		.amdhsa_user_sgpr_queue_ptr 0
		.amdhsa_user_sgpr_kernarg_segment_ptr 1
		.amdhsa_user_sgpr_dispatch_id 0
		.amdhsa_user_sgpr_flat_scratch_init 0
		.amdhsa_user_sgpr_kernarg_preload_length 0
		.amdhsa_user_sgpr_kernarg_preload_offset 0
		.amdhsa_user_sgpr_private_segment_size 0
		.amdhsa_uses_dynamic_stack 0
		.amdhsa_system_sgpr_private_segment_wavefront_offset 0
		.amdhsa_system_sgpr_workgroup_id_x 1
		.amdhsa_system_sgpr_workgroup_id_y 0
		.amdhsa_system_sgpr_workgroup_id_z 0
		.amdhsa_system_sgpr_workgroup_info 0
		.amdhsa_system_vgpr_workitem_id 0
		.amdhsa_next_free_vgpr 1
		.amdhsa_next_free_sgpr 0
		.amdhsa_accum_offset 4
		.amdhsa_reserve_vcc 0
		.amdhsa_reserve_flat_scratch 0
		.amdhsa_float_round_mode_32 0
		.amdhsa_float_round_mode_16_64 0
		.amdhsa_float_denorm_mode_32 3
		.amdhsa_float_denorm_mode_16_64 3
		.amdhsa_dx10_clamp 1
		.amdhsa_ieee_mode 1
		.amdhsa_fp16_overflow 0
		.amdhsa_tg_split 0
		.amdhsa_exception_fp_ieee_invalid_op 0
		.amdhsa_exception_fp_denorm_src 0
		.amdhsa_exception_fp_ieee_div_zero 0
		.amdhsa_exception_fp_ieee_overflow 0
		.amdhsa_exception_fp_ieee_underflow 0
		.amdhsa_exception_fp_ieee_inexact 0
		.amdhsa_exception_int_div_zero 0
	.end_amdhsa_kernel
	.section	.text._ZN7rocprim17ROCPRIM_400000_NS6detail17trampoline_kernelINS0_14default_configENS1_38merge_sort_block_merge_config_selectorIllEEZZNS1_27merge_sort_block_merge_implIS3_PlN6thrust23THRUST_200600_302600_NS10device_ptrIlEEjNS1_19radix_merge_compareILb0ELb1ElNS0_19identity_decomposerEEEEE10hipError_tT0_T1_T2_jT3_P12ihipStream_tbPNSt15iterator_traitsISG_E10value_typeEPNSM_ISH_E10value_typeEPSI_NS1_7vsmem_tEENKUlT_SG_SH_SI_E_clIS7_S7_S7_SB_EESF_SV_SG_SH_SI_EUlSV_E1_NS1_11comp_targetILNS1_3genE3ELNS1_11target_archE908ELNS1_3gpuE7ELNS1_3repE0EEENS1_36merge_oddeven_config_static_selectorELNS0_4arch9wavefront6targetE1EEEvSH_,"axG",@progbits,_ZN7rocprim17ROCPRIM_400000_NS6detail17trampoline_kernelINS0_14default_configENS1_38merge_sort_block_merge_config_selectorIllEEZZNS1_27merge_sort_block_merge_implIS3_PlN6thrust23THRUST_200600_302600_NS10device_ptrIlEEjNS1_19radix_merge_compareILb0ELb1ElNS0_19identity_decomposerEEEEE10hipError_tT0_T1_T2_jT3_P12ihipStream_tbPNSt15iterator_traitsISG_E10value_typeEPNSM_ISH_E10value_typeEPSI_NS1_7vsmem_tEENKUlT_SG_SH_SI_E_clIS7_S7_S7_SB_EESF_SV_SG_SH_SI_EUlSV_E1_NS1_11comp_targetILNS1_3genE3ELNS1_11target_archE908ELNS1_3gpuE7ELNS1_3repE0EEENS1_36merge_oddeven_config_static_selectorELNS0_4arch9wavefront6targetE1EEEvSH_,comdat
.Lfunc_end1086:
	.size	_ZN7rocprim17ROCPRIM_400000_NS6detail17trampoline_kernelINS0_14default_configENS1_38merge_sort_block_merge_config_selectorIllEEZZNS1_27merge_sort_block_merge_implIS3_PlN6thrust23THRUST_200600_302600_NS10device_ptrIlEEjNS1_19radix_merge_compareILb0ELb1ElNS0_19identity_decomposerEEEEE10hipError_tT0_T1_T2_jT3_P12ihipStream_tbPNSt15iterator_traitsISG_E10value_typeEPNSM_ISH_E10value_typeEPSI_NS1_7vsmem_tEENKUlT_SG_SH_SI_E_clIS7_S7_S7_SB_EESF_SV_SG_SH_SI_EUlSV_E1_NS1_11comp_targetILNS1_3genE3ELNS1_11target_archE908ELNS1_3gpuE7ELNS1_3repE0EEENS1_36merge_oddeven_config_static_selectorELNS0_4arch9wavefront6targetE1EEEvSH_, .Lfunc_end1086-_ZN7rocprim17ROCPRIM_400000_NS6detail17trampoline_kernelINS0_14default_configENS1_38merge_sort_block_merge_config_selectorIllEEZZNS1_27merge_sort_block_merge_implIS3_PlN6thrust23THRUST_200600_302600_NS10device_ptrIlEEjNS1_19radix_merge_compareILb0ELb1ElNS0_19identity_decomposerEEEEE10hipError_tT0_T1_T2_jT3_P12ihipStream_tbPNSt15iterator_traitsISG_E10value_typeEPNSM_ISH_E10value_typeEPSI_NS1_7vsmem_tEENKUlT_SG_SH_SI_E_clIS7_S7_S7_SB_EESF_SV_SG_SH_SI_EUlSV_E1_NS1_11comp_targetILNS1_3genE3ELNS1_11target_archE908ELNS1_3gpuE7ELNS1_3repE0EEENS1_36merge_oddeven_config_static_selectorELNS0_4arch9wavefront6targetE1EEEvSH_
                                        ; -- End function
	.section	.AMDGPU.csdata,"",@progbits
; Kernel info:
; codeLenInByte = 0
; NumSgprs: 4
; NumVgprs: 0
; NumAgprs: 0
; TotalNumVgprs: 0
; ScratchSize: 0
; MemoryBound: 0
; FloatMode: 240
; IeeeMode: 1
; LDSByteSize: 0 bytes/workgroup (compile time only)
; SGPRBlocks: 0
; VGPRBlocks: 0
; NumSGPRsForWavesPerEU: 4
; NumVGPRsForWavesPerEU: 1
; AccumOffset: 4
; Occupancy: 8
; WaveLimiterHint : 0
; COMPUTE_PGM_RSRC2:SCRATCH_EN: 0
; COMPUTE_PGM_RSRC2:USER_SGPR: 6
; COMPUTE_PGM_RSRC2:TRAP_HANDLER: 0
; COMPUTE_PGM_RSRC2:TGID_X_EN: 1
; COMPUTE_PGM_RSRC2:TGID_Y_EN: 0
; COMPUTE_PGM_RSRC2:TGID_Z_EN: 0
; COMPUTE_PGM_RSRC2:TIDIG_COMP_CNT: 0
; COMPUTE_PGM_RSRC3_GFX90A:ACCUM_OFFSET: 0
; COMPUTE_PGM_RSRC3_GFX90A:TG_SPLIT: 0
	.section	.text._ZN7rocprim17ROCPRIM_400000_NS6detail17trampoline_kernelINS0_14default_configENS1_38merge_sort_block_merge_config_selectorIllEEZZNS1_27merge_sort_block_merge_implIS3_PlN6thrust23THRUST_200600_302600_NS10device_ptrIlEEjNS1_19radix_merge_compareILb0ELb1ElNS0_19identity_decomposerEEEEE10hipError_tT0_T1_T2_jT3_P12ihipStream_tbPNSt15iterator_traitsISG_E10value_typeEPNSM_ISH_E10value_typeEPSI_NS1_7vsmem_tEENKUlT_SG_SH_SI_E_clIS7_S7_S7_SB_EESF_SV_SG_SH_SI_EUlSV_E1_NS1_11comp_targetILNS1_3genE2ELNS1_11target_archE906ELNS1_3gpuE6ELNS1_3repE0EEENS1_36merge_oddeven_config_static_selectorELNS0_4arch9wavefront6targetE1EEEvSH_,"axG",@progbits,_ZN7rocprim17ROCPRIM_400000_NS6detail17trampoline_kernelINS0_14default_configENS1_38merge_sort_block_merge_config_selectorIllEEZZNS1_27merge_sort_block_merge_implIS3_PlN6thrust23THRUST_200600_302600_NS10device_ptrIlEEjNS1_19radix_merge_compareILb0ELb1ElNS0_19identity_decomposerEEEEE10hipError_tT0_T1_T2_jT3_P12ihipStream_tbPNSt15iterator_traitsISG_E10value_typeEPNSM_ISH_E10value_typeEPSI_NS1_7vsmem_tEENKUlT_SG_SH_SI_E_clIS7_S7_S7_SB_EESF_SV_SG_SH_SI_EUlSV_E1_NS1_11comp_targetILNS1_3genE2ELNS1_11target_archE906ELNS1_3gpuE6ELNS1_3repE0EEENS1_36merge_oddeven_config_static_selectorELNS0_4arch9wavefront6targetE1EEEvSH_,comdat
	.protected	_ZN7rocprim17ROCPRIM_400000_NS6detail17trampoline_kernelINS0_14default_configENS1_38merge_sort_block_merge_config_selectorIllEEZZNS1_27merge_sort_block_merge_implIS3_PlN6thrust23THRUST_200600_302600_NS10device_ptrIlEEjNS1_19radix_merge_compareILb0ELb1ElNS0_19identity_decomposerEEEEE10hipError_tT0_T1_T2_jT3_P12ihipStream_tbPNSt15iterator_traitsISG_E10value_typeEPNSM_ISH_E10value_typeEPSI_NS1_7vsmem_tEENKUlT_SG_SH_SI_E_clIS7_S7_S7_SB_EESF_SV_SG_SH_SI_EUlSV_E1_NS1_11comp_targetILNS1_3genE2ELNS1_11target_archE906ELNS1_3gpuE6ELNS1_3repE0EEENS1_36merge_oddeven_config_static_selectorELNS0_4arch9wavefront6targetE1EEEvSH_ ; -- Begin function _ZN7rocprim17ROCPRIM_400000_NS6detail17trampoline_kernelINS0_14default_configENS1_38merge_sort_block_merge_config_selectorIllEEZZNS1_27merge_sort_block_merge_implIS3_PlN6thrust23THRUST_200600_302600_NS10device_ptrIlEEjNS1_19radix_merge_compareILb0ELb1ElNS0_19identity_decomposerEEEEE10hipError_tT0_T1_T2_jT3_P12ihipStream_tbPNSt15iterator_traitsISG_E10value_typeEPNSM_ISH_E10value_typeEPSI_NS1_7vsmem_tEENKUlT_SG_SH_SI_E_clIS7_S7_S7_SB_EESF_SV_SG_SH_SI_EUlSV_E1_NS1_11comp_targetILNS1_3genE2ELNS1_11target_archE906ELNS1_3gpuE6ELNS1_3repE0EEENS1_36merge_oddeven_config_static_selectorELNS0_4arch9wavefront6targetE1EEEvSH_
	.globl	_ZN7rocprim17ROCPRIM_400000_NS6detail17trampoline_kernelINS0_14default_configENS1_38merge_sort_block_merge_config_selectorIllEEZZNS1_27merge_sort_block_merge_implIS3_PlN6thrust23THRUST_200600_302600_NS10device_ptrIlEEjNS1_19radix_merge_compareILb0ELb1ElNS0_19identity_decomposerEEEEE10hipError_tT0_T1_T2_jT3_P12ihipStream_tbPNSt15iterator_traitsISG_E10value_typeEPNSM_ISH_E10value_typeEPSI_NS1_7vsmem_tEENKUlT_SG_SH_SI_E_clIS7_S7_S7_SB_EESF_SV_SG_SH_SI_EUlSV_E1_NS1_11comp_targetILNS1_3genE2ELNS1_11target_archE906ELNS1_3gpuE6ELNS1_3repE0EEENS1_36merge_oddeven_config_static_selectorELNS0_4arch9wavefront6targetE1EEEvSH_
	.p2align	8
	.type	_ZN7rocprim17ROCPRIM_400000_NS6detail17trampoline_kernelINS0_14default_configENS1_38merge_sort_block_merge_config_selectorIllEEZZNS1_27merge_sort_block_merge_implIS3_PlN6thrust23THRUST_200600_302600_NS10device_ptrIlEEjNS1_19radix_merge_compareILb0ELb1ElNS0_19identity_decomposerEEEEE10hipError_tT0_T1_T2_jT3_P12ihipStream_tbPNSt15iterator_traitsISG_E10value_typeEPNSM_ISH_E10value_typeEPSI_NS1_7vsmem_tEENKUlT_SG_SH_SI_E_clIS7_S7_S7_SB_EESF_SV_SG_SH_SI_EUlSV_E1_NS1_11comp_targetILNS1_3genE2ELNS1_11target_archE906ELNS1_3gpuE6ELNS1_3repE0EEENS1_36merge_oddeven_config_static_selectorELNS0_4arch9wavefront6targetE1EEEvSH_,@function
_ZN7rocprim17ROCPRIM_400000_NS6detail17trampoline_kernelINS0_14default_configENS1_38merge_sort_block_merge_config_selectorIllEEZZNS1_27merge_sort_block_merge_implIS3_PlN6thrust23THRUST_200600_302600_NS10device_ptrIlEEjNS1_19radix_merge_compareILb0ELb1ElNS0_19identity_decomposerEEEEE10hipError_tT0_T1_T2_jT3_P12ihipStream_tbPNSt15iterator_traitsISG_E10value_typeEPNSM_ISH_E10value_typeEPSI_NS1_7vsmem_tEENKUlT_SG_SH_SI_E_clIS7_S7_S7_SB_EESF_SV_SG_SH_SI_EUlSV_E1_NS1_11comp_targetILNS1_3genE2ELNS1_11target_archE906ELNS1_3gpuE6ELNS1_3repE0EEENS1_36merge_oddeven_config_static_selectorELNS0_4arch9wavefront6targetE1EEEvSH_: ; @_ZN7rocprim17ROCPRIM_400000_NS6detail17trampoline_kernelINS0_14default_configENS1_38merge_sort_block_merge_config_selectorIllEEZZNS1_27merge_sort_block_merge_implIS3_PlN6thrust23THRUST_200600_302600_NS10device_ptrIlEEjNS1_19radix_merge_compareILb0ELb1ElNS0_19identity_decomposerEEEEE10hipError_tT0_T1_T2_jT3_P12ihipStream_tbPNSt15iterator_traitsISG_E10value_typeEPNSM_ISH_E10value_typeEPSI_NS1_7vsmem_tEENKUlT_SG_SH_SI_E_clIS7_S7_S7_SB_EESF_SV_SG_SH_SI_EUlSV_E1_NS1_11comp_targetILNS1_3genE2ELNS1_11target_archE906ELNS1_3gpuE6ELNS1_3repE0EEENS1_36merge_oddeven_config_static_selectorELNS0_4arch9wavefront6targetE1EEEvSH_
; %bb.0:
	.section	.rodata,"a",@progbits
	.p2align	6, 0x0
	.amdhsa_kernel _ZN7rocprim17ROCPRIM_400000_NS6detail17trampoline_kernelINS0_14default_configENS1_38merge_sort_block_merge_config_selectorIllEEZZNS1_27merge_sort_block_merge_implIS3_PlN6thrust23THRUST_200600_302600_NS10device_ptrIlEEjNS1_19radix_merge_compareILb0ELb1ElNS0_19identity_decomposerEEEEE10hipError_tT0_T1_T2_jT3_P12ihipStream_tbPNSt15iterator_traitsISG_E10value_typeEPNSM_ISH_E10value_typeEPSI_NS1_7vsmem_tEENKUlT_SG_SH_SI_E_clIS7_S7_S7_SB_EESF_SV_SG_SH_SI_EUlSV_E1_NS1_11comp_targetILNS1_3genE2ELNS1_11target_archE906ELNS1_3gpuE6ELNS1_3repE0EEENS1_36merge_oddeven_config_static_selectorELNS0_4arch9wavefront6targetE1EEEvSH_
		.amdhsa_group_segment_fixed_size 0
		.amdhsa_private_segment_fixed_size 0
		.amdhsa_kernarg_size 48
		.amdhsa_user_sgpr_count 6
		.amdhsa_user_sgpr_private_segment_buffer 1
		.amdhsa_user_sgpr_dispatch_ptr 0
		.amdhsa_user_sgpr_queue_ptr 0
		.amdhsa_user_sgpr_kernarg_segment_ptr 1
		.amdhsa_user_sgpr_dispatch_id 0
		.amdhsa_user_sgpr_flat_scratch_init 0
		.amdhsa_user_sgpr_kernarg_preload_length 0
		.amdhsa_user_sgpr_kernarg_preload_offset 0
		.amdhsa_user_sgpr_private_segment_size 0
		.amdhsa_uses_dynamic_stack 0
		.amdhsa_system_sgpr_private_segment_wavefront_offset 0
		.amdhsa_system_sgpr_workgroup_id_x 1
		.amdhsa_system_sgpr_workgroup_id_y 0
		.amdhsa_system_sgpr_workgroup_id_z 0
		.amdhsa_system_sgpr_workgroup_info 0
		.amdhsa_system_vgpr_workitem_id 0
		.amdhsa_next_free_vgpr 1
		.amdhsa_next_free_sgpr 0
		.amdhsa_accum_offset 4
		.amdhsa_reserve_vcc 0
		.amdhsa_reserve_flat_scratch 0
		.amdhsa_float_round_mode_32 0
		.amdhsa_float_round_mode_16_64 0
		.amdhsa_float_denorm_mode_32 3
		.amdhsa_float_denorm_mode_16_64 3
		.amdhsa_dx10_clamp 1
		.amdhsa_ieee_mode 1
		.amdhsa_fp16_overflow 0
		.amdhsa_tg_split 0
		.amdhsa_exception_fp_ieee_invalid_op 0
		.amdhsa_exception_fp_denorm_src 0
		.amdhsa_exception_fp_ieee_div_zero 0
		.amdhsa_exception_fp_ieee_overflow 0
		.amdhsa_exception_fp_ieee_underflow 0
		.amdhsa_exception_fp_ieee_inexact 0
		.amdhsa_exception_int_div_zero 0
	.end_amdhsa_kernel
	.section	.text._ZN7rocprim17ROCPRIM_400000_NS6detail17trampoline_kernelINS0_14default_configENS1_38merge_sort_block_merge_config_selectorIllEEZZNS1_27merge_sort_block_merge_implIS3_PlN6thrust23THRUST_200600_302600_NS10device_ptrIlEEjNS1_19radix_merge_compareILb0ELb1ElNS0_19identity_decomposerEEEEE10hipError_tT0_T1_T2_jT3_P12ihipStream_tbPNSt15iterator_traitsISG_E10value_typeEPNSM_ISH_E10value_typeEPSI_NS1_7vsmem_tEENKUlT_SG_SH_SI_E_clIS7_S7_S7_SB_EESF_SV_SG_SH_SI_EUlSV_E1_NS1_11comp_targetILNS1_3genE2ELNS1_11target_archE906ELNS1_3gpuE6ELNS1_3repE0EEENS1_36merge_oddeven_config_static_selectorELNS0_4arch9wavefront6targetE1EEEvSH_,"axG",@progbits,_ZN7rocprim17ROCPRIM_400000_NS6detail17trampoline_kernelINS0_14default_configENS1_38merge_sort_block_merge_config_selectorIllEEZZNS1_27merge_sort_block_merge_implIS3_PlN6thrust23THRUST_200600_302600_NS10device_ptrIlEEjNS1_19radix_merge_compareILb0ELb1ElNS0_19identity_decomposerEEEEE10hipError_tT0_T1_T2_jT3_P12ihipStream_tbPNSt15iterator_traitsISG_E10value_typeEPNSM_ISH_E10value_typeEPSI_NS1_7vsmem_tEENKUlT_SG_SH_SI_E_clIS7_S7_S7_SB_EESF_SV_SG_SH_SI_EUlSV_E1_NS1_11comp_targetILNS1_3genE2ELNS1_11target_archE906ELNS1_3gpuE6ELNS1_3repE0EEENS1_36merge_oddeven_config_static_selectorELNS0_4arch9wavefront6targetE1EEEvSH_,comdat
.Lfunc_end1087:
	.size	_ZN7rocprim17ROCPRIM_400000_NS6detail17trampoline_kernelINS0_14default_configENS1_38merge_sort_block_merge_config_selectorIllEEZZNS1_27merge_sort_block_merge_implIS3_PlN6thrust23THRUST_200600_302600_NS10device_ptrIlEEjNS1_19radix_merge_compareILb0ELb1ElNS0_19identity_decomposerEEEEE10hipError_tT0_T1_T2_jT3_P12ihipStream_tbPNSt15iterator_traitsISG_E10value_typeEPNSM_ISH_E10value_typeEPSI_NS1_7vsmem_tEENKUlT_SG_SH_SI_E_clIS7_S7_S7_SB_EESF_SV_SG_SH_SI_EUlSV_E1_NS1_11comp_targetILNS1_3genE2ELNS1_11target_archE906ELNS1_3gpuE6ELNS1_3repE0EEENS1_36merge_oddeven_config_static_selectorELNS0_4arch9wavefront6targetE1EEEvSH_, .Lfunc_end1087-_ZN7rocprim17ROCPRIM_400000_NS6detail17trampoline_kernelINS0_14default_configENS1_38merge_sort_block_merge_config_selectorIllEEZZNS1_27merge_sort_block_merge_implIS3_PlN6thrust23THRUST_200600_302600_NS10device_ptrIlEEjNS1_19radix_merge_compareILb0ELb1ElNS0_19identity_decomposerEEEEE10hipError_tT0_T1_T2_jT3_P12ihipStream_tbPNSt15iterator_traitsISG_E10value_typeEPNSM_ISH_E10value_typeEPSI_NS1_7vsmem_tEENKUlT_SG_SH_SI_E_clIS7_S7_S7_SB_EESF_SV_SG_SH_SI_EUlSV_E1_NS1_11comp_targetILNS1_3genE2ELNS1_11target_archE906ELNS1_3gpuE6ELNS1_3repE0EEENS1_36merge_oddeven_config_static_selectorELNS0_4arch9wavefront6targetE1EEEvSH_
                                        ; -- End function
	.section	.AMDGPU.csdata,"",@progbits
; Kernel info:
; codeLenInByte = 0
; NumSgprs: 4
; NumVgprs: 0
; NumAgprs: 0
; TotalNumVgprs: 0
; ScratchSize: 0
; MemoryBound: 0
; FloatMode: 240
; IeeeMode: 1
; LDSByteSize: 0 bytes/workgroup (compile time only)
; SGPRBlocks: 0
; VGPRBlocks: 0
; NumSGPRsForWavesPerEU: 4
; NumVGPRsForWavesPerEU: 1
; AccumOffset: 4
; Occupancy: 8
; WaveLimiterHint : 0
; COMPUTE_PGM_RSRC2:SCRATCH_EN: 0
; COMPUTE_PGM_RSRC2:USER_SGPR: 6
; COMPUTE_PGM_RSRC2:TRAP_HANDLER: 0
; COMPUTE_PGM_RSRC2:TGID_X_EN: 1
; COMPUTE_PGM_RSRC2:TGID_Y_EN: 0
; COMPUTE_PGM_RSRC2:TGID_Z_EN: 0
; COMPUTE_PGM_RSRC2:TIDIG_COMP_CNT: 0
; COMPUTE_PGM_RSRC3_GFX90A:ACCUM_OFFSET: 0
; COMPUTE_PGM_RSRC3_GFX90A:TG_SPLIT: 0
	.section	.text._ZN7rocprim17ROCPRIM_400000_NS6detail17trampoline_kernelINS0_14default_configENS1_38merge_sort_block_merge_config_selectorIllEEZZNS1_27merge_sort_block_merge_implIS3_PlN6thrust23THRUST_200600_302600_NS10device_ptrIlEEjNS1_19radix_merge_compareILb0ELb1ElNS0_19identity_decomposerEEEEE10hipError_tT0_T1_T2_jT3_P12ihipStream_tbPNSt15iterator_traitsISG_E10value_typeEPNSM_ISH_E10value_typeEPSI_NS1_7vsmem_tEENKUlT_SG_SH_SI_E_clIS7_S7_S7_SB_EESF_SV_SG_SH_SI_EUlSV_E1_NS1_11comp_targetILNS1_3genE9ELNS1_11target_archE1100ELNS1_3gpuE3ELNS1_3repE0EEENS1_36merge_oddeven_config_static_selectorELNS0_4arch9wavefront6targetE1EEEvSH_,"axG",@progbits,_ZN7rocprim17ROCPRIM_400000_NS6detail17trampoline_kernelINS0_14default_configENS1_38merge_sort_block_merge_config_selectorIllEEZZNS1_27merge_sort_block_merge_implIS3_PlN6thrust23THRUST_200600_302600_NS10device_ptrIlEEjNS1_19radix_merge_compareILb0ELb1ElNS0_19identity_decomposerEEEEE10hipError_tT0_T1_T2_jT3_P12ihipStream_tbPNSt15iterator_traitsISG_E10value_typeEPNSM_ISH_E10value_typeEPSI_NS1_7vsmem_tEENKUlT_SG_SH_SI_E_clIS7_S7_S7_SB_EESF_SV_SG_SH_SI_EUlSV_E1_NS1_11comp_targetILNS1_3genE9ELNS1_11target_archE1100ELNS1_3gpuE3ELNS1_3repE0EEENS1_36merge_oddeven_config_static_selectorELNS0_4arch9wavefront6targetE1EEEvSH_,comdat
	.protected	_ZN7rocprim17ROCPRIM_400000_NS6detail17trampoline_kernelINS0_14default_configENS1_38merge_sort_block_merge_config_selectorIllEEZZNS1_27merge_sort_block_merge_implIS3_PlN6thrust23THRUST_200600_302600_NS10device_ptrIlEEjNS1_19radix_merge_compareILb0ELb1ElNS0_19identity_decomposerEEEEE10hipError_tT0_T1_T2_jT3_P12ihipStream_tbPNSt15iterator_traitsISG_E10value_typeEPNSM_ISH_E10value_typeEPSI_NS1_7vsmem_tEENKUlT_SG_SH_SI_E_clIS7_S7_S7_SB_EESF_SV_SG_SH_SI_EUlSV_E1_NS1_11comp_targetILNS1_3genE9ELNS1_11target_archE1100ELNS1_3gpuE3ELNS1_3repE0EEENS1_36merge_oddeven_config_static_selectorELNS0_4arch9wavefront6targetE1EEEvSH_ ; -- Begin function _ZN7rocprim17ROCPRIM_400000_NS6detail17trampoline_kernelINS0_14default_configENS1_38merge_sort_block_merge_config_selectorIllEEZZNS1_27merge_sort_block_merge_implIS3_PlN6thrust23THRUST_200600_302600_NS10device_ptrIlEEjNS1_19radix_merge_compareILb0ELb1ElNS0_19identity_decomposerEEEEE10hipError_tT0_T1_T2_jT3_P12ihipStream_tbPNSt15iterator_traitsISG_E10value_typeEPNSM_ISH_E10value_typeEPSI_NS1_7vsmem_tEENKUlT_SG_SH_SI_E_clIS7_S7_S7_SB_EESF_SV_SG_SH_SI_EUlSV_E1_NS1_11comp_targetILNS1_3genE9ELNS1_11target_archE1100ELNS1_3gpuE3ELNS1_3repE0EEENS1_36merge_oddeven_config_static_selectorELNS0_4arch9wavefront6targetE1EEEvSH_
	.globl	_ZN7rocprim17ROCPRIM_400000_NS6detail17trampoline_kernelINS0_14default_configENS1_38merge_sort_block_merge_config_selectorIllEEZZNS1_27merge_sort_block_merge_implIS3_PlN6thrust23THRUST_200600_302600_NS10device_ptrIlEEjNS1_19radix_merge_compareILb0ELb1ElNS0_19identity_decomposerEEEEE10hipError_tT0_T1_T2_jT3_P12ihipStream_tbPNSt15iterator_traitsISG_E10value_typeEPNSM_ISH_E10value_typeEPSI_NS1_7vsmem_tEENKUlT_SG_SH_SI_E_clIS7_S7_S7_SB_EESF_SV_SG_SH_SI_EUlSV_E1_NS1_11comp_targetILNS1_3genE9ELNS1_11target_archE1100ELNS1_3gpuE3ELNS1_3repE0EEENS1_36merge_oddeven_config_static_selectorELNS0_4arch9wavefront6targetE1EEEvSH_
	.p2align	8
	.type	_ZN7rocprim17ROCPRIM_400000_NS6detail17trampoline_kernelINS0_14default_configENS1_38merge_sort_block_merge_config_selectorIllEEZZNS1_27merge_sort_block_merge_implIS3_PlN6thrust23THRUST_200600_302600_NS10device_ptrIlEEjNS1_19radix_merge_compareILb0ELb1ElNS0_19identity_decomposerEEEEE10hipError_tT0_T1_T2_jT3_P12ihipStream_tbPNSt15iterator_traitsISG_E10value_typeEPNSM_ISH_E10value_typeEPSI_NS1_7vsmem_tEENKUlT_SG_SH_SI_E_clIS7_S7_S7_SB_EESF_SV_SG_SH_SI_EUlSV_E1_NS1_11comp_targetILNS1_3genE9ELNS1_11target_archE1100ELNS1_3gpuE3ELNS1_3repE0EEENS1_36merge_oddeven_config_static_selectorELNS0_4arch9wavefront6targetE1EEEvSH_,@function
_ZN7rocprim17ROCPRIM_400000_NS6detail17trampoline_kernelINS0_14default_configENS1_38merge_sort_block_merge_config_selectorIllEEZZNS1_27merge_sort_block_merge_implIS3_PlN6thrust23THRUST_200600_302600_NS10device_ptrIlEEjNS1_19radix_merge_compareILb0ELb1ElNS0_19identity_decomposerEEEEE10hipError_tT0_T1_T2_jT3_P12ihipStream_tbPNSt15iterator_traitsISG_E10value_typeEPNSM_ISH_E10value_typeEPSI_NS1_7vsmem_tEENKUlT_SG_SH_SI_E_clIS7_S7_S7_SB_EESF_SV_SG_SH_SI_EUlSV_E1_NS1_11comp_targetILNS1_3genE9ELNS1_11target_archE1100ELNS1_3gpuE3ELNS1_3repE0EEENS1_36merge_oddeven_config_static_selectorELNS0_4arch9wavefront6targetE1EEEvSH_: ; @_ZN7rocprim17ROCPRIM_400000_NS6detail17trampoline_kernelINS0_14default_configENS1_38merge_sort_block_merge_config_selectorIllEEZZNS1_27merge_sort_block_merge_implIS3_PlN6thrust23THRUST_200600_302600_NS10device_ptrIlEEjNS1_19radix_merge_compareILb0ELb1ElNS0_19identity_decomposerEEEEE10hipError_tT0_T1_T2_jT3_P12ihipStream_tbPNSt15iterator_traitsISG_E10value_typeEPNSM_ISH_E10value_typeEPSI_NS1_7vsmem_tEENKUlT_SG_SH_SI_E_clIS7_S7_S7_SB_EESF_SV_SG_SH_SI_EUlSV_E1_NS1_11comp_targetILNS1_3genE9ELNS1_11target_archE1100ELNS1_3gpuE3ELNS1_3repE0EEENS1_36merge_oddeven_config_static_selectorELNS0_4arch9wavefront6targetE1EEEvSH_
; %bb.0:
	.section	.rodata,"a",@progbits
	.p2align	6, 0x0
	.amdhsa_kernel _ZN7rocprim17ROCPRIM_400000_NS6detail17trampoline_kernelINS0_14default_configENS1_38merge_sort_block_merge_config_selectorIllEEZZNS1_27merge_sort_block_merge_implIS3_PlN6thrust23THRUST_200600_302600_NS10device_ptrIlEEjNS1_19radix_merge_compareILb0ELb1ElNS0_19identity_decomposerEEEEE10hipError_tT0_T1_T2_jT3_P12ihipStream_tbPNSt15iterator_traitsISG_E10value_typeEPNSM_ISH_E10value_typeEPSI_NS1_7vsmem_tEENKUlT_SG_SH_SI_E_clIS7_S7_S7_SB_EESF_SV_SG_SH_SI_EUlSV_E1_NS1_11comp_targetILNS1_3genE9ELNS1_11target_archE1100ELNS1_3gpuE3ELNS1_3repE0EEENS1_36merge_oddeven_config_static_selectorELNS0_4arch9wavefront6targetE1EEEvSH_
		.amdhsa_group_segment_fixed_size 0
		.amdhsa_private_segment_fixed_size 0
		.amdhsa_kernarg_size 48
		.amdhsa_user_sgpr_count 6
		.amdhsa_user_sgpr_private_segment_buffer 1
		.amdhsa_user_sgpr_dispatch_ptr 0
		.amdhsa_user_sgpr_queue_ptr 0
		.amdhsa_user_sgpr_kernarg_segment_ptr 1
		.amdhsa_user_sgpr_dispatch_id 0
		.amdhsa_user_sgpr_flat_scratch_init 0
		.amdhsa_user_sgpr_kernarg_preload_length 0
		.amdhsa_user_sgpr_kernarg_preload_offset 0
		.amdhsa_user_sgpr_private_segment_size 0
		.amdhsa_uses_dynamic_stack 0
		.amdhsa_system_sgpr_private_segment_wavefront_offset 0
		.amdhsa_system_sgpr_workgroup_id_x 1
		.amdhsa_system_sgpr_workgroup_id_y 0
		.amdhsa_system_sgpr_workgroup_id_z 0
		.amdhsa_system_sgpr_workgroup_info 0
		.amdhsa_system_vgpr_workitem_id 0
		.amdhsa_next_free_vgpr 1
		.amdhsa_next_free_sgpr 0
		.amdhsa_accum_offset 4
		.amdhsa_reserve_vcc 0
		.amdhsa_reserve_flat_scratch 0
		.amdhsa_float_round_mode_32 0
		.amdhsa_float_round_mode_16_64 0
		.amdhsa_float_denorm_mode_32 3
		.amdhsa_float_denorm_mode_16_64 3
		.amdhsa_dx10_clamp 1
		.amdhsa_ieee_mode 1
		.amdhsa_fp16_overflow 0
		.amdhsa_tg_split 0
		.amdhsa_exception_fp_ieee_invalid_op 0
		.amdhsa_exception_fp_denorm_src 0
		.amdhsa_exception_fp_ieee_div_zero 0
		.amdhsa_exception_fp_ieee_overflow 0
		.amdhsa_exception_fp_ieee_underflow 0
		.amdhsa_exception_fp_ieee_inexact 0
		.amdhsa_exception_int_div_zero 0
	.end_amdhsa_kernel
	.section	.text._ZN7rocprim17ROCPRIM_400000_NS6detail17trampoline_kernelINS0_14default_configENS1_38merge_sort_block_merge_config_selectorIllEEZZNS1_27merge_sort_block_merge_implIS3_PlN6thrust23THRUST_200600_302600_NS10device_ptrIlEEjNS1_19radix_merge_compareILb0ELb1ElNS0_19identity_decomposerEEEEE10hipError_tT0_T1_T2_jT3_P12ihipStream_tbPNSt15iterator_traitsISG_E10value_typeEPNSM_ISH_E10value_typeEPSI_NS1_7vsmem_tEENKUlT_SG_SH_SI_E_clIS7_S7_S7_SB_EESF_SV_SG_SH_SI_EUlSV_E1_NS1_11comp_targetILNS1_3genE9ELNS1_11target_archE1100ELNS1_3gpuE3ELNS1_3repE0EEENS1_36merge_oddeven_config_static_selectorELNS0_4arch9wavefront6targetE1EEEvSH_,"axG",@progbits,_ZN7rocprim17ROCPRIM_400000_NS6detail17trampoline_kernelINS0_14default_configENS1_38merge_sort_block_merge_config_selectorIllEEZZNS1_27merge_sort_block_merge_implIS3_PlN6thrust23THRUST_200600_302600_NS10device_ptrIlEEjNS1_19radix_merge_compareILb0ELb1ElNS0_19identity_decomposerEEEEE10hipError_tT0_T1_T2_jT3_P12ihipStream_tbPNSt15iterator_traitsISG_E10value_typeEPNSM_ISH_E10value_typeEPSI_NS1_7vsmem_tEENKUlT_SG_SH_SI_E_clIS7_S7_S7_SB_EESF_SV_SG_SH_SI_EUlSV_E1_NS1_11comp_targetILNS1_3genE9ELNS1_11target_archE1100ELNS1_3gpuE3ELNS1_3repE0EEENS1_36merge_oddeven_config_static_selectorELNS0_4arch9wavefront6targetE1EEEvSH_,comdat
.Lfunc_end1088:
	.size	_ZN7rocprim17ROCPRIM_400000_NS6detail17trampoline_kernelINS0_14default_configENS1_38merge_sort_block_merge_config_selectorIllEEZZNS1_27merge_sort_block_merge_implIS3_PlN6thrust23THRUST_200600_302600_NS10device_ptrIlEEjNS1_19radix_merge_compareILb0ELb1ElNS0_19identity_decomposerEEEEE10hipError_tT0_T1_T2_jT3_P12ihipStream_tbPNSt15iterator_traitsISG_E10value_typeEPNSM_ISH_E10value_typeEPSI_NS1_7vsmem_tEENKUlT_SG_SH_SI_E_clIS7_S7_S7_SB_EESF_SV_SG_SH_SI_EUlSV_E1_NS1_11comp_targetILNS1_3genE9ELNS1_11target_archE1100ELNS1_3gpuE3ELNS1_3repE0EEENS1_36merge_oddeven_config_static_selectorELNS0_4arch9wavefront6targetE1EEEvSH_, .Lfunc_end1088-_ZN7rocprim17ROCPRIM_400000_NS6detail17trampoline_kernelINS0_14default_configENS1_38merge_sort_block_merge_config_selectorIllEEZZNS1_27merge_sort_block_merge_implIS3_PlN6thrust23THRUST_200600_302600_NS10device_ptrIlEEjNS1_19radix_merge_compareILb0ELb1ElNS0_19identity_decomposerEEEEE10hipError_tT0_T1_T2_jT3_P12ihipStream_tbPNSt15iterator_traitsISG_E10value_typeEPNSM_ISH_E10value_typeEPSI_NS1_7vsmem_tEENKUlT_SG_SH_SI_E_clIS7_S7_S7_SB_EESF_SV_SG_SH_SI_EUlSV_E1_NS1_11comp_targetILNS1_3genE9ELNS1_11target_archE1100ELNS1_3gpuE3ELNS1_3repE0EEENS1_36merge_oddeven_config_static_selectorELNS0_4arch9wavefront6targetE1EEEvSH_
                                        ; -- End function
	.section	.AMDGPU.csdata,"",@progbits
; Kernel info:
; codeLenInByte = 0
; NumSgprs: 4
; NumVgprs: 0
; NumAgprs: 0
; TotalNumVgprs: 0
; ScratchSize: 0
; MemoryBound: 0
; FloatMode: 240
; IeeeMode: 1
; LDSByteSize: 0 bytes/workgroup (compile time only)
; SGPRBlocks: 0
; VGPRBlocks: 0
; NumSGPRsForWavesPerEU: 4
; NumVGPRsForWavesPerEU: 1
; AccumOffset: 4
; Occupancy: 8
; WaveLimiterHint : 0
; COMPUTE_PGM_RSRC2:SCRATCH_EN: 0
; COMPUTE_PGM_RSRC2:USER_SGPR: 6
; COMPUTE_PGM_RSRC2:TRAP_HANDLER: 0
; COMPUTE_PGM_RSRC2:TGID_X_EN: 1
; COMPUTE_PGM_RSRC2:TGID_Y_EN: 0
; COMPUTE_PGM_RSRC2:TGID_Z_EN: 0
; COMPUTE_PGM_RSRC2:TIDIG_COMP_CNT: 0
; COMPUTE_PGM_RSRC3_GFX90A:ACCUM_OFFSET: 0
; COMPUTE_PGM_RSRC3_GFX90A:TG_SPLIT: 0
	.section	.text._ZN7rocprim17ROCPRIM_400000_NS6detail17trampoline_kernelINS0_14default_configENS1_38merge_sort_block_merge_config_selectorIllEEZZNS1_27merge_sort_block_merge_implIS3_PlN6thrust23THRUST_200600_302600_NS10device_ptrIlEEjNS1_19radix_merge_compareILb0ELb1ElNS0_19identity_decomposerEEEEE10hipError_tT0_T1_T2_jT3_P12ihipStream_tbPNSt15iterator_traitsISG_E10value_typeEPNSM_ISH_E10value_typeEPSI_NS1_7vsmem_tEENKUlT_SG_SH_SI_E_clIS7_S7_S7_SB_EESF_SV_SG_SH_SI_EUlSV_E1_NS1_11comp_targetILNS1_3genE8ELNS1_11target_archE1030ELNS1_3gpuE2ELNS1_3repE0EEENS1_36merge_oddeven_config_static_selectorELNS0_4arch9wavefront6targetE1EEEvSH_,"axG",@progbits,_ZN7rocprim17ROCPRIM_400000_NS6detail17trampoline_kernelINS0_14default_configENS1_38merge_sort_block_merge_config_selectorIllEEZZNS1_27merge_sort_block_merge_implIS3_PlN6thrust23THRUST_200600_302600_NS10device_ptrIlEEjNS1_19radix_merge_compareILb0ELb1ElNS0_19identity_decomposerEEEEE10hipError_tT0_T1_T2_jT3_P12ihipStream_tbPNSt15iterator_traitsISG_E10value_typeEPNSM_ISH_E10value_typeEPSI_NS1_7vsmem_tEENKUlT_SG_SH_SI_E_clIS7_S7_S7_SB_EESF_SV_SG_SH_SI_EUlSV_E1_NS1_11comp_targetILNS1_3genE8ELNS1_11target_archE1030ELNS1_3gpuE2ELNS1_3repE0EEENS1_36merge_oddeven_config_static_selectorELNS0_4arch9wavefront6targetE1EEEvSH_,comdat
	.protected	_ZN7rocprim17ROCPRIM_400000_NS6detail17trampoline_kernelINS0_14default_configENS1_38merge_sort_block_merge_config_selectorIllEEZZNS1_27merge_sort_block_merge_implIS3_PlN6thrust23THRUST_200600_302600_NS10device_ptrIlEEjNS1_19radix_merge_compareILb0ELb1ElNS0_19identity_decomposerEEEEE10hipError_tT0_T1_T2_jT3_P12ihipStream_tbPNSt15iterator_traitsISG_E10value_typeEPNSM_ISH_E10value_typeEPSI_NS1_7vsmem_tEENKUlT_SG_SH_SI_E_clIS7_S7_S7_SB_EESF_SV_SG_SH_SI_EUlSV_E1_NS1_11comp_targetILNS1_3genE8ELNS1_11target_archE1030ELNS1_3gpuE2ELNS1_3repE0EEENS1_36merge_oddeven_config_static_selectorELNS0_4arch9wavefront6targetE1EEEvSH_ ; -- Begin function _ZN7rocprim17ROCPRIM_400000_NS6detail17trampoline_kernelINS0_14default_configENS1_38merge_sort_block_merge_config_selectorIllEEZZNS1_27merge_sort_block_merge_implIS3_PlN6thrust23THRUST_200600_302600_NS10device_ptrIlEEjNS1_19radix_merge_compareILb0ELb1ElNS0_19identity_decomposerEEEEE10hipError_tT0_T1_T2_jT3_P12ihipStream_tbPNSt15iterator_traitsISG_E10value_typeEPNSM_ISH_E10value_typeEPSI_NS1_7vsmem_tEENKUlT_SG_SH_SI_E_clIS7_S7_S7_SB_EESF_SV_SG_SH_SI_EUlSV_E1_NS1_11comp_targetILNS1_3genE8ELNS1_11target_archE1030ELNS1_3gpuE2ELNS1_3repE0EEENS1_36merge_oddeven_config_static_selectorELNS0_4arch9wavefront6targetE1EEEvSH_
	.globl	_ZN7rocprim17ROCPRIM_400000_NS6detail17trampoline_kernelINS0_14default_configENS1_38merge_sort_block_merge_config_selectorIllEEZZNS1_27merge_sort_block_merge_implIS3_PlN6thrust23THRUST_200600_302600_NS10device_ptrIlEEjNS1_19radix_merge_compareILb0ELb1ElNS0_19identity_decomposerEEEEE10hipError_tT0_T1_T2_jT3_P12ihipStream_tbPNSt15iterator_traitsISG_E10value_typeEPNSM_ISH_E10value_typeEPSI_NS1_7vsmem_tEENKUlT_SG_SH_SI_E_clIS7_S7_S7_SB_EESF_SV_SG_SH_SI_EUlSV_E1_NS1_11comp_targetILNS1_3genE8ELNS1_11target_archE1030ELNS1_3gpuE2ELNS1_3repE0EEENS1_36merge_oddeven_config_static_selectorELNS0_4arch9wavefront6targetE1EEEvSH_
	.p2align	8
	.type	_ZN7rocprim17ROCPRIM_400000_NS6detail17trampoline_kernelINS0_14default_configENS1_38merge_sort_block_merge_config_selectorIllEEZZNS1_27merge_sort_block_merge_implIS3_PlN6thrust23THRUST_200600_302600_NS10device_ptrIlEEjNS1_19radix_merge_compareILb0ELb1ElNS0_19identity_decomposerEEEEE10hipError_tT0_T1_T2_jT3_P12ihipStream_tbPNSt15iterator_traitsISG_E10value_typeEPNSM_ISH_E10value_typeEPSI_NS1_7vsmem_tEENKUlT_SG_SH_SI_E_clIS7_S7_S7_SB_EESF_SV_SG_SH_SI_EUlSV_E1_NS1_11comp_targetILNS1_3genE8ELNS1_11target_archE1030ELNS1_3gpuE2ELNS1_3repE0EEENS1_36merge_oddeven_config_static_selectorELNS0_4arch9wavefront6targetE1EEEvSH_,@function
_ZN7rocprim17ROCPRIM_400000_NS6detail17trampoline_kernelINS0_14default_configENS1_38merge_sort_block_merge_config_selectorIllEEZZNS1_27merge_sort_block_merge_implIS3_PlN6thrust23THRUST_200600_302600_NS10device_ptrIlEEjNS1_19radix_merge_compareILb0ELb1ElNS0_19identity_decomposerEEEEE10hipError_tT0_T1_T2_jT3_P12ihipStream_tbPNSt15iterator_traitsISG_E10value_typeEPNSM_ISH_E10value_typeEPSI_NS1_7vsmem_tEENKUlT_SG_SH_SI_E_clIS7_S7_S7_SB_EESF_SV_SG_SH_SI_EUlSV_E1_NS1_11comp_targetILNS1_3genE8ELNS1_11target_archE1030ELNS1_3gpuE2ELNS1_3repE0EEENS1_36merge_oddeven_config_static_selectorELNS0_4arch9wavefront6targetE1EEEvSH_: ; @_ZN7rocprim17ROCPRIM_400000_NS6detail17trampoline_kernelINS0_14default_configENS1_38merge_sort_block_merge_config_selectorIllEEZZNS1_27merge_sort_block_merge_implIS3_PlN6thrust23THRUST_200600_302600_NS10device_ptrIlEEjNS1_19radix_merge_compareILb0ELb1ElNS0_19identity_decomposerEEEEE10hipError_tT0_T1_T2_jT3_P12ihipStream_tbPNSt15iterator_traitsISG_E10value_typeEPNSM_ISH_E10value_typeEPSI_NS1_7vsmem_tEENKUlT_SG_SH_SI_E_clIS7_S7_S7_SB_EESF_SV_SG_SH_SI_EUlSV_E1_NS1_11comp_targetILNS1_3genE8ELNS1_11target_archE1030ELNS1_3gpuE2ELNS1_3repE0EEENS1_36merge_oddeven_config_static_selectorELNS0_4arch9wavefront6targetE1EEEvSH_
; %bb.0:
	.section	.rodata,"a",@progbits
	.p2align	6, 0x0
	.amdhsa_kernel _ZN7rocprim17ROCPRIM_400000_NS6detail17trampoline_kernelINS0_14default_configENS1_38merge_sort_block_merge_config_selectorIllEEZZNS1_27merge_sort_block_merge_implIS3_PlN6thrust23THRUST_200600_302600_NS10device_ptrIlEEjNS1_19radix_merge_compareILb0ELb1ElNS0_19identity_decomposerEEEEE10hipError_tT0_T1_T2_jT3_P12ihipStream_tbPNSt15iterator_traitsISG_E10value_typeEPNSM_ISH_E10value_typeEPSI_NS1_7vsmem_tEENKUlT_SG_SH_SI_E_clIS7_S7_S7_SB_EESF_SV_SG_SH_SI_EUlSV_E1_NS1_11comp_targetILNS1_3genE8ELNS1_11target_archE1030ELNS1_3gpuE2ELNS1_3repE0EEENS1_36merge_oddeven_config_static_selectorELNS0_4arch9wavefront6targetE1EEEvSH_
		.amdhsa_group_segment_fixed_size 0
		.amdhsa_private_segment_fixed_size 0
		.amdhsa_kernarg_size 48
		.amdhsa_user_sgpr_count 6
		.amdhsa_user_sgpr_private_segment_buffer 1
		.amdhsa_user_sgpr_dispatch_ptr 0
		.amdhsa_user_sgpr_queue_ptr 0
		.amdhsa_user_sgpr_kernarg_segment_ptr 1
		.amdhsa_user_sgpr_dispatch_id 0
		.amdhsa_user_sgpr_flat_scratch_init 0
		.amdhsa_user_sgpr_kernarg_preload_length 0
		.amdhsa_user_sgpr_kernarg_preload_offset 0
		.amdhsa_user_sgpr_private_segment_size 0
		.amdhsa_uses_dynamic_stack 0
		.amdhsa_system_sgpr_private_segment_wavefront_offset 0
		.amdhsa_system_sgpr_workgroup_id_x 1
		.amdhsa_system_sgpr_workgroup_id_y 0
		.amdhsa_system_sgpr_workgroup_id_z 0
		.amdhsa_system_sgpr_workgroup_info 0
		.amdhsa_system_vgpr_workitem_id 0
		.amdhsa_next_free_vgpr 1
		.amdhsa_next_free_sgpr 0
		.amdhsa_accum_offset 4
		.amdhsa_reserve_vcc 0
		.amdhsa_reserve_flat_scratch 0
		.amdhsa_float_round_mode_32 0
		.amdhsa_float_round_mode_16_64 0
		.amdhsa_float_denorm_mode_32 3
		.amdhsa_float_denorm_mode_16_64 3
		.amdhsa_dx10_clamp 1
		.amdhsa_ieee_mode 1
		.amdhsa_fp16_overflow 0
		.amdhsa_tg_split 0
		.amdhsa_exception_fp_ieee_invalid_op 0
		.amdhsa_exception_fp_denorm_src 0
		.amdhsa_exception_fp_ieee_div_zero 0
		.amdhsa_exception_fp_ieee_overflow 0
		.amdhsa_exception_fp_ieee_underflow 0
		.amdhsa_exception_fp_ieee_inexact 0
		.amdhsa_exception_int_div_zero 0
	.end_amdhsa_kernel
	.section	.text._ZN7rocprim17ROCPRIM_400000_NS6detail17trampoline_kernelINS0_14default_configENS1_38merge_sort_block_merge_config_selectorIllEEZZNS1_27merge_sort_block_merge_implIS3_PlN6thrust23THRUST_200600_302600_NS10device_ptrIlEEjNS1_19radix_merge_compareILb0ELb1ElNS0_19identity_decomposerEEEEE10hipError_tT0_T1_T2_jT3_P12ihipStream_tbPNSt15iterator_traitsISG_E10value_typeEPNSM_ISH_E10value_typeEPSI_NS1_7vsmem_tEENKUlT_SG_SH_SI_E_clIS7_S7_S7_SB_EESF_SV_SG_SH_SI_EUlSV_E1_NS1_11comp_targetILNS1_3genE8ELNS1_11target_archE1030ELNS1_3gpuE2ELNS1_3repE0EEENS1_36merge_oddeven_config_static_selectorELNS0_4arch9wavefront6targetE1EEEvSH_,"axG",@progbits,_ZN7rocprim17ROCPRIM_400000_NS6detail17trampoline_kernelINS0_14default_configENS1_38merge_sort_block_merge_config_selectorIllEEZZNS1_27merge_sort_block_merge_implIS3_PlN6thrust23THRUST_200600_302600_NS10device_ptrIlEEjNS1_19radix_merge_compareILb0ELb1ElNS0_19identity_decomposerEEEEE10hipError_tT0_T1_T2_jT3_P12ihipStream_tbPNSt15iterator_traitsISG_E10value_typeEPNSM_ISH_E10value_typeEPSI_NS1_7vsmem_tEENKUlT_SG_SH_SI_E_clIS7_S7_S7_SB_EESF_SV_SG_SH_SI_EUlSV_E1_NS1_11comp_targetILNS1_3genE8ELNS1_11target_archE1030ELNS1_3gpuE2ELNS1_3repE0EEENS1_36merge_oddeven_config_static_selectorELNS0_4arch9wavefront6targetE1EEEvSH_,comdat
.Lfunc_end1089:
	.size	_ZN7rocprim17ROCPRIM_400000_NS6detail17trampoline_kernelINS0_14default_configENS1_38merge_sort_block_merge_config_selectorIllEEZZNS1_27merge_sort_block_merge_implIS3_PlN6thrust23THRUST_200600_302600_NS10device_ptrIlEEjNS1_19radix_merge_compareILb0ELb1ElNS0_19identity_decomposerEEEEE10hipError_tT0_T1_T2_jT3_P12ihipStream_tbPNSt15iterator_traitsISG_E10value_typeEPNSM_ISH_E10value_typeEPSI_NS1_7vsmem_tEENKUlT_SG_SH_SI_E_clIS7_S7_S7_SB_EESF_SV_SG_SH_SI_EUlSV_E1_NS1_11comp_targetILNS1_3genE8ELNS1_11target_archE1030ELNS1_3gpuE2ELNS1_3repE0EEENS1_36merge_oddeven_config_static_selectorELNS0_4arch9wavefront6targetE1EEEvSH_, .Lfunc_end1089-_ZN7rocprim17ROCPRIM_400000_NS6detail17trampoline_kernelINS0_14default_configENS1_38merge_sort_block_merge_config_selectorIllEEZZNS1_27merge_sort_block_merge_implIS3_PlN6thrust23THRUST_200600_302600_NS10device_ptrIlEEjNS1_19radix_merge_compareILb0ELb1ElNS0_19identity_decomposerEEEEE10hipError_tT0_T1_T2_jT3_P12ihipStream_tbPNSt15iterator_traitsISG_E10value_typeEPNSM_ISH_E10value_typeEPSI_NS1_7vsmem_tEENKUlT_SG_SH_SI_E_clIS7_S7_S7_SB_EESF_SV_SG_SH_SI_EUlSV_E1_NS1_11comp_targetILNS1_3genE8ELNS1_11target_archE1030ELNS1_3gpuE2ELNS1_3repE0EEENS1_36merge_oddeven_config_static_selectorELNS0_4arch9wavefront6targetE1EEEvSH_
                                        ; -- End function
	.section	.AMDGPU.csdata,"",@progbits
; Kernel info:
; codeLenInByte = 0
; NumSgprs: 4
; NumVgprs: 0
; NumAgprs: 0
; TotalNumVgprs: 0
; ScratchSize: 0
; MemoryBound: 0
; FloatMode: 240
; IeeeMode: 1
; LDSByteSize: 0 bytes/workgroup (compile time only)
; SGPRBlocks: 0
; VGPRBlocks: 0
; NumSGPRsForWavesPerEU: 4
; NumVGPRsForWavesPerEU: 1
; AccumOffset: 4
; Occupancy: 8
; WaveLimiterHint : 0
; COMPUTE_PGM_RSRC2:SCRATCH_EN: 0
; COMPUTE_PGM_RSRC2:USER_SGPR: 6
; COMPUTE_PGM_RSRC2:TRAP_HANDLER: 0
; COMPUTE_PGM_RSRC2:TGID_X_EN: 1
; COMPUTE_PGM_RSRC2:TGID_Y_EN: 0
; COMPUTE_PGM_RSRC2:TGID_Z_EN: 0
; COMPUTE_PGM_RSRC2:TIDIG_COMP_CNT: 0
; COMPUTE_PGM_RSRC3_GFX90A:ACCUM_OFFSET: 0
; COMPUTE_PGM_RSRC3_GFX90A:TG_SPLIT: 0
	.section	.text._ZN7rocprim17ROCPRIM_400000_NS6detail17trampoline_kernelINS0_14default_configENS1_38merge_sort_block_merge_config_selectorIllEEZZNS1_27merge_sort_block_merge_implIS3_PlN6thrust23THRUST_200600_302600_NS10device_ptrIlEEjNS1_19radix_merge_compareILb0ELb1ElNS0_19identity_decomposerEEEEE10hipError_tT0_T1_T2_jT3_P12ihipStream_tbPNSt15iterator_traitsISG_E10value_typeEPNSM_ISH_E10value_typeEPSI_NS1_7vsmem_tEENKUlT_SG_SH_SI_E_clIS7_S7_SB_S7_EESF_SV_SG_SH_SI_EUlSV_E_NS1_11comp_targetILNS1_3genE0ELNS1_11target_archE4294967295ELNS1_3gpuE0ELNS1_3repE0EEENS1_48merge_mergepath_partition_config_static_selectorELNS0_4arch9wavefront6targetE1EEEvSH_,"axG",@progbits,_ZN7rocprim17ROCPRIM_400000_NS6detail17trampoline_kernelINS0_14default_configENS1_38merge_sort_block_merge_config_selectorIllEEZZNS1_27merge_sort_block_merge_implIS3_PlN6thrust23THRUST_200600_302600_NS10device_ptrIlEEjNS1_19radix_merge_compareILb0ELb1ElNS0_19identity_decomposerEEEEE10hipError_tT0_T1_T2_jT3_P12ihipStream_tbPNSt15iterator_traitsISG_E10value_typeEPNSM_ISH_E10value_typeEPSI_NS1_7vsmem_tEENKUlT_SG_SH_SI_E_clIS7_S7_SB_S7_EESF_SV_SG_SH_SI_EUlSV_E_NS1_11comp_targetILNS1_3genE0ELNS1_11target_archE4294967295ELNS1_3gpuE0ELNS1_3repE0EEENS1_48merge_mergepath_partition_config_static_selectorELNS0_4arch9wavefront6targetE1EEEvSH_,comdat
	.protected	_ZN7rocprim17ROCPRIM_400000_NS6detail17trampoline_kernelINS0_14default_configENS1_38merge_sort_block_merge_config_selectorIllEEZZNS1_27merge_sort_block_merge_implIS3_PlN6thrust23THRUST_200600_302600_NS10device_ptrIlEEjNS1_19radix_merge_compareILb0ELb1ElNS0_19identity_decomposerEEEEE10hipError_tT0_T1_T2_jT3_P12ihipStream_tbPNSt15iterator_traitsISG_E10value_typeEPNSM_ISH_E10value_typeEPSI_NS1_7vsmem_tEENKUlT_SG_SH_SI_E_clIS7_S7_SB_S7_EESF_SV_SG_SH_SI_EUlSV_E_NS1_11comp_targetILNS1_3genE0ELNS1_11target_archE4294967295ELNS1_3gpuE0ELNS1_3repE0EEENS1_48merge_mergepath_partition_config_static_selectorELNS0_4arch9wavefront6targetE1EEEvSH_ ; -- Begin function _ZN7rocprim17ROCPRIM_400000_NS6detail17trampoline_kernelINS0_14default_configENS1_38merge_sort_block_merge_config_selectorIllEEZZNS1_27merge_sort_block_merge_implIS3_PlN6thrust23THRUST_200600_302600_NS10device_ptrIlEEjNS1_19radix_merge_compareILb0ELb1ElNS0_19identity_decomposerEEEEE10hipError_tT0_T1_T2_jT3_P12ihipStream_tbPNSt15iterator_traitsISG_E10value_typeEPNSM_ISH_E10value_typeEPSI_NS1_7vsmem_tEENKUlT_SG_SH_SI_E_clIS7_S7_SB_S7_EESF_SV_SG_SH_SI_EUlSV_E_NS1_11comp_targetILNS1_3genE0ELNS1_11target_archE4294967295ELNS1_3gpuE0ELNS1_3repE0EEENS1_48merge_mergepath_partition_config_static_selectorELNS0_4arch9wavefront6targetE1EEEvSH_
	.globl	_ZN7rocprim17ROCPRIM_400000_NS6detail17trampoline_kernelINS0_14default_configENS1_38merge_sort_block_merge_config_selectorIllEEZZNS1_27merge_sort_block_merge_implIS3_PlN6thrust23THRUST_200600_302600_NS10device_ptrIlEEjNS1_19radix_merge_compareILb0ELb1ElNS0_19identity_decomposerEEEEE10hipError_tT0_T1_T2_jT3_P12ihipStream_tbPNSt15iterator_traitsISG_E10value_typeEPNSM_ISH_E10value_typeEPSI_NS1_7vsmem_tEENKUlT_SG_SH_SI_E_clIS7_S7_SB_S7_EESF_SV_SG_SH_SI_EUlSV_E_NS1_11comp_targetILNS1_3genE0ELNS1_11target_archE4294967295ELNS1_3gpuE0ELNS1_3repE0EEENS1_48merge_mergepath_partition_config_static_selectorELNS0_4arch9wavefront6targetE1EEEvSH_
	.p2align	8
	.type	_ZN7rocprim17ROCPRIM_400000_NS6detail17trampoline_kernelINS0_14default_configENS1_38merge_sort_block_merge_config_selectorIllEEZZNS1_27merge_sort_block_merge_implIS3_PlN6thrust23THRUST_200600_302600_NS10device_ptrIlEEjNS1_19radix_merge_compareILb0ELb1ElNS0_19identity_decomposerEEEEE10hipError_tT0_T1_T2_jT3_P12ihipStream_tbPNSt15iterator_traitsISG_E10value_typeEPNSM_ISH_E10value_typeEPSI_NS1_7vsmem_tEENKUlT_SG_SH_SI_E_clIS7_S7_SB_S7_EESF_SV_SG_SH_SI_EUlSV_E_NS1_11comp_targetILNS1_3genE0ELNS1_11target_archE4294967295ELNS1_3gpuE0ELNS1_3repE0EEENS1_48merge_mergepath_partition_config_static_selectorELNS0_4arch9wavefront6targetE1EEEvSH_,@function
_ZN7rocprim17ROCPRIM_400000_NS6detail17trampoline_kernelINS0_14default_configENS1_38merge_sort_block_merge_config_selectorIllEEZZNS1_27merge_sort_block_merge_implIS3_PlN6thrust23THRUST_200600_302600_NS10device_ptrIlEEjNS1_19radix_merge_compareILb0ELb1ElNS0_19identity_decomposerEEEEE10hipError_tT0_T1_T2_jT3_P12ihipStream_tbPNSt15iterator_traitsISG_E10value_typeEPNSM_ISH_E10value_typeEPSI_NS1_7vsmem_tEENKUlT_SG_SH_SI_E_clIS7_S7_SB_S7_EESF_SV_SG_SH_SI_EUlSV_E_NS1_11comp_targetILNS1_3genE0ELNS1_11target_archE4294967295ELNS1_3gpuE0ELNS1_3repE0EEENS1_48merge_mergepath_partition_config_static_selectorELNS0_4arch9wavefront6targetE1EEEvSH_: ; @_ZN7rocprim17ROCPRIM_400000_NS6detail17trampoline_kernelINS0_14default_configENS1_38merge_sort_block_merge_config_selectorIllEEZZNS1_27merge_sort_block_merge_implIS3_PlN6thrust23THRUST_200600_302600_NS10device_ptrIlEEjNS1_19radix_merge_compareILb0ELb1ElNS0_19identity_decomposerEEEEE10hipError_tT0_T1_T2_jT3_P12ihipStream_tbPNSt15iterator_traitsISG_E10value_typeEPNSM_ISH_E10value_typeEPSI_NS1_7vsmem_tEENKUlT_SG_SH_SI_E_clIS7_S7_SB_S7_EESF_SV_SG_SH_SI_EUlSV_E_NS1_11comp_targetILNS1_3genE0ELNS1_11target_archE4294967295ELNS1_3gpuE0ELNS1_3repE0EEENS1_48merge_mergepath_partition_config_static_selectorELNS0_4arch9wavefront6targetE1EEEvSH_
; %bb.0:
	.section	.rodata,"a",@progbits
	.p2align	6, 0x0
	.amdhsa_kernel _ZN7rocprim17ROCPRIM_400000_NS6detail17trampoline_kernelINS0_14default_configENS1_38merge_sort_block_merge_config_selectorIllEEZZNS1_27merge_sort_block_merge_implIS3_PlN6thrust23THRUST_200600_302600_NS10device_ptrIlEEjNS1_19radix_merge_compareILb0ELb1ElNS0_19identity_decomposerEEEEE10hipError_tT0_T1_T2_jT3_P12ihipStream_tbPNSt15iterator_traitsISG_E10value_typeEPNSM_ISH_E10value_typeEPSI_NS1_7vsmem_tEENKUlT_SG_SH_SI_E_clIS7_S7_SB_S7_EESF_SV_SG_SH_SI_EUlSV_E_NS1_11comp_targetILNS1_3genE0ELNS1_11target_archE4294967295ELNS1_3gpuE0ELNS1_3repE0EEENS1_48merge_mergepath_partition_config_static_selectorELNS0_4arch9wavefront6targetE1EEEvSH_
		.amdhsa_group_segment_fixed_size 0
		.amdhsa_private_segment_fixed_size 0
		.amdhsa_kernarg_size 40
		.amdhsa_user_sgpr_count 6
		.amdhsa_user_sgpr_private_segment_buffer 1
		.amdhsa_user_sgpr_dispatch_ptr 0
		.amdhsa_user_sgpr_queue_ptr 0
		.amdhsa_user_sgpr_kernarg_segment_ptr 1
		.amdhsa_user_sgpr_dispatch_id 0
		.amdhsa_user_sgpr_flat_scratch_init 0
		.amdhsa_user_sgpr_kernarg_preload_length 0
		.amdhsa_user_sgpr_kernarg_preload_offset 0
		.amdhsa_user_sgpr_private_segment_size 0
		.amdhsa_uses_dynamic_stack 0
		.amdhsa_system_sgpr_private_segment_wavefront_offset 0
		.amdhsa_system_sgpr_workgroup_id_x 1
		.amdhsa_system_sgpr_workgroup_id_y 0
		.amdhsa_system_sgpr_workgroup_id_z 0
		.amdhsa_system_sgpr_workgroup_info 0
		.amdhsa_system_vgpr_workitem_id 0
		.amdhsa_next_free_vgpr 1
		.amdhsa_next_free_sgpr 0
		.amdhsa_accum_offset 4
		.amdhsa_reserve_vcc 0
		.amdhsa_reserve_flat_scratch 0
		.amdhsa_float_round_mode_32 0
		.amdhsa_float_round_mode_16_64 0
		.amdhsa_float_denorm_mode_32 3
		.amdhsa_float_denorm_mode_16_64 3
		.amdhsa_dx10_clamp 1
		.amdhsa_ieee_mode 1
		.amdhsa_fp16_overflow 0
		.amdhsa_tg_split 0
		.amdhsa_exception_fp_ieee_invalid_op 0
		.amdhsa_exception_fp_denorm_src 0
		.amdhsa_exception_fp_ieee_div_zero 0
		.amdhsa_exception_fp_ieee_overflow 0
		.amdhsa_exception_fp_ieee_underflow 0
		.amdhsa_exception_fp_ieee_inexact 0
		.amdhsa_exception_int_div_zero 0
	.end_amdhsa_kernel
	.section	.text._ZN7rocprim17ROCPRIM_400000_NS6detail17trampoline_kernelINS0_14default_configENS1_38merge_sort_block_merge_config_selectorIllEEZZNS1_27merge_sort_block_merge_implIS3_PlN6thrust23THRUST_200600_302600_NS10device_ptrIlEEjNS1_19radix_merge_compareILb0ELb1ElNS0_19identity_decomposerEEEEE10hipError_tT0_T1_T2_jT3_P12ihipStream_tbPNSt15iterator_traitsISG_E10value_typeEPNSM_ISH_E10value_typeEPSI_NS1_7vsmem_tEENKUlT_SG_SH_SI_E_clIS7_S7_SB_S7_EESF_SV_SG_SH_SI_EUlSV_E_NS1_11comp_targetILNS1_3genE0ELNS1_11target_archE4294967295ELNS1_3gpuE0ELNS1_3repE0EEENS1_48merge_mergepath_partition_config_static_selectorELNS0_4arch9wavefront6targetE1EEEvSH_,"axG",@progbits,_ZN7rocprim17ROCPRIM_400000_NS6detail17trampoline_kernelINS0_14default_configENS1_38merge_sort_block_merge_config_selectorIllEEZZNS1_27merge_sort_block_merge_implIS3_PlN6thrust23THRUST_200600_302600_NS10device_ptrIlEEjNS1_19radix_merge_compareILb0ELb1ElNS0_19identity_decomposerEEEEE10hipError_tT0_T1_T2_jT3_P12ihipStream_tbPNSt15iterator_traitsISG_E10value_typeEPNSM_ISH_E10value_typeEPSI_NS1_7vsmem_tEENKUlT_SG_SH_SI_E_clIS7_S7_SB_S7_EESF_SV_SG_SH_SI_EUlSV_E_NS1_11comp_targetILNS1_3genE0ELNS1_11target_archE4294967295ELNS1_3gpuE0ELNS1_3repE0EEENS1_48merge_mergepath_partition_config_static_selectorELNS0_4arch9wavefront6targetE1EEEvSH_,comdat
.Lfunc_end1090:
	.size	_ZN7rocprim17ROCPRIM_400000_NS6detail17trampoline_kernelINS0_14default_configENS1_38merge_sort_block_merge_config_selectorIllEEZZNS1_27merge_sort_block_merge_implIS3_PlN6thrust23THRUST_200600_302600_NS10device_ptrIlEEjNS1_19radix_merge_compareILb0ELb1ElNS0_19identity_decomposerEEEEE10hipError_tT0_T1_T2_jT3_P12ihipStream_tbPNSt15iterator_traitsISG_E10value_typeEPNSM_ISH_E10value_typeEPSI_NS1_7vsmem_tEENKUlT_SG_SH_SI_E_clIS7_S7_SB_S7_EESF_SV_SG_SH_SI_EUlSV_E_NS1_11comp_targetILNS1_3genE0ELNS1_11target_archE4294967295ELNS1_3gpuE0ELNS1_3repE0EEENS1_48merge_mergepath_partition_config_static_selectorELNS0_4arch9wavefront6targetE1EEEvSH_, .Lfunc_end1090-_ZN7rocprim17ROCPRIM_400000_NS6detail17trampoline_kernelINS0_14default_configENS1_38merge_sort_block_merge_config_selectorIllEEZZNS1_27merge_sort_block_merge_implIS3_PlN6thrust23THRUST_200600_302600_NS10device_ptrIlEEjNS1_19radix_merge_compareILb0ELb1ElNS0_19identity_decomposerEEEEE10hipError_tT0_T1_T2_jT3_P12ihipStream_tbPNSt15iterator_traitsISG_E10value_typeEPNSM_ISH_E10value_typeEPSI_NS1_7vsmem_tEENKUlT_SG_SH_SI_E_clIS7_S7_SB_S7_EESF_SV_SG_SH_SI_EUlSV_E_NS1_11comp_targetILNS1_3genE0ELNS1_11target_archE4294967295ELNS1_3gpuE0ELNS1_3repE0EEENS1_48merge_mergepath_partition_config_static_selectorELNS0_4arch9wavefront6targetE1EEEvSH_
                                        ; -- End function
	.section	.AMDGPU.csdata,"",@progbits
; Kernel info:
; codeLenInByte = 0
; NumSgprs: 4
; NumVgprs: 0
; NumAgprs: 0
; TotalNumVgprs: 0
; ScratchSize: 0
; MemoryBound: 0
; FloatMode: 240
; IeeeMode: 1
; LDSByteSize: 0 bytes/workgroup (compile time only)
; SGPRBlocks: 0
; VGPRBlocks: 0
; NumSGPRsForWavesPerEU: 4
; NumVGPRsForWavesPerEU: 1
; AccumOffset: 4
; Occupancy: 8
; WaveLimiterHint : 0
; COMPUTE_PGM_RSRC2:SCRATCH_EN: 0
; COMPUTE_PGM_RSRC2:USER_SGPR: 6
; COMPUTE_PGM_RSRC2:TRAP_HANDLER: 0
; COMPUTE_PGM_RSRC2:TGID_X_EN: 1
; COMPUTE_PGM_RSRC2:TGID_Y_EN: 0
; COMPUTE_PGM_RSRC2:TGID_Z_EN: 0
; COMPUTE_PGM_RSRC2:TIDIG_COMP_CNT: 0
; COMPUTE_PGM_RSRC3_GFX90A:ACCUM_OFFSET: 0
; COMPUTE_PGM_RSRC3_GFX90A:TG_SPLIT: 0
	.section	.text._ZN7rocprim17ROCPRIM_400000_NS6detail17trampoline_kernelINS0_14default_configENS1_38merge_sort_block_merge_config_selectorIllEEZZNS1_27merge_sort_block_merge_implIS3_PlN6thrust23THRUST_200600_302600_NS10device_ptrIlEEjNS1_19radix_merge_compareILb0ELb1ElNS0_19identity_decomposerEEEEE10hipError_tT0_T1_T2_jT3_P12ihipStream_tbPNSt15iterator_traitsISG_E10value_typeEPNSM_ISH_E10value_typeEPSI_NS1_7vsmem_tEENKUlT_SG_SH_SI_E_clIS7_S7_SB_S7_EESF_SV_SG_SH_SI_EUlSV_E_NS1_11comp_targetILNS1_3genE10ELNS1_11target_archE1201ELNS1_3gpuE5ELNS1_3repE0EEENS1_48merge_mergepath_partition_config_static_selectorELNS0_4arch9wavefront6targetE1EEEvSH_,"axG",@progbits,_ZN7rocprim17ROCPRIM_400000_NS6detail17trampoline_kernelINS0_14default_configENS1_38merge_sort_block_merge_config_selectorIllEEZZNS1_27merge_sort_block_merge_implIS3_PlN6thrust23THRUST_200600_302600_NS10device_ptrIlEEjNS1_19radix_merge_compareILb0ELb1ElNS0_19identity_decomposerEEEEE10hipError_tT0_T1_T2_jT3_P12ihipStream_tbPNSt15iterator_traitsISG_E10value_typeEPNSM_ISH_E10value_typeEPSI_NS1_7vsmem_tEENKUlT_SG_SH_SI_E_clIS7_S7_SB_S7_EESF_SV_SG_SH_SI_EUlSV_E_NS1_11comp_targetILNS1_3genE10ELNS1_11target_archE1201ELNS1_3gpuE5ELNS1_3repE0EEENS1_48merge_mergepath_partition_config_static_selectorELNS0_4arch9wavefront6targetE1EEEvSH_,comdat
	.protected	_ZN7rocprim17ROCPRIM_400000_NS6detail17trampoline_kernelINS0_14default_configENS1_38merge_sort_block_merge_config_selectorIllEEZZNS1_27merge_sort_block_merge_implIS3_PlN6thrust23THRUST_200600_302600_NS10device_ptrIlEEjNS1_19radix_merge_compareILb0ELb1ElNS0_19identity_decomposerEEEEE10hipError_tT0_T1_T2_jT3_P12ihipStream_tbPNSt15iterator_traitsISG_E10value_typeEPNSM_ISH_E10value_typeEPSI_NS1_7vsmem_tEENKUlT_SG_SH_SI_E_clIS7_S7_SB_S7_EESF_SV_SG_SH_SI_EUlSV_E_NS1_11comp_targetILNS1_3genE10ELNS1_11target_archE1201ELNS1_3gpuE5ELNS1_3repE0EEENS1_48merge_mergepath_partition_config_static_selectorELNS0_4arch9wavefront6targetE1EEEvSH_ ; -- Begin function _ZN7rocprim17ROCPRIM_400000_NS6detail17trampoline_kernelINS0_14default_configENS1_38merge_sort_block_merge_config_selectorIllEEZZNS1_27merge_sort_block_merge_implIS3_PlN6thrust23THRUST_200600_302600_NS10device_ptrIlEEjNS1_19radix_merge_compareILb0ELb1ElNS0_19identity_decomposerEEEEE10hipError_tT0_T1_T2_jT3_P12ihipStream_tbPNSt15iterator_traitsISG_E10value_typeEPNSM_ISH_E10value_typeEPSI_NS1_7vsmem_tEENKUlT_SG_SH_SI_E_clIS7_S7_SB_S7_EESF_SV_SG_SH_SI_EUlSV_E_NS1_11comp_targetILNS1_3genE10ELNS1_11target_archE1201ELNS1_3gpuE5ELNS1_3repE0EEENS1_48merge_mergepath_partition_config_static_selectorELNS0_4arch9wavefront6targetE1EEEvSH_
	.globl	_ZN7rocprim17ROCPRIM_400000_NS6detail17trampoline_kernelINS0_14default_configENS1_38merge_sort_block_merge_config_selectorIllEEZZNS1_27merge_sort_block_merge_implIS3_PlN6thrust23THRUST_200600_302600_NS10device_ptrIlEEjNS1_19radix_merge_compareILb0ELb1ElNS0_19identity_decomposerEEEEE10hipError_tT0_T1_T2_jT3_P12ihipStream_tbPNSt15iterator_traitsISG_E10value_typeEPNSM_ISH_E10value_typeEPSI_NS1_7vsmem_tEENKUlT_SG_SH_SI_E_clIS7_S7_SB_S7_EESF_SV_SG_SH_SI_EUlSV_E_NS1_11comp_targetILNS1_3genE10ELNS1_11target_archE1201ELNS1_3gpuE5ELNS1_3repE0EEENS1_48merge_mergepath_partition_config_static_selectorELNS0_4arch9wavefront6targetE1EEEvSH_
	.p2align	8
	.type	_ZN7rocprim17ROCPRIM_400000_NS6detail17trampoline_kernelINS0_14default_configENS1_38merge_sort_block_merge_config_selectorIllEEZZNS1_27merge_sort_block_merge_implIS3_PlN6thrust23THRUST_200600_302600_NS10device_ptrIlEEjNS1_19radix_merge_compareILb0ELb1ElNS0_19identity_decomposerEEEEE10hipError_tT0_T1_T2_jT3_P12ihipStream_tbPNSt15iterator_traitsISG_E10value_typeEPNSM_ISH_E10value_typeEPSI_NS1_7vsmem_tEENKUlT_SG_SH_SI_E_clIS7_S7_SB_S7_EESF_SV_SG_SH_SI_EUlSV_E_NS1_11comp_targetILNS1_3genE10ELNS1_11target_archE1201ELNS1_3gpuE5ELNS1_3repE0EEENS1_48merge_mergepath_partition_config_static_selectorELNS0_4arch9wavefront6targetE1EEEvSH_,@function
_ZN7rocprim17ROCPRIM_400000_NS6detail17trampoline_kernelINS0_14default_configENS1_38merge_sort_block_merge_config_selectorIllEEZZNS1_27merge_sort_block_merge_implIS3_PlN6thrust23THRUST_200600_302600_NS10device_ptrIlEEjNS1_19radix_merge_compareILb0ELb1ElNS0_19identity_decomposerEEEEE10hipError_tT0_T1_T2_jT3_P12ihipStream_tbPNSt15iterator_traitsISG_E10value_typeEPNSM_ISH_E10value_typeEPSI_NS1_7vsmem_tEENKUlT_SG_SH_SI_E_clIS7_S7_SB_S7_EESF_SV_SG_SH_SI_EUlSV_E_NS1_11comp_targetILNS1_3genE10ELNS1_11target_archE1201ELNS1_3gpuE5ELNS1_3repE0EEENS1_48merge_mergepath_partition_config_static_selectorELNS0_4arch9wavefront6targetE1EEEvSH_: ; @_ZN7rocprim17ROCPRIM_400000_NS6detail17trampoline_kernelINS0_14default_configENS1_38merge_sort_block_merge_config_selectorIllEEZZNS1_27merge_sort_block_merge_implIS3_PlN6thrust23THRUST_200600_302600_NS10device_ptrIlEEjNS1_19radix_merge_compareILb0ELb1ElNS0_19identity_decomposerEEEEE10hipError_tT0_T1_T2_jT3_P12ihipStream_tbPNSt15iterator_traitsISG_E10value_typeEPNSM_ISH_E10value_typeEPSI_NS1_7vsmem_tEENKUlT_SG_SH_SI_E_clIS7_S7_SB_S7_EESF_SV_SG_SH_SI_EUlSV_E_NS1_11comp_targetILNS1_3genE10ELNS1_11target_archE1201ELNS1_3gpuE5ELNS1_3repE0EEENS1_48merge_mergepath_partition_config_static_selectorELNS0_4arch9wavefront6targetE1EEEvSH_
; %bb.0:
	.section	.rodata,"a",@progbits
	.p2align	6, 0x0
	.amdhsa_kernel _ZN7rocprim17ROCPRIM_400000_NS6detail17trampoline_kernelINS0_14default_configENS1_38merge_sort_block_merge_config_selectorIllEEZZNS1_27merge_sort_block_merge_implIS3_PlN6thrust23THRUST_200600_302600_NS10device_ptrIlEEjNS1_19radix_merge_compareILb0ELb1ElNS0_19identity_decomposerEEEEE10hipError_tT0_T1_T2_jT3_P12ihipStream_tbPNSt15iterator_traitsISG_E10value_typeEPNSM_ISH_E10value_typeEPSI_NS1_7vsmem_tEENKUlT_SG_SH_SI_E_clIS7_S7_SB_S7_EESF_SV_SG_SH_SI_EUlSV_E_NS1_11comp_targetILNS1_3genE10ELNS1_11target_archE1201ELNS1_3gpuE5ELNS1_3repE0EEENS1_48merge_mergepath_partition_config_static_selectorELNS0_4arch9wavefront6targetE1EEEvSH_
		.amdhsa_group_segment_fixed_size 0
		.amdhsa_private_segment_fixed_size 0
		.amdhsa_kernarg_size 40
		.amdhsa_user_sgpr_count 6
		.amdhsa_user_sgpr_private_segment_buffer 1
		.amdhsa_user_sgpr_dispatch_ptr 0
		.amdhsa_user_sgpr_queue_ptr 0
		.amdhsa_user_sgpr_kernarg_segment_ptr 1
		.amdhsa_user_sgpr_dispatch_id 0
		.amdhsa_user_sgpr_flat_scratch_init 0
		.amdhsa_user_sgpr_kernarg_preload_length 0
		.amdhsa_user_sgpr_kernarg_preload_offset 0
		.amdhsa_user_sgpr_private_segment_size 0
		.amdhsa_uses_dynamic_stack 0
		.amdhsa_system_sgpr_private_segment_wavefront_offset 0
		.amdhsa_system_sgpr_workgroup_id_x 1
		.amdhsa_system_sgpr_workgroup_id_y 0
		.amdhsa_system_sgpr_workgroup_id_z 0
		.amdhsa_system_sgpr_workgroup_info 0
		.amdhsa_system_vgpr_workitem_id 0
		.amdhsa_next_free_vgpr 1
		.amdhsa_next_free_sgpr 0
		.amdhsa_accum_offset 4
		.amdhsa_reserve_vcc 0
		.amdhsa_reserve_flat_scratch 0
		.amdhsa_float_round_mode_32 0
		.amdhsa_float_round_mode_16_64 0
		.amdhsa_float_denorm_mode_32 3
		.amdhsa_float_denorm_mode_16_64 3
		.amdhsa_dx10_clamp 1
		.amdhsa_ieee_mode 1
		.amdhsa_fp16_overflow 0
		.amdhsa_tg_split 0
		.amdhsa_exception_fp_ieee_invalid_op 0
		.amdhsa_exception_fp_denorm_src 0
		.amdhsa_exception_fp_ieee_div_zero 0
		.amdhsa_exception_fp_ieee_overflow 0
		.amdhsa_exception_fp_ieee_underflow 0
		.amdhsa_exception_fp_ieee_inexact 0
		.amdhsa_exception_int_div_zero 0
	.end_amdhsa_kernel
	.section	.text._ZN7rocprim17ROCPRIM_400000_NS6detail17trampoline_kernelINS0_14default_configENS1_38merge_sort_block_merge_config_selectorIllEEZZNS1_27merge_sort_block_merge_implIS3_PlN6thrust23THRUST_200600_302600_NS10device_ptrIlEEjNS1_19radix_merge_compareILb0ELb1ElNS0_19identity_decomposerEEEEE10hipError_tT0_T1_T2_jT3_P12ihipStream_tbPNSt15iterator_traitsISG_E10value_typeEPNSM_ISH_E10value_typeEPSI_NS1_7vsmem_tEENKUlT_SG_SH_SI_E_clIS7_S7_SB_S7_EESF_SV_SG_SH_SI_EUlSV_E_NS1_11comp_targetILNS1_3genE10ELNS1_11target_archE1201ELNS1_3gpuE5ELNS1_3repE0EEENS1_48merge_mergepath_partition_config_static_selectorELNS0_4arch9wavefront6targetE1EEEvSH_,"axG",@progbits,_ZN7rocprim17ROCPRIM_400000_NS6detail17trampoline_kernelINS0_14default_configENS1_38merge_sort_block_merge_config_selectorIllEEZZNS1_27merge_sort_block_merge_implIS3_PlN6thrust23THRUST_200600_302600_NS10device_ptrIlEEjNS1_19radix_merge_compareILb0ELb1ElNS0_19identity_decomposerEEEEE10hipError_tT0_T1_T2_jT3_P12ihipStream_tbPNSt15iterator_traitsISG_E10value_typeEPNSM_ISH_E10value_typeEPSI_NS1_7vsmem_tEENKUlT_SG_SH_SI_E_clIS7_S7_SB_S7_EESF_SV_SG_SH_SI_EUlSV_E_NS1_11comp_targetILNS1_3genE10ELNS1_11target_archE1201ELNS1_3gpuE5ELNS1_3repE0EEENS1_48merge_mergepath_partition_config_static_selectorELNS0_4arch9wavefront6targetE1EEEvSH_,comdat
.Lfunc_end1091:
	.size	_ZN7rocprim17ROCPRIM_400000_NS6detail17trampoline_kernelINS0_14default_configENS1_38merge_sort_block_merge_config_selectorIllEEZZNS1_27merge_sort_block_merge_implIS3_PlN6thrust23THRUST_200600_302600_NS10device_ptrIlEEjNS1_19radix_merge_compareILb0ELb1ElNS0_19identity_decomposerEEEEE10hipError_tT0_T1_T2_jT3_P12ihipStream_tbPNSt15iterator_traitsISG_E10value_typeEPNSM_ISH_E10value_typeEPSI_NS1_7vsmem_tEENKUlT_SG_SH_SI_E_clIS7_S7_SB_S7_EESF_SV_SG_SH_SI_EUlSV_E_NS1_11comp_targetILNS1_3genE10ELNS1_11target_archE1201ELNS1_3gpuE5ELNS1_3repE0EEENS1_48merge_mergepath_partition_config_static_selectorELNS0_4arch9wavefront6targetE1EEEvSH_, .Lfunc_end1091-_ZN7rocprim17ROCPRIM_400000_NS6detail17trampoline_kernelINS0_14default_configENS1_38merge_sort_block_merge_config_selectorIllEEZZNS1_27merge_sort_block_merge_implIS3_PlN6thrust23THRUST_200600_302600_NS10device_ptrIlEEjNS1_19radix_merge_compareILb0ELb1ElNS0_19identity_decomposerEEEEE10hipError_tT0_T1_T2_jT3_P12ihipStream_tbPNSt15iterator_traitsISG_E10value_typeEPNSM_ISH_E10value_typeEPSI_NS1_7vsmem_tEENKUlT_SG_SH_SI_E_clIS7_S7_SB_S7_EESF_SV_SG_SH_SI_EUlSV_E_NS1_11comp_targetILNS1_3genE10ELNS1_11target_archE1201ELNS1_3gpuE5ELNS1_3repE0EEENS1_48merge_mergepath_partition_config_static_selectorELNS0_4arch9wavefront6targetE1EEEvSH_
                                        ; -- End function
	.section	.AMDGPU.csdata,"",@progbits
; Kernel info:
; codeLenInByte = 0
; NumSgprs: 4
; NumVgprs: 0
; NumAgprs: 0
; TotalNumVgprs: 0
; ScratchSize: 0
; MemoryBound: 0
; FloatMode: 240
; IeeeMode: 1
; LDSByteSize: 0 bytes/workgroup (compile time only)
; SGPRBlocks: 0
; VGPRBlocks: 0
; NumSGPRsForWavesPerEU: 4
; NumVGPRsForWavesPerEU: 1
; AccumOffset: 4
; Occupancy: 8
; WaveLimiterHint : 0
; COMPUTE_PGM_RSRC2:SCRATCH_EN: 0
; COMPUTE_PGM_RSRC2:USER_SGPR: 6
; COMPUTE_PGM_RSRC2:TRAP_HANDLER: 0
; COMPUTE_PGM_RSRC2:TGID_X_EN: 1
; COMPUTE_PGM_RSRC2:TGID_Y_EN: 0
; COMPUTE_PGM_RSRC2:TGID_Z_EN: 0
; COMPUTE_PGM_RSRC2:TIDIG_COMP_CNT: 0
; COMPUTE_PGM_RSRC3_GFX90A:ACCUM_OFFSET: 0
; COMPUTE_PGM_RSRC3_GFX90A:TG_SPLIT: 0
	.section	.text._ZN7rocprim17ROCPRIM_400000_NS6detail17trampoline_kernelINS0_14default_configENS1_38merge_sort_block_merge_config_selectorIllEEZZNS1_27merge_sort_block_merge_implIS3_PlN6thrust23THRUST_200600_302600_NS10device_ptrIlEEjNS1_19radix_merge_compareILb0ELb1ElNS0_19identity_decomposerEEEEE10hipError_tT0_T1_T2_jT3_P12ihipStream_tbPNSt15iterator_traitsISG_E10value_typeEPNSM_ISH_E10value_typeEPSI_NS1_7vsmem_tEENKUlT_SG_SH_SI_E_clIS7_S7_SB_S7_EESF_SV_SG_SH_SI_EUlSV_E_NS1_11comp_targetILNS1_3genE5ELNS1_11target_archE942ELNS1_3gpuE9ELNS1_3repE0EEENS1_48merge_mergepath_partition_config_static_selectorELNS0_4arch9wavefront6targetE1EEEvSH_,"axG",@progbits,_ZN7rocprim17ROCPRIM_400000_NS6detail17trampoline_kernelINS0_14default_configENS1_38merge_sort_block_merge_config_selectorIllEEZZNS1_27merge_sort_block_merge_implIS3_PlN6thrust23THRUST_200600_302600_NS10device_ptrIlEEjNS1_19radix_merge_compareILb0ELb1ElNS0_19identity_decomposerEEEEE10hipError_tT0_T1_T2_jT3_P12ihipStream_tbPNSt15iterator_traitsISG_E10value_typeEPNSM_ISH_E10value_typeEPSI_NS1_7vsmem_tEENKUlT_SG_SH_SI_E_clIS7_S7_SB_S7_EESF_SV_SG_SH_SI_EUlSV_E_NS1_11comp_targetILNS1_3genE5ELNS1_11target_archE942ELNS1_3gpuE9ELNS1_3repE0EEENS1_48merge_mergepath_partition_config_static_selectorELNS0_4arch9wavefront6targetE1EEEvSH_,comdat
	.protected	_ZN7rocprim17ROCPRIM_400000_NS6detail17trampoline_kernelINS0_14default_configENS1_38merge_sort_block_merge_config_selectorIllEEZZNS1_27merge_sort_block_merge_implIS3_PlN6thrust23THRUST_200600_302600_NS10device_ptrIlEEjNS1_19radix_merge_compareILb0ELb1ElNS0_19identity_decomposerEEEEE10hipError_tT0_T1_T2_jT3_P12ihipStream_tbPNSt15iterator_traitsISG_E10value_typeEPNSM_ISH_E10value_typeEPSI_NS1_7vsmem_tEENKUlT_SG_SH_SI_E_clIS7_S7_SB_S7_EESF_SV_SG_SH_SI_EUlSV_E_NS1_11comp_targetILNS1_3genE5ELNS1_11target_archE942ELNS1_3gpuE9ELNS1_3repE0EEENS1_48merge_mergepath_partition_config_static_selectorELNS0_4arch9wavefront6targetE1EEEvSH_ ; -- Begin function _ZN7rocprim17ROCPRIM_400000_NS6detail17trampoline_kernelINS0_14default_configENS1_38merge_sort_block_merge_config_selectorIllEEZZNS1_27merge_sort_block_merge_implIS3_PlN6thrust23THRUST_200600_302600_NS10device_ptrIlEEjNS1_19radix_merge_compareILb0ELb1ElNS0_19identity_decomposerEEEEE10hipError_tT0_T1_T2_jT3_P12ihipStream_tbPNSt15iterator_traitsISG_E10value_typeEPNSM_ISH_E10value_typeEPSI_NS1_7vsmem_tEENKUlT_SG_SH_SI_E_clIS7_S7_SB_S7_EESF_SV_SG_SH_SI_EUlSV_E_NS1_11comp_targetILNS1_3genE5ELNS1_11target_archE942ELNS1_3gpuE9ELNS1_3repE0EEENS1_48merge_mergepath_partition_config_static_selectorELNS0_4arch9wavefront6targetE1EEEvSH_
	.globl	_ZN7rocprim17ROCPRIM_400000_NS6detail17trampoline_kernelINS0_14default_configENS1_38merge_sort_block_merge_config_selectorIllEEZZNS1_27merge_sort_block_merge_implIS3_PlN6thrust23THRUST_200600_302600_NS10device_ptrIlEEjNS1_19radix_merge_compareILb0ELb1ElNS0_19identity_decomposerEEEEE10hipError_tT0_T1_T2_jT3_P12ihipStream_tbPNSt15iterator_traitsISG_E10value_typeEPNSM_ISH_E10value_typeEPSI_NS1_7vsmem_tEENKUlT_SG_SH_SI_E_clIS7_S7_SB_S7_EESF_SV_SG_SH_SI_EUlSV_E_NS1_11comp_targetILNS1_3genE5ELNS1_11target_archE942ELNS1_3gpuE9ELNS1_3repE0EEENS1_48merge_mergepath_partition_config_static_selectorELNS0_4arch9wavefront6targetE1EEEvSH_
	.p2align	8
	.type	_ZN7rocprim17ROCPRIM_400000_NS6detail17trampoline_kernelINS0_14default_configENS1_38merge_sort_block_merge_config_selectorIllEEZZNS1_27merge_sort_block_merge_implIS3_PlN6thrust23THRUST_200600_302600_NS10device_ptrIlEEjNS1_19radix_merge_compareILb0ELb1ElNS0_19identity_decomposerEEEEE10hipError_tT0_T1_T2_jT3_P12ihipStream_tbPNSt15iterator_traitsISG_E10value_typeEPNSM_ISH_E10value_typeEPSI_NS1_7vsmem_tEENKUlT_SG_SH_SI_E_clIS7_S7_SB_S7_EESF_SV_SG_SH_SI_EUlSV_E_NS1_11comp_targetILNS1_3genE5ELNS1_11target_archE942ELNS1_3gpuE9ELNS1_3repE0EEENS1_48merge_mergepath_partition_config_static_selectorELNS0_4arch9wavefront6targetE1EEEvSH_,@function
_ZN7rocprim17ROCPRIM_400000_NS6detail17trampoline_kernelINS0_14default_configENS1_38merge_sort_block_merge_config_selectorIllEEZZNS1_27merge_sort_block_merge_implIS3_PlN6thrust23THRUST_200600_302600_NS10device_ptrIlEEjNS1_19radix_merge_compareILb0ELb1ElNS0_19identity_decomposerEEEEE10hipError_tT0_T1_T2_jT3_P12ihipStream_tbPNSt15iterator_traitsISG_E10value_typeEPNSM_ISH_E10value_typeEPSI_NS1_7vsmem_tEENKUlT_SG_SH_SI_E_clIS7_S7_SB_S7_EESF_SV_SG_SH_SI_EUlSV_E_NS1_11comp_targetILNS1_3genE5ELNS1_11target_archE942ELNS1_3gpuE9ELNS1_3repE0EEENS1_48merge_mergepath_partition_config_static_selectorELNS0_4arch9wavefront6targetE1EEEvSH_: ; @_ZN7rocprim17ROCPRIM_400000_NS6detail17trampoline_kernelINS0_14default_configENS1_38merge_sort_block_merge_config_selectorIllEEZZNS1_27merge_sort_block_merge_implIS3_PlN6thrust23THRUST_200600_302600_NS10device_ptrIlEEjNS1_19radix_merge_compareILb0ELb1ElNS0_19identity_decomposerEEEEE10hipError_tT0_T1_T2_jT3_P12ihipStream_tbPNSt15iterator_traitsISG_E10value_typeEPNSM_ISH_E10value_typeEPSI_NS1_7vsmem_tEENKUlT_SG_SH_SI_E_clIS7_S7_SB_S7_EESF_SV_SG_SH_SI_EUlSV_E_NS1_11comp_targetILNS1_3genE5ELNS1_11target_archE942ELNS1_3gpuE9ELNS1_3repE0EEENS1_48merge_mergepath_partition_config_static_selectorELNS0_4arch9wavefront6targetE1EEEvSH_
; %bb.0:
	.section	.rodata,"a",@progbits
	.p2align	6, 0x0
	.amdhsa_kernel _ZN7rocprim17ROCPRIM_400000_NS6detail17trampoline_kernelINS0_14default_configENS1_38merge_sort_block_merge_config_selectorIllEEZZNS1_27merge_sort_block_merge_implIS3_PlN6thrust23THRUST_200600_302600_NS10device_ptrIlEEjNS1_19radix_merge_compareILb0ELb1ElNS0_19identity_decomposerEEEEE10hipError_tT0_T1_T2_jT3_P12ihipStream_tbPNSt15iterator_traitsISG_E10value_typeEPNSM_ISH_E10value_typeEPSI_NS1_7vsmem_tEENKUlT_SG_SH_SI_E_clIS7_S7_SB_S7_EESF_SV_SG_SH_SI_EUlSV_E_NS1_11comp_targetILNS1_3genE5ELNS1_11target_archE942ELNS1_3gpuE9ELNS1_3repE0EEENS1_48merge_mergepath_partition_config_static_selectorELNS0_4arch9wavefront6targetE1EEEvSH_
		.amdhsa_group_segment_fixed_size 0
		.amdhsa_private_segment_fixed_size 0
		.amdhsa_kernarg_size 40
		.amdhsa_user_sgpr_count 6
		.amdhsa_user_sgpr_private_segment_buffer 1
		.amdhsa_user_sgpr_dispatch_ptr 0
		.amdhsa_user_sgpr_queue_ptr 0
		.amdhsa_user_sgpr_kernarg_segment_ptr 1
		.amdhsa_user_sgpr_dispatch_id 0
		.amdhsa_user_sgpr_flat_scratch_init 0
		.amdhsa_user_sgpr_kernarg_preload_length 0
		.amdhsa_user_sgpr_kernarg_preload_offset 0
		.amdhsa_user_sgpr_private_segment_size 0
		.amdhsa_uses_dynamic_stack 0
		.amdhsa_system_sgpr_private_segment_wavefront_offset 0
		.amdhsa_system_sgpr_workgroup_id_x 1
		.amdhsa_system_sgpr_workgroup_id_y 0
		.amdhsa_system_sgpr_workgroup_id_z 0
		.amdhsa_system_sgpr_workgroup_info 0
		.amdhsa_system_vgpr_workitem_id 0
		.amdhsa_next_free_vgpr 1
		.amdhsa_next_free_sgpr 0
		.amdhsa_accum_offset 4
		.amdhsa_reserve_vcc 0
		.amdhsa_reserve_flat_scratch 0
		.amdhsa_float_round_mode_32 0
		.amdhsa_float_round_mode_16_64 0
		.amdhsa_float_denorm_mode_32 3
		.amdhsa_float_denorm_mode_16_64 3
		.amdhsa_dx10_clamp 1
		.amdhsa_ieee_mode 1
		.amdhsa_fp16_overflow 0
		.amdhsa_tg_split 0
		.amdhsa_exception_fp_ieee_invalid_op 0
		.amdhsa_exception_fp_denorm_src 0
		.amdhsa_exception_fp_ieee_div_zero 0
		.amdhsa_exception_fp_ieee_overflow 0
		.amdhsa_exception_fp_ieee_underflow 0
		.amdhsa_exception_fp_ieee_inexact 0
		.amdhsa_exception_int_div_zero 0
	.end_amdhsa_kernel
	.section	.text._ZN7rocprim17ROCPRIM_400000_NS6detail17trampoline_kernelINS0_14default_configENS1_38merge_sort_block_merge_config_selectorIllEEZZNS1_27merge_sort_block_merge_implIS3_PlN6thrust23THRUST_200600_302600_NS10device_ptrIlEEjNS1_19radix_merge_compareILb0ELb1ElNS0_19identity_decomposerEEEEE10hipError_tT0_T1_T2_jT3_P12ihipStream_tbPNSt15iterator_traitsISG_E10value_typeEPNSM_ISH_E10value_typeEPSI_NS1_7vsmem_tEENKUlT_SG_SH_SI_E_clIS7_S7_SB_S7_EESF_SV_SG_SH_SI_EUlSV_E_NS1_11comp_targetILNS1_3genE5ELNS1_11target_archE942ELNS1_3gpuE9ELNS1_3repE0EEENS1_48merge_mergepath_partition_config_static_selectorELNS0_4arch9wavefront6targetE1EEEvSH_,"axG",@progbits,_ZN7rocprim17ROCPRIM_400000_NS6detail17trampoline_kernelINS0_14default_configENS1_38merge_sort_block_merge_config_selectorIllEEZZNS1_27merge_sort_block_merge_implIS3_PlN6thrust23THRUST_200600_302600_NS10device_ptrIlEEjNS1_19radix_merge_compareILb0ELb1ElNS0_19identity_decomposerEEEEE10hipError_tT0_T1_T2_jT3_P12ihipStream_tbPNSt15iterator_traitsISG_E10value_typeEPNSM_ISH_E10value_typeEPSI_NS1_7vsmem_tEENKUlT_SG_SH_SI_E_clIS7_S7_SB_S7_EESF_SV_SG_SH_SI_EUlSV_E_NS1_11comp_targetILNS1_3genE5ELNS1_11target_archE942ELNS1_3gpuE9ELNS1_3repE0EEENS1_48merge_mergepath_partition_config_static_selectorELNS0_4arch9wavefront6targetE1EEEvSH_,comdat
.Lfunc_end1092:
	.size	_ZN7rocprim17ROCPRIM_400000_NS6detail17trampoline_kernelINS0_14default_configENS1_38merge_sort_block_merge_config_selectorIllEEZZNS1_27merge_sort_block_merge_implIS3_PlN6thrust23THRUST_200600_302600_NS10device_ptrIlEEjNS1_19radix_merge_compareILb0ELb1ElNS0_19identity_decomposerEEEEE10hipError_tT0_T1_T2_jT3_P12ihipStream_tbPNSt15iterator_traitsISG_E10value_typeEPNSM_ISH_E10value_typeEPSI_NS1_7vsmem_tEENKUlT_SG_SH_SI_E_clIS7_S7_SB_S7_EESF_SV_SG_SH_SI_EUlSV_E_NS1_11comp_targetILNS1_3genE5ELNS1_11target_archE942ELNS1_3gpuE9ELNS1_3repE0EEENS1_48merge_mergepath_partition_config_static_selectorELNS0_4arch9wavefront6targetE1EEEvSH_, .Lfunc_end1092-_ZN7rocprim17ROCPRIM_400000_NS6detail17trampoline_kernelINS0_14default_configENS1_38merge_sort_block_merge_config_selectorIllEEZZNS1_27merge_sort_block_merge_implIS3_PlN6thrust23THRUST_200600_302600_NS10device_ptrIlEEjNS1_19radix_merge_compareILb0ELb1ElNS0_19identity_decomposerEEEEE10hipError_tT0_T1_T2_jT3_P12ihipStream_tbPNSt15iterator_traitsISG_E10value_typeEPNSM_ISH_E10value_typeEPSI_NS1_7vsmem_tEENKUlT_SG_SH_SI_E_clIS7_S7_SB_S7_EESF_SV_SG_SH_SI_EUlSV_E_NS1_11comp_targetILNS1_3genE5ELNS1_11target_archE942ELNS1_3gpuE9ELNS1_3repE0EEENS1_48merge_mergepath_partition_config_static_selectorELNS0_4arch9wavefront6targetE1EEEvSH_
                                        ; -- End function
	.section	.AMDGPU.csdata,"",@progbits
; Kernel info:
; codeLenInByte = 0
; NumSgprs: 4
; NumVgprs: 0
; NumAgprs: 0
; TotalNumVgprs: 0
; ScratchSize: 0
; MemoryBound: 0
; FloatMode: 240
; IeeeMode: 1
; LDSByteSize: 0 bytes/workgroup (compile time only)
; SGPRBlocks: 0
; VGPRBlocks: 0
; NumSGPRsForWavesPerEU: 4
; NumVGPRsForWavesPerEU: 1
; AccumOffset: 4
; Occupancy: 8
; WaveLimiterHint : 0
; COMPUTE_PGM_RSRC2:SCRATCH_EN: 0
; COMPUTE_PGM_RSRC2:USER_SGPR: 6
; COMPUTE_PGM_RSRC2:TRAP_HANDLER: 0
; COMPUTE_PGM_RSRC2:TGID_X_EN: 1
; COMPUTE_PGM_RSRC2:TGID_Y_EN: 0
; COMPUTE_PGM_RSRC2:TGID_Z_EN: 0
; COMPUTE_PGM_RSRC2:TIDIG_COMP_CNT: 0
; COMPUTE_PGM_RSRC3_GFX90A:ACCUM_OFFSET: 0
; COMPUTE_PGM_RSRC3_GFX90A:TG_SPLIT: 0
	.section	.text._ZN7rocprim17ROCPRIM_400000_NS6detail17trampoline_kernelINS0_14default_configENS1_38merge_sort_block_merge_config_selectorIllEEZZNS1_27merge_sort_block_merge_implIS3_PlN6thrust23THRUST_200600_302600_NS10device_ptrIlEEjNS1_19radix_merge_compareILb0ELb1ElNS0_19identity_decomposerEEEEE10hipError_tT0_T1_T2_jT3_P12ihipStream_tbPNSt15iterator_traitsISG_E10value_typeEPNSM_ISH_E10value_typeEPSI_NS1_7vsmem_tEENKUlT_SG_SH_SI_E_clIS7_S7_SB_S7_EESF_SV_SG_SH_SI_EUlSV_E_NS1_11comp_targetILNS1_3genE4ELNS1_11target_archE910ELNS1_3gpuE8ELNS1_3repE0EEENS1_48merge_mergepath_partition_config_static_selectorELNS0_4arch9wavefront6targetE1EEEvSH_,"axG",@progbits,_ZN7rocprim17ROCPRIM_400000_NS6detail17trampoline_kernelINS0_14default_configENS1_38merge_sort_block_merge_config_selectorIllEEZZNS1_27merge_sort_block_merge_implIS3_PlN6thrust23THRUST_200600_302600_NS10device_ptrIlEEjNS1_19radix_merge_compareILb0ELb1ElNS0_19identity_decomposerEEEEE10hipError_tT0_T1_T2_jT3_P12ihipStream_tbPNSt15iterator_traitsISG_E10value_typeEPNSM_ISH_E10value_typeEPSI_NS1_7vsmem_tEENKUlT_SG_SH_SI_E_clIS7_S7_SB_S7_EESF_SV_SG_SH_SI_EUlSV_E_NS1_11comp_targetILNS1_3genE4ELNS1_11target_archE910ELNS1_3gpuE8ELNS1_3repE0EEENS1_48merge_mergepath_partition_config_static_selectorELNS0_4arch9wavefront6targetE1EEEvSH_,comdat
	.protected	_ZN7rocprim17ROCPRIM_400000_NS6detail17trampoline_kernelINS0_14default_configENS1_38merge_sort_block_merge_config_selectorIllEEZZNS1_27merge_sort_block_merge_implIS3_PlN6thrust23THRUST_200600_302600_NS10device_ptrIlEEjNS1_19radix_merge_compareILb0ELb1ElNS0_19identity_decomposerEEEEE10hipError_tT0_T1_T2_jT3_P12ihipStream_tbPNSt15iterator_traitsISG_E10value_typeEPNSM_ISH_E10value_typeEPSI_NS1_7vsmem_tEENKUlT_SG_SH_SI_E_clIS7_S7_SB_S7_EESF_SV_SG_SH_SI_EUlSV_E_NS1_11comp_targetILNS1_3genE4ELNS1_11target_archE910ELNS1_3gpuE8ELNS1_3repE0EEENS1_48merge_mergepath_partition_config_static_selectorELNS0_4arch9wavefront6targetE1EEEvSH_ ; -- Begin function _ZN7rocprim17ROCPRIM_400000_NS6detail17trampoline_kernelINS0_14default_configENS1_38merge_sort_block_merge_config_selectorIllEEZZNS1_27merge_sort_block_merge_implIS3_PlN6thrust23THRUST_200600_302600_NS10device_ptrIlEEjNS1_19radix_merge_compareILb0ELb1ElNS0_19identity_decomposerEEEEE10hipError_tT0_T1_T2_jT3_P12ihipStream_tbPNSt15iterator_traitsISG_E10value_typeEPNSM_ISH_E10value_typeEPSI_NS1_7vsmem_tEENKUlT_SG_SH_SI_E_clIS7_S7_SB_S7_EESF_SV_SG_SH_SI_EUlSV_E_NS1_11comp_targetILNS1_3genE4ELNS1_11target_archE910ELNS1_3gpuE8ELNS1_3repE0EEENS1_48merge_mergepath_partition_config_static_selectorELNS0_4arch9wavefront6targetE1EEEvSH_
	.globl	_ZN7rocprim17ROCPRIM_400000_NS6detail17trampoline_kernelINS0_14default_configENS1_38merge_sort_block_merge_config_selectorIllEEZZNS1_27merge_sort_block_merge_implIS3_PlN6thrust23THRUST_200600_302600_NS10device_ptrIlEEjNS1_19radix_merge_compareILb0ELb1ElNS0_19identity_decomposerEEEEE10hipError_tT0_T1_T2_jT3_P12ihipStream_tbPNSt15iterator_traitsISG_E10value_typeEPNSM_ISH_E10value_typeEPSI_NS1_7vsmem_tEENKUlT_SG_SH_SI_E_clIS7_S7_SB_S7_EESF_SV_SG_SH_SI_EUlSV_E_NS1_11comp_targetILNS1_3genE4ELNS1_11target_archE910ELNS1_3gpuE8ELNS1_3repE0EEENS1_48merge_mergepath_partition_config_static_selectorELNS0_4arch9wavefront6targetE1EEEvSH_
	.p2align	8
	.type	_ZN7rocprim17ROCPRIM_400000_NS6detail17trampoline_kernelINS0_14default_configENS1_38merge_sort_block_merge_config_selectorIllEEZZNS1_27merge_sort_block_merge_implIS3_PlN6thrust23THRUST_200600_302600_NS10device_ptrIlEEjNS1_19radix_merge_compareILb0ELb1ElNS0_19identity_decomposerEEEEE10hipError_tT0_T1_T2_jT3_P12ihipStream_tbPNSt15iterator_traitsISG_E10value_typeEPNSM_ISH_E10value_typeEPSI_NS1_7vsmem_tEENKUlT_SG_SH_SI_E_clIS7_S7_SB_S7_EESF_SV_SG_SH_SI_EUlSV_E_NS1_11comp_targetILNS1_3genE4ELNS1_11target_archE910ELNS1_3gpuE8ELNS1_3repE0EEENS1_48merge_mergepath_partition_config_static_selectorELNS0_4arch9wavefront6targetE1EEEvSH_,@function
_ZN7rocprim17ROCPRIM_400000_NS6detail17trampoline_kernelINS0_14default_configENS1_38merge_sort_block_merge_config_selectorIllEEZZNS1_27merge_sort_block_merge_implIS3_PlN6thrust23THRUST_200600_302600_NS10device_ptrIlEEjNS1_19radix_merge_compareILb0ELb1ElNS0_19identity_decomposerEEEEE10hipError_tT0_T1_T2_jT3_P12ihipStream_tbPNSt15iterator_traitsISG_E10value_typeEPNSM_ISH_E10value_typeEPSI_NS1_7vsmem_tEENKUlT_SG_SH_SI_E_clIS7_S7_SB_S7_EESF_SV_SG_SH_SI_EUlSV_E_NS1_11comp_targetILNS1_3genE4ELNS1_11target_archE910ELNS1_3gpuE8ELNS1_3repE0EEENS1_48merge_mergepath_partition_config_static_selectorELNS0_4arch9wavefront6targetE1EEEvSH_: ; @_ZN7rocprim17ROCPRIM_400000_NS6detail17trampoline_kernelINS0_14default_configENS1_38merge_sort_block_merge_config_selectorIllEEZZNS1_27merge_sort_block_merge_implIS3_PlN6thrust23THRUST_200600_302600_NS10device_ptrIlEEjNS1_19radix_merge_compareILb0ELb1ElNS0_19identity_decomposerEEEEE10hipError_tT0_T1_T2_jT3_P12ihipStream_tbPNSt15iterator_traitsISG_E10value_typeEPNSM_ISH_E10value_typeEPSI_NS1_7vsmem_tEENKUlT_SG_SH_SI_E_clIS7_S7_SB_S7_EESF_SV_SG_SH_SI_EUlSV_E_NS1_11comp_targetILNS1_3genE4ELNS1_11target_archE910ELNS1_3gpuE8ELNS1_3repE0EEENS1_48merge_mergepath_partition_config_static_selectorELNS0_4arch9wavefront6targetE1EEEvSH_
; %bb.0:
	s_load_dword s0, s[4:5], 0x0
	v_lshl_or_b32 v0, s6, 7, v0
	s_waitcnt lgkmcnt(0)
	v_cmp_gt_u32_e32 vcc, s0, v0
	s_and_saveexec_b64 s[0:1], vcc
	s_cbranch_execz .LBB1093_6
; %bb.1:
	s_load_dwordx2 s[6:7], s[4:5], 0x4
	s_load_dwordx4 s[0:3], s[4:5], 0x18
	s_waitcnt lgkmcnt(0)
	s_lshr_b32 s8, s6, 9
	s_and_b32 s8, s8, 0x7ffffe
	s_add_i32 s9, s8, -1
	s_sub_i32 s8, 0, s8
	v_and_b32_e32 v1, s8, v0
	v_lshlrev_b32_e32 v1, 10, v1
	v_min_u32_e32 v2, s7, v1
	v_add_u32_e32 v1, s6, v1
	v_min_u32_e32 v4, s7, v1
	v_add_u32_e32 v1, s6, v4
	v_and_b32_e32 v3, s9, v0
	v_min_u32_e32 v1, s7, v1
	v_sub_u32_e32 v5, v1, v2
	v_lshlrev_b32_e32 v3, 10, v3
	v_min_u32_e32 v6, v5, v3
	v_sub_u32_e32 v3, v4, v2
	v_sub_u32_e32 v1, v1, v4
	v_sub_u32_e64 v1, v6, v1 clamp
	v_min_u32_e32 v7, v6, v3
	v_cmp_lt_u32_e32 vcc, v1, v7
	s_and_saveexec_b64 s[6:7], vcc
	s_cbranch_execz .LBB1093_5
; %bb.2:
	s_load_dwordx2 s[4:5], s[4:5], 0x10
	v_mov_b32_e32 v5, 0
	v_mov_b32_e32 v3, v5
	v_lshlrev_b64 v[8:9], 3, v[2:3]
	v_lshlrev_b64 v[10:11], 3, v[4:5]
	s_waitcnt lgkmcnt(0)
	v_mov_b32_e32 v12, s5
	v_add_co_u32_e32 v3, vcc, s4, v8
	v_addc_co_u32_e32 v8, vcc, v12, v9, vcc
	v_add_co_u32_e32 v9, vcc, s4, v10
	v_addc_co_u32_e32 v10, vcc, v12, v11, vcc
	s_mov_b64 s[4:5], 0
.LBB1093_3:                             ; =>This Inner Loop Header: Depth=1
	v_add_u32_e32 v4, v7, v1
	v_lshrrev_b32_e32 v4, 1, v4
	v_lshlrev_b64 v[14:15], 3, v[4:5]
	v_mov_b32_e32 v13, v5
	v_xad_u32 v12, v4, -1, v6
	v_add_co_u32_e32 v14, vcc, v3, v14
	v_addc_co_u32_e32 v15, vcc, v8, v15, vcc
	v_lshlrev_b64 v[12:13], 3, v[12:13]
	v_add_co_u32_e32 v12, vcc, v9, v12
	v_addc_co_u32_e32 v13, vcc, v10, v13, vcc
	global_load_dwordx2 v[14:15], v[14:15], off
	v_add_u32_e32 v11, 1, v4
	global_load_dwordx2 v[12:13], v[12:13], off
	s_waitcnt vmcnt(1)
	v_and_b32_e32 v15, s1, v15
	v_and_b32_e32 v14, s0, v14
	s_waitcnt vmcnt(0)
	v_and_b32_e32 v13, s1, v13
	v_and_b32_e32 v12, s0, v12
	v_cmp_gt_i64_e32 vcc, v[14:15], v[12:13]
	v_cndmask_b32_e32 v7, v7, v4, vcc
	v_cndmask_b32_e32 v1, v11, v1, vcc
	v_cmp_ge_u32_e32 vcc, v1, v7
	s_or_b64 s[4:5], vcc, s[4:5]
	s_andn2_b64 exec, exec, s[4:5]
	s_cbranch_execnz .LBB1093_3
; %bb.4:
	s_or_b64 exec, exec, s[4:5]
.LBB1093_5:
	s_or_b64 exec, exec, s[6:7]
	v_add_u32_e32 v2, v1, v2
	v_mov_b32_e32 v1, 0
	v_lshlrev_b64 v[0:1], 2, v[0:1]
	v_mov_b32_e32 v3, s3
	v_add_co_u32_e32 v0, vcc, s2, v0
	v_addc_co_u32_e32 v1, vcc, v3, v1, vcc
	global_store_dword v[0:1], v2, off
.LBB1093_6:
	s_endpgm
	.section	.rodata,"a",@progbits
	.p2align	6, 0x0
	.amdhsa_kernel _ZN7rocprim17ROCPRIM_400000_NS6detail17trampoline_kernelINS0_14default_configENS1_38merge_sort_block_merge_config_selectorIllEEZZNS1_27merge_sort_block_merge_implIS3_PlN6thrust23THRUST_200600_302600_NS10device_ptrIlEEjNS1_19radix_merge_compareILb0ELb1ElNS0_19identity_decomposerEEEEE10hipError_tT0_T1_T2_jT3_P12ihipStream_tbPNSt15iterator_traitsISG_E10value_typeEPNSM_ISH_E10value_typeEPSI_NS1_7vsmem_tEENKUlT_SG_SH_SI_E_clIS7_S7_SB_S7_EESF_SV_SG_SH_SI_EUlSV_E_NS1_11comp_targetILNS1_3genE4ELNS1_11target_archE910ELNS1_3gpuE8ELNS1_3repE0EEENS1_48merge_mergepath_partition_config_static_selectorELNS0_4arch9wavefront6targetE1EEEvSH_
		.amdhsa_group_segment_fixed_size 0
		.amdhsa_private_segment_fixed_size 0
		.amdhsa_kernarg_size 40
		.amdhsa_user_sgpr_count 6
		.amdhsa_user_sgpr_private_segment_buffer 1
		.amdhsa_user_sgpr_dispatch_ptr 0
		.amdhsa_user_sgpr_queue_ptr 0
		.amdhsa_user_sgpr_kernarg_segment_ptr 1
		.amdhsa_user_sgpr_dispatch_id 0
		.amdhsa_user_sgpr_flat_scratch_init 0
		.amdhsa_user_sgpr_kernarg_preload_length 0
		.amdhsa_user_sgpr_kernarg_preload_offset 0
		.amdhsa_user_sgpr_private_segment_size 0
		.amdhsa_uses_dynamic_stack 0
		.amdhsa_system_sgpr_private_segment_wavefront_offset 0
		.amdhsa_system_sgpr_workgroup_id_x 1
		.amdhsa_system_sgpr_workgroup_id_y 0
		.amdhsa_system_sgpr_workgroup_id_z 0
		.amdhsa_system_sgpr_workgroup_info 0
		.amdhsa_system_vgpr_workitem_id 0
		.amdhsa_next_free_vgpr 16
		.amdhsa_next_free_sgpr 10
		.amdhsa_accum_offset 16
		.amdhsa_reserve_vcc 1
		.amdhsa_reserve_flat_scratch 0
		.amdhsa_float_round_mode_32 0
		.amdhsa_float_round_mode_16_64 0
		.amdhsa_float_denorm_mode_32 3
		.amdhsa_float_denorm_mode_16_64 3
		.amdhsa_dx10_clamp 1
		.amdhsa_ieee_mode 1
		.amdhsa_fp16_overflow 0
		.amdhsa_tg_split 0
		.amdhsa_exception_fp_ieee_invalid_op 0
		.amdhsa_exception_fp_denorm_src 0
		.amdhsa_exception_fp_ieee_div_zero 0
		.amdhsa_exception_fp_ieee_overflow 0
		.amdhsa_exception_fp_ieee_underflow 0
		.amdhsa_exception_fp_ieee_inexact 0
		.amdhsa_exception_int_div_zero 0
	.end_amdhsa_kernel
	.section	.text._ZN7rocprim17ROCPRIM_400000_NS6detail17trampoline_kernelINS0_14default_configENS1_38merge_sort_block_merge_config_selectorIllEEZZNS1_27merge_sort_block_merge_implIS3_PlN6thrust23THRUST_200600_302600_NS10device_ptrIlEEjNS1_19radix_merge_compareILb0ELb1ElNS0_19identity_decomposerEEEEE10hipError_tT0_T1_T2_jT3_P12ihipStream_tbPNSt15iterator_traitsISG_E10value_typeEPNSM_ISH_E10value_typeEPSI_NS1_7vsmem_tEENKUlT_SG_SH_SI_E_clIS7_S7_SB_S7_EESF_SV_SG_SH_SI_EUlSV_E_NS1_11comp_targetILNS1_3genE4ELNS1_11target_archE910ELNS1_3gpuE8ELNS1_3repE0EEENS1_48merge_mergepath_partition_config_static_selectorELNS0_4arch9wavefront6targetE1EEEvSH_,"axG",@progbits,_ZN7rocprim17ROCPRIM_400000_NS6detail17trampoline_kernelINS0_14default_configENS1_38merge_sort_block_merge_config_selectorIllEEZZNS1_27merge_sort_block_merge_implIS3_PlN6thrust23THRUST_200600_302600_NS10device_ptrIlEEjNS1_19radix_merge_compareILb0ELb1ElNS0_19identity_decomposerEEEEE10hipError_tT0_T1_T2_jT3_P12ihipStream_tbPNSt15iterator_traitsISG_E10value_typeEPNSM_ISH_E10value_typeEPSI_NS1_7vsmem_tEENKUlT_SG_SH_SI_E_clIS7_S7_SB_S7_EESF_SV_SG_SH_SI_EUlSV_E_NS1_11comp_targetILNS1_3genE4ELNS1_11target_archE910ELNS1_3gpuE8ELNS1_3repE0EEENS1_48merge_mergepath_partition_config_static_selectorELNS0_4arch9wavefront6targetE1EEEvSH_,comdat
.Lfunc_end1093:
	.size	_ZN7rocprim17ROCPRIM_400000_NS6detail17trampoline_kernelINS0_14default_configENS1_38merge_sort_block_merge_config_selectorIllEEZZNS1_27merge_sort_block_merge_implIS3_PlN6thrust23THRUST_200600_302600_NS10device_ptrIlEEjNS1_19radix_merge_compareILb0ELb1ElNS0_19identity_decomposerEEEEE10hipError_tT0_T1_T2_jT3_P12ihipStream_tbPNSt15iterator_traitsISG_E10value_typeEPNSM_ISH_E10value_typeEPSI_NS1_7vsmem_tEENKUlT_SG_SH_SI_E_clIS7_S7_SB_S7_EESF_SV_SG_SH_SI_EUlSV_E_NS1_11comp_targetILNS1_3genE4ELNS1_11target_archE910ELNS1_3gpuE8ELNS1_3repE0EEENS1_48merge_mergepath_partition_config_static_selectorELNS0_4arch9wavefront6targetE1EEEvSH_, .Lfunc_end1093-_ZN7rocprim17ROCPRIM_400000_NS6detail17trampoline_kernelINS0_14default_configENS1_38merge_sort_block_merge_config_selectorIllEEZZNS1_27merge_sort_block_merge_implIS3_PlN6thrust23THRUST_200600_302600_NS10device_ptrIlEEjNS1_19radix_merge_compareILb0ELb1ElNS0_19identity_decomposerEEEEE10hipError_tT0_T1_T2_jT3_P12ihipStream_tbPNSt15iterator_traitsISG_E10value_typeEPNSM_ISH_E10value_typeEPSI_NS1_7vsmem_tEENKUlT_SG_SH_SI_E_clIS7_S7_SB_S7_EESF_SV_SG_SH_SI_EUlSV_E_NS1_11comp_targetILNS1_3genE4ELNS1_11target_archE910ELNS1_3gpuE8ELNS1_3repE0EEENS1_48merge_mergepath_partition_config_static_selectorELNS0_4arch9wavefront6targetE1EEEvSH_
                                        ; -- End function
	.section	.AMDGPU.csdata,"",@progbits
; Kernel info:
; codeLenInByte = 380
; NumSgprs: 14
; NumVgprs: 16
; NumAgprs: 0
; TotalNumVgprs: 16
; ScratchSize: 0
; MemoryBound: 0
; FloatMode: 240
; IeeeMode: 1
; LDSByteSize: 0 bytes/workgroup (compile time only)
; SGPRBlocks: 1
; VGPRBlocks: 1
; NumSGPRsForWavesPerEU: 14
; NumVGPRsForWavesPerEU: 16
; AccumOffset: 16
; Occupancy: 8
; WaveLimiterHint : 0
; COMPUTE_PGM_RSRC2:SCRATCH_EN: 0
; COMPUTE_PGM_RSRC2:USER_SGPR: 6
; COMPUTE_PGM_RSRC2:TRAP_HANDLER: 0
; COMPUTE_PGM_RSRC2:TGID_X_EN: 1
; COMPUTE_PGM_RSRC2:TGID_Y_EN: 0
; COMPUTE_PGM_RSRC2:TGID_Z_EN: 0
; COMPUTE_PGM_RSRC2:TIDIG_COMP_CNT: 0
; COMPUTE_PGM_RSRC3_GFX90A:ACCUM_OFFSET: 3
; COMPUTE_PGM_RSRC3_GFX90A:TG_SPLIT: 0
	.section	.text._ZN7rocprim17ROCPRIM_400000_NS6detail17trampoline_kernelINS0_14default_configENS1_38merge_sort_block_merge_config_selectorIllEEZZNS1_27merge_sort_block_merge_implIS3_PlN6thrust23THRUST_200600_302600_NS10device_ptrIlEEjNS1_19radix_merge_compareILb0ELb1ElNS0_19identity_decomposerEEEEE10hipError_tT0_T1_T2_jT3_P12ihipStream_tbPNSt15iterator_traitsISG_E10value_typeEPNSM_ISH_E10value_typeEPSI_NS1_7vsmem_tEENKUlT_SG_SH_SI_E_clIS7_S7_SB_S7_EESF_SV_SG_SH_SI_EUlSV_E_NS1_11comp_targetILNS1_3genE3ELNS1_11target_archE908ELNS1_3gpuE7ELNS1_3repE0EEENS1_48merge_mergepath_partition_config_static_selectorELNS0_4arch9wavefront6targetE1EEEvSH_,"axG",@progbits,_ZN7rocprim17ROCPRIM_400000_NS6detail17trampoline_kernelINS0_14default_configENS1_38merge_sort_block_merge_config_selectorIllEEZZNS1_27merge_sort_block_merge_implIS3_PlN6thrust23THRUST_200600_302600_NS10device_ptrIlEEjNS1_19radix_merge_compareILb0ELb1ElNS0_19identity_decomposerEEEEE10hipError_tT0_T1_T2_jT3_P12ihipStream_tbPNSt15iterator_traitsISG_E10value_typeEPNSM_ISH_E10value_typeEPSI_NS1_7vsmem_tEENKUlT_SG_SH_SI_E_clIS7_S7_SB_S7_EESF_SV_SG_SH_SI_EUlSV_E_NS1_11comp_targetILNS1_3genE3ELNS1_11target_archE908ELNS1_3gpuE7ELNS1_3repE0EEENS1_48merge_mergepath_partition_config_static_selectorELNS0_4arch9wavefront6targetE1EEEvSH_,comdat
	.protected	_ZN7rocprim17ROCPRIM_400000_NS6detail17trampoline_kernelINS0_14default_configENS1_38merge_sort_block_merge_config_selectorIllEEZZNS1_27merge_sort_block_merge_implIS3_PlN6thrust23THRUST_200600_302600_NS10device_ptrIlEEjNS1_19radix_merge_compareILb0ELb1ElNS0_19identity_decomposerEEEEE10hipError_tT0_T1_T2_jT3_P12ihipStream_tbPNSt15iterator_traitsISG_E10value_typeEPNSM_ISH_E10value_typeEPSI_NS1_7vsmem_tEENKUlT_SG_SH_SI_E_clIS7_S7_SB_S7_EESF_SV_SG_SH_SI_EUlSV_E_NS1_11comp_targetILNS1_3genE3ELNS1_11target_archE908ELNS1_3gpuE7ELNS1_3repE0EEENS1_48merge_mergepath_partition_config_static_selectorELNS0_4arch9wavefront6targetE1EEEvSH_ ; -- Begin function _ZN7rocprim17ROCPRIM_400000_NS6detail17trampoline_kernelINS0_14default_configENS1_38merge_sort_block_merge_config_selectorIllEEZZNS1_27merge_sort_block_merge_implIS3_PlN6thrust23THRUST_200600_302600_NS10device_ptrIlEEjNS1_19radix_merge_compareILb0ELb1ElNS0_19identity_decomposerEEEEE10hipError_tT0_T1_T2_jT3_P12ihipStream_tbPNSt15iterator_traitsISG_E10value_typeEPNSM_ISH_E10value_typeEPSI_NS1_7vsmem_tEENKUlT_SG_SH_SI_E_clIS7_S7_SB_S7_EESF_SV_SG_SH_SI_EUlSV_E_NS1_11comp_targetILNS1_3genE3ELNS1_11target_archE908ELNS1_3gpuE7ELNS1_3repE0EEENS1_48merge_mergepath_partition_config_static_selectorELNS0_4arch9wavefront6targetE1EEEvSH_
	.globl	_ZN7rocprim17ROCPRIM_400000_NS6detail17trampoline_kernelINS0_14default_configENS1_38merge_sort_block_merge_config_selectorIllEEZZNS1_27merge_sort_block_merge_implIS3_PlN6thrust23THRUST_200600_302600_NS10device_ptrIlEEjNS1_19radix_merge_compareILb0ELb1ElNS0_19identity_decomposerEEEEE10hipError_tT0_T1_T2_jT3_P12ihipStream_tbPNSt15iterator_traitsISG_E10value_typeEPNSM_ISH_E10value_typeEPSI_NS1_7vsmem_tEENKUlT_SG_SH_SI_E_clIS7_S7_SB_S7_EESF_SV_SG_SH_SI_EUlSV_E_NS1_11comp_targetILNS1_3genE3ELNS1_11target_archE908ELNS1_3gpuE7ELNS1_3repE0EEENS1_48merge_mergepath_partition_config_static_selectorELNS0_4arch9wavefront6targetE1EEEvSH_
	.p2align	8
	.type	_ZN7rocprim17ROCPRIM_400000_NS6detail17trampoline_kernelINS0_14default_configENS1_38merge_sort_block_merge_config_selectorIllEEZZNS1_27merge_sort_block_merge_implIS3_PlN6thrust23THRUST_200600_302600_NS10device_ptrIlEEjNS1_19radix_merge_compareILb0ELb1ElNS0_19identity_decomposerEEEEE10hipError_tT0_T1_T2_jT3_P12ihipStream_tbPNSt15iterator_traitsISG_E10value_typeEPNSM_ISH_E10value_typeEPSI_NS1_7vsmem_tEENKUlT_SG_SH_SI_E_clIS7_S7_SB_S7_EESF_SV_SG_SH_SI_EUlSV_E_NS1_11comp_targetILNS1_3genE3ELNS1_11target_archE908ELNS1_3gpuE7ELNS1_3repE0EEENS1_48merge_mergepath_partition_config_static_selectorELNS0_4arch9wavefront6targetE1EEEvSH_,@function
_ZN7rocprim17ROCPRIM_400000_NS6detail17trampoline_kernelINS0_14default_configENS1_38merge_sort_block_merge_config_selectorIllEEZZNS1_27merge_sort_block_merge_implIS3_PlN6thrust23THRUST_200600_302600_NS10device_ptrIlEEjNS1_19radix_merge_compareILb0ELb1ElNS0_19identity_decomposerEEEEE10hipError_tT0_T1_T2_jT3_P12ihipStream_tbPNSt15iterator_traitsISG_E10value_typeEPNSM_ISH_E10value_typeEPSI_NS1_7vsmem_tEENKUlT_SG_SH_SI_E_clIS7_S7_SB_S7_EESF_SV_SG_SH_SI_EUlSV_E_NS1_11comp_targetILNS1_3genE3ELNS1_11target_archE908ELNS1_3gpuE7ELNS1_3repE0EEENS1_48merge_mergepath_partition_config_static_selectorELNS0_4arch9wavefront6targetE1EEEvSH_: ; @_ZN7rocprim17ROCPRIM_400000_NS6detail17trampoline_kernelINS0_14default_configENS1_38merge_sort_block_merge_config_selectorIllEEZZNS1_27merge_sort_block_merge_implIS3_PlN6thrust23THRUST_200600_302600_NS10device_ptrIlEEjNS1_19radix_merge_compareILb0ELb1ElNS0_19identity_decomposerEEEEE10hipError_tT0_T1_T2_jT3_P12ihipStream_tbPNSt15iterator_traitsISG_E10value_typeEPNSM_ISH_E10value_typeEPSI_NS1_7vsmem_tEENKUlT_SG_SH_SI_E_clIS7_S7_SB_S7_EESF_SV_SG_SH_SI_EUlSV_E_NS1_11comp_targetILNS1_3genE3ELNS1_11target_archE908ELNS1_3gpuE7ELNS1_3repE0EEENS1_48merge_mergepath_partition_config_static_selectorELNS0_4arch9wavefront6targetE1EEEvSH_
; %bb.0:
	.section	.rodata,"a",@progbits
	.p2align	6, 0x0
	.amdhsa_kernel _ZN7rocprim17ROCPRIM_400000_NS6detail17trampoline_kernelINS0_14default_configENS1_38merge_sort_block_merge_config_selectorIllEEZZNS1_27merge_sort_block_merge_implIS3_PlN6thrust23THRUST_200600_302600_NS10device_ptrIlEEjNS1_19radix_merge_compareILb0ELb1ElNS0_19identity_decomposerEEEEE10hipError_tT0_T1_T2_jT3_P12ihipStream_tbPNSt15iterator_traitsISG_E10value_typeEPNSM_ISH_E10value_typeEPSI_NS1_7vsmem_tEENKUlT_SG_SH_SI_E_clIS7_S7_SB_S7_EESF_SV_SG_SH_SI_EUlSV_E_NS1_11comp_targetILNS1_3genE3ELNS1_11target_archE908ELNS1_3gpuE7ELNS1_3repE0EEENS1_48merge_mergepath_partition_config_static_selectorELNS0_4arch9wavefront6targetE1EEEvSH_
		.amdhsa_group_segment_fixed_size 0
		.amdhsa_private_segment_fixed_size 0
		.amdhsa_kernarg_size 40
		.amdhsa_user_sgpr_count 6
		.amdhsa_user_sgpr_private_segment_buffer 1
		.amdhsa_user_sgpr_dispatch_ptr 0
		.amdhsa_user_sgpr_queue_ptr 0
		.amdhsa_user_sgpr_kernarg_segment_ptr 1
		.amdhsa_user_sgpr_dispatch_id 0
		.amdhsa_user_sgpr_flat_scratch_init 0
		.amdhsa_user_sgpr_kernarg_preload_length 0
		.amdhsa_user_sgpr_kernarg_preload_offset 0
		.amdhsa_user_sgpr_private_segment_size 0
		.amdhsa_uses_dynamic_stack 0
		.amdhsa_system_sgpr_private_segment_wavefront_offset 0
		.amdhsa_system_sgpr_workgroup_id_x 1
		.amdhsa_system_sgpr_workgroup_id_y 0
		.amdhsa_system_sgpr_workgroup_id_z 0
		.amdhsa_system_sgpr_workgroup_info 0
		.amdhsa_system_vgpr_workitem_id 0
		.amdhsa_next_free_vgpr 1
		.amdhsa_next_free_sgpr 0
		.amdhsa_accum_offset 4
		.amdhsa_reserve_vcc 0
		.amdhsa_reserve_flat_scratch 0
		.amdhsa_float_round_mode_32 0
		.amdhsa_float_round_mode_16_64 0
		.amdhsa_float_denorm_mode_32 3
		.amdhsa_float_denorm_mode_16_64 3
		.amdhsa_dx10_clamp 1
		.amdhsa_ieee_mode 1
		.amdhsa_fp16_overflow 0
		.amdhsa_tg_split 0
		.amdhsa_exception_fp_ieee_invalid_op 0
		.amdhsa_exception_fp_denorm_src 0
		.amdhsa_exception_fp_ieee_div_zero 0
		.amdhsa_exception_fp_ieee_overflow 0
		.amdhsa_exception_fp_ieee_underflow 0
		.amdhsa_exception_fp_ieee_inexact 0
		.amdhsa_exception_int_div_zero 0
	.end_amdhsa_kernel
	.section	.text._ZN7rocprim17ROCPRIM_400000_NS6detail17trampoline_kernelINS0_14default_configENS1_38merge_sort_block_merge_config_selectorIllEEZZNS1_27merge_sort_block_merge_implIS3_PlN6thrust23THRUST_200600_302600_NS10device_ptrIlEEjNS1_19radix_merge_compareILb0ELb1ElNS0_19identity_decomposerEEEEE10hipError_tT0_T1_T2_jT3_P12ihipStream_tbPNSt15iterator_traitsISG_E10value_typeEPNSM_ISH_E10value_typeEPSI_NS1_7vsmem_tEENKUlT_SG_SH_SI_E_clIS7_S7_SB_S7_EESF_SV_SG_SH_SI_EUlSV_E_NS1_11comp_targetILNS1_3genE3ELNS1_11target_archE908ELNS1_3gpuE7ELNS1_3repE0EEENS1_48merge_mergepath_partition_config_static_selectorELNS0_4arch9wavefront6targetE1EEEvSH_,"axG",@progbits,_ZN7rocprim17ROCPRIM_400000_NS6detail17trampoline_kernelINS0_14default_configENS1_38merge_sort_block_merge_config_selectorIllEEZZNS1_27merge_sort_block_merge_implIS3_PlN6thrust23THRUST_200600_302600_NS10device_ptrIlEEjNS1_19radix_merge_compareILb0ELb1ElNS0_19identity_decomposerEEEEE10hipError_tT0_T1_T2_jT3_P12ihipStream_tbPNSt15iterator_traitsISG_E10value_typeEPNSM_ISH_E10value_typeEPSI_NS1_7vsmem_tEENKUlT_SG_SH_SI_E_clIS7_S7_SB_S7_EESF_SV_SG_SH_SI_EUlSV_E_NS1_11comp_targetILNS1_3genE3ELNS1_11target_archE908ELNS1_3gpuE7ELNS1_3repE0EEENS1_48merge_mergepath_partition_config_static_selectorELNS0_4arch9wavefront6targetE1EEEvSH_,comdat
.Lfunc_end1094:
	.size	_ZN7rocprim17ROCPRIM_400000_NS6detail17trampoline_kernelINS0_14default_configENS1_38merge_sort_block_merge_config_selectorIllEEZZNS1_27merge_sort_block_merge_implIS3_PlN6thrust23THRUST_200600_302600_NS10device_ptrIlEEjNS1_19radix_merge_compareILb0ELb1ElNS0_19identity_decomposerEEEEE10hipError_tT0_T1_T2_jT3_P12ihipStream_tbPNSt15iterator_traitsISG_E10value_typeEPNSM_ISH_E10value_typeEPSI_NS1_7vsmem_tEENKUlT_SG_SH_SI_E_clIS7_S7_SB_S7_EESF_SV_SG_SH_SI_EUlSV_E_NS1_11comp_targetILNS1_3genE3ELNS1_11target_archE908ELNS1_3gpuE7ELNS1_3repE0EEENS1_48merge_mergepath_partition_config_static_selectorELNS0_4arch9wavefront6targetE1EEEvSH_, .Lfunc_end1094-_ZN7rocprim17ROCPRIM_400000_NS6detail17trampoline_kernelINS0_14default_configENS1_38merge_sort_block_merge_config_selectorIllEEZZNS1_27merge_sort_block_merge_implIS3_PlN6thrust23THRUST_200600_302600_NS10device_ptrIlEEjNS1_19radix_merge_compareILb0ELb1ElNS0_19identity_decomposerEEEEE10hipError_tT0_T1_T2_jT3_P12ihipStream_tbPNSt15iterator_traitsISG_E10value_typeEPNSM_ISH_E10value_typeEPSI_NS1_7vsmem_tEENKUlT_SG_SH_SI_E_clIS7_S7_SB_S7_EESF_SV_SG_SH_SI_EUlSV_E_NS1_11comp_targetILNS1_3genE3ELNS1_11target_archE908ELNS1_3gpuE7ELNS1_3repE0EEENS1_48merge_mergepath_partition_config_static_selectorELNS0_4arch9wavefront6targetE1EEEvSH_
                                        ; -- End function
	.section	.AMDGPU.csdata,"",@progbits
; Kernel info:
; codeLenInByte = 0
; NumSgprs: 4
; NumVgprs: 0
; NumAgprs: 0
; TotalNumVgprs: 0
; ScratchSize: 0
; MemoryBound: 0
; FloatMode: 240
; IeeeMode: 1
; LDSByteSize: 0 bytes/workgroup (compile time only)
; SGPRBlocks: 0
; VGPRBlocks: 0
; NumSGPRsForWavesPerEU: 4
; NumVGPRsForWavesPerEU: 1
; AccumOffset: 4
; Occupancy: 8
; WaveLimiterHint : 0
; COMPUTE_PGM_RSRC2:SCRATCH_EN: 0
; COMPUTE_PGM_RSRC2:USER_SGPR: 6
; COMPUTE_PGM_RSRC2:TRAP_HANDLER: 0
; COMPUTE_PGM_RSRC2:TGID_X_EN: 1
; COMPUTE_PGM_RSRC2:TGID_Y_EN: 0
; COMPUTE_PGM_RSRC2:TGID_Z_EN: 0
; COMPUTE_PGM_RSRC2:TIDIG_COMP_CNT: 0
; COMPUTE_PGM_RSRC3_GFX90A:ACCUM_OFFSET: 0
; COMPUTE_PGM_RSRC3_GFX90A:TG_SPLIT: 0
	.section	.text._ZN7rocprim17ROCPRIM_400000_NS6detail17trampoline_kernelINS0_14default_configENS1_38merge_sort_block_merge_config_selectorIllEEZZNS1_27merge_sort_block_merge_implIS3_PlN6thrust23THRUST_200600_302600_NS10device_ptrIlEEjNS1_19radix_merge_compareILb0ELb1ElNS0_19identity_decomposerEEEEE10hipError_tT0_T1_T2_jT3_P12ihipStream_tbPNSt15iterator_traitsISG_E10value_typeEPNSM_ISH_E10value_typeEPSI_NS1_7vsmem_tEENKUlT_SG_SH_SI_E_clIS7_S7_SB_S7_EESF_SV_SG_SH_SI_EUlSV_E_NS1_11comp_targetILNS1_3genE2ELNS1_11target_archE906ELNS1_3gpuE6ELNS1_3repE0EEENS1_48merge_mergepath_partition_config_static_selectorELNS0_4arch9wavefront6targetE1EEEvSH_,"axG",@progbits,_ZN7rocprim17ROCPRIM_400000_NS6detail17trampoline_kernelINS0_14default_configENS1_38merge_sort_block_merge_config_selectorIllEEZZNS1_27merge_sort_block_merge_implIS3_PlN6thrust23THRUST_200600_302600_NS10device_ptrIlEEjNS1_19radix_merge_compareILb0ELb1ElNS0_19identity_decomposerEEEEE10hipError_tT0_T1_T2_jT3_P12ihipStream_tbPNSt15iterator_traitsISG_E10value_typeEPNSM_ISH_E10value_typeEPSI_NS1_7vsmem_tEENKUlT_SG_SH_SI_E_clIS7_S7_SB_S7_EESF_SV_SG_SH_SI_EUlSV_E_NS1_11comp_targetILNS1_3genE2ELNS1_11target_archE906ELNS1_3gpuE6ELNS1_3repE0EEENS1_48merge_mergepath_partition_config_static_selectorELNS0_4arch9wavefront6targetE1EEEvSH_,comdat
	.protected	_ZN7rocprim17ROCPRIM_400000_NS6detail17trampoline_kernelINS0_14default_configENS1_38merge_sort_block_merge_config_selectorIllEEZZNS1_27merge_sort_block_merge_implIS3_PlN6thrust23THRUST_200600_302600_NS10device_ptrIlEEjNS1_19radix_merge_compareILb0ELb1ElNS0_19identity_decomposerEEEEE10hipError_tT0_T1_T2_jT3_P12ihipStream_tbPNSt15iterator_traitsISG_E10value_typeEPNSM_ISH_E10value_typeEPSI_NS1_7vsmem_tEENKUlT_SG_SH_SI_E_clIS7_S7_SB_S7_EESF_SV_SG_SH_SI_EUlSV_E_NS1_11comp_targetILNS1_3genE2ELNS1_11target_archE906ELNS1_3gpuE6ELNS1_3repE0EEENS1_48merge_mergepath_partition_config_static_selectorELNS0_4arch9wavefront6targetE1EEEvSH_ ; -- Begin function _ZN7rocprim17ROCPRIM_400000_NS6detail17trampoline_kernelINS0_14default_configENS1_38merge_sort_block_merge_config_selectorIllEEZZNS1_27merge_sort_block_merge_implIS3_PlN6thrust23THRUST_200600_302600_NS10device_ptrIlEEjNS1_19radix_merge_compareILb0ELb1ElNS0_19identity_decomposerEEEEE10hipError_tT0_T1_T2_jT3_P12ihipStream_tbPNSt15iterator_traitsISG_E10value_typeEPNSM_ISH_E10value_typeEPSI_NS1_7vsmem_tEENKUlT_SG_SH_SI_E_clIS7_S7_SB_S7_EESF_SV_SG_SH_SI_EUlSV_E_NS1_11comp_targetILNS1_3genE2ELNS1_11target_archE906ELNS1_3gpuE6ELNS1_3repE0EEENS1_48merge_mergepath_partition_config_static_selectorELNS0_4arch9wavefront6targetE1EEEvSH_
	.globl	_ZN7rocprim17ROCPRIM_400000_NS6detail17trampoline_kernelINS0_14default_configENS1_38merge_sort_block_merge_config_selectorIllEEZZNS1_27merge_sort_block_merge_implIS3_PlN6thrust23THRUST_200600_302600_NS10device_ptrIlEEjNS1_19radix_merge_compareILb0ELb1ElNS0_19identity_decomposerEEEEE10hipError_tT0_T1_T2_jT3_P12ihipStream_tbPNSt15iterator_traitsISG_E10value_typeEPNSM_ISH_E10value_typeEPSI_NS1_7vsmem_tEENKUlT_SG_SH_SI_E_clIS7_S7_SB_S7_EESF_SV_SG_SH_SI_EUlSV_E_NS1_11comp_targetILNS1_3genE2ELNS1_11target_archE906ELNS1_3gpuE6ELNS1_3repE0EEENS1_48merge_mergepath_partition_config_static_selectorELNS0_4arch9wavefront6targetE1EEEvSH_
	.p2align	8
	.type	_ZN7rocprim17ROCPRIM_400000_NS6detail17trampoline_kernelINS0_14default_configENS1_38merge_sort_block_merge_config_selectorIllEEZZNS1_27merge_sort_block_merge_implIS3_PlN6thrust23THRUST_200600_302600_NS10device_ptrIlEEjNS1_19radix_merge_compareILb0ELb1ElNS0_19identity_decomposerEEEEE10hipError_tT0_T1_T2_jT3_P12ihipStream_tbPNSt15iterator_traitsISG_E10value_typeEPNSM_ISH_E10value_typeEPSI_NS1_7vsmem_tEENKUlT_SG_SH_SI_E_clIS7_S7_SB_S7_EESF_SV_SG_SH_SI_EUlSV_E_NS1_11comp_targetILNS1_3genE2ELNS1_11target_archE906ELNS1_3gpuE6ELNS1_3repE0EEENS1_48merge_mergepath_partition_config_static_selectorELNS0_4arch9wavefront6targetE1EEEvSH_,@function
_ZN7rocprim17ROCPRIM_400000_NS6detail17trampoline_kernelINS0_14default_configENS1_38merge_sort_block_merge_config_selectorIllEEZZNS1_27merge_sort_block_merge_implIS3_PlN6thrust23THRUST_200600_302600_NS10device_ptrIlEEjNS1_19radix_merge_compareILb0ELb1ElNS0_19identity_decomposerEEEEE10hipError_tT0_T1_T2_jT3_P12ihipStream_tbPNSt15iterator_traitsISG_E10value_typeEPNSM_ISH_E10value_typeEPSI_NS1_7vsmem_tEENKUlT_SG_SH_SI_E_clIS7_S7_SB_S7_EESF_SV_SG_SH_SI_EUlSV_E_NS1_11comp_targetILNS1_3genE2ELNS1_11target_archE906ELNS1_3gpuE6ELNS1_3repE0EEENS1_48merge_mergepath_partition_config_static_selectorELNS0_4arch9wavefront6targetE1EEEvSH_: ; @_ZN7rocprim17ROCPRIM_400000_NS6detail17trampoline_kernelINS0_14default_configENS1_38merge_sort_block_merge_config_selectorIllEEZZNS1_27merge_sort_block_merge_implIS3_PlN6thrust23THRUST_200600_302600_NS10device_ptrIlEEjNS1_19radix_merge_compareILb0ELb1ElNS0_19identity_decomposerEEEEE10hipError_tT0_T1_T2_jT3_P12ihipStream_tbPNSt15iterator_traitsISG_E10value_typeEPNSM_ISH_E10value_typeEPSI_NS1_7vsmem_tEENKUlT_SG_SH_SI_E_clIS7_S7_SB_S7_EESF_SV_SG_SH_SI_EUlSV_E_NS1_11comp_targetILNS1_3genE2ELNS1_11target_archE906ELNS1_3gpuE6ELNS1_3repE0EEENS1_48merge_mergepath_partition_config_static_selectorELNS0_4arch9wavefront6targetE1EEEvSH_
; %bb.0:
	.section	.rodata,"a",@progbits
	.p2align	6, 0x0
	.amdhsa_kernel _ZN7rocprim17ROCPRIM_400000_NS6detail17trampoline_kernelINS0_14default_configENS1_38merge_sort_block_merge_config_selectorIllEEZZNS1_27merge_sort_block_merge_implIS3_PlN6thrust23THRUST_200600_302600_NS10device_ptrIlEEjNS1_19radix_merge_compareILb0ELb1ElNS0_19identity_decomposerEEEEE10hipError_tT0_T1_T2_jT3_P12ihipStream_tbPNSt15iterator_traitsISG_E10value_typeEPNSM_ISH_E10value_typeEPSI_NS1_7vsmem_tEENKUlT_SG_SH_SI_E_clIS7_S7_SB_S7_EESF_SV_SG_SH_SI_EUlSV_E_NS1_11comp_targetILNS1_3genE2ELNS1_11target_archE906ELNS1_3gpuE6ELNS1_3repE0EEENS1_48merge_mergepath_partition_config_static_selectorELNS0_4arch9wavefront6targetE1EEEvSH_
		.amdhsa_group_segment_fixed_size 0
		.amdhsa_private_segment_fixed_size 0
		.amdhsa_kernarg_size 40
		.amdhsa_user_sgpr_count 6
		.amdhsa_user_sgpr_private_segment_buffer 1
		.amdhsa_user_sgpr_dispatch_ptr 0
		.amdhsa_user_sgpr_queue_ptr 0
		.amdhsa_user_sgpr_kernarg_segment_ptr 1
		.amdhsa_user_sgpr_dispatch_id 0
		.amdhsa_user_sgpr_flat_scratch_init 0
		.amdhsa_user_sgpr_kernarg_preload_length 0
		.amdhsa_user_sgpr_kernarg_preload_offset 0
		.amdhsa_user_sgpr_private_segment_size 0
		.amdhsa_uses_dynamic_stack 0
		.amdhsa_system_sgpr_private_segment_wavefront_offset 0
		.amdhsa_system_sgpr_workgroup_id_x 1
		.amdhsa_system_sgpr_workgroup_id_y 0
		.amdhsa_system_sgpr_workgroup_id_z 0
		.amdhsa_system_sgpr_workgroup_info 0
		.amdhsa_system_vgpr_workitem_id 0
		.amdhsa_next_free_vgpr 1
		.amdhsa_next_free_sgpr 0
		.amdhsa_accum_offset 4
		.amdhsa_reserve_vcc 0
		.amdhsa_reserve_flat_scratch 0
		.amdhsa_float_round_mode_32 0
		.amdhsa_float_round_mode_16_64 0
		.amdhsa_float_denorm_mode_32 3
		.amdhsa_float_denorm_mode_16_64 3
		.amdhsa_dx10_clamp 1
		.amdhsa_ieee_mode 1
		.amdhsa_fp16_overflow 0
		.amdhsa_tg_split 0
		.amdhsa_exception_fp_ieee_invalid_op 0
		.amdhsa_exception_fp_denorm_src 0
		.amdhsa_exception_fp_ieee_div_zero 0
		.amdhsa_exception_fp_ieee_overflow 0
		.amdhsa_exception_fp_ieee_underflow 0
		.amdhsa_exception_fp_ieee_inexact 0
		.amdhsa_exception_int_div_zero 0
	.end_amdhsa_kernel
	.section	.text._ZN7rocprim17ROCPRIM_400000_NS6detail17trampoline_kernelINS0_14default_configENS1_38merge_sort_block_merge_config_selectorIllEEZZNS1_27merge_sort_block_merge_implIS3_PlN6thrust23THRUST_200600_302600_NS10device_ptrIlEEjNS1_19radix_merge_compareILb0ELb1ElNS0_19identity_decomposerEEEEE10hipError_tT0_T1_T2_jT3_P12ihipStream_tbPNSt15iterator_traitsISG_E10value_typeEPNSM_ISH_E10value_typeEPSI_NS1_7vsmem_tEENKUlT_SG_SH_SI_E_clIS7_S7_SB_S7_EESF_SV_SG_SH_SI_EUlSV_E_NS1_11comp_targetILNS1_3genE2ELNS1_11target_archE906ELNS1_3gpuE6ELNS1_3repE0EEENS1_48merge_mergepath_partition_config_static_selectorELNS0_4arch9wavefront6targetE1EEEvSH_,"axG",@progbits,_ZN7rocprim17ROCPRIM_400000_NS6detail17trampoline_kernelINS0_14default_configENS1_38merge_sort_block_merge_config_selectorIllEEZZNS1_27merge_sort_block_merge_implIS3_PlN6thrust23THRUST_200600_302600_NS10device_ptrIlEEjNS1_19radix_merge_compareILb0ELb1ElNS0_19identity_decomposerEEEEE10hipError_tT0_T1_T2_jT3_P12ihipStream_tbPNSt15iterator_traitsISG_E10value_typeEPNSM_ISH_E10value_typeEPSI_NS1_7vsmem_tEENKUlT_SG_SH_SI_E_clIS7_S7_SB_S7_EESF_SV_SG_SH_SI_EUlSV_E_NS1_11comp_targetILNS1_3genE2ELNS1_11target_archE906ELNS1_3gpuE6ELNS1_3repE0EEENS1_48merge_mergepath_partition_config_static_selectorELNS0_4arch9wavefront6targetE1EEEvSH_,comdat
.Lfunc_end1095:
	.size	_ZN7rocprim17ROCPRIM_400000_NS6detail17trampoline_kernelINS0_14default_configENS1_38merge_sort_block_merge_config_selectorIllEEZZNS1_27merge_sort_block_merge_implIS3_PlN6thrust23THRUST_200600_302600_NS10device_ptrIlEEjNS1_19radix_merge_compareILb0ELb1ElNS0_19identity_decomposerEEEEE10hipError_tT0_T1_T2_jT3_P12ihipStream_tbPNSt15iterator_traitsISG_E10value_typeEPNSM_ISH_E10value_typeEPSI_NS1_7vsmem_tEENKUlT_SG_SH_SI_E_clIS7_S7_SB_S7_EESF_SV_SG_SH_SI_EUlSV_E_NS1_11comp_targetILNS1_3genE2ELNS1_11target_archE906ELNS1_3gpuE6ELNS1_3repE0EEENS1_48merge_mergepath_partition_config_static_selectorELNS0_4arch9wavefront6targetE1EEEvSH_, .Lfunc_end1095-_ZN7rocprim17ROCPRIM_400000_NS6detail17trampoline_kernelINS0_14default_configENS1_38merge_sort_block_merge_config_selectorIllEEZZNS1_27merge_sort_block_merge_implIS3_PlN6thrust23THRUST_200600_302600_NS10device_ptrIlEEjNS1_19radix_merge_compareILb0ELb1ElNS0_19identity_decomposerEEEEE10hipError_tT0_T1_T2_jT3_P12ihipStream_tbPNSt15iterator_traitsISG_E10value_typeEPNSM_ISH_E10value_typeEPSI_NS1_7vsmem_tEENKUlT_SG_SH_SI_E_clIS7_S7_SB_S7_EESF_SV_SG_SH_SI_EUlSV_E_NS1_11comp_targetILNS1_3genE2ELNS1_11target_archE906ELNS1_3gpuE6ELNS1_3repE0EEENS1_48merge_mergepath_partition_config_static_selectorELNS0_4arch9wavefront6targetE1EEEvSH_
                                        ; -- End function
	.section	.AMDGPU.csdata,"",@progbits
; Kernel info:
; codeLenInByte = 0
; NumSgprs: 4
; NumVgprs: 0
; NumAgprs: 0
; TotalNumVgprs: 0
; ScratchSize: 0
; MemoryBound: 0
; FloatMode: 240
; IeeeMode: 1
; LDSByteSize: 0 bytes/workgroup (compile time only)
; SGPRBlocks: 0
; VGPRBlocks: 0
; NumSGPRsForWavesPerEU: 4
; NumVGPRsForWavesPerEU: 1
; AccumOffset: 4
; Occupancy: 8
; WaveLimiterHint : 0
; COMPUTE_PGM_RSRC2:SCRATCH_EN: 0
; COMPUTE_PGM_RSRC2:USER_SGPR: 6
; COMPUTE_PGM_RSRC2:TRAP_HANDLER: 0
; COMPUTE_PGM_RSRC2:TGID_X_EN: 1
; COMPUTE_PGM_RSRC2:TGID_Y_EN: 0
; COMPUTE_PGM_RSRC2:TGID_Z_EN: 0
; COMPUTE_PGM_RSRC2:TIDIG_COMP_CNT: 0
; COMPUTE_PGM_RSRC3_GFX90A:ACCUM_OFFSET: 0
; COMPUTE_PGM_RSRC3_GFX90A:TG_SPLIT: 0
	.section	.text._ZN7rocprim17ROCPRIM_400000_NS6detail17trampoline_kernelINS0_14default_configENS1_38merge_sort_block_merge_config_selectorIllEEZZNS1_27merge_sort_block_merge_implIS3_PlN6thrust23THRUST_200600_302600_NS10device_ptrIlEEjNS1_19radix_merge_compareILb0ELb1ElNS0_19identity_decomposerEEEEE10hipError_tT0_T1_T2_jT3_P12ihipStream_tbPNSt15iterator_traitsISG_E10value_typeEPNSM_ISH_E10value_typeEPSI_NS1_7vsmem_tEENKUlT_SG_SH_SI_E_clIS7_S7_SB_S7_EESF_SV_SG_SH_SI_EUlSV_E_NS1_11comp_targetILNS1_3genE9ELNS1_11target_archE1100ELNS1_3gpuE3ELNS1_3repE0EEENS1_48merge_mergepath_partition_config_static_selectorELNS0_4arch9wavefront6targetE1EEEvSH_,"axG",@progbits,_ZN7rocprim17ROCPRIM_400000_NS6detail17trampoline_kernelINS0_14default_configENS1_38merge_sort_block_merge_config_selectorIllEEZZNS1_27merge_sort_block_merge_implIS3_PlN6thrust23THRUST_200600_302600_NS10device_ptrIlEEjNS1_19radix_merge_compareILb0ELb1ElNS0_19identity_decomposerEEEEE10hipError_tT0_T1_T2_jT3_P12ihipStream_tbPNSt15iterator_traitsISG_E10value_typeEPNSM_ISH_E10value_typeEPSI_NS1_7vsmem_tEENKUlT_SG_SH_SI_E_clIS7_S7_SB_S7_EESF_SV_SG_SH_SI_EUlSV_E_NS1_11comp_targetILNS1_3genE9ELNS1_11target_archE1100ELNS1_3gpuE3ELNS1_3repE0EEENS1_48merge_mergepath_partition_config_static_selectorELNS0_4arch9wavefront6targetE1EEEvSH_,comdat
	.protected	_ZN7rocprim17ROCPRIM_400000_NS6detail17trampoline_kernelINS0_14default_configENS1_38merge_sort_block_merge_config_selectorIllEEZZNS1_27merge_sort_block_merge_implIS3_PlN6thrust23THRUST_200600_302600_NS10device_ptrIlEEjNS1_19radix_merge_compareILb0ELb1ElNS0_19identity_decomposerEEEEE10hipError_tT0_T1_T2_jT3_P12ihipStream_tbPNSt15iterator_traitsISG_E10value_typeEPNSM_ISH_E10value_typeEPSI_NS1_7vsmem_tEENKUlT_SG_SH_SI_E_clIS7_S7_SB_S7_EESF_SV_SG_SH_SI_EUlSV_E_NS1_11comp_targetILNS1_3genE9ELNS1_11target_archE1100ELNS1_3gpuE3ELNS1_3repE0EEENS1_48merge_mergepath_partition_config_static_selectorELNS0_4arch9wavefront6targetE1EEEvSH_ ; -- Begin function _ZN7rocprim17ROCPRIM_400000_NS6detail17trampoline_kernelINS0_14default_configENS1_38merge_sort_block_merge_config_selectorIllEEZZNS1_27merge_sort_block_merge_implIS3_PlN6thrust23THRUST_200600_302600_NS10device_ptrIlEEjNS1_19radix_merge_compareILb0ELb1ElNS0_19identity_decomposerEEEEE10hipError_tT0_T1_T2_jT3_P12ihipStream_tbPNSt15iterator_traitsISG_E10value_typeEPNSM_ISH_E10value_typeEPSI_NS1_7vsmem_tEENKUlT_SG_SH_SI_E_clIS7_S7_SB_S7_EESF_SV_SG_SH_SI_EUlSV_E_NS1_11comp_targetILNS1_3genE9ELNS1_11target_archE1100ELNS1_3gpuE3ELNS1_3repE0EEENS1_48merge_mergepath_partition_config_static_selectorELNS0_4arch9wavefront6targetE1EEEvSH_
	.globl	_ZN7rocprim17ROCPRIM_400000_NS6detail17trampoline_kernelINS0_14default_configENS1_38merge_sort_block_merge_config_selectorIllEEZZNS1_27merge_sort_block_merge_implIS3_PlN6thrust23THRUST_200600_302600_NS10device_ptrIlEEjNS1_19radix_merge_compareILb0ELb1ElNS0_19identity_decomposerEEEEE10hipError_tT0_T1_T2_jT3_P12ihipStream_tbPNSt15iterator_traitsISG_E10value_typeEPNSM_ISH_E10value_typeEPSI_NS1_7vsmem_tEENKUlT_SG_SH_SI_E_clIS7_S7_SB_S7_EESF_SV_SG_SH_SI_EUlSV_E_NS1_11comp_targetILNS1_3genE9ELNS1_11target_archE1100ELNS1_3gpuE3ELNS1_3repE0EEENS1_48merge_mergepath_partition_config_static_selectorELNS0_4arch9wavefront6targetE1EEEvSH_
	.p2align	8
	.type	_ZN7rocprim17ROCPRIM_400000_NS6detail17trampoline_kernelINS0_14default_configENS1_38merge_sort_block_merge_config_selectorIllEEZZNS1_27merge_sort_block_merge_implIS3_PlN6thrust23THRUST_200600_302600_NS10device_ptrIlEEjNS1_19radix_merge_compareILb0ELb1ElNS0_19identity_decomposerEEEEE10hipError_tT0_T1_T2_jT3_P12ihipStream_tbPNSt15iterator_traitsISG_E10value_typeEPNSM_ISH_E10value_typeEPSI_NS1_7vsmem_tEENKUlT_SG_SH_SI_E_clIS7_S7_SB_S7_EESF_SV_SG_SH_SI_EUlSV_E_NS1_11comp_targetILNS1_3genE9ELNS1_11target_archE1100ELNS1_3gpuE3ELNS1_3repE0EEENS1_48merge_mergepath_partition_config_static_selectorELNS0_4arch9wavefront6targetE1EEEvSH_,@function
_ZN7rocprim17ROCPRIM_400000_NS6detail17trampoline_kernelINS0_14default_configENS1_38merge_sort_block_merge_config_selectorIllEEZZNS1_27merge_sort_block_merge_implIS3_PlN6thrust23THRUST_200600_302600_NS10device_ptrIlEEjNS1_19radix_merge_compareILb0ELb1ElNS0_19identity_decomposerEEEEE10hipError_tT0_T1_T2_jT3_P12ihipStream_tbPNSt15iterator_traitsISG_E10value_typeEPNSM_ISH_E10value_typeEPSI_NS1_7vsmem_tEENKUlT_SG_SH_SI_E_clIS7_S7_SB_S7_EESF_SV_SG_SH_SI_EUlSV_E_NS1_11comp_targetILNS1_3genE9ELNS1_11target_archE1100ELNS1_3gpuE3ELNS1_3repE0EEENS1_48merge_mergepath_partition_config_static_selectorELNS0_4arch9wavefront6targetE1EEEvSH_: ; @_ZN7rocprim17ROCPRIM_400000_NS6detail17trampoline_kernelINS0_14default_configENS1_38merge_sort_block_merge_config_selectorIllEEZZNS1_27merge_sort_block_merge_implIS3_PlN6thrust23THRUST_200600_302600_NS10device_ptrIlEEjNS1_19radix_merge_compareILb0ELb1ElNS0_19identity_decomposerEEEEE10hipError_tT0_T1_T2_jT3_P12ihipStream_tbPNSt15iterator_traitsISG_E10value_typeEPNSM_ISH_E10value_typeEPSI_NS1_7vsmem_tEENKUlT_SG_SH_SI_E_clIS7_S7_SB_S7_EESF_SV_SG_SH_SI_EUlSV_E_NS1_11comp_targetILNS1_3genE9ELNS1_11target_archE1100ELNS1_3gpuE3ELNS1_3repE0EEENS1_48merge_mergepath_partition_config_static_selectorELNS0_4arch9wavefront6targetE1EEEvSH_
; %bb.0:
	.section	.rodata,"a",@progbits
	.p2align	6, 0x0
	.amdhsa_kernel _ZN7rocprim17ROCPRIM_400000_NS6detail17trampoline_kernelINS0_14default_configENS1_38merge_sort_block_merge_config_selectorIllEEZZNS1_27merge_sort_block_merge_implIS3_PlN6thrust23THRUST_200600_302600_NS10device_ptrIlEEjNS1_19radix_merge_compareILb0ELb1ElNS0_19identity_decomposerEEEEE10hipError_tT0_T1_T2_jT3_P12ihipStream_tbPNSt15iterator_traitsISG_E10value_typeEPNSM_ISH_E10value_typeEPSI_NS1_7vsmem_tEENKUlT_SG_SH_SI_E_clIS7_S7_SB_S7_EESF_SV_SG_SH_SI_EUlSV_E_NS1_11comp_targetILNS1_3genE9ELNS1_11target_archE1100ELNS1_3gpuE3ELNS1_3repE0EEENS1_48merge_mergepath_partition_config_static_selectorELNS0_4arch9wavefront6targetE1EEEvSH_
		.amdhsa_group_segment_fixed_size 0
		.amdhsa_private_segment_fixed_size 0
		.amdhsa_kernarg_size 40
		.amdhsa_user_sgpr_count 6
		.amdhsa_user_sgpr_private_segment_buffer 1
		.amdhsa_user_sgpr_dispatch_ptr 0
		.amdhsa_user_sgpr_queue_ptr 0
		.amdhsa_user_sgpr_kernarg_segment_ptr 1
		.amdhsa_user_sgpr_dispatch_id 0
		.amdhsa_user_sgpr_flat_scratch_init 0
		.amdhsa_user_sgpr_kernarg_preload_length 0
		.amdhsa_user_sgpr_kernarg_preload_offset 0
		.amdhsa_user_sgpr_private_segment_size 0
		.amdhsa_uses_dynamic_stack 0
		.amdhsa_system_sgpr_private_segment_wavefront_offset 0
		.amdhsa_system_sgpr_workgroup_id_x 1
		.amdhsa_system_sgpr_workgroup_id_y 0
		.amdhsa_system_sgpr_workgroup_id_z 0
		.amdhsa_system_sgpr_workgroup_info 0
		.amdhsa_system_vgpr_workitem_id 0
		.amdhsa_next_free_vgpr 1
		.amdhsa_next_free_sgpr 0
		.amdhsa_accum_offset 4
		.amdhsa_reserve_vcc 0
		.amdhsa_reserve_flat_scratch 0
		.amdhsa_float_round_mode_32 0
		.amdhsa_float_round_mode_16_64 0
		.amdhsa_float_denorm_mode_32 3
		.amdhsa_float_denorm_mode_16_64 3
		.amdhsa_dx10_clamp 1
		.amdhsa_ieee_mode 1
		.amdhsa_fp16_overflow 0
		.amdhsa_tg_split 0
		.amdhsa_exception_fp_ieee_invalid_op 0
		.amdhsa_exception_fp_denorm_src 0
		.amdhsa_exception_fp_ieee_div_zero 0
		.amdhsa_exception_fp_ieee_overflow 0
		.amdhsa_exception_fp_ieee_underflow 0
		.amdhsa_exception_fp_ieee_inexact 0
		.amdhsa_exception_int_div_zero 0
	.end_amdhsa_kernel
	.section	.text._ZN7rocprim17ROCPRIM_400000_NS6detail17trampoline_kernelINS0_14default_configENS1_38merge_sort_block_merge_config_selectorIllEEZZNS1_27merge_sort_block_merge_implIS3_PlN6thrust23THRUST_200600_302600_NS10device_ptrIlEEjNS1_19radix_merge_compareILb0ELb1ElNS0_19identity_decomposerEEEEE10hipError_tT0_T1_T2_jT3_P12ihipStream_tbPNSt15iterator_traitsISG_E10value_typeEPNSM_ISH_E10value_typeEPSI_NS1_7vsmem_tEENKUlT_SG_SH_SI_E_clIS7_S7_SB_S7_EESF_SV_SG_SH_SI_EUlSV_E_NS1_11comp_targetILNS1_3genE9ELNS1_11target_archE1100ELNS1_3gpuE3ELNS1_3repE0EEENS1_48merge_mergepath_partition_config_static_selectorELNS0_4arch9wavefront6targetE1EEEvSH_,"axG",@progbits,_ZN7rocprim17ROCPRIM_400000_NS6detail17trampoline_kernelINS0_14default_configENS1_38merge_sort_block_merge_config_selectorIllEEZZNS1_27merge_sort_block_merge_implIS3_PlN6thrust23THRUST_200600_302600_NS10device_ptrIlEEjNS1_19radix_merge_compareILb0ELb1ElNS0_19identity_decomposerEEEEE10hipError_tT0_T1_T2_jT3_P12ihipStream_tbPNSt15iterator_traitsISG_E10value_typeEPNSM_ISH_E10value_typeEPSI_NS1_7vsmem_tEENKUlT_SG_SH_SI_E_clIS7_S7_SB_S7_EESF_SV_SG_SH_SI_EUlSV_E_NS1_11comp_targetILNS1_3genE9ELNS1_11target_archE1100ELNS1_3gpuE3ELNS1_3repE0EEENS1_48merge_mergepath_partition_config_static_selectorELNS0_4arch9wavefront6targetE1EEEvSH_,comdat
.Lfunc_end1096:
	.size	_ZN7rocprim17ROCPRIM_400000_NS6detail17trampoline_kernelINS0_14default_configENS1_38merge_sort_block_merge_config_selectorIllEEZZNS1_27merge_sort_block_merge_implIS3_PlN6thrust23THRUST_200600_302600_NS10device_ptrIlEEjNS1_19radix_merge_compareILb0ELb1ElNS0_19identity_decomposerEEEEE10hipError_tT0_T1_T2_jT3_P12ihipStream_tbPNSt15iterator_traitsISG_E10value_typeEPNSM_ISH_E10value_typeEPSI_NS1_7vsmem_tEENKUlT_SG_SH_SI_E_clIS7_S7_SB_S7_EESF_SV_SG_SH_SI_EUlSV_E_NS1_11comp_targetILNS1_3genE9ELNS1_11target_archE1100ELNS1_3gpuE3ELNS1_3repE0EEENS1_48merge_mergepath_partition_config_static_selectorELNS0_4arch9wavefront6targetE1EEEvSH_, .Lfunc_end1096-_ZN7rocprim17ROCPRIM_400000_NS6detail17trampoline_kernelINS0_14default_configENS1_38merge_sort_block_merge_config_selectorIllEEZZNS1_27merge_sort_block_merge_implIS3_PlN6thrust23THRUST_200600_302600_NS10device_ptrIlEEjNS1_19radix_merge_compareILb0ELb1ElNS0_19identity_decomposerEEEEE10hipError_tT0_T1_T2_jT3_P12ihipStream_tbPNSt15iterator_traitsISG_E10value_typeEPNSM_ISH_E10value_typeEPSI_NS1_7vsmem_tEENKUlT_SG_SH_SI_E_clIS7_S7_SB_S7_EESF_SV_SG_SH_SI_EUlSV_E_NS1_11comp_targetILNS1_3genE9ELNS1_11target_archE1100ELNS1_3gpuE3ELNS1_3repE0EEENS1_48merge_mergepath_partition_config_static_selectorELNS0_4arch9wavefront6targetE1EEEvSH_
                                        ; -- End function
	.section	.AMDGPU.csdata,"",@progbits
; Kernel info:
; codeLenInByte = 0
; NumSgprs: 4
; NumVgprs: 0
; NumAgprs: 0
; TotalNumVgprs: 0
; ScratchSize: 0
; MemoryBound: 0
; FloatMode: 240
; IeeeMode: 1
; LDSByteSize: 0 bytes/workgroup (compile time only)
; SGPRBlocks: 0
; VGPRBlocks: 0
; NumSGPRsForWavesPerEU: 4
; NumVGPRsForWavesPerEU: 1
; AccumOffset: 4
; Occupancy: 8
; WaveLimiterHint : 0
; COMPUTE_PGM_RSRC2:SCRATCH_EN: 0
; COMPUTE_PGM_RSRC2:USER_SGPR: 6
; COMPUTE_PGM_RSRC2:TRAP_HANDLER: 0
; COMPUTE_PGM_RSRC2:TGID_X_EN: 1
; COMPUTE_PGM_RSRC2:TGID_Y_EN: 0
; COMPUTE_PGM_RSRC2:TGID_Z_EN: 0
; COMPUTE_PGM_RSRC2:TIDIG_COMP_CNT: 0
; COMPUTE_PGM_RSRC3_GFX90A:ACCUM_OFFSET: 0
; COMPUTE_PGM_RSRC3_GFX90A:TG_SPLIT: 0
	.section	.text._ZN7rocprim17ROCPRIM_400000_NS6detail17trampoline_kernelINS0_14default_configENS1_38merge_sort_block_merge_config_selectorIllEEZZNS1_27merge_sort_block_merge_implIS3_PlN6thrust23THRUST_200600_302600_NS10device_ptrIlEEjNS1_19radix_merge_compareILb0ELb1ElNS0_19identity_decomposerEEEEE10hipError_tT0_T1_T2_jT3_P12ihipStream_tbPNSt15iterator_traitsISG_E10value_typeEPNSM_ISH_E10value_typeEPSI_NS1_7vsmem_tEENKUlT_SG_SH_SI_E_clIS7_S7_SB_S7_EESF_SV_SG_SH_SI_EUlSV_E_NS1_11comp_targetILNS1_3genE8ELNS1_11target_archE1030ELNS1_3gpuE2ELNS1_3repE0EEENS1_48merge_mergepath_partition_config_static_selectorELNS0_4arch9wavefront6targetE1EEEvSH_,"axG",@progbits,_ZN7rocprim17ROCPRIM_400000_NS6detail17trampoline_kernelINS0_14default_configENS1_38merge_sort_block_merge_config_selectorIllEEZZNS1_27merge_sort_block_merge_implIS3_PlN6thrust23THRUST_200600_302600_NS10device_ptrIlEEjNS1_19radix_merge_compareILb0ELb1ElNS0_19identity_decomposerEEEEE10hipError_tT0_T1_T2_jT3_P12ihipStream_tbPNSt15iterator_traitsISG_E10value_typeEPNSM_ISH_E10value_typeEPSI_NS1_7vsmem_tEENKUlT_SG_SH_SI_E_clIS7_S7_SB_S7_EESF_SV_SG_SH_SI_EUlSV_E_NS1_11comp_targetILNS1_3genE8ELNS1_11target_archE1030ELNS1_3gpuE2ELNS1_3repE0EEENS1_48merge_mergepath_partition_config_static_selectorELNS0_4arch9wavefront6targetE1EEEvSH_,comdat
	.protected	_ZN7rocprim17ROCPRIM_400000_NS6detail17trampoline_kernelINS0_14default_configENS1_38merge_sort_block_merge_config_selectorIllEEZZNS1_27merge_sort_block_merge_implIS3_PlN6thrust23THRUST_200600_302600_NS10device_ptrIlEEjNS1_19radix_merge_compareILb0ELb1ElNS0_19identity_decomposerEEEEE10hipError_tT0_T1_T2_jT3_P12ihipStream_tbPNSt15iterator_traitsISG_E10value_typeEPNSM_ISH_E10value_typeEPSI_NS1_7vsmem_tEENKUlT_SG_SH_SI_E_clIS7_S7_SB_S7_EESF_SV_SG_SH_SI_EUlSV_E_NS1_11comp_targetILNS1_3genE8ELNS1_11target_archE1030ELNS1_3gpuE2ELNS1_3repE0EEENS1_48merge_mergepath_partition_config_static_selectorELNS0_4arch9wavefront6targetE1EEEvSH_ ; -- Begin function _ZN7rocprim17ROCPRIM_400000_NS6detail17trampoline_kernelINS0_14default_configENS1_38merge_sort_block_merge_config_selectorIllEEZZNS1_27merge_sort_block_merge_implIS3_PlN6thrust23THRUST_200600_302600_NS10device_ptrIlEEjNS1_19radix_merge_compareILb0ELb1ElNS0_19identity_decomposerEEEEE10hipError_tT0_T1_T2_jT3_P12ihipStream_tbPNSt15iterator_traitsISG_E10value_typeEPNSM_ISH_E10value_typeEPSI_NS1_7vsmem_tEENKUlT_SG_SH_SI_E_clIS7_S7_SB_S7_EESF_SV_SG_SH_SI_EUlSV_E_NS1_11comp_targetILNS1_3genE8ELNS1_11target_archE1030ELNS1_3gpuE2ELNS1_3repE0EEENS1_48merge_mergepath_partition_config_static_selectorELNS0_4arch9wavefront6targetE1EEEvSH_
	.globl	_ZN7rocprim17ROCPRIM_400000_NS6detail17trampoline_kernelINS0_14default_configENS1_38merge_sort_block_merge_config_selectorIllEEZZNS1_27merge_sort_block_merge_implIS3_PlN6thrust23THRUST_200600_302600_NS10device_ptrIlEEjNS1_19radix_merge_compareILb0ELb1ElNS0_19identity_decomposerEEEEE10hipError_tT0_T1_T2_jT3_P12ihipStream_tbPNSt15iterator_traitsISG_E10value_typeEPNSM_ISH_E10value_typeEPSI_NS1_7vsmem_tEENKUlT_SG_SH_SI_E_clIS7_S7_SB_S7_EESF_SV_SG_SH_SI_EUlSV_E_NS1_11comp_targetILNS1_3genE8ELNS1_11target_archE1030ELNS1_3gpuE2ELNS1_3repE0EEENS1_48merge_mergepath_partition_config_static_selectorELNS0_4arch9wavefront6targetE1EEEvSH_
	.p2align	8
	.type	_ZN7rocprim17ROCPRIM_400000_NS6detail17trampoline_kernelINS0_14default_configENS1_38merge_sort_block_merge_config_selectorIllEEZZNS1_27merge_sort_block_merge_implIS3_PlN6thrust23THRUST_200600_302600_NS10device_ptrIlEEjNS1_19radix_merge_compareILb0ELb1ElNS0_19identity_decomposerEEEEE10hipError_tT0_T1_T2_jT3_P12ihipStream_tbPNSt15iterator_traitsISG_E10value_typeEPNSM_ISH_E10value_typeEPSI_NS1_7vsmem_tEENKUlT_SG_SH_SI_E_clIS7_S7_SB_S7_EESF_SV_SG_SH_SI_EUlSV_E_NS1_11comp_targetILNS1_3genE8ELNS1_11target_archE1030ELNS1_3gpuE2ELNS1_3repE0EEENS1_48merge_mergepath_partition_config_static_selectorELNS0_4arch9wavefront6targetE1EEEvSH_,@function
_ZN7rocprim17ROCPRIM_400000_NS6detail17trampoline_kernelINS0_14default_configENS1_38merge_sort_block_merge_config_selectorIllEEZZNS1_27merge_sort_block_merge_implIS3_PlN6thrust23THRUST_200600_302600_NS10device_ptrIlEEjNS1_19radix_merge_compareILb0ELb1ElNS0_19identity_decomposerEEEEE10hipError_tT0_T1_T2_jT3_P12ihipStream_tbPNSt15iterator_traitsISG_E10value_typeEPNSM_ISH_E10value_typeEPSI_NS1_7vsmem_tEENKUlT_SG_SH_SI_E_clIS7_S7_SB_S7_EESF_SV_SG_SH_SI_EUlSV_E_NS1_11comp_targetILNS1_3genE8ELNS1_11target_archE1030ELNS1_3gpuE2ELNS1_3repE0EEENS1_48merge_mergepath_partition_config_static_selectorELNS0_4arch9wavefront6targetE1EEEvSH_: ; @_ZN7rocprim17ROCPRIM_400000_NS6detail17trampoline_kernelINS0_14default_configENS1_38merge_sort_block_merge_config_selectorIllEEZZNS1_27merge_sort_block_merge_implIS3_PlN6thrust23THRUST_200600_302600_NS10device_ptrIlEEjNS1_19radix_merge_compareILb0ELb1ElNS0_19identity_decomposerEEEEE10hipError_tT0_T1_T2_jT3_P12ihipStream_tbPNSt15iterator_traitsISG_E10value_typeEPNSM_ISH_E10value_typeEPSI_NS1_7vsmem_tEENKUlT_SG_SH_SI_E_clIS7_S7_SB_S7_EESF_SV_SG_SH_SI_EUlSV_E_NS1_11comp_targetILNS1_3genE8ELNS1_11target_archE1030ELNS1_3gpuE2ELNS1_3repE0EEENS1_48merge_mergepath_partition_config_static_selectorELNS0_4arch9wavefront6targetE1EEEvSH_
; %bb.0:
	.section	.rodata,"a",@progbits
	.p2align	6, 0x0
	.amdhsa_kernel _ZN7rocprim17ROCPRIM_400000_NS6detail17trampoline_kernelINS0_14default_configENS1_38merge_sort_block_merge_config_selectorIllEEZZNS1_27merge_sort_block_merge_implIS3_PlN6thrust23THRUST_200600_302600_NS10device_ptrIlEEjNS1_19radix_merge_compareILb0ELb1ElNS0_19identity_decomposerEEEEE10hipError_tT0_T1_T2_jT3_P12ihipStream_tbPNSt15iterator_traitsISG_E10value_typeEPNSM_ISH_E10value_typeEPSI_NS1_7vsmem_tEENKUlT_SG_SH_SI_E_clIS7_S7_SB_S7_EESF_SV_SG_SH_SI_EUlSV_E_NS1_11comp_targetILNS1_3genE8ELNS1_11target_archE1030ELNS1_3gpuE2ELNS1_3repE0EEENS1_48merge_mergepath_partition_config_static_selectorELNS0_4arch9wavefront6targetE1EEEvSH_
		.amdhsa_group_segment_fixed_size 0
		.amdhsa_private_segment_fixed_size 0
		.amdhsa_kernarg_size 40
		.amdhsa_user_sgpr_count 6
		.amdhsa_user_sgpr_private_segment_buffer 1
		.amdhsa_user_sgpr_dispatch_ptr 0
		.amdhsa_user_sgpr_queue_ptr 0
		.amdhsa_user_sgpr_kernarg_segment_ptr 1
		.amdhsa_user_sgpr_dispatch_id 0
		.amdhsa_user_sgpr_flat_scratch_init 0
		.amdhsa_user_sgpr_kernarg_preload_length 0
		.amdhsa_user_sgpr_kernarg_preload_offset 0
		.amdhsa_user_sgpr_private_segment_size 0
		.amdhsa_uses_dynamic_stack 0
		.amdhsa_system_sgpr_private_segment_wavefront_offset 0
		.amdhsa_system_sgpr_workgroup_id_x 1
		.amdhsa_system_sgpr_workgroup_id_y 0
		.amdhsa_system_sgpr_workgroup_id_z 0
		.amdhsa_system_sgpr_workgroup_info 0
		.amdhsa_system_vgpr_workitem_id 0
		.amdhsa_next_free_vgpr 1
		.amdhsa_next_free_sgpr 0
		.amdhsa_accum_offset 4
		.amdhsa_reserve_vcc 0
		.amdhsa_reserve_flat_scratch 0
		.amdhsa_float_round_mode_32 0
		.amdhsa_float_round_mode_16_64 0
		.amdhsa_float_denorm_mode_32 3
		.amdhsa_float_denorm_mode_16_64 3
		.amdhsa_dx10_clamp 1
		.amdhsa_ieee_mode 1
		.amdhsa_fp16_overflow 0
		.amdhsa_tg_split 0
		.amdhsa_exception_fp_ieee_invalid_op 0
		.amdhsa_exception_fp_denorm_src 0
		.amdhsa_exception_fp_ieee_div_zero 0
		.amdhsa_exception_fp_ieee_overflow 0
		.amdhsa_exception_fp_ieee_underflow 0
		.amdhsa_exception_fp_ieee_inexact 0
		.amdhsa_exception_int_div_zero 0
	.end_amdhsa_kernel
	.section	.text._ZN7rocprim17ROCPRIM_400000_NS6detail17trampoline_kernelINS0_14default_configENS1_38merge_sort_block_merge_config_selectorIllEEZZNS1_27merge_sort_block_merge_implIS3_PlN6thrust23THRUST_200600_302600_NS10device_ptrIlEEjNS1_19radix_merge_compareILb0ELb1ElNS0_19identity_decomposerEEEEE10hipError_tT0_T1_T2_jT3_P12ihipStream_tbPNSt15iterator_traitsISG_E10value_typeEPNSM_ISH_E10value_typeEPSI_NS1_7vsmem_tEENKUlT_SG_SH_SI_E_clIS7_S7_SB_S7_EESF_SV_SG_SH_SI_EUlSV_E_NS1_11comp_targetILNS1_3genE8ELNS1_11target_archE1030ELNS1_3gpuE2ELNS1_3repE0EEENS1_48merge_mergepath_partition_config_static_selectorELNS0_4arch9wavefront6targetE1EEEvSH_,"axG",@progbits,_ZN7rocprim17ROCPRIM_400000_NS6detail17trampoline_kernelINS0_14default_configENS1_38merge_sort_block_merge_config_selectorIllEEZZNS1_27merge_sort_block_merge_implIS3_PlN6thrust23THRUST_200600_302600_NS10device_ptrIlEEjNS1_19radix_merge_compareILb0ELb1ElNS0_19identity_decomposerEEEEE10hipError_tT0_T1_T2_jT3_P12ihipStream_tbPNSt15iterator_traitsISG_E10value_typeEPNSM_ISH_E10value_typeEPSI_NS1_7vsmem_tEENKUlT_SG_SH_SI_E_clIS7_S7_SB_S7_EESF_SV_SG_SH_SI_EUlSV_E_NS1_11comp_targetILNS1_3genE8ELNS1_11target_archE1030ELNS1_3gpuE2ELNS1_3repE0EEENS1_48merge_mergepath_partition_config_static_selectorELNS0_4arch9wavefront6targetE1EEEvSH_,comdat
.Lfunc_end1097:
	.size	_ZN7rocprim17ROCPRIM_400000_NS6detail17trampoline_kernelINS0_14default_configENS1_38merge_sort_block_merge_config_selectorIllEEZZNS1_27merge_sort_block_merge_implIS3_PlN6thrust23THRUST_200600_302600_NS10device_ptrIlEEjNS1_19radix_merge_compareILb0ELb1ElNS0_19identity_decomposerEEEEE10hipError_tT0_T1_T2_jT3_P12ihipStream_tbPNSt15iterator_traitsISG_E10value_typeEPNSM_ISH_E10value_typeEPSI_NS1_7vsmem_tEENKUlT_SG_SH_SI_E_clIS7_S7_SB_S7_EESF_SV_SG_SH_SI_EUlSV_E_NS1_11comp_targetILNS1_3genE8ELNS1_11target_archE1030ELNS1_3gpuE2ELNS1_3repE0EEENS1_48merge_mergepath_partition_config_static_selectorELNS0_4arch9wavefront6targetE1EEEvSH_, .Lfunc_end1097-_ZN7rocprim17ROCPRIM_400000_NS6detail17trampoline_kernelINS0_14default_configENS1_38merge_sort_block_merge_config_selectorIllEEZZNS1_27merge_sort_block_merge_implIS3_PlN6thrust23THRUST_200600_302600_NS10device_ptrIlEEjNS1_19radix_merge_compareILb0ELb1ElNS0_19identity_decomposerEEEEE10hipError_tT0_T1_T2_jT3_P12ihipStream_tbPNSt15iterator_traitsISG_E10value_typeEPNSM_ISH_E10value_typeEPSI_NS1_7vsmem_tEENKUlT_SG_SH_SI_E_clIS7_S7_SB_S7_EESF_SV_SG_SH_SI_EUlSV_E_NS1_11comp_targetILNS1_3genE8ELNS1_11target_archE1030ELNS1_3gpuE2ELNS1_3repE0EEENS1_48merge_mergepath_partition_config_static_selectorELNS0_4arch9wavefront6targetE1EEEvSH_
                                        ; -- End function
	.section	.AMDGPU.csdata,"",@progbits
; Kernel info:
; codeLenInByte = 0
; NumSgprs: 4
; NumVgprs: 0
; NumAgprs: 0
; TotalNumVgprs: 0
; ScratchSize: 0
; MemoryBound: 0
; FloatMode: 240
; IeeeMode: 1
; LDSByteSize: 0 bytes/workgroup (compile time only)
; SGPRBlocks: 0
; VGPRBlocks: 0
; NumSGPRsForWavesPerEU: 4
; NumVGPRsForWavesPerEU: 1
; AccumOffset: 4
; Occupancy: 8
; WaveLimiterHint : 0
; COMPUTE_PGM_RSRC2:SCRATCH_EN: 0
; COMPUTE_PGM_RSRC2:USER_SGPR: 6
; COMPUTE_PGM_RSRC2:TRAP_HANDLER: 0
; COMPUTE_PGM_RSRC2:TGID_X_EN: 1
; COMPUTE_PGM_RSRC2:TGID_Y_EN: 0
; COMPUTE_PGM_RSRC2:TGID_Z_EN: 0
; COMPUTE_PGM_RSRC2:TIDIG_COMP_CNT: 0
; COMPUTE_PGM_RSRC3_GFX90A:ACCUM_OFFSET: 0
; COMPUTE_PGM_RSRC3_GFX90A:TG_SPLIT: 0
	.section	.text._ZN7rocprim17ROCPRIM_400000_NS6detail17trampoline_kernelINS0_14default_configENS1_38merge_sort_block_merge_config_selectorIllEEZZNS1_27merge_sort_block_merge_implIS3_PlN6thrust23THRUST_200600_302600_NS10device_ptrIlEEjNS1_19radix_merge_compareILb0ELb1ElNS0_19identity_decomposerEEEEE10hipError_tT0_T1_T2_jT3_P12ihipStream_tbPNSt15iterator_traitsISG_E10value_typeEPNSM_ISH_E10value_typeEPSI_NS1_7vsmem_tEENKUlT_SG_SH_SI_E_clIS7_S7_SB_S7_EESF_SV_SG_SH_SI_EUlSV_E0_NS1_11comp_targetILNS1_3genE0ELNS1_11target_archE4294967295ELNS1_3gpuE0ELNS1_3repE0EEENS1_38merge_mergepath_config_static_selectorELNS0_4arch9wavefront6targetE1EEEvSH_,"axG",@progbits,_ZN7rocprim17ROCPRIM_400000_NS6detail17trampoline_kernelINS0_14default_configENS1_38merge_sort_block_merge_config_selectorIllEEZZNS1_27merge_sort_block_merge_implIS3_PlN6thrust23THRUST_200600_302600_NS10device_ptrIlEEjNS1_19radix_merge_compareILb0ELb1ElNS0_19identity_decomposerEEEEE10hipError_tT0_T1_T2_jT3_P12ihipStream_tbPNSt15iterator_traitsISG_E10value_typeEPNSM_ISH_E10value_typeEPSI_NS1_7vsmem_tEENKUlT_SG_SH_SI_E_clIS7_S7_SB_S7_EESF_SV_SG_SH_SI_EUlSV_E0_NS1_11comp_targetILNS1_3genE0ELNS1_11target_archE4294967295ELNS1_3gpuE0ELNS1_3repE0EEENS1_38merge_mergepath_config_static_selectorELNS0_4arch9wavefront6targetE1EEEvSH_,comdat
	.protected	_ZN7rocprim17ROCPRIM_400000_NS6detail17trampoline_kernelINS0_14default_configENS1_38merge_sort_block_merge_config_selectorIllEEZZNS1_27merge_sort_block_merge_implIS3_PlN6thrust23THRUST_200600_302600_NS10device_ptrIlEEjNS1_19radix_merge_compareILb0ELb1ElNS0_19identity_decomposerEEEEE10hipError_tT0_T1_T2_jT3_P12ihipStream_tbPNSt15iterator_traitsISG_E10value_typeEPNSM_ISH_E10value_typeEPSI_NS1_7vsmem_tEENKUlT_SG_SH_SI_E_clIS7_S7_SB_S7_EESF_SV_SG_SH_SI_EUlSV_E0_NS1_11comp_targetILNS1_3genE0ELNS1_11target_archE4294967295ELNS1_3gpuE0ELNS1_3repE0EEENS1_38merge_mergepath_config_static_selectorELNS0_4arch9wavefront6targetE1EEEvSH_ ; -- Begin function _ZN7rocprim17ROCPRIM_400000_NS6detail17trampoline_kernelINS0_14default_configENS1_38merge_sort_block_merge_config_selectorIllEEZZNS1_27merge_sort_block_merge_implIS3_PlN6thrust23THRUST_200600_302600_NS10device_ptrIlEEjNS1_19radix_merge_compareILb0ELb1ElNS0_19identity_decomposerEEEEE10hipError_tT0_T1_T2_jT3_P12ihipStream_tbPNSt15iterator_traitsISG_E10value_typeEPNSM_ISH_E10value_typeEPSI_NS1_7vsmem_tEENKUlT_SG_SH_SI_E_clIS7_S7_SB_S7_EESF_SV_SG_SH_SI_EUlSV_E0_NS1_11comp_targetILNS1_3genE0ELNS1_11target_archE4294967295ELNS1_3gpuE0ELNS1_3repE0EEENS1_38merge_mergepath_config_static_selectorELNS0_4arch9wavefront6targetE1EEEvSH_
	.globl	_ZN7rocprim17ROCPRIM_400000_NS6detail17trampoline_kernelINS0_14default_configENS1_38merge_sort_block_merge_config_selectorIllEEZZNS1_27merge_sort_block_merge_implIS3_PlN6thrust23THRUST_200600_302600_NS10device_ptrIlEEjNS1_19radix_merge_compareILb0ELb1ElNS0_19identity_decomposerEEEEE10hipError_tT0_T1_T2_jT3_P12ihipStream_tbPNSt15iterator_traitsISG_E10value_typeEPNSM_ISH_E10value_typeEPSI_NS1_7vsmem_tEENKUlT_SG_SH_SI_E_clIS7_S7_SB_S7_EESF_SV_SG_SH_SI_EUlSV_E0_NS1_11comp_targetILNS1_3genE0ELNS1_11target_archE4294967295ELNS1_3gpuE0ELNS1_3repE0EEENS1_38merge_mergepath_config_static_selectorELNS0_4arch9wavefront6targetE1EEEvSH_
	.p2align	8
	.type	_ZN7rocprim17ROCPRIM_400000_NS6detail17trampoline_kernelINS0_14default_configENS1_38merge_sort_block_merge_config_selectorIllEEZZNS1_27merge_sort_block_merge_implIS3_PlN6thrust23THRUST_200600_302600_NS10device_ptrIlEEjNS1_19radix_merge_compareILb0ELb1ElNS0_19identity_decomposerEEEEE10hipError_tT0_T1_T2_jT3_P12ihipStream_tbPNSt15iterator_traitsISG_E10value_typeEPNSM_ISH_E10value_typeEPSI_NS1_7vsmem_tEENKUlT_SG_SH_SI_E_clIS7_S7_SB_S7_EESF_SV_SG_SH_SI_EUlSV_E0_NS1_11comp_targetILNS1_3genE0ELNS1_11target_archE4294967295ELNS1_3gpuE0ELNS1_3repE0EEENS1_38merge_mergepath_config_static_selectorELNS0_4arch9wavefront6targetE1EEEvSH_,@function
_ZN7rocprim17ROCPRIM_400000_NS6detail17trampoline_kernelINS0_14default_configENS1_38merge_sort_block_merge_config_selectorIllEEZZNS1_27merge_sort_block_merge_implIS3_PlN6thrust23THRUST_200600_302600_NS10device_ptrIlEEjNS1_19radix_merge_compareILb0ELb1ElNS0_19identity_decomposerEEEEE10hipError_tT0_T1_T2_jT3_P12ihipStream_tbPNSt15iterator_traitsISG_E10value_typeEPNSM_ISH_E10value_typeEPSI_NS1_7vsmem_tEENKUlT_SG_SH_SI_E_clIS7_S7_SB_S7_EESF_SV_SG_SH_SI_EUlSV_E0_NS1_11comp_targetILNS1_3genE0ELNS1_11target_archE4294967295ELNS1_3gpuE0ELNS1_3repE0EEENS1_38merge_mergepath_config_static_selectorELNS0_4arch9wavefront6targetE1EEEvSH_: ; @_ZN7rocprim17ROCPRIM_400000_NS6detail17trampoline_kernelINS0_14default_configENS1_38merge_sort_block_merge_config_selectorIllEEZZNS1_27merge_sort_block_merge_implIS3_PlN6thrust23THRUST_200600_302600_NS10device_ptrIlEEjNS1_19radix_merge_compareILb0ELb1ElNS0_19identity_decomposerEEEEE10hipError_tT0_T1_T2_jT3_P12ihipStream_tbPNSt15iterator_traitsISG_E10value_typeEPNSM_ISH_E10value_typeEPSI_NS1_7vsmem_tEENKUlT_SG_SH_SI_E_clIS7_S7_SB_S7_EESF_SV_SG_SH_SI_EUlSV_E0_NS1_11comp_targetILNS1_3genE0ELNS1_11target_archE4294967295ELNS1_3gpuE0ELNS1_3repE0EEENS1_38merge_mergepath_config_static_selectorELNS0_4arch9wavefront6targetE1EEEvSH_
; %bb.0:
	.section	.rodata,"a",@progbits
	.p2align	6, 0x0
	.amdhsa_kernel _ZN7rocprim17ROCPRIM_400000_NS6detail17trampoline_kernelINS0_14default_configENS1_38merge_sort_block_merge_config_selectorIllEEZZNS1_27merge_sort_block_merge_implIS3_PlN6thrust23THRUST_200600_302600_NS10device_ptrIlEEjNS1_19radix_merge_compareILb0ELb1ElNS0_19identity_decomposerEEEEE10hipError_tT0_T1_T2_jT3_P12ihipStream_tbPNSt15iterator_traitsISG_E10value_typeEPNSM_ISH_E10value_typeEPSI_NS1_7vsmem_tEENKUlT_SG_SH_SI_E_clIS7_S7_SB_S7_EESF_SV_SG_SH_SI_EUlSV_E0_NS1_11comp_targetILNS1_3genE0ELNS1_11target_archE4294967295ELNS1_3gpuE0ELNS1_3repE0EEENS1_38merge_mergepath_config_static_selectorELNS0_4arch9wavefront6targetE1EEEvSH_
		.amdhsa_group_segment_fixed_size 0
		.amdhsa_private_segment_fixed_size 0
		.amdhsa_kernarg_size 72
		.amdhsa_user_sgpr_count 6
		.amdhsa_user_sgpr_private_segment_buffer 1
		.amdhsa_user_sgpr_dispatch_ptr 0
		.amdhsa_user_sgpr_queue_ptr 0
		.amdhsa_user_sgpr_kernarg_segment_ptr 1
		.amdhsa_user_sgpr_dispatch_id 0
		.amdhsa_user_sgpr_flat_scratch_init 0
		.amdhsa_user_sgpr_kernarg_preload_length 0
		.amdhsa_user_sgpr_kernarg_preload_offset 0
		.amdhsa_user_sgpr_private_segment_size 0
		.amdhsa_uses_dynamic_stack 0
		.amdhsa_system_sgpr_private_segment_wavefront_offset 0
		.amdhsa_system_sgpr_workgroup_id_x 1
		.amdhsa_system_sgpr_workgroup_id_y 0
		.amdhsa_system_sgpr_workgroup_id_z 0
		.amdhsa_system_sgpr_workgroup_info 0
		.amdhsa_system_vgpr_workitem_id 0
		.amdhsa_next_free_vgpr 1
		.amdhsa_next_free_sgpr 0
		.amdhsa_accum_offset 4
		.amdhsa_reserve_vcc 0
		.amdhsa_reserve_flat_scratch 0
		.amdhsa_float_round_mode_32 0
		.amdhsa_float_round_mode_16_64 0
		.amdhsa_float_denorm_mode_32 3
		.amdhsa_float_denorm_mode_16_64 3
		.amdhsa_dx10_clamp 1
		.amdhsa_ieee_mode 1
		.amdhsa_fp16_overflow 0
		.amdhsa_tg_split 0
		.amdhsa_exception_fp_ieee_invalid_op 0
		.amdhsa_exception_fp_denorm_src 0
		.amdhsa_exception_fp_ieee_div_zero 0
		.amdhsa_exception_fp_ieee_overflow 0
		.amdhsa_exception_fp_ieee_underflow 0
		.amdhsa_exception_fp_ieee_inexact 0
		.amdhsa_exception_int_div_zero 0
	.end_amdhsa_kernel
	.section	.text._ZN7rocprim17ROCPRIM_400000_NS6detail17trampoline_kernelINS0_14default_configENS1_38merge_sort_block_merge_config_selectorIllEEZZNS1_27merge_sort_block_merge_implIS3_PlN6thrust23THRUST_200600_302600_NS10device_ptrIlEEjNS1_19radix_merge_compareILb0ELb1ElNS0_19identity_decomposerEEEEE10hipError_tT0_T1_T2_jT3_P12ihipStream_tbPNSt15iterator_traitsISG_E10value_typeEPNSM_ISH_E10value_typeEPSI_NS1_7vsmem_tEENKUlT_SG_SH_SI_E_clIS7_S7_SB_S7_EESF_SV_SG_SH_SI_EUlSV_E0_NS1_11comp_targetILNS1_3genE0ELNS1_11target_archE4294967295ELNS1_3gpuE0ELNS1_3repE0EEENS1_38merge_mergepath_config_static_selectorELNS0_4arch9wavefront6targetE1EEEvSH_,"axG",@progbits,_ZN7rocprim17ROCPRIM_400000_NS6detail17trampoline_kernelINS0_14default_configENS1_38merge_sort_block_merge_config_selectorIllEEZZNS1_27merge_sort_block_merge_implIS3_PlN6thrust23THRUST_200600_302600_NS10device_ptrIlEEjNS1_19radix_merge_compareILb0ELb1ElNS0_19identity_decomposerEEEEE10hipError_tT0_T1_T2_jT3_P12ihipStream_tbPNSt15iterator_traitsISG_E10value_typeEPNSM_ISH_E10value_typeEPSI_NS1_7vsmem_tEENKUlT_SG_SH_SI_E_clIS7_S7_SB_S7_EESF_SV_SG_SH_SI_EUlSV_E0_NS1_11comp_targetILNS1_3genE0ELNS1_11target_archE4294967295ELNS1_3gpuE0ELNS1_3repE0EEENS1_38merge_mergepath_config_static_selectorELNS0_4arch9wavefront6targetE1EEEvSH_,comdat
.Lfunc_end1098:
	.size	_ZN7rocprim17ROCPRIM_400000_NS6detail17trampoline_kernelINS0_14default_configENS1_38merge_sort_block_merge_config_selectorIllEEZZNS1_27merge_sort_block_merge_implIS3_PlN6thrust23THRUST_200600_302600_NS10device_ptrIlEEjNS1_19radix_merge_compareILb0ELb1ElNS0_19identity_decomposerEEEEE10hipError_tT0_T1_T2_jT3_P12ihipStream_tbPNSt15iterator_traitsISG_E10value_typeEPNSM_ISH_E10value_typeEPSI_NS1_7vsmem_tEENKUlT_SG_SH_SI_E_clIS7_S7_SB_S7_EESF_SV_SG_SH_SI_EUlSV_E0_NS1_11comp_targetILNS1_3genE0ELNS1_11target_archE4294967295ELNS1_3gpuE0ELNS1_3repE0EEENS1_38merge_mergepath_config_static_selectorELNS0_4arch9wavefront6targetE1EEEvSH_, .Lfunc_end1098-_ZN7rocprim17ROCPRIM_400000_NS6detail17trampoline_kernelINS0_14default_configENS1_38merge_sort_block_merge_config_selectorIllEEZZNS1_27merge_sort_block_merge_implIS3_PlN6thrust23THRUST_200600_302600_NS10device_ptrIlEEjNS1_19radix_merge_compareILb0ELb1ElNS0_19identity_decomposerEEEEE10hipError_tT0_T1_T2_jT3_P12ihipStream_tbPNSt15iterator_traitsISG_E10value_typeEPNSM_ISH_E10value_typeEPSI_NS1_7vsmem_tEENKUlT_SG_SH_SI_E_clIS7_S7_SB_S7_EESF_SV_SG_SH_SI_EUlSV_E0_NS1_11comp_targetILNS1_3genE0ELNS1_11target_archE4294967295ELNS1_3gpuE0ELNS1_3repE0EEENS1_38merge_mergepath_config_static_selectorELNS0_4arch9wavefront6targetE1EEEvSH_
                                        ; -- End function
	.section	.AMDGPU.csdata,"",@progbits
; Kernel info:
; codeLenInByte = 0
; NumSgprs: 4
; NumVgprs: 0
; NumAgprs: 0
; TotalNumVgprs: 0
; ScratchSize: 0
; MemoryBound: 0
; FloatMode: 240
; IeeeMode: 1
; LDSByteSize: 0 bytes/workgroup (compile time only)
; SGPRBlocks: 0
; VGPRBlocks: 0
; NumSGPRsForWavesPerEU: 4
; NumVGPRsForWavesPerEU: 1
; AccumOffset: 4
; Occupancy: 8
; WaveLimiterHint : 0
; COMPUTE_PGM_RSRC2:SCRATCH_EN: 0
; COMPUTE_PGM_RSRC2:USER_SGPR: 6
; COMPUTE_PGM_RSRC2:TRAP_HANDLER: 0
; COMPUTE_PGM_RSRC2:TGID_X_EN: 1
; COMPUTE_PGM_RSRC2:TGID_Y_EN: 0
; COMPUTE_PGM_RSRC2:TGID_Z_EN: 0
; COMPUTE_PGM_RSRC2:TIDIG_COMP_CNT: 0
; COMPUTE_PGM_RSRC3_GFX90A:ACCUM_OFFSET: 0
; COMPUTE_PGM_RSRC3_GFX90A:TG_SPLIT: 0
	.section	.text._ZN7rocprim17ROCPRIM_400000_NS6detail17trampoline_kernelINS0_14default_configENS1_38merge_sort_block_merge_config_selectorIllEEZZNS1_27merge_sort_block_merge_implIS3_PlN6thrust23THRUST_200600_302600_NS10device_ptrIlEEjNS1_19radix_merge_compareILb0ELb1ElNS0_19identity_decomposerEEEEE10hipError_tT0_T1_T2_jT3_P12ihipStream_tbPNSt15iterator_traitsISG_E10value_typeEPNSM_ISH_E10value_typeEPSI_NS1_7vsmem_tEENKUlT_SG_SH_SI_E_clIS7_S7_SB_S7_EESF_SV_SG_SH_SI_EUlSV_E0_NS1_11comp_targetILNS1_3genE10ELNS1_11target_archE1201ELNS1_3gpuE5ELNS1_3repE0EEENS1_38merge_mergepath_config_static_selectorELNS0_4arch9wavefront6targetE1EEEvSH_,"axG",@progbits,_ZN7rocprim17ROCPRIM_400000_NS6detail17trampoline_kernelINS0_14default_configENS1_38merge_sort_block_merge_config_selectorIllEEZZNS1_27merge_sort_block_merge_implIS3_PlN6thrust23THRUST_200600_302600_NS10device_ptrIlEEjNS1_19radix_merge_compareILb0ELb1ElNS0_19identity_decomposerEEEEE10hipError_tT0_T1_T2_jT3_P12ihipStream_tbPNSt15iterator_traitsISG_E10value_typeEPNSM_ISH_E10value_typeEPSI_NS1_7vsmem_tEENKUlT_SG_SH_SI_E_clIS7_S7_SB_S7_EESF_SV_SG_SH_SI_EUlSV_E0_NS1_11comp_targetILNS1_3genE10ELNS1_11target_archE1201ELNS1_3gpuE5ELNS1_3repE0EEENS1_38merge_mergepath_config_static_selectorELNS0_4arch9wavefront6targetE1EEEvSH_,comdat
	.protected	_ZN7rocprim17ROCPRIM_400000_NS6detail17trampoline_kernelINS0_14default_configENS1_38merge_sort_block_merge_config_selectorIllEEZZNS1_27merge_sort_block_merge_implIS3_PlN6thrust23THRUST_200600_302600_NS10device_ptrIlEEjNS1_19radix_merge_compareILb0ELb1ElNS0_19identity_decomposerEEEEE10hipError_tT0_T1_T2_jT3_P12ihipStream_tbPNSt15iterator_traitsISG_E10value_typeEPNSM_ISH_E10value_typeEPSI_NS1_7vsmem_tEENKUlT_SG_SH_SI_E_clIS7_S7_SB_S7_EESF_SV_SG_SH_SI_EUlSV_E0_NS1_11comp_targetILNS1_3genE10ELNS1_11target_archE1201ELNS1_3gpuE5ELNS1_3repE0EEENS1_38merge_mergepath_config_static_selectorELNS0_4arch9wavefront6targetE1EEEvSH_ ; -- Begin function _ZN7rocprim17ROCPRIM_400000_NS6detail17trampoline_kernelINS0_14default_configENS1_38merge_sort_block_merge_config_selectorIllEEZZNS1_27merge_sort_block_merge_implIS3_PlN6thrust23THRUST_200600_302600_NS10device_ptrIlEEjNS1_19radix_merge_compareILb0ELb1ElNS0_19identity_decomposerEEEEE10hipError_tT0_T1_T2_jT3_P12ihipStream_tbPNSt15iterator_traitsISG_E10value_typeEPNSM_ISH_E10value_typeEPSI_NS1_7vsmem_tEENKUlT_SG_SH_SI_E_clIS7_S7_SB_S7_EESF_SV_SG_SH_SI_EUlSV_E0_NS1_11comp_targetILNS1_3genE10ELNS1_11target_archE1201ELNS1_3gpuE5ELNS1_3repE0EEENS1_38merge_mergepath_config_static_selectorELNS0_4arch9wavefront6targetE1EEEvSH_
	.globl	_ZN7rocprim17ROCPRIM_400000_NS6detail17trampoline_kernelINS0_14default_configENS1_38merge_sort_block_merge_config_selectorIllEEZZNS1_27merge_sort_block_merge_implIS3_PlN6thrust23THRUST_200600_302600_NS10device_ptrIlEEjNS1_19radix_merge_compareILb0ELb1ElNS0_19identity_decomposerEEEEE10hipError_tT0_T1_T2_jT3_P12ihipStream_tbPNSt15iterator_traitsISG_E10value_typeEPNSM_ISH_E10value_typeEPSI_NS1_7vsmem_tEENKUlT_SG_SH_SI_E_clIS7_S7_SB_S7_EESF_SV_SG_SH_SI_EUlSV_E0_NS1_11comp_targetILNS1_3genE10ELNS1_11target_archE1201ELNS1_3gpuE5ELNS1_3repE0EEENS1_38merge_mergepath_config_static_selectorELNS0_4arch9wavefront6targetE1EEEvSH_
	.p2align	8
	.type	_ZN7rocprim17ROCPRIM_400000_NS6detail17trampoline_kernelINS0_14default_configENS1_38merge_sort_block_merge_config_selectorIllEEZZNS1_27merge_sort_block_merge_implIS3_PlN6thrust23THRUST_200600_302600_NS10device_ptrIlEEjNS1_19radix_merge_compareILb0ELb1ElNS0_19identity_decomposerEEEEE10hipError_tT0_T1_T2_jT3_P12ihipStream_tbPNSt15iterator_traitsISG_E10value_typeEPNSM_ISH_E10value_typeEPSI_NS1_7vsmem_tEENKUlT_SG_SH_SI_E_clIS7_S7_SB_S7_EESF_SV_SG_SH_SI_EUlSV_E0_NS1_11comp_targetILNS1_3genE10ELNS1_11target_archE1201ELNS1_3gpuE5ELNS1_3repE0EEENS1_38merge_mergepath_config_static_selectorELNS0_4arch9wavefront6targetE1EEEvSH_,@function
_ZN7rocprim17ROCPRIM_400000_NS6detail17trampoline_kernelINS0_14default_configENS1_38merge_sort_block_merge_config_selectorIllEEZZNS1_27merge_sort_block_merge_implIS3_PlN6thrust23THRUST_200600_302600_NS10device_ptrIlEEjNS1_19radix_merge_compareILb0ELb1ElNS0_19identity_decomposerEEEEE10hipError_tT0_T1_T2_jT3_P12ihipStream_tbPNSt15iterator_traitsISG_E10value_typeEPNSM_ISH_E10value_typeEPSI_NS1_7vsmem_tEENKUlT_SG_SH_SI_E_clIS7_S7_SB_S7_EESF_SV_SG_SH_SI_EUlSV_E0_NS1_11comp_targetILNS1_3genE10ELNS1_11target_archE1201ELNS1_3gpuE5ELNS1_3repE0EEENS1_38merge_mergepath_config_static_selectorELNS0_4arch9wavefront6targetE1EEEvSH_: ; @_ZN7rocprim17ROCPRIM_400000_NS6detail17trampoline_kernelINS0_14default_configENS1_38merge_sort_block_merge_config_selectorIllEEZZNS1_27merge_sort_block_merge_implIS3_PlN6thrust23THRUST_200600_302600_NS10device_ptrIlEEjNS1_19radix_merge_compareILb0ELb1ElNS0_19identity_decomposerEEEEE10hipError_tT0_T1_T2_jT3_P12ihipStream_tbPNSt15iterator_traitsISG_E10value_typeEPNSM_ISH_E10value_typeEPSI_NS1_7vsmem_tEENKUlT_SG_SH_SI_E_clIS7_S7_SB_S7_EESF_SV_SG_SH_SI_EUlSV_E0_NS1_11comp_targetILNS1_3genE10ELNS1_11target_archE1201ELNS1_3gpuE5ELNS1_3repE0EEENS1_38merge_mergepath_config_static_selectorELNS0_4arch9wavefront6targetE1EEEvSH_
; %bb.0:
	.section	.rodata,"a",@progbits
	.p2align	6, 0x0
	.amdhsa_kernel _ZN7rocprim17ROCPRIM_400000_NS6detail17trampoline_kernelINS0_14default_configENS1_38merge_sort_block_merge_config_selectorIllEEZZNS1_27merge_sort_block_merge_implIS3_PlN6thrust23THRUST_200600_302600_NS10device_ptrIlEEjNS1_19radix_merge_compareILb0ELb1ElNS0_19identity_decomposerEEEEE10hipError_tT0_T1_T2_jT3_P12ihipStream_tbPNSt15iterator_traitsISG_E10value_typeEPNSM_ISH_E10value_typeEPSI_NS1_7vsmem_tEENKUlT_SG_SH_SI_E_clIS7_S7_SB_S7_EESF_SV_SG_SH_SI_EUlSV_E0_NS1_11comp_targetILNS1_3genE10ELNS1_11target_archE1201ELNS1_3gpuE5ELNS1_3repE0EEENS1_38merge_mergepath_config_static_selectorELNS0_4arch9wavefront6targetE1EEEvSH_
		.amdhsa_group_segment_fixed_size 0
		.amdhsa_private_segment_fixed_size 0
		.amdhsa_kernarg_size 72
		.amdhsa_user_sgpr_count 6
		.amdhsa_user_sgpr_private_segment_buffer 1
		.amdhsa_user_sgpr_dispatch_ptr 0
		.amdhsa_user_sgpr_queue_ptr 0
		.amdhsa_user_sgpr_kernarg_segment_ptr 1
		.amdhsa_user_sgpr_dispatch_id 0
		.amdhsa_user_sgpr_flat_scratch_init 0
		.amdhsa_user_sgpr_kernarg_preload_length 0
		.amdhsa_user_sgpr_kernarg_preload_offset 0
		.amdhsa_user_sgpr_private_segment_size 0
		.amdhsa_uses_dynamic_stack 0
		.amdhsa_system_sgpr_private_segment_wavefront_offset 0
		.amdhsa_system_sgpr_workgroup_id_x 1
		.amdhsa_system_sgpr_workgroup_id_y 0
		.amdhsa_system_sgpr_workgroup_id_z 0
		.amdhsa_system_sgpr_workgroup_info 0
		.amdhsa_system_vgpr_workitem_id 0
		.amdhsa_next_free_vgpr 1
		.amdhsa_next_free_sgpr 0
		.amdhsa_accum_offset 4
		.amdhsa_reserve_vcc 0
		.amdhsa_reserve_flat_scratch 0
		.amdhsa_float_round_mode_32 0
		.amdhsa_float_round_mode_16_64 0
		.amdhsa_float_denorm_mode_32 3
		.amdhsa_float_denorm_mode_16_64 3
		.amdhsa_dx10_clamp 1
		.amdhsa_ieee_mode 1
		.amdhsa_fp16_overflow 0
		.amdhsa_tg_split 0
		.amdhsa_exception_fp_ieee_invalid_op 0
		.amdhsa_exception_fp_denorm_src 0
		.amdhsa_exception_fp_ieee_div_zero 0
		.amdhsa_exception_fp_ieee_overflow 0
		.amdhsa_exception_fp_ieee_underflow 0
		.amdhsa_exception_fp_ieee_inexact 0
		.amdhsa_exception_int_div_zero 0
	.end_amdhsa_kernel
	.section	.text._ZN7rocprim17ROCPRIM_400000_NS6detail17trampoline_kernelINS0_14default_configENS1_38merge_sort_block_merge_config_selectorIllEEZZNS1_27merge_sort_block_merge_implIS3_PlN6thrust23THRUST_200600_302600_NS10device_ptrIlEEjNS1_19radix_merge_compareILb0ELb1ElNS0_19identity_decomposerEEEEE10hipError_tT0_T1_T2_jT3_P12ihipStream_tbPNSt15iterator_traitsISG_E10value_typeEPNSM_ISH_E10value_typeEPSI_NS1_7vsmem_tEENKUlT_SG_SH_SI_E_clIS7_S7_SB_S7_EESF_SV_SG_SH_SI_EUlSV_E0_NS1_11comp_targetILNS1_3genE10ELNS1_11target_archE1201ELNS1_3gpuE5ELNS1_3repE0EEENS1_38merge_mergepath_config_static_selectorELNS0_4arch9wavefront6targetE1EEEvSH_,"axG",@progbits,_ZN7rocprim17ROCPRIM_400000_NS6detail17trampoline_kernelINS0_14default_configENS1_38merge_sort_block_merge_config_selectorIllEEZZNS1_27merge_sort_block_merge_implIS3_PlN6thrust23THRUST_200600_302600_NS10device_ptrIlEEjNS1_19radix_merge_compareILb0ELb1ElNS0_19identity_decomposerEEEEE10hipError_tT0_T1_T2_jT3_P12ihipStream_tbPNSt15iterator_traitsISG_E10value_typeEPNSM_ISH_E10value_typeEPSI_NS1_7vsmem_tEENKUlT_SG_SH_SI_E_clIS7_S7_SB_S7_EESF_SV_SG_SH_SI_EUlSV_E0_NS1_11comp_targetILNS1_3genE10ELNS1_11target_archE1201ELNS1_3gpuE5ELNS1_3repE0EEENS1_38merge_mergepath_config_static_selectorELNS0_4arch9wavefront6targetE1EEEvSH_,comdat
.Lfunc_end1099:
	.size	_ZN7rocprim17ROCPRIM_400000_NS6detail17trampoline_kernelINS0_14default_configENS1_38merge_sort_block_merge_config_selectorIllEEZZNS1_27merge_sort_block_merge_implIS3_PlN6thrust23THRUST_200600_302600_NS10device_ptrIlEEjNS1_19radix_merge_compareILb0ELb1ElNS0_19identity_decomposerEEEEE10hipError_tT0_T1_T2_jT3_P12ihipStream_tbPNSt15iterator_traitsISG_E10value_typeEPNSM_ISH_E10value_typeEPSI_NS1_7vsmem_tEENKUlT_SG_SH_SI_E_clIS7_S7_SB_S7_EESF_SV_SG_SH_SI_EUlSV_E0_NS1_11comp_targetILNS1_3genE10ELNS1_11target_archE1201ELNS1_3gpuE5ELNS1_3repE0EEENS1_38merge_mergepath_config_static_selectorELNS0_4arch9wavefront6targetE1EEEvSH_, .Lfunc_end1099-_ZN7rocprim17ROCPRIM_400000_NS6detail17trampoline_kernelINS0_14default_configENS1_38merge_sort_block_merge_config_selectorIllEEZZNS1_27merge_sort_block_merge_implIS3_PlN6thrust23THRUST_200600_302600_NS10device_ptrIlEEjNS1_19radix_merge_compareILb0ELb1ElNS0_19identity_decomposerEEEEE10hipError_tT0_T1_T2_jT3_P12ihipStream_tbPNSt15iterator_traitsISG_E10value_typeEPNSM_ISH_E10value_typeEPSI_NS1_7vsmem_tEENKUlT_SG_SH_SI_E_clIS7_S7_SB_S7_EESF_SV_SG_SH_SI_EUlSV_E0_NS1_11comp_targetILNS1_3genE10ELNS1_11target_archE1201ELNS1_3gpuE5ELNS1_3repE0EEENS1_38merge_mergepath_config_static_selectorELNS0_4arch9wavefront6targetE1EEEvSH_
                                        ; -- End function
	.section	.AMDGPU.csdata,"",@progbits
; Kernel info:
; codeLenInByte = 0
; NumSgprs: 4
; NumVgprs: 0
; NumAgprs: 0
; TotalNumVgprs: 0
; ScratchSize: 0
; MemoryBound: 0
; FloatMode: 240
; IeeeMode: 1
; LDSByteSize: 0 bytes/workgroup (compile time only)
; SGPRBlocks: 0
; VGPRBlocks: 0
; NumSGPRsForWavesPerEU: 4
; NumVGPRsForWavesPerEU: 1
; AccumOffset: 4
; Occupancy: 8
; WaveLimiterHint : 0
; COMPUTE_PGM_RSRC2:SCRATCH_EN: 0
; COMPUTE_PGM_RSRC2:USER_SGPR: 6
; COMPUTE_PGM_RSRC2:TRAP_HANDLER: 0
; COMPUTE_PGM_RSRC2:TGID_X_EN: 1
; COMPUTE_PGM_RSRC2:TGID_Y_EN: 0
; COMPUTE_PGM_RSRC2:TGID_Z_EN: 0
; COMPUTE_PGM_RSRC2:TIDIG_COMP_CNT: 0
; COMPUTE_PGM_RSRC3_GFX90A:ACCUM_OFFSET: 0
; COMPUTE_PGM_RSRC3_GFX90A:TG_SPLIT: 0
	.section	.text._ZN7rocprim17ROCPRIM_400000_NS6detail17trampoline_kernelINS0_14default_configENS1_38merge_sort_block_merge_config_selectorIllEEZZNS1_27merge_sort_block_merge_implIS3_PlN6thrust23THRUST_200600_302600_NS10device_ptrIlEEjNS1_19radix_merge_compareILb0ELb1ElNS0_19identity_decomposerEEEEE10hipError_tT0_T1_T2_jT3_P12ihipStream_tbPNSt15iterator_traitsISG_E10value_typeEPNSM_ISH_E10value_typeEPSI_NS1_7vsmem_tEENKUlT_SG_SH_SI_E_clIS7_S7_SB_S7_EESF_SV_SG_SH_SI_EUlSV_E0_NS1_11comp_targetILNS1_3genE5ELNS1_11target_archE942ELNS1_3gpuE9ELNS1_3repE0EEENS1_38merge_mergepath_config_static_selectorELNS0_4arch9wavefront6targetE1EEEvSH_,"axG",@progbits,_ZN7rocprim17ROCPRIM_400000_NS6detail17trampoline_kernelINS0_14default_configENS1_38merge_sort_block_merge_config_selectorIllEEZZNS1_27merge_sort_block_merge_implIS3_PlN6thrust23THRUST_200600_302600_NS10device_ptrIlEEjNS1_19radix_merge_compareILb0ELb1ElNS0_19identity_decomposerEEEEE10hipError_tT0_T1_T2_jT3_P12ihipStream_tbPNSt15iterator_traitsISG_E10value_typeEPNSM_ISH_E10value_typeEPSI_NS1_7vsmem_tEENKUlT_SG_SH_SI_E_clIS7_S7_SB_S7_EESF_SV_SG_SH_SI_EUlSV_E0_NS1_11comp_targetILNS1_3genE5ELNS1_11target_archE942ELNS1_3gpuE9ELNS1_3repE0EEENS1_38merge_mergepath_config_static_selectorELNS0_4arch9wavefront6targetE1EEEvSH_,comdat
	.protected	_ZN7rocprim17ROCPRIM_400000_NS6detail17trampoline_kernelINS0_14default_configENS1_38merge_sort_block_merge_config_selectorIllEEZZNS1_27merge_sort_block_merge_implIS3_PlN6thrust23THRUST_200600_302600_NS10device_ptrIlEEjNS1_19radix_merge_compareILb0ELb1ElNS0_19identity_decomposerEEEEE10hipError_tT0_T1_T2_jT3_P12ihipStream_tbPNSt15iterator_traitsISG_E10value_typeEPNSM_ISH_E10value_typeEPSI_NS1_7vsmem_tEENKUlT_SG_SH_SI_E_clIS7_S7_SB_S7_EESF_SV_SG_SH_SI_EUlSV_E0_NS1_11comp_targetILNS1_3genE5ELNS1_11target_archE942ELNS1_3gpuE9ELNS1_3repE0EEENS1_38merge_mergepath_config_static_selectorELNS0_4arch9wavefront6targetE1EEEvSH_ ; -- Begin function _ZN7rocprim17ROCPRIM_400000_NS6detail17trampoline_kernelINS0_14default_configENS1_38merge_sort_block_merge_config_selectorIllEEZZNS1_27merge_sort_block_merge_implIS3_PlN6thrust23THRUST_200600_302600_NS10device_ptrIlEEjNS1_19radix_merge_compareILb0ELb1ElNS0_19identity_decomposerEEEEE10hipError_tT0_T1_T2_jT3_P12ihipStream_tbPNSt15iterator_traitsISG_E10value_typeEPNSM_ISH_E10value_typeEPSI_NS1_7vsmem_tEENKUlT_SG_SH_SI_E_clIS7_S7_SB_S7_EESF_SV_SG_SH_SI_EUlSV_E0_NS1_11comp_targetILNS1_3genE5ELNS1_11target_archE942ELNS1_3gpuE9ELNS1_3repE0EEENS1_38merge_mergepath_config_static_selectorELNS0_4arch9wavefront6targetE1EEEvSH_
	.globl	_ZN7rocprim17ROCPRIM_400000_NS6detail17trampoline_kernelINS0_14default_configENS1_38merge_sort_block_merge_config_selectorIllEEZZNS1_27merge_sort_block_merge_implIS3_PlN6thrust23THRUST_200600_302600_NS10device_ptrIlEEjNS1_19radix_merge_compareILb0ELb1ElNS0_19identity_decomposerEEEEE10hipError_tT0_T1_T2_jT3_P12ihipStream_tbPNSt15iterator_traitsISG_E10value_typeEPNSM_ISH_E10value_typeEPSI_NS1_7vsmem_tEENKUlT_SG_SH_SI_E_clIS7_S7_SB_S7_EESF_SV_SG_SH_SI_EUlSV_E0_NS1_11comp_targetILNS1_3genE5ELNS1_11target_archE942ELNS1_3gpuE9ELNS1_3repE0EEENS1_38merge_mergepath_config_static_selectorELNS0_4arch9wavefront6targetE1EEEvSH_
	.p2align	8
	.type	_ZN7rocprim17ROCPRIM_400000_NS6detail17trampoline_kernelINS0_14default_configENS1_38merge_sort_block_merge_config_selectorIllEEZZNS1_27merge_sort_block_merge_implIS3_PlN6thrust23THRUST_200600_302600_NS10device_ptrIlEEjNS1_19radix_merge_compareILb0ELb1ElNS0_19identity_decomposerEEEEE10hipError_tT0_T1_T2_jT3_P12ihipStream_tbPNSt15iterator_traitsISG_E10value_typeEPNSM_ISH_E10value_typeEPSI_NS1_7vsmem_tEENKUlT_SG_SH_SI_E_clIS7_S7_SB_S7_EESF_SV_SG_SH_SI_EUlSV_E0_NS1_11comp_targetILNS1_3genE5ELNS1_11target_archE942ELNS1_3gpuE9ELNS1_3repE0EEENS1_38merge_mergepath_config_static_selectorELNS0_4arch9wavefront6targetE1EEEvSH_,@function
_ZN7rocprim17ROCPRIM_400000_NS6detail17trampoline_kernelINS0_14default_configENS1_38merge_sort_block_merge_config_selectorIllEEZZNS1_27merge_sort_block_merge_implIS3_PlN6thrust23THRUST_200600_302600_NS10device_ptrIlEEjNS1_19radix_merge_compareILb0ELb1ElNS0_19identity_decomposerEEEEE10hipError_tT0_T1_T2_jT3_P12ihipStream_tbPNSt15iterator_traitsISG_E10value_typeEPNSM_ISH_E10value_typeEPSI_NS1_7vsmem_tEENKUlT_SG_SH_SI_E_clIS7_S7_SB_S7_EESF_SV_SG_SH_SI_EUlSV_E0_NS1_11comp_targetILNS1_3genE5ELNS1_11target_archE942ELNS1_3gpuE9ELNS1_3repE0EEENS1_38merge_mergepath_config_static_selectorELNS0_4arch9wavefront6targetE1EEEvSH_: ; @_ZN7rocprim17ROCPRIM_400000_NS6detail17trampoline_kernelINS0_14default_configENS1_38merge_sort_block_merge_config_selectorIllEEZZNS1_27merge_sort_block_merge_implIS3_PlN6thrust23THRUST_200600_302600_NS10device_ptrIlEEjNS1_19radix_merge_compareILb0ELb1ElNS0_19identity_decomposerEEEEE10hipError_tT0_T1_T2_jT3_P12ihipStream_tbPNSt15iterator_traitsISG_E10value_typeEPNSM_ISH_E10value_typeEPSI_NS1_7vsmem_tEENKUlT_SG_SH_SI_E_clIS7_S7_SB_S7_EESF_SV_SG_SH_SI_EUlSV_E0_NS1_11comp_targetILNS1_3genE5ELNS1_11target_archE942ELNS1_3gpuE9ELNS1_3repE0EEENS1_38merge_mergepath_config_static_selectorELNS0_4arch9wavefront6targetE1EEEvSH_
; %bb.0:
	.section	.rodata,"a",@progbits
	.p2align	6, 0x0
	.amdhsa_kernel _ZN7rocprim17ROCPRIM_400000_NS6detail17trampoline_kernelINS0_14default_configENS1_38merge_sort_block_merge_config_selectorIllEEZZNS1_27merge_sort_block_merge_implIS3_PlN6thrust23THRUST_200600_302600_NS10device_ptrIlEEjNS1_19radix_merge_compareILb0ELb1ElNS0_19identity_decomposerEEEEE10hipError_tT0_T1_T2_jT3_P12ihipStream_tbPNSt15iterator_traitsISG_E10value_typeEPNSM_ISH_E10value_typeEPSI_NS1_7vsmem_tEENKUlT_SG_SH_SI_E_clIS7_S7_SB_S7_EESF_SV_SG_SH_SI_EUlSV_E0_NS1_11comp_targetILNS1_3genE5ELNS1_11target_archE942ELNS1_3gpuE9ELNS1_3repE0EEENS1_38merge_mergepath_config_static_selectorELNS0_4arch9wavefront6targetE1EEEvSH_
		.amdhsa_group_segment_fixed_size 0
		.amdhsa_private_segment_fixed_size 0
		.amdhsa_kernarg_size 72
		.amdhsa_user_sgpr_count 6
		.amdhsa_user_sgpr_private_segment_buffer 1
		.amdhsa_user_sgpr_dispatch_ptr 0
		.amdhsa_user_sgpr_queue_ptr 0
		.amdhsa_user_sgpr_kernarg_segment_ptr 1
		.amdhsa_user_sgpr_dispatch_id 0
		.amdhsa_user_sgpr_flat_scratch_init 0
		.amdhsa_user_sgpr_kernarg_preload_length 0
		.amdhsa_user_sgpr_kernarg_preload_offset 0
		.amdhsa_user_sgpr_private_segment_size 0
		.amdhsa_uses_dynamic_stack 0
		.amdhsa_system_sgpr_private_segment_wavefront_offset 0
		.amdhsa_system_sgpr_workgroup_id_x 1
		.amdhsa_system_sgpr_workgroup_id_y 0
		.amdhsa_system_sgpr_workgroup_id_z 0
		.amdhsa_system_sgpr_workgroup_info 0
		.amdhsa_system_vgpr_workitem_id 0
		.amdhsa_next_free_vgpr 1
		.amdhsa_next_free_sgpr 0
		.amdhsa_accum_offset 4
		.amdhsa_reserve_vcc 0
		.amdhsa_reserve_flat_scratch 0
		.amdhsa_float_round_mode_32 0
		.amdhsa_float_round_mode_16_64 0
		.amdhsa_float_denorm_mode_32 3
		.amdhsa_float_denorm_mode_16_64 3
		.amdhsa_dx10_clamp 1
		.amdhsa_ieee_mode 1
		.amdhsa_fp16_overflow 0
		.amdhsa_tg_split 0
		.amdhsa_exception_fp_ieee_invalid_op 0
		.amdhsa_exception_fp_denorm_src 0
		.amdhsa_exception_fp_ieee_div_zero 0
		.amdhsa_exception_fp_ieee_overflow 0
		.amdhsa_exception_fp_ieee_underflow 0
		.amdhsa_exception_fp_ieee_inexact 0
		.amdhsa_exception_int_div_zero 0
	.end_amdhsa_kernel
	.section	.text._ZN7rocprim17ROCPRIM_400000_NS6detail17trampoline_kernelINS0_14default_configENS1_38merge_sort_block_merge_config_selectorIllEEZZNS1_27merge_sort_block_merge_implIS3_PlN6thrust23THRUST_200600_302600_NS10device_ptrIlEEjNS1_19radix_merge_compareILb0ELb1ElNS0_19identity_decomposerEEEEE10hipError_tT0_T1_T2_jT3_P12ihipStream_tbPNSt15iterator_traitsISG_E10value_typeEPNSM_ISH_E10value_typeEPSI_NS1_7vsmem_tEENKUlT_SG_SH_SI_E_clIS7_S7_SB_S7_EESF_SV_SG_SH_SI_EUlSV_E0_NS1_11comp_targetILNS1_3genE5ELNS1_11target_archE942ELNS1_3gpuE9ELNS1_3repE0EEENS1_38merge_mergepath_config_static_selectorELNS0_4arch9wavefront6targetE1EEEvSH_,"axG",@progbits,_ZN7rocprim17ROCPRIM_400000_NS6detail17trampoline_kernelINS0_14default_configENS1_38merge_sort_block_merge_config_selectorIllEEZZNS1_27merge_sort_block_merge_implIS3_PlN6thrust23THRUST_200600_302600_NS10device_ptrIlEEjNS1_19radix_merge_compareILb0ELb1ElNS0_19identity_decomposerEEEEE10hipError_tT0_T1_T2_jT3_P12ihipStream_tbPNSt15iterator_traitsISG_E10value_typeEPNSM_ISH_E10value_typeEPSI_NS1_7vsmem_tEENKUlT_SG_SH_SI_E_clIS7_S7_SB_S7_EESF_SV_SG_SH_SI_EUlSV_E0_NS1_11comp_targetILNS1_3genE5ELNS1_11target_archE942ELNS1_3gpuE9ELNS1_3repE0EEENS1_38merge_mergepath_config_static_selectorELNS0_4arch9wavefront6targetE1EEEvSH_,comdat
.Lfunc_end1100:
	.size	_ZN7rocprim17ROCPRIM_400000_NS6detail17trampoline_kernelINS0_14default_configENS1_38merge_sort_block_merge_config_selectorIllEEZZNS1_27merge_sort_block_merge_implIS3_PlN6thrust23THRUST_200600_302600_NS10device_ptrIlEEjNS1_19radix_merge_compareILb0ELb1ElNS0_19identity_decomposerEEEEE10hipError_tT0_T1_T2_jT3_P12ihipStream_tbPNSt15iterator_traitsISG_E10value_typeEPNSM_ISH_E10value_typeEPSI_NS1_7vsmem_tEENKUlT_SG_SH_SI_E_clIS7_S7_SB_S7_EESF_SV_SG_SH_SI_EUlSV_E0_NS1_11comp_targetILNS1_3genE5ELNS1_11target_archE942ELNS1_3gpuE9ELNS1_3repE0EEENS1_38merge_mergepath_config_static_selectorELNS0_4arch9wavefront6targetE1EEEvSH_, .Lfunc_end1100-_ZN7rocprim17ROCPRIM_400000_NS6detail17trampoline_kernelINS0_14default_configENS1_38merge_sort_block_merge_config_selectorIllEEZZNS1_27merge_sort_block_merge_implIS3_PlN6thrust23THRUST_200600_302600_NS10device_ptrIlEEjNS1_19radix_merge_compareILb0ELb1ElNS0_19identity_decomposerEEEEE10hipError_tT0_T1_T2_jT3_P12ihipStream_tbPNSt15iterator_traitsISG_E10value_typeEPNSM_ISH_E10value_typeEPSI_NS1_7vsmem_tEENKUlT_SG_SH_SI_E_clIS7_S7_SB_S7_EESF_SV_SG_SH_SI_EUlSV_E0_NS1_11comp_targetILNS1_3genE5ELNS1_11target_archE942ELNS1_3gpuE9ELNS1_3repE0EEENS1_38merge_mergepath_config_static_selectorELNS0_4arch9wavefront6targetE1EEEvSH_
                                        ; -- End function
	.section	.AMDGPU.csdata,"",@progbits
; Kernel info:
; codeLenInByte = 0
; NumSgprs: 4
; NumVgprs: 0
; NumAgprs: 0
; TotalNumVgprs: 0
; ScratchSize: 0
; MemoryBound: 0
; FloatMode: 240
; IeeeMode: 1
; LDSByteSize: 0 bytes/workgroup (compile time only)
; SGPRBlocks: 0
; VGPRBlocks: 0
; NumSGPRsForWavesPerEU: 4
; NumVGPRsForWavesPerEU: 1
; AccumOffset: 4
; Occupancy: 8
; WaveLimiterHint : 0
; COMPUTE_PGM_RSRC2:SCRATCH_EN: 0
; COMPUTE_PGM_RSRC2:USER_SGPR: 6
; COMPUTE_PGM_RSRC2:TRAP_HANDLER: 0
; COMPUTE_PGM_RSRC2:TGID_X_EN: 1
; COMPUTE_PGM_RSRC2:TGID_Y_EN: 0
; COMPUTE_PGM_RSRC2:TGID_Z_EN: 0
; COMPUTE_PGM_RSRC2:TIDIG_COMP_CNT: 0
; COMPUTE_PGM_RSRC3_GFX90A:ACCUM_OFFSET: 0
; COMPUTE_PGM_RSRC3_GFX90A:TG_SPLIT: 0
	.section	.text._ZN7rocprim17ROCPRIM_400000_NS6detail17trampoline_kernelINS0_14default_configENS1_38merge_sort_block_merge_config_selectorIllEEZZNS1_27merge_sort_block_merge_implIS3_PlN6thrust23THRUST_200600_302600_NS10device_ptrIlEEjNS1_19radix_merge_compareILb0ELb1ElNS0_19identity_decomposerEEEEE10hipError_tT0_T1_T2_jT3_P12ihipStream_tbPNSt15iterator_traitsISG_E10value_typeEPNSM_ISH_E10value_typeEPSI_NS1_7vsmem_tEENKUlT_SG_SH_SI_E_clIS7_S7_SB_S7_EESF_SV_SG_SH_SI_EUlSV_E0_NS1_11comp_targetILNS1_3genE4ELNS1_11target_archE910ELNS1_3gpuE8ELNS1_3repE0EEENS1_38merge_mergepath_config_static_selectorELNS0_4arch9wavefront6targetE1EEEvSH_,"axG",@progbits,_ZN7rocprim17ROCPRIM_400000_NS6detail17trampoline_kernelINS0_14default_configENS1_38merge_sort_block_merge_config_selectorIllEEZZNS1_27merge_sort_block_merge_implIS3_PlN6thrust23THRUST_200600_302600_NS10device_ptrIlEEjNS1_19radix_merge_compareILb0ELb1ElNS0_19identity_decomposerEEEEE10hipError_tT0_T1_T2_jT3_P12ihipStream_tbPNSt15iterator_traitsISG_E10value_typeEPNSM_ISH_E10value_typeEPSI_NS1_7vsmem_tEENKUlT_SG_SH_SI_E_clIS7_S7_SB_S7_EESF_SV_SG_SH_SI_EUlSV_E0_NS1_11comp_targetILNS1_3genE4ELNS1_11target_archE910ELNS1_3gpuE8ELNS1_3repE0EEENS1_38merge_mergepath_config_static_selectorELNS0_4arch9wavefront6targetE1EEEvSH_,comdat
	.protected	_ZN7rocprim17ROCPRIM_400000_NS6detail17trampoline_kernelINS0_14default_configENS1_38merge_sort_block_merge_config_selectorIllEEZZNS1_27merge_sort_block_merge_implIS3_PlN6thrust23THRUST_200600_302600_NS10device_ptrIlEEjNS1_19radix_merge_compareILb0ELb1ElNS0_19identity_decomposerEEEEE10hipError_tT0_T1_T2_jT3_P12ihipStream_tbPNSt15iterator_traitsISG_E10value_typeEPNSM_ISH_E10value_typeEPSI_NS1_7vsmem_tEENKUlT_SG_SH_SI_E_clIS7_S7_SB_S7_EESF_SV_SG_SH_SI_EUlSV_E0_NS1_11comp_targetILNS1_3genE4ELNS1_11target_archE910ELNS1_3gpuE8ELNS1_3repE0EEENS1_38merge_mergepath_config_static_selectorELNS0_4arch9wavefront6targetE1EEEvSH_ ; -- Begin function _ZN7rocprim17ROCPRIM_400000_NS6detail17trampoline_kernelINS0_14default_configENS1_38merge_sort_block_merge_config_selectorIllEEZZNS1_27merge_sort_block_merge_implIS3_PlN6thrust23THRUST_200600_302600_NS10device_ptrIlEEjNS1_19radix_merge_compareILb0ELb1ElNS0_19identity_decomposerEEEEE10hipError_tT0_T1_T2_jT3_P12ihipStream_tbPNSt15iterator_traitsISG_E10value_typeEPNSM_ISH_E10value_typeEPSI_NS1_7vsmem_tEENKUlT_SG_SH_SI_E_clIS7_S7_SB_S7_EESF_SV_SG_SH_SI_EUlSV_E0_NS1_11comp_targetILNS1_3genE4ELNS1_11target_archE910ELNS1_3gpuE8ELNS1_3repE0EEENS1_38merge_mergepath_config_static_selectorELNS0_4arch9wavefront6targetE1EEEvSH_
	.globl	_ZN7rocprim17ROCPRIM_400000_NS6detail17trampoline_kernelINS0_14default_configENS1_38merge_sort_block_merge_config_selectorIllEEZZNS1_27merge_sort_block_merge_implIS3_PlN6thrust23THRUST_200600_302600_NS10device_ptrIlEEjNS1_19radix_merge_compareILb0ELb1ElNS0_19identity_decomposerEEEEE10hipError_tT0_T1_T2_jT3_P12ihipStream_tbPNSt15iterator_traitsISG_E10value_typeEPNSM_ISH_E10value_typeEPSI_NS1_7vsmem_tEENKUlT_SG_SH_SI_E_clIS7_S7_SB_S7_EESF_SV_SG_SH_SI_EUlSV_E0_NS1_11comp_targetILNS1_3genE4ELNS1_11target_archE910ELNS1_3gpuE8ELNS1_3repE0EEENS1_38merge_mergepath_config_static_selectorELNS0_4arch9wavefront6targetE1EEEvSH_
	.p2align	8
	.type	_ZN7rocprim17ROCPRIM_400000_NS6detail17trampoline_kernelINS0_14default_configENS1_38merge_sort_block_merge_config_selectorIllEEZZNS1_27merge_sort_block_merge_implIS3_PlN6thrust23THRUST_200600_302600_NS10device_ptrIlEEjNS1_19radix_merge_compareILb0ELb1ElNS0_19identity_decomposerEEEEE10hipError_tT0_T1_T2_jT3_P12ihipStream_tbPNSt15iterator_traitsISG_E10value_typeEPNSM_ISH_E10value_typeEPSI_NS1_7vsmem_tEENKUlT_SG_SH_SI_E_clIS7_S7_SB_S7_EESF_SV_SG_SH_SI_EUlSV_E0_NS1_11comp_targetILNS1_3genE4ELNS1_11target_archE910ELNS1_3gpuE8ELNS1_3repE0EEENS1_38merge_mergepath_config_static_selectorELNS0_4arch9wavefront6targetE1EEEvSH_,@function
_ZN7rocprim17ROCPRIM_400000_NS6detail17trampoline_kernelINS0_14default_configENS1_38merge_sort_block_merge_config_selectorIllEEZZNS1_27merge_sort_block_merge_implIS3_PlN6thrust23THRUST_200600_302600_NS10device_ptrIlEEjNS1_19radix_merge_compareILb0ELb1ElNS0_19identity_decomposerEEEEE10hipError_tT0_T1_T2_jT3_P12ihipStream_tbPNSt15iterator_traitsISG_E10value_typeEPNSM_ISH_E10value_typeEPSI_NS1_7vsmem_tEENKUlT_SG_SH_SI_E_clIS7_S7_SB_S7_EESF_SV_SG_SH_SI_EUlSV_E0_NS1_11comp_targetILNS1_3genE4ELNS1_11target_archE910ELNS1_3gpuE8ELNS1_3repE0EEENS1_38merge_mergepath_config_static_selectorELNS0_4arch9wavefront6targetE1EEEvSH_: ; @_ZN7rocprim17ROCPRIM_400000_NS6detail17trampoline_kernelINS0_14default_configENS1_38merge_sort_block_merge_config_selectorIllEEZZNS1_27merge_sort_block_merge_implIS3_PlN6thrust23THRUST_200600_302600_NS10device_ptrIlEEjNS1_19radix_merge_compareILb0ELb1ElNS0_19identity_decomposerEEEEE10hipError_tT0_T1_T2_jT3_P12ihipStream_tbPNSt15iterator_traitsISG_E10value_typeEPNSM_ISH_E10value_typeEPSI_NS1_7vsmem_tEENKUlT_SG_SH_SI_E_clIS7_S7_SB_S7_EESF_SV_SG_SH_SI_EUlSV_E0_NS1_11comp_targetILNS1_3genE4ELNS1_11target_archE910ELNS1_3gpuE8ELNS1_3repE0EEENS1_38merge_mergepath_config_static_selectorELNS0_4arch9wavefront6targetE1EEEvSH_
; %bb.0:
	s_load_dwordx2 s[26:27], s[4:5], 0x48
	s_load_dword s0, s[4:5], 0x30
	s_add_u32 s22, s4, 0x48
	s_addc_u32 s23, s5, 0
	s_waitcnt lgkmcnt(0)
	s_mul_i32 s1, s27, s8
	s_add_i32 s1, s1, s7
	s_mul_i32 s1, s1, s26
	s_add_i32 s24, s1, s6
	s_cmp_ge_u32 s24, s0
	s_cbranch_scc1 .LBB1101_39
; %bb.1:
	s_load_dwordx8 s[8:15], s[4:5], 0x10
	s_load_dwordx2 s[30:31], s[4:5], 0x8
	s_load_dwordx2 s[0:1], s[4:5], 0x40
	s_mov_b32 s25, 0
	v_mov_b32_e32 v3, 0
	s_waitcnt lgkmcnt(0)
	s_lshr_b32 s33, s14, 10
	s_cmp_lg_u32 s24, s33
	s_cselect_b64 s[18:19], -1, 0
	s_lshl_b64 s[2:3], s[24:25], 2
	s_add_u32 s0, s0, s2
	s_addc_u32 s1, s1, s3
	s_load_dwordx2 s[2:3], s[0:1], 0x0
	s_lshr_b32 s0, s15, 9
	s_and_b32 s0, s0, 0x7ffffe
	s_sub_i32 s1, 0, s0
	s_and_b32 s0, s24, s1
	s_lshl_b32 s7, s0, 10
	s_lshl_b32 s16, s24, 10
	;; [unrolled: 1-line block ×3, first 2 shown]
	s_sub_i32 s17, s16, s7
	s_add_i32 s20, s0, s15
	s_add_i32 s17, s20, s17
	s_waitcnt lgkmcnt(0)
	s_sub_i32 s0, s17, s2
	s_sub_i32 s17, s17, s3
	;; [unrolled: 1-line block ×3, first 2 shown]
	s_min_u32 s0, s14, s0
	s_addk_i32 s17, 0x400
	s_or_b32 s1, s24, s1
	s_min_u32 s20, s14, s7
	s_add_i32 s7, s7, s15
	s_cmp_eq_u32 s1, -1
	s_cselect_b32 s3, s20, s3
	s_cselect_b32 s1, s7, s17
	s_sub_i32 s15, s3, s2
	s_mov_b32 s3, s25
	s_min_u32 s17, s1, s14
	s_lshl_b64 s[2:3], s[2:3], 3
	s_add_u32 s28, s30, s2
	s_mov_b32 s1, s25
	s_addc_u32 s29, s31, s3
	s_lshl_b64 s[20:21], s[0:1], 3
	s_add_u32 s25, s30, s20
	s_addc_u32 s27, s31, s21
	s_cmp_lt_u32 s6, s26
	s_cselect_b32 s1, 12, 18
	global_load_dword v1, v3, s[22:23] offset:14
	s_add_u32 s6, s22, s1
	s_addc_u32 s7, s23, 0
	global_load_ushort v2, v3, s[6:7]
	s_cmp_eq_u32 s24, s33
	s_waitcnt vmcnt(1)
	v_lshrrev_b32_e32 v4, 16, v1
	v_and_b32_e32 v1, 0xffff, v1
	v_mul_lo_u32 v1, v1, v4
	s_waitcnt vmcnt(0)
	v_mul_lo_u32 v9, v1, v2
	v_lshlrev_b32_e32 v1, 3, v0
	v_add_u32_e32 v8, v9, v0
	s_cbranch_scc1 .LBB1101_3
; %bb.2:
	v_mov_b32_e32 v2, s29
	v_add_co_u32_e32 v4, vcc, s28, v1
	v_addc_co_u32_e32 v5, vcc, 0, v2, vcc
	v_subrev_u32_e32 v2, s15, v0
	v_lshlrev_b64 v[2:3], 3, v[2:3]
	v_mov_b32_e32 v6, s27
	v_add_co_u32_e32 v2, vcc, s25, v2
	v_addc_co_u32_e32 v3, vcc, v6, v3, vcc
	v_cmp_gt_u32_e32 vcc, s15, v0
	v_cndmask_b32_e32 v3, v3, v5, vcc
	v_cndmask_b32_e32 v2, v2, v4, vcc
	global_load_dwordx2 v[6:7], v[2:3], off
	v_add_u32_e32 v10, v9, v0
	s_mov_b64 s[6:7], -1
	s_sub_i32 s17, s17, s0
	s_cbranch_execz .LBB1101_4
	s_branch .LBB1101_7
.LBB1101_3:
	s_mov_b64 s[6:7], 0
                                        ; implicit-def: $vgpr6_vgpr7
                                        ; implicit-def: $vgpr10
	s_sub_i32 s17, s17, s0
.LBB1101_4:
	s_add_i32 s6, s17, s15
	v_cmp_gt_u32_e32 vcc, s6, v0
                                        ; implicit-def: $vgpr6_vgpr7
	s_and_saveexec_b64 s[0:1], vcc
	s_cbranch_execz .LBB1101_6
; %bb.5:
	v_mov_b32_e32 v2, s29
	v_add_co_u32_e32 v4, vcc, s28, v1
	v_mov_b32_e32 v3, 0
	v_addc_co_u32_e32 v5, vcc, 0, v2, vcc
	v_subrev_u32_e32 v2, s15, v0
	v_lshlrev_b64 v[2:3], 3, v[2:3]
	s_waitcnt vmcnt(0)
	v_mov_b32_e32 v6, s27
	v_add_co_u32_e32 v2, vcc, s25, v2
	v_addc_co_u32_e32 v3, vcc, v6, v3, vcc
	v_cmp_gt_u32_e32 vcc, s15, v0
	v_cndmask_b32_e32 v3, v3, v5, vcc
	v_cndmask_b32_e32 v2, v2, v4, vcc
	global_load_dwordx2 v[6:7], v[2:3], off
.LBB1101_6:
	s_or_b64 exec, exec, s[0:1]
	v_add_u32_e32 v10, v9, v0
	v_cmp_gt_u32_e64 s[6:7], s6, v10
.LBB1101_7:
	s_and_saveexec_b64 s[22:23], s[6:7]
                                        ; implicit-def: $vgpr2_vgpr3_vgpr4_vgpr5
	s_cbranch_execz .LBB1101_9
; %bb.8:
	v_mov_b32_e32 v11, 0
	v_lshlrev_b64 v[2:3], 3, v[10:11]
	v_mov_b32_e32 v4, s29
	v_add_co_u32_e32 v5, vcc, s28, v2
	v_addc_co_u32_e32 v4, vcc, v4, v3, vcc
	v_cmp_gt_u32_e32 vcc, s15, v10
	v_subrev_u32_e32 v10, s15, v10
	v_lshlrev_b64 v[2:3], 3, v[10:11]
	v_mov_b32_e32 v10, s27
	v_add_co_u32_e64 v2, s[0:1], s25, v2
	v_addc_co_u32_e64 v3, s[0:1], v10, v3, s[0:1]
	v_cndmask_b32_e32 v3, v3, v4, vcc
	v_cndmask_b32_e32 v2, v2, v5, vcc
	global_load_dwordx2 v[4:5], v[2:3], off
.LBB1101_9:
	s_or_b64 exec, exec, s[22:23]
	s_add_u32 s6, s10, s2
	s_addc_u32 s7, s11, s3
	s_add_u32 s10, s10, s20
	s_addc_u32 s11, s11, s21
	s_andn2_b64 vcc, exec, s[18:19]
	s_waitcnt vmcnt(0)
	ds_write2st64_b64 v1, v[6:7], v[4:5] offset1:8
	s_cbranch_vccnz .LBB1101_12
; %bb.10:
	v_subrev_u32_e32 v2, s15, v0
	v_mov_b32_e32 v3, 0
	v_lshlrev_b64 v[2:3], 3, v[2:3]
	v_mov_b32_e32 v10, s11
	v_add_co_u32_e32 v2, vcc, s10, v2
	v_addc_co_u32_e32 v3, vcc, v10, v3, vcc
	v_mov_b32_e32 v10, s7
	v_add_co_u32_e32 v11, vcc, s6, v1
	v_addc_co_u32_e32 v10, vcc, 0, v10, vcc
	v_cmp_gt_u32_e32 vcc, s15, v0
	v_cndmask_b32_e32 v3, v3, v10, vcc
	v_cndmask_b32_e32 v2, v2, v11, vcc
	global_load_dwordx2 v[2:3], v[2:3], off
	v_add_u32_e32 v9, v9, v0
	s_add_i32 s20, s17, s15
	s_mov_b64 s[0:1], -1
	s_cbranch_execz .LBB1101_13
; %bb.11:
	v_mov_b32_e32 v8, v9
	s_load_dwordx2 s[4:5], s[4:5], 0x38
	v_mov_b32_e32 v13, s20
                                        ; implicit-def: $vgpr10_vgpr11
	s_and_saveexec_b64 s[2:3], s[0:1]
	s_cbranch_execz .LBB1101_17
	s_branch .LBB1101_16
.LBB1101_12:
	s_mov_b64 s[0:1], 0
                                        ; implicit-def: $vgpr2_vgpr3
                                        ; implicit-def: $vgpr9
                                        ; implicit-def: $sgpr20
.LBB1101_13:
	s_add_i32 s20, s17, s15
	v_cmp_gt_u32_e32 vcc, s20, v0
                                        ; implicit-def: $vgpr2_vgpr3
	s_and_saveexec_b64 s[0:1], vcc
	s_cbranch_execz .LBB1101_15
; %bb.14:
	s_waitcnt vmcnt(0)
	v_mov_b32_e32 v2, s7
	v_add_co_u32_e32 v9, vcc, s6, v1
	v_mov_b32_e32 v3, 0
	v_addc_co_u32_e32 v10, vcc, 0, v2, vcc
	v_subrev_u32_e32 v2, s15, v0
	v_lshlrev_b64 v[2:3], 3, v[2:3]
	v_mov_b32_e32 v11, s11
	v_add_co_u32_e32 v2, vcc, s10, v2
	v_addc_co_u32_e32 v3, vcc, v11, v3, vcc
	v_cmp_gt_u32_e32 vcc, s15, v0
	v_cndmask_b32_e32 v3, v3, v10, vcc
	v_cndmask_b32_e32 v2, v2, v9, vcc
	global_load_dwordx2 v[2:3], v[2:3], off
.LBB1101_15:
	s_or_b64 exec, exec, s[0:1]
	v_cmp_gt_u32_e64 s[0:1], s20, v8
	s_load_dwordx2 s[4:5], s[4:5], 0x38
	v_mov_b32_e32 v13, s20
                                        ; implicit-def: $vgpr10_vgpr11
	s_and_saveexec_b64 s[2:3], s[0:1]
	s_cbranch_execz .LBB1101_17
.LBB1101_16:
	v_subrev_u32_e32 v10, s15, v8
	v_mov_b32_e32 v11, 0
	v_lshlrev_b64 v[12:13], 3, v[10:11]
	v_mov_b32_e32 v9, s11
	v_add_co_u32_e32 v12, vcc, s10, v12
	v_addc_co_u32_e32 v13, vcc, v9, v13, vcc
	v_mov_b32_e32 v9, v11
	v_lshlrev_b64 v[10:11], 3, v[8:9]
	v_mov_b32_e32 v9, s7
	v_add_co_u32_e32 v10, vcc, s6, v10
	v_addc_co_u32_e32 v9, vcc, v9, v11, vcc
	v_cmp_gt_u32_e32 vcc, s15, v8
	v_cndmask_b32_e32 v9, v13, v9, vcc
	v_cndmask_b32_e32 v8, v12, v10, vcc
	global_load_dwordx2 v[10:11], v[8:9], off
	v_mov_b32_e32 v13, s20
.LBB1101_17:
	s_or_b64 exec, exec, s[2:3]
	v_lshlrev_b32_e32 v12, 1, v0
	v_min_u32_e32 v8, v13, v12
	v_sub_u32_e64 v14, v8, s17 clamp
	v_min_u32_e32 v9, s15, v8
	v_cmp_lt_u32_e32 vcc, v14, v9
	s_waitcnt lgkmcnt(0)
	s_barrier
	s_and_saveexec_b64 s[0:1], vcc
	s_cbranch_execz .LBB1101_21
; %bb.18:
	v_lshlrev_b32_e32 v15, 3, v8
	v_lshl_add_u32 v15, s15, 3, v15
	s_mov_b64 s[2:3], 0
.LBB1101_19:                            ; =>This Inner Loop Header: Depth=1
	v_add_u32_e32 v16, v9, v14
	v_lshrrev_b32_e32 v20, 1, v16
	v_not_b32_e32 v18, v20
	v_lshlrev_b32_e32 v16, 3, v20
	v_lshl_add_u32 v18, v18, 3, v15
	ds_read_b64 v[16:17], v16
	ds_read_b64 v[18:19], v18
	v_add_u32_e32 v21, 1, v20
	s_waitcnt lgkmcnt(1)
	v_and_b32_e32 v17, s5, v17
	v_and_b32_e32 v16, s4, v16
	s_waitcnt lgkmcnt(0)
	v_and_b32_e32 v19, s5, v19
	v_and_b32_e32 v18, s4, v18
	v_cmp_gt_i64_e32 vcc, v[16:17], v[18:19]
	v_cndmask_b32_e32 v9, v9, v20, vcc
	v_cndmask_b32_e32 v14, v21, v14, vcc
	v_cmp_ge_u32_e32 vcc, v14, v9
	s_or_b64 s[2:3], vcc, s[2:3]
	s_andn2_b64 exec, exec, s[2:3]
	s_cbranch_execnz .LBB1101_19
; %bb.20:
	s_or_b64 exec, exec, s[2:3]
.LBB1101_21:
	s_or_b64 exec, exec, s[0:1]
	v_sub_u32_e32 v8, v8, v14
	v_add_u32_e32 v15, s15, v8
	v_cmp_ge_u32_e32 vcc, s15, v14
	v_cmp_le_u32_e64 s[0:1], v15, v13
	s_or_b64 s[0:1], vcc, s[0:1]
                                        ; implicit-def: $vgpr8
                                        ; implicit-def: $vgpr16
	s_and_saveexec_b64 s[6:7], s[0:1]
	s_cbranch_execz .LBB1101_27
; %bb.22:
	v_cmp_gt_u32_e32 vcc, s15, v14
                                        ; implicit-def: $vgpr4_vgpr5
	s_and_saveexec_b64 s[0:1], vcc
	s_cbranch_execz .LBB1101_24
; %bb.23:
	v_lshlrev_b32_e32 v4, 3, v14
	ds_read_b64 v[4:5], v4
.LBB1101_24:
	s_or_b64 exec, exec, s[0:1]
	v_cmp_ge_u32_e64 s[0:1], v15, v13
	v_cmp_lt_u32_e64 s[2:3], v15, v13
                                        ; implicit-def: $vgpr8_vgpr9
	s_and_saveexec_b64 s[10:11], s[2:3]
	s_cbranch_execz .LBB1101_26
; %bb.25:
	v_lshlrev_b32_e32 v6, 3, v15
	ds_read_b64 v[8:9], v6
.LBB1101_26:
	s_or_b64 exec, exec, s[10:11]
	s_waitcnt lgkmcnt(0)
	v_and_b32_e32 v7, s5, v9
	v_and_b32_e32 v6, s4, v8
	;; [unrolled: 1-line block ×4, first 2 shown]
	v_cmp_le_i64_e64 s[2:3], v[16:17], v[6:7]
	s_and_b64 s[2:3], vcc, s[2:3]
	s_or_b64 vcc, s[0:1], s[2:3]
	v_mov_b32_e32 v6, s15
	v_cndmask_b32_e32 v16, v15, v14, vcc
	v_cndmask_b32_e32 v6, v13, v6, vcc
	v_add_u32_e32 v17, 1, v16
	v_add_u32_e32 v6, -1, v6
	v_min_u32_e32 v6, v17, v6
	v_lshlrev_b32_e32 v6, 3, v6
	ds_read_b64 v[18:19], v6
	v_cndmask_b32_e32 v7, v9, v5, vcc
	v_cndmask_b32_e32 v6, v8, v4, vcc
	;; [unrolled: 1-line block ×4, first 2 shown]
	s_waitcnt lgkmcnt(0)
	v_cndmask_b32_e32 v20, v19, v9, vcc
	v_cndmask_b32_e32 v21, v18, v8, vcc
	;; [unrolled: 1-line block ×4, first 2 shown]
	v_and_b32_e32 v5, s5, v20
	v_and_b32_e32 v4, s4, v21
	;; [unrolled: 1-line block ×4, first 2 shown]
	v_cmp_gt_u32_e64 s[0:1], s15, v14
	v_cmp_le_i64_e64 s[2:3], v[8:9], v[4:5]
	v_cmp_ge_u32_e32 vcc, v15, v13
	s_and_b64 s[0:1], s[0:1], s[2:3]
	s_or_b64 vcc, vcc, s[0:1]
	v_cndmask_b32_e32 v8, v15, v14, vcc
	v_cndmask_b32_e32 v5, v20, v19, vcc
	;; [unrolled: 1-line block ×3, first 2 shown]
.LBB1101_27:
	s_or_b64 exec, exec, s[6:7]
	s_barrier
	s_waitcnt vmcnt(0)
	ds_write2st64_b64 v1, v[2:3], v[10:11] offset1:8
	v_lshrrev_b32_e32 v10, 1, v0
	v_and_b32_e32 v10, 0xf8, v10
	v_lshlrev_b32_e32 v2, 3, v16
	v_lshlrev_b32_e32 v8, 3, v8
	v_lshl_add_u32 v11, v12, 3, v10
	s_waitcnt lgkmcnt(0)
	s_barrier
	ds_read_b64 v[2:3], v2
	ds_read_b64 v[8:9], v8
	s_waitcnt lgkmcnt(0)
	s_barrier
	s_barrier
	s_mov_b32 s17, 0
	ds_write2_b64 v11, v[6:7], v[4:5] offset1:1
	v_lshrrev_b32_e32 v4, 2, v0
	s_lshl_b64 s[2:3], s[16:17], 3
	v_and_b32_e32 v4, 0x78, v4
	v_or_b32_e32 v13, 0x200, v0
	s_add_u32 s0, s8, s2
	v_add_u32_e32 v10, v1, v4
	v_lshrrev_b32_e32 v4, 2, v13
	s_addc_u32 s1, s9, s3
	v_and_b32_e32 v4, 0xf8, v4
	v_add_u32_e32 v12, v1, v4
	v_mov_b32_e32 v5, s1
	v_add_co_u32_e32 v4, vcc, s0, v1
	v_addc_co_u32_e32 v5, vcc, 0, v5, vcc
	s_and_b64 vcc, exec, s[18:19]
	s_waitcnt lgkmcnt(0)
	s_cbranch_vccz .LBB1101_29
; %bb.28:
	s_barrier
	ds_read_b64 v[6:7], v10
	ds_read_b64 v[14:15], v12 offset:4096
	s_add_u32 s0, s12, s2
	s_addc_u32 s1, s13, s3
	s_mov_b64 s[4:5], -1
	s_waitcnt lgkmcnt(1)
	global_store_dwordx2 v[4:5], v[6:7], off
	v_add_co_u32_e32 v6, vcc, 0x1000, v4
	v_addc_co_u32_e32 v7, vcc, 0, v5, vcc
	s_waitcnt lgkmcnt(0)
	global_store_dwordx2 v[6:7], v[14:15], off
	s_barrier
	ds_write2_b64 v11, v[2:3], v[8:9] offset1:1
	s_waitcnt lgkmcnt(0)
	s_barrier
	ds_read_b64 v[14:15], v10
	ds_read_b64 v[6:7], v12 offset:4096
	s_waitcnt lgkmcnt(1)
	global_store_dwordx2 v1, v[14:15], s[0:1]
	s_cbranch_execz .LBB1101_30
	s_branch .LBB1101_37
.LBB1101_29:
	s_mov_b64 s[4:5], 0
                                        ; implicit-def: $vgpr6_vgpr7
.LBB1101_30:
	s_barrier
	s_waitcnt lgkmcnt(0)
	ds_read_b64 v[6:7], v12 offset:4096
	s_sub_i32 s6, s14, s16
	v_cmp_gt_u32_e64 s[0:1], s6, v0
	s_and_saveexec_b64 s[4:5], s[0:1]
	s_cbranch_execz .LBB1101_32
; %bb.31:
	ds_read_b64 v[14:15], v10
	s_waitcnt lgkmcnt(0)
	global_store_dwordx2 v[4:5], v[14:15], off
.LBB1101_32:
	s_or_b64 exec, exec, s[4:5]
	v_cmp_gt_u32_e64 s[4:5], s6, v13
	s_and_saveexec_b64 s[6:7], s[4:5]
	s_cbranch_execz .LBB1101_34
; %bb.33:
	v_add_co_u32_e32 v4, vcc, 0x1000, v4
	v_addc_co_u32_e32 v5, vcc, 0, v5, vcc
	s_waitcnt lgkmcnt(0)
	global_store_dwordx2 v[4:5], v[6:7], off
.LBB1101_34:
	s_or_b64 exec, exec, s[6:7]
	s_waitcnt lgkmcnt(0)
	s_barrier
	ds_write2_b64 v11, v[2:3], v[8:9] offset1:1
	s_waitcnt lgkmcnt(0)
	s_barrier
	ds_read_b64 v[6:7], v12 offset:4096
	s_and_saveexec_b64 s[6:7], s[0:1]
	s_cbranch_execz .LBB1101_36
; %bb.35:
	ds_read_b64 v[2:3], v10
	s_add_u32 s0, s12, s2
	s_addc_u32 s1, s13, s3
	s_waitcnt lgkmcnt(0)
	global_store_dwordx2 v1, v[2:3], s[0:1]
.LBB1101_36:
	s_or_b64 exec, exec, s[6:7]
.LBB1101_37:
	s_and_saveexec_b64 s[0:1], s[4:5]
	s_cbranch_execz .LBB1101_39
; %bb.38:
	s_add_u32 s0, s12, s2
	s_addc_u32 s1, s13, s3
	v_mov_b32_e32 v0, s1
	v_add_co_u32_e32 v1, vcc, s0, v1
	v_addc_co_u32_e32 v2, vcc, 0, v0, vcc
	v_add_co_u32_e32 v0, vcc, 0x1000, v1
	v_addc_co_u32_e32 v1, vcc, 0, v2, vcc
	s_waitcnt lgkmcnt(0)
	global_store_dwordx2 v[0:1], v[6:7], off
.LBB1101_39:
	s_endpgm
	.section	.rodata,"a",@progbits
	.p2align	6, 0x0
	.amdhsa_kernel _ZN7rocprim17ROCPRIM_400000_NS6detail17trampoline_kernelINS0_14default_configENS1_38merge_sort_block_merge_config_selectorIllEEZZNS1_27merge_sort_block_merge_implIS3_PlN6thrust23THRUST_200600_302600_NS10device_ptrIlEEjNS1_19radix_merge_compareILb0ELb1ElNS0_19identity_decomposerEEEEE10hipError_tT0_T1_T2_jT3_P12ihipStream_tbPNSt15iterator_traitsISG_E10value_typeEPNSM_ISH_E10value_typeEPSI_NS1_7vsmem_tEENKUlT_SG_SH_SI_E_clIS7_S7_SB_S7_EESF_SV_SG_SH_SI_EUlSV_E0_NS1_11comp_targetILNS1_3genE4ELNS1_11target_archE910ELNS1_3gpuE8ELNS1_3repE0EEENS1_38merge_mergepath_config_static_selectorELNS0_4arch9wavefront6targetE1EEEvSH_
		.amdhsa_group_segment_fixed_size 8448
		.amdhsa_private_segment_fixed_size 0
		.amdhsa_kernarg_size 328
		.amdhsa_user_sgpr_count 6
		.amdhsa_user_sgpr_private_segment_buffer 1
		.amdhsa_user_sgpr_dispatch_ptr 0
		.amdhsa_user_sgpr_queue_ptr 0
		.amdhsa_user_sgpr_kernarg_segment_ptr 1
		.amdhsa_user_sgpr_dispatch_id 0
		.amdhsa_user_sgpr_flat_scratch_init 0
		.amdhsa_user_sgpr_kernarg_preload_length 0
		.amdhsa_user_sgpr_kernarg_preload_offset 0
		.amdhsa_user_sgpr_private_segment_size 0
		.amdhsa_uses_dynamic_stack 0
		.amdhsa_system_sgpr_private_segment_wavefront_offset 0
		.amdhsa_system_sgpr_workgroup_id_x 1
		.amdhsa_system_sgpr_workgroup_id_y 1
		.amdhsa_system_sgpr_workgroup_id_z 1
		.amdhsa_system_sgpr_workgroup_info 0
		.amdhsa_system_vgpr_workitem_id 0
		.amdhsa_next_free_vgpr 22
		.amdhsa_next_free_sgpr 34
		.amdhsa_accum_offset 24
		.amdhsa_reserve_vcc 1
		.amdhsa_reserve_flat_scratch 0
		.amdhsa_float_round_mode_32 0
		.amdhsa_float_round_mode_16_64 0
		.amdhsa_float_denorm_mode_32 3
		.amdhsa_float_denorm_mode_16_64 3
		.amdhsa_dx10_clamp 1
		.amdhsa_ieee_mode 1
		.amdhsa_fp16_overflow 0
		.amdhsa_tg_split 0
		.amdhsa_exception_fp_ieee_invalid_op 0
		.amdhsa_exception_fp_denorm_src 0
		.amdhsa_exception_fp_ieee_div_zero 0
		.amdhsa_exception_fp_ieee_overflow 0
		.amdhsa_exception_fp_ieee_underflow 0
		.amdhsa_exception_fp_ieee_inexact 0
		.amdhsa_exception_int_div_zero 0
	.end_amdhsa_kernel
	.section	.text._ZN7rocprim17ROCPRIM_400000_NS6detail17trampoline_kernelINS0_14default_configENS1_38merge_sort_block_merge_config_selectorIllEEZZNS1_27merge_sort_block_merge_implIS3_PlN6thrust23THRUST_200600_302600_NS10device_ptrIlEEjNS1_19radix_merge_compareILb0ELb1ElNS0_19identity_decomposerEEEEE10hipError_tT0_T1_T2_jT3_P12ihipStream_tbPNSt15iterator_traitsISG_E10value_typeEPNSM_ISH_E10value_typeEPSI_NS1_7vsmem_tEENKUlT_SG_SH_SI_E_clIS7_S7_SB_S7_EESF_SV_SG_SH_SI_EUlSV_E0_NS1_11comp_targetILNS1_3genE4ELNS1_11target_archE910ELNS1_3gpuE8ELNS1_3repE0EEENS1_38merge_mergepath_config_static_selectorELNS0_4arch9wavefront6targetE1EEEvSH_,"axG",@progbits,_ZN7rocprim17ROCPRIM_400000_NS6detail17trampoline_kernelINS0_14default_configENS1_38merge_sort_block_merge_config_selectorIllEEZZNS1_27merge_sort_block_merge_implIS3_PlN6thrust23THRUST_200600_302600_NS10device_ptrIlEEjNS1_19radix_merge_compareILb0ELb1ElNS0_19identity_decomposerEEEEE10hipError_tT0_T1_T2_jT3_P12ihipStream_tbPNSt15iterator_traitsISG_E10value_typeEPNSM_ISH_E10value_typeEPSI_NS1_7vsmem_tEENKUlT_SG_SH_SI_E_clIS7_S7_SB_S7_EESF_SV_SG_SH_SI_EUlSV_E0_NS1_11comp_targetILNS1_3genE4ELNS1_11target_archE910ELNS1_3gpuE8ELNS1_3repE0EEENS1_38merge_mergepath_config_static_selectorELNS0_4arch9wavefront6targetE1EEEvSH_,comdat
.Lfunc_end1101:
	.size	_ZN7rocprim17ROCPRIM_400000_NS6detail17trampoline_kernelINS0_14default_configENS1_38merge_sort_block_merge_config_selectorIllEEZZNS1_27merge_sort_block_merge_implIS3_PlN6thrust23THRUST_200600_302600_NS10device_ptrIlEEjNS1_19radix_merge_compareILb0ELb1ElNS0_19identity_decomposerEEEEE10hipError_tT0_T1_T2_jT3_P12ihipStream_tbPNSt15iterator_traitsISG_E10value_typeEPNSM_ISH_E10value_typeEPSI_NS1_7vsmem_tEENKUlT_SG_SH_SI_E_clIS7_S7_SB_S7_EESF_SV_SG_SH_SI_EUlSV_E0_NS1_11comp_targetILNS1_3genE4ELNS1_11target_archE910ELNS1_3gpuE8ELNS1_3repE0EEENS1_38merge_mergepath_config_static_selectorELNS0_4arch9wavefront6targetE1EEEvSH_, .Lfunc_end1101-_ZN7rocprim17ROCPRIM_400000_NS6detail17trampoline_kernelINS0_14default_configENS1_38merge_sort_block_merge_config_selectorIllEEZZNS1_27merge_sort_block_merge_implIS3_PlN6thrust23THRUST_200600_302600_NS10device_ptrIlEEjNS1_19radix_merge_compareILb0ELb1ElNS0_19identity_decomposerEEEEE10hipError_tT0_T1_T2_jT3_P12ihipStream_tbPNSt15iterator_traitsISG_E10value_typeEPNSM_ISH_E10value_typeEPSI_NS1_7vsmem_tEENKUlT_SG_SH_SI_E_clIS7_S7_SB_S7_EESF_SV_SG_SH_SI_EUlSV_E0_NS1_11comp_targetILNS1_3genE4ELNS1_11target_archE910ELNS1_3gpuE8ELNS1_3repE0EEENS1_38merge_mergepath_config_static_selectorELNS0_4arch9wavefront6targetE1EEEvSH_
                                        ; -- End function
	.section	.AMDGPU.csdata,"",@progbits
; Kernel info:
; codeLenInByte = 1900
; NumSgprs: 38
; NumVgprs: 22
; NumAgprs: 0
; TotalNumVgprs: 22
; ScratchSize: 0
; MemoryBound: 0
; FloatMode: 240
; IeeeMode: 1
; LDSByteSize: 8448 bytes/workgroup (compile time only)
; SGPRBlocks: 4
; VGPRBlocks: 2
; NumSGPRsForWavesPerEU: 38
; NumVGPRsForWavesPerEU: 22
; AccumOffset: 24
; Occupancy: 8
; WaveLimiterHint : 1
; COMPUTE_PGM_RSRC2:SCRATCH_EN: 0
; COMPUTE_PGM_RSRC2:USER_SGPR: 6
; COMPUTE_PGM_RSRC2:TRAP_HANDLER: 0
; COMPUTE_PGM_RSRC2:TGID_X_EN: 1
; COMPUTE_PGM_RSRC2:TGID_Y_EN: 1
; COMPUTE_PGM_RSRC2:TGID_Z_EN: 1
; COMPUTE_PGM_RSRC2:TIDIG_COMP_CNT: 0
; COMPUTE_PGM_RSRC3_GFX90A:ACCUM_OFFSET: 5
; COMPUTE_PGM_RSRC3_GFX90A:TG_SPLIT: 0
	.section	.text._ZN7rocprim17ROCPRIM_400000_NS6detail17trampoline_kernelINS0_14default_configENS1_38merge_sort_block_merge_config_selectorIllEEZZNS1_27merge_sort_block_merge_implIS3_PlN6thrust23THRUST_200600_302600_NS10device_ptrIlEEjNS1_19radix_merge_compareILb0ELb1ElNS0_19identity_decomposerEEEEE10hipError_tT0_T1_T2_jT3_P12ihipStream_tbPNSt15iterator_traitsISG_E10value_typeEPNSM_ISH_E10value_typeEPSI_NS1_7vsmem_tEENKUlT_SG_SH_SI_E_clIS7_S7_SB_S7_EESF_SV_SG_SH_SI_EUlSV_E0_NS1_11comp_targetILNS1_3genE3ELNS1_11target_archE908ELNS1_3gpuE7ELNS1_3repE0EEENS1_38merge_mergepath_config_static_selectorELNS0_4arch9wavefront6targetE1EEEvSH_,"axG",@progbits,_ZN7rocprim17ROCPRIM_400000_NS6detail17trampoline_kernelINS0_14default_configENS1_38merge_sort_block_merge_config_selectorIllEEZZNS1_27merge_sort_block_merge_implIS3_PlN6thrust23THRUST_200600_302600_NS10device_ptrIlEEjNS1_19radix_merge_compareILb0ELb1ElNS0_19identity_decomposerEEEEE10hipError_tT0_T1_T2_jT3_P12ihipStream_tbPNSt15iterator_traitsISG_E10value_typeEPNSM_ISH_E10value_typeEPSI_NS1_7vsmem_tEENKUlT_SG_SH_SI_E_clIS7_S7_SB_S7_EESF_SV_SG_SH_SI_EUlSV_E0_NS1_11comp_targetILNS1_3genE3ELNS1_11target_archE908ELNS1_3gpuE7ELNS1_3repE0EEENS1_38merge_mergepath_config_static_selectorELNS0_4arch9wavefront6targetE1EEEvSH_,comdat
	.protected	_ZN7rocprim17ROCPRIM_400000_NS6detail17trampoline_kernelINS0_14default_configENS1_38merge_sort_block_merge_config_selectorIllEEZZNS1_27merge_sort_block_merge_implIS3_PlN6thrust23THRUST_200600_302600_NS10device_ptrIlEEjNS1_19radix_merge_compareILb0ELb1ElNS0_19identity_decomposerEEEEE10hipError_tT0_T1_T2_jT3_P12ihipStream_tbPNSt15iterator_traitsISG_E10value_typeEPNSM_ISH_E10value_typeEPSI_NS1_7vsmem_tEENKUlT_SG_SH_SI_E_clIS7_S7_SB_S7_EESF_SV_SG_SH_SI_EUlSV_E0_NS1_11comp_targetILNS1_3genE3ELNS1_11target_archE908ELNS1_3gpuE7ELNS1_3repE0EEENS1_38merge_mergepath_config_static_selectorELNS0_4arch9wavefront6targetE1EEEvSH_ ; -- Begin function _ZN7rocprim17ROCPRIM_400000_NS6detail17trampoline_kernelINS0_14default_configENS1_38merge_sort_block_merge_config_selectorIllEEZZNS1_27merge_sort_block_merge_implIS3_PlN6thrust23THRUST_200600_302600_NS10device_ptrIlEEjNS1_19radix_merge_compareILb0ELb1ElNS0_19identity_decomposerEEEEE10hipError_tT0_T1_T2_jT3_P12ihipStream_tbPNSt15iterator_traitsISG_E10value_typeEPNSM_ISH_E10value_typeEPSI_NS1_7vsmem_tEENKUlT_SG_SH_SI_E_clIS7_S7_SB_S7_EESF_SV_SG_SH_SI_EUlSV_E0_NS1_11comp_targetILNS1_3genE3ELNS1_11target_archE908ELNS1_3gpuE7ELNS1_3repE0EEENS1_38merge_mergepath_config_static_selectorELNS0_4arch9wavefront6targetE1EEEvSH_
	.globl	_ZN7rocprim17ROCPRIM_400000_NS6detail17trampoline_kernelINS0_14default_configENS1_38merge_sort_block_merge_config_selectorIllEEZZNS1_27merge_sort_block_merge_implIS3_PlN6thrust23THRUST_200600_302600_NS10device_ptrIlEEjNS1_19radix_merge_compareILb0ELb1ElNS0_19identity_decomposerEEEEE10hipError_tT0_T1_T2_jT3_P12ihipStream_tbPNSt15iterator_traitsISG_E10value_typeEPNSM_ISH_E10value_typeEPSI_NS1_7vsmem_tEENKUlT_SG_SH_SI_E_clIS7_S7_SB_S7_EESF_SV_SG_SH_SI_EUlSV_E0_NS1_11comp_targetILNS1_3genE3ELNS1_11target_archE908ELNS1_3gpuE7ELNS1_3repE0EEENS1_38merge_mergepath_config_static_selectorELNS0_4arch9wavefront6targetE1EEEvSH_
	.p2align	8
	.type	_ZN7rocprim17ROCPRIM_400000_NS6detail17trampoline_kernelINS0_14default_configENS1_38merge_sort_block_merge_config_selectorIllEEZZNS1_27merge_sort_block_merge_implIS3_PlN6thrust23THRUST_200600_302600_NS10device_ptrIlEEjNS1_19radix_merge_compareILb0ELb1ElNS0_19identity_decomposerEEEEE10hipError_tT0_T1_T2_jT3_P12ihipStream_tbPNSt15iterator_traitsISG_E10value_typeEPNSM_ISH_E10value_typeEPSI_NS1_7vsmem_tEENKUlT_SG_SH_SI_E_clIS7_S7_SB_S7_EESF_SV_SG_SH_SI_EUlSV_E0_NS1_11comp_targetILNS1_3genE3ELNS1_11target_archE908ELNS1_3gpuE7ELNS1_3repE0EEENS1_38merge_mergepath_config_static_selectorELNS0_4arch9wavefront6targetE1EEEvSH_,@function
_ZN7rocprim17ROCPRIM_400000_NS6detail17trampoline_kernelINS0_14default_configENS1_38merge_sort_block_merge_config_selectorIllEEZZNS1_27merge_sort_block_merge_implIS3_PlN6thrust23THRUST_200600_302600_NS10device_ptrIlEEjNS1_19radix_merge_compareILb0ELb1ElNS0_19identity_decomposerEEEEE10hipError_tT0_T1_T2_jT3_P12ihipStream_tbPNSt15iterator_traitsISG_E10value_typeEPNSM_ISH_E10value_typeEPSI_NS1_7vsmem_tEENKUlT_SG_SH_SI_E_clIS7_S7_SB_S7_EESF_SV_SG_SH_SI_EUlSV_E0_NS1_11comp_targetILNS1_3genE3ELNS1_11target_archE908ELNS1_3gpuE7ELNS1_3repE0EEENS1_38merge_mergepath_config_static_selectorELNS0_4arch9wavefront6targetE1EEEvSH_: ; @_ZN7rocprim17ROCPRIM_400000_NS6detail17trampoline_kernelINS0_14default_configENS1_38merge_sort_block_merge_config_selectorIllEEZZNS1_27merge_sort_block_merge_implIS3_PlN6thrust23THRUST_200600_302600_NS10device_ptrIlEEjNS1_19radix_merge_compareILb0ELb1ElNS0_19identity_decomposerEEEEE10hipError_tT0_T1_T2_jT3_P12ihipStream_tbPNSt15iterator_traitsISG_E10value_typeEPNSM_ISH_E10value_typeEPSI_NS1_7vsmem_tEENKUlT_SG_SH_SI_E_clIS7_S7_SB_S7_EESF_SV_SG_SH_SI_EUlSV_E0_NS1_11comp_targetILNS1_3genE3ELNS1_11target_archE908ELNS1_3gpuE7ELNS1_3repE0EEENS1_38merge_mergepath_config_static_selectorELNS0_4arch9wavefront6targetE1EEEvSH_
; %bb.0:
	.section	.rodata,"a",@progbits
	.p2align	6, 0x0
	.amdhsa_kernel _ZN7rocprim17ROCPRIM_400000_NS6detail17trampoline_kernelINS0_14default_configENS1_38merge_sort_block_merge_config_selectorIllEEZZNS1_27merge_sort_block_merge_implIS3_PlN6thrust23THRUST_200600_302600_NS10device_ptrIlEEjNS1_19radix_merge_compareILb0ELb1ElNS0_19identity_decomposerEEEEE10hipError_tT0_T1_T2_jT3_P12ihipStream_tbPNSt15iterator_traitsISG_E10value_typeEPNSM_ISH_E10value_typeEPSI_NS1_7vsmem_tEENKUlT_SG_SH_SI_E_clIS7_S7_SB_S7_EESF_SV_SG_SH_SI_EUlSV_E0_NS1_11comp_targetILNS1_3genE3ELNS1_11target_archE908ELNS1_3gpuE7ELNS1_3repE0EEENS1_38merge_mergepath_config_static_selectorELNS0_4arch9wavefront6targetE1EEEvSH_
		.amdhsa_group_segment_fixed_size 0
		.amdhsa_private_segment_fixed_size 0
		.amdhsa_kernarg_size 72
		.amdhsa_user_sgpr_count 6
		.amdhsa_user_sgpr_private_segment_buffer 1
		.amdhsa_user_sgpr_dispatch_ptr 0
		.amdhsa_user_sgpr_queue_ptr 0
		.amdhsa_user_sgpr_kernarg_segment_ptr 1
		.amdhsa_user_sgpr_dispatch_id 0
		.amdhsa_user_sgpr_flat_scratch_init 0
		.amdhsa_user_sgpr_kernarg_preload_length 0
		.amdhsa_user_sgpr_kernarg_preload_offset 0
		.amdhsa_user_sgpr_private_segment_size 0
		.amdhsa_uses_dynamic_stack 0
		.amdhsa_system_sgpr_private_segment_wavefront_offset 0
		.amdhsa_system_sgpr_workgroup_id_x 1
		.amdhsa_system_sgpr_workgroup_id_y 0
		.amdhsa_system_sgpr_workgroup_id_z 0
		.amdhsa_system_sgpr_workgroup_info 0
		.amdhsa_system_vgpr_workitem_id 0
		.amdhsa_next_free_vgpr 1
		.amdhsa_next_free_sgpr 0
		.amdhsa_accum_offset 4
		.amdhsa_reserve_vcc 0
		.amdhsa_reserve_flat_scratch 0
		.amdhsa_float_round_mode_32 0
		.amdhsa_float_round_mode_16_64 0
		.amdhsa_float_denorm_mode_32 3
		.amdhsa_float_denorm_mode_16_64 3
		.amdhsa_dx10_clamp 1
		.amdhsa_ieee_mode 1
		.amdhsa_fp16_overflow 0
		.amdhsa_tg_split 0
		.amdhsa_exception_fp_ieee_invalid_op 0
		.amdhsa_exception_fp_denorm_src 0
		.amdhsa_exception_fp_ieee_div_zero 0
		.amdhsa_exception_fp_ieee_overflow 0
		.amdhsa_exception_fp_ieee_underflow 0
		.amdhsa_exception_fp_ieee_inexact 0
		.amdhsa_exception_int_div_zero 0
	.end_amdhsa_kernel
	.section	.text._ZN7rocprim17ROCPRIM_400000_NS6detail17trampoline_kernelINS0_14default_configENS1_38merge_sort_block_merge_config_selectorIllEEZZNS1_27merge_sort_block_merge_implIS3_PlN6thrust23THRUST_200600_302600_NS10device_ptrIlEEjNS1_19radix_merge_compareILb0ELb1ElNS0_19identity_decomposerEEEEE10hipError_tT0_T1_T2_jT3_P12ihipStream_tbPNSt15iterator_traitsISG_E10value_typeEPNSM_ISH_E10value_typeEPSI_NS1_7vsmem_tEENKUlT_SG_SH_SI_E_clIS7_S7_SB_S7_EESF_SV_SG_SH_SI_EUlSV_E0_NS1_11comp_targetILNS1_3genE3ELNS1_11target_archE908ELNS1_3gpuE7ELNS1_3repE0EEENS1_38merge_mergepath_config_static_selectorELNS0_4arch9wavefront6targetE1EEEvSH_,"axG",@progbits,_ZN7rocprim17ROCPRIM_400000_NS6detail17trampoline_kernelINS0_14default_configENS1_38merge_sort_block_merge_config_selectorIllEEZZNS1_27merge_sort_block_merge_implIS3_PlN6thrust23THRUST_200600_302600_NS10device_ptrIlEEjNS1_19radix_merge_compareILb0ELb1ElNS0_19identity_decomposerEEEEE10hipError_tT0_T1_T2_jT3_P12ihipStream_tbPNSt15iterator_traitsISG_E10value_typeEPNSM_ISH_E10value_typeEPSI_NS1_7vsmem_tEENKUlT_SG_SH_SI_E_clIS7_S7_SB_S7_EESF_SV_SG_SH_SI_EUlSV_E0_NS1_11comp_targetILNS1_3genE3ELNS1_11target_archE908ELNS1_3gpuE7ELNS1_3repE0EEENS1_38merge_mergepath_config_static_selectorELNS0_4arch9wavefront6targetE1EEEvSH_,comdat
.Lfunc_end1102:
	.size	_ZN7rocprim17ROCPRIM_400000_NS6detail17trampoline_kernelINS0_14default_configENS1_38merge_sort_block_merge_config_selectorIllEEZZNS1_27merge_sort_block_merge_implIS3_PlN6thrust23THRUST_200600_302600_NS10device_ptrIlEEjNS1_19radix_merge_compareILb0ELb1ElNS0_19identity_decomposerEEEEE10hipError_tT0_T1_T2_jT3_P12ihipStream_tbPNSt15iterator_traitsISG_E10value_typeEPNSM_ISH_E10value_typeEPSI_NS1_7vsmem_tEENKUlT_SG_SH_SI_E_clIS7_S7_SB_S7_EESF_SV_SG_SH_SI_EUlSV_E0_NS1_11comp_targetILNS1_3genE3ELNS1_11target_archE908ELNS1_3gpuE7ELNS1_3repE0EEENS1_38merge_mergepath_config_static_selectorELNS0_4arch9wavefront6targetE1EEEvSH_, .Lfunc_end1102-_ZN7rocprim17ROCPRIM_400000_NS6detail17trampoline_kernelINS0_14default_configENS1_38merge_sort_block_merge_config_selectorIllEEZZNS1_27merge_sort_block_merge_implIS3_PlN6thrust23THRUST_200600_302600_NS10device_ptrIlEEjNS1_19radix_merge_compareILb0ELb1ElNS0_19identity_decomposerEEEEE10hipError_tT0_T1_T2_jT3_P12ihipStream_tbPNSt15iterator_traitsISG_E10value_typeEPNSM_ISH_E10value_typeEPSI_NS1_7vsmem_tEENKUlT_SG_SH_SI_E_clIS7_S7_SB_S7_EESF_SV_SG_SH_SI_EUlSV_E0_NS1_11comp_targetILNS1_3genE3ELNS1_11target_archE908ELNS1_3gpuE7ELNS1_3repE0EEENS1_38merge_mergepath_config_static_selectorELNS0_4arch9wavefront6targetE1EEEvSH_
                                        ; -- End function
	.section	.AMDGPU.csdata,"",@progbits
; Kernel info:
; codeLenInByte = 0
; NumSgprs: 4
; NumVgprs: 0
; NumAgprs: 0
; TotalNumVgprs: 0
; ScratchSize: 0
; MemoryBound: 0
; FloatMode: 240
; IeeeMode: 1
; LDSByteSize: 0 bytes/workgroup (compile time only)
; SGPRBlocks: 0
; VGPRBlocks: 0
; NumSGPRsForWavesPerEU: 4
; NumVGPRsForWavesPerEU: 1
; AccumOffset: 4
; Occupancy: 8
; WaveLimiterHint : 0
; COMPUTE_PGM_RSRC2:SCRATCH_EN: 0
; COMPUTE_PGM_RSRC2:USER_SGPR: 6
; COMPUTE_PGM_RSRC2:TRAP_HANDLER: 0
; COMPUTE_PGM_RSRC2:TGID_X_EN: 1
; COMPUTE_PGM_RSRC2:TGID_Y_EN: 0
; COMPUTE_PGM_RSRC2:TGID_Z_EN: 0
; COMPUTE_PGM_RSRC2:TIDIG_COMP_CNT: 0
; COMPUTE_PGM_RSRC3_GFX90A:ACCUM_OFFSET: 0
; COMPUTE_PGM_RSRC3_GFX90A:TG_SPLIT: 0
	.section	.text._ZN7rocprim17ROCPRIM_400000_NS6detail17trampoline_kernelINS0_14default_configENS1_38merge_sort_block_merge_config_selectorIllEEZZNS1_27merge_sort_block_merge_implIS3_PlN6thrust23THRUST_200600_302600_NS10device_ptrIlEEjNS1_19radix_merge_compareILb0ELb1ElNS0_19identity_decomposerEEEEE10hipError_tT0_T1_T2_jT3_P12ihipStream_tbPNSt15iterator_traitsISG_E10value_typeEPNSM_ISH_E10value_typeEPSI_NS1_7vsmem_tEENKUlT_SG_SH_SI_E_clIS7_S7_SB_S7_EESF_SV_SG_SH_SI_EUlSV_E0_NS1_11comp_targetILNS1_3genE2ELNS1_11target_archE906ELNS1_3gpuE6ELNS1_3repE0EEENS1_38merge_mergepath_config_static_selectorELNS0_4arch9wavefront6targetE1EEEvSH_,"axG",@progbits,_ZN7rocprim17ROCPRIM_400000_NS6detail17trampoline_kernelINS0_14default_configENS1_38merge_sort_block_merge_config_selectorIllEEZZNS1_27merge_sort_block_merge_implIS3_PlN6thrust23THRUST_200600_302600_NS10device_ptrIlEEjNS1_19radix_merge_compareILb0ELb1ElNS0_19identity_decomposerEEEEE10hipError_tT0_T1_T2_jT3_P12ihipStream_tbPNSt15iterator_traitsISG_E10value_typeEPNSM_ISH_E10value_typeEPSI_NS1_7vsmem_tEENKUlT_SG_SH_SI_E_clIS7_S7_SB_S7_EESF_SV_SG_SH_SI_EUlSV_E0_NS1_11comp_targetILNS1_3genE2ELNS1_11target_archE906ELNS1_3gpuE6ELNS1_3repE0EEENS1_38merge_mergepath_config_static_selectorELNS0_4arch9wavefront6targetE1EEEvSH_,comdat
	.protected	_ZN7rocprim17ROCPRIM_400000_NS6detail17trampoline_kernelINS0_14default_configENS1_38merge_sort_block_merge_config_selectorIllEEZZNS1_27merge_sort_block_merge_implIS3_PlN6thrust23THRUST_200600_302600_NS10device_ptrIlEEjNS1_19radix_merge_compareILb0ELb1ElNS0_19identity_decomposerEEEEE10hipError_tT0_T1_T2_jT3_P12ihipStream_tbPNSt15iterator_traitsISG_E10value_typeEPNSM_ISH_E10value_typeEPSI_NS1_7vsmem_tEENKUlT_SG_SH_SI_E_clIS7_S7_SB_S7_EESF_SV_SG_SH_SI_EUlSV_E0_NS1_11comp_targetILNS1_3genE2ELNS1_11target_archE906ELNS1_3gpuE6ELNS1_3repE0EEENS1_38merge_mergepath_config_static_selectorELNS0_4arch9wavefront6targetE1EEEvSH_ ; -- Begin function _ZN7rocprim17ROCPRIM_400000_NS6detail17trampoline_kernelINS0_14default_configENS1_38merge_sort_block_merge_config_selectorIllEEZZNS1_27merge_sort_block_merge_implIS3_PlN6thrust23THRUST_200600_302600_NS10device_ptrIlEEjNS1_19radix_merge_compareILb0ELb1ElNS0_19identity_decomposerEEEEE10hipError_tT0_T1_T2_jT3_P12ihipStream_tbPNSt15iterator_traitsISG_E10value_typeEPNSM_ISH_E10value_typeEPSI_NS1_7vsmem_tEENKUlT_SG_SH_SI_E_clIS7_S7_SB_S7_EESF_SV_SG_SH_SI_EUlSV_E0_NS1_11comp_targetILNS1_3genE2ELNS1_11target_archE906ELNS1_3gpuE6ELNS1_3repE0EEENS1_38merge_mergepath_config_static_selectorELNS0_4arch9wavefront6targetE1EEEvSH_
	.globl	_ZN7rocprim17ROCPRIM_400000_NS6detail17trampoline_kernelINS0_14default_configENS1_38merge_sort_block_merge_config_selectorIllEEZZNS1_27merge_sort_block_merge_implIS3_PlN6thrust23THRUST_200600_302600_NS10device_ptrIlEEjNS1_19radix_merge_compareILb0ELb1ElNS0_19identity_decomposerEEEEE10hipError_tT0_T1_T2_jT3_P12ihipStream_tbPNSt15iterator_traitsISG_E10value_typeEPNSM_ISH_E10value_typeEPSI_NS1_7vsmem_tEENKUlT_SG_SH_SI_E_clIS7_S7_SB_S7_EESF_SV_SG_SH_SI_EUlSV_E0_NS1_11comp_targetILNS1_3genE2ELNS1_11target_archE906ELNS1_3gpuE6ELNS1_3repE0EEENS1_38merge_mergepath_config_static_selectorELNS0_4arch9wavefront6targetE1EEEvSH_
	.p2align	8
	.type	_ZN7rocprim17ROCPRIM_400000_NS6detail17trampoline_kernelINS0_14default_configENS1_38merge_sort_block_merge_config_selectorIllEEZZNS1_27merge_sort_block_merge_implIS3_PlN6thrust23THRUST_200600_302600_NS10device_ptrIlEEjNS1_19radix_merge_compareILb0ELb1ElNS0_19identity_decomposerEEEEE10hipError_tT0_T1_T2_jT3_P12ihipStream_tbPNSt15iterator_traitsISG_E10value_typeEPNSM_ISH_E10value_typeEPSI_NS1_7vsmem_tEENKUlT_SG_SH_SI_E_clIS7_S7_SB_S7_EESF_SV_SG_SH_SI_EUlSV_E0_NS1_11comp_targetILNS1_3genE2ELNS1_11target_archE906ELNS1_3gpuE6ELNS1_3repE0EEENS1_38merge_mergepath_config_static_selectorELNS0_4arch9wavefront6targetE1EEEvSH_,@function
_ZN7rocprim17ROCPRIM_400000_NS6detail17trampoline_kernelINS0_14default_configENS1_38merge_sort_block_merge_config_selectorIllEEZZNS1_27merge_sort_block_merge_implIS3_PlN6thrust23THRUST_200600_302600_NS10device_ptrIlEEjNS1_19radix_merge_compareILb0ELb1ElNS0_19identity_decomposerEEEEE10hipError_tT0_T1_T2_jT3_P12ihipStream_tbPNSt15iterator_traitsISG_E10value_typeEPNSM_ISH_E10value_typeEPSI_NS1_7vsmem_tEENKUlT_SG_SH_SI_E_clIS7_S7_SB_S7_EESF_SV_SG_SH_SI_EUlSV_E0_NS1_11comp_targetILNS1_3genE2ELNS1_11target_archE906ELNS1_3gpuE6ELNS1_3repE0EEENS1_38merge_mergepath_config_static_selectorELNS0_4arch9wavefront6targetE1EEEvSH_: ; @_ZN7rocprim17ROCPRIM_400000_NS6detail17trampoline_kernelINS0_14default_configENS1_38merge_sort_block_merge_config_selectorIllEEZZNS1_27merge_sort_block_merge_implIS3_PlN6thrust23THRUST_200600_302600_NS10device_ptrIlEEjNS1_19radix_merge_compareILb0ELb1ElNS0_19identity_decomposerEEEEE10hipError_tT0_T1_T2_jT3_P12ihipStream_tbPNSt15iterator_traitsISG_E10value_typeEPNSM_ISH_E10value_typeEPSI_NS1_7vsmem_tEENKUlT_SG_SH_SI_E_clIS7_S7_SB_S7_EESF_SV_SG_SH_SI_EUlSV_E0_NS1_11comp_targetILNS1_3genE2ELNS1_11target_archE906ELNS1_3gpuE6ELNS1_3repE0EEENS1_38merge_mergepath_config_static_selectorELNS0_4arch9wavefront6targetE1EEEvSH_
; %bb.0:
	.section	.rodata,"a",@progbits
	.p2align	6, 0x0
	.amdhsa_kernel _ZN7rocprim17ROCPRIM_400000_NS6detail17trampoline_kernelINS0_14default_configENS1_38merge_sort_block_merge_config_selectorIllEEZZNS1_27merge_sort_block_merge_implIS3_PlN6thrust23THRUST_200600_302600_NS10device_ptrIlEEjNS1_19radix_merge_compareILb0ELb1ElNS0_19identity_decomposerEEEEE10hipError_tT0_T1_T2_jT3_P12ihipStream_tbPNSt15iterator_traitsISG_E10value_typeEPNSM_ISH_E10value_typeEPSI_NS1_7vsmem_tEENKUlT_SG_SH_SI_E_clIS7_S7_SB_S7_EESF_SV_SG_SH_SI_EUlSV_E0_NS1_11comp_targetILNS1_3genE2ELNS1_11target_archE906ELNS1_3gpuE6ELNS1_3repE0EEENS1_38merge_mergepath_config_static_selectorELNS0_4arch9wavefront6targetE1EEEvSH_
		.amdhsa_group_segment_fixed_size 0
		.amdhsa_private_segment_fixed_size 0
		.amdhsa_kernarg_size 72
		.amdhsa_user_sgpr_count 6
		.amdhsa_user_sgpr_private_segment_buffer 1
		.amdhsa_user_sgpr_dispatch_ptr 0
		.amdhsa_user_sgpr_queue_ptr 0
		.amdhsa_user_sgpr_kernarg_segment_ptr 1
		.amdhsa_user_sgpr_dispatch_id 0
		.amdhsa_user_sgpr_flat_scratch_init 0
		.amdhsa_user_sgpr_kernarg_preload_length 0
		.amdhsa_user_sgpr_kernarg_preload_offset 0
		.amdhsa_user_sgpr_private_segment_size 0
		.amdhsa_uses_dynamic_stack 0
		.amdhsa_system_sgpr_private_segment_wavefront_offset 0
		.amdhsa_system_sgpr_workgroup_id_x 1
		.amdhsa_system_sgpr_workgroup_id_y 0
		.amdhsa_system_sgpr_workgroup_id_z 0
		.amdhsa_system_sgpr_workgroup_info 0
		.amdhsa_system_vgpr_workitem_id 0
		.amdhsa_next_free_vgpr 1
		.amdhsa_next_free_sgpr 0
		.amdhsa_accum_offset 4
		.amdhsa_reserve_vcc 0
		.amdhsa_reserve_flat_scratch 0
		.amdhsa_float_round_mode_32 0
		.amdhsa_float_round_mode_16_64 0
		.amdhsa_float_denorm_mode_32 3
		.amdhsa_float_denorm_mode_16_64 3
		.amdhsa_dx10_clamp 1
		.amdhsa_ieee_mode 1
		.amdhsa_fp16_overflow 0
		.amdhsa_tg_split 0
		.amdhsa_exception_fp_ieee_invalid_op 0
		.amdhsa_exception_fp_denorm_src 0
		.amdhsa_exception_fp_ieee_div_zero 0
		.amdhsa_exception_fp_ieee_overflow 0
		.amdhsa_exception_fp_ieee_underflow 0
		.amdhsa_exception_fp_ieee_inexact 0
		.amdhsa_exception_int_div_zero 0
	.end_amdhsa_kernel
	.section	.text._ZN7rocprim17ROCPRIM_400000_NS6detail17trampoline_kernelINS0_14default_configENS1_38merge_sort_block_merge_config_selectorIllEEZZNS1_27merge_sort_block_merge_implIS3_PlN6thrust23THRUST_200600_302600_NS10device_ptrIlEEjNS1_19radix_merge_compareILb0ELb1ElNS0_19identity_decomposerEEEEE10hipError_tT0_T1_T2_jT3_P12ihipStream_tbPNSt15iterator_traitsISG_E10value_typeEPNSM_ISH_E10value_typeEPSI_NS1_7vsmem_tEENKUlT_SG_SH_SI_E_clIS7_S7_SB_S7_EESF_SV_SG_SH_SI_EUlSV_E0_NS1_11comp_targetILNS1_3genE2ELNS1_11target_archE906ELNS1_3gpuE6ELNS1_3repE0EEENS1_38merge_mergepath_config_static_selectorELNS0_4arch9wavefront6targetE1EEEvSH_,"axG",@progbits,_ZN7rocprim17ROCPRIM_400000_NS6detail17trampoline_kernelINS0_14default_configENS1_38merge_sort_block_merge_config_selectorIllEEZZNS1_27merge_sort_block_merge_implIS3_PlN6thrust23THRUST_200600_302600_NS10device_ptrIlEEjNS1_19radix_merge_compareILb0ELb1ElNS0_19identity_decomposerEEEEE10hipError_tT0_T1_T2_jT3_P12ihipStream_tbPNSt15iterator_traitsISG_E10value_typeEPNSM_ISH_E10value_typeEPSI_NS1_7vsmem_tEENKUlT_SG_SH_SI_E_clIS7_S7_SB_S7_EESF_SV_SG_SH_SI_EUlSV_E0_NS1_11comp_targetILNS1_3genE2ELNS1_11target_archE906ELNS1_3gpuE6ELNS1_3repE0EEENS1_38merge_mergepath_config_static_selectorELNS0_4arch9wavefront6targetE1EEEvSH_,comdat
.Lfunc_end1103:
	.size	_ZN7rocprim17ROCPRIM_400000_NS6detail17trampoline_kernelINS0_14default_configENS1_38merge_sort_block_merge_config_selectorIllEEZZNS1_27merge_sort_block_merge_implIS3_PlN6thrust23THRUST_200600_302600_NS10device_ptrIlEEjNS1_19radix_merge_compareILb0ELb1ElNS0_19identity_decomposerEEEEE10hipError_tT0_T1_T2_jT3_P12ihipStream_tbPNSt15iterator_traitsISG_E10value_typeEPNSM_ISH_E10value_typeEPSI_NS1_7vsmem_tEENKUlT_SG_SH_SI_E_clIS7_S7_SB_S7_EESF_SV_SG_SH_SI_EUlSV_E0_NS1_11comp_targetILNS1_3genE2ELNS1_11target_archE906ELNS1_3gpuE6ELNS1_3repE0EEENS1_38merge_mergepath_config_static_selectorELNS0_4arch9wavefront6targetE1EEEvSH_, .Lfunc_end1103-_ZN7rocprim17ROCPRIM_400000_NS6detail17trampoline_kernelINS0_14default_configENS1_38merge_sort_block_merge_config_selectorIllEEZZNS1_27merge_sort_block_merge_implIS3_PlN6thrust23THRUST_200600_302600_NS10device_ptrIlEEjNS1_19radix_merge_compareILb0ELb1ElNS0_19identity_decomposerEEEEE10hipError_tT0_T1_T2_jT3_P12ihipStream_tbPNSt15iterator_traitsISG_E10value_typeEPNSM_ISH_E10value_typeEPSI_NS1_7vsmem_tEENKUlT_SG_SH_SI_E_clIS7_S7_SB_S7_EESF_SV_SG_SH_SI_EUlSV_E0_NS1_11comp_targetILNS1_3genE2ELNS1_11target_archE906ELNS1_3gpuE6ELNS1_3repE0EEENS1_38merge_mergepath_config_static_selectorELNS0_4arch9wavefront6targetE1EEEvSH_
                                        ; -- End function
	.section	.AMDGPU.csdata,"",@progbits
; Kernel info:
; codeLenInByte = 0
; NumSgprs: 4
; NumVgprs: 0
; NumAgprs: 0
; TotalNumVgprs: 0
; ScratchSize: 0
; MemoryBound: 0
; FloatMode: 240
; IeeeMode: 1
; LDSByteSize: 0 bytes/workgroup (compile time only)
; SGPRBlocks: 0
; VGPRBlocks: 0
; NumSGPRsForWavesPerEU: 4
; NumVGPRsForWavesPerEU: 1
; AccumOffset: 4
; Occupancy: 8
; WaveLimiterHint : 0
; COMPUTE_PGM_RSRC2:SCRATCH_EN: 0
; COMPUTE_PGM_RSRC2:USER_SGPR: 6
; COMPUTE_PGM_RSRC2:TRAP_HANDLER: 0
; COMPUTE_PGM_RSRC2:TGID_X_EN: 1
; COMPUTE_PGM_RSRC2:TGID_Y_EN: 0
; COMPUTE_PGM_RSRC2:TGID_Z_EN: 0
; COMPUTE_PGM_RSRC2:TIDIG_COMP_CNT: 0
; COMPUTE_PGM_RSRC3_GFX90A:ACCUM_OFFSET: 0
; COMPUTE_PGM_RSRC3_GFX90A:TG_SPLIT: 0
	.section	.text._ZN7rocprim17ROCPRIM_400000_NS6detail17trampoline_kernelINS0_14default_configENS1_38merge_sort_block_merge_config_selectorIllEEZZNS1_27merge_sort_block_merge_implIS3_PlN6thrust23THRUST_200600_302600_NS10device_ptrIlEEjNS1_19radix_merge_compareILb0ELb1ElNS0_19identity_decomposerEEEEE10hipError_tT0_T1_T2_jT3_P12ihipStream_tbPNSt15iterator_traitsISG_E10value_typeEPNSM_ISH_E10value_typeEPSI_NS1_7vsmem_tEENKUlT_SG_SH_SI_E_clIS7_S7_SB_S7_EESF_SV_SG_SH_SI_EUlSV_E0_NS1_11comp_targetILNS1_3genE9ELNS1_11target_archE1100ELNS1_3gpuE3ELNS1_3repE0EEENS1_38merge_mergepath_config_static_selectorELNS0_4arch9wavefront6targetE1EEEvSH_,"axG",@progbits,_ZN7rocprim17ROCPRIM_400000_NS6detail17trampoline_kernelINS0_14default_configENS1_38merge_sort_block_merge_config_selectorIllEEZZNS1_27merge_sort_block_merge_implIS3_PlN6thrust23THRUST_200600_302600_NS10device_ptrIlEEjNS1_19radix_merge_compareILb0ELb1ElNS0_19identity_decomposerEEEEE10hipError_tT0_T1_T2_jT3_P12ihipStream_tbPNSt15iterator_traitsISG_E10value_typeEPNSM_ISH_E10value_typeEPSI_NS1_7vsmem_tEENKUlT_SG_SH_SI_E_clIS7_S7_SB_S7_EESF_SV_SG_SH_SI_EUlSV_E0_NS1_11comp_targetILNS1_3genE9ELNS1_11target_archE1100ELNS1_3gpuE3ELNS1_3repE0EEENS1_38merge_mergepath_config_static_selectorELNS0_4arch9wavefront6targetE1EEEvSH_,comdat
	.protected	_ZN7rocprim17ROCPRIM_400000_NS6detail17trampoline_kernelINS0_14default_configENS1_38merge_sort_block_merge_config_selectorIllEEZZNS1_27merge_sort_block_merge_implIS3_PlN6thrust23THRUST_200600_302600_NS10device_ptrIlEEjNS1_19radix_merge_compareILb0ELb1ElNS0_19identity_decomposerEEEEE10hipError_tT0_T1_T2_jT3_P12ihipStream_tbPNSt15iterator_traitsISG_E10value_typeEPNSM_ISH_E10value_typeEPSI_NS1_7vsmem_tEENKUlT_SG_SH_SI_E_clIS7_S7_SB_S7_EESF_SV_SG_SH_SI_EUlSV_E0_NS1_11comp_targetILNS1_3genE9ELNS1_11target_archE1100ELNS1_3gpuE3ELNS1_3repE0EEENS1_38merge_mergepath_config_static_selectorELNS0_4arch9wavefront6targetE1EEEvSH_ ; -- Begin function _ZN7rocprim17ROCPRIM_400000_NS6detail17trampoline_kernelINS0_14default_configENS1_38merge_sort_block_merge_config_selectorIllEEZZNS1_27merge_sort_block_merge_implIS3_PlN6thrust23THRUST_200600_302600_NS10device_ptrIlEEjNS1_19radix_merge_compareILb0ELb1ElNS0_19identity_decomposerEEEEE10hipError_tT0_T1_T2_jT3_P12ihipStream_tbPNSt15iterator_traitsISG_E10value_typeEPNSM_ISH_E10value_typeEPSI_NS1_7vsmem_tEENKUlT_SG_SH_SI_E_clIS7_S7_SB_S7_EESF_SV_SG_SH_SI_EUlSV_E0_NS1_11comp_targetILNS1_3genE9ELNS1_11target_archE1100ELNS1_3gpuE3ELNS1_3repE0EEENS1_38merge_mergepath_config_static_selectorELNS0_4arch9wavefront6targetE1EEEvSH_
	.globl	_ZN7rocprim17ROCPRIM_400000_NS6detail17trampoline_kernelINS0_14default_configENS1_38merge_sort_block_merge_config_selectorIllEEZZNS1_27merge_sort_block_merge_implIS3_PlN6thrust23THRUST_200600_302600_NS10device_ptrIlEEjNS1_19radix_merge_compareILb0ELb1ElNS0_19identity_decomposerEEEEE10hipError_tT0_T1_T2_jT3_P12ihipStream_tbPNSt15iterator_traitsISG_E10value_typeEPNSM_ISH_E10value_typeEPSI_NS1_7vsmem_tEENKUlT_SG_SH_SI_E_clIS7_S7_SB_S7_EESF_SV_SG_SH_SI_EUlSV_E0_NS1_11comp_targetILNS1_3genE9ELNS1_11target_archE1100ELNS1_3gpuE3ELNS1_3repE0EEENS1_38merge_mergepath_config_static_selectorELNS0_4arch9wavefront6targetE1EEEvSH_
	.p2align	8
	.type	_ZN7rocprim17ROCPRIM_400000_NS6detail17trampoline_kernelINS0_14default_configENS1_38merge_sort_block_merge_config_selectorIllEEZZNS1_27merge_sort_block_merge_implIS3_PlN6thrust23THRUST_200600_302600_NS10device_ptrIlEEjNS1_19radix_merge_compareILb0ELb1ElNS0_19identity_decomposerEEEEE10hipError_tT0_T1_T2_jT3_P12ihipStream_tbPNSt15iterator_traitsISG_E10value_typeEPNSM_ISH_E10value_typeEPSI_NS1_7vsmem_tEENKUlT_SG_SH_SI_E_clIS7_S7_SB_S7_EESF_SV_SG_SH_SI_EUlSV_E0_NS1_11comp_targetILNS1_3genE9ELNS1_11target_archE1100ELNS1_3gpuE3ELNS1_3repE0EEENS1_38merge_mergepath_config_static_selectorELNS0_4arch9wavefront6targetE1EEEvSH_,@function
_ZN7rocprim17ROCPRIM_400000_NS6detail17trampoline_kernelINS0_14default_configENS1_38merge_sort_block_merge_config_selectorIllEEZZNS1_27merge_sort_block_merge_implIS3_PlN6thrust23THRUST_200600_302600_NS10device_ptrIlEEjNS1_19radix_merge_compareILb0ELb1ElNS0_19identity_decomposerEEEEE10hipError_tT0_T1_T2_jT3_P12ihipStream_tbPNSt15iterator_traitsISG_E10value_typeEPNSM_ISH_E10value_typeEPSI_NS1_7vsmem_tEENKUlT_SG_SH_SI_E_clIS7_S7_SB_S7_EESF_SV_SG_SH_SI_EUlSV_E0_NS1_11comp_targetILNS1_3genE9ELNS1_11target_archE1100ELNS1_3gpuE3ELNS1_3repE0EEENS1_38merge_mergepath_config_static_selectorELNS0_4arch9wavefront6targetE1EEEvSH_: ; @_ZN7rocprim17ROCPRIM_400000_NS6detail17trampoline_kernelINS0_14default_configENS1_38merge_sort_block_merge_config_selectorIllEEZZNS1_27merge_sort_block_merge_implIS3_PlN6thrust23THRUST_200600_302600_NS10device_ptrIlEEjNS1_19radix_merge_compareILb0ELb1ElNS0_19identity_decomposerEEEEE10hipError_tT0_T1_T2_jT3_P12ihipStream_tbPNSt15iterator_traitsISG_E10value_typeEPNSM_ISH_E10value_typeEPSI_NS1_7vsmem_tEENKUlT_SG_SH_SI_E_clIS7_S7_SB_S7_EESF_SV_SG_SH_SI_EUlSV_E0_NS1_11comp_targetILNS1_3genE9ELNS1_11target_archE1100ELNS1_3gpuE3ELNS1_3repE0EEENS1_38merge_mergepath_config_static_selectorELNS0_4arch9wavefront6targetE1EEEvSH_
; %bb.0:
	.section	.rodata,"a",@progbits
	.p2align	6, 0x0
	.amdhsa_kernel _ZN7rocprim17ROCPRIM_400000_NS6detail17trampoline_kernelINS0_14default_configENS1_38merge_sort_block_merge_config_selectorIllEEZZNS1_27merge_sort_block_merge_implIS3_PlN6thrust23THRUST_200600_302600_NS10device_ptrIlEEjNS1_19radix_merge_compareILb0ELb1ElNS0_19identity_decomposerEEEEE10hipError_tT0_T1_T2_jT3_P12ihipStream_tbPNSt15iterator_traitsISG_E10value_typeEPNSM_ISH_E10value_typeEPSI_NS1_7vsmem_tEENKUlT_SG_SH_SI_E_clIS7_S7_SB_S7_EESF_SV_SG_SH_SI_EUlSV_E0_NS1_11comp_targetILNS1_3genE9ELNS1_11target_archE1100ELNS1_3gpuE3ELNS1_3repE0EEENS1_38merge_mergepath_config_static_selectorELNS0_4arch9wavefront6targetE1EEEvSH_
		.amdhsa_group_segment_fixed_size 0
		.amdhsa_private_segment_fixed_size 0
		.amdhsa_kernarg_size 72
		.amdhsa_user_sgpr_count 6
		.amdhsa_user_sgpr_private_segment_buffer 1
		.amdhsa_user_sgpr_dispatch_ptr 0
		.amdhsa_user_sgpr_queue_ptr 0
		.amdhsa_user_sgpr_kernarg_segment_ptr 1
		.amdhsa_user_sgpr_dispatch_id 0
		.amdhsa_user_sgpr_flat_scratch_init 0
		.amdhsa_user_sgpr_kernarg_preload_length 0
		.amdhsa_user_sgpr_kernarg_preload_offset 0
		.amdhsa_user_sgpr_private_segment_size 0
		.amdhsa_uses_dynamic_stack 0
		.amdhsa_system_sgpr_private_segment_wavefront_offset 0
		.amdhsa_system_sgpr_workgroup_id_x 1
		.amdhsa_system_sgpr_workgroup_id_y 0
		.amdhsa_system_sgpr_workgroup_id_z 0
		.amdhsa_system_sgpr_workgroup_info 0
		.amdhsa_system_vgpr_workitem_id 0
		.amdhsa_next_free_vgpr 1
		.amdhsa_next_free_sgpr 0
		.amdhsa_accum_offset 4
		.amdhsa_reserve_vcc 0
		.amdhsa_reserve_flat_scratch 0
		.amdhsa_float_round_mode_32 0
		.amdhsa_float_round_mode_16_64 0
		.amdhsa_float_denorm_mode_32 3
		.amdhsa_float_denorm_mode_16_64 3
		.amdhsa_dx10_clamp 1
		.amdhsa_ieee_mode 1
		.amdhsa_fp16_overflow 0
		.amdhsa_tg_split 0
		.amdhsa_exception_fp_ieee_invalid_op 0
		.amdhsa_exception_fp_denorm_src 0
		.amdhsa_exception_fp_ieee_div_zero 0
		.amdhsa_exception_fp_ieee_overflow 0
		.amdhsa_exception_fp_ieee_underflow 0
		.amdhsa_exception_fp_ieee_inexact 0
		.amdhsa_exception_int_div_zero 0
	.end_amdhsa_kernel
	.section	.text._ZN7rocprim17ROCPRIM_400000_NS6detail17trampoline_kernelINS0_14default_configENS1_38merge_sort_block_merge_config_selectorIllEEZZNS1_27merge_sort_block_merge_implIS3_PlN6thrust23THRUST_200600_302600_NS10device_ptrIlEEjNS1_19radix_merge_compareILb0ELb1ElNS0_19identity_decomposerEEEEE10hipError_tT0_T1_T2_jT3_P12ihipStream_tbPNSt15iterator_traitsISG_E10value_typeEPNSM_ISH_E10value_typeEPSI_NS1_7vsmem_tEENKUlT_SG_SH_SI_E_clIS7_S7_SB_S7_EESF_SV_SG_SH_SI_EUlSV_E0_NS1_11comp_targetILNS1_3genE9ELNS1_11target_archE1100ELNS1_3gpuE3ELNS1_3repE0EEENS1_38merge_mergepath_config_static_selectorELNS0_4arch9wavefront6targetE1EEEvSH_,"axG",@progbits,_ZN7rocprim17ROCPRIM_400000_NS6detail17trampoline_kernelINS0_14default_configENS1_38merge_sort_block_merge_config_selectorIllEEZZNS1_27merge_sort_block_merge_implIS3_PlN6thrust23THRUST_200600_302600_NS10device_ptrIlEEjNS1_19radix_merge_compareILb0ELb1ElNS0_19identity_decomposerEEEEE10hipError_tT0_T1_T2_jT3_P12ihipStream_tbPNSt15iterator_traitsISG_E10value_typeEPNSM_ISH_E10value_typeEPSI_NS1_7vsmem_tEENKUlT_SG_SH_SI_E_clIS7_S7_SB_S7_EESF_SV_SG_SH_SI_EUlSV_E0_NS1_11comp_targetILNS1_3genE9ELNS1_11target_archE1100ELNS1_3gpuE3ELNS1_3repE0EEENS1_38merge_mergepath_config_static_selectorELNS0_4arch9wavefront6targetE1EEEvSH_,comdat
.Lfunc_end1104:
	.size	_ZN7rocprim17ROCPRIM_400000_NS6detail17trampoline_kernelINS0_14default_configENS1_38merge_sort_block_merge_config_selectorIllEEZZNS1_27merge_sort_block_merge_implIS3_PlN6thrust23THRUST_200600_302600_NS10device_ptrIlEEjNS1_19radix_merge_compareILb0ELb1ElNS0_19identity_decomposerEEEEE10hipError_tT0_T1_T2_jT3_P12ihipStream_tbPNSt15iterator_traitsISG_E10value_typeEPNSM_ISH_E10value_typeEPSI_NS1_7vsmem_tEENKUlT_SG_SH_SI_E_clIS7_S7_SB_S7_EESF_SV_SG_SH_SI_EUlSV_E0_NS1_11comp_targetILNS1_3genE9ELNS1_11target_archE1100ELNS1_3gpuE3ELNS1_3repE0EEENS1_38merge_mergepath_config_static_selectorELNS0_4arch9wavefront6targetE1EEEvSH_, .Lfunc_end1104-_ZN7rocprim17ROCPRIM_400000_NS6detail17trampoline_kernelINS0_14default_configENS1_38merge_sort_block_merge_config_selectorIllEEZZNS1_27merge_sort_block_merge_implIS3_PlN6thrust23THRUST_200600_302600_NS10device_ptrIlEEjNS1_19radix_merge_compareILb0ELb1ElNS0_19identity_decomposerEEEEE10hipError_tT0_T1_T2_jT3_P12ihipStream_tbPNSt15iterator_traitsISG_E10value_typeEPNSM_ISH_E10value_typeEPSI_NS1_7vsmem_tEENKUlT_SG_SH_SI_E_clIS7_S7_SB_S7_EESF_SV_SG_SH_SI_EUlSV_E0_NS1_11comp_targetILNS1_3genE9ELNS1_11target_archE1100ELNS1_3gpuE3ELNS1_3repE0EEENS1_38merge_mergepath_config_static_selectorELNS0_4arch9wavefront6targetE1EEEvSH_
                                        ; -- End function
	.section	.AMDGPU.csdata,"",@progbits
; Kernel info:
; codeLenInByte = 0
; NumSgprs: 4
; NumVgprs: 0
; NumAgprs: 0
; TotalNumVgprs: 0
; ScratchSize: 0
; MemoryBound: 0
; FloatMode: 240
; IeeeMode: 1
; LDSByteSize: 0 bytes/workgroup (compile time only)
; SGPRBlocks: 0
; VGPRBlocks: 0
; NumSGPRsForWavesPerEU: 4
; NumVGPRsForWavesPerEU: 1
; AccumOffset: 4
; Occupancy: 8
; WaveLimiterHint : 0
; COMPUTE_PGM_RSRC2:SCRATCH_EN: 0
; COMPUTE_PGM_RSRC2:USER_SGPR: 6
; COMPUTE_PGM_RSRC2:TRAP_HANDLER: 0
; COMPUTE_PGM_RSRC2:TGID_X_EN: 1
; COMPUTE_PGM_RSRC2:TGID_Y_EN: 0
; COMPUTE_PGM_RSRC2:TGID_Z_EN: 0
; COMPUTE_PGM_RSRC2:TIDIG_COMP_CNT: 0
; COMPUTE_PGM_RSRC3_GFX90A:ACCUM_OFFSET: 0
; COMPUTE_PGM_RSRC3_GFX90A:TG_SPLIT: 0
	.section	.text._ZN7rocprim17ROCPRIM_400000_NS6detail17trampoline_kernelINS0_14default_configENS1_38merge_sort_block_merge_config_selectorIllEEZZNS1_27merge_sort_block_merge_implIS3_PlN6thrust23THRUST_200600_302600_NS10device_ptrIlEEjNS1_19radix_merge_compareILb0ELb1ElNS0_19identity_decomposerEEEEE10hipError_tT0_T1_T2_jT3_P12ihipStream_tbPNSt15iterator_traitsISG_E10value_typeEPNSM_ISH_E10value_typeEPSI_NS1_7vsmem_tEENKUlT_SG_SH_SI_E_clIS7_S7_SB_S7_EESF_SV_SG_SH_SI_EUlSV_E0_NS1_11comp_targetILNS1_3genE8ELNS1_11target_archE1030ELNS1_3gpuE2ELNS1_3repE0EEENS1_38merge_mergepath_config_static_selectorELNS0_4arch9wavefront6targetE1EEEvSH_,"axG",@progbits,_ZN7rocprim17ROCPRIM_400000_NS6detail17trampoline_kernelINS0_14default_configENS1_38merge_sort_block_merge_config_selectorIllEEZZNS1_27merge_sort_block_merge_implIS3_PlN6thrust23THRUST_200600_302600_NS10device_ptrIlEEjNS1_19radix_merge_compareILb0ELb1ElNS0_19identity_decomposerEEEEE10hipError_tT0_T1_T2_jT3_P12ihipStream_tbPNSt15iterator_traitsISG_E10value_typeEPNSM_ISH_E10value_typeEPSI_NS1_7vsmem_tEENKUlT_SG_SH_SI_E_clIS7_S7_SB_S7_EESF_SV_SG_SH_SI_EUlSV_E0_NS1_11comp_targetILNS1_3genE8ELNS1_11target_archE1030ELNS1_3gpuE2ELNS1_3repE0EEENS1_38merge_mergepath_config_static_selectorELNS0_4arch9wavefront6targetE1EEEvSH_,comdat
	.protected	_ZN7rocprim17ROCPRIM_400000_NS6detail17trampoline_kernelINS0_14default_configENS1_38merge_sort_block_merge_config_selectorIllEEZZNS1_27merge_sort_block_merge_implIS3_PlN6thrust23THRUST_200600_302600_NS10device_ptrIlEEjNS1_19radix_merge_compareILb0ELb1ElNS0_19identity_decomposerEEEEE10hipError_tT0_T1_T2_jT3_P12ihipStream_tbPNSt15iterator_traitsISG_E10value_typeEPNSM_ISH_E10value_typeEPSI_NS1_7vsmem_tEENKUlT_SG_SH_SI_E_clIS7_S7_SB_S7_EESF_SV_SG_SH_SI_EUlSV_E0_NS1_11comp_targetILNS1_3genE8ELNS1_11target_archE1030ELNS1_3gpuE2ELNS1_3repE0EEENS1_38merge_mergepath_config_static_selectorELNS0_4arch9wavefront6targetE1EEEvSH_ ; -- Begin function _ZN7rocprim17ROCPRIM_400000_NS6detail17trampoline_kernelINS0_14default_configENS1_38merge_sort_block_merge_config_selectorIllEEZZNS1_27merge_sort_block_merge_implIS3_PlN6thrust23THRUST_200600_302600_NS10device_ptrIlEEjNS1_19radix_merge_compareILb0ELb1ElNS0_19identity_decomposerEEEEE10hipError_tT0_T1_T2_jT3_P12ihipStream_tbPNSt15iterator_traitsISG_E10value_typeEPNSM_ISH_E10value_typeEPSI_NS1_7vsmem_tEENKUlT_SG_SH_SI_E_clIS7_S7_SB_S7_EESF_SV_SG_SH_SI_EUlSV_E0_NS1_11comp_targetILNS1_3genE8ELNS1_11target_archE1030ELNS1_3gpuE2ELNS1_3repE0EEENS1_38merge_mergepath_config_static_selectorELNS0_4arch9wavefront6targetE1EEEvSH_
	.globl	_ZN7rocprim17ROCPRIM_400000_NS6detail17trampoline_kernelINS0_14default_configENS1_38merge_sort_block_merge_config_selectorIllEEZZNS1_27merge_sort_block_merge_implIS3_PlN6thrust23THRUST_200600_302600_NS10device_ptrIlEEjNS1_19radix_merge_compareILb0ELb1ElNS0_19identity_decomposerEEEEE10hipError_tT0_T1_T2_jT3_P12ihipStream_tbPNSt15iterator_traitsISG_E10value_typeEPNSM_ISH_E10value_typeEPSI_NS1_7vsmem_tEENKUlT_SG_SH_SI_E_clIS7_S7_SB_S7_EESF_SV_SG_SH_SI_EUlSV_E0_NS1_11comp_targetILNS1_3genE8ELNS1_11target_archE1030ELNS1_3gpuE2ELNS1_3repE0EEENS1_38merge_mergepath_config_static_selectorELNS0_4arch9wavefront6targetE1EEEvSH_
	.p2align	8
	.type	_ZN7rocprim17ROCPRIM_400000_NS6detail17trampoline_kernelINS0_14default_configENS1_38merge_sort_block_merge_config_selectorIllEEZZNS1_27merge_sort_block_merge_implIS3_PlN6thrust23THRUST_200600_302600_NS10device_ptrIlEEjNS1_19radix_merge_compareILb0ELb1ElNS0_19identity_decomposerEEEEE10hipError_tT0_T1_T2_jT3_P12ihipStream_tbPNSt15iterator_traitsISG_E10value_typeEPNSM_ISH_E10value_typeEPSI_NS1_7vsmem_tEENKUlT_SG_SH_SI_E_clIS7_S7_SB_S7_EESF_SV_SG_SH_SI_EUlSV_E0_NS1_11comp_targetILNS1_3genE8ELNS1_11target_archE1030ELNS1_3gpuE2ELNS1_3repE0EEENS1_38merge_mergepath_config_static_selectorELNS0_4arch9wavefront6targetE1EEEvSH_,@function
_ZN7rocprim17ROCPRIM_400000_NS6detail17trampoline_kernelINS0_14default_configENS1_38merge_sort_block_merge_config_selectorIllEEZZNS1_27merge_sort_block_merge_implIS3_PlN6thrust23THRUST_200600_302600_NS10device_ptrIlEEjNS1_19radix_merge_compareILb0ELb1ElNS0_19identity_decomposerEEEEE10hipError_tT0_T1_T2_jT3_P12ihipStream_tbPNSt15iterator_traitsISG_E10value_typeEPNSM_ISH_E10value_typeEPSI_NS1_7vsmem_tEENKUlT_SG_SH_SI_E_clIS7_S7_SB_S7_EESF_SV_SG_SH_SI_EUlSV_E0_NS1_11comp_targetILNS1_3genE8ELNS1_11target_archE1030ELNS1_3gpuE2ELNS1_3repE0EEENS1_38merge_mergepath_config_static_selectorELNS0_4arch9wavefront6targetE1EEEvSH_: ; @_ZN7rocprim17ROCPRIM_400000_NS6detail17trampoline_kernelINS0_14default_configENS1_38merge_sort_block_merge_config_selectorIllEEZZNS1_27merge_sort_block_merge_implIS3_PlN6thrust23THRUST_200600_302600_NS10device_ptrIlEEjNS1_19radix_merge_compareILb0ELb1ElNS0_19identity_decomposerEEEEE10hipError_tT0_T1_T2_jT3_P12ihipStream_tbPNSt15iterator_traitsISG_E10value_typeEPNSM_ISH_E10value_typeEPSI_NS1_7vsmem_tEENKUlT_SG_SH_SI_E_clIS7_S7_SB_S7_EESF_SV_SG_SH_SI_EUlSV_E0_NS1_11comp_targetILNS1_3genE8ELNS1_11target_archE1030ELNS1_3gpuE2ELNS1_3repE0EEENS1_38merge_mergepath_config_static_selectorELNS0_4arch9wavefront6targetE1EEEvSH_
; %bb.0:
	.section	.rodata,"a",@progbits
	.p2align	6, 0x0
	.amdhsa_kernel _ZN7rocprim17ROCPRIM_400000_NS6detail17trampoline_kernelINS0_14default_configENS1_38merge_sort_block_merge_config_selectorIllEEZZNS1_27merge_sort_block_merge_implIS3_PlN6thrust23THRUST_200600_302600_NS10device_ptrIlEEjNS1_19radix_merge_compareILb0ELb1ElNS0_19identity_decomposerEEEEE10hipError_tT0_T1_T2_jT3_P12ihipStream_tbPNSt15iterator_traitsISG_E10value_typeEPNSM_ISH_E10value_typeEPSI_NS1_7vsmem_tEENKUlT_SG_SH_SI_E_clIS7_S7_SB_S7_EESF_SV_SG_SH_SI_EUlSV_E0_NS1_11comp_targetILNS1_3genE8ELNS1_11target_archE1030ELNS1_3gpuE2ELNS1_3repE0EEENS1_38merge_mergepath_config_static_selectorELNS0_4arch9wavefront6targetE1EEEvSH_
		.amdhsa_group_segment_fixed_size 0
		.amdhsa_private_segment_fixed_size 0
		.amdhsa_kernarg_size 72
		.amdhsa_user_sgpr_count 6
		.amdhsa_user_sgpr_private_segment_buffer 1
		.amdhsa_user_sgpr_dispatch_ptr 0
		.amdhsa_user_sgpr_queue_ptr 0
		.amdhsa_user_sgpr_kernarg_segment_ptr 1
		.amdhsa_user_sgpr_dispatch_id 0
		.amdhsa_user_sgpr_flat_scratch_init 0
		.amdhsa_user_sgpr_kernarg_preload_length 0
		.amdhsa_user_sgpr_kernarg_preload_offset 0
		.amdhsa_user_sgpr_private_segment_size 0
		.amdhsa_uses_dynamic_stack 0
		.amdhsa_system_sgpr_private_segment_wavefront_offset 0
		.amdhsa_system_sgpr_workgroup_id_x 1
		.amdhsa_system_sgpr_workgroup_id_y 0
		.amdhsa_system_sgpr_workgroup_id_z 0
		.amdhsa_system_sgpr_workgroup_info 0
		.amdhsa_system_vgpr_workitem_id 0
		.amdhsa_next_free_vgpr 1
		.amdhsa_next_free_sgpr 0
		.amdhsa_accum_offset 4
		.amdhsa_reserve_vcc 0
		.amdhsa_reserve_flat_scratch 0
		.amdhsa_float_round_mode_32 0
		.amdhsa_float_round_mode_16_64 0
		.amdhsa_float_denorm_mode_32 3
		.amdhsa_float_denorm_mode_16_64 3
		.amdhsa_dx10_clamp 1
		.amdhsa_ieee_mode 1
		.amdhsa_fp16_overflow 0
		.amdhsa_tg_split 0
		.amdhsa_exception_fp_ieee_invalid_op 0
		.amdhsa_exception_fp_denorm_src 0
		.amdhsa_exception_fp_ieee_div_zero 0
		.amdhsa_exception_fp_ieee_overflow 0
		.amdhsa_exception_fp_ieee_underflow 0
		.amdhsa_exception_fp_ieee_inexact 0
		.amdhsa_exception_int_div_zero 0
	.end_amdhsa_kernel
	.section	.text._ZN7rocprim17ROCPRIM_400000_NS6detail17trampoline_kernelINS0_14default_configENS1_38merge_sort_block_merge_config_selectorIllEEZZNS1_27merge_sort_block_merge_implIS3_PlN6thrust23THRUST_200600_302600_NS10device_ptrIlEEjNS1_19radix_merge_compareILb0ELb1ElNS0_19identity_decomposerEEEEE10hipError_tT0_T1_T2_jT3_P12ihipStream_tbPNSt15iterator_traitsISG_E10value_typeEPNSM_ISH_E10value_typeEPSI_NS1_7vsmem_tEENKUlT_SG_SH_SI_E_clIS7_S7_SB_S7_EESF_SV_SG_SH_SI_EUlSV_E0_NS1_11comp_targetILNS1_3genE8ELNS1_11target_archE1030ELNS1_3gpuE2ELNS1_3repE0EEENS1_38merge_mergepath_config_static_selectorELNS0_4arch9wavefront6targetE1EEEvSH_,"axG",@progbits,_ZN7rocprim17ROCPRIM_400000_NS6detail17trampoline_kernelINS0_14default_configENS1_38merge_sort_block_merge_config_selectorIllEEZZNS1_27merge_sort_block_merge_implIS3_PlN6thrust23THRUST_200600_302600_NS10device_ptrIlEEjNS1_19radix_merge_compareILb0ELb1ElNS0_19identity_decomposerEEEEE10hipError_tT0_T1_T2_jT3_P12ihipStream_tbPNSt15iterator_traitsISG_E10value_typeEPNSM_ISH_E10value_typeEPSI_NS1_7vsmem_tEENKUlT_SG_SH_SI_E_clIS7_S7_SB_S7_EESF_SV_SG_SH_SI_EUlSV_E0_NS1_11comp_targetILNS1_3genE8ELNS1_11target_archE1030ELNS1_3gpuE2ELNS1_3repE0EEENS1_38merge_mergepath_config_static_selectorELNS0_4arch9wavefront6targetE1EEEvSH_,comdat
.Lfunc_end1105:
	.size	_ZN7rocprim17ROCPRIM_400000_NS6detail17trampoline_kernelINS0_14default_configENS1_38merge_sort_block_merge_config_selectorIllEEZZNS1_27merge_sort_block_merge_implIS3_PlN6thrust23THRUST_200600_302600_NS10device_ptrIlEEjNS1_19radix_merge_compareILb0ELb1ElNS0_19identity_decomposerEEEEE10hipError_tT0_T1_T2_jT3_P12ihipStream_tbPNSt15iterator_traitsISG_E10value_typeEPNSM_ISH_E10value_typeEPSI_NS1_7vsmem_tEENKUlT_SG_SH_SI_E_clIS7_S7_SB_S7_EESF_SV_SG_SH_SI_EUlSV_E0_NS1_11comp_targetILNS1_3genE8ELNS1_11target_archE1030ELNS1_3gpuE2ELNS1_3repE0EEENS1_38merge_mergepath_config_static_selectorELNS0_4arch9wavefront6targetE1EEEvSH_, .Lfunc_end1105-_ZN7rocprim17ROCPRIM_400000_NS6detail17trampoline_kernelINS0_14default_configENS1_38merge_sort_block_merge_config_selectorIllEEZZNS1_27merge_sort_block_merge_implIS3_PlN6thrust23THRUST_200600_302600_NS10device_ptrIlEEjNS1_19radix_merge_compareILb0ELb1ElNS0_19identity_decomposerEEEEE10hipError_tT0_T1_T2_jT3_P12ihipStream_tbPNSt15iterator_traitsISG_E10value_typeEPNSM_ISH_E10value_typeEPSI_NS1_7vsmem_tEENKUlT_SG_SH_SI_E_clIS7_S7_SB_S7_EESF_SV_SG_SH_SI_EUlSV_E0_NS1_11comp_targetILNS1_3genE8ELNS1_11target_archE1030ELNS1_3gpuE2ELNS1_3repE0EEENS1_38merge_mergepath_config_static_selectorELNS0_4arch9wavefront6targetE1EEEvSH_
                                        ; -- End function
	.section	.AMDGPU.csdata,"",@progbits
; Kernel info:
; codeLenInByte = 0
; NumSgprs: 4
; NumVgprs: 0
; NumAgprs: 0
; TotalNumVgprs: 0
; ScratchSize: 0
; MemoryBound: 0
; FloatMode: 240
; IeeeMode: 1
; LDSByteSize: 0 bytes/workgroup (compile time only)
; SGPRBlocks: 0
; VGPRBlocks: 0
; NumSGPRsForWavesPerEU: 4
; NumVGPRsForWavesPerEU: 1
; AccumOffset: 4
; Occupancy: 8
; WaveLimiterHint : 0
; COMPUTE_PGM_RSRC2:SCRATCH_EN: 0
; COMPUTE_PGM_RSRC2:USER_SGPR: 6
; COMPUTE_PGM_RSRC2:TRAP_HANDLER: 0
; COMPUTE_PGM_RSRC2:TGID_X_EN: 1
; COMPUTE_PGM_RSRC2:TGID_Y_EN: 0
; COMPUTE_PGM_RSRC2:TGID_Z_EN: 0
; COMPUTE_PGM_RSRC2:TIDIG_COMP_CNT: 0
; COMPUTE_PGM_RSRC3_GFX90A:ACCUM_OFFSET: 0
; COMPUTE_PGM_RSRC3_GFX90A:TG_SPLIT: 0
	.section	.text._ZN7rocprim17ROCPRIM_400000_NS6detail17trampoline_kernelINS0_14default_configENS1_38merge_sort_block_merge_config_selectorIllEEZZNS1_27merge_sort_block_merge_implIS3_PlN6thrust23THRUST_200600_302600_NS10device_ptrIlEEjNS1_19radix_merge_compareILb0ELb1ElNS0_19identity_decomposerEEEEE10hipError_tT0_T1_T2_jT3_P12ihipStream_tbPNSt15iterator_traitsISG_E10value_typeEPNSM_ISH_E10value_typeEPSI_NS1_7vsmem_tEENKUlT_SG_SH_SI_E_clIS7_S7_SB_S7_EESF_SV_SG_SH_SI_EUlSV_E1_NS1_11comp_targetILNS1_3genE0ELNS1_11target_archE4294967295ELNS1_3gpuE0ELNS1_3repE0EEENS1_36merge_oddeven_config_static_selectorELNS0_4arch9wavefront6targetE1EEEvSH_,"axG",@progbits,_ZN7rocprim17ROCPRIM_400000_NS6detail17trampoline_kernelINS0_14default_configENS1_38merge_sort_block_merge_config_selectorIllEEZZNS1_27merge_sort_block_merge_implIS3_PlN6thrust23THRUST_200600_302600_NS10device_ptrIlEEjNS1_19radix_merge_compareILb0ELb1ElNS0_19identity_decomposerEEEEE10hipError_tT0_T1_T2_jT3_P12ihipStream_tbPNSt15iterator_traitsISG_E10value_typeEPNSM_ISH_E10value_typeEPSI_NS1_7vsmem_tEENKUlT_SG_SH_SI_E_clIS7_S7_SB_S7_EESF_SV_SG_SH_SI_EUlSV_E1_NS1_11comp_targetILNS1_3genE0ELNS1_11target_archE4294967295ELNS1_3gpuE0ELNS1_3repE0EEENS1_36merge_oddeven_config_static_selectorELNS0_4arch9wavefront6targetE1EEEvSH_,comdat
	.protected	_ZN7rocprim17ROCPRIM_400000_NS6detail17trampoline_kernelINS0_14default_configENS1_38merge_sort_block_merge_config_selectorIllEEZZNS1_27merge_sort_block_merge_implIS3_PlN6thrust23THRUST_200600_302600_NS10device_ptrIlEEjNS1_19radix_merge_compareILb0ELb1ElNS0_19identity_decomposerEEEEE10hipError_tT0_T1_T2_jT3_P12ihipStream_tbPNSt15iterator_traitsISG_E10value_typeEPNSM_ISH_E10value_typeEPSI_NS1_7vsmem_tEENKUlT_SG_SH_SI_E_clIS7_S7_SB_S7_EESF_SV_SG_SH_SI_EUlSV_E1_NS1_11comp_targetILNS1_3genE0ELNS1_11target_archE4294967295ELNS1_3gpuE0ELNS1_3repE0EEENS1_36merge_oddeven_config_static_selectorELNS0_4arch9wavefront6targetE1EEEvSH_ ; -- Begin function _ZN7rocprim17ROCPRIM_400000_NS6detail17trampoline_kernelINS0_14default_configENS1_38merge_sort_block_merge_config_selectorIllEEZZNS1_27merge_sort_block_merge_implIS3_PlN6thrust23THRUST_200600_302600_NS10device_ptrIlEEjNS1_19radix_merge_compareILb0ELb1ElNS0_19identity_decomposerEEEEE10hipError_tT0_T1_T2_jT3_P12ihipStream_tbPNSt15iterator_traitsISG_E10value_typeEPNSM_ISH_E10value_typeEPSI_NS1_7vsmem_tEENKUlT_SG_SH_SI_E_clIS7_S7_SB_S7_EESF_SV_SG_SH_SI_EUlSV_E1_NS1_11comp_targetILNS1_3genE0ELNS1_11target_archE4294967295ELNS1_3gpuE0ELNS1_3repE0EEENS1_36merge_oddeven_config_static_selectorELNS0_4arch9wavefront6targetE1EEEvSH_
	.globl	_ZN7rocprim17ROCPRIM_400000_NS6detail17trampoline_kernelINS0_14default_configENS1_38merge_sort_block_merge_config_selectorIllEEZZNS1_27merge_sort_block_merge_implIS3_PlN6thrust23THRUST_200600_302600_NS10device_ptrIlEEjNS1_19radix_merge_compareILb0ELb1ElNS0_19identity_decomposerEEEEE10hipError_tT0_T1_T2_jT3_P12ihipStream_tbPNSt15iterator_traitsISG_E10value_typeEPNSM_ISH_E10value_typeEPSI_NS1_7vsmem_tEENKUlT_SG_SH_SI_E_clIS7_S7_SB_S7_EESF_SV_SG_SH_SI_EUlSV_E1_NS1_11comp_targetILNS1_3genE0ELNS1_11target_archE4294967295ELNS1_3gpuE0ELNS1_3repE0EEENS1_36merge_oddeven_config_static_selectorELNS0_4arch9wavefront6targetE1EEEvSH_
	.p2align	8
	.type	_ZN7rocprim17ROCPRIM_400000_NS6detail17trampoline_kernelINS0_14default_configENS1_38merge_sort_block_merge_config_selectorIllEEZZNS1_27merge_sort_block_merge_implIS3_PlN6thrust23THRUST_200600_302600_NS10device_ptrIlEEjNS1_19radix_merge_compareILb0ELb1ElNS0_19identity_decomposerEEEEE10hipError_tT0_T1_T2_jT3_P12ihipStream_tbPNSt15iterator_traitsISG_E10value_typeEPNSM_ISH_E10value_typeEPSI_NS1_7vsmem_tEENKUlT_SG_SH_SI_E_clIS7_S7_SB_S7_EESF_SV_SG_SH_SI_EUlSV_E1_NS1_11comp_targetILNS1_3genE0ELNS1_11target_archE4294967295ELNS1_3gpuE0ELNS1_3repE0EEENS1_36merge_oddeven_config_static_selectorELNS0_4arch9wavefront6targetE1EEEvSH_,@function
_ZN7rocprim17ROCPRIM_400000_NS6detail17trampoline_kernelINS0_14default_configENS1_38merge_sort_block_merge_config_selectorIllEEZZNS1_27merge_sort_block_merge_implIS3_PlN6thrust23THRUST_200600_302600_NS10device_ptrIlEEjNS1_19radix_merge_compareILb0ELb1ElNS0_19identity_decomposerEEEEE10hipError_tT0_T1_T2_jT3_P12ihipStream_tbPNSt15iterator_traitsISG_E10value_typeEPNSM_ISH_E10value_typeEPSI_NS1_7vsmem_tEENKUlT_SG_SH_SI_E_clIS7_S7_SB_S7_EESF_SV_SG_SH_SI_EUlSV_E1_NS1_11comp_targetILNS1_3genE0ELNS1_11target_archE4294967295ELNS1_3gpuE0ELNS1_3repE0EEENS1_36merge_oddeven_config_static_selectorELNS0_4arch9wavefront6targetE1EEEvSH_: ; @_ZN7rocprim17ROCPRIM_400000_NS6detail17trampoline_kernelINS0_14default_configENS1_38merge_sort_block_merge_config_selectorIllEEZZNS1_27merge_sort_block_merge_implIS3_PlN6thrust23THRUST_200600_302600_NS10device_ptrIlEEjNS1_19radix_merge_compareILb0ELb1ElNS0_19identity_decomposerEEEEE10hipError_tT0_T1_T2_jT3_P12ihipStream_tbPNSt15iterator_traitsISG_E10value_typeEPNSM_ISH_E10value_typeEPSI_NS1_7vsmem_tEENKUlT_SG_SH_SI_E_clIS7_S7_SB_S7_EESF_SV_SG_SH_SI_EUlSV_E1_NS1_11comp_targetILNS1_3genE0ELNS1_11target_archE4294967295ELNS1_3gpuE0ELNS1_3repE0EEENS1_36merge_oddeven_config_static_selectorELNS0_4arch9wavefront6targetE1EEEvSH_
; %bb.0:
	.section	.rodata,"a",@progbits
	.p2align	6, 0x0
	.amdhsa_kernel _ZN7rocprim17ROCPRIM_400000_NS6detail17trampoline_kernelINS0_14default_configENS1_38merge_sort_block_merge_config_selectorIllEEZZNS1_27merge_sort_block_merge_implIS3_PlN6thrust23THRUST_200600_302600_NS10device_ptrIlEEjNS1_19radix_merge_compareILb0ELb1ElNS0_19identity_decomposerEEEEE10hipError_tT0_T1_T2_jT3_P12ihipStream_tbPNSt15iterator_traitsISG_E10value_typeEPNSM_ISH_E10value_typeEPSI_NS1_7vsmem_tEENKUlT_SG_SH_SI_E_clIS7_S7_SB_S7_EESF_SV_SG_SH_SI_EUlSV_E1_NS1_11comp_targetILNS1_3genE0ELNS1_11target_archE4294967295ELNS1_3gpuE0ELNS1_3repE0EEENS1_36merge_oddeven_config_static_selectorELNS0_4arch9wavefront6targetE1EEEvSH_
		.amdhsa_group_segment_fixed_size 0
		.amdhsa_private_segment_fixed_size 0
		.amdhsa_kernarg_size 48
		.amdhsa_user_sgpr_count 6
		.amdhsa_user_sgpr_private_segment_buffer 1
		.amdhsa_user_sgpr_dispatch_ptr 0
		.amdhsa_user_sgpr_queue_ptr 0
		.amdhsa_user_sgpr_kernarg_segment_ptr 1
		.amdhsa_user_sgpr_dispatch_id 0
		.amdhsa_user_sgpr_flat_scratch_init 0
		.amdhsa_user_sgpr_kernarg_preload_length 0
		.amdhsa_user_sgpr_kernarg_preload_offset 0
		.amdhsa_user_sgpr_private_segment_size 0
		.amdhsa_uses_dynamic_stack 0
		.amdhsa_system_sgpr_private_segment_wavefront_offset 0
		.amdhsa_system_sgpr_workgroup_id_x 1
		.amdhsa_system_sgpr_workgroup_id_y 0
		.amdhsa_system_sgpr_workgroup_id_z 0
		.amdhsa_system_sgpr_workgroup_info 0
		.amdhsa_system_vgpr_workitem_id 0
		.amdhsa_next_free_vgpr 1
		.amdhsa_next_free_sgpr 0
		.amdhsa_accum_offset 4
		.amdhsa_reserve_vcc 0
		.amdhsa_reserve_flat_scratch 0
		.amdhsa_float_round_mode_32 0
		.amdhsa_float_round_mode_16_64 0
		.amdhsa_float_denorm_mode_32 3
		.amdhsa_float_denorm_mode_16_64 3
		.amdhsa_dx10_clamp 1
		.amdhsa_ieee_mode 1
		.amdhsa_fp16_overflow 0
		.amdhsa_tg_split 0
		.amdhsa_exception_fp_ieee_invalid_op 0
		.amdhsa_exception_fp_denorm_src 0
		.amdhsa_exception_fp_ieee_div_zero 0
		.amdhsa_exception_fp_ieee_overflow 0
		.amdhsa_exception_fp_ieee_underflow 0
		.amdhsa_exception_fp_ieee_inexact 0
		.amdhsa_exception_int_div_zero 0
	.end_amdhsa_kernel
	.section	.text._ZN7rocprim17ROCPRIM_400000_NS6detail17trampoline_kernelINS0_14default_configENS1_38merge_sort_block_merge_config_selectorIllEEZZNS1_27merge_sort_block_merge_implIS3_PlN6thrust23THRUST_200600_302600_NS10device_ptrIlEEjNS1_19radix_merge_compareILb0ELb1ElNS0_19identity_decomposerEEEEE10hipError_tT0_T1_T2_jT3_P12ihipStream_tbPNSt15iterator_traitsISG_E10value_typeEPNSM_ISH_E10value_typeEPSI_NS1_7vsmem_tEENKUlT_SG_SH_SI_E_clIS7_S7_SB_S7_EESF_SV_SG_SH_SI_EUlSV_E1_NS1_11comp_targetILNS1_3genE0ELNS1_11target_archE4294967295ELNS1_3gpuE0ELNS1_3repE0EEENS1_36merge_oddeven_config_static_selectorELNS0_4arch9wavefront6targetE1EEEvSH_,"axG",@progbits,_ZN7rocprim17ROCPRIM_400000_NS6detail17trampoline_kernelINS0_14default_configENS1_38merge_sort_block_merge_config_selectorIllEEZZNS1_27merge_sort_block_merge_implIS3_PlN6thrust23THRUST_200600_302600_NS10device_ptrIlEEjNS1_19radix_merge_compareILb0ELb1ElNS0_19identity_decomposerEEEEE10hipError_tT0_T1_T2_jT3_P12ihipStream_tbPNSt15iterator_traitsISG_E10value_typeEPNSM_ISH_E10value_typeEPSI_NS1_7vsmem_tEENKUlT_SG_SH_SI_E_clIS7_S7_SB_S7_EESF_SV_SG_SH_SI_EUlSV_E1_NS1_11comp_targetILNS1_3genE0ELNS1_11target_archE4294967295ELNS1_3gpuE0ELNS1_3repE0EEENS1_36merge_oddeven_config_static_selectorELNS0_4arch9wavefront6targetE1EEEvSH_,comdat
.Lfunc_end1106:
	.size	_ZN7rocprim17ROCPRIM_400000_NS6detail17trampoline_kernelINS0_14default_configENS1_38merge_sort_block_merge_config_selectorIllEEZZNS1_27merge_sort_block_merge_implIS3_PlN6thrust23THRUST_200600_302600_NS10device_ptrIlEEjNS1_19radix_merge_compareILb0ELb1ElNS0_19identity_decomposerEEEEE10hipError_tT0_T1_T2_jT3_P12ihipStream_tbPNSt15iterator_traitsISG_E10value_typeEPNSM_ISH_E10value_typeEPSI_NS1_7vsmem_tEENKUlT_SG_SH_SI_E_clIS7_S7_SB_S7_EESF_SV_SG_SH_SI_EUlSV_E1_NS1_11comp_targetILNS1_3genE0ELNS1_11target_archE4294967295ELNS1_3gpuE0ELNS1_3repE0EEENS1_36merge_oddeven_config_static_selectorELNS0_4arch9wavefront6targetE1EEEvSH_, .Lfunc_end1106-_ZN7rocprim17ROCPRIM_400000_NS6detail17trampoline_kernelINS0_14default_configENS1_38merge_sort_block_merge_config_selectorIllEEZZNS1_27merge_sort_block_merge_implIS3_PlN6thrust23THRUST_200600_302600_NS10device_ptrIlEEjNS1_19radix_merge_compareILb0ELb1ElNS0_19identity_decomposerEEEEE10hipError_tT0_T1_T2_jT3_P12ihipStream_tbPNSt15iterator_traitsISG_E10value_typeEPNSM_ISH_E10value_typeEPSI_NS1_7vsmem_tEENKUlT_SG_SH_SI_E_clIS7_S7_SB_S7_EESF_SV_SG_SH_SI_EUlSV_E1_NS1_11comp_targetILNS1_3genE0ELNS1_11target_archE4294967295ELNS1_3gpuE0ELNS1_3repE0EEENS1_36merge_oddeven_config_static_selectorELNS0_4arch9wavefront6targetE1EEEvSH_
                                        ; -- End function
	.section	.AMDGPU.csdata,"",@progbits
; Kernel info:
; codeLenInByte = 0
; NumSgprs: 4
; NumVgprs: 0
; NumAgprs: 0
; TotalNumVgprs: 0
; ScratchSize: 0
; MemoryBound: 0
; FloatMode: 240
; IeeeMode: 1
; LDSByteSize: 0 bytes/workgroup (compile time only)
; SGPRBlocks: 0
; VGPRBlocks: 0
; NumSGPRsForWavesPerEU: 4
; NumVGPRsForWavesPerEU: 1
; AccumOffset: 4
; Occupancy: 8
; WaveLimiterHint : 0
; COMPUTE_PGM_RSRC2:SCRATCH_EN: 0
; COMPUTE_PGM_RSRC2:USER_SGPR: 6
; COMPUTE_PGM_RSRC2:TRAP_HANDLER: 0
; COMPUTE_PGM_RSRC2:TGID_X_EN: 1
; COMPUTE_PGM_RSRC2:TGID_Y_EN: 0
; COMPUTE_PGM_RSRC2:TGID_Z_EN: 0
; COMPUTE_PGM_RSRC2:TIDIG_COMP_CNT: 0
; COMPUTE_PGM_RSRC3_GFX90A:ACCUM_OFFSET: 0
; COMPUTE_PGM_RSRC3_GFX90A:TG_SPLIT: 0
	.section	.text._ZN7rocprim17ROCPRIM_400000_NS6detail17trampoline_kernelINS0_14default_configENS1_38merge_sort_block_merge_config_selectorIllEEZZNS1_27merge_sort_block_merge_implIS3_PlN6thrust23THRUST_200600_302600_NS10device_ptrIlEEjNS1_19radix_merge_compareILb0ELb1ElNS0_19identity_decomposerEEEEE10hipError_tT0_T1_T2_jT3_P12ihipStream_tbPNSt15iterator_traitsISG_E10value_typeEPNSM_ISH_E10value_typeEPSI_NS1_7vsmem_tEENKUlT_SG_SH_SI_E_clIS7_S7_SB_S7_EESF_SV_SG_SH_SI_EUlSV_E1_NS1_11comp_targetILNS1_3genE10ELNS1_11target_archE1201ELNS1_3gpuE5ELNS1_3repE0EEENS1_36merge_oddeven_config_static_selectorELNS0_4arch9wavefront6targetE1EEEvSH_,"axG",@progbits,_ZN7rocprim17ROCPRIM_400000_NS6detail17trampoline_kernelINS0_14default_configENS1_38merge_sort_block_merge_config_selectorIllEEZZNS1_27merge_sort_block_merge_implIS3_PlN6thrust23THRUST_200600_302600_NS10device_ptrIlEEjNS1_19radix_merge_compareILb0ELb1ElNS0_19identity_decomposerEEEEE10hipError_tT0_T1_T2_jT3_P12ihipStream_tbPNSt15iterator_traitsISG_E10value_typeEPNSM_ISH_E10value_typeEPSI_NS1_7vsmem_tEENKUlT_SG_SH_SI_E_clIS7_S7_SB_S7_EESF_SV_SG_SH_SI_EUlSV_E1_NS1_11comp_targetILNS1_3genE10ELNS1_11target_archE1201ELNS1_3gpuE5ELNS1_3repE0EEENS1_36merge_oddeven_config_static_selectorELNS0_4arch9wavefront6targetE1EEEvSH_,comdat
	.protected	_ZN7rocprim17ROCPRIM_400000_NS6detail17trampoline_kernelINS0_14default_configENS1_38merge_sort_block_merge_config_selectorIllEEZZNS1_27merge_sort_block_merge_implIS3_PlN6thrust23THRUST_200600_302600_NS10device_ptrIlEEjNS1_19radix_merge_compareILb0ELb1ElNS0_19identity_decomposerEEEEE10hipError_tT0_T1_T2_jT3_P12ihipStream_tbPNSt15iterator_traitsISG_E10value_typeEPNSM_ISH_E10value_typeEPSI_NS1_7vsmem_tEENKUlT_SG_SH_SI_E_clIS7_S7_SB_S7_EESF_SV_SG_SH_SI_EUlSV_E1_NS1_11comp_targetILNS1_3genE10ELNS1_11target_archE1201ELNS1_3gpuE5ELNS1_3repE0EEENS1_36merge_oddeven_config_static_selectorELNS0_4arch9wavefront6targetE1EEEvSH_ ; -- Begin function _ZN7rocprim17ROCPRIM_400000_NS6detail17trampoline_kernelINS0_14default_configENS1_38merge_sort_block_merge_config_selectorIllEEZZNS1_27merge_sort_block_merge_implIS3_PlN6thrust23THRUST_200600_302600_NS10device_ptrIlEEjNS1_19radix_merge_compareILb0ELb1ElNS0_19identity_decomposerEEEEE10hipError_tT0_T1_T2_jT3_P12ihipStream_tbPNSt15iterator_traitsISG_E10value_typeEPNSM_ISH_E10value_typeEPSI_NS1_7vsmem_tEENKUlT_SG_SH_SI_E_clIS7_S7_SB_S7_EESF_SV_SG_SH_SI_EUlSV_E1_NS1_11comp_targetILNS1_3genE10ELNS1_11target_archE1201ELNS1_3gpuE5ELNS1_3repE0EEENS1_36merge_oddeven_config_static_selectorELNS0_4arch9wavefront6targetE1EEEvSH_
	.globl	_ZN7rocprim17ROCPRIM_400000_NS6detail17trampoline_kernelINS0_14default_configENS1_38merge_sort_block_merge_config_selectorIllEEZZNS1_27merge_sort_block_merge_implIS3_PlN6thrust23THRUST_200600_302600_NS10device_ptrIlEEjNS1_19radix_merge_compareILb0ELb1ElNS0_19identity_decomposerEEEEE10hipError_tT0_T1_T2_jT3_P12ihipStream_tbPNSt15iterator_traitsISG_E10value_typeEPNSM_ISH_E10value_typeEPSI_NS1_7vsmem_tEENKUlT_SG_SH_SI_E_clIS7_S7_SB_S7_EESF_SV_SG_SH_SI_EUlSV_E1_NS1_11comp_targetILNS1_3genE10ELNS1_11target_archE1201ELNS1_3gpuE5ELNS1_3repE0EEENS1_36merge_oddeven_config_static_selectorELNS0_4arch9wavefront6targetE1EEEvSH_
	.p2align	8
	.type	_ZN7rocprim17ROCPRIM_400000_NS6detail17trampoline_kernelINS0_14default_configENS1_38merge_sort_block_merge_config_selectorIllEEZZNS1_27merge_sort_block_merge_implIS3_PlN6thrust23THRUST_200600_302600_NS10device_ptrIlEEjNS1_19radix_merge_compareILb0ELb1ElNS0_19identity_decomposerEEEEE10hipError_tT0_T1_T2_jT3_P12ihipStream_tbPNSt15iterator_traitsISG_E10value_typeEPNSM_ISH_E10value_typeEPSI_NS1_7vsmem_tEENKUlT_SG_SH_SI_E_clIS7_S7_SB_S7_EESF_SV_SG_SH_SI_EUlSV_E1_NS1_11comp_targetILNS1_3genE10ELNS1_11target_archE1201ELNS1_3gpuE5ELNS1_3repE0EEENS1_36merge_oddeven_config_static_selectorELNS0_4arch9wavefront6targetE1EEEvSH_,@function
_ZN7rocprim17ROCPRIM_400000_NS6detail17trampoline_kernelINS0_14default_configENS1_38merge_sort_block_merge_config_selectorIllEEZZNS1_27merge_sort_block_merge_implIS3_PlN6thrust23THRUST_200600_302600_NS10device_ptrIlEEjNS1_19radix_merge_compareILb0ELb1ElNS0_19identity_decomposerEEEEE10hipError_tT0_T1_T2_jT3_P12ihipStream_tbPNSt15iterator_traitsISG_E10value_typeEPNSM_ISH_E10value_typeEPSI_NS1_7vsmem_tEENKUlT_SG_SH_SI_E_clIS7_S7_SB_S7_EESF_SV_SG_SH_SI_EUlSV_E1_NS1_11comp_targetILNS1_3genE10ELNS1_11target_archE1201ELNS1_3gpuE5ELNS1_3repE0EEENS1_36merge_oddeven_config_static_selectorELNS0_4arch9wavefront6targetE1EEEvSH_: ; @_ZN7rocprim17ROCPRIM_400000_NS6detail17trampoline_kernelINS0_14default_configENS1_38merge_sort_block_merge_config_selectorIllEEZZNS1_27merge_sort_block_merge_implIS3_PlN6thrust23THRUST_200600_302600_NS10device_ptrIlEEjNS1_19radix_merge_compareILb0ELb1ElNS0_19identity_decomposerEEEEE10hipError_tT0_T1_T2_jT3_P12ihipStream_tbPNSt15iterator_traitsISG_E10value_typeEPNSM_ISH_E10value_typeEPSI_NS1_7vsmem_tEENKUlT_SG_SH_SI_E_clIS7_S7_SB_S7_EESF_SV_SG_SH_SI_EUlSV_E1_NS1_11comp_targetILNS1_3genE10ELNS1_11target_archE1201ELNS1_3gpuE5ELNS1_3repE0EEENS1_36merge_oddeven_config_static_selectorELNS0_4arch9wavefront6targetE1EEEvSH_
; %bb.0:
	.section	.rodata,"a",@progbits
	.p2align	6, 0x0
	.amdhsa_kernel _ZN7rocprim17ROCPRIM_400000_NS6detail17trampoline_kernelINS0_14default_configENS1_38merge_sort_block_merge_config_selectorIllEEZZNS1_27merge_sort_block_merge_implIS3_PlN6thrust23THRUST_200600_302600_NS10device_ptrIlEEjNS1_19radix_merge_compareILb0ELb1ElNS0_19identity_decomposerEEEEE10hipError_tT0_T1_T2_jT3_P12ihipStream_tbPNSt15iterator_traitsISG_E10value_typeEPNSM_ISH_E10value_typeEPSI_NS1_7vsmem_tEENKUlT_SG_SH_SI_E_clIS7_S7_SB_S7_EESF_SV_SG_SH_SI_EUlSV_E1_NS1_11comp_targetILNS1_3genE10ELNS1_11target_archE1201ELNS1_3gpuE5ELNS1_3repE0EEENS1_36merge_oddeven_config_static_selectorELNS0_4arch9wavefront6targetE1EEEvSH_
		.amdhsa_group_segment_fixed_size 0
		.amdhsa_private_segment_fixed_size 0
		.amdhsa_kernarg_size 48
		.amdhsa_user_sgpr_count 6
		.amdhsa_user_sgpr_private_segment_buffer 1
		.amdhsa_user_sgpr_dispatch_ptr 0
		.amdhsa_user_sgpr_queue_ptr 0
		.amdhsa_user_sgpr_kernarg_segment_ptr 1
		.amdhsa_user_sgpr_dispatch_id 0
		.amdhsa_user_sgpr_flat_scratch_init 0
		.amdhsa_user_sgpr_kernarg_preload_length 0
		.amdhsa_user_sgpr_kernarg_preload_offset 0
		.amdhsa_user_sgpr_private_segment_size 0
		.amdhsa_uses_dynamic_stack 0
		.amdhsa_system_sgpr_private_segment_wavefront_offset 0
		.amdhsa_system_sgpr_workgroup_id_x 1
		.amdhsa_system_sgpr_workgroup_id_y 0
		.amdhsa_system_sgpr_workgroup_id_z 0
		.amdhsa_system_sgpr_workgroup_info 0
		.amdhsa_system_vgpr_workitem_id 0
		.amdhsa_next_free_vgpr 1
		.amdhsa_next_free_sgpr 0
		.amdhsa_accum_offset 4
		.amdhsa_reserve_vcc 0
		.amdhsa_reserve_flat_scratch 0
		.amdhsa_float_round_mode_32 0
		.amdhsa_float_round_mode_16_64 0
		.amdhsa_float_denorm_mode_32 3
		.amdhsa_float_denorm_mode_16_64 3
		.amdhsa_dx10_clamp 1
		.amdhsa_ieee_mode 1
		.amdhsa_fp16_overflow 0
		.amdhsa_tg_split 0
		.amdhsa_exception_fp_ieee_invalid_op 0
		.amdhsa_exception_fp_denorm_src 0
		.amdhsa_exception_fp_ieee_div_zero 0
		.amdhsa_exception_fp_ieee_overflow 0
		.amdhsa_exception_fp_ieee_underflow 0
		.amdhsa_exception_fp_ieee_inexact 0
		.amdhsa_exception_int_div_zero 0
	.end_amdhsa_kernel
	.section	.text._ZN7rocprim17ROCPRIM_400000_NS6detail17trampoline_kernelINS0_14default_configENS1_38merge_sort_block_merge_config_selectorIllEEZZNS1_27merge_sort_block_merge_implIS3_PlN6thrust23THRUST_200600_302600_NS10device_ptrIlEEjNS1_19radix_merge_compareILb0ELb1ElNS0_19identity_decomposerEEEEE10hipError_tT0_T1_T2_jT3_P12ihipStream_tbPNSt15iterator_traitsISG_E10value_typeEPNSM_ISH_E10value_typeEPSI_NS1_7vsmem_tEENKUlT_SG_SH_SI_E_clIS7_S7_SB_S7_EESF_SV_SG_SH_SI_EUlSV_E1_NS1_11comp_targetILNS1_3genE10ELNS1_11target_archE1201ELNS1_3gpuE5ELNS1_3repE0EEENS1_36merge_oddeven_config_static_selectorELNS0_4arch9wavefront6targetE1EEEvSH_,"axG",@progbits,_ZN7rocprim17ROCPRIM_400000_NS6detail17trampoline_kernelINS0_14default_configENS1_38merge_sort_block_merge_config_selectorIllEEZZNS1_27merge_sort_block_merge_implIS3_PlN6thrust23THRUST_200600_302600_NS10device_ptrIlEEjNS1_19radix_merge_compareILb0ELb1ElNS0_19identity_decomposerEEEEE10hipError_tT0_T1_T2_jT3_P12ihipStream_tbPNSt15iterator_traitsISG_E10value_typeEPNSM_ISH_E10value_typeEPSI_NS1_7vsmem_tEENKUlT_SG_SH_SI_E_clIS7_S7_SB_S7_EESF_SV_SG_SH_SI_EUlSV_E1_NS1_11comp_targetILNS1_3genE10ELNS1_11target_archE1201ELNS1_3gpuE5ELNS1_3repE0EEENS1_36merge_oddeven_config_static_selectorELNS0_4arch9wavefront6targetE1EEEvSH_,comdat
.Lfunc_end1107:
	.size	_ZN7rocprim17ROCPRIM_400000_NS6detail17trampoline_kernelINS0_14default_configENS1_38merge_sort_block_merge_config_selectorIllEEZZNS1_27merge_sort_block_merge_implIS3_PlN6thrust23THRUST_200600_302600_NS10device_ptrIlEEjNS1_19radix_merge_compareILb0ELb1ElNS0_19identity_decomposerEEEEE10hipError_tT0_T1_T2_jT3_P12ihipStream_tbPNSt15iterator_traitsISG_E10value_typeEPNSM_ISH_E10value_typeEPSI_NS1_7vsmem_tEENKUlT_SG_SH_SI_E_clIS7_S7_SB_S7_EESF_SV_SG_SH_SI_EUlSV_E1_NS1_11comp_targetILNS1_3genE10ELNS1_11target_archE1201ELNS1_3gpuE5ELNS1_3repE0EEENS1_36merge_oddeven_config_static_selectorELNS0_4arch9wavefront6targetE1EEEvSH_, .Lfunc_end1107-_ZN7rocprim17ROCPRIM_400000_NS6detail17trampoline_kernelINS0_14default_configENS1_38merge_sort_block_merge_config_selectorIllEEZZNS1_27merge_sort_block_merge_implIS3_PlN6thrust23THRUST_200600_302600_NS10device_ptrIlEEjNS1_19radix_merge_compareILb0ELb1ElNS0_19identity_decomposerEEEEE10hipError_tT0_T1_T2_jT3_P12ihipStream_tbPNSt15iterator_traitsISG_E10value_typeEPNSM_ISH_E10value_typeEPSI_NS1_7vsmem_tEENKUlT_SG_SH_SI_E_clIS7_S7_SB_S7_EESF_SV_SG_SH_SI_EUlSV_E1_NS1_11comp_targetILNS1_3genE10ELNS1_11target_archE1201ELNS1_3gpuE5ELNS1_3repE0EEENS1_36merge_oddeven_config_static_selectorELNS0_4arch9wavefront6targetE1EEEvSH_
                                        ; -- End function
	.section	.AMDGPU.csdata,"",@progbits
; Kernel info:
; codeLenInByte = 0
; NumSgprs: 4
; NumVgprs: 0
; NumAgprs: 0
; TotalNumVgprs: 0
; ScratchSize: 0
; MemoryBound: 0
; FloatMode: 240
; IeeeMode: 1
; LDSByteSize: 0 bytes/workgroup (compile time only)
; SGPRBlocks: 0
; VGPRBlocks: 0
; NumSGPRsForWavesPerEU: 4
; NumVGPRsForWavesPerEU: 1
; AccumOffset: 4
; Occupancy: 8
; WaveLimiterHint : 0
; COMPUTE_PGM_RSRC2:SCRATCH_EN: 0
; COMPUTE_PGM_RSRC2:USER_SGPR: 6
; COMPUTE_PGM_RSRC2:TRAP_HANDLER: 0
; COMPUTE_PGM_RSRC2:TGID_X_EN: 1
; COMPUTE_PGM_RSRC2:TGID_Y_EN: 0
; COMPUTE_PGM_RSRC2:TGID_Z_EN: 0
; COMPUTE_PGM_RSRC2:TIDIG_COMP_CNT: 0
; COMPUTE_PGM_RSRC3_GFX90A:ACCUM_OFFSET: 0
; COMPUTE_PGM_RSRC3_GFX90A:TG_SPLIT: 0
	.section	.text._ZN7rocprim17ROCPRIM_400000_NS6detail17trampoline_kernelINS0_14default_configENS1_38merge_sort_block_merge_config_selectorIllEEZZNS1_27merge_sort_block_merge_implIS3_PlN6thrust23THRUST_200600_302600_NS10device_ptrIlEEjNS1_19radix_merge_compareILb0ELb1ElNS0_19identity_decomposerEEEEE10hipError_tT0_T1_T2_jT3_P12ihipStream_tbPNSt15iterator_traitsISG_E10value_typeEPNSM_ISH_E10value_typeEPSI_NS1_7vsmem_tEENKUlT_SG_SH_SI_E_clIS7_S7_SB_S7_EESF_SV_SG_SH_SI_EUlSV_E1_NS1_11comp_targetILNS1_3genE5ELNS1_11target_archE942ELNS1_3gpuE9ELNS1_3repE0EEENS1_36merge_oddeven_config_static_selectorELNS0_4arch9wavefront6targetE1EEEvSH_,"axG",@progbits,_ZN7rocprim17ROCPRIM_400000_NS6detail17trampoline_kernelINS0_14default_configENS1_38merge_sort_block_merge_config_selectorIllEEZZNS1_27merge_sort_block_merge_implIS3_PlN6thrust23THRUST_200600_302600_NS10device_ptrIlEEjNS1_19radix_merge_compareILb0ELb1ElNS0_19identity_decomposerEEEEE10hipError_tT0_T1_T2_jT3_P12ihipStream_tbPNSt15iterator_traitsISG_E10value_typeEPNSM_ISH_E10value_typeEPSI_NS1_7vsmem_tEENKUlT_SG_SH_SI_E_clIS7_S7_SB_S7_EESF_SV_SG_SH_SI_EUlSV_E1_NS1_11comp_targetILNS1_3genE5ELNS1_11target_archE942ELNS1_3gpuE9ELNS1_3repE0EEENS1_36merge_oddeven_config_static_selectorELNS0_4arch9wavefront6targetE1EEEvSH_,comdat
	.protected	_ZN7rocprim17ROCPRIM_400000_NS6detail17trampoline_kernelINS0_14default_configENS1_38merge_sort_block_merge_config_selectorIllEEZZNS1_27merge_sort_block_merge_implIS3_PlN6thrust23THRUST_200600_302600_NS10device_ptrIlEEjNS1_19radix_merge_compareILb0ELb1ElNS0_19identity_decomposerEEEEE10hipError_tT0_T1_T2_jT3_P12ihipStream_tbPNSt15iterator_traitsISG_E10value_typeEPNSM_ISH_E10value_typeEPSI_NS1_7vsmem_tEENKUlT_SG_SH_SI_E_clIS7_S7_SB_S7_EESF_SV_SG_SH_SI_EUlSV_E1_NS1_11comp_targetILNS1_3genE5ELNS1_11target_archE942ELNS1_3gpuE9ELNS1_3repE0EEENS1_36merge_oddeven_config_static_selectorELNS0_4arch9wavefront6targetE1EEEvSH_ ; -- Begin function _ZN7rocprim17ROCPRIM_400000_NS6detail17trampoline_kernelINS0_14default_configENS1_38merge_sort_block_merge_config_selectorIllEEZZNS1_27merge_sort_block_merge_implIS3_PlN6thrust23THRUST_200600_302600_NS10device_ptrIlEEjNS1_19radix_merge_compareILb0ELb1ElNS0_19identity_decomposerEEEEE10hipError_tT0_T1_T2_jT3_P12ihipStream_tbPNSt15iterator_traitsISG_E10value_typeEPNSM_ISH_E10value_typeEPSI_NS1_7vsmem_tEENKUlT_SG_SH_SI_E_clIS7_S7_SB_S7_EESF_SV_SG_SH_SI_EUlSV_E1_NS1_11comp_targetILNS1_3genE5ELNS1_11target_archE942ELNS1_3gpuE9ELNS1_3repE0EEENS1_36merge_oddeven_config_static_selectorELNS0_4arch9wavefront6targetE1EEEvSH_
	.globl	_ZN7rocprim17ROCPRIM_400000_NS6detail17trampoline_kernelINS0_14default_configENS1_38merge_sort_block_merge_config_selectorIllEEZZNS1_27merge_sort_block_merge_implIS3_PlN6thrust23THRUST_200600_302600_NS10device_ptrIlEEjNS1_19radix_merge_compareILb0ELb1ElNS0_19identity_decomposerEEEEE10hipError_tT0_T1_T2_jT3_P12ihipStream_tbPNSt15iterator_traitsISG_E10value_typeEPNSM_ISH_E10value_typeEPSI_NS1_7vsmem_tEENKUlT_SG_SH_SI_E_clIS7_S7_SB_S7_EESF_SV_SG_SH_SI_EUlSV_E1_NS1_11comp_targetILNS1_3genE5ELNS1_11target_archE942ELNS1_3gpuE9ELNS1_3repE0EEENS1_36merge_oddeven_config_static_selectorELNS0_4arch9wavefront6targetE1EEEvSH_
	.p2align	8
	.type	_ZN7rocprim17ROCPRIM_400000_NS6detail17trampoline_kernelINS0_14default_configENS1_38merge_sort_block_merge_config_selectorIllEEZZNS1_27merge_sort_block_merge_implIS3_PlN6thrust23THRUST_200600_302600_NS10device_ptrIlEEjNS1_19radix_merge_compareILb0ELb1ElNS0_19identity_decomposerEEEEE10hipError_tT0_T1_T2_jT3_P12ihipStream_tbPNSt15iterator_traitsISG_E10value_typeEPNSM_ISH_E10value_typeEPSI_NS1_7vsmem_tEENKUlT_SG_SH_SI_E_clIS7_S7_SB_S7_EESF_SV_SG_SH_SI_EUlSV_E1_NS1_11comp_targetILNS1_3genE5ELNS1_11target_archE942ELNS1_3gpuE9ELNS1_3repE0EEENS1_36merge_oddeven_config_static_selectorELNS0_4arch9wavefront6targetE1EEEvSH_,@function
_ZN7rocprim17ROCPRIM_400000_NS6detail17trampoline_kernelINS0_14default_configENS1_38merge_sort_block_merge_config_selectorIllEEZZNS1_27merge_sort_block_merge_implIS3_PlN6thrust23THRUST_200600_302600_NS10device_ptrIlEEjNS1_19radix_merge_compareILb0ELb1ElNS0_19identity_decomposerEEEEE10hipError_tT0_T1_T2_jT3_P12ihipStream_tbPNSt15iterator_traitsISG_E10value_typeEPNSM_ISH_E10value_typeEPSI_NS1_7vsmem_tEENKUlT_SG_SH_SI_E_clIS7_S7_SB_S7_EESF_SV_SG_SH_SI_EUlSV_E1_NS1_11comp_targetILNS1_3genE5ELNS1_11target_archE942ELNS1_3gpuE9ELNS1_3repE0EEENS1_36merge_oddeven_config_static_selectorELNS0_4arch9wavefront6targetE1EEEvSH_: ; @_ZN7rocprim17ROCPRIM_400000_NS6detail17trampoline_kernelINS0_14default_configENS1_38merge_sort_block_merge_config_selectorIllEEZZNS1_27merge_sort_block_merge_implIS3_PlN6thrust23THRUST_200600_302600_NS10device_ptrIlEEjNS1_19radix_merge_compareILb0ELb1ElNS0_19identity_decomposerEEEEE10hipError_tT0_T1_T2_jT3_P12ihipStream_tbPNSt15iterator_traitsISG_E10value_typeEPNSM_ISH_E10value_typeEPSI_NS1_7vsmem_tEENKUlT_SG_SH_SI_E_clIS7_S7_SB_S7_EESF_SV_SG_SH_SI_EUlSV_E1_NS1_11comp_targetILNS1_3genE5ELNS1_11target_archE942ELNS1_3gpuE9ELNS1_3repE0EEENS1_36merge_oddeven_config_static_selectorELNS0_4arch9wavefront6targetE1EEEvSH_
; %bb.0:
	.section	.rodata,"a",@progbits
	.p2align	6, 0x0
	.amdhsa_kernel _ZN7rocprim17ROCPRIM_400000_NS6detail17trampoline_kernelINS0_14default_configENS1_38merge_sort_block_merge_config_selectorIllEEZZNS1_27merge_sort_block_merge_implIS3_PlN6thrust23THRUST_200600_302600_NS10device_ptrIlEEjNS1_19radix_merge_compareILb0ELb1ElNS0_19identity_decomposerEEEEE10hipError_tT0_T1_T2_jT3_P12ihipStream_tbPNSt15iterator_traitsISG_E10value_typeEPNSM_ISH_E10value_typeEPSI_NS1_7vsmem_tEENKUlT_SG_SH_SI_E_clIS7_S7_SB_S7_EESF_SV_SG_SH_SI_EUlSV_E1_NS1_11comp_targetILNS1_3genE5ELNS1_11target_archE942ELNS1_3gpuE9ELNS1_3repE0EEENS1_36merge_oddeven_config_static_selectorELNS0_4arch9wavefront6targetE1EEEvSH_
		.amdhsa_group_segment_fixed_size 0
		.amdhsa_private_segment_fixed_size 0
		.amdhsa_kernarg_size 48
		.amdhsa_user_sgpr_count 6
		.amdhsa_user_sgpr_private_segment_buffer 1
		.amdhsa_user_sgpr_dispatch_ptr 0
		.amdhsa_user_sgpr_queue_ptr 0
		.amdhsa_user_sgpr_kernarg_segment_ptr 1
		.amdhsa_user_sgpr_dispatch_id 0
		.amdhsa_user_sgpr_flat_scratch_init 0
		.amdhsa_user_sgpr_kernarg_preload_length 0
		.amdhsa_user_sgpr_kernarg_preload_offset 0
		.amdhsa_user_sgpr_private_segment_size 0
		.amdhsa_uses_dynamic_stack 0
		.amdhsa_system_sgpr_private_segment_wavefront_offset 0
		.amdhsa_system_sgpr_workgroup_id_x 1
		.amdhsa_system_sgpr_workgroup_id_y 0
		.amdhsa_system_sgpr_workgroup_id_z 0
		.amdhsa_system_sgpr_workgroup_info 0
		.amdhsa_system_vgpr_workitem_id 0
		.amdhsa_next_free_vgpr 1
		.amdhsa_next_free_sgpr 0
		.amdhsa_accum_offset 4
		.amdhsa_reserve_vcc 0
		.amdhsa_reserve_flat_scratch 0
		.amdhsa_float_round_mode_32 0
		.amdhsa_float_round_mode_16_64 0
		.amdhsa_float_denorm_mode_32 3
		.amdhsa_float_denorm_mode_16_64 3
		.amdhsa_dx10_clamp 1
		.amdhsa_ieee_mode 1
		.amdhsa_fp16_overflow 0
		.amdhsa_tg_split 0
		.amdhsa_exception_fp_ieee_invalid_op 0
		.amdhsa_exception_fp_denorm_src 0
		.amdhsa_exception_fp_ieee_div_zero 0
		.amdhsa_exception_fp_ieee_overflow 0
		.amdhsa_exception_fp_ieee_underflow 0
		.amdhsa_exception_fp_ieee_inexact 0
		.amdhsa_exception_int_div_zero 0
	.end_amdhsa_kernel
	.section	.text._ZN7rocprim17ROCPRIM_400000_NS6detail17trampoline_kernelINS0_14default_configENS1_38merge_sort_block_merge_config_selectorIllEEZZNS1_27merge_sort_block_merge_implIS3_PlN6thrust23THRUST_200600_302600_NS10device_ptrIlEEjNS1_19radix_merge_compareILb0ELb1ElNS0_19identity_decomposerEEEEE10hipError_tT0_T1_T2_jT3_P12ihipStream_tbPNSt15iterator_traitsISG_E10value_typeEPNSM_ISH_E10value_typeEPSI_NS1_7vsmem_tEENKUlT_SG_SH_SI_E_clIS7_S7_SB_S7_EESF_SV_SG_SH_SI_EUlSV_E1_NS1_11comp_targetILNS1_3genE5ELNS1_11target_archE942ELNS1_3gpuE9ELNS1_3repE0EEENS1_36merge_oddeven_config_static_selectorELNS0_4arch9wavefront6targetE1EEEvSH_,"axG",@progbits,_ZN7rocprim17ROCPRIM_400000_NS6detail17trampoline_kernelINS0_14default_configENS1_38merge_sort_block_merge_config_selectorIllEEZZNS1_27merge_sort_block_merge_implIS3_PlN6thrust23THRUST_200600_302600_NS10device_ptrIlEEjNS1_19radix_merge_compareILb0ELb1ElNS0_19identity_decomposerEEEEE10hipError_tT0_T1_T2_jT3_P12ihipStream_tbPNSt15iterator_traitsISG_E10value_typeEPNSM_ISH_E10value_typeEPSI_NS1_7vsmem_tEENKUlT_SG_SH_SI_E_clIS7_S7_SB_S7_EESF_SV_SG_SH_SI_EUlSV_E1_NS1_11comp_targetILNS1_3genE5ELNS1_11target_archE942ELNS1_3gpuE9ELNS1_3repE0EEENS1_36merge_oddeven_config_static_selectorELNS0_4arch9wavefront6targetE1EEEvSH_,comdat
.Lfunc_end1108:
	.size	_ZN7rocprim17ROCPRIM_400000_NS6detail17trampoline_kernelINS0_14default_configENS1_38merge_sort_block_merge_config_selectorIllEEZZNS1_27merge_sort_block_merge_implIS3_PlN6thrust23THRUST_200600_302600_NS10device_ptrIlEEjNS1_19radix_merge_compareILb0ELb1ElNS0_19identity_decomposerEEEEE10hipError_tT0_T1_T2_jT3_P12ihipStream_tbPNSt15iterator_traitsISG_E10value_typeEPNSM_ISH_E10value_typeEPSI_NS1_7vsmem_tEENKUlT_SG_SH_SI_E_clIS7_S7_SB_S7_EESF_SV_SG_SH_SI_EUlSV_E1_NS1_11comp_targetILNS1_3genE5ELNS1_11target_archE942ELNS1_3gpuE9ELNS1_3repE0EEENS1_36merge_oddeven_config_static_selectorELNS0_4arch9wavefront6targetE1EEEvSH_, .Lfunc_end1108-_ZN7rocprim17ROCPRIM_400000_NS6detail17trampoline_kernelINS0_14default_configENS1_38merge_sort_block_merge_config_selectorIllEEZZNS1_27merge_sort_block_merge_implIS3_PlN6thrust23THRUST_200600_302600_NS10device_ptrIlEEjNS1_19radix_merge_compareILb0ELb1ElNS0_19identity_decomposerEEEEE10hipError_tT0_T1_T2_jT3_P12ihipStream_tbPNSt15iterator_traitsISG_E10value_typeEPNSM_ISH_E10value_typeEPSI_NS1_7vsmem_tEENKUlT_SG_SH_SI_E_clIS7_S7_SB_S7_EESF_SV_SG_SH_SI_EUlSV_E1_NS1_11comp_targetILNS1_3genE5ELNS1_11target_archE942ELNS1_3gpuE9ELNS1_3repE0EEENS1_36merge_oddeven_config_static_selectorELNS0_4arch9wavefront6targetE1EEEvSH_
                                        ; -- End function
	.section	.AMDGPU.csdata,"",@progbits
; Kernel info:
; codeLenInByte = 0
; NumSgprs: 4
; NumVgprs: 0
; NumAgprs: 0
; TotalNumVgprs: 0
; ScratchSize: 0
; MemoryBound: 0
; FloatMode: 240
; IeeeMode: 1
; LDSByteSize: 0 bytes/workgroup (compile time only)
; SGPRBlocks: 0
; VGPRBlocks: 0
; NumSGPRsForWavesPerEU: 4
; NumVGPRsForWavesPerEU: 1
; AccumOffset: 4
; Occupancy: 8
; WaveLimiterHint : 0
; COMPUTE_PGM_RSRC2:SCRATCH_EN: 0
; COMPUTE_PGM_RSRC2:USER_SGPR: 6
; COMPUTE_PGM_RSRC2:TRAP_HANDLER: 0
; COMPUTE_PGM_RSRC2:TGID_X_EN: 1
; COMPUTE_PGM_RSRC2:TGID_Y_EN: 0
; COMPUTE_PGM_RSRC2:TGID_Z_EN: 0
; COMPUTE_PGM_RSRC2:TIDIG_COMP_CNT: 0
; COMPUTE_PGM_RSRC3_GFX90A:ACCUM_OFFSET: 0
; COMPUTE_PGM_RSRC3_GFX90A:TG_SPLIT: 0
	.section	.text._ZN7rocprim17ROCPRIM_400000_NS6detail17trampoline_kernelINS0_14default_configENS1_38merge_sort_block_merge_config_selectorIllEEZZNS1_27merge_sort_block_merge_implIS3_PlN6thrust23THRUST_200600_302600_NS10device_ptrIlEEjNS1_19radix_merge_compareILb0ELb1ElNS0_19identity_decomposerEEEEE10hipError_tT0_T1_T2_jT3_P12ihipStream_tbPNSt15iterator_traitsISG_E10value_typeEPNSM_ISH_E10value_typeEPSI_NS1_7vsmem_tEENKUlT_SG_SH_SI_E_clIS7_S7_SB_S7_EESF_SV_SG_SH_SI_EUlSV_E1_NS1_11comp_targetILNS1_3genE4ELNS1_11target_archE910ELNS1_3gpuE8ELNS1_3repE0EEENS1_36merge_oddeven_config_static_selectorELNS0_4arch9wavefront6targetE1EEEvSH_,"axG",@progbits,_ZN7rocprim17ROCPRIM_400000_NS6detail17trampoline_kernelINS0_14default_configENS1_38merge_sort_block_merge_config_selectorIllEEZZNS1_27merge_sort_block_merge_implIS3_PlN6thrust23THRUST_200600_302600_NS10device_ptrIlEEjNS1_19radix_merge_compareILb0ELb1ElNS0_19identity_decomposerEEEEE10hipError_tT0_T1_T2_jT3_P12ihipStream_tbPNSt15iterator_traitsISG_E10value_typeEPNSM_ISH_E10value_typeEPSI_NS1_7vsmem_tEENKUlT_SG_SH_SI_E_clIS7_S7_SB_S7_EESF_SV_SG_SH_SI_EUlSV_E1_NS1_11comp_targetILNS1_3genE4ELNS1_11target_archE910ELNS1_3gpuE8ELNS1_3repE0EEENS1_36merge_oddeven_config_static_selectorELNS0_4arch9wavefront6targetE1EEEvSH_,comdat
	.protected	_ZN7rocprim17ROCPRIM_400000_NS6detail17trampoline_kernelINS0_14default_configENS1_38merge_sort_block_merge_config_selectorIllEEZZNS1_27merge_sort_block_merge_implIS3_PlN6thrust23THRUST_200600_302600_NS10device_ptrIlEEjNS1_19radix_merge_compareILb0ELb1ElNS0_19identity_decomposerEEEEE10hipError_tT0_T1_T2_jT3_P12ihipStream_tbPNSt15iterator_traitsISG_E10value_typeEPNSM_ISH_E10value_typeEPSI_NS1_7vsmem_tEENKUlT_SG_SH_SI_E_clIS7_S7_SB_S7_EESF_SV_SG_SH_SI_EUlSV_E1_NS1_11comp_targetILNS1_3genE4ELNS1_11target_archE910ELNS1_3gpuE8ELNS1_3repE0EEENS1_36merge_oddeven_config_static_selectorELNS0_4arch9wavefront6targetE1EEEvSH_ ; -- Begin function _ZN7rocprim17ROCPRIM_400000_NS6detail17trampoline_kernelINS0_14default_configENS1_38merge_sort_block_merge_config_selectorIllEEZZNS1_27merge_sort_block_merge_implIS3_PlN6thrust23THRUST_200600_302600_NS10device_ptrIlEEjNS1_19radix_merge_compareILb0ELb1ElNS0_19identity_decomposerEEEEE10hipError_tT0_T1_T2_jT3_P12ihipStream_tbPNSt15iterator_traitsISG_E10value_typeEPNSM_ISH_E10value_typeEPSI_NS1_7vsmem_tEENKUlT_SG_SH_SI_E_clIS7_S7_SB_S7_EESF_SV_SG_SH_SI_EUlSV_E1_NS1_11comp_targetILNS1_3genE4ELNS1_11target_archE910ELNS1_3gpuE8ELNS1_3repE0EEENS1_36merge_oddeven_config_static_selectorELNS0_4arch9wavefront6targetE1EEEvSH_
	.globl	_ZN7rocprim17ROCPRIM_400000_NS6detail17trampoline_kernelINS0_14default_configENS1_38merge_sort_block_merge_config_selectorIllEEZZNS1_27merge_sort_block_merge_implIS3_PlN6thrust23THRUST_200600_302600_NS10device_ptrIlEEjNS1_19radix_merge_compareILb0ELb1ElNS0_19identity_decomposerEEEEE10hipError_tT0_T1_T2_jT3_P12ihipStream_tbPNSt15iterator_traitsISG_E10value_typeEPNSM_ISH_E10value_typeEPSI_NS1_7vsmem_tEENKUlT_SG_SH_SI_E_clIS7_S7_SB_S7_EESF_SV_SG_SH_SI_EUlSV_E1_NS1_11comp_targetILNS1_3genE4ELNS1_11target_archE910ELNS1_3gpuE8ELNS1_3repE0EEENS1_36merge_oddeven_config_static_selectorELNS0_4arch9wavefront6targetE1EEEvSH_
	.p2align	8
	.type	_ZN7rocprim17ROCPRIM_400000_NS6detail17trampoline_kernelINS0_14default_configENS1_38merge_sort_block_merge_config_selectorIllEEZZNS1_27merge_sort_block_merge_implIS3_PlN6thrust23THRUST_200600_302600_NS10device_ptrIlEEjNS1_19radix_merge_compareILb0ELb1ElNS0_19identity_decomposerEEEEE10hipError_tT0_T1_T2_jT3_P12ihipStream_tbPNSt15iterator_traitsISG_E10value_typeEPNSM_ISH_E10value_typeEPSI_NS1_7vsmem_tEENKUlT_SG_SH_SI_E_clIS7_S7_SB_S7_EESF_SV_SG_SH_SI_EUlSV_E1_NS1_11comp_targetILNS1_3genE4ELNS1_11target_archE910ELNS1_3gpuE8ELNS1_3repE0EEENS1_36merge_oddeven_config_static_selectorELNS0_4arch9wavefront6targetE1EEEvSH_,@function
_ZN7rocprim17ROCPRIM_400000_NS6detail17trampoline_kernelINS0_14default_configENS1_38merge_sort_block_merge_config_selectorIllEEZZNS1_27merge_sort_block_merge_implIS3_PlN6thrust23THRUST_200600_302600_NS10device_ptrIlEEjNS1_19radix_merge_compareILb0ELb1ElNS0_19identity_decomposerEEEEE10hipError_tT0_T1_T2_jT3_P12ihipStream_tbPNSt15iterator_traitsISG_E10value_typeEPNSM_ISH_E10value_typeEPSI_NS1_7vsmem_tEENKUlT_SG_SH_SI_E_clIS7_S7_SB_S7_EESF_SV_SG_SH_SI_EUlSV_E1_NS1_11comp_targetILNS1_3genE4ELNS1_11target_archE910ELNS1_3gpuE8ELNS1_3repE0EEENS1_36merge_oddeven_config_static_selectorELNS0_4arch9wavefront6targetE1EEEvSH_: ; @_ZN7rocprim17ROCPRIM_400000_NS6detail17trampoline_kernelINS0_14default_configENS1_38merge_sort_block_merge_config_selectorIllEEZZNS1_27merge_sort_block_merge_implIS3_PlN6thrust23THRUST_200600_302600_NS10device_ptrIlEEjNS1_19radix_merge_compareILb0ELb1ElNS0_19identity_decomposerEEEEE10hipError_tT0_T1_T2_jT3_P12ihipStream_tbPNSt15iterator_traitsISG_E10value_typeEPNSM_ISH_E10value_typeEPSI_NS1_7vsmem_tEENKUlT_SG_SH_SI_E_clIS7_S7_SB_S7_EESF_SV_SG_SH_SI_EUlSV_E1_NS1_11comp_targetILNS1_3genE4ELNS1_11target_archE910ELNS1_3gpuE8ELNS1_3repE0EEENS1_36merge_oddeven_config_static_selectorELNS0_4arch9wavefront6targetE1EEEvSH_
; %bb.0:
	s_load_dword s21, s[4:5], 0x20
	s_waitcnt lgkmcnt(0)
	s_lshr_b32 s2, s21, 8
	s_cmp_lg_u32 s6, s2
	s_cselect_b64 s[0:1], -1, 0
	s_cmp_eq_u32 s6, s2
	s_cselect_b64 s[16:17], -1, 0
	s_lshl_b32 s18, s6, 8
	s_sub_i32 s2, s21, s18
	v_cmp_gt_u32_e64 s[2:3], s2, v0
	s_or_b64 s[0:1], s[0:1], s[2:3]
	s_and_saveexec_b64 s[8:9], s[0:1]
	s_cbranch_execz .LBB1109_26
; %bb.1:
	s_load_dwordx8 s[8:15], s[4:5], 0x0
	s_mov_b32 s19, 0
	s_lshl_b64 s[0:1], s[18:19], 3
	v_lshlrev_b32_e32 v1, 3, v0
	v_add_u32_e32 v6, s18, v0
	s_waitcnt lgkmcnt(0)
	s_add_u32 s22, s8, s0
	s_addc_u32 s23, s9, s1
	s_add_u32 s0, s12, s0
	s_addc_u32 s1, s13, s1
	global_load_dwordx2 v[2:3], v1, s[0:1]
	global_load_dwordx2 v[4:5], v1, s[22:23]
	s_load_dword s22, s[4:5], 0x24
	s_waitcnt lgkmcnt(0)
	s_lshr_b32 s0, s22, 8
	s_sub_i32 s1, 0, s0
	s_and_b32 s1, s6, s1
	s_and_b32 s0, s1, s0
	s_lshl_b32 s23, s1, 8
	s_sub_i32 s12, 0, s22
	s_cmp_eq_u32 s0, 0
	s_cselect_b64 s[0:1], -1, 0
	s_and_b64 s[6:7], s[0:1], exec
	s_cselect_b32 s20, s22, s12
	s_add_i32 s20, s20, s23
	s_cmp_lt_u32 s20, s21
	s_cbranch_scc1 .LBB1109_6
; %bb.2:
	s_and_b64 vcc, exec, s[16:17]
	s_cbranch_vccz .LBB1109_7
; %bb.3:
	v_cmp_gt_u32_e32 vcc, s21, v6
	s_mov_b64 s[12:13], 0
	s_mov_b64 s[6:7], 0
                                        ; implicit-def: $vgpr0_vgpr1
	s_and_saveexec_b64 s[18:19], vcc
	s_cbranch_execz .LBB1109_5
; %bb.4:
	v_mov_b32_e32 v7, 0
	v_lshlrev_b64 v[8:9], 3, v[6:7]
	v_mov_b32_e32 v1, s15
	v_add_co_u32_e32 v0, vcc, s14, v8
	v_addc_co_u32_e32 v1, vcc, v1, v9, vcc
	v_mov_b32_e32 v7, s11
	v_add_co_u32_e32 v8, vcc, s10, v8
	s_mov_b64 s[6:7], exec
	v_addc_co_u32_e32 v9, vcc, v7, v9, vcc
	s_waitcnt vmcnt(0)
	global_store_dwordx2 v[8:9], v[4:5], off
.LBB1109_5:
	s_or_b64 exec, exec, s[18:19]
	s_and_b64 vcc, exec, s[12:13]
	s_cbranch_vccnz .LBB1109_8
	s_branch .LBB1109_9
.LBB1109_6:
	s_mov_b64 s[6:7], 0
                                        ; implicit-def: $vgpr0_vgpr1
	s_cbranch_execnz .LBB1109_10
	s_branch .LBB1109_24
.LBB1109_7:
	s_mov_b64 s[6:7], 0
                                        ; implicit-def: $vgpr0_vgpr1
	s_cbranch_execz .LBB1109_9
.LBB1109_8:
	v_mov_b32_e32 v7, 0
	v_lshlrev_b64 v[0:1], 3, v[6:7]
	v_mov_b32_e32 v7, s11
	v_add_co_u32_e32 v8, vcc, s10, v0
	v_addc_co_u32_e32 v9, vcc, v7, v1, vcc
	v_mov_b32_e32 v7, s15
	v_add_co_u32_e32 v0, vcc, s14, v0
	v_addc_co_u32_e32 v1, vcc, v7, v1, vcc
	s_or_b64 s[6:7], s[6:7], exec
	s_waitcnt vmcnt(0)
	global_store_dwordx2 v[8:9], v[4:5], off
.LBB1109_9:
	s_branch .LBB1109_24
.LBB1109_10:
	s_load_dwordx2 s[4:5], s[4:5], 0x28
	s_min_u32 s18, s20, s21
	s_add_i32 s12, s18, s22
	s_min_u32 s19, s12, s21
	s_min_u32 s12, s23, s18
	s_add_i32 s23, s23, s18
	v_subrev_u32_e32 v0, s23, v6
	v_add_u32_e32 v8, s12, v0
	s_and_b64 vcc, exec, s[16:17]
	s_cbranch_vccz .LBB1109_18
; %bb.11:
                                        ; implicit-def: $vgpr0_vgpr1
	s_and_saveexec_b64 s[12:13], s[2:3]
	s_cbranch_execz .LBB1109_17
; %bb.12:
	s_cmp_ge_u32 s20, s19
	v_mov_b32_e32 v9, s18
	s_cbranch_scc1 .LBB1109_16
; %bb.13:
	s_waitcnt vmcnt(0) lgkmcnt(0)
	v_and_b32_e32 v1, s5, v5
	v_and_b32_e32 v0, s4, v4
	s_mov_b64 s[2:3], 0
	v_mov_b32_e32 v10, s19
	v_mov_b32_e32 v9, s18
	;; [unrolled: 1-line block ×4, first 2 shown]
.LBB1109_14:                            ; =>This Inner Loop Header: Depth=1
	v_add_u32_e32 v6, v9, v10
	v_lshrrev_b32_e32 v6, 1, v6
	v_lshlrev_b64 v[12:13], 3, v[6:7]
	v_add_co_u32_e32 v12, vcc, s8, v12
	v_addc_co_u32_e32 v13, vcc, v11, v13, vcc
	global_load_dwordx2 v[12:13], v[12:13], off
	v_add_u32_e32 v14, 1, v6
	s_waitcnt vmcnt(0)
	v_and_b32_e32 v13, s5, v13
	v_and_b32_e32 v12, s4, v12
	v_cmp_gt_i64_e32 vcc, v[0:1], v[12:13]
	v_cndmask_b32_e64 v15, 0, 1, vcc
	v_cmp_le_i64_e32 vcc, v[12:13], v[0:1]
	v_cndmask_b32_e64 v12, 0, 1, vcc
	v_cndmask_b32_e64 v12, v12, v15, s[0:1]
	v_and_b32_e32 v12, 1, v12
	v_cmp_eq_u32_e32 vcc, 1, v12
	v_cndmask_b32_e32 v10, v6, v10, vcc
	v_cndmask_b32_e32 v9, v9, v14, vcc
	v_cmp_ge_u32_e32 vcc, v9, v10
	s_or_b64 s[2:3], vcc, s[2:3]
	s_andn2_b64 exec, exec, s[2:3]
	s_cbranch_execnz .LBB1109_14
; %bb.15:
	s_or_b64 exec, exec, s[2:3]
.LBB1109_16:
	v_add_u32_e32 v0, v9, v8
	v_mov_b32_e32 v1, 0
	v_lshlrev_b64 v[0:1], 3, v[0:1]
	v_mov_b32_e32 v7, s11
	v_add_co_u32_e32 v6, vcc, s10, v0
	v_addc_co_u32_e32 v7, vcc, v7, v1, vcc
	s_waitcnt vmcnt(0)
	global_store_dwordx2 v[6:7], v[4:5], off
	v_mov_b32_e32 v6, s15
	v_add_co_u32_e32 v0, vcc, s14, v0
	v_addc_co_u32_e32 v1, vcc, v6, v1, vcc
	s_or_b64 s[6:7], s[6:7], exec
.LBB1109_17:
	s_or_b64 exec, exec, s[12:13]
	s_branch .LBB1109_24
.LBB1109_18:
                                        ; implicit-def: $vgpr0_vgpr1
	s_cbranch_execz .LBB1109_24
; %bb.19:
	s_cmp_ge_u32 s20, s19
	v_mov_b32_e32 v9, s18
	s_cbranch_scc1 .LBB1109_23
; %bb.20:
	s_waitcnt vmcnt(0) lgkmcnt(0)
	v_and_b32_e32 v1, s5, v5
	v_and_b32_e32 v0, s4, v4
	s_mov_b64 s[2:3], 0
	v_mov_b32_e32 v10, s19
	v_mov_b32_e32 v9, s18
	;; [unrolled: 1-line block ×4, first 2 shown]
.LBB1109_21:                            ; =>This Inner Loop Header: Depth=1
	v_add_u32_e32 v6, v9, v10
	v_lshrrev_b32_e32 v6, 1, v6
	v_lshlrev_b64 v[12:13], 3, v[6:7]
	v_add_co_u32_e32 v12, vcc, s8, v12
	v_addc_co_u32_e32 v13, vcc, v11, v13, vcc
	global_load_dwordx2 v[12:13], v[12:13], off
	v_add_u32_e32 v14, 1, v6
	s_waitcnt vmcnt(0)
	v_and_b32_e32 v13, s5, v13
	v_and_b32_e32 v12, s4, v12
	v_cmp_gt_i64_e32 vcc, v[0:1], v[12:13]
	v_cndmask_b32_e64 v15, 0, 1, vcc
	v_cmp_le_i64_e32 vcc, v[12:13], v[0:1]
	v_cndmask_b32_e64 v12, 0, 1, vcc
	v_cndmask_b32_e64 v12, v12, v15, s[0:1]
	v_and_b32_e32 v12, 1, v12
	v_cmp_eq_u32_e32 vcc, 1, v12
	v_cndmask_b32_e32 v10, v6, v10, vcc
	v_cndmask_b32_e32 v9, v9, v14, vcc
	v_cmp_ge_u32_e32 vcc, v9, v10
	s_or_b64 s[2:3], vcc, s[2:3]
	s_andn2_b64 exec, exec, s[2:3]
	s_cbranch_execnz .LBB1109_21
; %bb.22:
	s_or_b64 exec, exec, s[2:3]
.LBB1109_23:
	v_add_u32_e32 v0, v9, v8
	v_mov_b32_e32 v1, 0
	v_lshlrev_b64 v[0:1], 3, v[0:1]
	v_mov_b32_e32 v7, s11
	v_add_co_u32_e32 v6, vcc, s10, v0
	v_addc_co_u32_e32 v7, vcc, v7, v1, vcc
	s_waitcnt vmcnt(0)
	global_store_dwordx2 v[6:7], v[4:5], off
	v_mov_b32_e32 v4, s15
	v_add_co_u32_e32 v0, vcc, s14, v0
	v_addc_co_u32_e32 v1, vcc, v4, v1, vcc
	s_mov_b64 s[6:7], -1
.LBB1109_24:
	s_and_b64 exec, exec, s[6:7]
	s_cbranch_execz .LBB1109_26
; %bb.25:
	s_waitcnt vmcnt(1)
	global_store_dwordx2 v[0:1], v[2:3], off
.LBB1109_26:
	s_endpgm
	.section	.rodata,"a",@progbits
	.p2align	6, 0x0
	.amdhsa_kernel _ZN7rocprim17ROCPRIM_400000_NS6detail17trampoline_kernelINS0_14default_configENS1_38merge_sort_block_merge_config_selectorIllEEZZNS1_27merge_sort_block_merge_implIS3_PlN6thrust23THRUST_200600_302600_NS10device_ptrIlEEjNS1_19radix_merge_compareILb0ELb1ElNS0_19identity_decomposerEEEEE10hipError_tT0_T1_T2_jT3_P12ihipStream_tbPNSt15iterator_traitsISG_E10value_typeEPNSM_ISH_E10value_typeEPSI_NS1_7vsmem_tEENKUlT_SG_SH_SI_E_clIS7_S7_SB_S7_EESF_SV_SG_SH_SI_EUlSV_E1_NS1_11comp_targetILNS1_3genE4ELNS1_11target_archE910ELNS1_3gpuE8ELNS1_3repE0EEENS1_36merge_oddeven_config_static_selectorELNS0_4arch9wavefront6targetE1EEEvSH_
		.amdhsa_group_segment_fixed_size 0
		.amdhsa_private_segment_fixed_size 0
		.amdhsa_kernarg_size 48
		.amdhsa_user_sgpr_count 6
		.amdhsa_user_sgpr_private_segment_buffer 1
		.amdhsa_user_sgpr_dispatch_ptr 0
		.amdhsa_user_sgpr_queue_ptr 0
		.amdhsa_user_sgpr_kernarg_segment_ptr 1
		.amdhsa_user_sgpr_dispatch_id 0
		.amdhsa_user_sgpr_flat_scratch_init 0
		.amdhsa_user_sgpr_kernarg_preload_length 0
		.amdhsa_user_sgpr_kernarg_preload_offset 0
		.amdhsa_user_sgpr_private_segment_size 0
		.amdhsa_uses_dynamic_stack 0
		.amdhsa_system_sgpr_private_segment_wavefront_offset 0
		.amdhsa_system_sgpr_workgroup_id_x 1
		.amdhsa_system_sgpr_workgroup_id_y 0
		.amdhsa_system_sgpr_workgroup_id_z 0
		.amdhsa_system_sgpr_workgroup_info 0
		.amdhsa_system_vgpr_workitem_id 0
		.amdhsa_next_free_vgpr 16
		.amdhsa_next_free_sgpr 24
		.amdhsa_accum_offset 16
		.amdhsa_reserve_vcc 1
		.amdhsa_reserve_flat_scratch 0
		.amdhsa_float_round_mode_32 0
		.amdhsa_float_round_mode_16_64 0
		.amdhsa_float_denorm_mode_32 3
		.amdhsa_float_denorm_mode_16_64 3
		.amdhsa_dx10_clamp 1
		.amdhsa_ieee_mode 1
		.amdhsa_fp16_overflow 0
		.amdhsa_tg_split 0
		.amdhsa_exception_fp_ieee_invalid_op 0
		.amdhsa_exception_fp_denorm_src 0
		.amdhsa_exception_fp_ieee_div_zero 0
		.amdhsa_exception_fp_ieee_overflow 0
		.amdhsa_exception_fp_ieee_underflow 0
		.amdhsa_exception_fp_ieee_inexact 0
		.amdhsa_exception_int_div_zero 0
	.end_amdhsa_kernel
	.section	.text._ZN7rocprim17ROCPRIM_400000_NS6detail17trampoline_kernelINS0_14default_configENS1_38merge_sort_block_merge_config_selectorIllEEZZNS1_27merge_sort_block_merge_implIS3_PlN6thrust23THRUST_200600_302600_NS10device_ptrIlEEjNS1_19radix_merge_compareILb0ELb1ElNS0_19identity_decomposerEEEEE10hipError_tT0_T1_T2_jT3_P12ihipStream_tbPNSt15iterator_traitsISG_E10value_typeEPNSM_ISH_E10value_typeEPSI_NS1_7vsmem_tEENKUlT_SG_SH_SI_E_clIS7_S7_SB_S7_EESF_SV_SG_SH_SI_EUlSV_E1_NS1_11comp_targetILNS1_3genE4ELNS1_11target_archE910ELNS1_3gpuE8ELNS1_3repE0EEENS1_36merge_oddeven_config_static_selectorELNS0_4arch9wavefront6targetE1EEEvSH_,"axG",@progbits,_ZN7rocprim17ROCPRIM_400000_NS6detail17trampoline_kernelINS0_14default_configENS1_38merge_sort_block_merge_config_selectorIllEEZZNS1_27merge_sort_block_merge_implIS3_PlN6thrust23THRUST_200600_302600_NS10device_ptrIlEEjNS1_19radix_merge_compareILb0ELb1ElNS0_19identity_decomposerEEEEE10hipError_tT0_T1_T2_jT3_P12ihipStream_tbPNSt15iterator_traitsISG_E10value_typeEPNSM_ISH_E10value_typeEPSI_NS1_7vsmem_tEENKUlT_SG_SH_SI_E_clIS7_S7_SB_S7_EESF_SV_SG_SH_SI_EUlSV_E1_NS1_11comp_targetILNS1_3genE4ELNS1_11target_archE910ELNS1_3gpuE8ELNS1_3repE0EEENS1_36merge_oddeven_config_static_selectorELNS0_4arch9wavefront6targetE1EEEvSH_,comdat
.Lfunc_end1109:
	.size	_ZN7rocprim17ROCPRIM_400000_NS6detail17trampoline_kernelINS0_14default_configENS1_38merge_sort_block_merge_config_selectorIllEEZZNS1_27merge_sort_block_merge_implIS3_PlN6thrust23THRUST_200600_302600_NS10device_ptrIlEEjNS1_19radix_merge_compareILb0ELb1ElNS0_19identity_decomposerEEEEE10hipError_tT0_T1_T2_jT3_P12ihipStream_tbPNSt15iterator_traitsISG_E10value_typeEPNSM_ISH_E10value_typeEPSI_NS1_7vsmem_tEENKUlT_SG_SH_SI_E_clIS7_S7_SB_S7_EESF_SV_SG_SH_SI_EUlSV_E1_NS1_11comp_targetILNS1_3genE4ELNS1_11target_archE910ELNS1_3gpuE8ELNS1_3repE0EEENS1_36merge_oddeven_config_static_selectorELNS0_4arch9wavefront6targetE1EEEvSH_, .Lfunc_end1109-_ZN7rocprim17ROCPRIM_400000_NS6detail17trampoline_kernelINS0_14default_configENS1_38merge_sort_block_merge_config_selectorIllEEZZNS1_27merge_sort_block_merge_implIS3_PlN6thrust23THRUST_200600_302600_NS10device_ptrIlEEjNS1_19radix_merge_compareILb0ELb1ElNS0_19identity_decomposerEEEEE10hipError_tT0_T1_T2_jT3_P12ihipStream_tbPNSt15iterator_traitsISG_E10value_typeEPNSM_ISH_E10value_typeEPSI_NS1_7vsmem_tEENKUlT_SG_SH_SI_E_clIS7_S7_SB_S7_EESF_SV_SG_SH_SI_EUlSV_E1_NS1_11comp_targetILNS1_3genE4ELNS1_11target_archE910ELNS1_3gpuE8ELNS1_3repE0EEENS1_36merge_oddeven_config_static_selectorELNS0_4arch9wavefront6targetE1EEEvSH_
                                        ; -- End function
	.section	.AMDGPU.csdata,"",@progbits
; Kernel info:
; codeLenInByte = 876
; NumSgprs: 28
; NumVgprs: 16
; NumAgprs: 0
; TotalNumVgprs: 16
; ScratchSize: 0
; MemoryBound: 0
; FloatMode: 240
; IeeeMode: 1
; LDSByteSize: 0 bytes/workgroup (compile time only)
; SGPRBlocks: 3
; VGPRBlocks: 1
; NumSGPRsForWavesPerEU: 28
; NumVGPRsForWavesPerEU: 16
; AccumOffset: 16
; Occupancy: 8
; WaveLimiterHint : 0
; COMPUTE_PGM_RSRC2:SCRATCH_EN: 0
; COMPUTE_PGM_RSRC2:USER_SGPR: 6
; COMPUTE_PGM_RSRC2:TRAP_HANDLER: 0
; COMPUTE_PGM_RSRC2:TGID_X_EN: 1
; COMPUTE_PGM_RSRC2:TGID_Y_EN: 0
; COMPUTE_PGM_RSRC2:TGID_Z_EN: 0
; COMPUTE_PGM_RSRC2:TIDIG_COMP_CNT: 0
; COMPUTE_PGM_RSRC3_GFX90A:ACCUM_OFFSET: 3
; COMPUTE_PGM_RSRC3_GFX90A:TG_SPLIT: 0
	.section	.text._ZN7rocprim17ROCPRIM_400000_NS6detail17trampoline_kernelINS0_14default_configENS1_38merge_sort_block_merge_config_selectorIllEEZZNS1_27merge_sort_block_merge_implIS3_PlN6thrust23THRUST_200600_302600_NS10device_ptrIlEEjNS1_19radix_merge_compareILb0ELb1ElNS0_19identity_decomposerEEEEE10hipError_tT0_T1_T2_jT3_P12ihipStream_tbPNSt15iterator_traitsISG_E10value_typeEPNSM_ISH_E10value_typeEPSI_NS1_7vsmem_tEENKUlT_SG_SH_SI_E_clIS7_S7_SB_S7_EESF_SV_SG_SH_SI_EUlSV_E1_NS1_11comp_targetILNS1_3genE3ELNS1_11target_archE908ELNS1_3gpuE7ELNS1_3repE0EEENS1_36merge_oddeven_config_static_selectorELNS0_4arch9wavefront6targetE1EEEvSH_,"axG",@progbits,_ZN7rocprim17ROCPRIM_400000_NS6detail17trampoline_kernelINS0_14default_configENS1_38merge_sort_block_merge_config_selectorIllEEZZNS1_27merge_sort_block_merge_implIS3_PlN6thrust23THRUST_200600_302600_NS10device_ptrIlEEjNS1_19radix_merge_compareILb0ELb1ElNS0_19identity_decomposerEEEEE10hipError_tT0_T1_T2_jT3_P12ihipStream_tbPNSt15iterator_traitsISG_E10value_typeEPNSM_ISH_E10value_typeEPSI_NS1_7vsmem_tEENKUlT_SG_SH_SI_E_clIS7_S7_SB_S7_EESF_SV_SG_SH_SI_EUlSV_E1_NS1_11comp_targetILNS1_3genE3ELNS1_11target_archE908ELNS1_3gpuE7ELNS1_3repE0EEENS1_36merge_oddeven_config_static_selectorELNS0_4arch9wavefront6targetE1EEEvSH_,comdat
	.protected	_ZN7rocprim17ROCPRIM_400000_NS6detail17trampoline_kernelINS0_14default_configENS1_38merge_sort_block_merge_config_selectorIllEEZZNS1_27merge_sort_block_merge_implIS3_PlN6thrust23THRUST_200600_302600_NS10device_ptrIlEEjNS1_19radix_merge_compareILb0ELb1ElNS0_19identity_decomposerEEEEE10hipError_tT0_T1_T2_jT3_P12ihipStream_tbPNSt15iterator_traitsISG_E10value_typeEPNSM_ISH_E10value_typeEPSI_NS1_7vsmem_tEENKUlT_SG_SH_SI_E_clIS7_S7_SB_S7_EESF_SV_SG_SH_SI_EUlSV_E1_NS1_11comp_targetILNS1_3genE3ELNS1_11target_archE908ELNS1_3gpuE7ELNS1_3repE0EEENS1_36merge_oddeven_config_static_selectorELNS0_4arch9wavefront6targetE1EEEvSH_ ; -- Begin function _ZN7rocprim17ROCPRIM_400000_NS6detail17trampoline_kernelINS0_14default_configENS1_38merge_sort_block_merge_config_selectorIllEEZZNS1_27merge_sort_block_merge_implIS3_PlN6thrust23THRUST_200600_302600_NS10device_ptrIlEEjNS1_19radix_merge_compareILb0ELb1ElNS0_19identity_decomposerEEEEE10hipError_tT0_T1_T2_jT3_P12ihipStream_tbPNSt15iterator_traitsISG_E10value_typeEPNSM_ISH_E10value_typeEPSI_NS1_7vsmem_tEENKUlT_SG_SH_SI_E_clIS7_S7_SB_S7_EESF_SV_SG_SH_SI_EUlSV_E1_NS1_11comp_targetILNS1_3genE3ELNS1_11target_archE908ELNS1_3gpuE7ELNS1_3repE0EEENS1_36merge_oddeven_config_static_selectorELNS0_4arch9wavefront6targetE1EEEvSH_
	.globl	_ZN7rocprim17ROCPRIM_400000_NS6detail17trampoline_kernelINS0_14default_configENS1_38merge_sort_block_merge_config_selectorIllEEZZNS1_27merge_sort_block_merge_implIS3_PlN6thrust23THRUST_200600_302600_NS10device_ptrIlEEjNS1_19radix_merge_compareILb0ELb1ElNS0_19identity_decomposerEEEEE10hipError_tT0_T1_T2_jT3_P12ihipStream_tbPNSt15iterator_traitsISG_E10value_typeEPNSM_ISH_E10value_typeEPSI_NS1_7vsmem_tEENKUlT_SG_SH_SI_E_clIS7_S7_SB_S7_EESF_SV_SG_SH_SI_EUlSV_E1_NS1_11comp_targetILNS1_3genE3ELNS1_11target_archE908ELNS1_3gpuE7ELNS1_3repE0EEENS1_36merge_oddeven_config_static_selectorELNS0_4arch9wavefront6targetE1EEEvSH_
	.p2align	8
	.type	_ZN7rocprim17ROCPRIM_400000_NS6detail17trampoline_kernelINS0_14default_configENS1_38merge_sort_block_merge_config_selectorIllEEZZNS1_27merge_sort_block_merge_implIS3_PlN6thrust23THRUST_200600_302600_NS10device_ptrIlEEjNS1_19radix_merge_compareILb0ELb1ElNS0_19identity_decomposerEEEEE10hipError_tT0_T1_T2_jT3_P12ihipStream_tbPNSt15iterator_traitsISG_E10value_typeEPNSM_ISH_E10value_typeEPSI_NS1_7vsmem_tEENKUlT_SG_SH_SI_E_clIS7_S7_SB_S7_EESF_SV_SG_SH_SI_EUlSV_E1_NS1_11comp_targetILNS1_3genE3ELNS1_11target_archE908ELNS1_3gpuE7ELNS1_3repE0EEENS1_36merge_oddeven_config_static_selectorELNS0_4arch9wavefront6targetE1EEEvSH_,@function
_ZN7rocprim17ROCPRIM_400000_NS6detail17trampoline_kernelINS0_14default_configENS1_38merge_sort_block_merge_config_selectorIllEEZZNS1_27merge_sort_block_merge_implIS3_PlN6thrust23THRUST_200600_302600_NS10device_ptrIlEEjNS1_19radix_merge_compareILb0ELb1ElNS0_19identity_decomposerEEEEE10hipError_tT0_T1_T2_jT3_P12ihipStream_tbPNSt15iterator_traitsISG_E10value_typeEPNSM_ISH_E10value_typeEPSI_NS1_7vsmem_tEENKUlT_SG_SH_SI_E_clIS7_S7_SB_S7_EESF_SV_SG_SH_SI_EUlSV_E1_NS1_11comp_targetILNS1_3genE3ELNS1_11target_archE908ELNS1_3gpuE7ELNS1_3repE0EEENS1_36merge_oddeven_config_static_selectorELNS0_4arch9wavefront6targetE1EEEvSH_: ; @_ZN7rocprim17ROCPRIM_400000_NS6detail17trampoline_kernelINS0_14default_configENS1_38merge_sort_block_merge_config_selectorIllEEZZNS1_27merge_sort_block_merge_implIS3_PlN6thrust23THRUST_200600_302600_NS10device_ptrIlEEjNS1_19radix_merge_compareILb0ELb1ElNS0_19identity_decomposerEEEEE10hipError_tT0_T1_T2_jT3_P12ihipStream_tbPNSt15iterator_traitsISG_E10value_typeEPNSM_ISH_E10value_typeEPSI_NS1_7vsmem_tEENKUlT_SG_SH_SI_E_clIS7_S7_SB_S7_EESF_SV_SG_SH_SI_EUlSV_E1_NS1_11comp_targetILNS1_3genE3ELNS1_11target_archE908ELNS1_3gpuE7ELNS1_3repE0EEENS1_36merge_oddeven_config_static_selectorELNS0_4arch9wavefront6targetE1EEEvSH_
; %bb.0:
	.section	.rodata,"a",@progbits
	.p2align	6, 0x0
	.amdhsa_kernel _ZN7rocprim17ROCPRIM_400000_NS6detail17trampoline_kernelINS0_14default_configENS1_38merge_sort_block_merge_config_selectorIllEEZZNS1_27merge_sort_block_merge_implIS3_PlN6thrust23THRUST_200600_302600_NS10device_ptrIlEEjNS1_19radix_merge_compareILb0ELb1ElNS0_19identity_decomposerEEEEE10hipError_tT0_T1_T2_jT3_P12ihipStream_tbPNSt15iterator_traitsISG_E10value_typeEPNSM_ISH_E10value_typeEPSI_NS1_7vsmem_tEENKUlT_SG_SH_SI_E_clIS7_S7_SB_S7_EESF_SV_SG_SH_SI_EUlSV_E1_NS1_11comp_targetILNS1_3genE3ELNS1_11target_archE908ELNS1_3gpuE7ELNS1_3repE0EEENS1_36merge_oddeven_config_static_selectorELNS0_4arch9wavefront6targetE1EEEvSH_
		.amdhsa_group_segment_fixed_size 0
		.amdhsa_private_segment_fixed_size 0
		.amdhsa_kernarg_size 48
		.amdhsa_user_sgpr_count 6
		.amdhsa_user_sgpr_private_segment_buffer 1
		.amdhsa_user_sgpr_dispatch_ptr 0
		.amdhsa_user_sgpr_queue_ptr 0
		.amdhsa_user_sgpr_kernarg_segment_ptr 1
		.amdhsa_user_sgpr_dispatch_id 0
		.amdhsa_user_sgpr_flat_scratch_init 0
		.amdhsa_user_sgpr_kernarg_preload_length 0
		.amdhsa_user_sgpr_kernarg_preload_offset 0
		.amdhsa_user_sgpr_private_segment_size 0
		.amdhsa_uses_dynamic_stack 0
		.amdhsa_system_sgpr_private_segment_wavefront_offset 0
		.amdhsa_system_sgpr_workgroup_id_x 1
		.amdhsa_system_sgpr_workgroup_id_y 0
		.amdhsa_system_sgpr_workgroup_id_z 0
		.amdhsa_system_sgpr_workgroup_info 0
		.amdhsa_system_vgpr_workitem_id 0
		.amdhsa_next_free_vgpr 1
		.amdhsa_next_free_sgpr 0
		.amdhsa_accum_offset 4
		.amdhsa_reserve_vcc 0
		.amdhsa_reserve_flat_scratch 0
		.amdhsa_float_round_mode_32 0
		.amdhsa_float_round_mode_16_64 0
		.amdhsa_float_denorm_mode_32 3
		.amdhsa_float_denorm_mode_16_64 3
		.amdhsa_dx10_clamp 1
		.amdhsa_ieee_mode 1
		.amdhsa_fp16_overflow 0
		.amdhsa_tg_split 0
		.amdhsa_exception_fp_ieee_invalid_op 0
		.amdhsa_exception_fp_denorm_src 0
		.amdhsa_exception_fp_ieee_div_zero 0
		.amdhsa_exception_fp_ieee_overflow 0
		.amdhsa_exception_fp_ieee_underflow 0
		.amdhsa_exception_fp_ieee_inexact 0
		.amdhsa_exception_int_div_zero 0
	.end_amdhsa_kernel
	.section	.text._ZN7rocprim17ROCPRIM_400000_NS6detail17trampoline_kernelINS0_14default_configENS1_38merge_sort_block_merge_config_selectorIllEEZZNS1_27merge_sort_block_merge_implIS3_PlN6thrust23THRUST_200600_302600_NS10device_ptrIlEEjNS1_19radix_merge_compareILb0ELb1ElNS0_19identity_decomposerEEEEE10hipError_tT0_T1_T2_jT3_P12ihipStream_tbPNSt15iterator_traitsISG_E10value_typeEPNSM_ISH_E10value_typeEPSI_NS1_7vsmem_tEENKUlT_SG_SH_SI_E_clIS7_S7_SB_S7_EESF_SV_SG_SH_SI_EUlSV_E1_NS1_11comp_targetILNS1_3genE3ELNS1_11target_archE908ELNS1_3gpuE7ELNS1_3repE0EEENS1_36merge_oddeven_config_static_selectorELNS0_4arch9wavefront6targetE1EEEvSH_,"axG",@progbits,_ZN7rocprim17ROCPRIM_400000_NS6detail17trampoline_kernelINS0_14default_configENS1_38merge_sort_block_merge_config_selectorIllEEZZNS1_27merge_sort_block_merge_implIS3_PlN6thrust23THRUST_200600_302600_NS10device_ptrIlEEjNS1_19radix_merge_compareILb0ELb1ElNS0_19identity_decomposerEEEEE10hipError_tT0_T1_T2_jT3_P12ihipStream_tbPNSt15iterator_traitsISG_E10value_typeEPNSM_ISH_E10value_typeEPSI_NS1_7vsmem_tEENKUlT_SG_SH_SI_E_clIS7_S7_SB_S7_EESF_SV_SG_SH_SI_EUlSV_E1_NS1_11comp_targetILNS1_3genE3ELNS1_11target_archE908ELNS1_3gpuE7ELNS1_3repE0EEENS1_36merge_oddeven_config_static_selectorELNS0_4arch9wavefront6targetE1EEEvSH_,comdat
.Lfunc_end1110:
	.size	_ZN7rocprim17ROCPRIM_400000_NS6detail17trampoline_kernelINS0_14default_configENS1_38merge_sort_block_merge_config_selectorIllEEZZNS1_27merge_sort_block_merge_implIS3_PlN6thrust23THRUST_200600_302600_NS10device_ptrIlEEjNS1_19radix_merge_compareILb0ELb1ElNS0_19identity_decomposerEEEEE10hipError_tT0_T1_T2_jT3_P12ihipStream_tbPNSt15iterator_traitsISG_E10value_typeEPNSM_ISH_E10value_typeEPSI_NS1_7vsmem_tEENKUlT_SG_SH_SI_E_clIS7_S7_SB_S7_EESF_SV_SG_SH_SI_EUlSV_E1_NS1_11comp_targetILNS1_3genE3ELNS1_11target_archE908ELNS1_3gpuE7ELNS1_3repE0EEENS1_36merge_oddeven_config_static_selectorELNS0_4arch9wavefront6targetE1EEEvSH_, .Lfunc_end1110-_ZN7rocprim17ROCPRIM_400000_NS6detail17trampoline_kernelINS0_14default_configENS1_38merge_sort_block_merge_config_selectorIllEEZZNS1_27merge_sort_block_merge_implIS3_PlN6thrust23THRUST_200600_302600_NS10device_ptrIlEEjNS1_19radix_merge_compareILb0ELb1ElNS0_19identity_decomposerEEEEE10hipError_tT0_T1_T2_jT3_P12ihipStream_tbPNSt15iterator_traitsISG_E10value_typeEPNSM_ISH_E10value_typeEPSI_NS1_7vsmem_tEENKUlT_SG_SH_SI_E_clIS7_S7_SB_S7_EESF_SV_SG_SH_SI_EUlSV_E1_NS1_11comp_targetILNS1_3genE3ELNS1_11target_archE908ELNS1_3gpuE7ELNS1_3repE0EEENS1_36merge_oddeven_config_static_selectorELNS0_4arch9wavefront6targetE1EEEvSH_
                                        ; -- End function
	.section	.AMDGPU.csdata,"",@progbits
; Kernel info:
; codeLenInByte = 0
; NumSgprs: 4
; NumVgprs: 0
; NumAgprs: 0
; TotalNumVgprs: 0
; ScratchSize: 0
; MemoryBound: 0
; FloatMode: 240
; IeeeMode: 1
; LDSByteSize: 0 bytes/workgroup (compile time only)
; SGPRBlocks: 0
; VGPRBlocks: 0
; NumSGPRsForWavesPerEU: 4
; NumVGPRsForWavesPerEU: 1
; AccumOffset: 4
; Occupancy: 8
; WaveLimiterHint : 0
; COMPUTE_PGM_RSRC2:SCRATCH_EN: 0
; COMPUTE_PGM_RSRC2:USER_SGPR: 6
; COMPUTE_PGM_RSRC2:TRAP_HANDLER: 0
; COMPUTE_PGM_RSRC2:TGID_X_EN: 1
; COMPUTE_PGM_RSRC2:TGID_Y_EN: 0
; COMPUTE_PGM_RSRC2:TGID_Z_EN: 0
; COMPUTE_PGM_RSRC2:TIDIG_COMP_CNT: 0
; COMPUTE_PGM_RSRC3_GFX90A:ACCUM_OFFSET: 0
; COMPUTE_PGM_RSRC3_GFX90A:TG_SPLIT: 0
	.section	.text._ZN7rocprim17ROCPRIM_400000_NS6detail17trampoline_kernelINS0_14default_configENS1_38merge_sort_block_merge_config_selectorIllEEZZNS1_27merge_sort_block_merge_implIS3_PlN6thrust23THRUST_200600_302600_NS10device_ptrIlEEjNS1_19radix_merge_compareILb0ELb1ElNS0_19identity_decomposerEEEEE10hipError_tT0_T1_T2_jT3_P12ihipStream_tbPNSt15iterator_traitsISG_E10value_typeEPNSM_ISH_E10value_typeEPSI_NS1_7vsmem_tEENKUlT_SG_SH_SI_E_clIS7_S7_SB_S7_EESF_SV_SG_SH_SI_EUlSV_E1_NS1_11comp_targetILNS1_3genE2ELNS1_11target_archE906ELNS1_3gpuE6ELNS1_3repE0EEENS1_36merge_oddeven_config_static_selectorELNS0_4arch9wavefront6targetE1EEEvSH_,"axG",@progbits,_ZN7rocprim17ROCPRIM_400000_NS6detail17trampoline_kernelINS0_14default_configENS1_38merge_sort_block_merge_config_selectorIllEEZZNS1_27merge_sort_block_merge_implIS3_PlN6thrust23THRUST_200600_302600_NS10device_ptrIlEEjNS1_19radix_merge_compareILb0ELb1ElNS0_19identity_decomposerEEEEE10hipError_tT0_T1_T2_jT3_P12ihipStream_tbPNSt15iterator_traitsISG_E10value_typeEPNSM_ISH_E10value_typeEPSI_NS1_7vsmem_tEENKUlT_SG_SH_SI_E_clIS7_S7_SB_S7_EESF_SV_SG_SH_SI_EUlSV_E1_NS1_11comp_targetILNS1_3genE2ELNS1_11target_archE906ELNS1_3gpuE6ELNS1_3repE0EEENS1_36merge_oddeven_config_static_selectorELNS0_4arch9wavefront6targetE1EEEvSH_,comdat
	.protected	_ZN7rocprim17ROCPRIM_400000_NS6detail17trampoline_kernelINS0_14default_configENS1_38merge_sort_block_merge_config_selectorIllEEZZNS1_27merge_sort_block_merge_implIS3_PlN6thrust23THRUST_200600_302600_NS10device_ptrIlEEjNS1_19radix_merge_compareILb0ELb1ElNS0_19identity_decomposerEEEEE10hipError_tT0_T1_T2_jT3_P12ihipStream_tbPNSt15iterator_traitsISG_E10value_typeEPNSM_ISH_E10value_typeEPSI_NS1_7vsmem_tEENKUlT_SG_SH_SI_E_clIS7_S7_SB_S7_EESF_SV_SG_SH_SI_EUlSV_E1_NS1_11comp_targetILNS1_3genE2ELNS1_11target_archE906ELNS1_3gpuE6ELNS1_3repE0EEENS1_36merge_oddeven_config_static_selectorELNS0_4arch9wavefront6targetE1EEEvSH_ ; -- Begin function _ZN7rocprim17ROCPRIM_400000_NS6detail17trampoline_kernelINS0_14default_configENS1_38merge_sort_block_merge_config_selectorIllEEZZNS1_27merge_sort_block_merge_implIS3_PlN6thrust23THRUST_200600_302600_NS10device_ptrIlEEjNS1_19radix_merge_compareILb0ELb1ElNS0_19identity_decomposerEEEEE10hipError_tT0_T1_T2_jT3_P12ihipStream_tbPNSt15iterator_traitsISG_E10value_typeEPNSM_ISH_E10value_typeEPSI_NS1_7vsmem_tEENKUlT_SG_SH_SI_E_clIS7_S7_SB_S7_EESF_SV_SG_SH_SI_EUlSV_E1_NS1_11comp_targetILNS1_3genE2ELNS1_11target_archE906ELNS1_3gpuE6ELNS1_3repE0EEENS1_36merge_oddeven_config_static_selectorELNS0_4arch9wavefront6targetE1EEEvSH_
	.globl	_ZN7rocprim17ROCPRIM_400000_NS6detail17trampoline_kernelINS0_14default_configENS1_38merge_sort_block_merge_config_selectorIllEEZZNS1_27merge_sort_block_merge_implIS3_PlN6thrust23THRUST_200600_302600_NS10device_ptrIlEEjNS1_19radix_merge_compareILb0ELb1ElNS0_19identity_decomposerEEEEE10hipError_tT0_T1_T2_jT3_P12ihipStream_tbPNSt15iterator_traitsISG_E10value_typeEPNSM_ISH_E10value_typeEPSI_NS1_7vsmem_tEENKUlT_SG_SH_SI_E_clIS7_S7_SB_S7_EESF_SV_SG_SH_SI_EUlSV_E1_NS1_11comp_targetILNS1_3genE2ELNS1_11target_archE906ELNS1_3gpuE6ELNS1_3repE0EEENS1_36merge_oddeven_config_static_selectorELNS0_4arch9wavefront6targetE1EEEvSH_
	.p2align	8
	.type	_ZN7rocprim17ROCPRIM_400000_NS6detail17trampoline_kernelINS0_14default_configENS1_38merge_sort_block_merge_config_selectorIllEEZZNS1_27merge_sort_block_merge_implIS3_PlN6thrust23THRUST_200600_302600_NS10device_ptrIlEEjNS1_19radix_merge_compareILb0ELb1ElNS0_19identity_decomposerEEEEE10hipError_tT0_T1_T2_jT3_P12ihipStream_tbPNSt15iterator_traitsISG_E10value_typeEPNSM_ISH_E10value_typeEPSI_NS1_7vsmem_tEENKUlT_SG_SH_SI_E_clIS7_S7_SB_S7_EESF_SV_SG_SH_SI_EUlSV_E1_NS1_11comp_targetILNS1_3genE2ELNS1_11target_archE906ELNS1_3gpuE6ELNS1_3repE0EEENS1_36merge_oddeven_config_static_selectorELNS0_4arch9wavefront6targetE1EEEvSH_,@function
_ZN7rocprim17ROCPRIM_400000_NS6detail17trampoline_kernelINS0_14default_configENS1_38merge_sort_block_merge_config_selectorIllEEZZNS1_27merge_sort_block_merge_implIS3_PlN6thrust23THRUST_200600_302600_NS10device_ptrIlEEjNS1_19radix_merge_compareILb0ELb1ElNS0_19identity_decomposerEEEEE10hipError_tT0_T1_T2_jT3_P12ihipStream_tbPNSt15iterator_traitsISG_E10value_typeEPNSM_ISH_E10value_typeEPSI_NS1_7vsmem_tEENKUlT_SG_SH_SI_E_clIS7_S7_SB_S7_EESF_SV_SG_SH_SI_EUlSV_E1_NS1_11comp_targetILNS1_3genE2ELNS1_11target_archE906ELNS1_3gpuE6ELNS1_3repE0EEENS1_36merge_oddeven_config_static_selectorELNS0_4arch9wavefront6targetE1EEEvSH_: ; @_ZN7rocprim17ROCPRIM_400000_NS6detail17trampoline_kernelINS0_14default_configENS1_38merge_sort_block_merge_config_selectorIllEEZZNS1_27merge_sort_block_merge_implIS3_PlN6thrust23THRUST_200600_302600_NS10device_ptrIlEEjNS1_19radix_merge_compareILb0ELb1ElNS0_19identity_decomposerEEEEE10hipError_tT0_T1_T2_jT3_P12ihipStream_tbPNSt15iterator_traitsISG_E10value_typeEPNSM_ISH_E10value_typeEPSI_NS1_7vsmem_tEENKUlT_SG_SH_SI_E_clIS7_S7_SB_S7_EESF_SV_SG_SH_SI_EUlSV_E1_NS1_11comp_targetILNS1_3genE2ELNS1_11target_archE906ELNS1_3gpuE6ELNS1_3repE0EEENS1_36merge_oddeven_config_static_selectorELNS0_4arch9wavefront6targetE1EEEvSH_
; %bb.0:
	.section	.rodata,"a",@progbits
	.p2align	6, 0x0
	.amdhsa_kernel _ZN7rocprim17ROCPRIM_400000_NS6detail17trampoline_kernelINS0_14default_configENS1_38merge_sort_block_merge_config_selectorIllEEZZNS1_27merge_sort_block_merge_implIS3_PlN6thrust23THRUST_200600_302600_NS10device_ptrIlEEjNS1_19radix_merge_compareILb0ELb1ElNS0_19identity_decomposerEEEEE10hipError_tT0_T1_T2_jT3_P12ihipStream_tbPNSt15iterator_traitsISG_E10value_typeEPNSM_ISH_E10value_typeEPSI_NS1_7vsmem_tEENKUlT_SG_SH_SI_E_clIS7_S7_SB_S7_EESF_SV_SG_SH_SI_EUlSV_E1_NS1_11comp_targetILNS1_3genE2ELNS1_11target_archE906ELNS1_3gpuE6ELNS1_3repE0EEENS1_36merge_oddeven_config_static_selectorELNS0_4arch9wavefront6targetE1EEEvSH_
		.amdhsa_group_segment_fixed_size 0
		.amdhsa_private_segment_fixed_size 0
		.amdhsa_kernarg_size 48
		.amdhsa_user_sgpr_count 6
		.amdhsa_user_sgpr_private_segment_buffer 1
		.amdhsa_user_sgpr_dispatch_ptr 0
		.amdhsa_user_sgpr_queue_ptr 0
		.amdhsa_user_sgpr_kernarg_segment_ptr 1
		.amdhsa_user_sgpr_dispatch_id 0
		.amdhsa_user_sgpr_flat_scratch_init 0
		.amdhsa_user_sgpr_kernarg_preload_length 0
		.amdhsa_user_sgpr_kernarg_preload_offset 0
		.amdhsa_user_sgpr_private_segment_size 0
		.amdhsa_uses_dynamic_stack 0
		.amdhsa_system_sgpr_private_segment_wavefront_offset 0
		.amdhsa_system_sgpr_workgroup_id_x 1
		.amdhsa_system_sgpr_workgroup_id_y 0
		.amdhsa_system_sgpr_workgroup_id_z 0
		.amdhsa_system_sgpr_workgroup_info 0
		.amdhsa_system_vgpr_workitem_id 0
		.amdhsa_next_free_vgpr 1
		.amdhsa_next_free_sgpr 0
		.amdhsa_accum_offset 4
		.amdhsa_reserve_vcc 0
		.amdhsa_reserve_flat_scratch 0
		.amdhsa_float_round_mode_32 0
		.amdhsa_float_round_mode_16_64 0
		.amdhsa_float_denorm_mode_32 3
		.amdhsa_float_denorm_mode_16_64 3
		.amdhsa_dx10_clamp 1
		.amdhsa_ieee_mode 1
		.amdhsa_fp16_overflow 0
		.amdhsa_tg_split 0
		.amdhsa_exception_fp_ieee_invalid_op 0
		.amdhsa_exception_fp_denorm_src 0
		.amdhsa_exception_fp_ieee_div_zero 0
		.amdhsa_exception_fp_ieee_overflow 0
		.amdhsa_exception_fp_ieee_underflow 0
		.amdhsa_exception_fp_ieee_inexact 0
		.amdhsa_exception_int_div_zero 0
	.end_amdhsa_kernel
	.section	.text._ZN7rocprim17ROCPRIM_400000_NS6detail17trampoline_kernelINS0_14default_configENS1_38merge_sort_block_merge_config_selectorIllEEZZNS1_27merge_sort_block_merge_implIS3_PlN6thrust23THRUST_200600_302600_NS10device_ptrIlEEjNS1_19radix_merge_compareILb0ELb1ElNS0_19identity_decomposerEEEEE10hipError_tT0_T1_T2_jT3_P12ihipStream_tbPNSt15iterator_traitsISG_E10value_typeEPNSM_ISH_E10value_typeEPSI_NS1_7vsmem_tEENKUlT_SG_SH_SI_E_clIS7_S7_SB_S7_EESF_SV_SG_SH_SI_EUlSV_E1_NS1_11comp_targetILNS1_3genE2ELNS1_11target_archE906ELNS1_3gpuE6ELNS1_3repE0EEENS1_36merge_oddeven_config_static_selectorELNS0_4arch9wavefront6targetE1EEEvSH_,"axG",@progbits,_ZN7rocprim17ROCPRIM_400000_NS6detail17trampoline_kernelINS0_14default_configENS1_38merge_sort_block_merge_config_selectorIllEEZZNS1_27merge_sort_block_merge_implIS3_PlN6thrust23THRUST_200600_302600_NS10device_ptrIlEEjNS1_19radix_merge_compareILb0ELb1ElNS0_19identity_decomposerEEEEE10hipError_tT0_T1_T2_jT3_P12ihipStream_tbPNSt15iterator_traitsISG_E10value_typeEPNSM_ISH_E10value_typeEPSI_NS1_7vsmem_tEENKUlT_SG_SH_SI_E_clIS7_S7_SB_S7_EESF_SV_SG_SH_SI_EUlSV_E1_NS1_11comp_targetILNS1_3genE2ELNS1_11target_archE906ELNS1_3gpuE6ELNS1_3repE0EEENS1_36merge_oddeven_config_static_selectorELNS0_4arch9wavefront6targetE1EEEvSH_,comdat
.Lfunc_end1111:
	.size	_ZN7rocprim17ROCPRIM_400000_NS6detail17trampoline_kernelINS0_14default_configENS1_38merge_sort_block_merge_config_selectorIllEEZZNS1_27merge_sort_block_merge_implIS3_PlN6thrust23THRUST_200600_302600_NS10device_ptrIlEEjNS1_19radix_merge_compareILb0ELb1ElNS0_19identity_decomposerEEEEE10hipError_tT0_T1_T2_jT3_P12ihipStream_tbPNSt15iterator_traitsISG_E10value_typeEPNSM_ISH_E10value_typeEPSI_NS1_7vsmem_tEENKUlT_SG_SH_SI_E_clIS7_S7_SB_S7_EESF_SV_SG_SH_SI_EUlSV_E1_NS1_11comp_targetILNS1_3genE2ELNS1_11target_archE906ELNS1_3gpuE6ELNS1_3repE0EEENS1_36merge_oddeven_config_static_selectorELNS0_4arch9wavefront6targetE1EEEvSH_, .Lfunc_end1111-_ZN7rocprim17ROCPRIM_400000_NS6detail17trampoline_kernelINS0_14default_configENS1_38merge_sort_block_merge_config_selectorIllEEZZNS1_27merge_sort_block_merge_implIS3_PlN6thrust23THRUST_200600_302600_NS10device_ptrIlEEjNS1_19radix_merge_compareILb0ELb1ElNS0_19identity_decomposerEEEEE10hipError_tT0_T1_T2_jT3_P12ihipStream_tbPNSt15iterator_traitsISG_E10value_typeEPNSM_ISH_E10value_typeEPSI_NS1_7vsmem_tEENKUlT_SG_SH_SI_E_clIS7_S7_SB_S7_EESF_SV_SG_SH_SI_EUlSV_E1_NS1_11comp_targetILNS1_3genE2ELNS1_11target_archE906ELNS1_3gpuE6ELNS1_3repE0EEENS1_36merge_oddeven_config_static_selectorELNS0_4arch9wavefront6targetE1EEEvSH_
                                        ; -- End function
	.section	.AMDGPU.csdata,"",@progbits
; Kernel info:
; codeLenInByte = 0
; NumSgprs: 4
; NumVgprs: 0
; NumAgprs: 0
; TotalNumVgprs: 0
; ScratchSize: 0
; MemoryBound: 0
; FloatMode: 240
; IeeeMode: 1
; LDSByteSize: 0 bytes/workgroup (compile time only)
; SGPRBlocks: 0
; VGPRBlocks: 0
; NumSGPRsForWavesPerEU: 4
; NumVGPRsForWavesPerEU: 1
; AccumOffset: 4
; Occupancy: 8
; WaveLimiterHint : 0
; COMPUTE_PGM_RSRC2:SCRATCH_EN: 0
; COMPUTE_PGM_RSRC2:USER_SGPR: 6
; COMPUTE_PGM_RSRC2:TRAP_HANDLER: 0
; COMPUTE_PGM_RSRC2:TGID_X_EN: 1
; COMPUTE_PGM_RSRC2:TGID_Y_EN: 0
; COMPUTE_PGM_RSRC2:TGID_Z_EN: 0
; COMPUTE_PGM_RSRC2:TIDIG_COMP_CNT: 0
; COMPUTE_PGM_RSRC3_GFX90A:ACCUM_OFFSET: 0
; COMPUTE_PGM_RSRC3_GFX90A:TG_SPLIT: 0
	.section	.text._ZN7rocprim17ROCPRIM_400000_NS6detail17trampoline_kernelINS0_14default_configENS1_38merge_sort_block_merge_config_selectorIllEEZZNS1_27merge_sort_block_merge_implIS3_PlN6thrust23THRUST_200600_302600_NS10device_ptrIlEEjNS1_19radix_merge_compareILb0ELb1ElNS0_19identity_decomposerEEEEE10hipError_tT0_T1_T2_jT3_P12ihipStream_tbPNSt15iterator_traitsISG_E10value_typeEPNSM_ISH_E10value_typeEPSI_NS1_7vsmem_tEENKUlT_SG_SH_SI_E_clIS7_S7_SB_S7_EESF_SV_SG_SH_SI_EUlSV_E1_NS1_11comp_targetILNS1_3genE9ELNS1_11target_archE1100ELNS1_3gpuE3ELNS1_3repE0EEENS1_36merge_oddeven_config_static_selectorELNS0_4arch9wavefront6targetE1EEEvSH_,"axG",@progbits,_ZN7rocprim17ROCPRIM_400000_NS6detail17trampoline_kernelINS0_14default_configENS1_38merge_sort_block_merge_config_selectorIllEEZZNS1_27merge_sort_block_merge_implIS3_PlN6thrust23THRUST_200600_302600_NS10device_ptrIlEEjNS1_19radix_merge_compareILb0ELb1ElNS0_19identity_decomposerEEEEE10hipError_tT0_T1_T2_jT3_P12ihipStream_tbPNSt15iterator_traitsISG_E10value_typeEPNSM_ISH_E10value_typeEPSI_NS1_7vsmem_tEENKUlT_SG_SH_SI_E_clIS7_S7_SB_S7_EESF_SV_SG_SH_SI_EUlSV_E1_NS1_11comp_targetILNS1_3genE9ELNS1_11target_archE1100ELNS1_3gpuE3ELNS1_3repE0EEENS1_36merge_oddeven_config_static_selectorELNS0_4arch9wavefront6targetE1EEEvSH_,comdat
	.protected	_ZN7rocprim17ROCPRIM_400000_NS6detail17trampoline_kernelINS0_14default_configENS1_38merge_sort_block_merge_config_selectorIllEEZZNS1_27merge_sort_block_merge_implIS3_PlN6thrust23THRUST_200600_302600_NS10device_ptrIlEEjNS1_19radix_merge_compareILb0ELb1ElNS0_19identity_decomposerEEEEE10hipError_tT0_T1_T2_jT3_P12ihipStream_tbPNSt15iterator_traitsISG_E10value_typeEPNSM_ISH_E10value_typeEPSI_NS1_7vsmem_tEENKUlT_SG_SH_SI_E_clIS7_S7_SB_S7_EESF_SV_SG_SH_SI_EUlSV_E1_NS1_11comp_targetILNS1_3genE9ELNS1_11target_archE1100ELNS1_3gpuE3ELNS1_3repE0EEENS1_36merge_oddeven_config_static_selectorELNS0_4arch9wavefront6targetE1EEEvSH_ ; -- Begin function _ZN7rocprim17ROCPRIM_400000_NS6detail17trampoline_kernelINS0_14default_configENS1_38merge_sort_block_merge_config_selectorIllEEZZNS1_27merge_sort_block_merge_implIS3_PlN6thrust23THRUST_200600_302600_NS10device_ptrIlEEjNS1_19radix_merge_compareILb0ELb1ElNS0_19identity_decomposerEEEEE10hipError_tT0_T1_T2_jT3_P12ihipStream_tbPNSt15iterator_traitsISG_E10value_typeEPNSM_ISH_E10value_typeEPSI_NS1_7vsmem_tEENKUlT_SG_SH_SI_E_clIS7_S7_SB_S7_EESF_SV_SG_SH_SI_EUlSV_E1_NS1_11comp_targetILNS1_3genE9ELNS1_11target_archE1100ELNS1_3gpuE3ELNS1_3repE0EEENS1_36merge_oddeven_config_static_selectorELNS0_4arch9wavefront6targetE1EEEvSH_
	.globl	_ZN7rocprim17ROCPRIM_400000_NS6detail17trampoline_kernelINS0_14default_configENS1_38merge_sort_block_merge_config_selectorIllEEZZNS1_27merge_sort_block_merge_implIS3_PlN6thrust23THRUST_200600_302600_NS10device_ptrIlEEjNS1_19radix_merge_compareILb0ELb1ElNS0_19identity_decomposerEEEEE10hipError_tT0_T1_T2_jT3_P12ihipStream_tbPNSt15iterator_traitsISG_E10value_typeEPNSM_ISH_E10value_typeEPSI_NS1_7vsmem_tEENKUlT_SG_SH_SI_E_clIS7_S7_SB_S7_EESF_SV_SG_SH_SI_EUlSV_E1_NS1_11comp_targetILNS1_3genE9ELNS1_11target_archE1100ELNS1_3gpuE3ELNS1_3repE0EEENS1_36merge_oddeven_config_static_selectorELNS0_4arch9wavefront6targetE1EEEvSH_
	.p2align	8
	.type	_ZN7rocprim17ROCPRIM_400000_NS6detail17trampoline_kernelINS0_14default_configENS1_38merge_sort_block_merge_config_selectorIllEEZZNS1_27merge_sort_block_merge_implIS3_PlN6thrust23THRUST_200600_302600_NS10device_ptrIlEEjNS1_19radix_merge_compareILb0ELb1ElNS0_19identity_decomposerEEEEE10hipError_tT0_T1_T2_jT3_P12ihipStream_tbPNSt15iterator_traitsISG_E10value_typeEPNSM_ISH_E10value_typeEPSI_NS1_7vsmem_tEENKUlT_SG_SH_SI_E_clIS7_S7_SB_S7_EESF_SV_SG_SH_SI_EUlSV_E1_NS1_11comp_targetILNS1_3genE9ELNS1_11target_archE1100ELNS1_3gpuE3ELNS1_3repE0EEENS1_36merge_oddeven_config_static_selectorELNS0_4arch9wavefront6targetE1EEEvSH_,@function
_ZN7rocprim17ROCPRIM_400000_NS6detail17trampoline_kernelINS0_14default_configENS1_38merge_sort_block_merge_config_selectorIllEEZZNS1_27merge_sort_block_merge_implIS3_PlN6thrust23THRUST_200600_302600_NS10device_ptrIlEEjNS1_19radix_merge_compareILb0ELb1ElNS0_19identity_decomposerEEEEE10hipError_tT0_T1_T2_jT3_P12ihipStream_tbPNSt15iterator_traitsISG_E10value_typeEPNSM_ISH_E10value_typeEPSI_NS1_7vsmem_tEENKUlT_SG_SH_SI_E_clIS7_S7_SB_S7_EESF_SV_SG_SH_SI_EUlSV_E1_NS1_11comp_targetILNS1_3genE9ELNS1_11target_archE1100ELNS1_3gpuE3ELNS1_3repE0EEENS1_36merge_oddeven_config_static_selectorELNS0_4arch9wavefront6targetE1EEEvSH_: ; @_ZN7rocprim17ROCPRIM_400000_NS6detail17trampoline_kernelINS0_14default_configENS1_38merge_sort_block_merge_config_selectorIllEEZZNS1_27merge_sort_block_merge_implIS3_PlN6thrust23THRUST_200600_302600_NS10device_ptrIlEEjNS1_19radix_merge_compareILb0ELb1ElNS0_19identity_decomposerEEEEE10hipError_tT0_T1_T2_jT3_P12ihipStream_tbPNSt15iterator_traitsISG_E10value_typeEPNSM_ISH_E10value_typeEPSI_NS1_7vsmem_tEENKUlT_SG_SH_SI_E_clIS7_S7_SB_S7_EESF_SV_SG_SH_SI_EUlSV_E1_NS1_11comp_targetILNS1_3genE9ELNS1_11target_archE1100ELNS1_3gpuE3ELNS1_3repE0EEENS1_36merge_oddeven_config_static_selectorELNS0_4arch9wavefront6targetE1EEEvSH_
; %bb.0:
	.section	.rodata,"a",@progbits
	.p2align	6, 0x0
	.amdhsa_kernel _ZN7rocprim17ROCPRIM_400000_NS6detail17trampoline_kernelINS0_14default_configENS1_38merge_sort_block_merge_config_selectorIllEEZZNS1_27merge_sort_block_merge_implIS3_PlN6thrust23THRUST_200600_302600_NS10device_ptrIlEEjNS1_19radix_merge_compareILb0ELb1ElNS0_19identity_decomposerEEEEE10hipError_tT0_T1_T2_jT3_P12ihipStream_tbPNSt15iterator_traitsISG_E10value_typeEPNSM_ISH_E10value_typeEPSI_NS1_7vsmem_tEENKUlT_SG_SH_SI_E_clIS7_S7_SB_S7_EESF_SV_SG_SH_SI_EUlSV_E1_NS1_11comp_targetILNS1_3genE9ELNS1_11target_archE1100ELNS1_3gpuE3ELNS1_3repE0EEENS1_36merge_oddeven_config_static_selectorELNS0_4arch9wavefront6targetE1EEEvSH_
		.amdhsa_group_segment_fixed_size 0
		.amdhsa_private_segment_fixed_size 0
		.amdhsa_kernarg_size 48
		.amdhsa_user_sgpr_count 6
		.amdhsa_user_sgpr_private_segment_buffer 1
		.amdhsa_user_sgpr_dispatch_ptr 0
		.amdhsa_user_sgpr_queue_ptr 0
		.amdhsa_user_sgpr_kernarg_segment_ptr 1
		.amdhsa_user_sgpr_dispatch_id 0
		.amdhsa_user_sgpr_flat_scratch_init 0
		.amdhsa_user_sgpr_kernarg_preload_length 0
		.amdhsa_user_sgpr_kernarg_preload_offset 0
		.amdhsa_user_sgpr_private_segment_size 0
		.amdhsa_uses_dynamic_stack 0
		.amdhsa_system_sgpr_private_segment_wavefront_offset 0
		.amdhsa_system_sgpr_workgroup_id_x 1
		.amdhsa_system_sgpr_workgroup_id_y 0
		.amdhsa_system_sgpr_workgroup_id_z 0
		.amdhsa_system_sgpr_workgroup_info 0
		.amdhsa_system_vgpr_workitem_id 0
		.amdhsa_next_free_vgpr 1
		.amdhsa_next_free_sgpr 0
		.amdhsa_accum_offset 4
		.amdhsa_reserve_vcc 0
		.amdhsa_reserve_flat_scratch 0
		.amdhsa_float_round_mode_32 0
		.amdhsa_float_round_mode_16_64 0
		.amdhsa_float_denorm_mode_32 3
		.amdhsa_float_denorm_mode_16_64 3
		.amdhsa_dx10_clamp 1
		.amdhsa_ieee_mode 1
		.amdhsa_fp16_overflow 0
		.amdhsa_tg_split 0
		.amdhsa_exception_fp_ieee_invalid_op 0
		.amdhsa_exception_fp_denorm_src 0
		.amdhsa_exception_fp_ieee_div_zero 0
		.amdhsa_exception_fp_ieee_overflow 0
		.amdhsa_exception_fp_ieee_underflow 0
		.amdhsa_exception_fp_ieee_inexact 0
		.amdhsa_exception_int_div_zero 0
	.end_amdhsa_kernel
	.section	.text._ZN7rocprim17ROCPRIM_400000_NS6detail17trampoline_kernelINS0_14default_configENS1_38merge_sort_block_merge_config_selectorIllEEZZNS1_27merge_sort_block_merge_implIS3_PlN6thrust23THRUST_200600_302600_NS10device_ptrIlEEjNS1_19radix_merge_compareILb0ELb1ElNS0_19identity_decomposerEEEEE10hipError_tT0_T1_T2_jT3_P12ihipStream_tbPNSt15iterator_traitsISG_E10value_typeEPNSM_ISH_E10value_typeEPSI_NS1_7vsmem_tEENKUlT_SG_SH_SI_E_clIS7_S7_SB_S7_EESF_SV_SG_SH_SI_EUlSV_E1_NS1_11comp_targetILNS1_3genE9ELNS1_11target_archE1100ELNS1_3gpuE3ELNS1_3repE0EEENS1_36merge_oddeven_config_static_selectorELNS0_4arch9wavefront6targetE1EEEvSH_,"axG",@progbits,_ZN7rocprim17ROCPRIM_400000_NS6detail17trampoline_kernelINS0_14default_configENS1_38merge_sort_block_merge_config_selectorIllEEZZNS1_27merge_sort_block_merge_implIS3_PlN6thrust23THRUST_200600_302600_NS10device_ptrIlEEjNS1_19radix_merge_compareILb0ELb1ElNS0_19identity_decomposerEEEEE10hipError_tT0_T1_T2_jT3_P12ihipStream_tbPNSt15iterator_traitsISG_E10value_typeEPNSM_ISH_E10value_typeEPSI_NS1_7vsmem_tEENKUlT_SG_SH_SI_E_clIS7_S7_SB_S7_EESF_SV_SG_SH_SI_EUlSV_E1_NS1_11comp_targetILNS1_3genE9ELNS1_11target_archE1100ELNS1_3gpuE3ELNS1_3repE0EEENS1_36merge_oddeven_config_static_selectorELNS0_4arch9wavefront6targetE1EEEvSH_,comdat
.Lfunc_end1112:
	.size	_ZN7rocprim17ROCPRIM_400000_NS6detail17trampoline_kernelINS0_14default_configENS1_38merge_sort_block_merge_config_selectorIllEEZZNS1_27merge_sort_block_merge_implIS3_PlN6thrust23THRUST_200600_302600_NS10device_ptrIlEEjNS1_19radix_merge_compareILb0ELb1ElNS0_19identity_decomposerEEEEE10hipError_tT0_T1_T2_jT3_P12ihipStream_tbPNSt15iterator_traitsISG_E10value_typeEPNSM_ISH_E10value_typeEPSI_NS1_7vsmem_tEENKUlT_SG_SH_SI_E_clIS7_S7_SB_S7_EESF_SV_SG_SH_SI_EUlSV_E1_NS1_11comp_targetILNS1_3genE9ELNS1_11target_archE1100ELNS1_3gpuE3ELNS1_3repE0EEENS1_36merge_oddeven_config_static_selectorELNS0_4arch9wavefront6targetE1EEEvSH_, .Lfunc_end1112-_ZN7rocprim17ROCPRIM_400000_NS6detail17trampoline_kernelINS0_14default_configENS1_38merge_sort_block_merge_config_selectorIllEEZZNS1_27merge_sort_block_merge_implIS3_PlN6thrust23THRUST_200600_302600_NS10device_ptrIlEEjNS1_19radix_merge_compareILb0ELb1ElNS0_19identity_decomposerEEEEE10hipError_tT0_T1_T2_jT3_P12ihipStream_tbPNSt15iterator_traitsISG_E10value_typeEPNSM_ISH_E10value_typeEPSI_NS1_7vsmem_tEENKUlT_SG_SH_SI_E_clIS7_S7_SB_S7_EESF_SV_SG_SH_SI_EUlSV_E1_NS1_11comp_targetILNS1_3genE9ELNS1_11target_archE1100ELNS1_3gpuE3ELNS1_3repE0EEENS1_36merge_oddeven_config_static_selectorELNS0_4arch9wavefront6targetE1EEEvSH_
                                        ; -- End function
	.section	.AMDGPU.csdata,"",@progbits
; Kernel info:
; codeLenInByte = 0
; NumSgprs: 4
; NumVgprs: 0
; NumAgprs: 0
; TotalNumVgprs: 0
; ScratchSize: 0
; MemoryBound: 0
; FloatMode: 240
; IeeeMode: 1
; LDSByteSize: 0 bytes/workgroup (compile time only)
; SGPRBlocks: 0
; VGPRBlocks: 0
; NumSGPRsForWavesPerEU: 4
; NumVGPRsForWavesPerEU: 1
; AccumOffset: 4
; Occupancy: 8
; WaveLimiterHint : 0
; COMPUTE_PGM_RSRC2:SCRATCH_EN: 0
; COMPUTE_PGM_RSRC2:USER_SGPR: 6
; COMPUTE_PGM_RSRC2:TRAP_HANDLER: 0
; COMPUTE_PGM_RSRC2:TGID_X_EN: 1
; COMPUTE_PGM_RSRC2:TGID_Y_EN: 0
; COMPUTE_PGM_RSRC2:TGID_Z_EN: 0
; COMPUTE_PGM_RSRC2:TIDIG_COMP_CNT: 0
; COMPUTE_PGM_RSRC3_GFX90A:ACCUM_OFFSET: 0
; COMPUTE_PGM_RSRC3_GFX90A:TG_SPLIT: 0
	.section	.text._ZN7rocprim17ROCPRIM_400000_NS6detail17trampoline_kernelINS0_14default_configENS1_38merge_sort_block_merge_config_selectorIllEEZZNS1_27merge_sort_block_merge_implIS3_PlN6thrust23THRUST_200600_302600_NS10device_ptrIlEEjNS1_19radix_merge_compareILb0ELb1ElNS0_19identity_decomposerEEEEE10hipError_tT0_T1_T2_jT3_P12ihipStream_tbPNSt15iterator_traitsISG_E10value_typeEPNSM_ISH_E10value_typeEPSI_NS1_7vsmem_tEENKUlT_SG_SH_SI_E_clIS7_S7_SB_S7_EESF_SV_SG_SH_SI_EUlSV_E1_NS1_11comp_targetILNS1_3genE8ELNS1_11target_archE1030ELNS1_3gpuE2ELNS1_3repE0EEENS1_36merge_oddeven_config_static_selectorELNS0_4arch9wavefront6targetE1EEEvSH_,"axG",@progbits,_ZN7rocprim17ROCPRIM_400000_NS6detail17trampoline_kernelINS0_14default_configENS1_38merge_sort_block_merge_config_selectorIllEEZZNS1_27merge_sort_block_merge_implIS3_PlN6thrust23THRUST_200600_302600_NS10device_ptrIlEEjNS1_19radix_merge_compareILb0ELb1ElNS0_19identity_decomposerEEEEE10hipError_tT0_T1_T2_jT3_P12ihipStream_tbPNSt15iterator_traitsISG_E10value_typeEPNSM_ISH_E10value_typeEPSI_NS1_7vsmem_tEENKUlT_SG_SH_SI_E_clIS7_S7_SB_S7_EESF_SV_SG_SH_SI_EUlSV_E1_NS1_11comp_targetILNS1_3genE8ELNS1_11target_archE1030ELNS1_3gpuE2ELNS1_3repE0EEENS1_36merge_oddeven_config_static_selectorELNS0_4arch9wavefront6targetE1EEEvSH_,comdat
	.protected	_ZN7rocprim17ROCPRIM_400000_NS6detail17trampoline_kernelINS0_14default_configENS1_38merge_sort_block_merge_config_selectorIllEEZZNS1_27merge_sort_block_merge_implIS3_PlN6thrust23THRUST_200600_302600_NS10device_ptrIlEEjNS1_19radix_merge_compareILb0ELb1ElNS0_19identity_decomposerEEEEE10hipError_tT0_T1_T2_jT3_P12ihipStream_tbPNSt15iterator_traitsISG_E10value_typeEPNSM_ISH_E10value_typeEPSI_NS1_7vsmem_tEENKUlT_SG_SH_SI_E_clIS7_S7_SB_S7_EESF_SV_SG_SH_SI_EUlSV_E1_NS1_11comp_targetILNS1_3genE8ELNS1_11target_archE1030ELNS1_3gpuE2ELNS1_3repE0EEENS1_36merge_oddeven_config_static_selectorELNS0_4arch9wavefront6targetE1EEEvSH_ ; -- Begin function _ZN7rocprim17ROCPRIM_400000_NS6detail17trampoline_kernelINS0_14default_configENS1_38merge_sort_block_merge_config_selectorIllEEZZNS1_27merge_sort_block_merge_implIS3_PlN6thrust23THRUST_200600_302600_NS10device_ptrIlEEjNS1_19radix_merge_compareILb0ELb1ElNS0_19identity_decomposerEEEEE10hipError_tT0_T1_T2_jT3_P12ihipStream_tbPNSt15iterator_traitsISG_E10value_typeEPNSM_ISH_E10value_typeEPSI_NS1_7vsmem_tEENKUlT_SG_SH_SI_E_clIS7_S7_SB_S7_EESF_SV_SG_SH_SI_EUlSV_E1_NS1_11comp_targetILNS1_3genE8ELNS1_11target_archE1030ELNS1_3gpuE2ELNS1_3repE0EEENS1_36merge_oddeven_config_static_selectorELNS0_4arch9wavefront6targetE1EEEvSH_
	.globl	_ZN7rocprim17ROCPRIM_400000_NS6detail17trampoline_kernelINS0_14default_configENS1_38merge_sort_block_merge_config_selectorIllEEZZNS1_27merge_sort_block_merge_implIS3_PlN6thrust23THRUST_200600_302600_NS10device_ptrIlEEjNS1_19radix_merge_compareILb0ELb1ElNS0_19identity_decomposerEEEEE10hipError_tT0_T1_T2_jT3_P12ihipStream_tbPNSt15iterator_traitsISG_E10value_typeEPNSM_ISH_E10value_typeEPSI_NS1_7vsmem_tEENKUlT_SG_SH_SI_E_clIS7_S7_SB_S7_EESF_SV_SG_SH_SI_EUlSV_E1_NS1_11comp_targetILNS1_3genE8ELNS1_11target_archE1030ELNS1_3gpuE2ELNS1_3repE0EEENS1_36merge_oddeven_config_static_selectorELNS0_4arch9wavefront6targetE1EEEvSH_
	.p2align	8
	.type	_ZN7rocprim17ROCPRIM_400000_NS6detail17trampoline_kernelINS0_14default_configENS1_38merge_sort_block_merge_config_selectorIllEEZZNS1_27merge_sort_block_merge_implIS3_PlN6thrust23THRUST_200600_302600_NS10device_ptrIlEEjNS1_19radix_merge_compareILb0ELb1ElNS0_19identity_decomposerEEEEE10hipError_tT0_T1_T2_jT3_P12ihipStream_tbPNSt15iterator_traitsISG_E10value_typeEPNSM_ISH_E10value_typeEPSI_NS1_7vsmem_tEENKUlT_SG_SH_SI_E_clIS7_S7_SB_S7_EESF_SV_SG_SH_SI_EUlSV_E1_NS1_11comp_targetILNS1_3genE8ELNS1_11target_archE1030ELNS1_3gpuE2ELNS1_3repE0EEENS1_36merge_oddeven_config_static_selectorELNS0_4arch9wavefront6targetE1EEEvSH_,@function
_ZN7rocprim17ROCPRIM_400000_NS6detail17trampoline_kernelINS0_14default_configENS1_38merge_sort_block_merge_config_selectorIllEEZZNS1_27merge_sort_block_merge_implIS3_PlN6thrust23THRUST_200600_302600_NS10device_ptrIlEEjNS1_19radix_merge_compareILb0ELb1ElNS0_19identity_decomposerEEEEE10hipError_tT0_T1_T2_jT3_P12ihipStream_tbPNSt15iterator_traitsISG_E10value_typeEPNSM_ISH_E10value_typeEPSI_NS1_7vsmem_tEENKUlT_SG_SH_SI_E_clIS7_S7_SB_S7_EESF_SV_SG_SH_SI_EUlSV_E1_NS1_11comp_targetILNS1_3genE8ELNS1_11target_archE1030ELNS1_3gpuE2ELNS1_3repE0EEENS1_36merge_oddeven_config_static_selectorELNS0_4arch9wavefront6targetE1EEEvSH_: ; @_ZN7rocprim17ROCPRIM_400000_NS6detail17trampoline_kernelINS0_14default_configENS1_38merge_sort_block_merge_config_selectorIllEEZZNS1_27merge_sort_block_merge_implIS3_PlN6thrust23THRUST_200600_302600_NS10device_ptrIlEEjNS1_19radix_merge_compareILb0ELb1ElNS0_19identity_decomposerEEEEE10hipError_tT0_T1_T2_jT3_P12ihipStream_tbPNSt15iterator_traitsISG_E10value_typeEPNSM_ISH_E10value_typeEPSI_NS1_7vsmem_tEENKUlT_SG_SH_SI_E_clIS7_S7_SB_S7_EESF_SV_SG_SH_SI_EUlSV_E1_NS1_11comp_targetILNS1_3genE8ELNS1_11target_archE1030ELNS1_3gpuE2ELNS1_3repE0EEENS1_36merge_oddeven_config_static_selectorELNS0_4arch9wavefront6targetE1EEEvSH_
; %bb.0:
	.section	.rodata,"a",@progbits
	.p2align	6, 0x0
	.amdhsa_kernel _ZN7rocprim17ROCPRIM_400000_NS6detail17trampoline_kernelINS0_14default_configENS1_38merge_sort_block_merge_config_selectorIllEEZZNS1_27merge_sort_block_merge_implIS3_PlN6thrust23THRUST_200600_302600_NS10device_ptrIlEEjNS1_19radix_merge_compareILb0ELb1ElNS0_19identity_decomposerEEEEE10hipError_tT0_T1_T2_jT3_P12ihipStream_tbPNSt15iterator_traitsISG_E10value_typeEPNSM_ISH_E10value_typeEPSI_NS1_7vsmem_tEENKUlT_SG_SH_SI_E_clIS7_S7_SB_S7_EESF_SV_SG_SH_SI_EUlSV_E1_NS1_11comp_targetILNS1_3genE8ELNS1_11target_archE1030ELNS1_3gpuE2ELNS1_3repE0EEENS1_36merge_oddeven_config_static_selectorELNS0_4arch9wavefront6targetE1EEEvSH_
		.amdhsa_group_segment_fixed_size 0
		.amdhsa_private_segment_fixed_size 0
		.amdhsa_kernarg_size 48
		.amdhsa_user_sgpr_count 6
		.amdhsa_user_sgpr_private_segment_buffer 1
		.amdhsa_user_sgpr_dispatch_ptr 0
		.amdhsa_user_sgpr_queue_ptr 0
		.amdhsa_user_sgpr_kernarg_segment_ptr 1
		.amdhsa_user_sgpr_dispatch_id 0
		.amdhsa_user_sgpr_flat_scratch_init 0
		.amdhsa_user_sgpr_kernarg_preload_length 0
		.amdhsa_user_sgpr_kernarg_preload_offset 0
		.amdhsa_user_sgpr_private_segment_size 0
		.amdhsa_uses_dynamic_stack 0
		.amdhsa_system_sgpr_private_segment_wavefront_offset 0
		.amdhsa_system_sgpr_workgroup_id_x 1
		.amdhsa_system_sgpr_workgroup_id_y 0
		.amdhsa_system_sgpr_workgroup_id_z 0
		.amdhsa_system_sgpr_workgroup_info 0
		.amdhsa_system_vgpr_workitem_id 0
		.amdhsa_next_free_vgpr 1
		.amdhsa_next_free_sgpr 0
		.amdhsa_accum_offset 4
		.amdhsa_reserve_vcc 0
		.amdhsa_reserve_flat_scratch 0
		.amdhsa_float_round_mode_32 0
		.amdhsa_float_round_mode_16_64 0
		.amdhsa_float_denorm_mode_32 3
		.amdhsa_float_denorm_mode_16_64 3
		.amdhsa_dx10_clamp 1
		.amdhsa_ieee_mode 1
		.amdhsa_fp16_overflow 0
		.amdhsa_tg_split 0
		.amdhsa_exception_fp_ieee_invalid_op 0
		.amdhsa_exception_fp_denorm_src 0
		.amdhsa_exception_fp_ieee_div_zero 0
		.amdhsa_exception_fp_ieee_overflow 0
		.amdhsa_exception_fp_ieee_underflow 0
		.amdhsa_exception_fp_ieee_inexact 0
		.amdhsa_exception_int_div_zero 0
	.end_amdhsa_kernel
	.section	.text._ZN7rocprim17ROCPRIM_400000_NS6detail17trampoline_kernelINS0_14default_configENS1_38merge_sort_block_merge_config_selectorIllEEZZNS1_27merge_sort_block_merge_implIS3_PlN6thrust23THRUST_200600_302600_NS10device_ptrIlEEjNS1_19radix_merge_compareILb0ELb1ElNS0_19identity_decomposerEEEEE10hipError_tT0_T1_T2_jT3_P12ihipStream_tbPNSt15iterator_traitsISG_E10value_typeEPNSM_ISH_E10value_typeEPSI_NS1_7vsmem_tEENKUlT_SG_SH_SI_E_clIS7_S7_SB_S7_EESF_SV_SG_SH_SI_EUlSV_E1_NS1_11comp_targetILNS1_3genE8ELNS1_11target_archE1030ELNS1_3gpuE2ELNS1_3repE0EEENS1_36merge_oddeven_config_static_selectorELNS0_4arch9wavefront6targetE1EEEvSH_,"axG",@progbits,_ZN7rocprim17ROCPRIM_400000_NS6detail17trampoline_kernelINS0_14default_configENS1_38merge_sort_block_merge_config_selectorIllEEZZNS1_27merge_sort_block_merge_implIS3_PlN6thrust23THRUST_200600_302600_NS10device_ptrIlEEjNS1_19radix_merge_compareILb0ELb1ElNS0_19identity_decomposerEEEEE10hipError_tT0_T1_T2_jT3_P12ihipStream_tbPNSt15iterator_traitsISG_E10value_typeEPNSM_ISH_E10value_typeEPSI_NS1_7vsmem_tEENKUlT_SG_SH_SI_E_clIS7_S7_SB_S7_EESF_SV_SG_SH_SI_EUlSV_E1_NS1_11comp_targetILNS1_3genE8ELNS1_11target_archE1030ELNS1_3gpuE2ELNS1_3repE0EEENS1_36merge_oddeven_config_static_selectorELNS0_4arch9wavefront6targetE1EEEvSH_,comdat
.Lfunc_end1113:
	.size	_ZN7rocprim17ROCPRIM_400000_NS6detail17trampoline_kernelINS0_14default_configENS1_38merge_sort_block_merge_config_selectorIllEEZZNS1_27merge_sort_block_merge_implIS3_PlN6thrust23THRUST_200600_302600_NS10device_ptrIlEEjNS1_19radix_merge_compareILb0ELb1ElNS0_19identity_decomposerEEEEE10hipError_tT0_T1_T2_jT3_P12ihipStream_tbPNSt15iterator_traitsISG_E10value_typeEPNSM_ISH_E10value_typeEPSI_NS1_7vsmem_tEENKUlT_SG_SH_SI_E_clIS7_S7_SB_S7_EESF_SV_SG_SH_SI_EUlSV_E1_NS1_11comp_targetILNS1_3genE8ELNS1_11target_archE1030ELNS1_3gpuE2ELNS1_3repE0EEENS1_36merge_oddeven_config_static_selectorELNS0_4arch9wavefront6targetE1EEEvSH_, .Lfunc_end1113-_ZN7rocprim17ROCPRIM_400000_NS6detail17trampoline_kernelINS0_14default_configENS1_38merge_sort_block_merge_config_selectorIllEEZZNS1_27merge_sort_block_merge_implIS3_PlN6thrust23THRUST_200600_302600_NS10device_ptrIlEEjNS1_19radix_merge_compareILb0ELb1ElNS0_19identity_decomposerEEEEE10hipError_tT0_T1_T2_jT3_P12ihipStream_tbPNSt15iterator_traitsISG_E10value_typeEPNSM_ISH_E10value_typeEPSI_NS1_7vsmem_tEENKUlT_SG_SH_SI_E_clIS7_S7_SB_S7_EESF_SV_SG_SH_SI_EUlSV_E1_NS1_11comp_targetILNS1_3genE8ELNS1_11target_archE1030ELNS1_3gpuE2ELNS1_3repE0EEENS1_36merge_oddeven_config_static_selectorELNS0_4arch9wavefront6targetE1EEEvSH_
                                        ; -- End function
	.section	.AMDGPU.csdata,"",@progbits
; Kernel info:
; codeLenInByte = 0
; NumSgprs: 4
; NumVgprs: 0
; NumAgprs: 0
; TotalNumVgprs: 0
; ScratchSize: 0
; MemoryBound: 0
; FloatMode: 240
; IeeeMode: 1
; LDSByteSize: 0 bytes/workgroup (compile time only)
; SGPRBlocks: 0
; VGPRBlocks: 0
; NumSGPRsForWavesPerEU: 4
; NumVGPRsForWavesPerEU: 1
; AccumOffset: 4
; Occupancy: 8
; WaveLimiterHint : 0
; COMPUTE_PGM_RSRC2:SCRATCH_EN: 0
; COMPUTE_PGM_RSRC2:USER_SGPR: 6
; COMPUTE_PGM_RSRC2:TRAP_HANDLER: 0
; COMPUTE_PGM_RSRC2:TGID_X_EN: 1
; COMPUTE_PGM_RSRC2:TGID_Y_EN: 0
; COMPUTE_PGM_RSRC2:TGID_Z_EN: 0
; COMPUTE_PGM_RSRC2:TIDIG_COMP_CNT: 0
; COMPUTE_PGM_RSRC3_GFX90A:ACCUM_OFFSET: 0
; COMPUTE_PGM_RSRC3_GFX90A:TG_SPLIT: 0
	.section	.text._ZN7rocprim17ROCPRIM_400000_NS6detail17trampoline_kernelINS0_14default_configENS1_35radix_sort_onesweep_config_selectorIllEEZNS1_34radix_sort_onesweep_global_offsetsIS3_Lb0EPlN6thrust23THRUST_200600_302600_NS10device_ptrIlEEjNS0_19identity_decomposerEEE10hipError_tT1_T2_PT3_SG_jT4_jjP12ihipStream_tbEUlT_E_NS1_11comp_targetILNS1_3genE0ELNS1_11target_archE4294967295ELNS1_3gpuE0ELNS1_3repE0EEENS1_52radix_sort_onesweep_histogram_config_static_selectorELNS0_4arch9wavefront6targetE1EEEvSE_,"axG",@progbits,_ZN7rocprim17ROCPRIM_400000_NS6detail17trampoline_kernelINS0_14default_configENS1_35radix_sort_onesweep_config_selectorIllEEZNS1_34radix_sort_onesweep_global_offsetsIS3_Lb0EPlN6thrust23THRUST_200600_302600_NS10device_ptrIlEEjNS0_19identity_decomposerEEE10hipError_tT1_T2_PT3_SG_jT4_jjP12ihipStream_tbEUlT_E_NS1_11comp_targetILNS1_3genE0ELNS1_11target_archE4294967295ELNS1_3gpuE0ELNS1_3repE0EEENS1_52radix_sort_onesweep_histogram_config_static_selectorELNS0_4arch9wavefront6targetE1EEEvSE_,comdat
	.protected	_ZN7rocprim17ROCPRIM_400000_NS6detail17trampoline_kernelINS0_14default_configENS1_35radix_sort_onesweep_config_selectorIllEEZNS1_34radix_sort_onesweep_global_offsetsIS3_Lb0EPlN6thrust23THRUST_200600_302600_NS10device_ptrIlEEjNS0_19identity_decomposerEEE10hipError_tT1_T2_PT3_SG_jT4_jjP12ihipStream_tbEUlT_E_NS1_11comp_targetILNS1_3genE0ELNS1_11target_archE4294967295ELNS1_3gpuE0ELNS1_3repE0EEENS1_52radix_sort_onesweep_histogram_config_static_selectorELNS0_4arch9wavefront6targetE1EEEvSE_ ; -- Begin function _ZN7rocprim17ROCPRIM_400000_NS6detail17trampoline_kernelINS0_14default_configENS1_35radix_sort_onesweep_config_selectorIllEEZNS1_34radix_sort_onesweep_global_offsetsIS3_Lb0EPlN6thrust23THRUST_200600_302600_NS10device_ptrIlEEjNS0_19identity_decomposerEEE10hipError_tT1_T2_PT3_SG_jT4_jjP12ihipStream_tbEUlT_E_NS1_11comp_targetILNS1_3genE0ELNS1_11target_archE4294967295ELNS1_3gpuE0ELNS1_3repE0EEENS1_52radix_sort_onesweep_histogram_config_static_selectorELNS0_4arch9wavefront6targetE1EEEvSE_
	.globl	_ZN7rocprim17ROCPRIM_400000_NS6detail17trampoline_kernelINS0_14default_configENS1_35radix_sort_onesweep_config_selectorIllEEZNS1_34radix_sort_onesweep_global_offsetsIS3_Lb0EPlN6thrust23THRUST_200600_302600_NS10device_ptrIlEEjNS0_19identity_decomposerEEE10hipError_tT1_T2_PT3_SG_jT4_jjP12ihipStream_tbEUlT_E_NS1_11comp_targetILNS1_3genE0ELNS1_11target_archE4294967295ELNS1_3gpuE0ELNS1_3repE0EEENS1_52radix_sort_onesweep_histogram_config_static_selectorELNS0_4arch9wavefront6targetE1EEEvSE_
	.p2align	8
	.type	_ZN7rocprim17ROCPRIM_400000_NS6detail17trampoline_kernelINS0_14default_configENS1_35radix_sort_onesweep_config_selectorIllEEZNS1_34radix_sort_onesweep_global_offsetsIS3_Lb0EPlN6thrust23THRUST_200600_302600_NS10device_ptrIlEEjNS0_19identity_decomposerEEE10hipError_tT1_T2_PT3_SG_jT4_jjP12ihipStream_tbEUlT_E_NS1_11comp_targetILNS1_3genE0ELNS1_11target_archE4294967295ELNS1_3gpuE0ELNS1_3repE0EEENS1_52radix_sort_onesweep_histogram_config_static_selectorELNS0_4arch9wavefront6targetE1EEEvSE_,@function
_ZN7rocprim17ROCPRIM_400000_NS6detail17trampoline_kernelINS0_14default_configENS1_35radix_sort_onesweep_config_selectorIllEEZNS1_34radix_sort_onesweep_global_offsetsIS3_Lb0EPlN6thrust23THRUST_200600_302600_NS10device_ptrIlEEjNS0_19identity_decomposerEEE10hipError_tT1_T2_PT3_SG_jT4_jjP12ihipStream_tbEUlT_E_NS1_11comp_targetILNS1_3genE0ELNS1_11target_archE4294967295ELNS1_3gpuE0ELNS1_3repE0EEENS1_52radix_sort_onesweep_histogram_config_static_selectorELNS0_4arch9wavefront6targetE1EEEvSE_: ; @_ZN7rocprim17ROCPRIM_400000_NS6detail17trampoline_kernelINS0_14default_configENS1_35radix_sort_onesweep_config_selectorIllEEZNS1_34radix_sort_onesweep_global_offsetsIS3_Lb0EPlN6thrust23THRUST_200600_302600_NS10device_ptrIlEEjNS0_19identity_decomposerEEE10hipError_tT1_T2_PT3_SG_jT4_jjP12ihipStream_tbEUlT_E_NS1_11comp_targetILNS1_3genE0ELNS1_11target_archE4294967295ELNS1_3gpuE0ELNS1_3repE0EEENS1_52radix_sort_onesweep_histogram_config_static_selectorELNS0_4arch9wavefront6targetE1EEEvSE_
; %bb.0:
	.section	.rodata,"a",@progbits
	.p2align	6, 0x0
	.amdhsa_kernel _ZN7rocprim17ROCPRIM_400000_NS6detail17trampoline_kernelINS0_14default_configENS1_35radix_sort_onesweep_config_selectorIllEEZNS1_34radix_sort_onesweep_global_offsetsIS3_Lb0EPlN6thrust23THRUST_200600_302600_NS10device_ptrIlEEjNS0_19identity_decomposerEEE10hipError_tT1_T2_PT3_SG_jT4_jjP12ihipStream_tbEUlT_E_NS1_11comp_targetILNS1_3genE0ELNS1_11target_archE4294967295ELNS1_3gpuE0ELNS1_3repE0EEENS1_52radix_sort_onesweep_histogram_config_static_selectorELNS0_4arch9wavefront6targetE1EEEvSE_
		.amdhsa_group_segment_fixed_size 0
		.amdhsa_private_segment_fixed_size 0
		.amdhsa_kernarg_size 40
		.amdhsa_user_sgpr_count 6
		.amdhsa_user_sgpr_private_segment_buffer 1
		.amdhsa_user_sgpr_dispatch_ptr 0
		.amdhsa_user_sgpr_queue_ptr 0
		.amdhsa_user_sgpr_kernarg_segment_ptr 1
		.amdhsa_user_sgpr_dispatch_id 0
		.amdhsa_user_sgpr_flat_scratch_init 0
		.amdhsa_user_sgpr_kernarg_preload_length 0
		.amdhsa_user_sgpr_kernarg_preload_offset 0
		.amdhsa_user_sgpr_private_segment_size 0
		.amdhsa_uses_dynamic_stack 0
		.amdhsa_system_sgpr_private_segment_wavefront_offset 0
		.amdhsa_system_sgpr_workgroup_id_x 1
		.amdhsa_system_sgpr_workgroup_id_y 0
		.amdhsa_system_sgpr_workgroup_id_z 0
		.amdhsa_system_sgpr_workgroup_info 0
		.amdhsa_system_vgpr_workitem_id 0
		.amdhsa_next_free_vgpr 1
		.amdhsa_next_free_sgpr 0
		.amdhsa_accum_offset 4
		.amdhsa_reserve_vcc 0
		.amdhsa_reserve_flat_scratch 0
		.amdhsa_float_round_mode_32 0
		.amdhsa_float_round_mode_16_64 0
		.amdhsa_float_denorm_mode_32 3
		.amdhsa_float_denorm_mode_16_64 3
		.amdhsa_dx10_clamp 1
		.amdhsa_ieee_mode 1
		.amdhsa_fp16_overflow 0
		.amdhsa_tg_split 0
		.amdhsa_exception_fp_ieee_invalid_op 0
		.amdhsa_exception_fp_denorm_src 0
		.amdhsa_exception_fp_ieee_div_zero 0
		.amdhsa_exception_fp_ieee_overflow 0
		.amdhsa_exception_fp_ieee_underflow 0
		.amdhsa_exception_fp_ieee_inexact 0
		.amdhsa_exception_int_div_zero 0
	.end_amdhsa_kernel
	.section	.text._ZN7rocprim17ROCPRIM_400000_NS6detail17trampoline_kernelINS0_14default_configENS1_35radix_sort_onesweep_config_selectorIllEEZNS1_34radix_sort_onesweep_global_offsetsIS3_Lb0EPlN6thrust23THRUST_200600_302600_NS10device_ptrIlEEjNS0_19identity_decomposerEEE10hipError_tT1_T2_PT3_SG_jT4_jjP12ihipStream_tbEUlT_E_NS1_11comp_targetILNS1_3genE0ELNS1_11target_archE4294967295ELNS1_3gpuE0ELNS1_3repE0EEENS1_52radix_sort_onesweep_histogram_config_static_selectorELNS0_4arch9wavefront6targetE1EEEvSE_,"axG",@progbits,_ZN7rocprim17ROCPRIM_400000_NS6detail17trampoline_kernelINS0_14default_configENS1_35radix_sort_onesweep_config_selectorIllEEZNS1_34radix_sort_onesweep_global_offsetsIS3_Lb0EPlN6thrust23THRUST_200600_302600_NS10device_ptrIlEEjNS0_19identity_decomposerEEE10hipError_tT1_T2_PT3_SG_jT4_jjP12ihipStream_tbEUlT_E_NS1_11comp_targetILNS1_3genE0ELNS1_11target_archE4294967295ELNS1_3gpuE0ELNS1_3repE0EEENS1_52radix_sort_onesweep_histogram_config_static_selectorELNS0_4arch9wavefront6targetE1EEEvSE_,comdat
.Lfunc_end1114:
	.size	_ZN7rocprim17ROCPRIM_400000_NS6detail17trampoline_kernelINS0_14default_configENS1_35radix_sort_onesweep_config_selectorIllEEZNS1_34radix_sort_onesweep_global_offsetsIS3_Lb0EPlN6thrust23THRUST_200600_302600_NS10device_ptrIlEEjNS0_19identity_decomposerEEE10hipError_tT1_T2_PT3_SG_jT4_jjP12ihipStream_tbEUlT_E_NS1_11comp_targetILNS1_3genE0ELNS1_11target_archE4294967295ELNS1_3gpuE0ELNS1_3repE0EEENS1_52radix_sort_onesweep_histogram_config_static_selectorELNS0_4arch9wavefront6targetE1EEEvSE_, .Lfunc_end1114-_ZN7rocprim17ROCPRIM_400000_NS6detail17trampoline_kernelINS0_14default_configENS1_35radix_sort_onesweep_config_selectorIllEEZNS1_34radix_sort_onesweep_global_offsetsIS3_Lb0EPlN6thrust23THRUST_200600_302600_NS10device_ptrIlEEjNS0_19identity_decomposerEEE10hipError_tT1_T2_PT3_SG_jT4_jjP12ihipStream_tbEUlT_E_NS1_11comp_targetILNS1_3genE0ELNS1_11target_archE4294967295ELNS1_3gpuE0ELNS1_3repE0EEENS1_52radix_sort_onesweep_histogram_config_static_selectorELNS0_4arch9wavefront6targetE1EEEvSE_
                                        ; -- End function
	.section	.AMDGPU.csdata,"",@progbits
; Kernel info:
; codeLenInByte = 0
; NumSgprs: 4
; NumVgprs: 0
; NumAgprs: 0
; TotalNumVgprs: 0
; ScratchSize: 0
; MemoryBound: 0
; FloatMode: 240
; IeeeMode: 1
; LDSByteSize: 0 bytes/workgroup (compile time only)
; SGPRBlocks: 0
; VGPRBlocks: 0
; NumSGPRsForWavesPerEU: 4
; NumVGPRsForWavesPerEU: 1
; AccumOffset: 4
; Occupancy: 8
; WaveLimiterHint : 0
; COMPUTE_PGM_RSRC2:SCRATCH_EN: 0
; COMPUTE_PGM_RSRC2:USER_SGPR: 6
; COMPUTE_PGM_RSRC2:TRAP_HANDLER: 0
; COMPUTE_PGM_RSRC2:TGID_X_EN: 1
; COMPUTE_PGM_RSRC2:TGID_Y_EN: 0
; COMPUTE_PGM_RSRC2:TGID_Z_EN: 0
; COMPUTE_PGM_RSRC2:TIDIG_COMP_CNT: 0
; COMPUTE_PGM_RSRC3_GFX90A:ACCUM_OFFSET: 0
; COMPUTE_PGM_RSRC3_GFX90A:TG_SPLIT: 0
	.section	.text._ZN7rocprim17ROCPRIM_400000_NS6detail17trampoline_kernelINS0_14default_configENS1_35radix_sort_onesweep_config_selectorIllEEZNS1_34radix_sort_onesweep_global_offsetsIS3_Lb0EPlN6thrust23THRUST_200600_302600_NS10device_ptrIlEEjNS0_19identity_decomposerEEE10hipError_tT1_T2_PT3_SG_jT4_jjP12ihipStream_tbEUlT_E_NS1_11comp_targetILNS1_3genE6ELNS1_11target_archE950ELNS1_3gpuE13ELNS1_3repE0EEENS1_52radix_sort_onesweep_histogram_config_static_selectorELNS0_4arch9wavefront6targetE1EEEvSE_,"axG",@progbits,_ZN7rocprim17ROCPRIM_400000_NS6detail17trampoline_kernelINS0_14default_configENS1_35radix_sort_onesweep_config_selectorIllEEZNS1_34radix_sort_onesweep_global_offsetsIS3_Lb0EPlN6thrust23THRUST_200600_302600_NS10device_ptrIlEEjNS0_19identity_decomposerEEE10hipError_tT1_T2_PT3_SG_jT4_jjP12ihipStream_tbEUlT_E_NS1_11comp_targetILNS1_3genE6ELNS1_11target_archE950ELNS1_3gpuE13ELNS1_3repE0EEENS1_52radix_sort_onesweep_histogram_config_static_selectorELNS0_4arch9wavefront6targetE1EEEvSE_,comdat
	.protected	_ZN7rocprim17ROCPRIM_400000_NS6detail17trampoline_kernelINS0_14default_configENS1_35radix_sort_onesweep_config_selectorIllEEZNS1_34radix_sort_onesweep_global_offsetsIS3_Lb0EPlN6thrust23THRUST_200600_302600_NS10device_ptrIlEEjNS0_19identity_decomposerEEE10hipError_tT1_T2_PT3_SG_jT4_jjP12ihipStream_tbEUlT_E_NS1_11comp_targetILNS1_3genE6ELNS1_11target_archE950ELNS1_3gpuE13ELNS1_3repE0EEENS1_52radix_sort_onesweep_histogram_config_static_selectorELNS0_4arch9wavefront6targetE1EEEvSE_ ; -- Begin function _ZN7rocprim17ROCPRIM_400000_NS6detail17trampoline_kernelINS0_14default_configENS1_35radix_sort_onesweep_config_selectorIllEEZNS1_34radix_sort_onesweep_global_offsetsIS3_Lb0EPlN6thrust23THRUST_200600_302600_NS10device_ptrIlEEjNS0_19identity_decomposerEEE10hipError_tT1_T2_PT3_SG_jT4_jjP12ihipStream_tbEUlT_E_NS1_11comp_targetILNS1_3genE6ELNS1_11target_archE950ELNS1_3gpuE13ELNS1_3repE0EEENS1_52radix_sort_onesweep_histogram_config_static_selectorELNS0_4arch9wavefront6targetE1EEEvSE_
	.globl	_ZN7rocprim17ROCPRIM_400000_NS6detail17trampoline_kernelINS0_14default_configENS1_35radix_sort_onesweep_config_selectorIllEEZNS1_34radix_sort_onesweep_global_offsetsIS3_Lb0EPlN6thrust23THRUST_200600_302600_NS10device_ptrIlEEjNS0_19identity_decomposerEEE10hipError_tT1_T2_PT3_SG_jT4_jjP12ihipStream_tbEUlT_E_NS1_11comp_targetILNS1_3genE6ELNS1_11target_archE950ELNS1_3gpuE13ELNS1_3repE0EEENS1_52radix_sort_onesweep_histogram_config_static_selectorELNS0_4arch9wavefront6targetE1EEEvSE_
	.p2align	8
	.type	_ZN7rocprim17ROCPRIM_400000_NS6detail17trampoline_kernelINS0_14default_configENS1_35radix_sort_onesweep_config_selectorIllEEZNS1_34radix_sort_onesweep_global_offsetsIS3_Lb0EPlN6thrust23THRUST_200600_302600_NS10device_ptrIlEEjNS0_19identity_decomposerEEE10hipError_tT1_T2_PT3_SG_jT4_jjP12ihipStream_tbEUlT_E_NS1_11comp_targetILNS1_3genE6ELNS1_11target_archE950ELNS1_3gpuE13ELNS1_3repE0EEENS1_52radix_sort_onesweep_histogram_config_static_selectorELNS0_4arch9wavefront6targetE1EEEvSE_,@function
_ZN7rocprim17ROCPRIM_400000_NS6detail17trampoline_kernelINS0_14default_configENS1_35radix_sort_onesweep_config_selectorIllEEZNS1_34radix_sort_onesweep_global_offsetsIS3_Lb0EPlN6thrust23THRUST_200600_302600_NS10device_ptrIlEEjNS0_19identity_decomposerEEE10hipError_tT1_T2_PT3_SG_jT4_jjP12ihipStream_tbEUlT_E_NS1_11comp_targetILNS1_3genE6ELNS1_11target_archE950ELNS1_3gpuE13ELNS1_3repE0EEENS1_52radix_sort_onesweep_histogram_config_static_selectorELNS0_4arch9wavefront6targetE1EEEvSE_: ; @_ZN7rocprim17ROCPRIM_400000_NS6detail17trampoline_kernelINS0_14default_configENS1_35radix_sort_onesweep_config_selectorIllEEZNS1_34radix_sort_onesweep_global_offsetsIS3_Lb0EPlN6thrust23THRUST_200600_302600_NS10device_ptrIlEEjNS0_19identity_decomposerEEE10hipError_tT1_T2_PT3_SG_jT4_jjP12ihipStream_tbEUlT_E_NS1_11comp_targetILNS1_3genE6ELNS1_11target_archE950ELNS1_3gpuE13ELNS1_3repE0EEENS1_52radix_sort_onesweep_histogram_config_static_selectorELNS0_4arch9wavefront6targetE1EEEvSE_
; %bb.0:
	.section	.rodata,"a",@progbits
	.p2align	6, 0x0
	.amdhsa_kernel _ZN7rocprim17ROCPRIM_400000_NS6detail17trampoline_kernelINS0_14default_configENS1_35radix_sort_onesweep_config_selectorIllEEZNS1_34radix_sort_onesweep_global_offsetsIS3_Lb0EPlN6thrust23THRUST_200600_302600_NS10device_ptrIlEEjNS0_19identity_decomposerEEE10hipError_tT1_T2_PT3_SG_jT4_jjP12ihipStream_tbEUlT_E_NS1_11comp_targetILNS1_3genE6ELNS1_11target_archE950ELNS1_3gpuE13ELNS1_3repE0EEENS1_52radix_sort_onesweep_histogram_config_static_selectorELNS0_4arch9wavefront6targetE1EEEvSE_
		.amdhsa_group_segment_fixed_size 0
		.amdhsa_private_segment_fixed_size 0
		.amdhsa_kernarg_size 40
		.amdhsa_user_sgpr_count 6
		.amdhsa_user_sgpr_private_segment_buffer 1
		.amdhsa_user_sgpr_dispatch_ptr 0
		.amdhsa_user_sgpr_queue_ptr 0
		.amdhsa_user_sgpr_kernarg_segment_ptr 1
		.amdhsa_user_sgpr_dispatch_id 0
		.amdhsa_user_sgpr_flat_scratch_init 0
		.amdhsa_user_sgpr_kernarg_preload_length 0
		.amdhsa_user_sgpr_kernarg_preload_offset 0
		.amdhsa_user_sgpr_private_segment_size 0
		.amdhsa_uses_dynamic_stack 0
		.amdhsa_system_sgpr_private_segment_wavefront_offset 0
		.amdhsa_system_sgpr_workgroup_id_x 1
		.amdhsa_system_sgpr_workgroup_id_y 0
		.amdhsa_system_sgpr_workgroup_id_z 0
		.amdhsa_system_sgpr_workgroup_info 0
		.amdhsa_system_vgpr_workitem_id 0
		.amdhsa_next_free_vgpr 1
		.amdhsa_next_free_sgpr 0
		.amdhsa_accum_offset 4
		.amdhsa_reserve_vcc 0
		.amdhsa_reserve_flat_scratch 0
		.amdhsa_float_round_mode_32 0
		.amdhsa_float_round_mode_16_64 0
		.amdhsa_float_denorm_mode_32 3
		.amdhsa_float_denorm_mode_16_64 3
		.amdhsa_dx10_clamp 1
		.amdhsa_ieee_mode 1
		.amdhsa_fp16_overflow 0
		.amdhsa_tg_split 0
		.amdhsa_exception_fp_ieee_invalid_op 0
		.amdhsa_exception_fp_denorm_src 0
		.amdhsa_exception_fp_ieee_div_zero 0
		.amdhsa_exception_fp_ieee_overflow 0
		.amdhsa_exception_fp_ieee_underflow 0
		.amdhsa_exception_fp_ieee_inexact 0
		.amdhsa_exception_int_div_zero 0
	.end_amdhsa_kernel
	.section	.text._ZN7rocprim17ROCPRIM_400000_NS6detail17trampoline_kernelINS0_14default_configENS1_35radix_sort_onesweep_config_selectorIllEEZNS1_34radix_sort_onesweep_global_offsetsIS3_Lb0EPlN6thrust23THRUST_200600_302600_NS10device_ptrIlEEjNS0_19identity_decomposerEEE10hipError_tT1_T2_PT3_SG_jT4_jjP12ihipStream_tbEUlT_E_NS1_11comp_targetILNS1_3genE6ELNS1_11target_archE950ELNS1_3gpuE13ELNS1_3repE0EEENS1_52radix_sort_onesweep_histogram_config_static_selectorELNS0_4arch9wavefront6targetE1EEEvSE_,"axG",@progbits,_ZN7rocprim17ROCPRIM_400000_NS6detail17trampoline_kernelINS0_14default_configENS1_35radix_sort_onesweep_config_selectorIllEEZNS1_34radix_sort_onesweep_global_offsetsIS3_Lb0EPlN6thrust23THRUST_200600_302600_NS10device_ptrIlEEjNS0_19identity_decomposerEEE10hipError_tT1_T2_PT3_SG_jT4_jjP12ihipStream_tbEUlT_E_NS1_11comp_targetILNS1_3genE6ELNS1_11target_archE950ELNS1_3gpuE13ELNS1_3repE0EEENS1_52radix_sort_onesweep_histogram_config_static_selectorELNS0_4arch9wavefront6targetE1EEEvSE_,comdat
.Lfunc_end1115:
	.size	_ZN7rocprim17ROCPRIM_400000_NS6detail17trampoline_kernelINS0_14default_configENS1_35radix_sort_onesweep_config_selectorIllEEZNS1_34radix_sort_onesweep_global_offsetsIS3_Lb0EPlN6thrust23THRUST_200600_302600_NS10device_ptrIlEEjNS0_19identity_decomposerEEE10hipError_tT1_T2_PT3_SG_jT4_jjP12ihipStream_tbEUlT_E_NS1_11comp_targetILNS1_3genE6ELNS1_11target_archE950ELNS1_3gpuE13ELNS1_3repE0EEENS1_52radix_sort_onesweep_histogram_config_static_selectorELNS0_4arch9wavefront6targetE1EEEvSE_, .Lfunc_end1115-_ZN7rocprim17ROCPRIM_400000_NS6detail17trampoline_kernelINS0_14default_configENS1_35radix_sort_onesweep_config_selectorIllEEZNS1_34radix_sort_onesweep_global_offsetsIS3_Lb0EPlN6thrust23THRUST_200600_302600_NS10device_ptrIlEEjNS0_19identity_decomposerEEE10hipError_tT1_T2_PT3_SG_jT4_jjP12ihipStream_tbEUlT_E_NS1_11comp_targetILNS1_3genE6ELNS1_11target_archE950ELNS1_3gpuE13ELNS1_3repE0EEENS1_52radix_sort_onesweep_histogram_config_static_selectorELNS0_4arch9wavefront6targetE1EEEvSE_
                                        ; -- End function
	.section	.AMDGPU.csdata,"",@progbits
; Kernel info:
; codeLenInByte = 0
; NumSgprs: 4
; NumVgprs: 0
; NumAgprs: 0
; TotalNumVgprs: 0
; ScratchSize: 0
; MemoryBound: 0
; FloatMode: 240
; IeeeMode: 1
; LDSByteSize: 0 bytes/workgroup (compile time only)
; SGPRBlocks: 0
; VGPRBlocks: 0
; NumSGPRsForWavesPerEU: 4
; NumVGPRsForWavesPerEU: 1
; AccumOffset: 4
; Occupancy: 8
; WaveLimiterHint : 0
; COMPUTE_PGM_RSRC2:SCRATCH_EN: 0
; COMPUTE_PGM_RSRC2:USER_SGPR: 6
; COMPUTE_PGM_RSRC2:TRAP_HANDLER: 0
; COMPUTE_PGM_RSRC2:TGID_X_EN: 1
; COMPUTE_PGM_RSRC2:TGID_Y_EN: 0
; COMPUTE_PGM_RSRC2:TGID_Z_EN: 0
; COMPUTE_PGM_RSRC2:TIDIG_COMP_CNT: 0
; COMPUTE_PGM_RSRC3_GFX90A:ACCUM_OFFSET: 0
; COMPUTE_PGM_RSRC3_GFX90A:TG_SPLIT: 0
	.section	.text._ZN7rocprim17ROCPRIM_400000_NS6detail17trampoline_kernelINS0_14default_configENS1_35radix_sort_onesweep_config_selectorIllEEZNS1_34radix_sort_onesweep_global_offsetsIS3_Lb0EPlN6thrust23THRUST_200600_302600_NS10device_ptrIlEEjNS0_19identity_decomposerEEE10hipError_tT1_T2_PT3_SG_jT4_jjP12ihipStream_tbEUlT_E_NS1_11comp_targetILNS1_3genE5ELNS1_11target_archE942ELNS1_3gpuE9ELNS1_3repE0EEENS1_52radix_sort_onesweep_histogram_config_static_selectorELNS0_4arch9wavefront6targetE1EEEvSE_,"axG",@progbits,_ZN7rocprim17ROCPRIM_400000_NS6detail17trampoline_kernelINS0_14default_configENS1_35radix_sort_onesweep_config_selectorIllEEZNS1_34radix_sort_onesweep_global_offsetsIS3_Lb0EPlN6thrust23THRUST_200600_302600_NS10device_ptrIlEEjNS0_19identity_decomposerEEE10hipError_tT1_T2_PT3_SG_jT4_jjP12ihipStream_tbEUlT_E_NS1_11comp_targetILNS1_3genE5ELNS1_11target_archE942ELNS1_3gpuE9ELNS1_3repE0EEENS1_52radix_sort_onesweep_histogram_config_static_selectorELNS0_4arch9wavefront6targetE1EEEvSE_,comdat
	.protected	_ZN7rocprim17ROCPRIM_400000_NS6detail17trampoline_kernelINS0_14default_configENS1_35radix_sort_onesweep_config_selectorIllEEZNS1_34radix_sort_onesweep_global_offsetsIS3_Lb0EPlN6thrust23THRUST_200600_302600_NS10device_ptrIlEEjNS0_19identity_decomposerEEE10hipError_tT1_T2_PT3_SG_jT4_jjP12ihipStream_tbEUlT_E_NS1_11comp_targetILNS1_3genE5ELNS1_11target_archE942ELNS1_3gpuE9ELNS1_3repE0EEENS1_52radix_sort_onesweep_histogram_config_static_selectorELNS0_4arch9wavefront6targetE1EEEvSE_ ; -- Begin function _ZN7rocprim17ROCPRIM_400000_NS6detail17trampoline_kernelINS0_14default_configENS1_35radix_sort_onesweep_config_selectorIllEEZNS1_34radix_sort_onesweep_global_offsetsIS3_Lb0EPlN6thrust23THRUST_200600_302600_NS10device_ptrIlEEjNS0_19identity_decomposerEEE10hipError_tT1_T2_PT3_SG_jT4_jjP12ihipStream_tbEUlT_E_NS1_11comp_targetILNS1_3genE5ELNS1_11target_archE942ELNS1_3gpuE9ELNS1_3repE0EEENS1_52radix_sort_onesweep_histogram_config_static_selectorELNS0_4arch9wavefront6targetE1EEEvSE_
	.globl	_ZN7rocprim17ROCPRIM_400000_NS6detail17trampoline_kernelINS0_14default_configENS1_35radix_sort_onesweep_config_selectorIllEEZNS1_34radix_sort_onesweep_global_offsetsIS3_Lb0EPlN6thrust23THRUST_200600_302600_NS10device_ptrIlEEjNS0_19identity_decomposerEEE10hipError_tT1_T2_PT3_SG_jT4_jjP12ihipStream_tbEUlT_E_NS1_11comp_targetILNS1_3genE5ELNS1_11target_archE942ELNS1_3gpuE9ELNS1_3repE0EEENS1_52radix_sort_onesweep_histogram_config_static_selectorELNS0_4arch9wavefront6targetE1EEEvSE_
	.p2align	8
	.type	_ZN7rocprim17ROCPRIM_400000_NS6detail17trampoline_kernelINS0_14default_configENS1_35radix_sort_onesweep_config_selectorIllEEZNS1_34radix_sort_onesweep_global_offsetsIS3_Lb0EPlN6thrust23THRUST_200600_302600_NS10device_ptrIlEEjNS0_19identity_decomposerEEE10hipError_tT1_T2_PT3_SG_jT4_jjP12ihipStream_tbEUlT_E_NS1_11comp_targetILNS1_3genE5ELNS1_11target_archE942ELNS1_3gpuE9ELNS1_3repE0EEENS1_52radix_sort_onesweep_histogram_config_static_selectorELNS0_4arch9wavefront6targetE1EEEvSE_,@function
_ZN7rocprim17ROCPRIM_400000_NS6detail17trampoline_kernelINS0_14default_configENS1_35radix_sort_onesweep_config_selectorIllEEZNS1_34radix_sort_onesweep_global_offsetsIS3_Lb0EPlN6thrust23THRUST_200600_302600_NS10device_ptrIlEEjNS0_19identity_decomposerEEE10hipError_tT1_T2_PT3_SG_jT4_jjP12ihipStream_tbEUlT_E_NS1_11comp_targetILNS1_3genE5ELNS1_11target_archE942ELNS1_3gpuE9ELNS1_3repE0EEENS1_52radix_sort_onesweep_histogram_config_static_selectorELNS0_4arch9wavefront6targetE1EEEvSE_: ; @_ZN7rocprim17ROCPRIM_400000_NS6detail17trampoline_kernelINS0_14default_configENS1_35radix_sort_onesweep_config_selectorIllEEZNS1_34radix_sort_onesweep_global_offsetsIS3_Lb0EPlN6thrust23THRUST_200600_302600_NS10device_ptrIlEEjNS0_19identity_decomposerEEE10hipError_tT1_T2_PT3_SG_jT4_jjP12ihipStream_tbEUlT_E_NS1_11comp_targetILNS1_3genE5ELNS1_11target_archE942ELNS1_3gpuE9ELNS1_3repE0EEENS1_52radix_sort_onesweep_histogram_config_static_selectorELNS0_4arch9wavefront6targetE1EEEvSE_
; %bb.0:
	.section	.rodata,"a",@progbits
	.p2align	6, 0x0
	.amdhsa_kernel _ZN7rocprim17ROCPRIM_400000_NS6detail17trampoline_kernelINS0_14default_configENS1_35radix_sort_onesweep_config_selectorIllEEZNS1_34radix_sort_onesweep_global_offsetsIS3_Lb0EPlN6thrust23THRUST_200600_302600_NS10device_ptrIlEEjNS0_19identity_decomposerEEE10hipError_tT1_T2_PT3_SG_jT4_jjP12ihipStream_tbEUlT_E_NS1_11comp_targetILNS1_3genE5ELNS1_11target_archE942ELNS1_3gpuE9ELNS1_3repE0EEENS1_52radix_sort_onesweep_histogram_config_static_selectorELNS0_4arch9wavefront6targetE1EEEvSE_
		.amdhsa_group_segment_fixed_size 0
		.amdhsa_private_segment_fixed_size 0
		.amdhsa_kernarg_size 40
		.amdhsa_user_sgpr_count 6
		.amdhsa_user_sgpr_private_segment_buffer 1
		.amdhsa_user_sgpr_dispatch_ptr 0
		.amdhsa_user_sgpr_queue_ptr 0
		.amdhsa_user_sgpr_kernarg_segment_ptr 1
		.amdhsa_user_sgpr_dispatch_id 0
		.amdhsa_user_sgpr_flat_scratch_init 0
		.amdhsa_user_sgpr_kernarg_preload_length 0
		.amdhsa_user_sgpr_kernarg_preload_offset 0
		.amdhsa_user_sgpr_private_segment_size 0
		.amdhsa_uses_dynamic_stack 0
		.amdhsa_system_sgpr_private_segment_wavefront_offset 0
		.amdhsa_system_sgpr_workgroup_id_x 1
		.amdhsa_system_sgpr_workgroup_id_y 0
		.amdhsa_system_sgpr_workgroup_id_z 0
		.amdhsa_system_sgpr_workgroup_info 0
		.amdhsa_system_vgpr_workitem_id 0
		.amdhsa_next_free_vgpr 1
		.amdhsa_next_free_sgpr 0
		.amdhsa_accum_offset 4
		.amdhsa_reserve_vcc 0
		.amdhsa_reserve_flat_scratch 0
		.amdhsa_float_round_mode_32 0
		.amdhsa_float_round_mode_16_64 0
		.amdhsa_float_denorm_mode_32 3
		.amdhsa_float_denorm_mode_16_64 3
		.amdhsa_dx10_clamp 1
		.amdhsa_ieee_mode 1
		.amdhsa_fp16_overflow 0
		.amdhsa_tg_split 0
		.amdhsa_exception_fp_ieee_invalid_op 0
		.amdhsa_exception_fp_denorm_src 0
		.amdhsa_exception_fp_ieee_div_zero 0
		.amdhsa_exception_fp_ieee_overflow 0
		.amdhsa_exception_fp_ieee_underflow 0
		.amdhsa_exception_fp_ieee_inexact 0
		.amdhsa_exception_int_div_zero 0
	.end_amdhsa_kernel
	.section	.text._ZN7rocprim17ROCPRIM_400000_NS6detail17trampoline_kernelINS0_14default_configENS1_35radix_sort_onesweep_config_selectorIllEEZNS1_34radix_sort_onesweep_global_offsetsIS3_Lb0EPlN6thrust23THRUST_200600_302600_NS10device_ptrIlEEjNS0_19identity_decomposerEEE10hipError_tT1_T2_PT3_SG_jT4_jjP12ihipStream_tbEUlT_E_NS1_11comp_targetILNS1_3genE5ELNS1_11target_archE942ELNS1_3gpuE9ELNS1_3repE0EEENS1_52radix_sort_onesweep_histogram_config_static_selectorELNS0_4arch9wavefront6targetE1EEEvSE_,"axG",@progbits,_ZN7rocprim17ROCPRIM_400000_NS6detail17trampoline_kernelINS0_14default_configENS1_35radix_sort_onesweep_config_selectorIllEEZNS1_34radix_sort_onesweep_global_offsetsIS3_Lb0EPlN6thrust23THRUST_200600_302600_NS10device_ptrIlEEjNS0_19identity_decomposerEEE10hipError_tT1_T2_PT3_SG_jT4_jjP12ihipStream_tbEUlT_E_NS1_11comp_targetILNS1_3genE5ELNS1_11target_archE942ELNS1_3gpuE9ELNS1_3repE0EEENS1_52radix_sort_onesweep_histogram_config_static_selectorELNS0_4arch9wavefront6targetE1EEEvSE_,comdat
.Lfunc_end1116:
	.size	_ZN7rocprim17ROCPRIM_400000_NS6detail17trampoline_kernelINS0_14default_configENS1_35radix_sort_onesweep_config_selectorIllEEZNS1_34radix_sort_onesweep_global_offsetsIS3_Lb0EPlN6thrust23THRUST_200600_302600_NS10device_ptrIlEEjNS0_19identity_decomposerEEE10hipError_tT1_T2_PT3_SG_jT4_jjP12ihipStream_tbEUlT_E_NS1_11comp_targetILNS1_3genE5ELNS1_11target_archE942ELNS1_3gpuE9ELNS1_3repE0EEENS1_52radix_sort_onesweep_histogram_config_static_selectorELNS0_4arch9wavefront6targetE1EEEvSE_, .Lfunc_end1116-_ZN7rocprim17ROCPRIM_400000_NS6detail17trampoline_kernelINS0_14default_configENS1_35radix_sort_onesweep_config_selectorIllEEZNS1_34radix_sort_onesweep_global_offsetsIS3_Lb0EPlN6thrust23THRUST_200600_302600_NS10device_ptrIlEEjNS0_19identity_decomposerEEE10hipError_tT1_T2_PT3_SG_jT4_jjP12ihipStream_tbEUlT_E_NS1_11comp_targetILNS1_3genE5ELNS1_11target_archE942ELNS1_3gpuE9ELNS1_3repE0EEENS1_52radix_sort_onesweep_histogram_config_static_selectorELNS0_4arch9wavefront6targetE1EEEvSE_
                                        ; -- End function
	.section	.AMDGPU.csdata,"",@progbits
; Kernel info:
; codeLenInByte = 0
; NumSgprs: 4
; NumVgprs: 0
; NumAgprs: 0
; TotalNumVgprs: 0
; ScratchSize: 0
; MemoryBound: 0
; FloatMode: 240
; IeeeMode: 1
; LDSByteSize: 0 bytes/workgroup (compile time only)
; SGPRBlocks: 0
; VGPRBlocks: 0
; NumSGPRsForWavesPerEU: 4
; NumVGPRsForWavesPerEU: 1
; AccumOffset: 4
; Occupancy: 8
; WaveLimiterHint : 0
; COMPUTE_PGM_RSRC2:SCRATCH_EN: 0
; COMPUTE_PGM_RSRC2:USER_SGPR: 6
; COMPUTE_PGM_RSRC2:TRAP_HANDLER: 0
; COMPUTE_PGM_RSRC2:TGID_X_EN: 1
; COMPUTE_PGM_RSRC2:TGID_Y_EN: 0
; COMPUTE_PGM_RSRC2:TGID_Z_EN: 0
; COMPUTE_PGM_RSRC2:TIDIG_COMP_CNT: 0
; COMPUTE_PGM_RSRC3_GFX90A:ACCUM_OFFSET: 0
; COMPUTE_PGM_RSRC3_GFX90A:TG_SPLIT: 0
	.section	.text._ZN7rocprim17ROCPRIM_400000_NS6detail17trampoline_kernelINS0_14default_configENS1_35radix_sort_onesweep_config_selectorIllEEZNS1_34radix_sort_onesweep_global_offsetsIS3_Lb0EPlN6thrust23THRUST_200600_302600_NS10device_ptrIlEEjNS0_19identity_decomposerEEE10hipError_tT1_T2_PT3_SG_jT4_jjP12ihipStream_tbEUlT_E_NS1_11comp_targetILNS1_3genE2ELNS1_11target_archE906ELNS1_3gpuE6ELNS1_3repE0EEENS1_52radix_sort_onesweep_histogram_config_static_selectorELNS0_4arch9wavefront6targetE1EEEvSE_,"axG",@progbits,_ZN7rocprim17ROCPRIM_400000_NS6detail17trampoline_kernelINS0_14default_configENS1_35radix_sort_onesweep_config_selectorIllEEZNS1_34radix_sort_onesweep_global_offsetsIS3_Lb0EPlN6thrust23THRUST_200600_302600_NS10device_ptrIlEEjNS0_19identity_decomposerEEE10hipError_tT1_T2_PT3_SG_jT4_jjP12ihipStream_tbEUlT_E_NS1_11comp_targetILNS1_3genE2ELNS1_11target_archE906ELNS1_3gpuE6ELNS1_3repE0EEENS1_52radix_sort_onesweep_histogram_config_static_selectorELNS0_4arch9wavefront6targetE1EEEvSE_,comdat
	.protected	_ZN7rocprim17ROCPRIM_400000_NS6detail17trampoline_kernelINS0_14default_configENS1_35radix_sort_onesweep_config_selectorIllEEZNS1_34radix_sort_onesweep_global_offsetsIS3_Lb0EPlN6thrust23THRUST_200600_302600_NS10device_ptrIlEEjNS0_19identity_decomposerEEE10hipError_tT1_T2_PT3_SG_jT4_jjP12ihipStream_tbEUlT_E_NS1_11comp_targetILNS1_3genE2ELNS1_11target_archE906ELNS1_3gpuE6ELNS1_3repE0EEENS1_52radix_sort_onesweep_histogram_config_static_selectorELNS0_4arch9wavefront6targetE1EEEvSE_ ; -- Begin function _ZN7rocprim17ROCPRIM_400000_NS6detail17trampoline_kernelINS0_14default_configENS1_35radix_sort_onesweep_config_selectorIllEEZNS1_34radix_sort_onesweep_global_offsetsIS3_Lb0EPlN6thrust23THRUST_200600_302600_NS10device_ptrIlEEjNS0_19identity_decomposerEEE10hipError_tT1_T2_PT3_SG_jT4_jjP12ihipStream_tbEUlT_E_NS1_11comp_targetILNS1_3genE2ELNS1_11target_archE906ELNS1_3gpuE6ELNS1_3repE0EEENS1_52radix_sort_onesweep_histogram_config_static_selectorELNS0_4arch9wavefront6targetE1EEEvSE_
	.globl	_ZN7rocprim17ROCPRIM_400000_NS6detail17trampoline_kernelINS0_14default_configENS1_35radix_sort_onesweep_config_selectorIllEEZNS1_34radix_sort_onesweep_global_offsetsIS3_Lb0EPlN6thrust23THRUST_200600_302600_NS10device_ptrIlEEjNS0_19identity_decomposerEEE10hipError_tT1_T2_PT3_SG_jT4_jjP12ihipStream_tbEUlT_E_NS1_11comp_targetILNS1_3genE2ELNS1_11target_archE906ELNS1_3gpuE6ELNS1_3repE0EEENS1_52radix_sort_onesweep_histogram_config_static_selectorELNS0_4arch9wavefront6targetE1EEEvSE_
	.p2align	8
	.type	_ZN7rocprim17ROCPRIM_400000_NS6detail17trampoline_kernelINS0_14default_configENS1_35radix_sort_onesweep_config_selectorIllEEZNS1_34radix_sort_onesweep_global_offsetsIS3_Lb0EPlN6thrust23THRUST_200600_302600_NS10device_ptrIlEEjNS0_19identity_decomposerEEE10hipError_tT1_T2_PT3_SG_jT4_jjP12ihipStream_tbEUlT_E_NS1_11comp_targetILNS1_3genE2ELNS1_11target_archE906ELNS1_3gpuE6ELNS1_3repE0EEENS1_52radix_sort_onesweep_histogram_config_static_selectorELNS0_4arch9wavefront6targetE1EEEvSE_,@function
_ZN7rocprim17ROCPRIM_400000_NS6detail17trampoline_kernelINS0_14default_configENS1_35radix_sort_onesweep_config_selectorIllEEZNS1_34radix_sort_onesweep_global_offsetsIS3_Lb0EPlN6thrust23THRUST_200600_302600_NS10device_ptrIlEEjNS0_19identity_decomposerEEE10hipError_tT1_T2_PT3_SG_jT4_jjP12ihipStream_tbEUlT_E_NS1_11comp_targetILNS1_3genE2ELNS1_11target_archE906ELNS1_3gpuE6ELNS1_3repE0EEENS1_52radix_sort_onesweep_histogram_config_static_selectorELNS0_4arch9wavefront6targetE1EEEvSE_: ; @_ZN7rocprim17ROCPRIM_400000_NS6detail17trampoline_kernelINS0_14default_configENS1_35radix_sort_onesweep_config_selectorIllEEZNS1_34radix_sort_onesweep_global_offsetsIS3_Lb0EPlN6thrust23THRUST_200600_302600_NS10device_ptrIlEEjNS0_19identity_decomposerEEE10hipError_tT1_T2_PT3_SG_jT4_jjP12ihipStream_tbEUlT_E_NS1_11comp_targetILNS1_3genE2ELNS1_11target_archE906ELNS1_3gpuE6ELNS1_3repE0EEENS1_52radix_sort_onesweep_histogram_config_static_selectorELNS0_4arch9wavefront6targetE1EEEvSE_
; %bb.0:
	.section	.rodata,"a",@progbits
	.p2align	6, 0x0
	.amdhsa_kernel _ZN7rocprim17ROCPRIM_400000_NS6detail17trampoline_kernelINS0_14default_configENS1_35radix_sort_onesweep_config_selectorIllEEZNS1_34radix_sort_onesweep_global_offsetsIS3_Lb0EPlN6thrust23THRUST_200600_302600_NS10device_ptrIlEEjNS0_19identity_decomposerEEE10hipError_tT1_T2_PT3_SG_jT4_jjP12ihipStream_tbEUlT_E_NS1_11comp_targetILNS1_3genE2ELNS1_11target_archE906ELNS1_3gpuE6ELNS1_3repE0EEENS1_52radix_sort_onesweep_histogram_config_static_selectorELNS0_4arch9wavefront6targetE1EEEvSE_
		.amdhsa_group_segment_fixed_size 0
		.amdhsa_private_segment_fixed_size 0
		.amdhsa_kernarg_size 40
		.amdhsa_user_sgpr_count 6
		.amdhsa_user_sgpr_private_segment_buffer 1
		.amdhsa_user_sgpr_dispatch_ptr 0
		.amdhsa_user_sgpr_queue_ptr 0
		.amdhsa_user_sgpr_kernarg_segment_ptr 1
		.amdhsa_user_sgpr_dispatch_id 0
		.amdhsa_user_sgpr_flat_scratch_init 0
		.amdhsa_user_sgpr_kernarg_preload_length 0
		.amdhsa_user_sgpr_kernarg_preload_offset 0
		.amdhsa_user_sgpr_private_segment_size 0
		.amdhsa_uses_dynamic_stack 0
		.amdhsa_system_sgpr_private_segment_wavefront_offset 0
		.amdhsa_system_sgpr_workgroup_id_x 1
		.amdhsa_system_sgpr_workgroup_id_y 0
		.amdhsa_system_sgpr_workgroup_id_z 0
		.amdhsa_system_sgpr_workgroup_info 0
		.amdhsa_system_vgpr_workitem_id 0
		.amdhsa_next_free_vgpr 1
		.amdhsa_next_free_sgpr 0
		.amdhsa_accum_offset 4
		.amdhsa_reserve_vcc 0
		.amdhsa_reserve_flat_scratch 0
		.amdhsa_float_round_mode_32 0
		.amdhsa_float_round_mode_16_64 0
		.amdhsa_float_denorm_mode_32 3
		.amdhsa_float_denorm_mode_16_64 3
		.amdhsa_dx10_clamp 1
		.amdhsa_ieee_mode 1
		.amdhsa_fp16_overflow 0
		.amdhsa_tg_split 0
		.amdhsa_exception_fp_ieee_invalid_op 0
		.amdhsa_exception_fp_denorm_src 0
		.amdhsa_exception_fp_ieee_div_zero 0
		.amdhsa_exception_fp_ieee_overflow 0
		.amdhsa_exception_fp_ieee_underflow 0
		.amdhsa_exception_fp_ieee_inexact 0
		.amdhsa_exception_int_div_zero 0
	.end_amdhsa_kernel
	.section	.text._ZN7rocprim17ROCPRIM_400000_NS6detail17trampoline_kernelINS0_14default_configENS1_35radix_sort_onesweep_config_selectorIllEEZNS1_34radix_sort_onesweep_global_offsetsIS3_Lb0EPlN6thrust23THRUST_200600_302600_NS10device_ptrIlEEjNS0_19identity_decomposerEEE10hipError_tT1_T2_PT3_SG_jT4_jjP12ihipStream_tbEUlT_E_NS1_11comp_targetILNS1_3genE2ELNS1_11target_archE906ELNS1_3gpuE6ELNS1_3repE0EEENS1_52radix_sort_onesweep_histogram_config_static_selectorELNS0_4arch9wavefront6targetE1EEEvSE_,"axG",@progbits,_ZN7rocprim17ROCPRIM_400000_NS6detail17trampoline_kernelINS0_14default_configENS1_35radix_sort_onesweep_config_selectorIllEEZNS1_34radix_sort_onesweep_global_offsetsIS3_Lb0EPlN6thrust23THRUST_200600_302600_NS10device_ptrIlEEjNS0_19identity_decomposerEEE10hipError_tT1_T2_PT3_SG_jT4_jjP12ihipStream_tbEUlT_E_NS1_11comp_targetILNS1_3genE2ELNS1_11target_archE906ELNS1_3gpuE6ELNS1_3repE0EEENS1_52radix_sort_onesweep_histogram_config_static_selectorELNS0_4arch9wavefront6targetE1EEEvSE_,comdat
.Lfunc_end1117:
	.size	_ZN7rocprim17ROCPRIM_400000_NS6detail17trampoline_kernelINS0_14default_configENS1_35radix_sort_onesweep_config_selectorIllEEZNS1_34radix_sort_onesweep_global_offsetsIS3_Lb0EPlN6thrust23THRUST_200600_302600_NS10device_ptrIlEEjNS0_19identity_decomposerEEE10hipError_tT1_T2_PT3_SG_jT4_jjP12ihipStream_tbEUlT_E_NS1_11comp_targetILNS1_3genE2ELNS1_11target_archE906ELNS1_3gpuE6ELNS1_3repE0EEENS1_52radix_sort_onesweep_histogram_config_static_selectorELNS0_4arch9wavefront6targetE1EEEvSE_, .Lfunc_end1117-_ZN7rocprim17ROCPRIM_400000_NS6detail17trampoline_kernelINS0_14default_configENS1_35radix_sort_onesweep_config_selectorIllEEZNS1_34radix_sort_onesweep_global_offsetsIS3_Lb0EPlN6thrust23THRUST_200600_302600_NS10device_ptrIlEEjNS0_19identity_decomposerEEE10hipError_tT1_T2_PT3_SG_jT4_jjP12ihipStream_tbEUlT_E_NS1_11comp_targetILNS1_3genE2ELNS1_11target_archE906ELNS1_3gpuE6ELNS1_3repE0EEENS1_52radix_sort_onesweep_histogram_config_static_selectorELNS0_4arch9wavefront6targetE1EEEvSE_
                                        ; -- End function
	.section	.AMDGPU.csdata,"",@progbits
; Kernel info:
; codeLenInByte = 0
; NumSgprs: 4
; NumVgprs: 0
; NumAgprs: 0
; TotalNumVgprs: 0
; ScratchSize: 0
; MemoryBound: 0
; FloatMode: 240
; IeeeMode: 1
; LDSByteSize: 0 bytes/workgroup (compile time only)
; SGPRBlocks: 0
; VGPRBlocks: 0
; NumSGPRsForWavesPerEU: 4
; NumVGPRsForWavesPerEU: 1
; AccumOffset: 4
; Occupancy: 8
; WaveLimiterHint : 0
; COMPUTE_PGM_RSRC2:SCRATCH_EN: 0
; COMPUTE_PGM_RSRC2:USER_SGPR: 6
; COMPUTE_PGM_RSRC2:TRAP_HANDLER: 0
; COMPUTE_PGM_RSRC2:TGID_X_EN: 1
; COMPUTE_PGM_RSRC2:TGID_Y_EN: 0
; COMPUTE_PGM_RSRC2:TGID_Z_EN: 0
; COMPUTE_PGM_RSRC2:TIDIG_COMP_CNT: 0
; COMPUTE_PGM_RSRC3_GFX90A:ACCUM_OFFSET: 0
; COMPUTE_PGM_RSRC3_GFX90A:TG_SPLIT: 0
	.section	.text._ZN7rocprim17ROCPRIM_400000_NS6detail17trampoline_kernelINS0_14default_configENS1_35radix_sort_onesweep_config_selectorIllEEZNS1_34radix_sort_onesweep_global_offsetsIS3_Lb0EPlN6thrust23THRUST_200600_302600_NS10device_ptrIlEEjNS0_19identity_decomposerEEE10hipError_tT1_T2_PT3_SG_jT4_jjP12ihipStream_tbEUlT_E_NS1_11comp_targetILNS1_3genE4ELNS1_11target_archE910ELNS1_3gpuE8ELNS1_3repE0EEENS1_52radix_sort_onesweep_histogram_config_static_selectorELNS0_4arch9wavefront6targetE1EEEvSE_,"axG",@progbits,_ZN7rocprim17ROCPRIM_400000_NS6detail17trampoline_kernelINS0_14default_configENS1_35radix_sort_onesweep_config_selectorIllEEZNS1_34radix_sort_onesweep_global_offsetsIS3_Lb0EPlN6thrust23THRUST_200600_302600_NS10device_ptrIlEEjNS0_19identity_decomposerEEE10hipError_tT1_T2_PT3_SG_jT4_jjP12ihipStream_tbEUlT_E_NS1_11comp_targetILNS1_3genE4ELNS1_11target_archE910ELNS1_3gpuE8ELNS1_3repE0EEENS1_52radix_sort_onesweep_histogram_config_static_selectorELNS0_4arch9wavefront6targetE1EEEvSE_,comdat
	.protected	_ZN7rocprim17ROCPRIM_400000_NS6detail17trampoline_kernelINS0_14default_configENS1_35radix_sort_onesweep_config_selectorIllEEZNS1_34radix_sort_onesweep_global_offsetsIS3_Lb0EPlN6thrust23THRUST_200600_302600_NS10device_ptrIlEEjNS0_19identity_decomposerEEE10hipError_tT1_T2_PT3_SG_jT4_jjP12ihipStream_tbEUlT_E_NS1_11comp_targetILNS1_3genE4ELNS1_11target_archE910ELNS1_3gpuE8ELNS1_3repE0EEENS1_52radix_sort_onesweep_histogram_config_static_selectorELNS0_4arch9wavefront6targetE1EEEvSE_ ; -- Begin function _ZN7rocprim17ROCPRIM_400000_NS6detail17trampoline_kernelINS0_14default_configENS1_35radix_sort_onesweep_config_selectorIllEEZNS1_34radix_sort_onesweep_global_offsetsIS3_Lb0EPlN6thrust23THRUST_200600_302600_NS10device_ptrIlEEjNS0_19identity_decomposerEEE10hipError_tT1_T2_PT3_SG_jT4_jjP12ihipStream_tbEUlT_E_NS1_11comp_targetILNS1_3genE4ELNS1_11target_archE910ELNS1_3gpuE8ELNS1_3repE0EEENS1_52radix_sort_onesweep_histogram_config_static_selectorELNS0_4arch9wavefront6targetE1EEEvSE_
	.globl	_ZN7rocprim17ROCPRIM_400000_NS6detail17trampoline_kernelINS0_14default_configENS1_35radix_sort_onesweep_config_selectorIllEEZNS1_34radix_sort_onesweep_global_offsetsIS3_Lb0EPlN6thrust23THRUST_200600_302600_NS10device_ptrIlEEjNS0_19identity_decomposerEEE10hipError_tT1_T2_PT3_SG_jT4_jjP12ihipStream_tbEUlT_E_NS1_11comp_targetILNS1_3genE4ELNS1_11target_archE910ELNS1_3gpuE8ELNS1_3repE0EEENS1_52radix_sort_onesweep_histogram_config_static_selectorELNS0_4arch9wavefront6targetE1EEEvSE_
	.p2align	8
	.type	_ZN7rocprim17ROCPRIM_400000_NS6detail17trampoline_kernelINS0_14default_configENS1_35radix_sort_onesweep_config_selectorIllEEZNS1_34radix_sort_onesweep_global_offsetsIS3_Lb0EPlN6thrust23THRUST_200600_302600_NS10device_ptrIlEEjNS0_19identity_decomposerEEE10hipError_tT1_T2_PT3_SG_jT4_jjP12ihipStream_tbEUlT_E_NS1_11comp_targetILNS1_3genE4ELNS1_11target_archE910ELNS1_3gpuE8ELNS1_3repE0EEENS1_52radix_sort_onesweep_histogram_config_static_selectorELNS0_4arch9wavefront6targetE1EEEvSE_,@function
_ZN7rocprim17ROCPRIM_400000_NS6detail17trampoline_kernelINS0_14default_configENS1_35radix_sort_onesweep_config_selectorIllEEZNS1_34radix_sort_onesweep_global_offsetsIS3_Lb0EPlN6thrust23THRUST_200600_302600_NS10device_ptrIlEEjNS0_19identity_decomposerEEE10hipError_tT1_T2_PT3_SG_jT4_jjP12ihipStream_tbEUlT_E_NS1_11comp_targetILNS1_3genE4ELNS1_11target_archE910ELNS1_3gpuE8ELNS1_3repE0EEENS1_52radix_sort_onesweep_histogram_config_static_selectorELNS0_4arch9wavefront6targetE1EEEvSE_: ; @_ZN7rocprim17ROCPRIM_400000_NS6detail17trampoline_kernelINS0_14default_configENS1_35radix_sort_onesweep_config_selectorIllEEZNS1_34radix_sort_onesweep_global_offsetsIS3_Lb0EPlN6thrust23THRUST_200600_302600_NS10device_ptrIlEEjNS0_19identity_decomposerEEE10hipError_tT1_T2_PT3_SG_jT4_jjP12ihipStream_tbEUlT_E_NS1_11comp_targetILNS1_3genE4ELNS1_11target_archE910ELNS1_3gpuE8ELNS1_3repE0EEENS1_52radix_sort_onesweep_histogram_config_static_selectorELNS0_4arch9wavefront6targetE1EEEvSE_
; %bb.0:
	s_load_dword s7, s[4:5], 0x14
	s_load_dwordx4 s[8:11], s[4:5], 0x0
	s_load_dwordx2 s[2:3], s[4:5], 0x1c
	s_mul_i32 s12, s6, 0x1800
	s_mov_b64 s[0:1], -1
	s_waitcnt lgkmcnt(0)
	s_cmp_ge_u32 s6, s7
	s_cbranch_scc0 .LBB1118_241
; %bb.1:
	s_load_dword s4, s[4:5], 0x10
	s_mulk_i32 s7, 0xe800
	s_mov_b32 s13, 0
	s_lshl_b64 s[0:1], s[12:13], 3
                                        ; implicit-def: $vgpr12_vgpr13
	s_waitcnt lgkmcnt(0)
	s_add_i32 s13, s4, s7
	s_add_u32 s0, s8, s0
	s_addc_u32 s1, s9, s1
	v_cmp_gt_u32_e32 vcc, s13, v0
	s_and_saveexec_b64 s[4:5], vcc
	s_cbranch_execz .LBB1118_3
; %bb.2:
	v_lshlrev_b32_e32 v1, 3, v0
	global_load_dwordx2 v[12:13], v1, s[0:1]
.LBB1118_3:
	s_or_b64 exec, exec, s[4:5]
	v_or_b32_e32 v18, 0x400, v0
	v_cmp_gt_u32_e32 vcc, s13, v18
                                        ; implicit-def: $vgpr10_vgpr11
	s_and_saveexec_b64 s[4:5], vcc
	s_cbranch_execz .LBB1118_5
; %bb.4:
	v_lshlrev_b32_e32 v1, 3, v18
	global_load_dwordx2 v[10:11], v1, s[0:1]
.LBB1118_5:
	s_or_b64 exec, exec, s[4:5]
	v_or_b32_e32 v17, 0x800, v0
	v_cmp_gt_u32_e32 vcc, s13, v17
                                        ; implicit-def: $vgpr8_vgpr9
	s_and_saveexec_b64 s[4:5], vcc
	s_cbranch_execz .LBB1118_7
; %bb.6:
	v_lshlrev_b32_e32 v1, 3, v17
	global_load_dwordx2 v[8:9], v1, s[0:1]
.LBB1118_7:
	s_or_b64 exec, exec, s[4:5]
	v_or_b32_e32 v16, 0xc00, v0
	v_cmp_gt_u32_e32 vcc, s13, v16
                                        ; implicit-def: $vgpr6_vgpr7
	s_and_saveexec_b64 s[4:5], vcc
	s_cbranch_execz .LBB1118_9
; %bb.8:
	v_lshlrev_b32_e32 v1, 3, v16
	global_load_dwordx2 v[6:7], v1, s[0:1]
.LBB1118_9:
	s_or_b64 exec, exec, s[4:5]
	v_or_b32_e32 v15, 0x1000, v0
	v_cmp_gt_u32_e32 vcc, s13, v15
                                        ; implicit-def: $vgpr4_vgpr5
	s_and_saveexec_b64 s[4:5], vcc
	s_cbranch_execz .LBB1118_11
; %bb.10:
	v_lshlrev_b32_e32 v1, 3, v15
	global_load_dwordx2 v[4:5], v1, s[0:1]
.LBB1118_11:
	s_or_b64 exec, exec, s[4:5]
	v_or_b32_e32 v14, 0x1400, v0
	v_cmp_gt_u32_e32 vcc, s13, v14
                                        ; implicit-def: $vgpr2_vgpr3
	s_and_saveexec_b64 s[4:5], vcc
	s_cbranch_execz .LBB1118_13
; %bb.12:
	v_lshlrev_b32_e32 v1, 3, v14
	global_load_dwordx2 v[2:3], v1, s[0:1]
.LBB1118_13:
	s_or_b64 exec, exec, s[4:5]
	s_cmp_le_u32 s3, s2
	s_cselect_b64 s[4:5], -1, 0
	v_cmp_le_u32_e32 vcc, s13, v0
	s_and_b64 s[0:1], s[4:5], exec
	v_lshlrev_b32_e32 v19, 2, v0
	v_mov_b32_e32 v20, 0
	s_cselect_b32 s18, 8, 10
	s_or_b64 s[0:1], s[4:5], vcc
	v_and_b32_e32 v1, 3, v0
	ds_write2st64_b32 v19, v20, v20 offset1:16
	ds_write2st64_b32 v19, v20, v20 offset0:32 offset1:48
	ds_write2st64_b32 v19, v20, v20 offset0:64 offset1:80
	;; [unrolled: 1-line block ×3, first 2 shown]
	s_waitcnt vmcnt(0)
	v_xor_b32_e32 v13, 0x80000000, v13
	s_xor_b64 s[6:7], s[0:1], -1
	v_mov_b32_e32 v19, s18
	s_waitcnt lgkmcnt(0)
	s_barrier
	s_and_saveexec_b64 s[0:1], s[6:7]
	s_cbranch_execz .LBB1118_15
; %bb.14:
	s_sub_i32 s6, s3, s2
	s_min_u32 s6, s6, 8
	v_lshrrev_b64 v[20:21], s2, v[12:13]
	v_bfe_u32 v19, v20, 0, s6
	v_lshlrev_b32_e32 v20, 2, v1
	v_lshl_or_b32 v19, v19, 4, v20
	v_mov_b32_e32 v20, 1
	ds_add_u32 v19, v20
	v_mov_b32_e32 v19, 0
.LBB1118_15:
	s_or_b64 exec, exec, s[0:1]
	v_cmp_gt_i32_e64 s[0:1], 10, v19
	s_mov_b64 s[14:15], -1
	s_and_saveexec_b64 s[6:7], s[0:1]
; %bb.16:
	v_cmp_eq_u32_e64 s[0:1], 0, v19
	s_orn2_b64 s[14:15], s[0:1], exec
; %bb.17:
	s_or_b64 exec, exec, s[6:7]
	s_and_saveexec_b64 s[6:7], s[14:15]
	s_cbranch_execz .LBB1118_50
; %bb.18:
	s_add_i32 s14, s2, 8
	s_cmp_le_u32 s3, s14
	s_cselect_b64 s[0:1], -1, 0
	s_and_b64 s[16:17], s[0:1], exec
	s_cselect_b32 s15, 8, 10
	s_or_b64 s[0:1], s[0:1], vcc
	s_xor_b64 s[16:17], s[0:1], -1
	v_mov_b32_e32 v19, s15
	s_and_saveexec_b64 s[0:1], s[16:17]
	s_cbranch_execz .LBB1118_20
; %bb.19:
	s_sub_i32 s15, s3, s14
	s_min_u32 s15, s15, 8
	v_lshrrev_b64 v[20:21], s14, v[12:13]
	v_bfe_u32 v19, v20, 0, s15
	v_lshlrev_b32_e32 v20, 2, v1
	v_lshl_or_b32 v19, v19, 4, v20
	v_mov_b32_e32 v20, 1
	ds_add_u32 v19, v20 offset:4096
	v_mov_b32_e32 v19, 0
.LBB1118_20:
	s_or_b64 exec, exec, s[0:1]
	v_cmp_gt_i32_e64 s[0:1], 10, v19
	s_mov_b64 s[14:15], -1
	s_and_saveexec_b64 s[16:17], s[0:1]
; %bb.21:
	v_cmp_eq_u32_e64 s[0:1], 0, v19
	s_orn2_b64 s[14:15], s[0:1], exec
; %bb.22:
	s_or_b64 exec, exec, s[16:17]
	s_and_b64 exec, exec, s[14:15]
	s_cbranch_execz .LBB1118_50
; %bb.23:
	s_add_i32 s14, s2, 16
	s_cmp_le_u32 s3, s14
	s_cselect_b64 s[0:1], -1, 0
	s_and_b64 s[16:17], s[0:1], exec
	s_cselect_b32 s15, 8, 10
	s_or_b64 s[0:1], s[0:1], vcc
	s_xor_b64 s[16:17], s[0:1], -1
	v_mov_b32_e32 v19, s15
	s_and_saveexec_b64 s[0:1], s[16:17]
	s_cbranch_execz .LBB1118_25
; %bb.24:
	s_sub_i32 s15, s3, s14
	s_min_u32 s15, s15, 8
	v_lshrrev_b64 v[20:21], s14, v[12:13]
	v_bfe_u32 v19, v20, 0, s15
	v_lshlrev_b32_e32 v20, 2, v1
	v_lshl_or_b32 v19, v19, 4, v20
	v_mov_b32_e32 v20, 1
	ds_add_u32 v19, v20 offset:8192
	v_mov_b32_e32 v19, 0
.LBB1118_25:
	s_or_b64 exec, exec, s[0:1]
	v_cmp_gt_i32_e64 s[0:1], 10, v19
	s_mov_b64 s[14:15], -1
	s_and_saveexec_b64 s[16:17], s[0:1]
; %bb.26:
	v_cmp_eq_u32_e64 s[0:1], 0, v19
	s_orn2_b64 s[14:15], s[0:1], exec
; %bb.27:
	s_or_b64 exec, exec, s[16:17]
	s_and_b64 exec, exec, s[14:15]
	;; [unrolled: 33-line block ×6, first 2 shown]
	s_cbranch_execz .LBB1118_50
; %bb.48:
	s_add_i32 s0, s2, 56
	s_cmp_gt_u32 s3, s0
	s_cselect_b64 s[14:15], -1, 0
	s_xor_b64 s[16:17], vcc, -1
	s_and_b64 s[14:15], s[14:15], s[16:17]
	s_and_b64 exec, exec, s[14:15]
	s_cbranch_execz .LBB1118_50
; %bb.49:
	s_sub_i32 s1, s3, s0
	s_min_u32 s1, s1, 8
	v_lshrrev_b64 v[12:13], s0, v[12:13]
	v_bfe_u32 v12, v12, 0, s1
	v_lshlrev_b32_e32 v13, 2, v1
	v_lshl_or_b32 v12, v12, 4, v13
	v_mov_b32_e32 v13, 1
	ds_add_u32 v12, v13 offset:28672
.LBB1118_50:
	s_or_b64 exec, exec, s[6:7]
	v_cmp_le_u32_e32 vcc, s13, v18
	s_or_b64 s[0:1], s[4:5], vcc
	v_xor_b32_e32 v11, 0x80000000, v11
	s_xor_b64 s[6:7], s[0:1], -1
	v_mov_b32_e32 v12, s18
	s_and_saveexec_b64 s[0:1], s[6:7]
	s_cbranch_execz .LBB1118_52
; %bb.51:
	s_sub_i32 s6, s3, s2
	s_min_u32 s6, s6, 8
	v_lshrrev_b64 v[12:13], s2, v[10:11]
	v_bfe_u32 v12, v12, 0, s6
	v_lshlrev_b32_e32 v13, 2, v1
	v_lshl_or_b32 v12, v12, 4, v13
	v_mov_b32_e32 v13, 1
	ds_add_u32 v12, v13
	v_mov_b32_e32 v12, 0
.LBB1118_52:
	s_or_b64 exec, exec, s[0:1]
	v_cmp_gt_i32_e64 s[0:1], 10, v12
	s_mov_b64 s[14:15], -1
	s_and_saveexec_b64 s[6:7], s[0:1]
; %bb.53:
	v_cmp_eq_u32_e64 s[0:1], 0, v12
	s_orn2_b64 s[14:15], s[0:1], exec
; %bb.54:
	s_or_b64 exec, exec, s[6:7]
	s_and_saveexec_b64 s[6:7], s[14:15]
	s_cbranch_execz .LBB1118_87
; %bb.55:
	s_add_i32 s14, s2, 8
	s_cmp_le_u32 s3, s14
	s_cselect_b64 s[0:1], -1, 0
	s_and_b64 s[16:17], s[0:1], exec
	s_cselect_b32 s15, 8, 10
	s_or_b64 s[0:1], s[0:1], vcc
	s_xor_b64 s[16:17], s[0:1], -1
	v_mov_b32_e32 v12, s15
	s_and_saveexec_b64 s[0:1], s[16:17]
	s_cbranch_execz .LBB1118_57
; %bb.56:
	s_sub_i32 s15, s3, s14
	s_min_u32 s15, s15, 8
	v_lshrrev_b64 v[12:13], s14, v[10:11]
	v_bfe_u32 v12, v12, 0, s15
	v_lshlrev_b32_e32 v13, 2, v1
	v_lshl_or_b32 v12, v12, 4, v13
	v_mov_b32_e32 v13, 1
	ds_add_u32 v12, v13 offset:4096
	v_mov_b32_e32 v12, 0
.LBB1118_57:
	s_or_b64 exec, exec, s[0:1]
	v_cmp_gt_i32_e64 s[0:1], 10, v12
	s_mov_b64 s[14:15], -1
	s_and_saveexec_b64 s[16:17], s[0:1]
; %bb.58:
	v_cmp_eq_u32_e64 s[0:1], 0, v12
	s_orn2_b64 s[14:15], s[0:1], exec
; %bb.59:
	s_or_b64 exec, exec, s[16:17]
	s_and_b64 exec, exec, s[14:15]
	s_cbranch_execz .LBB1118_87
; %bb.60:
	s_add_i32 s14, s2, 16
	s_cmp_le_u32 s3, s14
	s_cselect_b64 s[0:1], -1, 0
	s_and_b64 s[16:17], s[0:1], exec
	s_cselect_b32 s15, 8, 10
	s_or_b64 s[0:1], s[0:1], vcc
	s_xor_b64 s[16:17], s[0:1], -1
	v_mov_b32_e32 v12, s15
	s_and_saveexec_b64 s[0:1], s[16:17]
	s_cbranch_execz .LBB1118_62
; %bb.61:
	s_sub_i32 s15, s3, s14
	s_min_u32 s15, s15, 8
	v_lshrrev_b64 v[12:13], s14, v[10:11]
	v_bfe_u32 v12, v12, 0, s15
	v_lshlrev_b32_e32 v13, 2, v1
	v_lshl_or_b32 v12, v12, 4, v13
	v_mov_b32_e32 v13, 1
	ds_add_u32 v12, v13 offset:8192
	v_mov_b32_e32 v12, 0
.LBB1118_62:
	s_or_b64 exec, exec, s[0:1]
	v_cmp_gt_i32_e64 s[0:1], 10, v12
	s_mov_b64 s[14:15], -1
	s_and_saveexec_b64 s[16:17], s[0:1]
; %bb.63:
	v_cmp_eq_u32_e64 s[0:1], 0, v12
	s_orn2_b64 s[14:15], s[0:1], exec
; %bb.64:
	s_or_b64 exec, exec, s[16:17]
	s_and_b64 exec, exec, s[14:15]
	;; [unrolled: 33-line block ×6, first 2 shown]
	s_cbranch_execz .LBB1118_87
; %bb.85:
	s_add_i32 s0, s2, 56
	s_cmp_gt_u32 s3, s0
	s_cselect_b64 s[14:15], -1, 0
	s_xor_b64 s[16:17], vcc, -1
	s_and_b64 s[14:15], s[14:15], s[16:17]
	s_and_b64 exec, exec, s[14:15]
	s_cbranch_execz .LBB1118_87
; %bb.86:
	s_sub_i32 s1, s3, s0
	s_min_u32 s1, s1, 8
	v_lshrrev_b64 v[10:11], s0, v[10:11]
	v_bfe_u32 v10, v10, 0, s1
	v_lshlrev_b32_e32 v11, 2, v1
	v_lshl_or_b32 v10, v10, 4, v11
	v_mov_b32_e32 v11, 1
	ds_add_u32 v10, v11 offset:28672
.LBB1118_87:
	s_or_b64 exec, exec, s[6:7]
	v_cmp_le_u32_e32 vcc, s13, v17
	s_or_b64 s[0:1], s[4:5], vcc
	v_xor_b32_e32 v9, 0x80000000, v9
	s_xor_b64 s[6:7], s[0:1], -1
	v_mov_b32_e32 v10, s18
	s_and_saveexec_b64 s[0:1], s[6:7]
	s_cbranch_execz .LBB1118_89
; %bb.88:
	s_sub_i32 s6, s3, s2
	s_min_u32 s6, s6, 8
	v_lshrrev_b64 v[10:11], s2, v[8:9]
	v_bfe_u32 v10, v10, 0, s6
	v_lshlrev_b32_e32 v11, 2, v1
	v_lshl_or_b32 v10, v10, 4, v11
	v_mov_b32_e32 v11, 1
	ds_add_u32 v10, v11
	v_mov_b32_e32 v10, 0
.LBB1118_89:
	s_or_b64 exec, exec, s[0:1]
	v_cmp_gt_i32_e64 s[0:1], 10, v10
	s_mov_b64 s[14:15], -1
	s_and_saveexec_b64 s[6:7], s[0:1]
; %bb.90:
	v_cmp_eq_u32_e64 s[0:1], 0, v10
	s_orn2_b64 s[14:15], s[0:1], exec
; %bb.91:
	s_or_b64 exec, exec, s[6:7]
	s_and_saveexec_b64 s[6:7], s[14:15]
	s_cbranch_execz .LBB1118_124
; %bb.92:
	s_add_i32 s14, s2, 8
	s_cmp_le_u32 s3, s14
	s_cselect_b64 s[0:1], -1, 0
	s_and_b64 s[16:17], s[0:1], exec
	s_cselect_b32 s15, 8, 10
	s_or_b64 s[0:1], s[0:1], vcc
	s_xor_b64 s[16:17], s[0:1], -1
	v_mov_b32_e32 v10, s15
	s_and_saveexec_b64 s[0:1], s[16:17]
	s_cbranch_execz .LBB1118_94
; %bb.93:
	s_sub_i32 s15, s3, s14
	s_min_u32 s15, s15, 8
	v_lshrrev_b64 v[10:11], s14, v[8:9]
	v_bfe_u32 v10, v10, 0, s15
	v_lshlrev_b32_e32 v11, 2, v1
	v_lshl_or_b32 v10, v10, 4, v11
	v_mov_b32_e32 v11, 1
	ds_add_u32 v10, v11 offset:4096
	v_mov_b32_e32 v10, 0
.LBB1118_94:
	s_or_b64 exec, exec, s[0:1]
	v_cmp_gt_i32_e64 s[0:1], 10, v10
	s_mov_b64 s[14:15], -1
	s_and_saveexec_b64 s[16:17], s[0:1]
; %bb.95:
	v_cmp_eq_u32_e64 s[0:1], 0, v10
	s_orn2_b64 s[14:15], s[0:1], exec
; %bb.96:
	s_or_b64 exec, exec, s[16:17]
	s_and_b64 exec, exec, s[14:15]
	s_cbranch_execz .LBB1118_124
; %bb.97:
	s_add_i32 s14, s2, 16
	s_cmp_le_u32 s3, s14
	s_cselect_b64 s[0:1], -1, 0
	s_and_b64 s[16:17], s[0:1], exec
	s_cselect_b32 s15, 8, 10
	s_or_b64 s[0:1], s[0:1], vcc
	s_xor_b64 s[16:17], s[0:1], -1
	v_mov_b32_e32 v10, s15
	s_and_saveexec_b64 s[0:1], s[16:17]
	s_cbranch_execz .LBB1118_99
; %bb.98:
	s_sub_i32 s15, s3, s14
	s_min_u32 s15, s15, 8
	v_lshrrev_b64 v[10:11], s14, v[8:9]
	v_bfe_u32 v10, v10, 0, s15
	v_lshlrev_b32_e32 v11, 2, v1
	v_lshl_or_b32 v10, v10, 4, v11
	v_mov_b32_e32 v11, 1
	ds_add_u32 v10, v11 offset:8192
	v_mov_b32_e32 v10, 0
.LBB1118_99:
	s_or_b64 exec, exec, s[0:1]
	v_cmp_gt_i32_e64 s[0:1], 10, v10
	s_mov_b64 s[14:15], -1
	s_and_saveexec_b64 s[16:17], s[0:1]
; %bb.100:
	v_cmp_eq_u32_e64 s[0:1], 0, v10
	s_orn2_b64 s[14:15], s[0:1], exec
; %bb.101:
	s_or_b64 exec, exec, s[16:17]
	s_and_b64 exec, exec, s[14:15]
	;; [unrolled: 33-line block ×6, first 2 shown]
	s_cbranch_execz .LBB1118_124
; %bb.122:
	s_add_i32 s0, s2, 56
	s_cmp_gt_u32 s3, s0
	s_cselect_b64 s[14:15], -1, 0
	s_xor_b64 s[16:17], vcc, -1
	s_and_b64 s[14:15], s[14:15], s[16:17]
	s_and_b64 exec, exec, s[14:15]
	s_cbranch_execz .LBB1118_124
; %bb.123:
	s_sub_i32 s1, s3, s0
	s_min_u32 s1, s1, 8
	v_lshrrev_b64 v[8:9], s0, v[8:9]
	v_bfe_u32 v8, v8, 0, s1
	v_lshlrev_b32_e32 v9, 2, v1
	v_lshl_or_b32 v8, v8, 4, v9
	v_mov_b32_e32 v9, 1
	ds_add_u32 v8, v9 offset:28672
.LBB1118_124:
	s_or_b64 exec, exec, s[6:7]
	v_cmp_le_u32_e32 vcc, s13, v16
	s_or_b64 s[0:1], s[4:5], vcc
	v_xor_b32_e32 v7, 0x80000000, v7
	s_xor_b64 s[6:7], s[0:1], -1
	v_mov_b32_e32 v8, s18
	s_and_saveexec_b64 s[0:1], s[6:7]
	s_cbranch_execz .LBB1118_126
; %bb.125:
	s_sub_i32 s6, s3, s2
	s_min_u32 s6, s6, 8
	v_lshrrev_b64 v[8:9], s2, v[6:7]
	v_bfe_u32 v8, v8, 0, s6
	v_lshlrev_b32_e32 v9, 2, v1
	v_lshl_or_b32 v8, v8, 4, v9
	v_mov_b32_e32 v9, 1
	ds_add_u32 v8, v9
	v_mov_b32_e32 v8, 0
.LBB1118_126:
	s_or_b64 exec, exec, s[0:1]
	v_cmp_gt_i32_e64 s[0:1], 10, v8
	s_mov_b64 s[14:15], -1
	s_and_saveexec_b64 s[6:7], s[0:1]
; %bb.127:
	v_cmp_eq_u32_e64 s[0:1], 0, v8
	s_orn2_b64 s[14:15], s[0:1], exec
; %bb.128:
	s_or_b64 exec, exec, s[6:7]
	s_and_saveexec_b64 s[6:7], s[14:15]
	s_cbranch_execz .LBB1118_161
; %bb.129:
	s_add_i32 s14, s2, 8
	s_cmp_le_u32 s3, s14
	s_cselect_b64 s[0:1], -1, 0
	s_and_b64 s[16:17], s[0:1], exec
	s_cselect_b32 s15, 8, 10
	s_or_b64 s[0:1], s[0:1], vcc
	s_xor_b64 s[16:17], s[0:1], -1
	v_mov_b32_e32 v8, s15
	s_and_saveexec_b64 s[0:1], s[16:17]
	s_cbranch_execz .LBB1118_131
; %bb.130:
	s_sub_i32 s15, s3, s14
	s_min_u32 s15, s15, 8
	v_lshrrev_b64 v[8:9], s14, v[6:7]
	v_bfe_u32 v8, v8, 0, s15
	v_lshlrev_b32_e32 v9, 2, v1
	v_lshl_or_b32 v8, v8, 4, v9
	v_mov_b32_e32 v9, 1
	ds_add_u32 v8, v9 offset:4096
	v_mov_b32_e32 v8, 0
.LBB1118_131:
	s_or_b64 exec, exec, s[0:1]
	v_cmp_gt_i32_e64 s[0:1], 10, v8
	s_mov_b64 s[14:15], -1
	s_and_saveexec_b64 s[16:17], s[0:1]
; %bb.132:
	v_cmp_eq_u32_e64 s[0:1], 0, v8
	s_orn2_b64 s[14:15], s[0:1], exec
; %bb.133:
	s_or_b64 exec, exec, s[16:17]
	s_and_b64 exec, exec, s[14:15]
	s_cbranch_execz .LBB1118_161
; %bb.134:
	s_add_i32 s14, s2, 16
	s_cmp_le_u32 s3, s14
	s_cselect_b64 s[0:1], -1, 0
	s_and_b64 s[16:17], s[0:1], exec
	s_cselect_b32 s15, 8, 10
	s_or_b64 s[0:1], s[0:1], vcc
	s_xor_b64 s[16:17], s[0:1], -1
	v_mov_b32_e32 v8, s15
	s_and_saveexec_b64 s[0:1], s[16:17]
	s_cbranch_execz .LBB1118_136
; %bb.135:
	s_sub_i32 s15, s3, s14
	s_min_u32 s15, s15, 8
	v_lshrrev_b64 v[8:9], s14, v[6:7]
	v_bfe_u32 v8, v8, 0, s15
	v_lshlrev_b32_e32 v9, 2, v1
	v_lshl_or_b32 v8, v8, 4, v9
	v_mov_b32_e32 v9, 1
	ds_add_u32 v8, v9 offset:8192
	v_mov_b32_e32 v8, 0
.LBB1118_136:
	s_or_b64 exec, exec, s[0:1]
	v_cmp_gt_i32_e64 s[0:1], 10, v8
	s_mov_b64 s[14:15], -1
	s_and_saveexec_b64 s[16:17], s[0:1]
; %bb.137:
	v_cmp_eq_u32_e64 s[0:1], 0, v8
	s_orn2_b64 s[14:15], s[0:1], exec
; %bb.138:
	s_or_b64 exec, exec, s[16:17]
	s_and_b64 exec, exec, s[14:15]
	;; [unrolled: 33-line block ×6, first 2 shown]
	s_cbranch_execz .LBB1118_161
; %bb.159:
	s_add_i32 s0, s2, 56
	s_cmp_gt_u32 s3, s0
	s_cselect_b64 s[14:15], -1, 0
	s_xor_b64 s[16:17], vcc, -1
	s_and_b64 s[14:15], s[14:15], s[16:17]
	s_and_b64 exec, exec, s[14:15]
	s_cbranch_execz .LBB1118_161
; %bb.160:
	s_sub_i32 s1, s3, s0
	s_min_u32 s1, s1, 8
	v_lshrrev_b64 v[6:7], s0, v[6:7]
	v_bfe_u32 v6, v6, 0, s1
	v_lshlrev_b32_e32 v7, 2, v1
	v_lshl_or_b32 v6, v6, 4, v7
	v_mov_b32_e32 v7, 1
	ds_add_u32 v6, v7 offset:28672
.LBB1118_161:
	s_or_b64 exec, exec, s[6:7]
	v_cmp_le_u32_e32 vcc, s13, v15
	s_or_b64 s[0:1], s[4:5], vcc
	v_xor_b32_e32 v5, 0x80000000, v5
	s_xor_b64 s[6:7], s[0:1], -1
	v_mov_b32_e32 v6, s18
	s_and_saveexec_b64 s[0:1], s[6:7]
	s_cbranch_execz .LBB1118_163
; %bb.162:
	s_sub_i32 s6, s3, s2
	s_min_u32 s6, s6, 8
	v_lshrrev_b64 v[6:7], s2, v[4:5]
	v_bfe_u32 v6, v6, 0, s6
	v_lshlrev_b32_e32 v7, 2, v1
	v_lshl_or_b32 v6, v6, 4, v7
	v_mov_b32_e32 v7, 1
	ds_add_u32 v6, v7
	v_mov_b32_e32 v6, 0
.LBB1118_163:
	s_or_b64 exec, exec, s[0:1]
	v_cmp_gt_i32_e64 s[0:1], 10, v6
	s_mov_b64 s[14:15], -1
	s_and_saveexec_b64 s[6:7], s[0:1]
; %bb.164:
	v_cmp_eq_u32_e64 s[0:1], 0, v6
	s_orn2_b64 s[14:15], s[0:1], exec
; %bb.165:
	s_or_b64 exec, exec, s[6:7]
	s_and_saveexec_b64 s[6:7], s[14:15]
	s_cbranch_execz .LBB1118_198
; %bb.166:
	s_add_i32 s14, s2, 8
	s_cmp_le_u32 s3, s14
	s_cselect_b64 s[0:1], -1, 0
	s_and_b64 s[16:17], s[0:1], exec
	s_cselect_b32 s15, 8, 10
	s_or_b64 s[0:1], s[0:1], vcc
	s_xor_b64 s[16:17], s[0:1], -1
	v_mov_b32_e32 v6, s15
	s_and_saveexec_b64 s[0:1], s[16:17]
	s_cbranch_execz .LBB1118_168
; %bb.167:
	s_sub_i32 s15, s3, s14
	s_min_u32 s15, s15, 8
	v_lshrrev_b64 v[6:7], s14, v[4:5]
	v_bfe_u32 v6, v6, 0, s15
	v_lshlrev_b32_e32 v7, 2, v1
	v_lshl_or_b32 v6, v6, 4, v7
	v_mov_b32_e32 v7, 1
	ds_add_u32 v6, v7 offset:4096
	v_mov_b32_e32 v6, 0
.LBB1118_168:
	s_or_b64 exec, exec, s[0:1]
	v_cmp_gt_i32_e64 s[0:1], 10, v6
	s_mov_b64 s[14:15], -1
	s_and_saveexec_b64 s[16:17], s[0:1]
; %bb.169:
	v_cmp_eq_u32_e64 s[0:1], 0, v6
	s_orn2_b64 s[14:15], s[0:1], exec
; %bb.170:
	s_or_b64 exec, exec, s[16:17]
	s_and_b64 exec, exec, s[14:15]
	s_cbranch_execz .LBB1118_198
; %bb.171:
	s_add_i32 s14, s2, 16
	s_cmp_le_u32 s3, s14
	s_cselect_b64 s[0:1], -1, 0
	s_and_b64 s[16:17], s[0:1], exec
	s_cselect_b32 s15, 8, 10
	s_or_b64 s[0:1], s[0:1], vcc
	s_xor_b64 s[16:17], s[0:1], -1
	v_mov_b32_e32 v6, s15
	s_and_saveexec_b64 s[0:1], s[16:17]
	s_cbranch_execz .LBB1118_173
; %bb.172:
	s_sub_i32 s15, s3, s14
	s_min_u32 s15, s15, 8
	v_lshrrev_b64 v[6:7], s14, v[4:5]
	v_bfe_u32 v6, v6, 0, s15
	v_lshlrev_b32_e32 v7, 2, v1
	v_lshl_or_b32 v6, v6, 4, v7
	v_mov_b32_e32 v7, 1
	ds_add_u32 v6, v7 offset:8192
	v_mov_b32_e32 v6, 0
.LBB1118_173:
	s_or_b64 exec, exec, s[0:1]
	v_cmp_gt_i32_e64 s[0:1], 10, v6
	s_mov_b64 s[14:15], -1
	s_and_saveexec_b64 s[16:17], s[0:1]
; %bb.174:
	v_cmp_eq_u32_e64 s[0:1], 0, v6
	s_orn2_b64 s[14:15], s[0:1], exec
; %bb.175:
	s_or_b64 exec, exec, s[16:17]
	s_and_b64 exec, exec, s[14:15]
	;; [unrolled: 33-line block ×6, first 2 shown]
	s_cbranch_execz .LBB1118_198
; %bb.196:
	s_add_i32 s0, s2, 56
	s_cmp_gt_u32 s3, s0
	s_cselect_b64 s[14:15], -1, 0
	s_xor_b64 s[16:17], vcc, -1
	s_and_b64 s[14:15], s[14:15], s[16:17]
	s_and_b64 exec, exec, s[14:15]
	s_cbranch_execz .LBB1118_198
; %bb.197:
	s_sub_i32 s1, s3, s0
	s_min_u32 s1, s1, 8
	v_lshrrev_b64 v[4:5], s0, v[4:5]
	v_bfe_u32 v4, v4, 0, s1
	v_lshlrev_b32_e32 v5, 2, v1
	v_lshl_or_b32 v4, v4, 4, v5
	v_mov_b32_e32 v5, 1
	ds_add_u32 v4, v5 offset:28672
.LBB1118_198:
	s_or_b64 exec, exec, s[6:7]
	v_cmp_le_u32_e32 vcc, s13, v14
	s_or_b64 s[0:1], s[4:5], vcc
	v_xor_b32_e32 v3, 0x80000000, v3
	s_xor_b64 s[4:5], s[0:1], -1
	v_mov_b32_e32 v4, s18
	s_and_saveexec_b64 s[0:1], s[4:5]
	s_cbranch_execz .LBB1118_200
; %bb.199:
	s_sub_i32 s4, s3, s2
	s_min_u32 s4, s4, 8
	v_lshrrev_b64 v[4:5], s2, v[2:3]
	v_bfe_u32 v4, v4, 0, s4
	v_lshlrev_b32_e32 v5, 2, v1
	v_lshl_or_b32 v4, v4, 4, v5
	v_mov_b32_e32 v5, 1
	ds_add_u32 v4, v5
	v_mov_b32_e32 v4, 0
.LBB1118_200:
	s_or_b64 exec, exec, s[0:1]
	v_cmp_gt_i32_e64 s[0:1], 10, v4
	s_mov_b64 s[6:7], -1
	s_and_saveexec_b64 s[4:5], s[0:1]
; %bb.201:
	v_cmp_eq_u32_e64 s[0:1], 0, v4
	s_orn2_b64 s[6:7], s[0:1], exec
; %bb.202:
	s_or_b64 exec, exec, s[4:5]
	s_and_saveexec_b64 s[4:5], s[6:7]
	s_cbranch_execz .LBB1118_235
; %bb.203:
	s_add_i32 s6, s2, 8
	s_cmp_le_u32 s3, s6
	s_cselect_b64 s[0:1], -1, 0
	s_and_b64 s[14:15], s[0:1], exec
	s_cselect_b32 s7, 8, 10
	s_or_b64 s[0:1], s[0:1], vcc
	s_xor_b64 s[14:15], s[0:1], -1
	v_mov_b32_e32 v4, s7
	s_and_saveexec_b64 s[0:1], s[14:15]
	s_cbranch_execz .LBB1118_205
; %bb.204:
	s_sub_i32 s7, s3, s6
	s_min_u32 s7, s7, 8
	v_lshrrev_b64 v[4:5], s6, v[2:3]
	v_bfe_u32 v4, v4, 0, s7
	v_lshlrev_b32_e32 v5, 2, v1
	v_lshl_or_b32 v4, v4, 4, v5
	v_mov_b32_e32 v5, 1
	ds_add_u32 v4, v5 offset:4096
	v_mov_b32_e32 v4, 0
.LBB1118_205:
	s_or_b64 exec, exec, s[0:1]
	v_cmp_gt_i32_e64 s[0:1], 10, v4
	s_mov_b64 s[6:7], -1
	s_and_saveexec_b64 s[14:15], s[0:1]
; %bb.206:
	v_cmp_eq_u32_e64 s[0:1], 0, v4
	s_orn2_b64 s[6:7], s[0:1], exec
; %bb.207:
	s_or_b64 exec, exec, s[14:15]
	s_and_b64 exec, exec, s[6:7]
	s_cbranch_execz .LBB1118_235
; %bb.208:
	s_add_i32 s6, s2, 16
	s_cmp_le_u32 s3, s6
	s_cselect_b64 s[0:1], -1, 0
	s_and_b64 s[14:15], s[0:1], exec
	s_cselect_b32 s7, 8, 10
	s_or_b64 s[0:1], s[0:1], vcc
	s_xor_b64 s[14:15], s[0:1], -1
	v_mov_b32_e32 v4, s7
	s_and_saveexec_b64 s[0:1], s[14:15]
	s_cbranch_execz .LBB1118_210
; %bb.209:
	s_sub_i32 s7, s3, s6
	s_min_u32 s7, s7, 8
	v_lshrrev_b64 v[4:5], s6, v[2:3]
	v_bfe_u32 v4, v4, 0, s7
	v_lshlrev_b32_e32 v5, 2, v1
	v_lshl_or_b32 v4, v4, 4, v5
	v_mov_b32_e32 v5, 1
	ds_add_u32 v4, v5 offset:8192
	v_mov_b32_e32 v4, 0
.LBB1118_210:
	s_or_b64 exec, exec, s[0:1]
	v_cmp_gt_i32_e64 s[0:1], 10, v4
	s_mov_b64 s[6:7], -1
	s_and_saveexec_b64 s[14:15], s[0:1]
; %bb.211:
	v_cmp_eq_u32_e64 s[0:1], 0, v4
	s_orn2_b64 s[6:7], s[0:1], exec
; %bb.212:
	s_or_b64 exec, exec, s[14:15]
	s_and_b64 exec, exec, s[6:7]
	;; [unrolled: 33-line block ×6, first 2 shown]
	s_cbranch_execz .LBB1118_235
; %bb.233:
	s_add_i32 s0, s2, 56
	s_cmp_gt_u32 s3, s0
	s_cselect_b64 s[6:7], -1, 0
	s_xor_b64 s[14:15], vcc, -1
	s_and_b64 s[6:7], s[6:7], s[14:15]
	s_and_b64 exec, exec, s[6:7]
	s_cbranch_execz .LBB1118_235
; %bb.234:
	s_sub_i32 s1, s3, s0
	s_min_u32 s1, s1, 8
	v_lshrrev_b64 v[2:3], s0, v[2:3]
	v_bfe_u32 v2, v2, 0, s1
	v_lshlrev_b32_e32 v1, 2, v1
	v_lshl_or_b32 v1, v2, 4, v1
	v_mov_b32_e32 v2, 1
	ds_add_u32 v1, v2 offset:28672
.LBB1118_235:
	s_or_b64 exec, exec, s[4:5]
	s_cmp_gt_u32 s3, s2
	s_waitcnt lgkmcnt(0)
	s_barrier
	s_cbranch_scc0 .LBB1118_240
; %bb.236:
	s_movk_i32 s0, 0x100
	v_cmp_gt_u32_e32 vcc, s0, v0
	v_lshlrev_b32_e32 v1, 4, v0
	v_mov_b32_e32 v3, 0
	v_mov_b32_e32 v2, v0
	s_mov_b32 s6, s2
	s_branch .LBB1118_238
.LBB1118_237:                           ;   in Loop: Header=BB1118_238 Depth=1
	s_or_b64 exec, exec, s[4:5]
	s_add_i32 s6, s6, 8
	v_add_u32_e32 v2, 0x100, v2
	s_cmp_lt_u32 s6, s3
	v_add_u32_e32 v1, 0x1000, v1
	s_cbranch_scc0 .LBB1118_240
.LBB1118_238:                           ; =>This Inner Loop Header: Depth=1
	s_and_saveexec_b64 s[4:5], vcc
	s_cbranch_execz .LBB1118_237
; %bb.239:                              ;   in Loop: Header=BB1118_238 Depth=1
	ds_read2_b32 v[4:5], v1 offset1:1
	ds_read2_b32 v[6:7], v1 offset0:2 offset1:3
	v_lshlrev_b64 v[8:9], 2, v[2:3]
	v_mov_b32_e32 v10, s11
	s_waitcnt lgkmcnt(1)
	v_add_u32_e32 v4, v5, v4
	s_waitcnt lgkmcnt(0)
	v_add3_u32 v6, v4, v6, v7
	v_add_co_u32_e64 v4, s[0:1], s10, v8
	v_addc_co_u32_e64 v5, s[0:1], v10, v9, s[0:1]
	global_atomic_add v[4:5], v6, off
	s_branch .LBB1118_237
.LBB1118_240:
	s_mov_b64 s[0:1], 0
.LBB1118_241:
	s_and_b64 vcc, exec, s[0:1]
	s_cbranch_vccz .LBB1118_313
; %bb.242:
	s_cmp_eq_u32 s2, 0
	s_cselect_b64 s[0:1], -1, 0
	s_cmp_eq_u32 s3, 64
	s_mov_b32 s13, 0
	s_cselect_b64 s[4:5], -1, 0
	s_and_b64 s[4:5], s[0:1], s[4:5]
	s_lshl_b64 s[0:1], s[12:13], 3
	s_add_u32 s0, s8, s0
	s_addc_u32 s1, s9, s1
	v_lshlrev_b32_e32 v1, 3, v0
	v_mov_b32_e32 v2, s1
	v_add_co_u32_e32 v16, vcc, s0, v1
	v_addc_co_u32_e32 v17, vcc, 0, v2, vcc
	s_movk_i32 s6, 0x2000
	v_add_co_u32_e32 v2, vcc, s6, v16
	v_addc_co_u32_e32 v3, vcc, 0, v17, vcc
	s_movk_i32 s6, 0x4000
	;; [unrolled: 3-line block ×3, first 2 shown]
	v_add_co_u32_e32 v14, vcc, s6, v16
	v_addc_co_u32_e32 v15, vcc, 0, v17, vcc
	global_load_dwordx2 v[12:13], v1, s[0:1]
	global_load_dwordx2 v[10:11], v[2:3], off
	global_load_dwordx2 v[8:9], v[4:5], off
	;; [unrolled: 1-line block ×3, first 2 shown]
	v_add_co_u32_e32 v14, vcc, 0x8000, v16
	v_addc_co_u32_e32 v15, vcc, 0, v17, vcc
	v_add_co_u32_e32 v16, vcc, 0xa000, v16
	v_addc_co_u32_e32 v17, vcc, 0, v17, vcc
	global_load_dwordx2 v[4:5], v[14:15], off
	global_load_dwordx2 v[2:3], v[16:17], off
	s_mov_b64 s[0:1], -1
	s_and_b64 vcc, exec, s[4:5]
	v_lshlrev_b32_e32 v1, 2, v0
	s_cbranch_vccnz .LBB1118_310
; %bb.243:
	s_cmp_gt_u32 s3, s2
	s_cselect_b64 s[0:1], -1, 0
	v_mov_b32_e32 v14, 0
	s_and_b64 vcc, exec, s[0:1]
	ds_write2st64_b32 v1, v14, v14 offset1:16
	ds_write2st64_b32 v1, v14, v14 offset0:32 offset1:48
	ds_write2st64_b32 v1, v14, v14 offset0:64 offset1:80
	;; [unrolled: 1-line block ×3, first 2 shown]
	s_waitcnt lgkmcnt(0)
	s_barrier
	s_cbranch_vccz .LBB1118_304
; %bb.244:
	s_sub_i32 s4, s3, s2
	s_min_u32 s4, s4, 8
	s_waitcnt vmcnt(5)
	v_xor_b32_e32 v17, 0x80000000, v13
	v_mov_b32_e32 v16, v12
	s_lshl_b32 s4, -1, s4
	v_and_b32_e32 v20, 3, v0
	s_not_b32 s12, s4
	v_lshrrev_b64 v[18:19], s2, v[16:17]
	v_and_b32_e32 v18, s12, v18
	v_lshlrev_b32_e32 v21, 2, v20
	v_lshl_or_b32 v18, v18, 4, v21
	v_mov_b32_e32 v19, 1
	ds_add_u32 v18, v19
	s_add_i32 s13, s2, 8
	s_cmp_le_u32 s3, s13
	s_waitcnt vmcnt(4)
	v_xor_b32_e32 v15, 0x80000000, v11
	v_mov_b32_e32 v14, v10
	s_cselect_b64 s[4:5], -1, 0
	s_and_b64 vcc, exec, s[4:5]
	v_lshrrev_b64 v[18:19], s2, v[14:15]
	s_cbranch_vccz .LBB1118_246
; %bb.245:
	v_and_b32_e32 v19, s12, v18
	v_lshl_or_b32 v19, v19, 2, v20
	s_mov_b64 s[6:7], -1
	s_cbranch_execz .LBB1118_247
	s_branch .LBB1118_262
.LBB1118_246:
	s_mov_b64 s[6:7], 0
                                        ; implicit-def: $vgpr19
.LBB1118_247:
	s_sub_i32 s8, s3, s13
	s_min_u32 s8, s8, 8
	s_lshl_b32 s8, -1, s8
	s_not_b32 s15, s8
	v_lshrrev_b64 v[22:23], s13, v[16:17]
	v_and_b32_e32 v19, s15, v22
	v_lshl_or_b32 v22, v19, 4, v21
	v_mov_b32_e32 v19, 1
	ds_add_u32 v22, v19 offset:4096
	s_add_i32 s14, s2, 16
	s_cmp_gt_u32 s3, s14
	s_cselect_b64 s[8:9], -1, 0
	s_cmp_le_u32 s3, s14
	s_cbranch_scc1 .LBB1118_254
; %bb.248:
	s_sub_i32 s16, s3, s14
	s_min_u32 s16, s16, 8
	v_lshrrev_b64 v[22:23], s14, v[16:17]
	v_bfe_u32 v22, v22, 0, s16
	v_lshl_or_b32 v22, v22, 4, v21
	ds_add_u32 v22, v19 offset:8192
	s_add_i32 s16, s2, 24
	s_cmp_le_u32 s3, s16
	s_cbranch_scc1 .LBB1118_254
; %bb.249:
	s_sub_i32 s17, s3, s16
	s_min_u32 s17, s17, 8
	v_lshrrev_b64 v[22:23], s16, v[16:17]
	v_bfe_u32 v22, v22, 0, s17
	v_lshl_or_b32 v23, v22, 4, v21
	v_mov_b32_e32 v22, 1
	ds_add_u32 v23, v22 offset:12288
	s_add_i32 s16, s2, 32
	s_cmp_le_u32 s3, s16
	s_cbranch_scc1 .LBB1118_254
; %bb.250:
	s_sub_i32 s17, s3, s16
	s_min_u32 s17, s17, 8
	v_lshrrev_b64 v[24:25], s16, v[16:17]
	v_bfe_u32 v23, v24, 0, s17
	v_lshl_or_b32 v23, v23, 4, v21
	ds_add_u32 v23, v22 offset:16384
	s_add_i32 s16, s2, 40
	s_cmp_le_u32 s3, s16
	s_cbranch_scc1 .LBB1118_254
; %bb.251:
	s_sub_i32 s17, s3, s16
	s_min_u32 s17, s17, 8
	v_lshrrev_b64 v[22:23], s16, v[16:17]
	v_bfe_u32 v22, v22, 0, s17
	v_lshl_or_b32 v23, v22, 4, v21
	v_mov_b32_e32 v22, 1
	ds_add_u32 v23, v22 offset:20480
	s_add_i32 s16, s2, 48
	s_cmp_le_u32 s3, s16
	s_cbranch_scc1 .LBB1118_254
; %bb.252:
	s_sub_i32 s17, s3, s16
	s_min_u32 s17, s17, 8
	v_lshrrev_b64 v[24:25], s16, v[16:17]
	v_bfe_u32 v23, v24, 0, s17
	v_lshl_or_b32 v23, v23, 4, v21
	ds_add_u32 v23, v22 offset:24576
	s_add_i32 s16, s2, 56
	s_cmp_le_u32 s3, s16
	s_cbranch_scc1 .LBB1118_254
; %bb.253:
	s_sub_i32 s17, s3, s16
	s_min_u32 s17, s17, 8
	v_lshrrev_b64 v[16:17], s16, v[16:17]
	v_bfe_u32 v16, v16, 0, s17
	v_lshl_or_b32 v16, v16, 4, v21
	v_mov_b32_e32 v17, 1
	ds_add_u32 v16, v17 offset:28672
.LBB1118_254:
	v_and_b32_e32 v16, s12, v18
	v_lshl_or_b32 v16, v16, 4, v21
	ds_add_u32 v16, v19
	v_lshrrev_b64 v[16:17], s13, v[14:15]
	v_and_b32_e32 v16, s15, v16
	v_lshl_or_b32 v16, v16, 4, v21
	ds_add_u32 v16, v19 offset:4096
	s_andn2_b64 vcc, exec, s[8:9]
	s_cbranch_vccnz .LBB1118_261
; %bb.255:
	s_sub_i32 s8, s3, s14
	s_min_u32 s8, s8, 8
	v_lshrrev_b64 v[16:17], s14, v[14:15]
	v_bfe_u32 v16, v16, 0, s8
	v_lshl_or_b32 v17, v16, 4, v21
	v_mov_b32_e32 v16, 1
	ds_add_u32 v17, v16 offset:8192
	s_add_i32 s8, s2, 24
	s_cmp_gt_u32 s3, s8
	s_cbranch_scc0 .LBB1118_261
; %bb.256:
	s_sub_i32 s9, s3, s8
	s_min_u32 s9, s9, 8
	v_lshrrev_b64 v[18:19], s8, v[14:15]
	v_bfe_u32 v17, v18, 0, s9
	v_lshl_or_b32 v17, v17, 4, v21
	ds_add_u32 v17, v16 offset:12288
	s_add_i32 s8, s2, 32
	s_cmp_gt_u32 s3, s8
	s_cbranch_scc0 .LBB1118_261
; %bb.257:
	s_sub_i32 s9, s3, s8
	s_min_u32 s9, s9, 8
	v_lshrrev_b64 v[16:17], s8, v[14:15]
	v_bfe_u32 v16, v16, 0, s9
	v_lshl_or_b32 v17, v16, 4, v21
	v_mov_b32_e32 v16, 1
	ds_add_u32 v17, v16 offset:16384
	s_add_i32 s8, s2, 40
	s_cmp_gt_u32 s3, s8
	s_cbranch_scc0 .LBB1118_261
; %bb.258:
	s_sub_i32 s9, s3, s8
	s_min_u32 s9, s9, 8
	v_lshrrev_b64 v[18:19], s8, v[14:15]
	v_bfe_u32 v17, v18, 0, s9
	v_lshl_or_b32 v17, v17, 4, v21
	ds_add_u32 v17, v16 offset:20480
	s_add_i32 s8, s2, 48
	s_cmp_gt_u32 s3, s8
	s_cbranch_scc0 .LBB1118_261
; %bb.259:
	s_sub_i32 s9, s3, s8
	s_min_u32 s9, s9, 8
	v_lshrrev_b64 v[16:17], s8, v[14:15]
	v_bfe_u32 v16, v16, 0, s9
	v_lshl_or_b32 v16, v16, 4, v21
	v_mov_b32_e32 v17, 1
	ds_add_u32 v16, v17 offset:24576
	s_add_i32 s8, s2, 56
	s_cmp_gt_u32 s3, s8
	s_cbranch_scc0 .LBB1118_261
; %bb.260:
	s_sub_i32 s6, s3, s8
	s_min_u32 s6, s6, 8
	v_lshrrev_b64 v[14:15], s8, v[14:15]
	v_bfe_u32 v14, v14, 0, s6
	v_lshl_or_b32 v14, v14, 2, v20
	v_add_u32_e32 v19, 0x1c00, v14
	s_mov_b64 s[6:7], -1
	s_branch .LBB1118_262
.LBB1118_261:
                                        ; implicit-def: $vgpr19
.LBB1118_262:
	s_and_b64 vcc, exec, s[6:7]
	s_cbranch_vccz .LBB1118_264
; %bb.263:
	v_lshlrev_b32_e32 v14, 2, v19
	v_mov_b32_e32 v15, 1
	ds_add_u32 v14, v15
.LBB1118_264:
	s_waitcnt vmcnt(3)
	v_xor_b32_e32 v17, 0x80000000, v9
	v_mov_b32_e32 v16, v8
	v_lshrrev_b64 v[18:19], s2, v[16:17]
	v_and_b32_e32 v18, s12, v18
	v_lshl_or_b32 v18, v18, 4, v21
	v_mov_b32_e32 v19, 1
	ds_add_u32 v18, v19
	s_waitcnt vmcnt(2)
	v_xor_b32_e32 v15, 0x80000000, v7
	v_mov_b32_e32 v14, v6
	s_and_b64 vcc, exec, s[4:5]
	v_lshrrev_b64 v[18:19], s2, v[14:15]
	s_cbranch_vccz .LBB1118_266
; %bb.265:
	v_and_b32_e32 v19, s12, v18
	v_lshl_or_b32 v19, v19, 2, v20
	s_mov_b64 s[6:7], -1
	s_cbranch_execz .LBB1118_267
	s_branch .LBB1118_282
.LBB1118_266:
	s_mov_b64 s[6:7], 0
                                        ; implicit-def: $vgpr19
.LBB1118_267:
	s_sub_i32 s8, s3, s13
	s_min_u32 s8, s8, 8
	s_lshl_b32 s8, -1, s8
	s_not_b32 s15, s8
	v_lshrrev_b64 v[22:23], s13, v[16:17]
	v_and_b32_e32 v19, s15, v22
	v_lshl_or_b32 v22, v19, 4, v21
	v_mov_b32_e32 v19, 1
	ds_add_u32 v22, v19 offset:4096
	s_add_i32 s14, s2, 16
	s_cmp_gt_u32 s3, s14
	s_cselect_b64 s[8:9], -1, 0
	s_cmp_le_u32 s3, s14
	s_cbranch_scc1 .LBB1118_274
; %bb.268:
	s_sub_i32 s16, s3, s14
	s_min_u32 s16, s16, 8
	v_lshrrev_b64 v[22:23], s14, v[16:17]
	v_bfe_u32 v22, v22, 0, s16
	v_lshl_or_b32 v22, v22, 4, v21
	ds_add_u32 v22, v19 offset:8192
	s_add_i32 s16, s2, 24
	s_cmp_le_u32 s3, s16
	s_cbranch_scc1 .LBB1118_274
; %bb.269:
	s_sub_i32 s17, s3, s16
	s_min_u32 s17, s17, 8
	v_lshrrev_b64 v[22:23], s16, v[16:17]
	v_bfe_u32 v22, v22, 0, s17
	v_lshl_or_b32 v23, v22, 4, v21
	v_mov_b32_e32 v22, 1
	ds_add_u32 v23, v22 offset:12288
	s_add_i32 s16, s2, 32
	s_cmp_le_u32 s3, s16
	s_cbranch_scc1 .LBB1118_274
; %bb.270:
	s_sub_i32 s17, s3, s16
	s_min_u32 s17, s17, 8
	v_lshrrev_b64 v[24:25], s16, v[16:17]
	v_bfe_u32 v23, v24, 0, s17
	v_lshl_or_b32 v23, v23, 4, v21
	ds_add_u32 v23, v22 offset:16384
	s_add_i32 s16, s2, 40
	s_cmp_le_u32 s3, s16
	s_cbranch_scc1 .LBB1118_274
; %bb.271:
	s_sub_i32 s17, s3, s16
	s_min_u32 s17, s17, 8
	v_lshrrev_b64 v[22:23], s16, v[16:17]
	v_bfe_u32 v22, v22, 0, s17
	v_lshl_or_b32 v23, v22, 4, v21
	v_mov_b32_e32 v22, 1
	ds_add_u32 v23, v22 offset:20480
	s_add_i32 s16, s2, 48
	s_cmp_le_u32 s3, s16
	s_cbranch_scc1 .LBB1118_274
; %bb.272:
	s_sub_i32 s17, s3, s16
	s_min_u32 s17, s17, 8
	v_lshrrev_b64 v[24:25], s16, v[16:17]
	v_bfe_u32 v23, v24, 0, s17
	v_lshl_or_b32 v23, v23, 4, v21
	ds_add_u32 v23, v22 offset:24576
	s_add_i32 s16, s2, 56
	s_cmp_le_u32 s3, s16
	s_cbranch_scc1 .LBB1118_274
; %bb.273:
	s_sub_i32 s17, s3, s16
	s_min_u32 s17, s17, 8
	v_lshrrev_b64 v[16:17], s16, v[16:17]
	v_bfe_u32 v16, v16, 0, s17
	v_lshl_or_b32 v16, v16, 4, v21
	v_mov_b32_e32 v17, 1
	ds_add_u32 v16, v17 offset:28672
.LBB1118_274:
	v_and_b32_e32 v16, s12, v18
	v_lshl_or_b32 v16, v16, 4, v21
	ds_add_u32 v16, v19
	v_lshrrev_b64 v[16:17], s13, v[14:15]
	v_and_b32_e32 v16, s15, v16
	v_lshl_or_b32 v16, v16, 4, v21
	ds_add_u32 v16, v19 offset:4096
	s_andn2_b64 vcc, exec, s[8:9]
	s_cbranch_vccnz .LBB1118_281
; %bb.275:
	s_sub_i32 s8, s3, s14
	s_min_u32 s8, s8, 8
	v_lshrrev_b64 v[16:17], s14, v[14:15]
	v_bfe_u32 v16, v16, 0, s8
	v_lshl_or_b32 v17, v16, 4, v21
	v_mov_b32_e32 v16, 1
	ds_add_u32 v17, v16 offset:8192
	s_add_i32 s8, s2, 24
	s_cmp_gt_u32 s3, s8
	s_cbranch_scc0 .LBB1118_281
; %bb.276:
	s_sub_i32 s9, s3, s8
	s_min_u32 s9, s9, 8
	v_lshrrev_b64 v[18:19], s8, v[14:15]
	v_bfe_u32 v17, v18, 0, s9
	v_lshl_or_b32 v17, v17, 4, v21
	ds_add_u32 v17, v16 offset:12288
	s_add_i32 s8, s2, 32
	s_cmp_gt_u32 s3, s8
	s_cbranch_scc0 .LBB1118_281
; %bb.277:
	s_sub_i32 s9, s3, s8
	s_min_u32 s9, s9, 8
	v_lshrrev_b64 v[16:17], s8, v[14:15]
	v_bfe_u32 v16, v16, 0, s9
	v_lshl_or_b32 v17, v16, 4, v21
	v_mov_b32_e32 v16, 1
	ds_add_u32 v17, v16 offset:16384
	s_add_i32 s8, s2, 40
	s_cmp_gt_u32 s3, s8
	s_cbranch_scc0 .LBB1118_281
; %bb.278:
	s_sub_i32 s9, s3, s8
	s_min_u32 s9, s9, 8
	v_lshrrev_b64 v[18:19], s8, v[14:15]
	v_bfe_u32 v17, v18, 0, s9
	v_lshl_or_b32 v17, v17, 4, v21
	ds_add_u32 v17, v16 offset:20480
	s_add_i32 s8, s2, 48
	s_cmp_gt_u32 s3, s8
	s_cbranch_scc0 .LBB1118_281
; %bb.279:
	s_sub_i32 s9, s3, s8
	s_min_u32 s9, s9, 8
	v_lshrrev_b64 v[16:17], s8, v[14:15]
	v_bfe_u32 v16, v16, 0, s9
	v_lshl_or_b32 v16, v16, 4, v21
	v_mov_b32_e32 v17, 1
	ds_add_u32 v16, v17 offset:24576
	s_add_i32 s8, s2, 56
	s_cmp_gt_u32 s3, s8
	s_cbranch_scc0 .LBB1118_281
; %bb.280:
	s_sub_i32 s6, s3, s8
	s_min_u32 s6, s6, 8
	v_lshrrev_b64 v[14:15], s8, v[14:15]
	v_bfe_u32 v14, v14, 0, s6
	v_lshl_or_b32 v14, v14, 2, v20
	v_add_u32_e32 v19, 0x1c00, v14
	s_mov_b64 s[6:7], -1
	s_branch .LBB1118_282
.LBB1118_281:
                                        ; implicit-def: $vgpr19
.LBB1118_282:
	s_and_b64 vcc, exec, s[6:7]
	s_cbranch_vccz .LBB1118_284
; %bb.283:
	v_lshlrev_b32_e32 v14, 2, v19
	v_mov_b32_e32 v15, 1
	ds_add_u32 v14, v15
.LBB1118_284:
	s_waitcnt vmcnt(1)
	v_xor_b32_e32 v17, 0x80000000, v5
	v_mov_b32_e32 v16, v4
	v_lshrrev_b64 v[18:19], s2, v[16:17]
	v_and_b32_e32 v18, s12, v18
	v_lshl_or_b32 v18, v18, 4, v21
	v_mov_b32_e32 v19, 1
	ds_add_u32 v18, v19
	s_waitcnt vmcnt(0)
	v_xor_b32_e32 v15, 0x80000000, v3
	v_mov_b32_e32 v14, v2
	s_and_b64 vcc, exec, s[4:5]
	v_lshrrev_b64 v[18:19], s2, v[14:15]
	s_cbranch_vccz .LBB1118_286
; %bb.285:
	v_and_b32_e32 v19, s12, v18
	v_lshl_or_b32 v19, v19, 2, v20
	s_mov_b64 s[4:5], -1
	s_cbranch_execz .LBB1118_287
	s_branch .LBB1118_302
.LBB1118_286:
	s_mov_b64 s[4:5], 0
                                        ; implicit-def: $vgpr19
.LBB1118_287:
	s_sub_i32 s6, s3, s13
	s_min_u32 s6, s6, 8
	s_lshl_b32 s6, -1, s6
	s_not_b32 s9, s6
	v_lshrrev_b64 v[22:23], s13, v[16:17]
	v_and_b32_e32 v19, s9, v22
	v_lshl_or_b32 v22, v19, 4, v21
	v_mov_b32_e32 v19, 1
	ds_add_u32 v22, v19 offset:4096
	s_add_i32 s8, s2, 16
	s_cmp_gt_u32 s3, s8
	s_cselect_b64 s[6:7], -1, 0
	s_cmp_le_u32 s3, s8
	s_cbranch_scc1 .LBB1118_294
; %bb.288:
	s_sub_i32 s14, s3, s8
	s_min_u32 s14, s14, 8
	v_lshrrev_b64 v[22:23], s8, v[16:17]
	v_bfe_u32 v22, v22, 0, s14
	v_lshl_or_b32 v22, v22, 4, v21
	ds_add_u32 v22, v19 offset:8192
	s_add_i32 s14, s2, 24
	s_cmp_le_u32 s3, s14
	s_cbranch_scc1 .LBB1118_294
; %bb.289:
	s_sub_i32 s15, s3, s14
	s_min_u32 s15, s15, 8
	v_lshrrev_b64 v[22:23], s14, v[16:17]
	v_bfe_u32 v22, v22, 0, s15
	v_lshl_or_b32 v23, v22, 4, v21
	v_mov_b32_e32 v22, 1
	ds_add_u32 v23, v22 offset:12288
	s_add_i32 s14, s2, 32
	s_cmp_le_u32 s3, s14
	s_cbranch_scc1 .LBB1118_294
; %bb.290:
	s_sub_i32 s15, s3, s14
	s_min_u32 s15, s15, 8
	v_lshrrev_b64 v[24:25], s14, v[16:17]
	v_bfe_u32 v23, v24, 0, s15
	v_lshl_or_b32 v23, v23, 4, v21
	ds_add_u32 v23, v22 offset:16384
	s_add_i32 s14, s2, 40
	s_cmp_le_u32 s3, s14
	s_cbranch_scc1 .LBB1118_294
; %bb.291:
	s_sub_i32 s15, s3, s14
	s_min_u32 s15, s15, 8
	v_lshrrev_b64 v[22:23], s14, v[16:17]
	v_bfe_u32 v22, v22, 0, s15
	v_lshl_or_b32 v23, v22, 4, v21
	v_mov_b32_e32 v22, 1
	ds_add_u32 v23, v22 offset:20480
	s_add_i32 s14, s2, 48
	s_cmp_le_u32 s3, s14
	s_cbranch_scc1 .LBB1118_294
; %bb.292:
	s_sub_i32 s15, s3, s14
	s_min_u32 s15, s15, 8
	v_lshrrev_b64 v[24:25], s14, v[16:17]
	v_bfe_u32 v23, v24, 0, s15
	v_lshl_or_b32 v23, v23, 4, v21
	ds_add_u32 v23, v22 offset:24576
	s_add_i32 s14, s2, 56
	s_cmp_le_u32 s3, s14
	s_cbranch_scc1 .LBB1118_294
; %bb.293:
	s_sub_i32 s15, s3, s14
	s_min_u32 s15, s15, 8
	v_lshrrev_b64 v[16:17], s14, v[16:17]
	v_bfe_u32 v16, v16, 0, s15
	v_lshl_or_b32 v16, v16, 4, v21
	v_mov_b32_e32 v17, 1
	ds_add_u32 v16, v17 offset:28672
.LBB1118_294:
	v_and_b32_e32 v16, s12, v18
	v_lshl_or_b32 v16, v16, 4, v21
	ds_add_u32 v16, v19
	v_lshrrev_b64 v[16:17], s13, v[14:15]
	v_and_b32_e32 v16, s9, v16
	v_lshl_or_b32 v16, v16, 4, v21
	ds_add_u32 v16, v19 offset:4096
	s_andn2_b64 vcc, exec, s[6:7]
	s_cbranch_vccnz .LBB1118_301
; %bb.295:
	s_sub_i32 s6, s3, s8
	s_min_u32 s6, s6, 8
	v_lshrrev_b64 v[16:17], s8, v[14:15]
	v_bfe_u32 v16, v16, 0, s6
	v_lshl_or_b32 v17, v16, 4, v21
	v_mov_b32_e32 v16, 1
	ds_add_u32 v17, v16 offset:8192
	s_add_i32 s6, s2, 24
	s_cmp_gt_u32 s3, s6
	s_cbranch_scc0 .LBB1118_301
; %bb.296:
	s_sub_i32 s7, s3, s6
	s_min_u32 s7, s7, 8
	v_lshrrev_b64 v[18:19], s6, v[14:15]
	v_bfe_u32 v17, v18, 0, s7
	v_lshl_or_b32 v17, v17, 4, v21
	ds_add_u32 v17, v16 offset:12288
	s_add_i32 s6, s2, 32
	s_cmp_gt_u32 s3, s6
	s_cbranch_scc0 .LBB1118_301
; %bb.297:
	s_sub_i32 s7, s3, s6
	s_min_u32 s7, s7, 8
	v_lshrrev_b64 v[16:17], s6, v[14:15]
	v_bfe_u32 v16, v16, 0, s7
	v_lshl_or_b32 v17, v16, 4, v21
	v_mov_b32_e32 v16, 1
	ds_add_u32 v17, v16 offset:16384
	s_add_i32 s6, s2, 40
	s_cmp_gt_u32 s3, s6
	s_cbranch_scc0 .LBB1118_301
; %bb.298:
	s_sub_i32 s7, s3, s6
	s_min_u32 s7, s7, 8
	v_lshrrev_b64 v[18:19], s6, v[14:15]
	v_bfe_u32 v17, v18, 0, s7
	v_lshl_or_b32 v17, v17, 4, v21
	ds_add_u32 v17, v16 offset:20480
	s_add_i32 s6, s2, 48
	s_cmp_gt_u32 s3, s6
	s_cbranch_scc0 .LBB1118_301
; %bb.299:
	s_sub_i32 s7, s3, s6
	s_min_u32 s7, s7, 8
	v_lshrrev_b64 v[16:17], s6, v[14:15]
	v_bfe_u32 v16, v16, 0, s7
	v_lshl_or_b32 v16, v16, 4, v21
	v_mov_b32_e32 v17, 1
	ds_add_u32 v16, v17 offset:24576
	s_add_i32 s6, s2, 56
	s_cmp_gt_u32 s3, s6
	s_cbranch_scc0 .LBB1118_301
; %bb.300:
	s_sub_i32 s4, s3, s6
	s_min_u32 s4, s4, 8
	v_lshrrev_b64 v[14:15], s6, v[14:15]
	v_bfe_u32 v14, v14, 0, s4
	v_lshl_or_b32 v14, v14, 2, v20
	v_add_u32_e32 v19, 0x1c00, v14
	s_mov_b64 s[4:5], -1
	s_branch .LBB1118_302
.LBB1118_301:
                                        ; implicit-def: $vgpr19
.LBB1118_302:
	s_and_b64 vcc, exec, s[4:5]
	s_cbranch_vccz .LBB1118_304
; %bb.303:
	v_lshlrev_b32_e32 v14, 2, v19
	v_mov_b32_e32 v15, 1
	ds_add_u32 v14, v15
.LBB1118_304:
	s_and_b64 vcc, exec, s[0:1]
	s_waitcnt lgkmcnt(0)
	s_barrier
	s_cbranch_vccz .LBB1118_309
; %bb.305:
	s_movk_i32 s0, 0x100
	v_cmp_gt_u32_e32 vcc, s0, v0
	v_lshlrev_b32_e32 v16, 4, v0
	v_mov_b32_e32 v15, 0
	v_mov_b32_e32 v14, v0
	s_branch .LBB1118_307
.LBB1118_306:                           ;   in Loop: Header=BB1118_307 Depth=1
	s_or_b64 exec, exec, s[4:5]
	s_add_i32 s2, s2, 8
	v_add_u32_e32 v14, 0x100, v14
	s_cmp_ge_u32 s2, s3
	v_add_u32_e32 v16, 0x1000, v16
	s_cbranch_scc1 .LBB1118_309
.LBB1118_307:                           ; =>This Inner Loop Header: Depth=1
	s_and_saveexec_b64 s[4:5], vcc
	s_cbranch_execz .LBB1118_306
; %bb.308:                              ;   in Loop: Header=BB1118_307 Depth=1
	ds_read2_b32 v[18:19], v16 offset1:1
	ds_read2_b32 v[20:21], v16 offset0:2 offset1:3
	v_lshlrev_b64 v[22:23], 2, v[14:15]
	v_mov_b32_e32 v17, s11
	s_waitcnt lgkmcnt(1)
	v_add_u32_e32 v18, v19, v18
	s_waitcnt lgkmcnt(0)
	v_add3_u32 v20, v18, v20, v21
	v_add_co_u32_e64 v18, s[0:1], s10, v22
	v_addc_co_u32_e64 v19, s[0:1], v17, v23, s[0:1]
	global_atomic_add v[18:19], v20, off
	s_branch .LBB1118_306
.LBB1118_309:
	s_mov_b64 s[0:1], 0
.LBB1118_310:
	s_and_b64 vcc, exec, s[0:1]
	s_cbranch_vccz .LBB1118_313
; %bb.311:
	v_mov_b32_e32 v14, 0
	ds_write2st64_b32 v1, v14, v14 offset1:16
	ds_write2st64_b32 v1, v14, v14 offset0:32 offset1:48
	ds_write2st64_b32 v1, v14, v14 offset0:64 offset1:80
	;; [unrolled: 1-line block ×3, first 2 shown]
	v_and_b32_e32 v14, 3, v0
	s_waitcnt vmcnt(5)
	v_lshlrev_b32_e32 v15, 2, v12
	s_movk_i32 s0, 0x3fc
	v_and_or_b32 v15, v15, s0, v14
	v_lshlrev_b32_e32 v15, 2, v15
	v_mov_b32_e32 v16, 1
	s_waitcnt lgkmcnt(0)
	s_barrier
	ds_add_u32 v15, v16
	v_bfe_u32 v15, v12, 8, 8
	v_lshl_or_b32 v15, v15, 2, v14
	v_lshlrev_b32_e32 v15, 2, v15
	ds_add_u32 v15, v16 offset:4096
	v_bfe_u32 v15, v12, 16, 8
	v_lshl_or_b32 v15, v15, 2, v14
	v_lshlrev_b32_e32 v15, 2, v15
	ds_add_u32 v15, v16 offset:8192
	v_lshrrev_b32_e32 v15, 24, v12
	v_lshl_or_b32 v15, v15, 2, v14
	v_alignbit_b32 v12, v13, v12, 30
	v_lshlrev_b32_e32 v15, 2, v15
	v_and_or_b32 v12, v12, s0, v14
	ds_add_u32 v15, v16 offset:12288
	v_lshlrev_b32_e32 v12, 2, v12
	ds_add_u32 v12, v16 offset:16384
	v_bfe_u32 v12, v13, 8, 8
	v_lshl_or_b32 v12, v12, 2, v14
	v_lshlrev_b32_e32 v12, 2, v12
	ds_add_u32 v12, v16 offset:20480
	v_bfe_u32 v12, v13, 16, 8
	v_lshl_or_b32 v12, v12, 2, v14
	v_lshlrev_b32_e32 v12, 2, v12
	ds_add_u32 v12, v16 offset:24576
	v_lshrrev_b32_e32 v12, 24, v13
	v_or_b32_e32 v13, 0x1c00, v14
	v_lshl_or_b32 v12, v12, 2, v13
	v_xor_b32_e32 v12, 0x200, v12
	v_lshlrev_b32_e32 v12, 2, v12
	ds_add_u32 v12, v16
	s_waitcnt vmcnt(4)
	v_lshlrev_b32_e32 v12, 2, v10
	v_and_or_b32 v12, v12, s0, v14
	v_lshlrev_b32_e32 v12, 2, v12
	ds_add_u32 v12, v16
	v_bfe_u32 v12, v10, 8, 8
	v_lshl_or_b32 v12, v12, 2, v14
	v_lshlrev_b32_e32 v12, 2, v12
	ds_add_u32 v12, v16 offset:4096
	v_bfe_u32 v12, v10, 16, 8
	v_lshl_or_b32 v12, v12, 2, v14
	v_lshlrev_b32_e32 v12, 2, v12
	ds_add_u32 v12, v16 offset:8192
	v_lshrrev_b32_e32 v12, 24, v10
	v_lshl_or_b32 v12, v12, 2, v14
	v_alignbit_b32 v10, v11, v10, 30
	v_lshlrev_b32_e32 v12, 2, v12
	v_and_or_b32 v10, v10, s0, v14
	ds_add_u32 v12, v16 offset:12288
	v_lshlrev_b32_e32 v10, 2, v10
	ds_add_u32 v10, v16 offset:16384
	v_bfe_u32 v10, v11, 8, 8
	v_lshl_or_b32 v10, v10, 2, v14
	v_lshlrev_b32_e32 v10, 2, v10
	ds_add_u32 v10, v16 offset:20480
	v_bfe_u32 v10, v11, 16, 8
	v_lshl_or_b32 v10, v10, 2, v14
	v_lshlrev_b32_e32 v10, 2, v10
	ds_add_u32 v10, v16 offset:24576
	v_lshrrev_b32_e32 v10, 24, v11
	v_lshl_or_b32 v10, v10, 2, v13
	v_xor_b32_e32 v10, 0x200, v10
	v_lshlrev_b32_e32 v10, 2, v10
	ds_add_u32 v10, v16
	s_waitcnt vmcnt(3)
	v_lshlrev_b32_e32 v10, 2, v8
	v_and_or_b32 v10, v10, s0, v14
	v_lshlrev_b32_e32 v10, 2, v10
	ds_add_u32 v10, v16
	v_bfe_u32 v10, v8, 8, 8
	v_lshl_or_b32 v10, v10, 2, v14
	v_lshlrev_b32_e32 v10, 2, v10
	ds_add_u32 v10, v16 offset:4096
	v_bfe_u32 v10, v8, 16, 8
	v_lshl_or_b32 v10, v10, 2, v14
	v_lshlrev_b32_e32 v10, 2, v10
	ds_add_u32 v10, v16 offset:8192
	v_lshrrev_b32_e32 v10, 24, v8
	v_lshl_or_b32 v10, v10, 2, v14
	v_alignbit_b32 v8, v9, v8, 30
	v_lshlrev_b32_e32 v10, 2, v10
	v_and_or_b32 v8, v8, s0, v14
	ds_add_u32 v10, v16 offset:12288
	v_lshlrev_b32_e32 v8, 2, v8
	ds_add_u32 v8, v16 offset:16384
	v_bfe_u32 v8, v9, 8, 8
	v_lshl_or_b32 v8, v8, 2, v14
	v_lshlrev_b32_e32 v8, 2, v8
	ds_add_u32 v8, v16 offset:20480
	v_bfe_u32 v8, v9, 16, 8
	v_lshl_or_b32 v8, v8, 2, v14
	v_lshlrev_b32_e32 v8, 2, v8
	ds_add_u32 v8, v16 offset:24576
	v_lshrrev_b32_e32 v8, 24, v9
	;; [unrolled: 34-line block ×5, first 2 shown]
	v_lshl_or_b32 v2, v2, 2, v13
	v_xor_b32_e32 v2, 0x200, v2
	v_lshlrev_b32_e32 v2, 2, v2
	ds_add_u32 v2, v16
	s_movk_i32 s0, 0x100
	v_cmp_gt_u32_e32 vcc, s0, v0
	s_waitcnt lgkmcnt(0)
	s_barrier
	s_and_saveexec_b64 s[0:1], vcc
	s_cbranch_execz .LBB1118_313
; %bb.312:
	v_lshlrev_b32_e32 v0, 4, v0
	ds_read2_b32 v[2:3], v0 offset1:1
	ds_read2_b32 v[4:5], v0 offset0:2 offset1:3
	v_add_u32_e32 v6, 0x1000, v0
	v_add_u32_e32 v7, 0x1008, v0
	;; [unrolled: 1-line block ×3, first 2 shown]
	s_waitcnt lgkmcnt(1)
	v_add_u32_e32 v2, v3, v2
	s_waitcnt lgkmcnt(0)
	v_add3_u32 v2, v2, v4, v5
	global_atomic_add v1, v2, s[10:11]
	ds_read2_b32 v[2:3], v6 offset1:1
	ds_read2_b32 v[4:5], v7 offset1:1
	v_add_u32_e32 v6, 0x2000, v0
	v_add_u32_e32 v7, 0x2008, v0
	s_waitcnt lgkmcnt(1)
	v_add_u32_e32 v2, v3, v2
	s_waitcnt lgkmcnt(0)
	v_add3_u32 v2, v2, v4, v5
	global_atomic_add v1, v2, s[10:11] offset:1024
	ds_read2_b32 v[2:3], v6 offset1:1
	ds_read2_b32 v[4:5], v7 offset1:1
	v_add_u32_e32 v6, 0x3000, v0
	v_add_u32_e32 v7, 0x3008, v0
	s_waitcnt lgkmcnt(1)
	v_add_u32_e32 v2, v3, v2
	s_waitcnt lgkmcnt(0)
	v_add3_u32 v2, v2, v4, v5
	global_atomic_add v1, v2, s[10:11] offset:2048
	ds_read2_b32 v[2:3], v6 offset1:1
	ds_read2_b32 v[4:5], v7 offset1:1
	v_or_b32_e32 v6, 0x4000, v0
	v_or_b32_e32 v7, 0x4008, v0
	s_waitcnt lgkmcnt(1)
	v_add_u32_e32 v2, v3, v2
	s_waitcnt lgkmcnt(0)
	v_add3_u32 v2, v2, v4, v5
	global_atomic_add v1, v2, s[10:11] offset:3072
	ds_read2_b32 v[2:3], v6 offset1:1
	ds_read2_b32 v[4:5], v7 offset1:1
	v_or_b32_e32 v6, 0x1000, v1
	v_add_u32_e32 v7, 0x5000, v0
	s_waitcnt lgkmcnt(1)
	v_add_u32_e32 v2, v3, v2
	s_waitcnt lgkmcnt(0)
	v_add3_u32 v2, v2, v4, v5
	global_atomic_add v6, v2, s[10:11]
	ds_read2_b32 v[2:3], v7 offset1:1
	ds_read2_b32 v[4:5], v8 offset1:1
	v_or_b32_e32 v6, 0x1400, v1
	v_add_u32_e32 v7, 0x6000, v0
	v_add_u32_e32 v8, 0x6008, v0
	s_waitcnt lgkmcnt(1)
	v_add_u32_e32 v2, v3, v2
	s_waitcnt lgkmcnt(0)
	v_add3_u32 v2, v2, v4, v5
	global_atomic_add v6, v2, s[10:11]
	ds_read2_b32 v[2:3], v7 offset1:1
	ds_read2_b32 v[4:5], v8 offset1:1
	v_or_b32_e32 v6, 0x1800, v1
	v_add_u32_e32 v7, 0x7000, v0
	v_add_u32_e32 v0, 0x7008, v0
	s_waitcnt lgkmcnt(1)
	v_add_u32_e32 v2, v3, v2
	s_waitcnt lgkmcnt(0)
	v_add3_u32 v2, v2, v4, v5
	global_atomic_add v6, v2, s[10:11]
	ds_read2_b32 v[2:3], v7 offset1:1
	ds_read2_b32 v[4:5], v0 offset1:1
	v_or_b32_e32 v1, 0x1c00, v1
	s_waitcnt lgkmcnt(1)
	v_add_u32_e32 v0, v3, v2
	s_waitcnt lgkmcnt(0)
	v_add3_u32 v0, v0, v4, v5
	global_atomic_add v1, v0, s[10:11]
.LBB1118_313:
	s_endpgm
	.section	.rodata,"a",@progbits
	.p2align	6, 0x0
	.amdhsa_kernel _ZN7rocprim17ROCPRIM_400000_NS6detail17trampoline_kernelINS0_14default_configENS1_35radix_sort_onesweep_config_selectorIllEEZNS1_34radix_sort_onesweep_global_offsetsIS3_Lb0EPlN6thrust23THRUST_200600_302600_NS10device_ptrIlEEjNS0_19identity_decomposerEEE10hipError_tT1_T2_PT3_SG_jT4_jjP12ihipStream_tbEUlT_E_NS1_11comp_targetILNS1_3genE4ELNS1_11target_archE910ELNS1_3gpuE8ELNS1_3repE0EEENS1_52radix_sort_onesweep_histogram_config_static_selectorELNS0_4arch9wavefront6targetE1EEEvSE_
		.amdhsa_group_segment_fixed_size 32768
		.amdhsa_private_segment_fixed_size 0
		.amdhsa_kernarg_size 40
		.amdhsa_user_sgpr_count 6
		.amdhsa_user_sgpr_private_segment_buffer 1
		.amdhsa_user_sgpr_dispatch_ptr 0
		.amdhsa_user_sgpr_queue_ptr 0
		.amdhsa_user_sgpr_kernarg_segment_ptr 1
		.amdhsa_user_sgpr_dispatch_id 0
		.amdhsa_user_sgpr_flat_scratch_init 0
		.amdhsa_user_sgpr_kernarg_preload_length 0
		.amdhsa_user_sgpr_kernarg_preload_offset 0
		.amdhsa_user_sgpr_private_segment_size 0
		.amdhsa_uses_dynamic_stack 0
		.amdhsa_system_sgpr_private_segment_wavefront_offset 0
		.amdhsa_system_sgpr_workgroup_id_x 1
		.amdhsa_system_sgpr_workgroup_id_y 0
		.amdhsa_system_sgpr_workgroup_id_z 0
		.amdhsa_system_sgpr_workgroup_info 0
		.amdhsa_system_vgpr_workitem_id 0
		.amdhsa_next_free_vgpr 26
		.amdhsa_next_free_sgpr 19
		.amdhsa_accum_offset 28
		.amdhsa_reserve_vcc 1
		.amdhsa_reserve_flat_scratch 0
		.amdhsa_float_round_mode_32 0
		.amdhsa_float_round_mode_16_64 0
		.amdhsa_float_denorm_mode_32 3
		.amdhsa_float_denorm_mode_16_64 3
		.amdhsa_dx10_clamp 1
		.amdhsa_ieee_mode 1
		.amdhsa_fp16_overflow 0
		.amdhsa_tg_split 0
		.amdhsa_exception_fp_ieee_invalid_op 0
		.amdhsa_exception_fp_denorm_src 0
		.amdhsa_exception_fp_ieee_div_zero 0
		.amdhsa_exception_fp_ieee_overflow 0
		.amdhsa_exception_fp_ieee_underflow 0
		.amdhsa_exception_fp_ieee_inexact 0
		.amdhsa_exception_int_div_zero 0
	.end_amdhsa_kernel
	.section	.text._ZN7rocprim17ROCPRIM_400000_NS6detail17trampoline_kernelINS0_14default_configENS1_35radix_sort_onesweep_config_selectorIllEEZNS1_34radix_sort_onesweep_global_offsetsIS3_Lb0EPlN6thrust23THRUST_200600_302600_NS10device_ptrIlEEjNS0_19identity_decomposerEEE10hipError_tT1_T2_PT3_SG_jT4_jjP12ihipStream_tbEUlT_E_NS1_11comp_targetILNS1_3genE4ELNS1_11target_archE910ELNS1_3gpuE8ELNS1_3repE0EEENS1_52radix_sort_onesweep_histogram_config_static_selectorELNS0_4arch9wavefront6targetE1EEEvSE_,"axG",@progbits,_ZN7rocprim17ROCPRIM_400000_NS6detail17trampoline_kernelINS0_14default_configENS1_35radix_sort_onesweep_config_selectorIllEEZNS1_34radix_sort_onesweep_global_offsetsIS3_Lb0EPlN6thrust23THRUST_200600_302600_NS10device_ptrIlEEjNS0_19identity_decomposerEEE10hipError_tT1_T2_PT3_SG_jT4_jjP12ihipStream_tbEUlT_E_NS1_11comp_targetILNS1_3genE4ELNS1_11target_archE910ELNS1_3gpuE8ELNS1_3repE0EEENS1_52radix_sort_onesweep_histogram_config_static_selectorELNS0_4arch9wavefront6targetE1EEEvSE_,comdat
.Lfunc_end1118:
	.size	_ZN7rocprim17ROCPRIM_400000_NS6detail17trampoline_kernelINS0_14default_configENS1_35radix_sort_onesweep_config_selectorIllEEZNS1_34radix_sort_onesweep_global_offsetsIS3_Lb0EPlN6thrust23THRUST_200600_302600_NS10device_ptrIlEEjNS0_19identity_decomposerEEE10hipError_tT1_T2_PT3_SG_jT4_jjP12ihipStream_tbEUlT_E_NS1_11comp_targetILNS1_3genE4ELNS1_11target_archE910ELNS1_3gpuE8ELNS1_3repE0EEENS1_52radix_sort_onesweep_histogram_config_static_selectorELNS0_4arch9wavefront6targetE1EEEvSE_, .Lfunc_end1118-_ZN7rocprim17ROCPRIM_400000_NS6detail17trampoline_kernelINS0_14default_configENS1_35radix_sort_onesweep_config_selectorIllEEZNS1_34radix_sort_onesweep_global_offsetsIS3_Lb0EPlN6thrust23THRUST_200600_302600_NS10device_ptrIlEEjNS0_19identity_decomposerEEE10hipError_tT1_T2_PT3_SG_jT4_jjP12ihipStream_tbEUlT_E_NS1_11comp_targetILNS1_3genE4ELNS1_11target_archE910ELNS1_3gpuE8ELNS1_3repE0EEENS1_52radix_sort_onesweep_histogram_config_static_selectorELNS0_4arch9wavefront6targetE1EEEvSE_
                                        ; -- End function
	.section	.AMDGPU.csdata,"",@progbits
; Kernel info:
; codeLenInByte = 11720
; NumSgprs: 23
; NumVgprs: 26
; NumAgprs: 0
; TotalNumVgprs: 26
; ScratchSize: 0
; MemoryBound: 0
; FloatMode: 240
; IeeeMode: 1
; LDSByteSize: 32768 bytes/workgroup (compile time only)
; SGPRBlocks: 2
; VGPRBlocks: 3
; NumSGPRsForWavesPerEU: 23
; NumVGPRsForWavesPerEU: 26
; AccumOffset: 28
; Occupancy: 8
; WaveLimiterHint : 1
; COMPUTE_PGM_RSRC2:SCRATCH_EN: 0
; COMPUTE_PGM_RSRC2:USER_SGPR: 6
; COMPUTE_PGM_RSRC2:TRAP_HANDLER: 0
; COMPUTE_PGM_RSRC2:TGID_X_EN: 1
; COMPUTE_PGM_RSRC2:TGID_Y_EN: 0
; COMPUTE_PGM_RSRC2:TGID_Z_EN: 0
; COMPUTE_PGM_RSRC2:TIDIG_COMP_CNT: 0
; COMPUTE_PGM_RSRC3_GFX90A:ACCUM_OFFSET: 6
; COMPUTE_PGM_RSRC3_GFX90A:TG_SPLIT: 0
	.section	.text._ZN7rocprim17ROCPRIM_400000_NS6detail17trampoline_kernelINS0_14default_configENS1_35radix_sort_onesweep_config_selectorIllEEZNS1_34radix_sort_onesweep_global_offsetsIS3_Lb0EPlN6thrust23THRUST_200600_302600_NS10device_ptrIlEEjNS0_19identity_decomposerEEE10hipError_tT1_T2_PT3_SG_jT4_jjP12ihipStream_tbEUlT_E_NS1_11comp_targetILNS1_3genE3ELNS1_11target_archE908ELNS1_3gpuE7ELNS1_3repE0EEENS1_52radix_sort_onesweep_histogram_config_static_selectorELNS0_4arch9wavefront6targetE1EEEvSE_,"axG",@progbits,_ZN7rocprim17ROCPRIM_400000_NS6detail17trampoline_kernelINS0_14default_configENS1_35radix_sort_onesweep_config_selectorIllEEZNS1_34radix_sort_onesweep_global_offsetsIS3_Lb0EPlN6thrust23THRUST_200600_302600_NS10device_ptrIlEEjNS0_19identity_decomposerEEE10hipError_tT1_T2_PT3_SG_jT4_jjP12ihipStream_tbEUlT_E_NS1_11comp_targetILNS1_3genE3ELNS1_11target_archE908ELNS1_3gpuE7ELNS1_3repE0EEENS1_52radix_sort_onesweep_histogram_config_static_selectorELNS0_4arch9wavefront6targetE1EEEvSE_,comdat
	.protected	_ZN7rocprim17ROCPRIM_400000_NS6detail17trampoline_kernelINS0_14default_configENS1_35radix_sort_onesweep_config_selectorIllEEZNS1_34radix_sort_onesweep_global_offsetsIS3_Lb0EPlN6thrust23THRUST_200600_302600_NS10device_ptrIlEEjNS0_19identity_decomposerEEE10hipError_tT1_T2_PT3_SG_jT4_jjP12ihipStream_tbEUlT_E_NS1_11comp_targetILNS1_3genE3ELNS1_11target_archE908ELNS1_3gpuE7ELNS1_3repE0EEENS1_52radix_sort_onesweep_histogram_config_static_selectorELNS0_4arch9wavefront6targetE1EEEvSE_ ; -- Begin function _ZN7rocprim17ROCPRIM_400000_NS6detail17trampoline_kernelINS0_14default_configENS1_35radix_sort_onesweep_config_selectorIllEEZNS1_34radix_sort_onesweep_global_offsetsIS3_Lb0EPlN6thrust23THRUST_200600_302600_NS10device_ptrIlEEjNS0_19identity_decomposerEEE10hipError_tT1_T2_PT3_SG_jT4_jjP12ihipStream_tbEUlT_E_NS1_11comp_targetILNS1_3genE3ELNS1_11target_archE908ELNS1_3gpuE7ELNS1_3repE0EEENS1_52radix_sort_onesweep_histogram_config_static_selectorELNS0_4arch9wavefront6targetE1EEEvSE_
	.globl	_ZN7rocprim17ROCPRIM_400000_NS6detail17trampoline_kernelINS0_14default_configENS1_35radix_sort_onesweep_config_selectorIllEEZNS1_34radix_sort_onesweep_global_offsetsIS3_Lb0EPlN6thrust23THRUST_200600_302600_NS10device_ptrIlEEjNS0_19identity_decomposerEEE10hipError_tT1_T2_PT3_SG_jT4_jjP12ihipStream_tbEUlT_E_NS1_11comp_targetILNS1_3genE3ELNS1_11target_archE908ELNS1_3gpuE7ELNS1_3repE0EEENS1_52radix_sort_onesweep_histogram_config_static_selectorELNS0_4arch9wavefront6targetE1EEEvSE_
	.p2align	8
	.type	_ZN7rocprim17ROCPRIM_400000_NS6detail17trampoline_kernelINS0_14default_configENS1_35radix_sort_onesweep_config_selectorIllEEZNS1_34radix_sort_onesweep_global_offsetsIS3_Lb0EPlN6thrust23THRUST_200600_302600_NS10device_ptrIlEEjNS0_19identity_decomposerEEE10hipError_tT1_T2_PT3_SG_jT4_jjP12ihipStream_tbEUlT_E_NS1_11comp_targetILNS1_3genE3ELNS1_11target_archE908ELNS1_3gpuE7ELNS1_3repE0EEENS1_52radix_sort_onesweep_histogram_config_static_selectorELNS0_4arch9wavefront6targetE1EEEvSE_,@function
_ZN7rocprim17ROCPRIM_400000_NS6detail17trampoline_kernelINS0_14default_configENS1_35radix_sort_onesweep_config_selectorIllEEZNS1_34radix_sort_onesweep_global_offsetsIS3_Lb0EPlN6thrust23THRUST_200600_302600_NS10device_ptrIlEEjNS0_19identity_decomposerEEE10hipError_tT1_T2_PT3_SG_jT4_jjP12ihipStream_tbEUlT_E_NS1_11comp_targetILNS1_3genE3ELNS1_11target_archE908ELNS1_3gpuE7ELNS1_3repE0EEENS1_52radix_sort_onesweep_histogram_config_static_selectorELNS0_4arch9wavefront6targetE1EEEvSE_: ; @_ZN7rocprim17ROCPRIM_400000_NS6detail17trampoline_kernelINS0_14default_configENS1_35radix_sort_onesweep_config_selectorIllEEZNS1_34radix_sort_onesweep_global_offsetsIS3_Lb0EPlN6thrust23THRUST_200600_302600_NS10device_ptrIlEEjNS0_19identity_decomposerEEE10hipError_tT1_T2_PT3_SG_jT4_jjP12ihipStream_tbEUlT_E_NS1_11comp_targetILNS1_3genE3ELNS1_11target_archE908ELNS1_3gpuE7ELNS1_3repE0EEENS1_52radix_sort_onesweep_histogram_config_static_selectorELNS0_4arch9wavefront6targetE1EEEvSE_
; %bb.0:
	.section	.rodata,"a",@progbits
	.p2align	6, 0x0
	.amdhsa_kernel _ZN7rocprim17ROCPRIM_400000_NS6detail17trampoline_kernelINS0_14default_configENS1_35radix_sort_onesweep_config_selectorIllEEZNS1_34radix_sort_onesweep_global_offsetsIS3_Lb0EPlN6thrust23THRUST_200600_302600_NS10device_ptrIlEEjNS0_19identity_decomposerEEE10hipError_tT1_T2_PT3_SG_jT4_jjP12ihipStream_tbEUlT_E_NS1_11comp_targetILNS1_3genE3ELNS1_11target_archE908ELNS1_3gpuE7ELNS1_3repE0EEENS1_52radix_sort_onesweep_histogram_config_static_selectorELNS0_4arch9wavefront6targetE1EEEvSE_
		.amdhsa_group_segment_fixed_size 0
		.amdhsa_private_segment_fixed_size 0
		.amdhsa_kernarg_size 40
		.amdhsa_user_sgpr_count 6
		.amdhsa_user_sgpr_private_segment_buffer 1
		.amdhsa_user_sgpr_dispatch_ptr 0
		.amdhsa_user_sgpr_queue_ptr 0
		.amdhsa_user_sgpr_kernarg_segment_ptr 1
		.amdhsa_user_sgpr_dispatch_id 0
		.amdhsa_user_sgpr_flat_scratch_init 0
		.amdhsa_user_sgpr_kernarg_preload_length 0
		.amdhsa_user_sgpr_kernarg_preload_offset 0
		.amdhsa_user_sgpr_private_segment_size 0
		.amdhsa_uses_dynamic_stack 0
		.amdhsa_system_sgpr_private_segment_wavefront_offset 0
		.amdhsa_system_sgpr_workgroup_id_x 1
		.amdhsa_system_sgpr_workgroup_id_y 0
		.amdhsa_system_sgpr_workgroup_id_z 0
		.amdhsa_system_sgpr_workgroup_info 0
		.amdhsa_system_vgpr_workitem_id 0
		.amdhsa_next_free_vgpr 1
		.amdhsa_next_free_sgpr 0
		.amdhsa_accum_offset 4
		.amdhsa_reserve_vcc 0
		.amdhsa_reserve_flat_scratch 0
		.amdhsa_float_round_mode_32 0
		.amdhsa_float_round_mode_16_64 0
		.amdhsa_float_denorm_mode_32 3
		.amdhsa_float_denorm_mode_16_64 3
		.amdhsa_dx10_clamp 1
		.amdhsa_ieee_mode 1
		.amdhsa_fp16_overflow 0
		.amdhsa_tg_split 0
		.amdhsa_exception_fp_ieee_invalid_op 0
		.amdhsa_exception_fp_denorm_src 0
		.amdhsa_exception_fp_ieee_div_zero 0
		.amdhsa_exception_fp_ieee_overflow 0
		.amdhsa_exception_fp_ieee_underflow 0
		.amdhsa_exception_fp_ieee_inexact 0
		.amdhsa_exception_int_div_zero 0
	.end_amdhsa_kernel
	.section	.text._ZN7rocprim17ROCPRIM_400000_NS6detail17trampoline_kernelINS0_14default_configENS1_35radix_sort_onesweep_config_selectorIllEEZNS1_34radix_sort_onesweep_global_offsetsIS3_Lb0EPlN6thrust23THRUST_200600_302600_NS10device_ptrIlEEjNS0_19identity_decomposerEEE10hipError_tT1_T2_PT3_SG_jT4_jjP12ihipStream_tbEUlT_E_NS1_11comp_targetILNS1_3genE3ELNS1_11target_archE908ELNS1_3gpuE7ELNS1_3repE0EEENS1_52radix_sort_onesweep_histogram_config_static_selectorELNS0_4arch9wavefront6targetE1EEEvSE_,"axG",@progbits,_ZN7rocprim17ROCPRIM_400000_NS6detail17trampoline_kernelINS0_14default_configENS1_35radix_sort_onesweep_config_selectorIllEEZNS1_34radix_sort_onesweep_global_offsetsIS3_Lb0EPlN6thrust23THRUST_200600_302600_NS10device_ptrIlEEjNS0_19identity_decomposerEEE10hipError_tT1_T2_PT3_SG_jT4_jjP12ihipStream_tbEUlT_E_NS1_11comp_targetILNS1_3genE3ELNS1_11target_archE908ELNS1_3gpuE7ELNS1_3repE0EEENS1_52radix_sort_onesweep_histogram_config_static_selectorELNS0_4arch9wavefront6targetE1EEEvSE_,comdat
.Lfunc_end1119:
	.size	_ZN7rocprim17ROCPRIM_400000_NS6detail17trampoline_kernelINS0_14default_configENS1_35radix_sort_onesweep_config_selectorIllEEZNS1_34radix_sort_onesweep_global_offsetsIS3_Lb0EPlN6thrust23THRUST_200600_302600_NS10device_ptrIlEEjNS0_19identity_decomposerEEE10hipError_tT1_T2_PT3_SG_jT4_jjP12ihipStream_tbEUlT_E_NS1_11comp_targetILNS1_3genE3ELNS1_11target_archE908ELNS1_3gpuE7ELNS1_3repE0EEENS1_52radix_sort_onesweep_histogram_config_static_selectorELNS0_4arch9wavefront6targetE1EEEvSE_, .Lfunc_end1119-_ZN7rocprim17ROCPRIM_400000_NS6detail17trampoline_kernelINS0_14default_configENS1_35radix_sort_onesweep_config_selectorIllEEZNS1_34radix_sort_onesweep_global_offsetsIS3_Lb0EPlN6thrust23THRUST_200600_302600_NS10device_ptrIlEEjNS0_19identity_decomposerEEE10hipError_tT1_T2_PT3_SG_jT4_jjP12ihipStream_tbEUlT_E_NS1_11comp_targetILNS1_3genE3ELNS1_11target_archE908ELNS1_3gpuE7ELNS1_3repE0EEENS1_52radix_sort_onesweep_histogram_config_static_selectorELNS0_4arch9wavefront6targetE1EEEvSE_
                                        ; -- End function
	.section	.AMDGPU.csdata,"",@progbits
; Kernel info:
; codeLenInByte = 0
; NumSgprs: 4
; NumVgprs: 0
; NumAgprs: 0
; TotalNumVgprs: 0
; ScratchSize: 0
; MemoryBound: 0
; FloatMode: 240
; IeeeMode: 1
; LDSByteSize: 0 bytes/workgroup (compile time only)
; SGPRBlocks: 0
; VGPRBlocks: 0
; NumSGPRsForWavesPerEU: 4
; NumVGPRsForWavesPerEU: 1
; AccumOffset: 4
; Occupancy: 8
; WaveLimiterHint : 0
; COMPUTE_PGM_RSRC2:SCRATCH_EN: 0
; COMPUTE_PGM_RSRC2:USER_SGPR: 6
; COMPUTE_PGM_RSRC2:TRAP_HANDLER: 0
; COMPUTE_PGM_RSRC2:TGID_X_EN: 1
; COMPUTE_PGM_RSRC2:TGID_Y_EN: 0
; COMPUTE_PGM_RSRC2:TGID_Z_EN: 0
; COMPUTE_PGM_RSRC2:TIDIG_COMP_CNT: 0
; COMPUTE_PGM_RSRC3_GFX90A:ACCUM_OFFSET: 0
; COMPUTE_PGM_RSRC3_GFX90A:TG_SPLIT: 0
	.section	.text._ZN7rocprim17ROCPRIM_400000_NS6detail17trampoline_kernelINS0_14default_configENS1_35radix_sort_onesweep_config_selectorIllEEZNS1_34radix_sort_onesweep_global_offsetsIS3_Lb0EPlN6thrust23THRUST_200600_302600_NS10device_ptrIlEEjNS0_19identity_decomposerEEE10hipError_tT1_T2_PT3_SG_jT4_jjP12ihipStream_tbEUlT_E_NS1_11comp_targetILNS1_3genE10ELNS1_11target_archE1201ELNS1_3gpuE5ELNS1_3repE0EEENS1_52radix_sort_onesweep_histogram_config_static_selectorELNS0_4arch9wavefront6targetE1EEEvSE_,"axG",@progbits,_ZN7rocprim17ROCPRIM_400000_NS6detail17trampoline_kernelINS0_14default_configENS1_35radix_sort_onesweep_config_selectorIllEEZNS1_34radix_sort_onesweep_global_offsetsIS3_Lb0EPlN6thrust23THRUST_200600_302600_NS10device_ptrIlEEjNS0_19identity_decomposerEEE10hipError_tT1_T2_PT3_SG_jT4_jjP12ihipStream_tbEUlT_E_NS1_11comp_targetILNS1_3genE10ELNS1_11target_archE1201ELNS1_3gpuE5ELNS1_3repE0EEENS1_52radix_sort_onesweep_histogram_config_static_selectorELNS0_4arch9wavefront6targetE1EEEvSE_,comdat
	.protected	_ZN7rocprim17ROCPRIM_400000_NS6detail17trampoline_kernelINS0_14default_configENS1_35radix_sort_onesweep_config_selectorIllEEZNS1_34radix_sort_onesweep_global_offsetsIS3_Lb0EPlN6thrust23THRUST_200600_302600_NS10device_ptrIlEEjNS0_19identity_decomposerEEE10hipError_tT1_T2_PT3_SG_jT4_jjP12ihipStream_tbEUlT_E_NS1_11comp_targetILNS1_3genE10ELNS1_11target_archE1201ELNS1_3gpuE5ELNS1_3repE0EEENS1_52radix_sort_onesweep_histogram_config_static_selectorELNS0_4arch9wavefront6targetE1EEEvSE_ ; -- Begin function _ZN7rocprim17ROCPRIM_400000_NS6detail17trampoline_kernelINS0_14default_configENS1_35radix_sort_onesweep_config_selectorIllEEZNS1_34radix_sort_onesweep_global_offsetsIS3_Lb0EPlN6thrust23THRUST_200600_302600_NS10device_ptrIlEEjNS0_19identity_decomposerEEE10hipError_tT1_T2_PT3_SG_jT4_jjP12ihipStream_tbEUlT_E_NS1_11comp_targetILNS1_3genE10ELNS1_11target_archE1201ELNS1_3gpuE5ELNS1_3repE0EEENS1_52radix_sort_onesweep_histogram_config_static_selectorELNS0_4arch9wavefront6targetE1EEEvSE_
	.globl	_ZN7rocprim17ROCPRIM_400000_NS6detail17trampoline_kernelINS0_14default_configENS1_35radix_sort_onesweep_config_selectorIllEEZNS1_34radix_sort_onesweep_global_offsetsIS3_Lb0EPlN6thrust23THRUST_200600_302600_NS10device_ptrIlEEjNS0_19identity_decomposerEEE10hipError_tT1_T2_PT3_SG_jT4_jjP12ihipStream_tbEUlT_E_NS1_11comp_targetILNS1_3genE10ELNS1_11target_archE1201ELNS1_3gpuE5ELNS1_3repE0EEENS1_52radix_sort_onesweep_histogram_config_static_selectorELNS0_4arch9wavefront6targetE1EEEvSE_
	.p2align	8
	.type	_ZN7rocprim17ROCPRIM_400000_NS6detail17trampoline_kernelINS0_14default_configENS1_35radix_sort_onesweep_config_selectorIllEEZNS1_34radix_sort_onesweep_global_offsetsIS3_Lb0EPlN6thrust23THRUST_200600_302600_NS10device_ptrIlEEjNS0_19identity_decomposerEEE10hipError_tT1_T2_PT3_SG_jT4_jjP12ihipStream_tbEUlT_E_NS1_11comp_targetILNS1_3genE10ELNS1_11target_archE1201ELNS1_3gpuE5ELNS1_3repE0EEENS1_52radix_sort_onesweep_histogram_config_static_selectorELNS0_4arch9wavefront6targetE1EEEvSE_,@function
_ZN7rocprim17ROCPRIM_400000_NS6detail17trampoline_kernelINS0_14default_configENS1_35radix_sort_onesweep_config_selectorIllEEZNS1_34radix_sort_onesweep_global_offsetsIS3_Lb0EPlN6thrust23THRUST_200600_302600_NS10device_ptrIlEEjNS0_19identity_decomposerEEE10hipError_tT1_T2_PT3_SG_jT4_jjP12ihipStream_tbEUlT_E_NS1_11comp_targetILNS1_3genE10ELNS1_11target_archE1201ELNS1_3gpuE5ELNS1_3repE0EEENS1_52radix_sort_onesweep_histogram_config_static_selectorELNS0_4arch9wavefront6targetE1EEEvSE_: ; @_ZN7rocprim17ROCPRIM_400000_NS6detail17trampoline_kernelINS0_14default_configENS1_35radix_sort_onesweep_config_selectorIllEEZNS1_34radix_sort_onesweep_global_offsetsIS3_Lb0EPlN6thrust23THRUST_200600_302600_NS10device_ptrIlEEjNS0_19identity_decomposerEEE10hipError_tT1_T2_PT3_SG_jT4_jjP12ihipStream_tbEUlT_E_NS1_11comp_targetILNS1_3genE10ELNS1_11target_archE1201ELNS1_3gpuE5ELNS1_3repE0EEENS1_52radix_sort_onesweep_histogram_config_static_selectorELNS0_4arch9wavefront6targetE1EEEvSE_
; %bb.0:
	.section	.rodata,"a",@progbits
	.p2align	6, 0x0
	.amdhsa_kernel _ZN7rocprim17ROCPRIM_400000_NS6detail17trampoline_kernelINS0_14default_configENS1_35radix_sort_onesweep_config_selectorIllEEZNS1_34radix_sort_onesweep_global_offsetsIS3_Lb0EPlN6thrust23THRUST_200600_302600_NS10device_ptrIlEEjNS0_19identity_decomposerEEE10hipError_tT1_T2_PT3_SG_jT4_jjP12ihipStream_tbEUlT_E_NS1_11comp_targetILNS1_3genE10ELNS1_11target_archE1201ELNS1_3gpuE5ELNS1_3repE0EEENS1_52radix_sort_onesweep_histogram_config_static_selectorELNS0_4arch9wavefront6targetE1EEEvSE_
		.amdhsa_group_segment_fixed_size 0
		.amdhsa_private_segment_fixed_size 0
		.amdhsa_kernarg_size 40
		.amdhsa_user_sgpr_count 6
		.amdhsa_user_sgpr_private_segment_buffer 1
		.amdhsa_user_sgpr_dispatch_ptr 0
		.amdhsa_user_sgpr_queue_ptr 0
		.amdhsa_user_sgpr_kernarg_segment_ptr 1
		.amdhsa_user_sgpr_dispatch_id 0
		.amdhsa_user_sgpr_flat_scratch_init 0
		.amdhsa_user_sgpr_kernarg_preload_length 0
		.amdhsa_user_sgpr_kernarg_preload_offset 0
		.amdhsa_user_sgpr_private_segment_size 0
		.amdhsa_uses_dynamic_stack 0
		.amdhsa_system_sgpr_private_segment_wavefront_offset 0
		.amdhsa_system_sgpr_workgroup_id_x 1
		.amdhsa_system_sgpr_workgroup_id_y 0
		.amdhsa_system_sgpr_workgroup_id_z 0
		.amdhsa_system_sgpr_workgroup_info 0
		.amdhsa_system_vgpr_workitem_id 0
		.amdhsa_next_free_vgpr 1
		.amdhsa_next_free_sgpr 0
		.amdhsa_accum_offset 4
		.amdhsa_reserve_vcc 0
		.amdhsa_reserve_flat_scratch 0
		.amdhsa_float_round_mode_32 0
		.amdhsa_float_round_mode_16_64 0
		.amdhsa_float_denorm_mode_32 3
		.amdhsa_float_denorm_mode_16_64 3
		.amdhsa_dx10_clamp 1
		.amdhsa_ieee_mode 1
		.amdhsa_fp16_overflow 0
		.amdhsa_tg_split 0
		.amdhsa_exception_fp_ieee_invalid_op 0
		.amdhsa_exception_fp_denorm_src 0
		.amdhsa_exception_fp_ieee_div_zero 0
		.amdhsa_exception_fp_ieee_overflow 0
		.amdhsa_exception_fp_ieee_underflow 0
		.amdhsa_exception_fp_ieee_inexact 0
		.amdhsa_exception_int_div_zero 0
	.end_amdhsa_kernel
	.section	.text._ZN7rocprim17ROCPRIM_400000_NS6detail17trampoline_kernelINS0_14default_configENS1_35radix_sort_onesweep_config_selectorIllEEZNS1_34radix_sort_onesweep_global_offsetsIS3_Lb0EPlN6thrust23THRUST_200600_302600_NS10device_ptrIlEEjNS0_19identity_decomposerEEE10hipError_tT1_T2_PT3_SG_jT4_jjP12ihipStream_tbEUlT_E_NS1_11comp_targetILNS1_3genE10ELNS1_11target_archE1201ELNS1_3gpuE5ELNS1_3repE0EEENS1_52radix_sort_onesweep_histogram_config_static_selectorELNS0_4arch9wavefront6targetE1EEEvSE_,"axG",@progbits,_ZN7rocprim17ROCPRIM_400000_NS6detail17trampoline_kernelINS0_14default_configENS1_35radix_sort_onesweep_config_selectorIllEEZNS1_34radix_sort_onesweep_global_offsetsIS3_Lb0EPlN6thrust23THRUST_200600_302600_NS10device_ptrIlEEjNS0_19identity_decomposerEEE10hipError_tT1_T2_PT3_SG_jT4_jjP12ihipStream_tbEUlT_E_NS1_11comp_targetILNS1_3genE10ELNS1_11target_archE1201ELNS1_3gpuE5ELNS1_3repE0EEENS1_52radix_sort_onesweep_histogram_config_static_selectorELNS0_4arch9wavefront6targetE1EEEvSE_,comdat
.Lfunc_end1120:
	.size	_ZN7rocprim17ROCPRIM_400000_NS6detail17trampoline_kernelINS0_14default_configENS1_35radix_sort_onesweep_config_selectorIllEEZNS1_34radix_sort_onesweep_global_offsetsIS3_Lb0EPlN6thrust23THRUST_200600_302600_NS10device_ptrIlEEjNS0_19identity_decomposerEEE10hipError_tT1_T2_PT3_SG_jT4_jjP12ihipStream_tbEUlT_E_NS1_11comp_targetILNS1_3genE10ELNS1_11target_archE1201ELNS1_3gpuE5ELNS1_3repE0EEENS1_52radix_sort_onesweep_histogram_config_static_selectorELNS0_4arch9wavefront6targetE1EEEvSE_, .Lfunc_end1120-_ZN7rocprim17ROCPRIM_400000_NS6detail17trampoline_kernelINS0_14default_configENS1_35radix_sort_onesweep_config_selectorIllEEZNS1_34radix_sort_onesweep_global_offsetsIS3_Lb0EPlN6thrust23THRUST_200600_302600_NS10device_ptrIlEEjNS0_19identity_decomposerEEE10hipError_tT1_T2_PT3_SG_jT4_jjP12ihipStream_tbEUlT_E_NS1_11comp_targetILNS1_3genE10ELNS1_11target_archE1201ELNS1_3gpuE5ELNS1_3repE0EEENS1_52radix_sort_onesweep_histogram_config_static_selectorELNS0_4arch9wavefront6targetE1EEEvSE_
                                        ; -- End function
	.section	.AMDGPU.csdata,"",@progbits
; Kernel info:
; codeLenInByte = 0
; NumSgprs: 4
; NumVgprs: 0
; NumAgprs: 0
; TotalNumVgprs: 0
; ScratchSize: 0
; MemoryBound: 0
; FloatMode: 240
; IeeeMode: 1
; LDSByteSize: 0 bytes/workgroup (compile time only)
; SGPRBlocks: 0
; VGPRBlocks: 0
; NumSGPRsForWavesPerEU: 4
; NumVGPRsForWavesPerEU: 1
; AccumOffset: 4
; Occupancy: 8
; WaveLimiterHint : 0
; COMPUTE_PGM_RSRC2:SCRATCH_EN: 0
; COMPUTE_PGM_RSRC2:USER_SGPR: 6
; COMPUTE_PGM_RSRC2:TRAP_HANDLER: 0
; COMPUTE_PGM_RSRC2:TGID_X_EN: 1
; COMPUTE_PGM_RSRC2:TGID_Y_EN: 0
; COMPUTE_PGM_RSRC2:TGID_Z_EN: 0
; COMPUTE_PGM_RSRC2:TIDIG_COMP_CNT: 0
; COMPUTE_PGM_RSRC3_GFX90A:ACCUM_OFFSET: 0
; COMPUTE_PGM_RSRC3_GFX90A:TG_SPLIT: 0
	.section	.text._ZN7rocprim17ROCPRIM_400000_NS6detail17trampoline_kernelINS0_14default_configENS1_35radix_sort_onesweep_config_selectorIllEEZNS1_34radix_sort_onesweep_global_offsetsIS3_Lb0EPlN6thrust23THRUST_200600_302600_NS10device_ptrIlEEjNS0_19identity_decomposerEEE10hipError_tT1_T2_PT3_SG_jT4_jjP12ihipStream_tbEUlT_E_NS1_11comp_targetILNS1_3genE9ELNS1_11target_archE1100ELNS1_3gpuE3ELNS1_3repE0EEENS1_52radix_sort_onesweep_histogram_config_static_selectorELNS0_4arch9wavefront6targetE1EEEvSE_,"axG",@progbits,_ZN7rocprim17ROCPRIM_400000_NS6detail17trampoline_kernelINS0_14default_configENS1_35radix_sort_onesweep_config_selectorIllEEZNS1_34radix_sort_onesweep_global_offsetsIS3_Lb0EPlN6thrust23THRUST_200600_302600_NS10device_ptrIlEEjNS0_19identity_decomposerEEE10hipError_tT1_T2_PT3_SG_jT4_jjP12ihipStream_tbEUlT_E_NS1_11comp_targetILNS1_3genE9ELNS1_11target_archE1100ELNS1_3gpuE3ELNS1_3repE0EEENS1_52radix_sort_onesweep_histogram_config_static_selectorELNS0_4arch9wavefront6targetE1EEEvSE_,comdat
	.protected	_ZN7rocprim17ROCPRIM_400000_NS6detail17trampoline_kernelINS0_14default_configENS1_35radix_sort_onesweep_config_selectorIllEEZNS1_34radix_sort_onesweep_global_offsetsIS3_Lb0EPlN6thrust23THRUST_200600_302600_NS10device_ptrIlEEjNS0_19identity_decomposerEEE10hipError_tT1_T2_PT3_SG_jT4_jjP12ihipStream_tbEUlT_E_NS1_11comp_targetILNS1_3genE9ELNS1_11target_archE1100ELNS1_3gpuE3ELNS1_3repE0EEENS1_52radix_sort_onesweep_histogram_config_static_selectorELNS0_4arch9wavefront6targetE1EEEvSE_ ; -- Begin function _ZN7rocprim17ROCPRIM_400000_NS6detail17trampoline_kernelINS0_14default_configENS1_35radix_sort_onesweep_config_selectorIllEEZNS1_34radix_sort_onesweep_global_offsetsIS3_Lb0EPlN6thrust23THRUST_200600_302600_NS10device_ptrIlEEjNS0_19identity_decomposerEEE10hipError_tT1_T2_PT3_SG_jT4_jjP12ihipStream_tbEUlT_E_NS1_11comp_targetILNS1_3genE9ELNS1_11target_archE1100ELNS1_3gpuE3ELNS1_3repE0EEENS1_52radix_sort_onesweep_histogram_config_static_selectorELNS0_4arch9wavefront6targetE1EEEvSE_
	.globl	_ZN7rocprim17ROCPRIM_400000_NS6detail17trampoline_kernelINS0_14default_configENS1_35radix_sort_onesweep_config_selectorIllEEZNS1_34radix_sort_onesweep_global_offsetsIS3_Lb0EPlN6thrust23THRUST_200600_302600_NS10device_ptrIlEEjNS0_19identity_decomposerEEE10hipError_tT1_T2_PT3_SG_jT4_jjP12ihipStream_tbEUlT_E_NS1_11comp_targetILNS1_3genE9ELNS1_11target_archE1100ELNS1_3gpuE3ELNS1_3repE0EEENS1_52radix_sort_onesweep_histogram_config_static_selectorELNS0_4arch9wavefront6targetE1EEEvSE_
	.p2align	8
	.type	_ZN7rocprim17ROCPRIM_400000_NS6detail17trampoline_kernelINS0_14default_configENS1_35radix_sort_onesweep_config_selectorIllEEZNS1_34radix_sort_onesweep_global_offsetsIS3_Lb0EPlN6thrust23THRUST_200600_302600_NS10device_ptrIlEEjNS0_19identity_decomposerEEE10hipError_tT1_T2_PT3_SG_jT4_jjP12ihipStream_tbEUlT_E_NS1_11comp_targetILNS1_3genE9ELNS1_11target_archE1100ELNS1_3gpuE3ELNS1_3repE0EEENS1_52radix_sort_onesweep_histogram_config_static_selectorELNS0_4arch9wavefront6targetE1EEEvSE_,@function
_ZN7rocprim17ROCPRIM_400000_NS6detail17trampoline_kernelINS0_14default_configENS1_35radix_sort_onesweep_config_selectorIllEEZNS1_34radix_sort_onesweep_global_offsetsIS3_Lb0EPlN6thrust23THRUST_200600_302600_NS10device_ptrIlEEjNS0_19identity_decomposerEEE10hipError_tT1_T2_PT3_SG_jT4_jjP12ihipStream_tbEUlT_E_NS1_11comp_targetILNS1_3genE9ELNS1_11target_archE1100ELNS1_3gpuE3ELNS1_3repE0EEENS1_52radix_sort_onesweep_histogram_config_static_selectorELNS0_4arch9wavefront6targetE1EEEvSE_: ; @_ZN7rocprim17ROCPRIM_400000_NS6detail17trampoline_kernelINS0_14default_configENS1_35radix_sort_onesweep_config_selectorIllEEZNS1_34radix_sort_onesweep_global_offsetsIS3_Lb0EPlN6thrust23THRUST_200600_302600_NS10device_ptrIlEEjNS0_19identity_decomposerEEE10hipError_tT1_T2_PT3_SG_jT4_jjP12ihipStream_tbEUlT_E_NS1_11comp_targetILNS1_3genE9ELNS1_11target_archE1100ELNS1_3gpuE3ELNS1_3repE0EEENS1_52radix_sort_onesweep_histogram_config_static_selectorELNS0_4arch9wavefront6targetE1EEEvSE_
; %bb.0:
	.section	.rodata,"a",@progbits
	.p2align	6, 0x0
	.amdhsa_kernel _ZN7rocprim17ROCPRIM_400000_NS6detail17trampoline_kernelINS0_14default_configENS1_35radix_sort_onesweep_config_selectorIllEEZNS1_34radix_sort_onesweep_global_offsetsIS3_Lb0EPlN6thrust23THRUST_200600_302600_NS10device_ptrIlEEjNS0_19identity_decomposerEEE10hipError_tT1_T2_PT3_SG_jT4_jjP12ihipStream_tbEUlT_E_NS1_11comp_targetILNS1_3genE9ELNS1_11target_archE1100ELNS1_3gpuE3ELNS1_3repE0EEENS1_52radix_sort_onesweep_histogram_config_static_selectorELNS0_4arch9wavefront6targetE1EEEvSE_
		.amdhsa_group_segment_fixed_size 0
		.amdhsa_private_segment_fixed_size 0
		.amdhsa_kernarg_size 40
		.amdhsa_user_sgpr_count 6
		.amdhsa_user_sgpr_private_segment_buffer 1
		.amdhsa_user_sgpr_dispatch_ptr 0
		.amdhsa_user_sgpr_queue_ptr 0
		.amdhsa_user_sgpr_kernarg_segment_ptr 1
		.amdhsa_user_sgpr_dispatch_id 0
		.amdhsa_user_sgpr_flat_scratch_init 0
		.amdhsa_user_sgpr_kernarg_preload_length 0
		.amdhsa_user_sgpr_kernarg_preload_offset 0
		.amdhsa_user_sgpr_private_segment_size 0
		.amdhsa_uses_dynamic_stack 0
		.amdhsa_system_sgpr_private_segment_wavefront_offset 0
		.amdhsa_system_sgpr_workgroup_id_x 1
		.amdhsa_system_sgpr_workgroup_id_y 0
		.amdhsa_system_sgpr_workgroup_id_z 0
		.amdhsa_system_sgpr_workgroup_info 0
		.amdhsa_system_vgpr_workitem_id 0
		.amdhsa_next_free_vgpr 1
		.amdhsa_next_free_sgpr 0
		.amdhsa_accum_offset 4
		.amdhsa_reserve_vcc 0
		.amdhsa_reserve_flat_scratch 0
		.amdhsa_float_round_mode_32 0
		.amdhsa_float_round_mode_16_64 0
		.amdhsa_float_denorm_mode_32 3
		.amdhsa_float_denorm_mode_16_64 3
		.amdhsa_dx10_clamp 1
		.amdhsa_ieee_mode 1
		.amdhsa_fp16_overflow 0
		.amdhsa_tg_split 0
		.amdhsa_exception_fp_ieee_invalid_op 0
		.amdhsa_exception_fp_denorm_src 0
		.amdhsa_exception_fp_ieee_div_zero 0
		.amdhsa_exception_fp_ieee_overflow 0
		.amdhsa_exception_fp_ieee_underflow 0
		.amdhsa_exception_fp_ieee_inexact 0
		.amdhsa_exception_int_div_zero 0
	.end_amdhsa_kernel
	.section	.text._ZN7rocprim17ROCPRIM_400000_NS6detail17trampoline_kernelINS0_14default_configENS1_35radix_sort_onesweep_config_selectorIllEEZNS1_34radix_sort_onesweep_global_offsetsIS3_Lb0EPlN6thrust23THRUST_200600_302600_NS10device_ptrIlEEjNS0_19identity_decomposerEEE10hipError_tT1_T2_PT3_SG_jT4_jjP12ihipStream_tbEUlT_E_NS1_11comp_targetILNS1_3genE9ELNS1_11target_archE1100ELNS1_3gpuE3ELNS1_3repE0EEENS1_52radix_sort_onesweep_histogram_config_static_selectorELNS0_4arch9wavefront6targetE1EEEvSE_,"axG",@progbits,_ZN7rocprim17ROCPRIM_400000_NS6detail17trampoline_kernelINS0_14default_configENS1_35radix_sort_onesweep_config_selectorIllEEZNS1_34radix_sort_onesweep_global_offsetsIS3_Lb0EPlN6thrust23THRUST_200600_302600_NS10device_ptrIlEEjNS0_19identity_decomposerEEE10hipError_tT1_T2_PT3_SG_jT4_jjP12ihipStream_tbEUlT_E_NS1_11comp_targetILNS1_3genE9ELNS1_11target_archE1100ELNS1_3gpuE3ELNS1_3repE0EEENS1_52radix_sort_onesweep_histogram_config_static_selectorELNS0_4arch9wavefront6targetE1EEEvSE_,comdat
.Lfunc_end1121:
	.size	_ZN7rocprim17ROCPRIM_400000_NS6detail17trampoline_kernelINS0_14default_configENS1_35radix_sort_onesweep_config_selectorIllEEZNS1_34radix_sort_onesweep_global_offsetsIS3_Lb0EPlN6thrust23THRUST_200600_302600_NS10device_ptrIlEEjNS0_19identity_decomposerEEE10hipError_tT1_T2_PT3_SG_jT4_jjP12ihipStream_tbEUlT_E_NS1_11comp_targetILNS1_3genE9ELNS1_11target_archE1100ELNS1_3gpuE3ELNS1_3repE0EEENS1_52radix_sort_onesweep_histogram_config_static_selectorELNS0_4arch9wavefront6targetE1EEEvSE_, .Lfunc_end1121-_ZN7rocprim17ROCPRIM_400000_NS6detail17trampoline_kernelINS0_14default_configENS1_35radix_sort_onesweep_config_selectorIllEEZNS1_34radix_sort_onesweep_global_offsetsIS3_Lb0EPlN6thrust23THRUST_200600_302600_NS10device_ptrIlEEjNS0_19identity_decomposerEEE10hipError_tT1_T2_PT3_SG_jT4_jjP12ihipStream_tbEUlT_E_NS1_11comp_targetILNS1_3genE9ELNS1_11target_archE1100ELNS1_3gpuE3ELNS1_3repE0EEENS1_52radix_sort_onesweep_histogram_config_static_selectorELNS0_4arch9wavefront6targetE1EEEvSE_
                                        ; -- End function
	.section	.AMDGPU.csdata,"",@progbits
; Kernel info:
; codeLenInByte = 0
; NumSgprs: 4
; NumVgprs: 0
; NumAgprs: 0
; TotalNumVgprs: 0
; ScratchSize: 0
; MemoryBound: 0
; FloatMode: 240
; IeeeMode: 1
; LDSByteSize: 0 bytes/workgroup (compile time only)
; SGPRBlocks: 0
; VGPRBlocks: 0
; NumSGPRsForWavesPerEU: 4
; NumVGPRsForWavesPerEU: 1
; AccumOffset: 4
; Occupancy: 8
; WaveLimiterHint : 0
; COMPUTE_PGM_RSRC2:SCRATCH_EN: 0
; COMPUTE_PGM_RSRC2:USER_SGPR: 6
; COMPUTE_PGM_RSRC2:TRAP_HANDLER: 0
; COMPUTE_PGM_RSRC2:TGID_X_EN: 1
; COMPUTE_PGM_RSRC2:TGID_Y_EN: 0
; COMPUTE_PGM_RSRC2:TGID_Z_EN: 0
; COMPUTE_PGM_RSRC2:TIDIG_COMP_CNT: 0
; COMPUTE_PGM_RSRC3_GFX90A:ACCUM_OFFSET: 0
; COMPUTE_PGM_RSRC3_GFX90A:TG_SPLIT: 0
	.section	.text._ZN7rocprim17ROCPRIM_400000_NS6detail17trampoline_kernelINS0_14default_configENS1_35radix_sort_onesweep_config_selectorIllEEZNS1_34radix_sort_onesweep_global_offsetsIS3_Lb0EPlN6thrust23THRUST_200600_302600_NS10device_ptrIlEEjNS0_19identity_decomposerEEE10hipError_tT1_T2_PT3_SG_jT4_jjP12ihipStream_tbEUlT_E_NS1_11comp_targetILNS1_3genE8ELNS1_11target_archE1030ELNS1_3gpuE2ELNS1_3repE0EEENS1_52radix_sort_onesweep_histogram_config_static_selectorELNS0_4arch9wavefront6targetE1EEEvSE_,"axG",@progbits,_ZN7rocprim17ROCPRIM_400000_NS6detail17trampoline_kernelINS0_14default_configENS1_35radix_sort_onesweep_config_selectorIllEEZNS1_34radix_sort_onesweep_global_offsetsIS3_Lb0EPlN6thrust23THRUST_200600_302600_NS10device_ptrIlEEjNS0_19identity_decomposerEEE10hipError_tT1_T2_PT3_SG_jT4_jjP12ihipStream_tbEUlT_E_NS1_11comp_targetILNS1_3genE8ELNS1_11target_archE1030ELNS1_3gpuE2ELNS1_3repE0EEENS1_52radix_sort_onesweep_histogram_config_static_selectorELNS0_4arch9wavefront6targetE1EEEvSE_,comdat
	.protected	_ZN7rocprim17ROCPRIM_400000_NS6detail17trampoline_kernelINS0_14default_configENS1_35radix_sort_onesweep_config_selectorIllEEZNS1_34radix_sort_onesweep_global_offsetsIS3_Lb0EPlN6thrust23THRUST_200600_302600_NS10device_ptrIlEEjNS0_19identity_decomposerEEE10hipError_tT1_T2_PT3_SG_jT4_jjP12ihipStream_tbEUlT_E_NS1_11comp_targetILNS1_3genE8ELNS1_11target_archE1030ELNS1_3gpuE2ELNS1_3repE0EEENS1_52radix_sort_onesweep_histogram_config_static_selectorELNS0_4arch9wavefront6targetE1EEEvSE_ ; -- Begin function _ZN7rocprim17ROCPRIM_400000_NS6detail17trampoline_kernelINS0_14default_configENS1_35radix_sort_onesweep_config_selectorIllEEZNS1_34radix_sort_onesweep_global_offsetsIS3_Lb0EPlN6thrust23THRUST_200600_302600_NS10device_ptrIlEEjNS0_19identity_decomposerEEE10hipError_tT1_T2_PT3_SG_jT4_jjP12ihipStream_tbEUlT_E_NS1_11comp_targetILNS1_3genE8ELNS1_11target_archE1030ELNS1_3gpuE2ELNS1_3repE0EEENS1_52radix_sort_onesweep_histogram_config_static_selectorELNS0_4arch9wavefront6targetE1EEEvSE_
	.globl	_ZN7rocprim17ROCPRIM_400000_NS6detail17trampoline_kernelINS0_14default_configENS1_35radix_sort_onesweep_config_selectorIllEEZNS1_34radix_sort_onesweep_global_offsetsIS3_Lb0EPlN6thrust23THRUST_200600_302600_NS10device_ptrIlEEjNS0_19identity_decomposerEEE10hipError_tT1_T2_PT3_SG_jT4_jjP12ihipStream_tbEUlT_E_NS1_11comp_targetILNS1_3genE8ELNS1_11target_archE1030ELNS1_3gpuE2ELNS1_3repE0EEENS1_52radix_sort_onesweep_histogram_config_static_selectorELNS0_4arch9wavefront6targetE1EEEvSE_
	.p2align	8
	.type	_ZN7rocprim17ROCPRIM_400000_NS6detail17trampoline_kernelINS0_14default_configENS1_35radix_sort_onesweep_config_selectorIllEEZNS1_34radix_sort_onesweep_global_offsetsIS3_Lb0EPlN6thrust23THRUST_200600_302600_NS10device_ptrIlEEjNS0_19identity_decomposerEEE10hipError_tT1_T2_PT3_SG_jT4_jjP12ihipStream_tbEUlT_E_NS1_11comp_targetILNS1_3genE8ELNS1_11target_archE1030ELNS1_3gpuE2ELNS1_3repE0EEENS1_52radix_sort_onesweep_histogram_config_static_selectorELNS0_4arch9wavefront6targetE1EEEvSE_,@function
_ZN7rocprim17ROCPRIM_400000_NS6detail17trampoline_kernelINS0_14default_configENS1_35radix_sort_onesweep_config_selectorIllEEZNS1_34radix_sort_onesweep_global_offsetsIS3_Lb0EPlN6thrust23THRUST_200600_302600_NS10device_ptrIlEEjNS0_19identity_decomposerEEE10hipError_tT1_T2_PT3_SG_jT4_jjP12ihipStream_tbEUlT_E_NS1_11comp_targetILNS1_3genE8ELNS1_11target_archE1030ELNS1_3gpuE2ELNS1_3repE0EEENS1_52radix_sort_onesweep_histogram_config_static_selectorELNS0_4arch9wavefront6targetE1EEEvSE_: ; @_ZN7rocprim17ROCPRIM_400000_NS6detail17trampoline_kernelINS0_14default_configENS1_35radix_sort_onesweep_config_selectorIllEEZNS1_34radix_sort_onesweep_global_offsetsIS3_Lb0EPlN6thrust23THRUST_200600_302600_NS10device_ptrIlEEjNS0_19identity_decomposerEEE10hipError_tT1_T2_PT3_SG_jT4_jjP12ihipStream_tbEUlT_E_NS1_11comp_targetILNS1_3genE8ELNS1_11target_archE1030ELNS1_3gpuE2ELNS1_3repE0EEENS1_52radix_sort_onesweep_histogram_config_static_selectorELNS0_4arch9wavefront6targetE1EEEvSE_
; %bb.0:
	.section	.rodata,"a",@progbits
	.p2align	6, 0x0
	.amdhsa_kernel _ZN7rocprim17ROCPRIM_400000_NS6detail17trampoline_kernelINS0_14default_configENS1_35radix_sort_onesweep_config_selectorIllEEZNS1_34radix_sort_onesweep_global_offsetsIS3_Lb0EPlN6thrust23THRUST_200600_302600_NS10device_ptrIlEEjNS0_19identity_decomposerEEE10hipError_tT1_T2_PT3_SG_jT4_jjP12ihipStream_tbEUlT_E_NS1_11comp_targetILNS1_3genE8ELNS1_11target_archE1030ELNS1_3gpuE2ELNS1_3repE0EEENS1_52radix_sort_onesweep_histogram_config_static_selectorELNS0_4arch9wavefront6targetE1EEEvSE_
		.amdhsa_group_segment_fixed_size 0
		.amdhsa_private_segment_fixed_size 0
		.amdhsa_kernarg_size 40
		.amdhsa_user_sgpr_count 6
		.amdhsa_user_sgpr_private_segment_buffer 1
		.amdhsa_user_sgpr_dispatch_ptr 0
		.amdhsa_user_sgpr_queue_ptr 0
		.amdhsa_user_sgpr_kernarg_segment_ptr 1
		.amdhsa_user_sgpr_dispatch_id 0
		.amdhsa_user_sgpr_flat_scratch_init 0
		.amdhsa_user_sgpr_kernarg_preload_length 0
		.amdhsa_user_sgpr_kernarg_preload_offset 0
		.amdhsa_user_sgpr_private_segment_size 0
		.amdhsa_uses_dynamic_stack 0
		.amdhsa_system_sgpr_private_segment_wavefront_offset 0
		.amdhsa_system_sgpr_workgroup_id_x 1
		.amdhsa_system_sgpr_workgroup_id_y 0
		.amdhsa_system_sgpr_workgroup_id_z 0
		.amdhsa_system_sgpr_workgroup_info 0
		.amdhsa_system_vgpr_workitem_id 0
		.amdhsa_next_free_vgpr 1
		.amdhsa_next_free_sgpr 0
		.amdhsa_accum_offset 4
		.amdhsa_reserve_vcc 0
		.amdhsa_reserve_flat_scratch 0
		.amdhsa_float_round_mode_32 0
		.amdhsa_float_round_mode_16_64 0
		.amdhsa_float_denorm_mode_32 3
		.amdhsa_float_denorm_mode_16_64 3
		.amdhsa_dx10_clamp 1
		.amdhsa_ieee_mode 1
		.amdhsa_fp16_overflow 0
		.amdhsa_tg_split 0
		.amdhsa_exception_fp_ieee_invalid_op 0
		.amdhsa_exception_fp_denorm_src 0
		.amdhsa_exception_fp_ieee_div_zero 0
		.amdhsa_exception_fp_ieee_overflow 0
		.amdhsa_exception_fp_ieee_underflow 0
		.amdhsa_exception_fp_ieee_inexact 0
		.amdhsa_exception_int_div_zero 0
	.end_amdhsa_kernel
	.section	.text._ZN7rocprim17ROCPRIM_400000_NS6detail17trampoline_kernelINS0_14default_configENS1_35radix_sort_onesweep_config_selectorIllEEZNS1_34radix_sort_onesweep_global_offsetsIS3_Lb0EPlN6thrust23THRUST_200600_302600_NS10device_ptrIlEEjNS0_19identity_decomposerEEE10hipError_tT1_T2_PT3_SG_jT4_jjP12ihipStream_tbEUlT_E_NS1_11comp_targetILNS1_3genE8ELNS1_11target_archE1030ELNS1_3gpuE2ELNS1_3repE0EEENS1_52radix_sort_onesweep_histogram_config_static_selectorELNS0_4arch9wavefront6targetE1EEEvSE_,"axG",@progbits,_ZN7rocprim17ROCPRIM_400000_NS6detail17trampoline_kernelINS0_14default_configENS1_35radix_sort_onesweep_config_selectorIllEEZNS1_34radix_sort_onesweep_global_offsetsIS3_Lb0EPlN6thrust23THRUST_200600_302600_NS10device_ptrIlEEjNS0_19identity_decomposerEEE10hipError_tT1_T2_PT3_SG_jT4_jjP12ihipStream_tbEUlT_E_NS1_11comp_targetILNS1_3genE8ELNS1_11target_archE1030ELNS1_3gpuE2ELNS1_3repE0EEENS1_52radix_sort_onesweep_histogram_config_static_selectorELNS0_4arch9wavefront6targetE1EEEvSE_,comdat
.Lfunc_end1122:
	.size	_ZN7rocprim17ROCPRIM_400000_NS6detail17trampoline_kernelINS0_14default_configENS1_35radix_sort_onesweep_config_selectorIllEEZNS1_34radix_sort_onesweep_global_offsetsIS3_Lb0EPlN6thrust23THRUST_200600_302600_NS10device_ptrIlEEjNS0_19identity_decomposerEEE10hipError_tT1_T2_PT3_SG_jT4_jjP12ihipStream_tbEUlT_E_NS1_11comp_targetILNS1_3genE8ELNS1_11target_archE1030ELNS1_3gpuE2ELNS1_3repE0EEENS1_52radix_sort_onesweep_histogram_config_static_selectorELNS0_4arch9wavefront6targetE1EEEvSE_, .Lfunc_end1122-_ZN7rocprim17ROCPRIM_400000_NS6detail17trampoline_kernelINS0_14default_configENS1_35radix_sort_onesweep_config_selectorIllEEZNS1_34radix_sort_onesweep_global_offsetsIS3_Lb0EPlN6thrust23THRUST_200600_302600_NS10device_ptrIlEEjNS0_19identity_decomposerEEE10hipError_tT1_T2_PT3_SG_jT4_jjP12ihipStream_tbEUlT_E_NS1_11comp_targetILNS1_3genE8ELNS1_11target_archE1030ELNS1_3gpuE2ELNS1_3repE0EEENS1_52radix_sort_onesweep_histogram_config_static_selectorELNS0_4arch9wavefront6targetE1EEEvSE_
                                        ; -- End function
	.section	.AMDGPU.csdata,"",@progbits
; Kernel info:
; codeLenInByte = 0
; NumSgprs: 4
; NumVgprs: 0
; NumAgprs: 0
; TotalNumVgprs: 0
; ScratchSize: 0
; MemoryBound: 0
; FloatMode: 240
; IeeeMode: 1
; LDSByteSize: 0 bytes/workgroup (compile time only)
; SGPRBlocks: 0
; VGPRBlocks: 0
; NumSGPRsForWavesPerEU: 4
; NumVGPRsForWavesPerEU: 1
; AccumOffset: 4
; Occupancy: 8
; WaveLimiterHint : 0
; COMPUTE_PGM_RSRC2:SCRATCH_EN: 0
; COMPUTE_PGM_RSRC2:USER_SGPR: 6
; COMPUTE_PGM_RSRC2:TRAP_HANDLER: 0
; COMPUTE_PGM_RSRC2:TGID_X_EN: 1
; COMPUTE_PGM_RSRC2:TGID_Y_EN: 0
; COMPUTE_PGM_RSRC2:TGID_Z_EN: 0
; COMPUTE_PGM_RSRC2:TIDIG_COMP_CNT: 0
; COMPUTE_PGM_RSRC3_GFX90A:ACCUM_OFFSET: 0
; COMPUTE_PGM_RSRC3_GFX90A:TG_SPLIT: 0
	.section	.text._ZN7rocprim17ROCPRIM_400000_NS6detail17trampoline_kernelINS0_14default_configENS1_35radix_sort_onesweep_config_selectorIllEEZNS1_34radix_sort_onesweep_global_offsetsIS3_Lb0EPlN6thrust23THRUST_200600_302600_NS10device_ptrIlEEjNS0_19identity_decomposerEEE10hipError_tT1_T2_PT3_SG_jT4_jjP12ihipStream_tbEUlT_E0_NS1_11comp_targetILNS1_3genE0ELNS1_11target_archE4294967295ELNS1_3gpuE0ELNS1_3repE0EEENS1_52radix_sort_onesweep_histogram_config_static_selectorELNS0_4arch9wavefront6targetE1EEEvSE_,"axG",@progbits,_ZN7rocprim17ROCPRIM_400000_NS6detail17trampoline_kernelINS0_14default_configENS1_35radix_sort_onesweep_config_selectorIllEEZNS1_34radix_sort_onesweep_global_offsetsIS3_Lb0EPlN6thrust23THRUST_200600_302600_NS10device_ptrIlEEjNS0_19identity_decomposerEEE10hipError_tT1_T2_PT3_SG_jT4_jjP12ihipStream_tbEUlT_E0_NS1_11comp_targetILNS1_3genE0ELNS1_11target_archE4294967295ELNS1_3gpuE0ELNS1_3repE0EEENS1_52radix_sort_onesweep_histogram_config_static_selectorELNS0_4arch9wavefront6targetE1EEEvSE_,comdat
	.protected	_ZN7rocprim17ROCPRIM_400000_NS6detail17trampoline_kernelINS0_14default_configENS1_35radix_sort_onesweep_config_selectorIllEEZNS1_34radix_sort_onesweep_global_offsetsIS3_Lb0EPlN6thrust23THRUST_200600_302600_NS10device_ptrIlEEjNS0_19identity_decomposerEEE10hipError_tT1_T2_PT3_SG_jT4_jjP12ihipStream_tbEUlT_E0_NS1_11comp_targetILNS1_3genE0ELNS1_11target_archE4294967295ELNS1_3gpuE0ELNS1_3repE0EEENS1_52radix_sort_onesweep_histogram_config_static_selectorELNS0_4arch9wavefront6targetE1EEEvSE_ ; -- Begin function _ZN7rocprim17ROCPRIM_400000_NS6detail17trampoline_kernelINS0_14default_configENS1_35radix_sort_onesweep_config_selectorIllEEZNS1_34radix_sort_onesweep_global_offsetsIS3_Lb0EPlN6thrust23THRUST_200600_302600_NS10device_ptrIlEEjNS0_19identity_decomposerEEE10hipError_tT1_T2_PT3_SG_jT4_jjP12ihipStream_tbEUlT_E0_NS1_11comp_targetILNS1_3genE0ELNS1_11target_archE4294967295ELNS1_3gpuE0ELNS1_3repE0EEENS1_52radix_sort_onesweep_histogram_config_static_selectorELNS0_4arch9wavefront6targetE1EEEvSE_
	.globl	_ZN7rocprim17ROCPRIM_400000_NS6detail17trampoline_kernelINS0_14default_configENS1_35radix_sort_onesweep_config_selectorIllEEZNS1_34radix_sort_onesweep_global_offsetsIS3_Lb0EPlN6thrust23THRUST_200600_302600_NS10device_ptrIlEEjNS0_19identity_decomposerEEE10hipError_tT1_T2_PT3_SG_jT4_jjP12ihipStream_tbEUlT_E0_NS1_11comp_targetILNS1_3genE0ELNS1_11target_archE4294967295ELNS1_3gpuE0ELNS1_3repE0EEENS1_52radix_sort_onesweep_histogram_config_static_selectorELNS0_4arch9wavefront6targetE1EEEvSE_
	.p2align	8
	.type	_ZN7rocprim17ROCPRIM_400000_NS6detail17trampoline_kernelINS0_14default_configENS1_35radix_sort_onesweep_config_selectorIllEEZNS1_34radix_sort_onesweep_global_offsetsIS3_Lb0EPlN6thrust23THRUST_200600_302600_NS10device_ptrIlEEjNS0_19identity_decomposerEEE10hipError_tT1_T2_PT3_SG_jT4_jjP12ihipStream_tbEUlT_E0_NS1_11comp_targetILNS1_3genE0ELNS1_11target_archE4294967295ELNS1_3gpuE0ELNS1_3repE0EEENS1_52radix_sort_onesweep_histogram_config_static_selectorELNS0_4arch9wavefront6targetE1EEEvSE_,@function
_ZN7rocprim17ROCPRIM_400000_NS6detail17trampoline_kernelINS0_14default_configENS1_35radix_sort_onesweep_config_selectorIllEEZNS1_34radix_sort_onesweep_global_offsetsIS3_Lb0EPlN6thrust23THRUST_200600_302600_NS10device_ptrIlEEjNS0_19identity_decomposerEEE10hipError_tT1_T2_PT3_SG_jT4_jjP12ihipStream_tbEUlT_E0_NS1_11comp_targetILNS1_3genE0ELNS1_11target_archE4294967295ELNS1_3gpuE0ELNS1_3repE0EEENS1_52radix_sort_onesweep_histogram_config_static_selectorELNS0_4arch9wavefront6targetE1EEEvSE_: ; @_ZN7rocprim17ROCPRIM_400000_NS6detail17trampoline_kernelINS0_14default_configENS1_35radix_sort_onesweep_config_selectorIllEEZNS1_34radix_sort_onesweep_global_offsetsIS3_Lb0EPlN6thrust23THRUST_200600_302600_NS10device_ptrIlEEjNS0_19identity_decomposerEEE10hipError_tT1_T2_PT3_SG_jT4_jjP12ihipStream_tbEUlT_E0_NS1_11comp_targetILNS1_3genE0ELNS1_11target_archE4294967295ELNS1_3gpuE0ELNS1_3repE0EEENS1_52radix_sort_onesweep_histogram_config_static_selectorELNS0_4arch9wavefront6targetE1EEEvSE_
; %bb.0:
	.section	.rodata,"a",@progbits
	.p2align	6, 0x0
	.amdhsa_kernel _ZN7rocprim17ROCPRIM_400000_NS6detail17trampoline_kernelINS0_14default_configENS1_35radix_sort_onesweep_config_selectorIllEEZNS1_34radix_sort_onesweep_global_offsetsIS3_Lb0EPlN6thrust23THRUST_200600_302600_NS10device_ptrIlEEjNS0_19identity_decomposerEEE10hipError_tT1_T2_PT3_SG_jT4_jjP12ihipStream_tbEUlT_E0_NS1_11comp_targetILNS1_3genE0ELNS1_11target_archE4294967295ELNS1_3gpuE0ELNS1_3repE0EEENS1_52radix_sort_onesweep_histogram_config_static_selectorELNS0_4arch9wavefront6targetE1EEEvSE_
		.amdhsa_group_segment_fixed_size 0
		.amdhsa_private_segment_fixed_size 0
		.amdhsa_kernarg_size 8
		.amdhsa_user_sgpr_count 6
		.amdhsa_user_sgpr_private_segment_buffer 1
		.amdhsa_user_sgpr_dispatch_ptr 0
		.amdhsa_user_sgpr_queue_ptr 0
		.amdhsa_user_sgpr_kernarg_segment_ptr 1
		.amdhsa_user_sgpr_dispatch_id 0
		.amdhsa_user_sgpr_flat_scratch_init 0
		.amdhsa_user_sgpr_kernarg_preload_length 0
		.amdhsa_user_sgpr_kernarg_preload_offset 0
		.amdhsa_user_sgpr_private_segment_size 0
		.amdhsa_uses_dynamic_stack 0
		.amdhsa_system_sgpr_private_segment_wavefront_offset 0
		.amdhsa_system_sgpr_workgroup_id_x 1
		.amdhsa_system_sgpr_workgroup_id_y 0
		.amdhsa_system_sgpr_workgroup_id_z 0
		.amdhsa_system_sgpr_workgroup_info 0
		.amdhsa_system_vgpr_workitem_id 0
		.amdhsa_next_free_vgpr 1
		.amdhsa_next_free_sgpr 0
		.amdhsa_accum_offset 4
		.amdhsa_reserve_vcc 0
		.amdhsa_reserve_flat_scratch 0
		.amdhsa_float_round_mode_32 0
		.amdhsa_float_round_mode_16_64 0
		.amdhsa_float_denorm_mode_32 3
		.amdhsa_float_denorm_mode_16_64 3
		.amdhsa_dx10_clamp 1
		.amdhsa_ieee_mode 1
		.amdhsa_fp16_overflow 0
		.amdhsa_tg_split 0
		.amdhsa_exception_fp_ieee_invalid_op 0
		.amdhsa_exception_fp_denorm_src 0
		.amdhsa_exception_fp_ieee_div_zero 0
		.amdhsa_exception_fp_ieee_overflow 0
		.amdhsa_exception_fp_ieee_underflow 0
		.amdhsa_exception_fp_ieee_inexact 0
		.amdhsa_exception_int_div_zero 0
	.end_amdhsa_kernel
	.section	.text._ZN7rocprim17ROCPRIM_400000_NS6detail17trampoline_kernelINS0_14default_configENS1_35radix_sort_onesweep_config_selectorIllEEZNS1_34radix_sort_onesweep_global_offsetsIS3_Lb0EPlN6thrust23THRUST_200600_302600_NS10device_ptrIlEEjNS0_19identity_decomposerEEE10hipError_tT1_T2_PT3_SG_jT4_jjP12ihipStream_tbEUlT_E0_NS1_11comp_targetILNS1_3genE0ELNS1_11target_archE4294967295ELNS1_3gpuE0ELNS1_3repE0EEENS1_52radix_sort_onesweep_histogram_config_static_selectorELNS0_4arch9wavefront6targetE1EEEvSE_,"axG",@progbits,_ZN7rocprim17ROCPRIM_400000_NS6detail17trampoline_kernelINS0_14default_configENS1_35radix_sort_onesweep_config_selectorIllEEZNS1_34radix_sort_onesweep_global_offsetsIS3_Lb0EPlN6thrust23THRUST_200600_302600_NS10device_ptrIlEEjNS0_19identity_decomposerEEE10hipError_tT1_T2_PT3_SG_jT4_jjP12ihipStream_tbEUlT_E0_NS1_11comp_targetILNS1_3genE0ELNS1_11target_archE4294967295ELNS1_3gpuE0ELNS1_3repE0EEENS1_52radix_sort_onesweep_histogram_config_static_selectorELNS0_4arch9wavefront6targetE1EEEvSE_,comdat
.Lfunc_end1123:
	.size	_ZN7rocprim17ROCPRIM_400000_NS6detail17trampoline_kernelINS0_14default_configENS1_35radix_sort_onesweep_config_selectorIllEEZNS1_34radix_sort_onesweep_global_offsetsIS3_Lb0EPlN6thrust23THRUST_200600_302600_NS10device_ptrIlEEjNS0_19identity_decomposerEEE10hipError_tT1_T2_PT3_SG_jT4_jjP12ihipStream_tbEUlT_E0_NS1_11comp_targetILNS1_3genE0ELNS1_11target_archE4294967295ELNS1_3gpuE0ELNS1_3repE0EEENS1_52radix_sort_onesweep_histogram_config_static_selectorELNS0_4arch9wavefront6targetE1EEEvSE_, .Lfunc_end1123-_ZN7rocprim17ROCPRIM_400000_NS6detail17trampoline_kernelINS0_14default_configENS1_35radix_sort_onesweep_config_selectorIllEEZNS1_34radix_sort_onesweep_global_offsetsIS3_Lb0EPlN6thrust23THRUST_200600_302600_NS10device_ptrIlEEjNS0_19identity_decomposerEEE10hipError_tT1_T2_PT3_SG_jT4_jjP12ihipStream_tbEUlT_E0_NS1_11comp_targetILNS1_3genE0ELNS1_11target_archE4294967295ELNS1_3gpuE0ELNS1_3repE0EEENS1_52radix_sort_onesweep_histogram_config_static_selectorELNS0_4arch9wavefront6targetE1EEEvSE_
                                        ; -- End function
	.section	.AMDGPU.csdata,"",@progbits
; Kernel info:
; codeLenInByte = 0
; NumSgprs: 4
; NumVgprs: 0
; NumAgprs: 0
; TotalNumVgprs: 0
; ScratchSize: 0
; MemoryBound: 0
; FloatMode: 240
; IeeeMode: 1
; LDSByteSize: 0 bytes/workgroup (compile time only)
; SGPRBlocks: 0
; VGPRBlocks: 0
; NumSGPRsForWavesPerEU: 4
; NumVGPRsForWavesPerEU: 1
; AccumOffset: 4
; Occupancy: 8
; WaveLimiterHint : 0
; COMPUTE_PGM_RSRC2:SCRATCH_EN: 0
; COMPUTE_PGM_RSRC2:USER_SGPR: 6
; COMPUTE_PGM_RSRC2:TRAP_HANDLER: 0
; COMPUTE_PGM_RSRC2:TGID_X_EN: 1
; COMPUTE_PGM_RSRC2:TGID_Y_EN: 0
; COMPUTE_PGM_RSRC2:TGID_Z_EN: 0
; COMPUTE_PGM_RSRC2:TIDIG_COMP_CNT: 0
; COMPUTE_PGM_RSRC3_GFX90A:ACCUM_OFFSET: 0
; COMPUTE_PGM_RSRC3_GFX90A:TG_SPLIT: 0
	.section	.text._ZN7rocprim17ROCPRIM_400000_NS6detail17trampoline_kernelINS0_14default_configENS1_35radix_sort_onesweep_config_selectorIllEEZNS1_34radix_sort_onesweep_global_offsetsIS3_Lb0EPlN6thrust23THRUST_200600_302600_NS10device_ptrIlEEjNS0_19identity_decomposerEEE10hipError_tT1_T2_PT3_SG_jT4_jjP12ihipStream_tbEUlT_E0_NS1_11comp_targetILNS1_3genE6ELNS1_11target_archE950ELNS1_3gpuE13ELNS1_3repE0EEENS1_52radix_sort_onesweep_histogram_config_static_selectorELNS0_4arch9wavefront6targetE1EEEvSE_,"axG",@progbits,_ZN7rocprim17ROCPRIM_400000_NS6detail17trampoline_kernelINS0_14default_configENS1_35radix_sort_onesweep_config_selectorIllEEZNS1_34radix_sort_onesweep_global_offsetsIS3_Lb0EPlN6thrust23THRUST_200600_302600_NS10device_ptrIlEEjNS0_19identity_decomposerEEE10hipError_tT1_T2_PT3_SG_jT4_jjP12ihipStream_tbEUlT_E0_NS1_11comp_targetILNS1_3genE6ELNS1_11target_archE950ELNS1_3gpuE13ELNS1_3repE0EEENS1_52radix_sort_onesweep_histogram_config_static_selectorELNS0_4arch9wavefront6targetE1EEEvSE_,comdat
	.protected	_ZN7rocprim17ROCPRIM_400000_NS6detail17trampoline_kernelINS0_14default_configENS1_35radix_sort_onesweep_config_selectorIllEEZNS1_34radix_sort_onesweep_global_offsetsIS3_Lb0EPlN6thrust23THRUST_200600_302600_NS10device_ptrIlEEjNS0_19identity_decomposerEEE10hipError_tT1_T2_PT3_SG_jT4_jjP12ihipStream_tbEUlT_E0_NS1_11comp_targetILNS1_3genE6ELNS1_11target_archE950ELNS1_3gpuE13ELNS1_3repE0EEENS1_52radix_sort_onesweep_histogram_config_static_selectorELNS0_4arch9wavefront6targetE1EEEvSE_ ; -- Begin function _ZN7rocprim17ROCPRIM_400000_NS6detail17trampoline_kernelINS0_14default_configENS1_35radix_sort_onesweep_config_selectorIllEEZNS1_34radix_sort_onesweep_global_offsetsIS3_Lb0EPlN6thrust23THRUST_200600_302600_NS10device_ptrIlEEjNS0_19identity_decomposerEEE10hipError_tT1_T2_PT3_SG_jT4_jjP12ihipStream_tbEUlT_E0_NS1_11comp_targetILNS1_3genE6ELNS1_11target_archE950ELNS1_3gpuE13ELNS1_3repE0EEENS1_52radix_sort_onesweep_histogram_config_static_selectorELNS0_4arch9wavefront6targetE1EEEvSE_
	.globl	_ZN7rocprim17ROCPRIM_400000_NS6detail17trampoline_kernelINS0_14default_configENS1_35radix_sort_onesweep_config_selectorIllEEZNS1_34radix_sort_onesweep_global_offsetsIS3_Lb0EPlN6thrust23THRUST_200600_302600_NS10device_ptrIlEEjNS0_19identity_decomposerEEE10hipError_tT1_T2_PT3_SG_jT4_jjP12ihipStream_tbEUlT_E0_NS1_11comp_targetILNS1_3genE6ELNS1_11target_archE950ELNS1_3gpuE13ELNS1_3repE0EEENS1_52radix_sort_onesweep_histogram_config_static_selectorELNS0_4arch9wavefront6targetE1EEEvSE_
	.p2align	8
	.type	_ZN7rocprim17ROCPRIM_400000_NS6detail17trampoline_kernelINS0_14default_configENS1_35radix_sort_onesweep_config_selectorIllEEZNS1_34radix_sort_onesweep_global_offsetsIS3_Lb0EPlN6thrust23THRUST_200600_302600_NS10device_ptrIlEEjNS0_19identity_decomposerEEE10hipError_tT1_T2_PT3_SG_jT4_jjP12ihipStream_tbEUlT_E0_NS1_11comp_targetILNS1_3genE6ELNS1_11target_archE950ELNS1_3gpuE13ELNS1_3repE0EEENS1_52radix_sort_onesweep_histogram_config_static_selectorELNS0_4arch9wavefront6targetE1EEEvSE_,@function
_ZN7rocprim17ROCPRIM_400000_NS6detail17trampoline_kernelINS0_14default_configENS1_35radix_sort_onesweep_config_selectorIllEEZNS1_34radix_sort_onesweep_global_offsetsIS3_Lb0EPlN6thrust23THRUST_200600_302600_NS10device_ptrIlEEjNS0_19identity_decomposerEEE10hipError_tT1_T2_PT3_SG_jT4_jjP12ihipStream_tbEUlT_E0_NS1_11comp_targetILNS1_3genE6ELNS1_11target_archE950ELNS1_3gpuE13ELNS1_3repE0EEENS1_52radix_sort_onesweep_histogram_config_static_selectorELNS0_4arch9wavefront6targetE1EEEvSE_: ; @_ZN7rocprim17ROCPRIM_400000_NS6detail17trampoline_kernelINS0_14default_configENS1_35radix_sort_onesweep_config_selectorIllEEZNS1_34radix_sort_onesweep_global_offsetsIS3_Lb0EPlN6thrust23THRUST_200600_302600_NS10device_ptrIlEEjNS0_19identity_decomposerEEE10hipError_tT1_T2_PT3_SG_jT4_jjP12ihipStream_tbEUlT_E0_NS1_11comp_targetILNS1_3genE6ELNS1_11target_archE950ELNS1_3gpuE13ELNS1_3repE0EEENS1_52radix_sort_onesweep_histogram_config_static_selectorELNS0_4arch9wavefront6targetE1EEEvSE_
; %bb.0:
	.section	.rodata,"a",@progbits
	.p2align	6, 0x0
	.amdhsa_kernel _ZN7rocprim17ROCPRIM_400000_NS6detail17trampoline_kernelINS0_14default_configENS1_35radix_sort_onesweep_config_selectorIllEEZNS1_34radix_sort_onesweep_global_offsetsIS3_Lb0EPlN6thrust23THRUST_200600_302600_NS10device_ptrIlEEjNS0_19identity_decomposerEEE10hipError_tT1_T2_PT3_SG_jT4_jjP12ihipStream_tbEUlT_E0_NS1_11comp_targetILNS1_3genE6ELNS1_11target_archE950ELNS1_3gpuE13ELNS1_3repE0EEENS1_52radix_sort_onesweep_histogram_config_static_selectorELNS0_4arch9wavefront6targetE1EEEvSE_
		.amdhsa_group_segment_fixed_size 0
		.amdhsa_private_segment_fixed_size 0
		.amdhsa_kernarg_size 8
		.amdhsa_user_sgpr_count 6
		.amdhsa_user_sgpr_private_segment_buffer 1
		.amdhsa_user_sgpr_dispatch_ptr 0
		.amdhsa_user_sgpr_queue_ptr 0
		.amdhsa_user_sgpr_kernarg_segment_ptr 1
		.amdhsa_user_sgpr_dispatch_id 0
		.amdhsa_user_sgpr_flat_scratch_init 0
		.amdhsa_user_sgpr_kernarg_preload_length 0
		.amdhsa_user_sgpr_kernarg_preload_offset 0
		.amdhsa_user_sgpr_private_segment_size 0
		.amdhsa_uses_dynamic_stack 0
		.amdhsa_system_sgpr_private_segment_wavefront_offset 0
		.amdhsa_system_sgpr_workgroup_id_x 1
		.amdhsa_system_sgpr_workgroup_id_y 0
		.amdhsa_system_sgpr_workgroup_id_z 0
		.amdhsa_system_sgpr_workgroup_info 0
		.amdhsa_system_vgpr_workitem_id 0
		.amdhsa_next_free_vgpr 1
		.amdhsa_next_free_sgpr 0
		.amdhsa_accum_offset 4
		.amdhsa_reserve_vcc 0
		.amdhsa_reserve_flat_scratch 0
		.amdhsa_float_round_mode_32 0
		.amdhsa_float_round_mode_16_64 0
		.amdhsa_float_denorm_mode_32 3
		.amdhsa_float_denorm_mode_16_64 3
		.amdhsa_dx10_clamp 1
		.amdhsa_ieee_mode 1
		.amdhsa_fp16_overflow 0
		.amdhsa_tg_split 0
		.amdhsa_exception_fp_ieee_invalid_op 0
		.amdhsa_exception_fp_denorm_src 0
		.amdhsa_exception_fp_ieee_div_zero 0
		.amdhsa_exception_fp_ieee_overflow 0
		.amdhsa_exception_fp_ieee_underflow 0
		.amdhsa_exception_fp_ieee_inexact 0
		.amdhsa_exception_int_div_zero 0
	.end_amdhsa_kernel
	.section	.text._ZN7rocprim17ROCPRIM_400000_NS6detail17trampoline_kernelINS0_14default_configENS1_35radix_sort_onesweep_config_selectorIllEEZNS1_34radix_sort_onesweep_global_offsetsIS3_Lb0EPlN6thrust23THRUST_200600_302600_NS10device_ptrIlEEjNS0_19identity_decomposerEEE10hipError_tT1_T2_PT3_SG_jT4_jjP12ihipStream_tbEUlT_E0_NS1_11comp_targetILNS1_3genE6ELNS1_11target_archE950ELNS1_3gpuE13ELNS1_3repE0EEENS1_52radix_sort_onesweep_histogram_config_static_selectorELNS0_4arch9wavefront6targetE1EEEvSE_,"axG",@progbits,_ZN7rocprim17ROCPRIM_400000_NS6detail17trampoline_kernelINS0_14default_configENS1_35radix_sort_onesweep_config_selectorIllEEZNS1_34radix_sort_onesweep_global_offsetsIS3_Lb0EPlN6thrust23THRUST_200600_302600_NS10device_ptrIlEEjNS0_19identity_decomposerEEE10hipError_tT1_T2_PT3_SG_jT4_jjP12ihipStream_tbEUlT_E0_NS1_11comp_targetILNS1_3genE6ELNS1_11target_archE950ELNS1_3gpuE13ELNS1_3repE0EEENS1_52radix_sort_onesweep_histogram_config_static_selectorELNS0_4arch9wavefront6targetE1EEEvSE_,comdat
.Lfunc_end1124:
	.size	_ZN7rocprim17ROCPRIM_400000_NS6detail17trampoline_kernelINS0_14default_configENS1_35radix_sort_onesweep_config_selectorIllEEZNS1_34radix_sort_onesweep_global_offsetsIS3_Lb0EPlN6thrust23THRUST_200600_302600_NS10device_ptrIlEEjNS0_19identity_decomposerEEE10hipError_tT1_T2_PT3_SG_jT4_jjP12ihipStream_tbEUlT_E0_NS1_11comp_targetILNS1_3genE6ELNS1_11target_archE950ELNS1_3gpuE13ELNS1_3repE0EEENS1_52radix_sort_onesweep_histogram_config_static_selectorELNS0_4arch9wavefront6targetE1EEEvSE_, .Lfunc_end1124-_ZN7rocprim17ROCPRIM_400000_NS6detail17trampoline_kernelINS0_14default_configENS1_35radix_sort_onesweep_config_selectorIllEEZNS1_34radix_sort_onesweep_global_offsetsIS3_Lb0EPlN6thrust23THRUST_200600_302600_NS10device_ptrIlEEjNS0_19identity_decomposerEEE10hipError_tT1_T2_PT3_SG_jT4_jjP12ihipStream_tbEUlT_E0_NS1_11comp_targetILNS1_3genE6ELNS1_11target_archE950ELNS1_3gpuE13ELNS1_3repE0EEENS1_52radix_sort_onesweep_histogram_config_static_selectorELNS0_4arch9wavefront6targetE1EEEvSE_
                                        ; -- End function
	.section	.AMDGPU.csdata,"",@progbits
; Kernel info:
; codeLenInByte = 0
; NumSgprs: 4
; NumVgprs: 0
; NumAgprs: 0
; TotalNumVgprs: 0
; ScratchSize: 0
; MemoryBound: 0
; FloatMode: 240
; IeeeMode: 1
; LDSByteSize: 0 bytes/workgroup (compile time only)
; SGPRBlocks: 0
; VGPRBlocks: 0
; NumSGPRsForWavesPerEU: 4
; NumVGPRsForWavesPerEU: 1
; AccumOffset: 4
; Occupancy: 8
; WaveLimiterHint : 0
; COMPUTE_PGM_RSRC2:SCRATCH_EN: 0
; COMPUTE_PGM_RSRC2:USER_SGPR: 6
; COMPUTE_PGM_RSRC2:TRAP_HANDLER: 0
; COMPUTE_PGM_RSRC2:TGID_X_EN: 1
; COMPUTE_PGM_RSRC2:TGID_Y_EN: 0
; COMPUTE_PGM_RSRC2:TGID_Z_EN: 0
; COMPUTE_PGM_RSRC2:TIDIG_COMP_CNT: 0
; COMPUTE_PGM_RSRC3_GFX90A:ACCUM_OFFSET: 0
; COMPUTE_PGM_RSRC3_GFX90A:TG_SPLIT: 0
	.section	.text._ZN7rocprim17ROCPRIM_400000_NS6detail17trampoline_kernelINS0_14default_configENS1_35radix_sort_onesweep_config_selectorIllEEZNS1_34radix_sort_onesweep_global_offsetsIS3_Lb0EPlN6thrust23THRUST_200600_302600_NS10device_ptrIlEEjNS0_19identity_decomposerEEE10hipError_tT1_T2_PT3_SG_jT4_jjP12ihipStream_tbEUlT_E0_NS1_11comp_targetILNS1_3genE5ELNS1_11target_archE942ELNS1_3gpuE9ELNS1_3repE0EEENS1_52radix_sort_onesweep_histogram_config_static_selectorELNS0_4arch9wavefront6targetE1EEEvSE_,"axG",@progbits,_ZN7rocprim17ROCPRIM_400000_NS6detail17trampoline_kernelINS0_14default_configENS1_35radix_sort_onesweep_config_selectorIllEEZNS1_34radix_sort_onesweep_global_offsetsIS3_Lb0EPlN6thrust23THRUST_200600_302600_NS10device_ptrIlEEjNS0_19identity_decomposerEEE10hipError_tT1_T2_PT3_SG_jT4_jjP12ihipStream_tbEUlT_E0_NS1_11comp_targetILNS1_3genE5ELNS1_11target_archE942ELNS1_3gpuE9ELNS1_3repE0EEENS1_52radix_sort_onesweep_histogram_config_static_selectorELNS0_4arch9wavefront6targetE1EEEvSE_,comdat
	.protected	_ZN7rocprim17ROCPRIM_400000_NS6detail17trampoline_kernelINS0_14default_configENS1_35radix_sort_onesweep_config_selectorIllEEZNS1_34radix_sort_onesweep_global_offsetsIS3_Lb0EPlN6thrust23THRUST_200600_302600_NS10device_ptrIlEEjNS0_19identity_decomposerEEE10hipError_tT1_T2_PT3_SG_jT4_jjP12ihipStream_tbEUlT_E0_NS1_11comp_targetILNS1_3genE5ELNS1_11target_archE942ELNS1_3gpuE9ELNS1_3repE0EEENS1_52radix_sort_onesweep_histogram_config_static_selectorELNS0_4arch9wavefront6targetE1EEEvSE_ ; -- Begin function _ZN7rocprim17ROCPRIM_400000_NS6detail17trampoline_kernelINS0_14default_configENS1_35radix_sort_onesweep_config_selectorIllEEZNS1_34radix_sort_onesweep_global_offsetsIS3_Lb0EPlN6thrust23THRUST_200600_302600_NS10device_ptrIlEEjNS0_19identity_decomposerEEE10hipError_tT1_T2_PT3_SG_jT4_jjP12ihipStream_tbEUlT_E0_NS1_11comp_targetILNS1_3genE5ELNS1_11target_archE942ELNS1_3gpuE9ELNS1_3repE0EEENS1_52radix_sort_onesweep_histogram_config_static_selectorELNS0_4arch9wavefront6targetE1EEEvSE_
	.globl	_ZN7rocprim17ROCPRIM_400000_NS6detail17trampoline_kernelINS0_14default_configENS1_35radix_sort_onesweep_config_selectorIllEEZNS1_34radix_sort_onesweep_global_offsetsIS3_Lb0EPlN6thrust23THRUST_200600_302600_NS10device_ptrIlEEjNS0_19identity_decomposerEEE10hipError_tT1_T2_PT3_SG_jT4_jjP12ihipStream_tbEUlT_E0_NS1_11comp_targetILNS1_3genE5ELNS1_11target_archE942ELNS1_3gpuE9ELNS1_3repE0EEENS1_52radix_sort_onesweep_histogram_config_static_selectorELNS0_4arch9wavefront6targetE1EEEvSE_
	.p2align	8
	.type	_ZN7rocprim17ROCPRIM_400000_NS6detail17trampoline_kernelINS0_14default_configENS1_35radix_sort_onesweep_config_selectorIllEEZNS1_34radix_sort_onesweep_global_offsetsIS3_Lb0EPlN6thrust23THRUST_200600_302600_NS10device_ptrIlEEjNS0_19identity_decomposerEEE10hipError_tT1_T2_PT3_SG_jT4_jjP12ihipStream_tbEUlT_E0_NS1_11comp_targetILNS1_3genE5ELNS1_11target_archE942ELNS1_3gpuE9ELNS1_3repE0EEENS1_52radix_sort_onesweep_histogram_config_static_selectorELNS0_4arch9wavefront6targetE1EEEvSE_,@function
_ZN7rocprim17ROCPRIM_400000_NS6detail17trampoline_kernelINS0_14default_configENS1_35radix_sort_onesweep_config_selectorIllEEZNS1_34radix_sort_onesweep_global_offsetsIS3_Lb0EPlN6thrust23THRUST_200600_302600_NS10device_ptrIlEEjNS0_19identity_decomposerEEE10hipError_tT1_T2_PT3_SG_jT4_jjP12ihipStream_tbEUlT_E0_NS1_11comp_targetILNS1_3genE5ELNS1_11target_archE942ELNS1_3gpuE9ELNS1_3repE0EEENS1_52radix_sort_onesweep_histogram_config_static_selectorELNS0_4arch9wavefront6targetE1EEEvSE_: ; @_ZN7rocprim17ROCPRIM_400000_NS6detail17trampoline_kernelINS0_14default_configENS1_35radix_sort_onesweep_config_selectorIllEEZNS1_34radix_sort_onesweep_global_offsetsIS3_Lb0EPlN6thrust23THRUST_200600_302600_NS10device_ptrIlEEjNS0_19identity_decomposerEEE10hipError_tT1_T2_PT3_SG_jT4_jjP12ihipStream_tbEUlT_E0_NS1_11comp_targetILNS1_3genE5ELNS1_11target_archE942ELNS1_3gpuE9ELNS1_3repE0EEENS1_52radix_sort_onesweep_histogram_config_static_selectorELNS0_4arch9wavefront6targetE1EEEvSE_
; %bb.0:
	.section	.rodata,"a",@progbits
	.p2align	6, 0x0
	.amdhsa_kernel _ZN7rocprim17ROCPRIM_400000_NS6detail17trampoline_kernelINS0_14default_configENS1_35radix_sort_onesweep_config_selectorIllEEZNS1_34radix_sort_onesweep_global_offsetsIS3_Lb0EPlN6thrust23THRUST_200600_302600_NS10device_ptrIlEEjNS0_19identity_decomposerEEE10hipError_tT1_T2_PT3_SG_jT4_jjP12ihipStream_tbEUlT_E0_NS1_11comp_targetILNS1_3genE5ELNS1_11target_archE942ELNS1_3gpuE9ELNS1_3repE0EEENS1_52radix_sort_onesweep_histogram_config_static_selectorELNS0_4arch9wavefront6targetE1EEEvSE_
		.amdhsa_group_segment_fixed_size 0
		.amdhsa_private_segment_fixed_size 0
		.amdhsa_kernarg_size 8
		.amdhsa_user_sgpr_count 6
		.amdhsa_user_sgpr_private_segment_buffer 1
		.amdhsa_user_sgpr_dispatch_ptr 0
		.amdhsa_user_sgpr_queue_ptr 0
		.amdhsa_user_sgpr_kernarg_segment_ptr 1
		.amdhsa_user_sgpr_dispatch_id 0
		.amdhsa_user_sgpr_flat_scratch_init 0
		.amdhsa_user_sgpr_kernarg_preload_length 0
		.amdhsa_user_sgpr_kernarg_preload_offset 0
		.amdhsa_user_sgpr_private_segment_size 0
		.amdhsa_uses_dynamic_stack 0
		.amdhsa_system_sgpr_private_segment_wavefront_offset 0
		.amdhsa_system_sgpr_workgroup_id_x 1
		.amdhsa_system_sgpr_workgroup_id_y 0
		.amdhsa_system_sgpr_workgroup_id_z 0
		.amdhsa_system_sgpr_workgroup_info 0
		.amdhsa_system_vgpr_workitem_id 0
		.amdhsa_next_free_vgpr 1
		.amdhsa_next_free_sgpr 0
		.amdhsa_accum_offset 4
		.amdhsa_reserve_vcc 0
		.amdhsa_reserve_flat_scratch 0
		.amdhsa_float_round_mode_32 0
		.amdhsa_float_round_mode_16_64 0
		.amdhsa_float_denorm_mode_32 3
		.amdhsa_float_denorm_mode_16_64 3
		.amdhsa_dx10_clamp 1
		.amdhsa_ieee_mode 1
		.amdhsa_fp16_overflow 0
		.amdhsa_tg_split 0
		.amdhsa_exception_fp_ieee_invalid_op 0
		.amdhsa_exception_fp_denorm_src 0
		.amdhsa_exception_fp_ieee_div_zero 0
		.amdhsa_exception_fp_ieee_overflow 0
		.amdhsa_exception_fp_ieee_underflow 0
		.amdhsa_exception_fp_ieee_inexact 0
		.amdhsa_exception_int_div_zero 0
	.end_amdhsa_kernel
	.section	.text._ZN7rocprim17ROCPRIM_400000_NS6detail17trampoline_kernelINS0_14default_configENS1_35radix_sort_onesweep_config_selectorIllEEZNS1_34radix_sort_onesweep_global_offsetsIS3_Lb0EPlN6thrust23THRUST_200600_302600_NS10device_ptrIlEEjNS0_19identity_decomposerEEE10hipError_tT1_T2_PT3_SG_jT4_jjP12ihipStream_tbEUlT_E0_NS1_11comp_targetILNS1_3genE5ELNS1_11target_archE942ELNS1_3gpuE9ELNS1_3repE0EEENS1_52radix_sort_onesweep_histogram_config_static_selectorELNS0_4arch9wavefront6targetE1EEEvSE_,"axG",@progbits,_ZN7rocprim17ROCPRIM_400000_NS6detail17trampoline_kernelINS0_14default_configENS1_35radix_sort_onesweep_config_selectorIllEEZNS1_34radix_sort_onesweep_global_offsetsIS3_Lb0EPlN6thrust23THRUST_200600_302600_NS10device_ptrIlEEjNS0_19identity_decomposerEEE10hipError_tT1_T2_PT3_SG_jT4_jjP12ihipStream_tbEUlT_E0_NS1_11comp_targetILNS1_3genE5ELNS1_11target_archE942ELNS1_3gpuE9ELNS1_3repE0EEENS1_52radix_sort_onesweep_histogram_config_static_selectorELNS0_4arch9wavefront6targetE1EEEvSE_,comdat
.Lfunc_end1125:
	.size	_ZN7rocprim17ROCPRIM_400000_NS6detail17trampoline_kernelINS0_14default_configENS1_35radix_sort_onesweep_config_selectorIllEEZNS1_34radix_sort_onesweep_global_offsetsIS3_Lb0EPlN6thrust23THRUST_200600_302600_NS10device_ptrIlEEjNS0_19identity_decomposerEEE10hipError_tT1_T2_PT3_SG_jT4_jjP12ihipStream_tbEUlT_E0_NS1_11comp_targetILNS1_3genE5ELNS1_11target_archE942ELNS1_3gpuE9ELNS1_3repE0EEENS1_52radix_sort_onesweep_histogram_config_static_selectorELNS0_4arch9wavefront6targetE1EEEvSE_, .Lfunc_end1125-_ZN7rocprim17ROCPRIM_400000_NS6detail17trampoline_kernelINS0_14default_configENS1_35radix_sort_onesweep_config_selectorIllEEZNS1_34radix_sort_onesweep_global_offsetsIS3_Lb0EPlN6thrust23THRUST_200600_302600_NS10device_ptrIlEEjNS0_19identity_decomposerEEE10hipError_tT1_T2_PT3_SG_jT4_jjP12ihipStream_tbEUlT_E0_NS1_11comp_targetILNS1_3genE5ELNS1_11target_archE942ELNS1_3gpuE9ELNS1_3repE0EEENS1_52radix_sort_onesweep_histogram_config_static_selectorELNS0_4arch9wavefront6targetE1EEEvSE_
                                        ; -- End function
	.section	.AMDGPU.csdata,"",@progbits
; Kernel info:
; codeLenInByte = 0
; NumSgprs: 4
; NumVgprs: 0
; NumAgprs: 0
; TotalNumVgprs: 0
; ScratchSize: 0
; MemoryBound: 0
; FloatMode: 240
; IeeeMode: 1
; LDSByteSize: 0 bytes/workgroup (compile time only)
; SGPRBlocks: 0
; VGPRBlocks: 0
; NumSGPRsForWavesPerEU: 4
; NumVGPRsForWavesPerEU: 1
; AccumOffset: 4
; Occupancy: 8
; WaveLimiterHint : 0
; COMPUTE_PGM_RSRC2:SCRATCH_EN: 0
; COMPUTE_PGM_RSRC2:USER_SGPR: 6
; COMPUTE_PGM_RSRC2:TRAP_HANDLER: 0
; COMPUTE_PGM_RSRC2:TGID_X_EN: 1
; COMPUTE_PGM_RSRC2:TGID_Y_EN: 0
; COMPUTE_PGM_RSRC2:TGID_Z_EN: 0
; COMPUTE_PGM_RSRC2:TIDIG_COMP_CNT: 0
; COMPUTE_PGM_RSRC3_GFX90A:ACCUM_OFFSET: 0
; COMPUTE_PGM_RSRC3_GFX90A:TG_SPLIT: 0
	.section	.text._ZN7rocprim17ROCPRIM_400000_NS6detail17trampoline_kernelINS0_14default_configENS1_35radix_sort_onesweep_config_selectorIllEEZNS1_34radix_sort_onesweep_global_offsetsIS3_Lb0EPlN6thrust23THRUST_200600_302600_NS10device_ptrIlEEjNS0_19identity_decomposerEEE10hipError_tT1_T2_PT3_SG_jT4_jjP12ihipStream_tbEUlT_E0_NS1_11comp_targetILNS1_3genE2ELNS1_11target_archE906ELNS1_3gpuE6ELNS1_3repE0EEENS1_52radix_sort_onesweep_histogram_config_static_selectorELNS0_4arch9wavefront6targetE1EEEvSE_,"axG",@progbits,_ZN7rocprim17ROCPRIM_400000_NS6detail17trampoline_kernelINS0_14default_configENS1_35radix_sort_onesweep_config_selectorIllEEZNS1_34radix_sort_onesweep_global_offsetsIS3_Lb0EPlN6thrust23THRUST_200600_302600_NS10device_ptrIlEEjNS0_19identity_decomposerEEE10hipError_tT1_T2_PT3_SG_jT4_jjP12ihipStream_tbEUlT_E0_NS1_11comp_targetILNS1_3genE2ELNS1_11target_archE906ELNS1_3gpuE6ELNS1_3repE0EEENS1_52radix_sort_onesweep_histogram_config_static_selectorELNS0_4arch9wavefront6targetE1EEEvSE_,comdat
	.protected	_ZN7rocprim17ROCPRIM_400000_NS6detail17trampoline_kernelINS0_14default_configENS1_35radix_sort_onesweep_config_selectorIllEEZNS1_34radix_sort_onesweep_global_offsetsIS3_Lb0EPlN6thrust23THRUST_200600_302600_NS10device_ptrIlEEjNS0_19identity_decomposerEEE10hipError_tT1_T2_PT3_SG_jT4_jjP12ihipStream_tbEUlT_E0_NS1_11comp_targetILNS1_3genE2ELNS1_11target_archE906ELNS1_3gpuE6ELNS1_3repE0EEENS1_52radix_sort_onesweep_histogram_config_static_selectorELNS0_4arch9wavefront6targetE1EEEvSE_ ; -- Begin function _ZN7rocprim17ROCPRIM_400000_NS6detail17trampoline_kernelINS0_14default_configENS1_35radix_sort_onesweep_config_selectorIllEEZNS1_34radix_sort_onesweep_global_offsetsIS3_Lb0EPlN6thrust23THRUST_200600_302600_NS10device_ptrIlEEjNS0_19identity_decomposerEEE10hipError_tT1_T2_PT3_SG_jT4_jjP12ihipStream_tbEUlT_E0_NS1_11comp_targetILNS1_3genE2ELNS1_11target_archE906ELNS1_3gpuE6ELNS1_3repE0EEENS1_52radix_sort_onesweep_histogram_config_static_selectorELNS0_4arch9wavefront6targetE1EEEvSE_
	.globl	_ZN7rocprim17ROCPRIM_400000_NS6detail17trampoline_kernelINS0_14default_configENS1_35radix_sort_onesweep_config_selectorIllEEZNS1_34radix_sort_onesweep_global_offsetsIS3_Lb0EPlN6thrust23THRUST_200600_302600_NS10device_ptrIlEEjNS0_19identity_decomposerEEE10hipError_tT1_T2_PT3_SG_jT4_jjP12ihipStream_tbEUlT_E0_NS1_11comp_targetILNS1_3genE2ELNS1_11target_archE906ELNS1_3gpuE6ELNS1_3repE0EEENS1_52radix_sort_onesweep_histogram_config_static_selectorELNS0_4arch9wavefront6targetE1EEEvSE_
	.p2align	8
	.type	_ZN7rocprim17ROCPRIM_400000_NS6detail17trampoline_kernelINS0_14default_configENS1_35radix_sort_onesweep_config_selectorIllEEZNS1_34radix_sort_onesweep_global_offsetsIS3_Lb0EPlN6thrust23THRUST_200600_302600_NS10device_ptrIlEEjNS0_19identity_decomposerEEE10hipError_tT1_T2_PT3_SG_jT4_jjP12ihipStream_tbEUlT_E0_NS1_11comp_targetILNS1_3genE2ELNS1_11target_archE906ELNS1_3gpuE6ELNS1_3repE0EEENS1_52radix_sort_onesweep_histogram_config_static_selectorELNS0_4arch9wavefront6targetE1EEEvSE_,@function
_ZN7rocprim17ROCPRIM_400000_NS6detail17trampoline_kernelINS0_14default_configENS1_35radix_sort_onesweep_config_selectorIllEEZNS1_34radix_sort_onesweep_global_offsetsIS3_Lb0EPlN6thrust23THRUST_200600_302600_NS10device_ptrIlEEjNS0_19identity_decomposerEEE10hipError_tT1_T2_PT3_SG_jT4_jjP12ihipStream_tbEUlT_E0_NS1_11comp_targetILNS1_3genE2ELNS1_11target_archE906ELNS1_3gpuE6ELNS1_3repE0EEENS1_52radix_sort_onesweep_histogram_config_static_selectorELNS0_4arch9wavefront6targetE1EEEvSE_: ; @_ZN7rocprim17ROCPRIM_400000_NS6detail17trampoline_kernelINS0_14default_configENS1_35radix_sort_onesweep_config_selectorIllEEZNS1_34radix_sort_onesweep_global_offsetsIS3_Lb0EPlN6thrust23THRUST_200600_302600_NS10device_ptrIlEEjNS0_19identity_decomposerEEE10hipError_tT1_T2_PT3_SG_jT4_jjP12ihipStream_tbEUlT_E0_NS1_11comp_targetILNS1_3genE2ELNS1_11target_archE906ELNS1_3gpuE6ELNS1_3repE0EEENS1_52radix_sort_onesweep_histogram_config_static_selectorELNS0_4arch9wavefront6targetE1EEEvSE_
; %bb.0:
	.section	.rodata,"a",@progbits
	.p2align	6, 0x0
	.amdhsa_kernel _ZN7rocprim17ROCPRIM_400000_NS6detail17trampoline_kernelINS0_14default_configENS1_35radix_sort_onesweep_config_selectorIllEEZNS1_34radix_sort_onesweep_global_offsetsIS3_Lb0EPlN6thrust23THRUST_200600_302600_NS10device_ptrIlEEjNS0_19identity_decomposerEEE10hipError_tT1_T2_PT3_SG_jT4_jjP12ihipStream_tbEUlT_E0_NS1_11comp_targetILNS1_3genE2ELNS1_11target_archE906ELNS1_3gpuE6ELNS1_3repE0EEENS1_52radix_sort_onesweep_histogram_config_static_selectorELNS0_4arch9wavefront6targetE1EEEvSE_
		.amdhsa_group_segment_fixed_size 0
		.amdhsa_private_segment_fixed_size 0
		.amdhsa_kernarg_size 8
		.amdhsa_user_sgpr_count 6
		.amdhsa_user_sgpr_private_segment_buffer 1
		.amdhsa_user_sgpr_dispatch_ptr 0
		.amdhsa_user_sgpr_queue_ptr 0
		.amdhsa_user_sgpr_kernarg_segment_ptr 1
		.amdhsa_user_sgpr_dispatch_id 0
		.amdhsa_user_sgpr_flat_scratch_init 0
		.amdhsa_user_sgpr_kernarg_preload_length 0
		.amdhsa_user_sgpr_kernarg_preload_offset 0
		.amdhsa_user_sgpr_private_segment_size 0
		.amdhsa_uses_dynamic_stack 0
		.amdhsa_system_sgpr_private_segment_wavefront_offset 0
		.amdhsa_system_sgpr_workgroup_id_x 1
		.amdhsa_system_sgpr_workgroup_id_y 0
		.amdhsa_system_sgpr_workgroup_id_z 0
		.amdhsa_system_sgpr_workgroup_info 0
		.amdhsa_system_vgpr_workitem_id 0
		.amdhsa_next_free_vgpr 1
		.amdhsa_next_free_sgpr 0
		.amdhsa_accum_offset 4
		.amdhsa_reserve_vcc 0
		.amdhsa_reserve_flat_scratch 0
		.amdhsa_float_round_mode_32 0
		.amdhsa_float_round_mode_16_64 0
		.amdhsa_float_denorm_mode_32 3
		.amdhsa_float_denorm_mode_16_64 3
		.amdhsa_dx10_clamp 1
		.amdhsa_ieee_mode 1
		.amdhsa_fp16_overflow 0
		.amdhsa_tg_split 0
		.amdhsa_exception_fp_ieee_invalid_op 0
		.amdhsa_exception_fp_denorm_src 0
		.amdhsa_exception_fp_ieee_div_zero 0
		.amdhsa_exception_fp_ieee_overflow 0
		.amdhsa_exception_fp_ieee_underflow 0
		.amdhsa_exception_fp_ieee_inexact 0
		.amdhsa_exception_int_div_zero 0
	.end_amdhsa_kernel
	.section	.text._ZN7rocprim17ROCPRIM_400000_NS6detail17trampoline_kernelINS0_14default_configENS1_35radix_sort_onesweep_config_selectorIllEEZNS1_34radix_sort_onesweep_global_offsetsIS3_Lb0EPlN6thrust23THRUST_200600_302600_NS10device_ptrIlEEjNS0_19identity_decomposerEEE10hipError_tT1_T2_PT3_SG_jT4_jjP12ihipStream_tbEUlT_E0_NS1_11comp_targetILNS1_3genE2ELNS1_11target_archE906ELNS1_3gpuE6ELNS1_3repE0EEENS1_52radix_sort_onesweep_histogram_config_static_selectorELNS0_4arch9wavefront6targetE1EEEvSE_,"axG",@progbits,_ZN7rocprim17ROCPRIM_400000_NS6detail17trampoline_kernelINS0_14default_configENS1_35radix_sort_onesweep_config_selectorIllEEZNS1_34radix_sort_onesweep_global_offsetsIS3_Lb0EPlN6thrust23THRUST_200600_302600_NS10device_ptrIlEEjNS0_19identity_decomposerEEE10hipError_tT1_T2_PT3_SG_jT4_jjP12ihipStream_tbEUlT_E0_NS1_11comp_targetILNS1_3genE2ELNS1_11target_archE906ELNS1_3gpuE6ELNS1_3repE0EEENS1_52radix_sort_onesweep_histogram_config_static_selectorELNS0_4arch9wavefront6targetE1EEEvSE_,comdat
.Lfunc_end1126:
	.size	_ZN7rocprim17ROCPRIM_400000_NS6detail17trampoline_kernelINS0_14default_configENS1_35radix_sort_onesweep_config_selectorIllEEZNS1_34radix_sort_onesweep_global_offsetsIS3_Lb0EPlN6thrust23THRUST_200600_302600_NS10device_ptrIlEEjNS0_19identity_decomposerEEE10hipError_tT1_T2_PT3_SG_jT4_jjP12ihipStream_tbEUlT_E0_NS1_11comp_targetILNS1_3genE2ELNS1_11target_archE906ELNS1_3gpuE6ELNS1_3repE0EEENS1_52radix_sort_onesweep_histogram_config_static_selectorELNS0_4arch9wavefront6targetE1EEEvSE_, .Lfunc_end1126-_ZN7rocprim17ROCPRIM_400000_NS6detail17trampoline_kernelINS0_14default_configENS1_35radix_sort_onesweep_config_selectorIllEEZNS1_34radix_sort_onesweep_global_offsetsIS3_Lb0EPlN6thrust23THRUST_200600_302600_NS10device_ptrIlEEjNS0_19identity_decomposerEEE10hipError_tT1_T2_PT3_SG_jT4_jjP12ihipStream_tbEUlT_E0_NS1_11comp_targetILNS1_3genE2ELNS1_11target_archE906ELNS1_3gpuE6ELNS1_3repE0EEENS1_52radix_sort_onesweep_histogram_config_static_selectorELNS0_4arch9wavefront6targetE1EEEvSE_
                                        ; -- End function
	.section	.AMDGPU.csdata,"",@progbits
; Kernel info:
; codeLenInByte = 0
; NumSgprs: 4
; NumVgprs: 0
; NumAgprs: 0
; TotalNumVgprs: 0
; ScratchSize: 0
; MemoryBound: 0
; FloatMode: 240
; IeeeMode: 1
; LDSByteSize: 0 bytes/workgroup (compile time only)
; SGPRBlocks: 0
; VGPRBlocks: 0
; NumSGPRsForWavesPerEU: 4
; NumVGPRsForWavesPerEU: 1
; AccumOffset: 4
; Occupancy: 8
; WaveLimiterHint : 0
; COMPUTE_PGM_RSRC2:SCRATCH_EN: 0
; COMPUTE_PGM_RSRC2:USER_SGPR: 6
; COMPUTE_PGM_RSRC2:TRAP_HANDLER: 0
; COMPUTE_PGM_RSRC2:TGID_X_EN: 1
; COMPUTE_PGM_RSRC2:TGID_Y_EN: 0
; COMPUTE_PGM_RSRC2:TGID_Z_EN: 0
; COMPUTE_PGM_RSRC2:TIDIG_COMP_CNT: 0
; COMPUTE_PGM_RSRC3_GFX90A:ACCUM_OFFSET: 0
; COMPUTE_PGM_RSRC3_GFX90A:TG_SPLIT: 0
	.section	.text._ZN7rocprim17ROCPRIM_400000_NS6detail17trampoline_kernelINS0_14default_configENS1_35radix_sort_onesweep_config_selectorIllEEZNS1_34radix_sort_onesweep_global_offsetsIS3_Lb0EPlN6thrust23THRUST_200600_302600_NS10device_ptrIlEEjNS0_19identity_decomposerEEE10hipError_tT1_T2_PT3_SG_jT4_jjP12ihipStream_tbEUlT_E0_NS1_11comp_targetILNS1_3genE4ELNS1_11target_archE910ELNS1_3gpuE8ELNS1_3repE0EEENS1_52radix_sort_onesweep_histogram_config_static_selectorELNS0_4arch9wavefront6targetE1EEEvSE_,"axG",@progbits,_ZN7rocprim17ROCPRIM_400000_NS6detail17trampoline_kernelINS0_14default_configENS1_35radix_sort_onesweep_config_selectorIllEEZNS1_34radix_sort_onesweep_global_offsetsIS3_Lb0EPlN6thrust23THRUST_200600_302600_NS10device_ptrIlEEjNS0_19identity_decomposerEEE10hipError_tT1_T2_PT3_SG_jT4_jjP12ihipStream_tbEUlT_E0_NS1_11comp_targetILNS1_3genE4ELNS1_11target_archE910ELNS1_3gpuE8ELNS1_3repE0EEENS1_52radix_sort_onesweep_histogram_config_static_selectorELNS0_4arch9wavefront6targetE1EEEvSE_,comdat
	.protected	_ZN7rocprim17ROCPRIM_400000_NS6detail17trampoline_kernelINS0_14default_configENS1_35radix_sort_onesweep_config_selectorIllEEZNS1_34radix_sort_onesweep_global_offsetsIS3_Lb0EPlN6thrust23THRUST_200600_302600_NS10device_ptrIlEEjNS0_19identity_decomposerEEE10hipError_tT1_T2_PT3_SG_jT4_jjP12ihipStream_tbEUlT_E0_NS1_11comp_targetILNS1_3genE4ELNS1_11target_archE910ELNS1_3gpuE8ELNS1_3repE0EEENS1_52radix_sort_onesweep_histogram_config_static_selectorELNS0_4arch9wavefront6targetE1EEEvSE_ ; -- Begin function _ZN7rocprim17ROCPRIM_400000_NS6detail17trampoline_kernelINS0_14default_configENS1_35radix_sort_onesweep_config_selectorIllEEZNS1_34radix_sort_onesweep_global_offsetsIS3_Lb0EPlN6thrust23THRUST_200600_302600_NS10device_ptrIlEEjNS0_19identity_decomposerEEE10hipError_tT1_T2_PT3_SG_jT4_jjP12ihipStream_tbEUlT_E0_NS1_11comp_targetILNS1_3genE4ELNS1_11target_archE910ELNS1_3gpuE8ELNS1_3repE0EEENS1_52radix_sort_onesweep_histogram_config_static_selectorELNS0_4arch9wavefront6targetE1EEEvSE_
	.globl	_ZN7rocprim17ROCPRIM_400000_NS6detail17trampoline_kernelINS0_14default_configENS1_35radix_sort_onesweep_config_selectorIllEEZNS1_34radix_sort_onesweep_global_offsetsIS3_Lb0EPlN6thrust23THRUST_200600_302600_NS10device_ptrIlEEjNS0_19identity_decomposerEEE10hipError_tT1_T2_PT3_SG_jT4_jjP12ihipStream_tbEUlT_E0_NS1_11comp_targetILNS1_3genE4ELNS1_11target_archE910ELNS1_3gpuE8ELNS1_3repE0EEENS1_52radix_sort_onesweep_histogram_config_static_selectorELNS0_4arch9wavefront6targetE1EEEvSE_
	.p2align	8
	.type	_ZN7rocprim17ROCPRIM_400000_NS6detail17trampoline_kernelINS0_14default_configENS1_35radix_sort_onesweep_config_selectorIllEEZNS1_34radix_sort_onesweep_global_offsetsIS3_Lb0EPlN6thrust23THRUST_200600_302600_NS10device_ptrIlEEjNS0_19identity_decomposerEEE10hipError_tT1_T2_PT3_SG_jT4_jjP12ihipStream_tbEUlT_E0_NS1_11comp_targetILNS1_3genE4ELNS1_11target_archE910ELNS1_3gpuE8ELNS1_3repE0EEENS1_52radix_sort_onesweep_histogram_config_static_selectorELNS0_4arch9wavefront6targetE1EEEvSE_,@function
_ZN7rocprim17ROCPRIM_400000_NS6detail17trampoline_kernelINS0_14default_configENS1_35radix_sort_onesweep_config_selectorIllEEZNS1_34radix_sort_onesweep_global_offsetsIS3_Lb0EPlN6thrust23THRUST_200600_302600_NS10device_ptrIlEEjNS0_19identity_decomposerEEE10hipError_tT1_T2_PT3_SG_jT4_jjP12ihipStream_tbEUlT_E0_NS1_11comp_targetILNS1_3genE4ELNS1_11target_archE910ELNS1_3gpuE8ELNS1_3repE0EEENS1_52radix_sort_onesweep_histogram_config_static_selectorELNS0_4arch9wavefront6targetE1EEEvSE_: ; @_ZN7rocprim17ROCPRIM_400000_NS6detail17trampoline_kernelINS0_14default_configENS1_35radix_sort_onesweep_config_selectorIllEEZNS1_34radix_sort_onesweep_global_offsetsIS3_Lb0EPlN6thrust23THRUST_200600_302600_NS10device_ptrIlEEjNS0_19identity_decomposerEEE10hipError_tT1_T2_PT3_SG_jT4_jjP12ihipStream_tbEUlT_E0_NS1_11comp_targetILNS1_3genE4ELNS1_11target_archE910ELNS1_3gpuE8ELNS1_3repE0EEENS1_52radix_sort_onesweep_histogram_config_static_selectorELNS0_4arch9wavefront6targetE1EEEvSE_
; %bb.0:
	s_load_dwordx2 s[0:1], s[4:5], 0x0
	s_lshl_b32 s2, s6, 8
	s_mov_b32 s3, 0
	s_lshl_b64 s[2:3], s[2:3], 2
	v_lshlrev_b32_e32 v1, 2, v0
	s_waitcnt lgkmcnt(0)
	s_add_u32 s10, s0, s2
	s_movk_i32 s0, 0x100
	s_addc_u32 s11, s1, s3
	v_cmp_gt_u32_e32 vcc, s0, v0
                                        ; implicit-def: $vgpr3
	s_and_saveexec_b64 s[0:1], vcc
	s_cbranch_execz .LBB1127_2
; %bb.1:
	global_load_dword v3, v1, s[10:11]
.LBB1127_2:
	s_or_b64 exec, exec, s[0:1]
	v_mbcnt_lo_u32_b32 v2, -1, 0
	v_mbcnt_hi_u32_b32 v2, -1, v2
	v_and_b32_e32 v4, 15, v2
	s_waitcnt vmcnt(0)
	v_mov_b32_dpp v5, v3 row_shr:1 row_mask:0xf bank_mask:0xf
	v_cmp_eq_u32_e64 s[0:1], 0, v4
	v_cndmask_b32_e64 v5, v5, 0, s[0:1]
	v_add_u32_e32 v3, v5, v3
	v_cmp_lt_u32_e64 s[2:3], 1, v4
	v_cmp_lt_u32_e64 s[4:5], 3, v4
	v_mov_b32_dpp v5, v3 row_shr:2 row_mask:0xf bank_mask:0xf
	v_cndmask_b32_e64 v5, 0, v5, s[2:3]
	v_add_u32_e32 v3, v3, v5
	v_cmp_lt_u32_e64 s[6:7], 7, v4
	v_cmp_lt_u32_e64 s[8:9], 31, v2
	v_mov_b32_dpp v5, v3 row_shr:4 row_mask:0xf bank_mask:0xf
	v_cndmask_b32_e64 v5, 0, v5, s[4:5]
	v_add_u32_e32 v3, v3, v5
	s_nop 1
	v_mov_b32_dpp v5, v3 row_shr:8 row_mask:0xf bank_mask:0xf
	v_cndmask_b32_e64 v4, 0, v5, s[6:7]
	v_add_u32_e32 v3, v3, v4
	v_bfe_i32 v5, v2, 4, 1
	s_nop 0
	v_mov_b32_dpp v4, v3 row_bcast:15 row_mask:0xf bank_mask:0xf
	v_and_b32_e32 v4, v5, v4
	v_add_u32_e32 v3, v3, v4
	v_and_b32_e32 v5, 63, v0
	s_nop 0
	v_mov_b32_dpp v4, v3 row_bcast:31 row_mask:0xf bank_mask:0xf
	v_cndmask_b32_e64 v4, 0, v4, s[8:9]
	v_add_u32_e32 v3, v3, v4
	v_lshrrev_b32_e32 v4, 6, v0
	v_cmp_eq_u32_e64 s[8:9], 63, v5
	s_and_saveexec_b64 s[12:13], s[8:9]
	s_cbranch_execz .LBB1127_4
; %bb.3:
	v_lshlrev_b32_e32 v5, 2, v4
	ds_write_b32 v5, v3
.LBB1127_4:
	s_or_b64 exec, exec, s[12:13]
	v_cmp_gt_u32_e64 s[8:9], 16, v0
	s_waitcnt lgkmcnt(0)
	s_barrier
	s_and_saveexec_b64 s[12:13], s[8:9]
	s_cbranch_execz .LBB1127_6
; %bb.5:
	ds_read_b32 v5, v1
	s_waitcnt lgkmcnt(0)
	s_nop 0
	v_mov_b32_dpp v6, v5 row_shr:1 row_mask:0xf bank_mask:0xf
	v_cndmask_b32_e64 v6, v6, 0, s[0:1]
	v_add_u32_e32 v5, v6, v5
	s_nop 1
	v_mov_b32_dpp v6, v5 row_shr:2 row_mask:0xf bank_mask:0xf
	v_cndmask_b32_e64 v6, 0, v6, s[2:3]
	v_add_u32_e32 v5, v5, v6
	s_nop 1
	v_mov_b32_dpp v6, v5 row_shr:4 row_mask:0xf bank_mask:0xf
	v_cndmask_b32_e64 v6, 0, v6, s[4:5]
	v_add_u32_e32 v5, v5, v6
	s_nop 1
	v_mov_b32_dpp v6, v5 row_shr:8 row_mask:0xf bank_mask:0xf
	v_cndmask_b32_e64 v6, 0, v6, s[6:7]
	v_add_u32_e32 v5, v5, v6
	ds_write_b32 v1, v5
.LBB1127_6:
	s_or_b64 exec, exec, s[12:13]
	v_cmp_lt_u32_e64 s[0:1], 63, v0
	v_mov_b32_e32 v0, 0
	s_waitcnt lgkmcnt(0)
	s_barrier
	s_and_saveexec_b64 s[2:3], s[0:1]
	s_cbranch_execz .LBB1127_8
; %bb.7:
	v_lshl_add_u32 v0, v4, 2, -4
	ds_read_b32 v0, v0
.LBB1127_8:
	s_or_b64 exec, exec, s[2:3]
	v_add_u32_e32 v4, -1, v2
	v_and_b32_e32 v5, 64, v2
	v_cmp_lt_i32_e64 s[0:1], v4, v5
	v_cndmask_b32_e64 v4, v4, v2, s[0:1]
	s_waitcnt lgkmcnt(0)
	v_add_u32_e32 v3, v0, v3
	v_lshlrev_b32_e32 v4, 2, v4
	ds_bpermute_b32 v3, v4, v3
	s_and_saveexec_b64 s[0:1], vcc
	s_cbranch_execz .LBB1127_10
; %bb.9:
	v_cmp_eq_u32_e32 vcc, 0, v2
	s_waitcnt lgkmcnt(0)
	v_cndmask_b32_e32 v0, v3, v0, vcc
	global_store_dword v1, v0, s[10:11]
.LBB1127_10:
	s_endpgm
	.section	.rodata,"a",@progbits
	.p2align	6, 0x0
	.amdhsa_kernel _ZN7rocprim17ROCPRIM_400000_NS6detail17trampoline_kernelINS0_14default_configENS1_35radix_sort_onesweep_config_selectorIllEEZNS1_34radix_sort_onesweep_global_offsetsIS3_Lb0EPlN6thrust23THRUST_200600_302600_NS10device_ptrIlEEjNS0_19identity_decomposerEEE10hipError_tT1_T2_PT3_SG_jT4_jjP12ihipStream_tbEUlT_E0_NS1_11comp_targetILNS1_3genE4ELNS1_11target_archE910ELNS1_3gpuE8ELNS1_3repE0EEENS1_52radix_sort_onesweep_histogram_config_static_selectorELNS0_4arch9wavefront6targetE1EEEvSE_
		.amdhsa_group_segment_fixed_size 64
		.amdhsa_private_segment_fixed_size 0
		.amdhsa_kernarg_size 8
		.amdhsa_user_sgpr_count 6
		.amdhsa_user_sgpr_private_segment_buffer 1
		.amdhsa_user_sgpr_dispatch_ptr 0
		.amdhsa_user_sgpr_queue_ptr 0
		.amdhsa_user_sgpr_kernarg_segment_ptr 1
		.amdhsa_user_sgpr_dispatch_id 0
		.amdhsa_user_sgpr_flat_scratch_init 0
		.amdhsa_user_sgpr_kernarg_preload_length 0
		.amdhsa_user_sgpr_kernarg_preload_offset 0
		.amdhsa_user_sgpr_private_segment_size 0
		.amdhsa_uses_dynamic_stack 0
		.amdhsa_system_sgpr_private_segment_wavefront_offset 0
		.amdhsa_system_sgpr_workgroup_id_x 1
		.amdhsa_system_sgpr_workgroup_id_y 0
		.amdhsa_system_sgpr_workgroup_id_z 0
		.amdhsa_system_sgpr_workgroup_info 0
		.amdhsa_system_vgpr_workitem_id 0
		.amdhsa_next_free_vgpr 7
		.amdhsa_next_free_sgpr 14
		.amdhsa_accum_offset 8
		.amdhsa_reserve_vcc 1
		.amdhsa_reserve_flat_scratch 0
		.amdhsa_float_round_mode_32 0
		.amdhsa_float_round_mode_16_64 0
		.amdhsa_float_denorm_mode_32 3
		.amdhsa_float_denorm_mode_16_64 3
		.amdhsa_dx10_clamp 1
		.amdhsa_ieee_mode 1
		.amdhsa_fp16_overflow 0
		.amdhsa_tg_split 0
		.amdhsa_exception_fp_ieee_invalid_op 0
		.amdhsa_exception_fp_denorm_src 0
		.amdhsa_exception_fp_ieee_div_zero 0
		.amdhsa_exception_fp_ieee_overflow 0
		.amdhsa_exception_fp_ieee_underflow 0
		.amdhsa_exception_fp_ieee_inexact 0
		.amdhsa_exception_int_div_zero 0
	.end_amdhsa_kernel
	.section	.text._ZN7rocprim17ROCPRIM_400000_NS6detail17trampoline_kernelINS0_14default_configENS1_35radix_sort_onesweep_config_selectorIllEEZNS1_34radix_sort_onesweep_global_offsetsIS3_Lb0EPlN6thrust23THRUST_200600_302600_NS10device_ptrIlEEjNS0_19identity_decomposerEEE10hipError_tT1_T2_PT3_SG_jT4_jjP12ihipStream_tbEUlT_E0_NS1_11comp_targetILNS1_3genE4ELNS1_11target_archE910ELNS1_3gpuE8ELNS1_3repE0EEENS1_52radix_sort_onesweep_histogram_config_static_selectorELNS0_4arch9wavefront6targetE1EEEvSE_,"axG",@progbits,_ZN7rocprim17ROCPRIM_400000_NS6detail17trampoline_kernelINS0_14default_configENS1_35radix_sort_onesweep_config_selectorIllEEZNS1_34radix_sort_onesweep_global_offsetsIS3_Lb0EPlN6thrust23THRUST_200600_302600_NS10device_ptrIlEEjNS0_19identity_decomposerEEE10hipError_tT1_T2_PT3_SG_jT4_jjP12ihipStream_tbEUlT_E0_NS1_11comp_targetILNS1_3genE4ELNS1_11target_archE910ELNS1_3gpuE8ELNS1_3repE0EEENS1_52radix_sort_onesweep_histogram_config_static_selectorELNS0_4arch9wavefront6targetE1EEEvSE_,comdat
.Lfunc_end1127:
	.size	_ZN7rocprim17ROCPRIM_400000_NS6detail17trampoline_kernelINS0_14default_configENS1_35radix_sort_onesweep_config_selectorIllEEZNS1_34radix_sort_onesweep_global_offsetsIS3_Lb0EPlN6thrust23THRUST_200600_302600_NS10device_ptrIlEEjNS0_19identity_decomposerEEE10hipError_tT1_T2_PT3_SG_jT4_jjP12ihipStream_tbEUlT_E0_NS1_11comp_targetILNS1_3genE4ELNS1_11target_archE910ELNS1_3gpuE8ELNS1_3repE0EEENS1_52radix_sort_onesweep_histogram_config_static_selectorELNS0_4arch9wavefront6targetE1EEEvSE_, .Lfunc_end1127-_ZN7rocprim17ROCPRIM_400000_NS6detail17trampoline_kernelINS0_14default_configENS1_35radix_sort_onesweep_config_selectorIllEEZNS1_34radix_sort_onesweep_global_offsetsIS3_Lb0EPlN6thrust23THRUST_200600_302600_NS10device_ptrIlEEjNS0_19identity_decomposerEEE10hipError_tT1_T2_PT3_SG_jT4_jjP12ihipStream_tbEUlT_E0_NS1_11comp_targetILNS1_3genE4ELNS1_11target_archE910ELNS1_3gpuE8ELNS1_3repE0EEENS1_52radix_sort_onesweep_histogram_config_static_selectorELNS0_4arch9wavefront6targetE1EEEvSE_
                                        ; -- End function
	.section	.AMDGPU.csdata,"",@progbits
; Kernel info:
; codeLenInByte = 572
; NumSgprs: 18
; NumVgprs: 7
; NumAgprs: 0
; TotalNumVgprs: 7
; ScratchSize: 0
; MemoryBound: 0
; FloatMode: 240
; IeeeMode: 1
; LDSByteSize: 64 bytes/workgroup (compile time only)
; SGPRBlocks: 2
; VGPRBlocks: 0
; NumSGPRsForWavesPerEU: 18
; NumVGPRsForWavesPerEU: 7
; AccumOffset: 8
; Occupancy: 8
; WaveLimiterHint : 0
; COMPUTE_PGM_RSRC2:SCRATCH_EN: 0
; COMPUTE_PGM_RSRC2:USER_SGPR: 6
; COMPUTE_PGM_RSRC2:TRAP_HANDLER: 0
; COMPUTE_PGM_RSRC2:TGID_X_EN: 1
; COMPUTE_PGM_RSRC2:TGID_Y_EN: 0
; COMPUTE_PGM_RSRC2:TGID_Z_EN: 0
; COMPUTE_PGM_RSRC2:TIDIG_COMP_CNT: 0
; COMPUTE_PGM_RSRC3_GFX90A:ACCUM_OFFSET: 1
; COMPUTE_PGM_RSRC3_GFX90A:TG_SPLIT: 0
	.section	.text._ZN7rocprim17ROCPRIM_400000_NS6detail17trampoline_kernelINS0_14default_configENS1_35radix_sort_onesweep_config_selectorIllEEZNS1_34radix_sort_onesweep_global_offsetsIS3_Lb0EPlN6thrust23THRUST_200600_302600_NS10device_ptrIlEEjNS0_19identity_decomposerEEE10hipError_tT1_T2_PT3_SG_jT4_jjP12ihipStream_tbEUlT_E0_NS1_11comp_targetILNS1_3genE3ELNS1_11target_archE908ELNS1_3gpuE7ELNS1_3repE0EEENS1_52radix_sort_onesweep_histogram_config_static_selectorELNS0_4arch9wavefront6targetE1EEEvSE_,"axG",@progbits,_ZN7rocprim17ROCPRIM_400000_NS6detail17trampoline_kernelINS0_14default_configENS1_35radix_sort_onesweep_config_selectorIllEEZNS1_34radix_sort_onesweep_global_offsetsIS3_Lb0EPlN6thrust23THRUST_200600_302600_NS10device_ptrIlEEjNS0_19identity_decomposerEEE10hipError_tT1_T2_PT3_SG_jT4_jjP12ihipStream_tbEUlT_E0_NS1_11comp_targetILNS1_3genE3ELNS1_11target_archE908ELNS1_3gpuE7ELNS1_3repE0EEENS1_52radix_sort_onesweep_histogram_config_static_selectorELNS0_4arch9wavefront6targetE1EEEvSE_,comdat
	.protected	_ZN7rocprim17ROCPRIM_400000_NS6detail17trampoline_kernelINS0_14default_configENS1_35radix_sort_onesweep_config_selectorIllEEZNS1_34radix_sort_onesweep_global_offsetsIS3_Lb0EPlN6thrust23THRUST_200600_302600_NS10device_ptrIlEEjNS0_19identity_decomposerEEE10hipError_tT1_T2_PT3_SG_jT4_jjP12ihipStream_tbEUlT_E0_NS1_11comp_targetILNS1_3genE3ELNS1_11target_archE908ELNS1_3gpuE7ELNS1_3repE0EEENS1_52radix_sort_onesweep_histogram_config_static_selectorELNS0_4arch9wavefront6targetE1EEEvSE_ ; -- Begin function _ZN7rocprim17ROCPRIM_400000_NS6detail17trampoline_kernelINS0_14default_configENS1_35radix_sort_onesweep_config_selectorIllEEZNS1_34radix_sort_onesweep_global_offsetsIS3_Lb0EPlN6thrust23THRUST_200600_302600_NS10device_ptrIlEEjNS0_19identity_decomposerEEE10hipError_tT1_T2_PT3_SG_jT4_jjP12ihipStream_tbEUlT_E0_NS1_11comp_targetILNS1_3genE3ELNS1_11target_archE908ELNS1_3gpuE7ELNS1_3repE0EEENS1_52radix_sort_onesweep_histogram_config_static_selectorELNS0_4arch9wavefront6targetE1EEEvSE_
	.globl	_ZN7rocprim17ROCPRIM_400000_NS6detail17trampoline_kernelINS0_14default_configENS1_35radix_sort_onesweep_config_selectorIllEEZNS1_34radix_sort_onesweep_global_offsetsIS3_Lb0EPlN6thrust23THRUST_200600_302600_NS10device_ptrIlEEjNS0_19identity_decomposerEEE10hipError_tT1_T2_PT3_SG_jT4_jjP12ihipStream_tbEUlT_E0_NS1_11comp_targetILNS1_3genE3ELNS1_11target_archE908ELNS1_3gpuE7ELNS1_3repE0EEENS1_52radix_sort_onesweep_histogram_config_static_selectorELNS0_4arch9wavefront6targetE1EEEvSE_
	.p2align	8
	.type	_ZN7rocprim17ROCPRIM_400000_NS6detail17trampoline_kernelINS0_14default_configENS1_35radix_sort_onesweep_config_selectorIllEEZNS1_34radix_sort_onesweep_global_offsetsIS3_Lb0EPlN6thrust23THRUST_200600_302600_NS10device_ptrIlEEjNS0_19identity_decomposerEEE10hipError_tT1_T2_PT3_SG_jT4_jjP12ihipStream_tbEUlT_E0_NS1_11comp_targetILNS1_3genE3ELNS1_11target_archE908ELNS1_3gpuE7ELNS1_3repE0EEENS1_52radix_sort_onesweep_histogram_config_static_selectorELNS0_4arch9wavefront6targetE1EEEvSE_,@function
_ZN7rocprim17ROCPRIM_400000_NS6detail17trampoline_kernelINS0_14default_configENS1_35radix_sort_onesweep_config_selectorIllEEZNS1_34radix_sort_onesweep_global_offsetsIS3_Lb0EPlN6thrust23THRUST_200600_302600_NS10device_ptrIlEEjNS0_19identity_decomposerEEE10hipError_tT1_T2_PT3_SG_jT4_jjP12ihipStream_tbEUlT_E0_NS1_11comp_targetILNS1_3genE3ELNS1_11target_archE908ELNS1_3gpuE7ELNS1_3repE0EEENS1_52radix_sort_onesweep_histogram_config_static_selectorELNS0_4arch9wavefront6targetE1EEEvSE_: ; @_ZN7rocprim17ROCPRIM_400000_NS6detail17trampoline_kernelINS0_14default_configENS1_35radix_sort_onesweep_config_selectorIllEEZNS1_34radix_sort_onesweep_global_offsetsIS3_Lb0EPlN6thrust23THRUST_200600_302600_NS10device_ptrIlEEjNS0_19identity_decomposerEEE10hipError_tT1_T2_PT3_SG_jT4_jjP12ihipStream_tbEUlT_E0_NS1_11comp_targetILNS1_3genE3ELNS1_11target_archE908ELNS1_3gpuE7ELNS1_3repE0EEENS1_52radix_sort_onesweep_histogram_config_static_selectorELNS0_4arch9wavefront6targetE1EEEvSE_
; %bb.0:
	.section	.rodata,"a",@progbits
	.p2align	6, 0x0
	.amdhsa_kernel _ZN7rocprim17ROCPRIM_400000_NS6detail17trampoline_kernelINS0_14default_configENS1_35radix_sort_onesweep_config_selectorIllEEZNS1_34radix_sort_onesweep_global_offsetsIS3_Lb0EPlN6thrust23THRUST_200600_302600_NS10device_ptrIlEEjNS0_19identity_decomposerEEE10hipError_tT1_T2_PT3_SG_jT4_jjP12ihipStream_tbEUlT_E0_NS1_11comp_targetILNS1_3genE3ELNS1_11target_archE908ELNS1_3gpuE7ELNS1_3repE0EEENS1_52radix_sort_onesweep_histogram_config_static_selectorELNS0_4arch9wavefront6targetE1EEEvSE_
		.amdhsa_group_segment_fixed_size 0
		.amdhsa_private_segment_fixed_size 0
		.amdhsa_kernarg_size 8
		.amdhsa_user_sgpr_count 6
		.amdhsa_user_sgpr_private_segment_buffer 1
		.amdhsa_user_sgpr_dispatch_ptr 0
		.amdhsa_user_sgpr_queue_ptr 0
		.amdhsa_user_sgpr_kernarg_segment_ptr 1
		.amdhsa_user_sgpr_dispatch_id 0
		.amdhsa_user_sgpr_flat_scratch_init 0
		.amdhsa_user_sgpr_kernarg_preload_length 0
		.amdhsa_user_sgpr_kernarg_preload_offset 0
		.amdhsa_user_sgpr_private_segment_size 0
		.amdhsa_uses_dynamic_stack 0
		.amdhsa_system_sgpr_private_segment_wavefront_offset 0
		.amdhsa_system_sgpr_workgroup_id_x 1
		.amdhsa_system_sgpr_workgroup_id_y 0
		.amdhsa_system_sgpr_workgroup_id_z 0
		.amdhsa_system_sgpr_workgroup_info 0
		.amdhsa_system_vgpr_workitem_id 0
		.amdhsa_next_free_vgpr 1
		.amdhsa_next_free_sgpr 0
		.amdhsa_accum_offset 4
		.amdhsa_reserve_vcc 0
		.amdhsa_reserve_flat_scratch 0
		.amdhsa_float_round_mode_32 0
		.amdhsa_float_round_mode_16_64 0
		.amdhsa_float_denorm_mode_32 3
		.amdhsa_float_denorm_mode_16_64 3
		.amdhsa_dx10_clamp 1
		.amdhsa_ieee_mode 1
		.amdhsa_fp16_overflow 0
		.amdhsa_tg_split 0
		.amdhsa_exception_fp_ieee_invalid_op 0
		.amdhsa_exception_fp_denorm_src 0
		.amdhsa_exception_fp_ieee_div_zero 0
		.amdhsa_exception_fp_ieee_overflow 0
		.amdhsa_exception_fp_ieee_underflow 0
		.amdhsa_exception_fp_ieee_inexact 0
		.amdhsa_exception_int_div_zero 0
	.end_amdhsa_kernel
	.section	.text._ZN7rocprim17ROCPRIM_400000_NS6detail17trampoline_kernelINS0_14default_configENS1_35radix_sort_onesweep_config_selectorIllEEZNS1_34radix_sort_onesweep_global_offsetsIS3_Lb0EPlN6thrust23THRUST_200600_302600_NS10device_ptrIlEEjNS0_19identity_decomposerEEE10hipError_tT1_T2_PT3_SG_jT4_jjP12ihipStream_tbEUlT_E0_NS1_11comp_targetILNS1_3genE3ELNS1_11target_archE908ELNS1_3gpuE7ELNS1_3repE0EEENS1_52radix_sort_onesweep_histogram_config_static_selectorELNS0_4arch9wavefront6targetE1EEEvSE_,"axG",@progbits,_ZN7rocprim17ROCPRIM_400000_NS6detail17trampoline_kernelINS0_14default_configENS1_35radix_sort_onesweep_config_selectorIllEEZNS1_34radix_sort_onesweep_global_offsetsIS3_Lb0EPlN6thrust23THRUST_200600_302600_NS10device_ptrIlEEjNS0_19identity_decomposerEEE10hipError_tT1_T2_PT3_SG_jT4_jjP12ihipStream_tbEUlT_E0_NS1_11comp_targetILNS1_3genE3ELNS1_11target_archE908ELNS1_3gpuE7ELNS1_3repE0EEENS1_52radix_sort_onesweep_histogram_config_static_selectorELNS0_4arch9wavefront6targetE1EEEvSE_,comdat
.Lfunc_end1128:
	.size	_ZN7rocprim17ROCPRIM_400000_NS6detail17trampoline_kernelINS0_14default_configENS1_35radix_sort_onesweep_config_selectorIllEEZNS1_34radix_sort_onesweep_global_offsetsIS3_Lb0EPlN6thrust23THRUST_200600_302600_NS10device_ptrIlEEjNS0_19identity_decomposerEEE10hipError_tT1_T2_PT3_SG_jT4_jjP12ihipStream_tbEUlT_E0_NS1_11comp_targetILNS1_3genE3ELNS1_11target_archE908ELNS1_3gpuE7ELNS1_3repE0EEENS1_52radix_sort_onesweep_histogram_config_static_selectorELNS0_4arch9wavefront6targetE1EEEvSE_, .Lfunc_end1128-_ZN7rocprim17ROCPRIM_400000_NS6detail17trampoline_kernelINS0_14default_configENS1_35radix_sort_onesweep_config_selectorIllEEZNS1_34radix_sort_onesweep_global_offsetsIS3_Lb0EPlN6thrust23THRUST_200600_302600_NS10device_ptrIlEEjNS0_19identity_decomposerEEE10hipError_tT1_T2_PT3_SG_jT4_jjP12ihipStream_tbEUlT_E0_NS1_11comp_targetILNS1_3genE3ELNS1_11target_archE908ELNS1_3gpuE7ELNS1_3repE0EEENS1_52radix_sort_onesweep_histogram_config_static_selectorELNS0_4arch9wavefront6targetE1EEEvSE_
                                        ; -- End function
	.section	.AMDGPU.csdata,"",@progbits
; Kernel info:
; codeLenInByte = 0
; NumSgprs: 4
; NumVgprs: 0
; NumAgprs: 0
; TotalNumVgprs: 0
; ScratchSize: 0
; MemoryBound: 0
; FloatMode: 240
; IeeeMode: 1
; LDSByteSize: 0 bytes/workgroup (compile time only)
; SGPRBlocks: 0
; VGPRBlocks: 0
; NumSGPRsForWavesPerEU: 4
; NumVGPRsForWavesPerEU: 1
; AccumOffset: 4
; Occupancy: 8
; WaveLimiterHint : 0
; COMPUTE_PGM_RSRC2:SCRATCH_EN: 0
; COMPUTE_PGM_RSRC2:USER_SGPR: 6
; COMPUTE_PGM_RSRC2:TRAP_HANDLER: 0
; COMPUTE_PGM_RSRC2:TGID_X_EN: 1
; COMPUTE_PGM_RSRC2:TGID_Y_EN: 0
; COMPUTE_PGM_RSRC2:TGID_Z_EN: 0
; COMPUTE_PGM_RSRC2:TIDIG_COMP_CNT: 0
; COMPUTE_PGM_RSRC3_GFX90A:ACCUM_OFFSET: 0
; COMPUTE_PGM_RSRC3_GFX90A:TG_SPLIT: 0
	.section	.text._ZN7rocprim17ROCPRIM_400000_NS6detail17trampoline_kernelINS0_14default_configENS1_35radix_sort_onesweep_config_selectorIllEEZNS1_34radix_sort_onesweep_global_offsetsIS3_Lb0EPlN6thrust23THRUST_200600_302600_NS10device_ptrIlEEjNS0_19identity_decomposerEEE10hipError_tT1_T2_PT3_SG_jT4_jjP12ihipStream_tbEUlT_E0_NS1_11comp_targetILNS1_3genE10ELNS1_11target_archE1201ELNS1_3gpuE5ELNS1_3repE0EEENS1_52radix_sort_onesweep_histogram_config_static_selectorELNS0_4arch9wavefront6targetE1EEEvSE_,"axG",@progbits,_ZN7rocprim17ROCPRIM_400000_NS6detail17trampoline_kernelINS0_14default_configENS1_35radix_sort_onesweep_config_selectorIllEEZNS1_34radix_sort_onesweep_global_offsetsIS3_Lb0EPlN6thrust23THRUST_200600_302600_NS10device_ptrIlEEjNS0_19identity_decomposerEEE10hipError_tT1_T2_PT3_SG_jT4_jjP12ihipStream_tbEUlT_E0_NS1_11comp_targetILNS1_3genE10ELNS1_11target_archE1201ELNS1_3gpuE5ELNS1_3repE0EEENS1_52radix_sort_onesweep_histogram_config_static_selectorELNS0_4arch9wavefront6targetE1EEEvSE_,comdat
	.protected	_ZN7rocprim17ROCPRIM_400000_NS6detail17trampoline_kernelINS0_14default_configENS1_35radix_sort_onesweep_config_selectorIllEEZNS1_34radix_sort_onesweep_global_offsetsIS3_Lb0EPlN6thrust23THRUST_200600_302600_NS10device_ptrIlEEjNS0_19identity_decomposerEEE10hipError_tT1_T2_PT3_SG_jT4_jjP12ihipStream_tbEUlT_E0_NS1_11comp_targetILNS1_3genE10ELNS1_11target_archE1201ELNS1_3gpuE5ELNS1_3repE0EEENS1_52radix_sort_onesweep_histogram_config_static_selectorELNS0_4arch9wavefront6targetE1EEEvSE_ ; -- Begin function _ZN7rocprim17ROCPRIM_400000_NS6detail17trampoline_kernelINS0_14default_configENS1_35radix_sort_onesweep_config_selectorIllEEZNS1_34radix_sort_onesweep_global_offsetsIS3_Lb0EPlN6thrust23THRUST_200600_302600_NS10device_ptrIlEEjNS0_19identity_decomposerEEE10hipError_tT1_T2_PT3_SG_jT4_jjP12ihipStream_tbEUlT_E0_NS1_11comp_targetILNS1_3genE10ELNS1_11target_archE1201ELNS1_3gpuE5ELNS1_3repE0EEENS1_52radix_sort_onesweep_histogram_config_static_selectorELNS0_4arch9wavefront6targetE1EEEvSE_
	.globl	_ZN7rocprim17ROCPRIM_400000_NS6detail17trampoline_kernelINS0_14default_configENS1_35radix_sort_onesweep_config_selectorIllEEZNS1_34radix_sort_onesweep_global_offsetsIS3_Lb0EPlN6thrust23THRUST_200600_302600_NS10device_ptrIlEEjNS0_19identity_decomposerEEE10hipError_tT1_T2_PT3_SG_jT4_jjP12ihipStream_tbEUlT_E0_NS1_11comp_targetILNS1_3genE10ELNS1_11target_archE1201ELNS1_3gpuE5ELNS1_3repE0EEENS1_52radix_sort_onesweep_histogram_config_static_selectorELNS0_4arch9wavefront6targetE1EEEvSE_
	.p2align	8
	.type	_ZN7rocprim17ROCPRIM_400000_NS6detail17trampoline_kernelINS0_14default_configENS1_35radix_sort_onesweep_config_selectorIllEEZNS1_34radix_sort_onesweep_global_offsetsIS3_Lb0EPlN6thrust23THRUST_200600_302600_NS10device_ptrIlEEjNS0_19identity_decomposerEEE10hipError_tT1_T2_PT3_SG_jT4_jjP12ihipStream_tbEUlT_E0_NS1_11comp_targetILNS1_3genE10ELNS1_11target_archE1201ELNS1_3gpuE5ELNS1_3repE0EEENS1_52radix_sort_onesweep_histogram_config_static_selectorELNS0_4arch9wavefront6targetE1EEEvSE_,@function
_ZN7rocprim17ROCPRIM_400000_NS6detail17trampoline_kernelINS0_14default_configENS1_35radix_sort_onesweep_config_selectorIllEEZNS1_34radix_sort_onesweep_global_offsetsIS3_Lb0EPlN6thrust23THRUST_200600_302600_NS10device_ptrIlEEjNS0_19identity_decomposerEEE10hipError_tT1_T2_PT3_SG_jT4_jjP12ihipStream_tbEUlT_E0_NS1_11comp_targetILNS1_3genE10ELNS1_11target_archE1201ELNS1_3gpuE5ELNS1_3repE0EEENS1_52radix_sort_onesweep_histogram_config_static_selectorELNS0_4arch9wavefront6targetE1EEEvSE_: ; @_ZN7rocprim17ROCPRIM_400000_NS6detail17trampoline_kernelINS0_14default_configENS1_35radix_sort_onesweep_config_selectorIllEEZNS1_34radix_sort_onesweep_global_offsetsIS3_Lb0EPlN6thrust23THRUST_200600_302600_NS10device_ptrIlEEjNS0_19identity_decomposerEEE10hipError_tT1_T2_PT3_SG_jT4_jjP12ihipStream_tbEUlT_E0_NS1_11comp_targetILNS1_3genE10ELNS1_11target_archE1201ELNS1_3gpuE5ELNS1_3repE0EEENS1_52radix_sort_onesweep_histogram_config_static_selectorELNS0_4arch9wavefront6targetE1EEEvSE_
; %bb.0:
	.section	.rodata,"a",@progbits
	.p2align	6, 0x0
	.amdhsa_kernel _ZN7rocprim17ROCPRIM_400000_NS6detail17trampoline_kernelINS0_14default_configENS1_35radix_sort_onesweep_config_selectorIllEEZNS1_34radix_sort_onesweep_global_offsetsIS3_Lb0EPlN6thrust23THRUST_200600_302600_NS10device_ptrIlEEjNS0_19identity_decomposerEEE10hipError_tT1_T2_PT3_SG_jT4_jjP12ihipStream_tbEUlT_E0_NS1_11comp_targetILNS1_3genE10ELNS1_11target_archE1201ELNS1_3gpuE5ELNS1_3repE0EEENS1_52radix_sort_onesweep_histogram_config_static_selectorELNS0_4arch9wavefront6targetE1EEEvSE_
		.amdhsa_group_segment_fixed_size 0
		.amdhsa_private_segment_fixed_size 0
		.amdhsa_kernarg_size 8
		.amdhsa_user_sgpr_count 6
		.amdhsa_user_sgpr_private_segment_buffer 1
		.amdhsa_user_sgpr_dispatch_ptr 0
		.amdhsa_user_sgpr_queue_ptr 0
		.amdhsa_user_sgpr_kernarg_segment_ptr 1
		.amdhsa_user_sgpr_dispatch_id 0
		.amdhsa_user_sgpr_flat_scratch_init 0
		.amdhsa_user_sgpr_kernarg_preload_length 0
		.amdhsa_user_sgpr_kernarg_preload_offset 0
		.amdhsa_user_sgpr_private_segment_size 0
		.amdhsa_uses_dynamic_stack 0
		.amdhsa_system_sgpr_private_segment_wavefront_offset 0
		.amdhsa_system_sgpr_workgroup_id_x 1
		.amdhsa_system_sgpr_workgroup_id_y 0
		.amdhsa_system_sgpr_workgroup_id_z 0
		.amdhsa_system_sgpr_workgroup_info 0
		.amdhsa_system_vgpr_workitem_id 0
		.amdhsa_next_free_vgpr 1
		.amdhsa_next_free_sgpr 0
		.amdhsa_accum_offset 4
		.amdhsa_reserve_vcc 0
		.amdhsa_reserve_flat_scratch 0
		.amdhsa_float_round_mode_32 0
		.amdhsa_float_round_mode_16_64 0
		.amdhsa_float_denorm_mode_32 3
		.amdhsa_float_denorm_mode_16_64 3
		.amdhsa_dx10_clamp 1
		.amdhsa_ieee_mode 1
		.amdhsa_fp16_overflow 0
		.amdhsa_tg_split 0
		.amdhsa_exception_fp_ieee_invalid_op 0
		.amdhsa_exception_fp_denorm_src 0
		.amdhsa_exception_fp_ieee_div_zero 0
		.amdhsa_exception_fp_ieee_overflow 0
		.amdhsa_exception_fp_ieee_underflow 0
		.amdhsa_exception_fp_ieee_inexact 0
		.amdhsa_exception_int_div_zero 0
	.end_amdhsa_kernel
	.section	.text._ZN7rocprim17ROCPRIM_400000_NS6detail17trampoline_kernelINS0_14default_configENS1_35radix_sort_onesweep_config_selectorIllEEZNS1_34radix_sort_onesweep_global_offsetsIS3_Lb0EPlN6thrust23THRUST_200600_302600_NS10device_ptrIlEEjNS0_19identity_decomposerEEE10hipError_tT1_T2_PT3_SG_jT4_jjP12ihipStream_tbEUlT_E0_NS1_11comp_targetILNS1_3genE10ELNS1_11target_archE1201ELNS1_3gpuE5ELNS1_3repE0EEENS1_52radix_sort_onesweep_histogram_config_static_selectorELNS0_4arch9wavefront6targetE1EEEvSE_,"axG",@progbits,_ZN7rocprim17ROCPRIM_400000_NS6detail17trampoline_kernelINS0_14default_configENS1_35radix_sort_onesweep_config_selectorIllEEZNS1_34radix_sort_onesweep_global_offsetsIS3_Lb0EPlN6thrust23THRUST_200600_302600_NS10device_ptrIlEEjNS0_19identity_decomposerEEE10hipError_tT1_T2_PT3_SG_jT4_jjP12ihipStream_tbEUlT_E0_NS1_11comp_targetILNS1_3genE10ELNS1_11target_archE1201ELNS1_3gpuE5ELNS1_3repE0EEENS1_52radix_sort_onesweep_histogram_config_static_selectorELNS0_4arch9wavefront6targetE1EEEvSE_,comdat
.Lfunc_end1129:
	.size	_ZN7rocprim17ROCPRIM_400000_NS6detail17trampoline_kernelINS0_14default_configENS1_35radix_sort_onesweep_config_selectorIllEEZNS1_34radix_sort_onesweep_global_offsetsIS3_Lb0EPlN6thrust23THRUST_200600_302600_NS10device_ptrIlEEjNS0_19identity_decomposerEEE10hipError_tT1_T2_PT3_SG_jT4_jjP12ihipStream_tbEUlT_E0_NS1_11comp_targetILNS1_3genE10ELNS1_11target_archE1201ELNS1_3gpuE5ELNS1_3repE0EEENS1_52radix_sort_onesweep_histogram_config_static_selectorELNS0_4arch9wavefront6targetE1EEEvSE_, .Lfunc_end1129-_ZN7rocprim17ROCPRIM_400000_NS6detail17trampoline_kernelINS0_14default_configENS1_35radix_sort_onesweep_config_selectorIllEEZNS1_34radix_sort_onesweep_global_offsetsIS3_Lb0EPlN6thrust23THRUST_200600_302600_NS10device_ptrIlEEjNS0_19identity_decomposerEEE10hipError_tT1_T2_PT3_SG_jT4_jjP12ihipStream_tbEUlT_E0_NS1_11comp_targetILNS1_3genE10ELNS1_11target_archE1201ELNS1_3gpuE5ELNS1_3repE0EEENS1_52radix_sort_onesweep_histogram_config_static_selectorELNS0_4arch9wavefront6targetE1EEEvSE_
                                        ; -- End function
	.section	.AMDGPU.csdata,"",@progbits
; Kernel info:
; codeLenInByte = 0
; NumSgprs: 4
; NumVgprs: 0
; NumAgprs: 0
; TotalNumVgprs: 0
; ScratchSize: 0
; MemoryBound: 0
; FloatMode: 240
; IeeeMode: 1
; LDSByteSize: 0 bytes/workgroup (compile time only)
; SGPRBlocks: 0
; VGPRBlocks: 0
; NumSGPRsForWavesPerEU: 4
; NumVGPRsForWavesPerEU: 1
; AccumOffset: 4
; Occupancy: 8
; WaveLimiterHint : 0
; COMPUTE_PGM_RSRC2:SCRATCH_EN: 0
; COMPUTE_PGM_RSRC2:USER_SGPR: 6
; COMPUTE_PGM_RSRC2:TRAP_HANDLER: 0
; COMPUTE_PGM_RSRC2:TGID_X_EN: 1
; COMPUTE_PGM_RSRC2:TGID_Y_EN: 0
; COMPUTE_PGM_RSRC2:TGID_Z_EN: 0
; COMPUTE_PGM_RSRC2:TIDIG_COMP_CNT: 0
; COMPUTE_PGM_RSRC3_GFX90A:ACCUM_OFFSET: 0
; COMPUTE_PGM_RSRC3_GFX90A:TG_SPLIT: 0
	.section	.text._ZN7rocprim17ROCPRIM_400000_NS6detail17trampoline_kernelINS0_14default_configENS1_35radix_sort_onesweep_config_selectorIllEEZNS1_34radix_sort_onesweep_global_offsetsIS3_Lb0EPlN6thrust23THRUST_200600_302600_NS10device_ptrIlEEjNS0_19identity_decomposerEEE10hipError_tT1_T2_PT3_SG_jT4_jjP12ihipStream_tbEUlT_E0_NS1_11comp_targetILNS1_3genE9ELNS1_11target_archE1100ELNS1_3gpuE3ELNS1_3repE0EEENS1_52radix_sort_onesweep_histogram_config_static_selectorELNS0_4arch9wavefront6targetE1EEEvSE_,"axG",@progbits,_ZN7rocprim17ROCPRIM_400000_NS6detail17trampoline_kernelINS0_14default_configENS1_35radix_sort_onesweep_config_selectorIllEEZNS1_34radix_sort_onesweep_global_offsetsIS3_Lb0EPlN6thrust23THRUST_200600_302600_NS10device_ptrIlEEjNS0_19identity_decomposerEEE10hipError_tT1_T2_PT3_SG_jT4_jjP12ihipStream_tbEUlT_E0_NS1_11comp_targetILNS1_3genE9ELNS1_11target_archE1100ELNS1_3gpuE3ELNS1_3repE0EEENS1_52radix_sort_onesweep_histogram_config_static_selectorELNS0_4arch9wavefront6targetE1EEEvSE_,comdat
	.protected	_ZN7rocprim17ROCPRIM_400000_NS6detail17trampoline_kernelINS0_14default_configENS1_35radix_sort_onesweep_config_selectorIllEEZNS1_34radix_sort_onesweep_global_offsetsIS3_Lb0EPlN6thrust23THRUST_200600_302600_NS10device_ptrIlEEjNS0_19identity_decomposerEEE10hipError_tT1_T2_PT3_SG_jT4_jjP12ihipStream_tbEUlT_E0_NS1_11comp_targetILNS1_3genE9ELNS1_11target_archE1100ELNS1_3gpuE3ELNS1_3repE0EEENS1_52radix_sort_onesweep_histogram_config_static_selectorELNS0_4arch9wavefront6targetE1EEEvSE_ ; -- Begin function _ZN7rocprim17ROCPRIM_400000_NS6detail17trampoline_kernelINS0_14default_configENS1_35radix_sort_onesweep_config_selectorIllEEZNS1_34radix_sort_onesweep_global_offsetsIS3_Lb0EPlN6thrust23THRUST_200600_302600_NS10device_ptrIlEEjNS0_19identity_decomposerEEE10hipError_tT1_T2_PT3_SG_jT4_jjP12ihipStream_tbEUlT_E0_NS1_11comp_targetILNS1_3genE9ELNS1_11target_archE1100ELNS1_3gpuE3ELNS1_3repE0EEENS1_52radix_sort_onesweep_histogram_config_static_selectorELNS0_4arch9wavefront6targetE1EEEvSE_
	.globl	_ZN7rocprim17ROCPRIM_400000_NS6detail17trampoline_kernelINS0_14default_configENS1_35radix_sort_onesweep_config_selectorIllEEZNS1_34radix_sort_onesweep_global_offsetsIS3_Lb0EPlN6thrust23THRUST_200600_302600_NS10device_ptrIlEEjNS0_19identity_decomposerEEE10hipError_tT1_T2_PT3_SG_jT4_jjP12ihipStream_tbEUlT_E0_NS1_11comp_targetILNS1_3genE9ELNS1_11target_archE1100ELNS1_3gpuE3ELNS1_3repE0EEENS1_52radix_sort_onesweep_histogram_config_static_selectorELNS0_4arch9wavefront6targetE1EEEvSE_
	.p2align	8
	.type	_ZN7rocprim17ROCPRIM_400000_NS6detail17trampoline_kernelINS0_14default_configENS1_35radix_sort_onesweep_config_selectorIllEEZNS1_34radix_sort_onesweep_global_offsetsIS3_Lb0EPlN6thrust23THRUST_200600_302600_NS10device_ptrIlEEjNS0_19identity_decomposerEEE10hipError_tT1_T2_PT3_SG_jT4_jjP12ihipStream_tbEUlT_E0_NS1_11comp_targetILNS1_3genE9ELNS1_11target_archE1100ELNS1_3gpuE3ELNS1_3repE0EEENS1_52radix_sort_onesweep_histogram_config_static_selectorELNS0_4arch9wavefront6targetE1EEEvSE_,@function
_ZN7rocprim17ROCPRIM_400000_NS6detail17trampoline_kernelINS0_14default_configENS1_35radix_sort_onesweep_config_selectorIllEEZNS1_34radix_sort_onesweep_global_offsetsIS3_Lb0EPlN6thrust23THRUST_200600_302600_NS10device_ptrIlEEjNS0_19identity_decomposerEEE10hipError_tT1_T2_PT3_SG_jT4_jjP12ihipStream_tbEUlT_E0_NS1_11comp_targetILNS1_3genE9ELNS1_11target_archE1100ELNS1_3gpuE3ELNS1_3repE0EEENS1_52radix_sort_onesweep_histogram_config_static_selectorELNS0_4arch9wavefront6targetE1EEEvSE_: ; @_ZN7rocprim17ROCPRIM_400000_NS6detail17trampoline_kernelINS0_14default_configENS1_35radix_sort_onesweep_config_selectorIllEEZNS1_34radix_sort_onesweep_global_offsetsIS3_Lb0EPlN6thrust23THRUST_200600_302600_NS10device_ptrIlEEjNS0_19identity_decomposerEEE10hipError_tT1_T2_PT3_SG_jT4_jjP12ihipStream_tbEUlT_E0_NS1_11comp_targetILNS1_3genE9ELNS1_11target_archE1100ELNS1_3gpuE3ELNS1_3repE0EEENS1_52radix_sort_onesweep_histogram_config_static_selectorELNS0_4arch9wavefront6targetE1EEEvSE_
; %bb.0:
	.section	.rodata,"a",@progbits
	.p2align	6, 0x0
	.amdhsa_kernel _ZN7rocprim17ROCPRIM_400000_NS6detail17trampoline_kernelINS0_14default_configENS1_35radix_sort_onesweep_config_selectorIllEEZNS1_34radix_sort_onesweep_global_offsetsIS3_Lb0EPlN6thrust23THRUST_200600_302600_NS10device_ptrIlEEjNS0_19identity_decomposerEEE10hipError_tT1_T2_PT3_SG_jT4_jjP12ihipStream_tbEUlT_E0_NS1_11comp_targetILNS1_3genE9ELNS1_11target_archE1100ELNS1_3gpuE3ELNS1_3repE0EEENS1_52radix_sort_onesweep_histogram_config_static_selectorELNS0_4arch9wavefront6targetE1EEEvSE_
		.amdhsa_group_segment_fixed_size 0
		.amdhsa_private_segment_fixed_size 0
		.amdhsa_kernarg_size 8
		.amdhsa_user_sgpr_count 6
		.amdhsa_user_sgpr_private_segment_buffer 1
		.amdhsa_user_sgpr_dispatch_ptr 0
		.amdhsa_user_sgpr_queue_ptr 0
		.amdhsa_user_sgpr_kernarg_segment_ptr 1
		.amdhsa_user_sgpr_dispatch_id 0
		.amdhsa_user_sgpr_flat_scratch_init 0
		.amdhsa_user_sgpr_kernarg_preload_length 0
		.amdhsa_user_sgpr_kernarg_preload_offset 0
		.amdhsa_user_sgpr_private_segment_size 0
		.amdhsa_uses_dynamic_stack 0
		.amdhsa_system_sgpr_private_segment_wavefront_offset 0
		.amdhsa_system_sgpr_workgroup_id_x 1
		.amdhsa_system_sgpr_workgroup_id_y 0
		.amdhsa_system_sgpr_workgroup_id_z 0
		.amdhsa_system_sgpr_workgroup_info 0
		.amdhsa_system_vgpr_workitem_id 0
		.amdhsa_next_free_vgpr 1
		.amdhsa_next_free_sgpr 0
		.amdhsa_accum_offset 4
		.amdhsa_reserve_vcc 0
		.amdhsa_reserve_flat_scratch 0
		.amdhsa_float_round_mode_32 0
		.amdhsa_float_round_mode_16_64 0
		.amdhsa_float_denorm_mode_32 3
		.amdhsa_float_denorm_mode_16_64 3
		.amdhsa_dx10_clamp 1
		.amdhsa_ieee_mode 1
		.amdhsa_fp16_overflow 0
		.amdhsa_tg_split 0
		.amdhsa_exception_fp_ieee_invalid_op 0
		.amdhsa_exception_fp_denorm_src 0
		.amdhsa_exception_fp_ieee_div_zero 0
		.amdhsa_exception_fp_ieee_overflow 0
		.amdhsa_exception_fp_ieee_underflow 0
		.amdhsa_exception_fp_ieee_inexact 0
		.amdhsa_exception_int_div_zero 0
	.end_amdhsa_kernel
	.section	.text._ZN7rocprim17ROCPRIM_400000_NS6detail17trampoline_kernelINS0_14default_configENS1_35radix_sort_onesweep_config_selectorIllEEZNS1_34radix_sort_onesweep_global_offsetsIS3_Lb0EPlN6thrust23THRUST_200600_302600_NS10device_ptrIlEEjNS0_19identity_decomposerEEE10hipError_tT1_T2_PT3_SG_jT4_jjP12ihipStream_tbEUlT_E0_NS1_11comp_targetILNS1_3genE9ELNS1_11target_archE1100ELNS1_3gpuE3ELNS1_3repE0EEENS1_52radix_sort_onesweep_histogram_config_static_selectorELNS0_4arch9wavefront6targetE1EEEvSE_,"axG",@progbits,_ZN7rocprim17ROCPRIM_400000_NS6detail17trampoline_kernelINS0_14default_configENS1_35radix_sort_onesweep_config_selectorIllEEZNS1_34radix_sort_onesweep_global_offsetsIS3_Lb0EPlN6thrust23THRUST_200600_302600_NS10device_ptrIlEEjNS0_19identity_decomposerEEE10hipError_tT1_T2_PT3_SG_jT4_jjP12ihipStream_tbEUlT_E0_NS1_11comp_targetILNS1_3genE9ELNS1_11target_archE1100ELNS1_3gpuE3ELNS1_3repE0EEENS1_52radix_sort_onesweep_histogram_config_static_selectorELNS0_4arch9wavefront6targetE1EEEvSE_,comdat
.Lfunc_end1130:
	.size	_ZN7rocprim17ROCPRIM_400000_NS6detail17trampoline_kernelINS0_14default_configENS1_35radix_sort_onesweep_config_selectorIllEEZNS1_34radix_sort_onesweep_global_offsetsIS3_Lb0EPlN6thrust23THRUST_200600_302600_NS10device_ptrIlEEjNS0_19identity_decomposerEEE10hipError_tT1_T2_PT3_SG_jT4_jjP12ihipStream_tbEUlT_E0_NS1_11comp_targetILNS1_3genE9ELNS1_11target_archE1100ELNS1_3gpuE3ELNS1_3repE0EEENS1_52radix_sort_onesweep_histogram_config_static_selectorELNS0_4arch9wavefront6targetE1EEEvSE_, .Lfunc_end1130-_ZN7rocprim17ROCPRIM_400000_NS6detail17trampoline_kernelINS0_14default_configENS1_35radix_sort_onesweep_config_selectorIllEEZNS1_34radix_sort_onesweep_global_offsetsIS3_Lb0EPlN6thrust23THRUST_200600_302600_NS10device_ptrIlEEjNS0_19identity_decomposerEEE10hipError_tT1_T2_PT3_SG_jT4_jjP12ihipStream_tbEUlT_E0_NS1_11comp_targetILNS1_3genE9ELNS1_11target_archE1100ELNS1_3gpuE3ELNS1_3repE0EEENS1_52radix_sort_onesweep_histogram_config_static_selectorELNS0_4arch9wavefront6targetE1EEEvSE_
                                        ; -- End function
	.section	.AMDGPU.csdata,"",@progbits
; Kernel info:
; codeLenInByte = 0
; NumSgprs: 4
; NumVgprs: 0
; NumAgprs: 0
; TotalNumVgprs: 0
; ScratchSize: 0
; MemoryBound: 0
; FloatMode: 240
; IeeeMode: 1
; LDSByteSize: 0 bytes/workgroup (compile time only)
; SGPRBlocks: 0
; VGPRBlocks: 0
; NumSGPRsForWavesPerEU: 4
; NumVGPRsForWavesPerEU: 1
; AccumOffset: 4
; Occupancy: 8
; WaveLimiterHint : 0
; COMPUTE_PGM_RSRC2:SCRATCH_EN: 0
; COMPUTE_PGM_RSRC2:USER_SGPR: 6
; COMPUTE_PGM_RSRC2:TRAP_HANDLER: 0
; COMPUTE_PGM_RSRC2:TGID_X_EN: 1
; COMPUTE_PGM_RSRC2:TGID_Y_EN: 0
; COMPUTE_PGM_RSRC2:TGID_Z_EN: 0
; COMPUTE_PGM_RSRC2:TIDIG_COMP_CNT: 0
; COMPUTE_PGM_RSRC3_GFX90A:ACCUM_OFFSET: 0
; COMPUTE_PGM_RSRC3_GFX90A:TG_SPLIT: 0
	.section	.text._ZN7rocprim17ROCPRIM_400000_NS6detail17trampoline_kernelINS0_14default_configENS1_35radix_sort_onesweep_config_selectorIllEEZNS1_34radix_sort_onesweep_global_offsetsIS3_Lb0EPlN6thrust23THRUST_200600_302600_NS10device_ptrIlEEjNS0_19identity_decomposerEEE10hipError_tT1_T2_PT3_SG_jT4_jjP12ihipStream_tbEUlT_E0_NS1_11comp_targetILNS1_3genE8ELNS1_11target_archE1030ELNS1_3gpuE2ELNS1_3repE0EEENS1_52radix_sort_onesweep_histogram_config_static_selectorELNS0_4arch9wavefront6targetE1EEEvSE_,"axG",@progbits,_ZN7rocprim17ROCPRIM_400000_NS6detail17trampoline_kernelINS0_14default_configENS1_35radix_sort_onesweep_config_selectorIllEEZNS1_34radix_sort_onesweep_global_offsetsIS3_Lb0EPlN6thrust23THRUST_200600_302600_NS10device_ptrIlEEjNS0_19identity_decomposerEEE10hipError_tT1_T2_PT3_SG_jT4_jjP12ihipStream_tbEUlT_E0_NS1_11comp_targetILNS1_3genE8ELNS1_11target_archE1030ELNS1_3gpuE2ELNS1_3repE0EEENS1_52radix_sort_onesweep_histogram_config_static_selectorELNS0_4arch9wavefront6targetE1EEEvSE_,comdat
	.protected	_ZN7rocprim17ROCPRIM_400000_NS6detail17trampoline_kernelINS0_14default_configENS1_35radix_sort_onesweep_config_selectorIllEEZNS1_34radix_sort_onesweep_global_offsetsIS3_Lb0EPlN6thrust23THRUST_200600_302600_NS10device_ptrIlEEjNS0_19identity_decomposerEEE10hipError_tT1_T2_PT3_SG_jT4_jjP12ihipStream_tbEUlT_E0_NS1_11comp_targetILNS1_3genE8ELNS1_11target_archE1030ELNS1_3gpuE2ELNS1_3repE0EEENS1_52radix_sort_onesweep_histogram_config_static_selectorELNS0_4arch9wavefront6targetE1EEEvSE_ ; -- Begin function _ZN7rocprim17ROCPRIM_400000_NS6detail17trampoline_kernelINS0_14default_configENS1_35radix_sort_onesweep_config_selectorIllEEZNS1_34radix_sort_onesweep_global_offsetsIS3_Lb0EPlN6thrust23THRUST_200600_302600_NS10device_ptrIlEEjNS0_19identity_decomposerEEE10hipError_tT1_T2_PT3_SG_jT4_jjP12ihipStream_tbEUlT_E0_NS1_11comp_targetILNS1_3genE8ELNS1_11target_archE1030ELNS1_3gpuE2ELNS1_3repE0EEENS1_52radix_sort_onesweep_histogram_config_static_selectorELNS0_4arch9wavefront6targetE1EEEvSE_
	.globl	_ZN7rocprim17ROCPRIM_400000_NS6detail17trampoline_kernelINS0_14default_configENS1_35radix_sort_onesweep_config_selectorIllEEZNS1_34radix_sort_onesweep_global_offsetsIS3_Lb0EPlN6thrust23THRUST_200600_302600_NS10device_ptrIlEEjNS0_19identity_decomposerEEE10hipError_tT1_T2_PT3_SG_jT4_jjP12ihipStream_tbEUlT_E0_NS1_11comp_targetILNS1_3genE8ELNS1_11target_archE1030ELNS1_3gpuE2ELNS1_3repE0EEENS1_52radix_sort_onesweep_histogram_config_static_selectorELNS0_4arch9wavefront6targetE1EEEvSE_
	.p2align	8
	.type	_ZN7rocprim17ROCPRIM_400000_NS6detail17trampoline_kernelINS0_14default_configENS1_35radix_sort_onesweep_config_selectorIllEEZNS1_34radix_sort_onesweep_global_offsetsIS3_Lb0EPlN6thrust23THRUST_200600_302600_NS10device_ptrIlEEjNS0_19identity_decomposerEEE10hipError_tT1_T2_PT3_SG_jT4_jjP12ihipStream_tbEUlT_E0_NS1_11comp_targetILNS1_3genE8ELNS1_11target_archE1030ELNS1_3gpuE2ELNS1_3repE0EEENS1_52radix_sort_onesweep_histogram_config_static_selectorELNS0_4arch9wavefront6targetE1EEEvSE_,@function
_ZN7rocprim17ROCPRIM_400000_NS6detail17trampoline_kernelINS0_14default_configENS1_35radix_sort_onesweep_config_selectorIllEEZNS1_34radix_sort_onesweep_global_offsetsIS3_Lb0EPlN6thrust23THRUST_200600_302600_NS10device_ptrIlEEjNS0_19identity_decomposerEEE10hipError_tT1_T2_PT3_SG_jT4_jjP12ihipStream_tbEUlT_E0_NS1_11comp_targetILNS1_3genE8ELNS1_11target_archE1030ELNS1_3gpuE2ELNS1_3repE0EEENS1_52radix_sort_onesweep_histogram_config_static_selectorELNS0_4arch9wavefront6targetE1EEEvSE_: ; @_ZN7rocprim17ROCPRIM_400000_NS6detail17trampoline_kernelINS0_14default_configENS1_35radix_sort_onesweep_config_selectorIllEEZNS1_34radix_sort_onesweep_global_offsetsIS3_Lb0EPlN6thrust23THRUST_200600_302600_NS10device_ptrIlEEjNS0_19identity_decomposerEEE10hipError_tT1_T2_PT3_SG_jT4_jjP12ihipStream_tbEUlT_E0_NS1_11comp_targetILNS1_3genE8ELNS1_11target_archE1030ELNS1_3gpuE2ELNS1_3repE0EEENS1_52radix_sort_onesweep_histogram_config_static_selectorELNS0_4arch9wavefront6targetE1EEEvSE_
; %bb.0:
	.section	.rodata,"a",@progbits
	.p2align	6, 0x0
	.amdhsa_kernel _ZN7rocprim17ROCPRIM_400000_NS6detail17trampoline_kernelINS0_14default_configENS1_35radix_sort_onesweep_config_selectorIllEEZNS1_34radix_sort_onesweep_global_offsetsIS3_Lb0EPlN6thrust23THRUST_200600_302600_NS10device_ptrIlEEjNS0_19identity_decomposerEEE10hipError_tT1_T2_PT3_SG_jT4_jjP12ihipStream_tbEUlT_E0_NS1_11comp_targetILNS1_3genE8ELNS1_11target_archE1030ELNS1_3gpuE2ELNS1_3repE0EEENS1_52radix_sort_onesweep_histogram_config_static_selectorELNS0_4arch9wavefront6targetE1EEEvSE_
		.amdhsa_group_segment_fixed_size 0
		.amdhsa_private_segment_fixed_size 0
		.amdhsa_kernarg_size 8
		.amdhsa_user_sgpr_count 6
		.amdhsa_user_sgpr_private_segment_buffer 1
		.amdhsa_user_sgpr_dispatch_ptr 0
		.amdhsa_user_sgpr_queue_ptr 0
		.amdhsa_user_sgpr_kernarg_segment_ptr 1
		.amdhsa_user_sgpr_dispatch_id 0
		.amdhsa_user_sgpr_flat_scratch_init 0
		.amdhsa_user_sgpr_kernarg_preload_length 0
		.amdhsa_user_sgpr_kernarg_preload_offset 0
		.amdhsa_user_sgpr_private_segment_size 0
		.amdhsa_uses_dynamic_stack 0
		.amdhsa_system_sgpr_private_segment_wavefront_offset 0
		.amdhsa_system_sgpr_workgroup_id_x 1
		.amdhsa_system_sgpr_workgroup_id_y 0
		.amdhsa_system_sgpr_workgroup_id_z 0
		.amdhsa_system_sgpr_workgroup_info 0
		.amdhsa_system_vgpr_workitem_id 0
		.amdhsa_next_free_vgpr 1
		.amdhsa_next_free_sgpr 0
		.amdhsa_accum_offset 4
		.amdhsa_reserve_vcc 0
		.amdhsa_reserve_flat_scratch 0
		.amdhsa_float_round_mode_32 0
		.amdhsa_float_round_mode_16_64 0
		.amdhsa_float_denorm_mode_32 3
		.amdhsa_float_denorm_mode_16_64 3
		.amdhsa_dx10_clamp 1
		.amdhsa_ieee_mode 1
		.amdhsa_fp16_overflow 0
		.amdhsa_tg_split 0
		.amdhsa_exception_fp_ieee_invalid_op 0
		.amdhsa_exception_fp_denorm_src 0
		.amdhsa_exception_fp_ieee_div_zero 0
		.amdhsa_exception_fp_ieee_overflow 0
		.amdhsa_exception_fp_ieee_underflow 0
		.amdhsa_exception_fp_ieee_inexact 0
		.amdhsa_exception_int_div_zero 0
	.end_amdhsa_kernel
	.section	.text._ZN7rocprim17ROCPRIM_400000_NS6detail17trampoline_kernelINS0_14default_configENS1_35radix_sort_onesweep_config_selectorIllEEZNS1_34radix_sort_onesweep_global_offsetsIS3_Lb0EPlN6thrust23THRUST_200600_302600_NS10device_ptrIlEEjNS0_19identity_decomposerEEE10hipError_tT1_T2_PT3_SG_jT4_jjP12ihipStream_tbEUlT_E0_NS1_11comp_targetILNS1_3genE8ELNS1_11target_archE1030ELNS1_3gpuE2ELNS1_3repE0EEENS1_52radix_sort_onesweep_histogram_config_static_selectorELNS0_4arch9wavefront6targetE1EEEvSE_,"axG",@progbits,_ZN7rocprim17ROCPRIM_400000_NS6detail17trampoline_kernelINS0_14default_configENS1_35radix_sort_onesweep_config_selectorIllEEZNS1_34radix_sort_onesweep_global_offsetsIS3_Lb0EPlN6thrust23THRUST_200600_302600_NS10device_ptrIlEEjNS0_19identity_decomposerEEE10hipError_tT1_T2_PT3_SG_jT4_jjP12ihipStream_tbEUlT_E0_NS1_11comp_targetILNS1_3genE8ELNS1_11target_archE1030ELNS1_3gpuE2ELNS1_3repE0EEENS1_52radix_sort_onesweep_histogram_config_static_selectorELNS0_4arch9wavefront6targetE1EEEvSE_,comdat
.Lfunc_end1131:
	.size	_ZN7rocprim17ROCPRIM_400000_NS6detail17trampoline_kernelINS0_14default_configENS1_35radix_sort_onesweep_config_selectorIllEEZNS1_34radix_sort_onesweep_global_offsetsIS3_Lb0EPlN6thrust23THRUST_200600_302600_NS10device_ptrIlEEjNS0_19identity_decomposerEEE10hipError_tT1_T2_PT3_SG_jT4_jjP12ihipStream_tbEUlT_E0_NS1_11comp_targetILNS1_3genE8ELNS1_11target_archE1030ELNS1_3gpuE2ELNS1_3repE0EEENS1_52radix_sort_onesweep_histogram_config_static_selectorELNS0_4arch9wavefront6targetE1EEEvSE_, .Lfunc_end1131-_ZN7rocprim17ROCPRIM_400000_NS6detail17trampoline_kernelINS0_14default_configENS1_35radix_sort_onesweep_config_selectorIllEEZNS1_34radix_sort_onesweep_global_offsetsIS3_Lb0EPlN6thrust23THRUST_200600_302600_NS10device_ptrIlEEjNS0_19identity_decomposerEEE10hipError_tT1_T2_PT3_SG_jT4_jjP12ihipStream_tbEUlT_E0_NS1_11comp_targetILNS1_3genE8ELNS1_11target_archE1030ELNS1_3gpuE2ELNS1_3repE0EEENS1_52radix_sort_onesweep_histogram_config_static_selectorELNS0_4arch9wavefront6targetE1EEEvSE_
                                        ; -- End function
	.section	.AMDGPU.csdata,"",@progbits
; Kernel info:
; codeLenInByte = 0
; NumSgprs: 4
; NumVgprs: 0
; NumAgprs: 0
; TotalNumVgprs: 0
; ScratchSize: 0
; MemoryBound: 0
; FloatMode: 240
; IeeeMode: 1
; LDSByteSize: 0 bytes/workgroup (compile time only)
; SGPRBlocks: 0
; VGPRBlocks: 0
; NumSGPRsForWavesPerEU: 4
; NumVGPRsForWavesPerEU: 1
; AccumOffset: 4
; Occupancy: 8
; WaveLimiterHint : 0
; COMPUTE_PGM_RSRC2:SCRATCH_EN: 0
; COMPUTE_PGM_RSRC2:USER_SGPR: 6
; COMPUTE_PGM_RSRC2:TRAP_HANDLER: 0
; COMPUTE_PGM_RSRC2:TGID_X_EN: 1
; COMPUTE_PGM_RSRC2:TGID_Y_EN: 0
; COMPUTE_PGM_RSRC2:TGID_Z_EN: 0
; COMPUTE_PGM_RSRC2:TIDIG_COMP_CNT: 0
; COMPUTE_PGM_RSRC3_GFX90A:ACCUM_OFFSET: 0
; COMPUTE_PGM_RSRC3_GFX90A:TG_SPLIT: 0
	.section	.text._ZN7rocprim17ROCPRIM_400000_NS6detail17trampoline_kernelINS0_14default_configENS1_35radix_sort_onesweep_config_selectorIllEEZZNS1_29radix_sort_onesweep_iterationIS3_Lb0EPlS7_N6thrust23THRUST_200600_302600_NS10device_ptrIlEESB_jNS0_19identity_decomposerENS1_16block_id_wrapperIjLb1EEEEE10hipError_tT1_PNSt15iterator_traitsISG_E10value_typeET2_T3_PNSH_ISM_E10value_typeET4_T5_PSR_SS_PNS1_23onesweep_lookback_stateEbbT6_jjT7_P12ihipStream_tbENKUlT_T0_SG_SL_E_clIS7_S7_SB_SB_EEDaSZ_S10_SG_SL_EUlSZ_E_NS1_11comp_targetILNS1_3genE0ELNS1_11target_archE4294967295ELNS1_3gpuE0ELNS1_3repE0EEENS1_47radix_sort_onesweep_sort_config_static_selectorELNS0_4arch9wavefront6targetE1EEEvSG_,"axG",@progbits,_ZN7rocprim17ROCPRIM_400000_NS6detail17trampoline_kernelINS0_14default_configENS1_35radix_sort_onesweep_config_selectorIllEEZZNS1_29radix_sort_onesweep_iterationIS3_Lb0EPlS7_N6thrust23THRUST_200600_302600_NS10device_ptrIlEESB_jNS0_19identity_decomposerENS1_16block_id_wrapperIjLb1EEEEE10hipError_tT1_PNSt15iterator_traitsISG_E10value_typeET2_T3_PNSH_ISM_E10value_typeET4_T5_PSR_SS_PNS1_23onesweep_lookback_stateEbbT6_jjT7_P12ihipStream_tbENKUlT_T0_SG_SL_E_clIS7_S7_SB_SB_EEDaSZ_S10_SG_SL_EUlSZ_E_NS1_11comp_targetILNS1_3genE0ELNS1_11target_archE4294967295ELNS1_3gpuE0ELNS1_3repE0EEENS1_47radix_sort_onesweep_sort_config_static_selectorELNS0_4arch9wavefront6targetE1EEEvSG_,comdat
	.protected	_ZN7rocprim17ROCPRIM_400000_NS6detail17trampoline_kernelINS0_14default_configENS1_35radix_sort_onesweep_config_selectorIllEEZZNS1_29radix_sort_onesweep_iterationIS3_Lb0EPlS7_N6thrust23THRUST_200600_302600_NS10device_ptrIlEESB_jNS0_19identity_decomposerENS1_16block_id_wrapperIjLb1EEEEE10hipError_tT1_PNSt15iterator_traitsISG_E10value_typeET2_T3_PNSH_ISM_E10value_typeET4_T5_PSR_SS_PNS1_23onesweep_lookback_stateEbbT6_jjT7_P12ihipStream_tbENKUlT_T0_SG_SL_E_clIS7_S7_SB_SB_EEDaSZ_S10_SG_SL_EUlSZ_E_NS1_11comp_targetILNS1_3genE0ELNS1_11target_archE4294967295ELNS1_3gpuE0ELNS1_3repE0EEENS1_47radix_sort_onesweep_sort_config_static_selectorELNS0_4arch9wavefront6targetE1EEEvSG_ ; -- Begin function _ZN7rocprim17ROCPRIM_400000_NS6detail17trampoline_kernelINS0_14default_configENS1_35radix_sort_onesweep_config_selectorIllEEZZNS1_29radix_sort_onesweep_iterationIS3_Lb0EPlS7_N6thrust23THRUST_200600_302600_NS10device_ptrIlEESB_jNS0_19identity_decomposerENS1_16block_id_wrapperIjLb1EEEEE10hipError_tT1_PNSt15iterator_traitsISG_E10value_typeET2_T3_PNSH_ISM_E10value_typeET4_T5_PSR_SS_PNS1_23onesweep_lookback_stateEbbT6_jjT7_P12ihipStream_tbENKUlT_T0_SG_SL_E_clIS7_S7_SB_SB_EEDaSZ_S10_SG_SL_EUlSZ_E_NS1_11comp_targetILNS1_3genE0ELNS1_11target_archE4294967295ELNS1_3gpuE0ELNS1_3repE0EEENS1_47radix_sort_onesweep_sort_config_static_selectorELNS0_4arch9wavefront6targetE1EEEvSG_
	.globl	_ZN7rocprim17ROCPRIM_400000_NS6detail17trampoline_kernelINS0_14default_configENS1_35radix_sort_onesweep_config_selectorIllEEZZNS1_29radix_sort_onesweep_iterationIS3_Lb0EPlS7_N6thrust23THRUST_200600_302600_NS10device_ptrIlEESB_jNS0_19identity_decomposerENS1_16block_id_wrapperIjLb1EEEEE10hipError_tT1_PNSt15iterator_traitsISG_E10value_typeET2_T3_PNSH_ISM_E10value_typeET4_T5_PSR_SS_PNS1_23onesweep_lookback_stateEbbT6_jjT7_P12ihipStream_tbENKUlT_T0_SG_SL_E_clIS7_S7_SB_SB_EEDaSZ_S10_SG_SL_EUlSZ_E_NS1_11comp_targetILNS1_3genE0ELNS1_11target_archE4294967295ELNS1_3gpuE0ELNS1_3repE0EEENS1_47radix_sort_onesweep_sort_config_static_selectorELNS0_4arch9wavefront6targetE1EEEvSG_
	.p2align	8
	.type	_ZN7rocprim17ROCPRIM_400000_NS6detail17trampoline_kernelINS0_14default_configENS1_35radix_sort_onesweep_config_selectorIllEEZZNS1_29radix_sort_onesweep_iterationIS3_Lb0EPlS7_N6thrust23THRUST_200600_302600_NS10device_ptrIlEESB_jNS0_19identity_decomposerENS1_16block_id_wrapperIjLb1EEEEE10hipError_tT1_PNSt15iterator_traitsISG_E10value_typeET2_T3_PNSH_ISM_E10value_typeET4_T5_PSR_SS_PNS1_23onesweep_lookback_stateEbbT6_jjT7_P12ihipStream_tbENKUlT_T0_SG_SL_E_clIS7_S7_SB_SB_EEDaSZ_S10_SG_SL_EUlSZ_E_NS1_11comp_targetILNS1_3genE0ELNS1_11target_archE4294967295ELNS1_3gpuE0ELNS1_3repE0EEENS1_47radix_sort_onesweep_sort_config_static_selectorELNS0_4arch9wavefront6targetE1EEEvSG_,@function
_ZN7rocprim17ROCPRIM_400000_NS6detail17trampoline_kernelINS0_14default_configENS1_35radix_sort_onesweep_config_selectorIllEEZZNS1_29radix_sort_onesweep_iterationIS3_Lb0EPlS7_N6thrust23THRUST_200600_302600_NS10device_ptrIlEESB_jNS0_19identity_decomposerENS1_16block_id_wrapperIjLb1EEEEE10hipError_tT1_PNSt15iterator_traitsISG_E10value_typeET2_T3_PNSH_ISM_E10value_typeET4_T5_PSR_SS_PNS1_23onesweep_lookback_stateEbbT6_jjT7_P12ihipStream_tbENKUlT_T0_SG_SL_E_clIS7_S7_SB_SB_EEDaSZ_S10_SG_SL_EUlSZ_E_NS1_11comp_targetILNS1_3genE0ELNS1_11target_archE4294967295ELNS1_3gpuE0ELNS1_3repE0EEENS1_47radix_sort_onesweep_sort_config_static_selectorELNS0_4arch9wavefront6targetE1EEEvSG_: ; @_ZN7rocprim17ROCPRIM_400000_NS6detail17trampoline_kernelINS0_14default_configENS1_35radix_sort_onesweep_config_selectorIllEEZZNS1_29radix_sort_onesweep_iterationIS3_Lb0EPlS7_N6thrust23THRUST_200600_302600_NS10device_ptrIlEESB_jNS0_19identity_decomposerENS1_16block_id_wrapperIjLb1EEEEE10hipError_tT1_PNSt15iterator_traitsISG_E10value_typeET2_T3_PNSH_ISM_E10value_typeET4_T5_PSR_SS_PNS1_23onesweep_lookback_stateEbbT6_jjT7_P12ihipStream_tbENKUlT_T0_SG_SL_E_clIS7_S7_SB_SB_EEDaSZ_S10_SG_SL_EUlSZ_E_NS1_11comp_targetILNS1_3genE0ELNS1_11target_archE4294967295ELNS1_3gpuE0ELNS1_3repE0EEENS1_47radix_sort_onesweep_sort_config_static_selectorELNS0_4arch9wavefront6targetE1EEEvSG_
; %bb.0:
	.section	.rodata,"a",@progbits
	.p2align	6, 0x0
	.amdhsa_kernel _ZN7rocprim17ROCPRIM_400000_NS6detail17trampoline_kernelINS0_14default_configENS1_35radix_sort_onesweep_config_selectorIllEEZZNS1_29radix_sort_onesweep_iterationIS3_Lb0EPlS7_N6thrust23THRUST_200600_302600_NS10device_ptrIlEESB_jNS0_19identity_decomposerENS1_16block_id_wrapperIjLb1EEEEE10hipError_tT1_PNSt15iterator_traitsISG_E10value_typeET2_T3_PNSH_ISM_E10value_typeET4_T5_PSR_SS_PNS1_23onesweep_lookback_stateEbbT6_jjT7_P12ihipStream_tbENKUlT_T0_SG_SL_E_clIS7_S7_SB_SB_EEDaSZ_S10_SG_SL_EUlSZ_E_NS1_11comp_targetILNS1_3genE0ELNS1_11target_archE4294967295ELNS1_3gpuE0ELNS1_3repE0EEENS1_47radix_sort_onesweep_sort_config_static_selectorELNS0_4arch9wavefront6targetE1EEEvSG_
		.amdhsa_group_segment_fixed_size 0
		.amdhsa_private_segment_fixed_size 0
		.amdhsa_kernarg_size 88
		.amdhsa_user_sgpr_count 6
		.amdhsa_user_sgpr_private_segment_buffer 1
		.amdhsa_user_sgpr_dispatch_ptr 0
		.amdhsa_user_sgpr_queue_ptr 0
		.amdhsa_user_sgpr_kernarg_segment_ptr 1
		.amdhsa_user_sgpr_dispatch_id 0
		.amdhsa_user_sgpr_flat_scratch_init 0
		.amdhsa_user_sgpr_kernarg_preload_length 0
		.amdhsa_user_sgpr_kernarg_preload_offset 0
		.amdhsa_user_sgpr_private_segment_size 0
		.amdhsa_uses_dynamic_stack 0
		.amdhsa_system_sgpr_private_segment_wavefront_offset 0
		.amdhsa_system_sgpr_workgroup_id_x 1
		.amdhsa_system_sgpr_workgroup_id_y 0
		.amdhsa_system_sgpr_workgroup_id_z 0
		.amdhsa_system_sgpr_workgroup_info 0
		.amdhsa_system_vgpr_workitem_id 0
		.amdhsa_next_free_vgpr 1
		.amdhsa_next_free_sgpr 0
		.amdhsa_accum_offset 4
		.amdhsa_reserve_vcc 0
		.amdhsa_reserve_flat_scratch 0
		.amdhsa_float_round_mode_32 0
		.amdhsa_float_round_mode_16_64 0
		.amdhsa_float_denorm_mode_32 3
		.amdhsa_float_denorm_mode_16_64 3
		.amdhsa_dx10_clamp 1
		.amdhsa_ieee_mode 1
		.amdhsa_fp16_overflow 0
		.amdhsa_tg_split 0
		.amdhsa_exception_fp_ieee_invalid_op 0
		.amdhsa_exception_fp_denorm_src 0
		.amdhsa_exception_fp_ieee_div_zero 0
		.amdhsa_exception_fp_ieee_overflow 0
		.amdhsa_exception_fp_ieee_underflow 0
		.amdhsa_exception_fp_ieee_inexact 0
		.amdhsa_exception_int_div_zero 0
	.end_amdhsa_kernel
	.section	.text._ZN7rocprim17ROCPRIM_400000_NS6detail17trampoline_kernelINS0_14default_configENS1_35radix_sort_onesweep_config_selectorIllEEZZNS1_29radix_sort_onesweep_iterationIS3_Lb0EPlS7_N6thrust23THRUST_200600_302600_NS10device_ptrIlEESB_jNS0_19identity_decomposerENS1_16block_id_wrapperIjLb1EEEEE10hipError_tT1_PNSt15iterator_traitsISG_E10value_typeET2_T3_PNSH_ISM_E10value_typeET4_T5_PSR_SS_PNS1_23onesweep_lookback_stateEbbT6_jjT7_P12ihipStream_tbENKUlT_T0_SG_SL_E_clIS7_S7_SB_SB_EEDaSZ_S10_SG_SL_EUlSZ_E_NS1_11comp_targetILNS1_3genE0ELNS1_11target_archE4294967295ELNS1_3gpuE0ELNS1_3repE0EEENS1_47radix_sort_onesweep_sort_config_static_selectorELNS0_4arch9wavefront6targetE1EEEvSG_,"axG",@progbits,_ZN7rocprim17ROCPRIM_400000_NS6detail17trampoline_kernelINS0_14default_configENS1_35radix_sort_onesweep_config_selectorIllEEZZNS1_29radix_sort_onesweep_iterationIS3_Lb0EPlS7_N6thrust23THRUST_200600_302600_NS10device_ptrIlEESB_jNS0_19identity_decomposerENS1_16block_id_wrapperIjLb1EEEEE10hipError_tT1_PNSt15iterator_traitsISG_E10value_typeET2_T3_PNSH_ISM_E10value_typeET4_T5_PSR_SS_PNS1_23onesweep_lookback_stateEbbT6_jjT7_P12ihipStream_tbENKUlT_T0_SG_SL_E_clIS7_S7_SB_SB_EEDaSZ_S10_SG_SL_EUlSZ_E_NS1_11comp_targetILNS1_3genE0ELNS1_11target_archE4294967295ELNS1_3gpuE0ELNS1_3repE0EEENS1_47radix_sort_onesweep_sort_config_static_selectorELNS0_4arch9wavefront6targetE1EEEvSG_,comdat
.Lfunc_end1132:
	.size	_ZN7rocprim17ROCPRIM_400000_NS6detail17trampoline_kernelINS0_14default_configENS1_35radix_sort_onesweep_config_selectorIllEEZZNS1_29radix_sort_onesweep_iterationIS3_Lb0EPlS7_N6thrust23THRUST_200600_302600_NS10device_ptrIlEESB_jNS0_19identity_decomposerENS1_16block_id_wrapperIjLb1EEEEE10hipError_tT1_PNSt15iterator_traitsISG_E10value_typeET2_T3_PNSH_ISM_E10value_typeET4_T5_PSR_SS_PNS1_23onesweep_lookback_stateEbbT6_jjT7_P12ihipStream_tbENKUlT_T0_SG_SL_E_clIS7_S7_SB_SB_EEDaSZ_S10_SG_SL_EUlSZ_E_NS1_11comp_targetILNS1_3genE0ELNS1_11target_archE4294967295ELNS1_3gpuE0ELNS1_3repE0EEENS1_47radix_sort_onesweep_sort_config_static_selectorELNS0_4arch9wavefront6targetE1EEEvSG_, .Lfunc_end1132-_ZN7rocprim17ROCPRIM_400000_NS6detail17trampoline_kernelINS0_14default_configENS1_35radix_sort_onesweep_config_selectorIllEEZZNS1_29radix_sort_onesweep_iterationIS3_Lb0EPlS7_N6thrust23THRUST_200600_302600_NS10device_ptrIlEESB_jNS0_19identity_decomposerENS1_16block_id_wrapperIjLb1EEEEE10hipError_tT1_PNSt15iterator_traitsISG_E10value_typeET2_T3_PNSH_ISM_E10value_typeET4_T5_PSR_SS_PNS1_23onesweep_lookback_stateEbbT6_jjT7_P12ihipStream_tbENKUlT_T0_SG_SL_E_clIS7_S7_SB_SB_EEDaSZ_S10_SG_SL_EUlSZ_E_NS1_11comp_targetILNS1_3genE0ELNS1_11target_archE4294967295ELNS1_3gpuE0ELNS1_3repE0EEENS1_47radix_sort_onesweep_sort_config_static_selectorELNS0_4arch9wavefront6targetE1EEEvSG_
                                        ; -- End function
	.section	.AMDGPU.csdata,"",@progbits
; Kernel info:
; codeLenInByte = 0
; NumSgprs: 4
; NumVgprs: 0
; NumAgprs: 0
; TotalNumVgprs: 0
; ScratchSize: 0
; MemoryBound: 0
; FloatMode: 240
; IeeeMode: 1
; LDSByteSize: 0 bytes/workgroup (compile time only)
; SGPRBlocks: 0
; VGPRBlocks: 0
; NumSGPRsForWavesPerEU: 4
; NumVGPRsForWavesPerEU: 1
; AccumOffset: 4
; Occupancy: 8
; WaveLimiterHint : 0
; COMPUTE_PGM_RSRC2:SCRATCH_EN: 0
; COMPUTE_PGM_RSRC2:USER_SGPR: 6
; COMPUTE_PGM_RSRC2:TRAP_HANDLER: 0
; COMPUTE_PGM_RSRC2:TGID_X_EN: 1
; COMPUTE_PGM_RSRC2:TGID_Y_EN: 0
; COMPUTE_PGM_RSRC2:TGID_Z_EN: 0
; COMPUTE_PGM_RSRC2:TIDIG_COMP_CNT: 0
; COMPUTE_PGM_RSRC3_GFX90A:ACCUM_OFFSET: 0
; COMPUTE_PGM_RSRC3_GFX90A:TG_SPLIT: 0
	.section	.text._ZN7rocprim17ROCPRIM_400000_NS6detail17trampoline_kernelINS0_14default_configENS1_35radix_sort_onesweep_config_selectorIllEEZZNS1_29radix_sort_onesweep_iterationIS3_Lb0EPlS7_N6thrust23THRUST_200600_302600_NS10device_ptrIlEESB_jNS0_19identity_decomposerENS1_16block_id_wrapperIjLb1EEEEE10hipError_tT1_PNSt15iterator_traitsISG_E10value_typeET2_T3_PNSH_ISM_E10value_typeET4_T5_PSR_SS_PNS1_23onesweep_lookback_stateEbbT6_jjT7_P12ihipStream_tbENKUlT_T0_SG_SL_E_clIS7_S7_SB_SB_EEDaSZ_S10_SG_SL_EUlSZ_E_NS1_11comp_targetILNS1_3genE6ELNS1_11target_archE950ELNS1_3gpuE13ELNS1_3repE0EEENS1_47radix_sort_onesweep_sort_config_static_selectorELNS0_4arch9wavefront6targetE1EEEvSG_,"axG",@progbits,_ZN7rocprim17ROCPRIM_400000_NS6detail17trampoline_kernelINS0_14default_configENS1_35radix_sort_onesweep_config_selectorIllEEZZNS1_29radix_sort_onesweep_iterationIS3_Lb0EPlS7_N6thrust23THRUST_200600_302600_NS10device_ptrIlEESB_jNS0_19identity_decomposerENS1_16block_id_wrapperIjLb1EEEEE10hipError_tT1_PNSt15iterator_traitsISG_E10value_typeET2_T3_PNSH_ISM_E10value_typeET4_T5_PSR_SS_PNS1_23onesweep_lookback_stateEbbT6_jjT7_P12ihipStream_tbENKUlT_T0_SG_SL_E_clIS7_S7_SB_SB_EEDaSZ_S10_SG_SL_EUlSZ_E_NS1_11comp_targetILNS1_3genE6ELNS1_11target_archE950ELNS1_3gpuE13ELNS1_3repE0EEENS1_47radix_sort_onesweep_sort_config_static_selectorELNS0_4arch9wavefront6targetE1EEEvSG_,comdat
	.protected	_ZN7rocprim17ROCPRIM_400000_NS6detail17trampoline_kernelINS0_14default_configENS1_35radix_sort_onesweep_config_selectorIllEEZZNS1_29radix_sort_onesweep_iterationIS3_Lb0EPlS7_N6thrust23THRUST_200600_302600_NS10device_ptrIlEESB_jNS0_19identity_decomposerENS1_16block_id_wrapperIjLb1EEEEE10hipError_tT1_PNSt15iterator_traitsISG_E10value_typeET2_T3_PNSH_ISM_E10value_typeET4_T5_PSR_SS_PNS1_23onesweep_lookback_stateEbbT6_jjT7_P12ihipStream_tbENKUlT_T0_SG_SL_E_clIS7_S7_SB_SB_EEDaSZ_S10_SG_SL_EUlSZ_E_NS1_11comp_targetILNS1_3genE6ELNS1_11target_archE950ELNS1_3gpuE13ELNS1_3repE0EEENS1_47radix_sort_onesweep_sort_config_static_selectorELNS0_4arch9wavefront6targetE1EEEvSG_ ; -- Begin function _ZN7rocprim17ROCPRIM_400000_NS6detail17trampoline_kernelINS0_14default_configENS1_35radix_sort_onesweep_config_selectorIllEEZZNS1_29radix_sort_onesweep_iterationIS3_Lb0EPlS7_N6thrust23THRUST_200600_302600_NS10device_ptrIlEESB_jNS0_19identity_decomposerENS1_16block_id_wrapperIjLb1EEEEE10hipError_tT1_PNSt15iterator_traitsISG_E10value_typeET2_T3_PNSH_ISM_E10value_typeET4_T5_PSR_SS_PNS1_23onesweep_lookback_stateEbbT6_jjT7_P12ihipStream_tbENKUlT_T0_SG_SL_E_clIS7_S7_SB_SB_EEDaSZ_S10_SG_SL_EUlSZ_E_NS1_11comp_targetILNS1_3genE6ELNS1_11target_archE950ELNS1_3gpuE13ELNS1_3repE0EEENS1_47radix_sort_onesweep_sort_config_static_selectorELNS0_4arch9wavefront6targetE1EEEvSG_
	.globl	_ZN7rocprim17ROCPRIM_400000_NS6detail17trampoline_kernelINS0_14default_configENS1_35radix_sort_onesweep_config_selectorIllEEZZNS1_29radix_sort_onesweep_iterationIS3_Lb0EPlS7_N6thrust23THRUST_200600_302600_NS10device_ptrIlEESB_jNS0_19identity_decomposerENS1_16block_id_wrapperIjLb1EEEEE10hipError_tT1_PNSt15iterator_traitsISG_E10value_typeET2_T3_PNSH_ISM_E10value_typeET4_T5_PSR_SS_PNS1_23onesweep_lookback_stateEbbT6_jjT7_P12ihipStream_tbENKUlT_T0_SG_SL_E_clIS7_S7_SB_SB_EEDaSZ_S10_SG_SL_EUlSZ_E_NS1_11comp_targetILNS1_3genE6ELNS1_11target_archE950ELNS1_3gpuE13ELNS1_3repE0EEENS1_47radix_sort_onesweep_sort_config_static_selectorELNS0_4arch9wavefront6targetE1EEEvSG_
	.p2align	8
	.type	_ZN7rocprim17ROCPRIM_400000_NS6detail17trampoline_kernelINS0_14default_configENS1_35radix_sort_onesweep_config_selectorIllEEZZNS1_29radix_sort_onesweep_iterationIS3_Lb0EPlS7_N6thrust23THRUST_200600_302600_NS10device_ptrIlEESB_jNS0_19identity_decomposerENS1_16block_id_wrapperIjLb1EEEEE10hipError_tT1_PNSt15iterator_traitsISG_E10value_typeET2_T3_PNSH_ISM_E10value_typeET4_T5_PSR_SS_PNS1_23onesweep_lookback_stateEbbT6_jjT7_P12ihipStream_tbENKUlT_T0_SG_SL_E_clIS7_S7_SB_SB_EEDaSZ_S10_SG_SL_EUlSZ_E_NS1_11comp_targetILNS1_3genE6ELNS1_11target_archE950ELNS1_3gpuE13ELNS1_3repE0EEENS1_47radix_sort_onesweep_sort_config_static_selectorELNS0_4arch9wavefront6targetE1EEEvSG_,@function
_ZN7rocprim17ROCPRIM_400000_NS6detail17trampoline_kernelINS0_14default_configENS1_35radix_sort_onesweep_config_selectorIllEEZZNS1_29radix_sort_onesweep_iterationIS3_Lb0EPlS7_N6thrust23THRUST_200600_302600_NS10device_ptrIlEESB_jNS0_19identity_decomposerENS1_16block_id_wrapperIjLb1EEEEE10hipError_tT1_PNSt15iterator_traitsISG_E10value_typeET2_T3_PNSH_ISM_E10value_typeET4_T5_PSR_SS_PNS1_23onesweep_lookback_stateEbbT6_jjT7_P12ihipStream_tbENKUlT_T0_SG_SL_E_clIS7_S7_SB_SB_EEDaSZ_S10_SG_SL_EUlSZ_E_NS1_11comp_targetILNS1_3genE6ELNS1_11target_archE950ELNS1_3gpuE13ELNS1_3repE0EEENS1_47radix_sort_onesweep_sort_config_static_selectorELNS0_4arch9wavefront6targetE1EEEvSG_: ; @_ZN7rocprim17ROCPRIM_400000_NS6detail17trampoline_kernelINS0_14default_configENS1_35radix_sort_onesweep_config_selectorIllEEZZNS1_29radix_sort_onesweep_iterationIS3_Lb0EPlS7_N6thrust23THRUST_200600_302600_NS10device_ptrIlEESB_jNS0_19identity_decomposerENS1_16block_id_wrapperIjLb1EEEEE10hipError_tT1_PNSt15iterator_traitsISG_E10value_typeET2_T3_PNSH_ISM_E10value_typeET4_T5_PSR_SS_PNS1_23onesweep_lookback_stateEbbT6_jjT7_P12ihipStream_tbENKUlT_T0_SG_SL_E_clIS7_S7_SB_SB_EEDaSZ_S10_SG_SL_EUlSZ_E_NS1_11comp_targetILNS1_3genE6ELNS1_11target_archE950ELNS1_3gpuE13ELNS1_3repE0EEENS1_47radix_sort_onesweep_sort_config_static_selectorELNS0_4arch9wavefront6targetE1EEEvSG_
; %bb.0:
	.section	.rodata,"a",@progbits
	.p2align	6, 0x0
	.amdhsa_kernel _ZN7rocprim17ROCPRIM_400000_NS6detail17trampoline_kernelINS0_14default_configENS1_35radix_sort_onesweep_config_selectorIllEEZZNS1_29radix_sort_onesweep_iterationIS3_Lb0EPlS7_N6thrust23THRUST_200600_302600_NS10device_ptrIlEESB_jNS0_19identity_decomposerENS1_16block_id_wrapperIjLb1EEEEE10hipError_tT1_PNSt15iterator_traitsISG_E10value_typeET2_T3_PNSH_ISM_E10value_typeET4_T5_PSR_SS_PNS1_23onesweep_lookback_stateEbbT6_jjT7_P12ihipStream_tbENKUlT_T0_SG_SL_E_clIS7_S7_SB_SB_EEDaSZ_S10_SG_SL_EUlSZ_E_NS1_11comp_targetILNS1_3genE6ELNS1_11target_archE950ELNS1_3gpuE13ELNS1_3repE0EEENS1_47radix_sort_onesweep_sort_config_static_selectorELNS0_4arch9wavefront6targetE1EEEvSG_
		.amdhsa_group_segment_fixed_size 0
		.amdhsa_private_segment_fixed_size 0
		.amdhsa_kernarg_size 88
		.amdhsa_user_sgpr_count 6
		.amdhsa_user_sgpr_private_segment_buffer 1
		.amdhsa_user_sgpr_dispatch_ptr 0
		.amdhsa_user_sgpr_queue_ptr 0
		.amdhsa_user_sgpr_kernarg_segment_ptr 1
		.amdhsa_user_sgpr_dispatch_id 0
		.amdhsa_user_sgpr_flat_scratch_init 0
		.amdhsa_user_sgpr_kernarg_preload_length 0
		.amdhsa_user_sgpr_kernarg_preload_offset 0
		.amdhsa_user_sgpr_private_segment_size 0
		.amdhsa_uses_dynamic_stack 0
		.amdhsa_system_sgpr_private_segment_wavefront_offset 0
		.amdhsa_system_sgpr_workgroup_id_x 1
		.amdhsa_system_sgpr_workgroup_id_y 0
		.amdhsa_system_sgpr_workgroup_id_z 0
		.amdhsa_system_sgpr_workgroup_info 0
		.amdhsa_system_vgpr_workitem_id 0
		.amdhsa_next_free_vgpr 1
		.amdhsa_next_free_sgpr 0
		.amdhsa_accum_offset 4
		.amdhsa_reserve_vcc 0
		.amdhsa_reserve_flat_scratch 0
		.amdhsa_float_round_mode_32 0
		.amdhsa_float_round_mode_16_64 0
		.amdhsa_float_denorm_mode_32 3
		.amdhsa_float_denorm_mode_16_64 3
		.amdhsa_dx10_clamp 1
		.amdhsa_ieee_mode 1
		.amdhsa_fp16_overflow 0
		.amdhsa_tg_split 0
		.amdhsa_exception_fp_ieee_invalid_op 0
		.amdhsa_exception_fp_denorm_src 0
		.amdhsa_exception_fp_ieee_div_zero 0
		.amdhsa_exception_fp_ieee_overflow 0
		.amdhsa_exception_fp_ieee_underflow 0
		.amdhsa_exception_fp_ieee_inexact 0
		.amdhsa_exception_int_div_zero 0
	.end_amdhsa_kernel
	.section	.text._ZN7rocprim17ROCPRIM_400000_NS6detail17trampoline_kernelINS0_14default_configENS1_35radix_sort_onesweep_config_selectorIllEEZZNS1_29radix_sort_onesweep_iterationIS3_Lb0EPlS7_N6thrust23THRUST_200600_302600_NS10device_ptrIlEESB_jNS0_19identity_decomposerENS1_16block_id_wrapperIjLb1EEEEE10hipError_tT1_PNSt15iterator_traitsISG_E10value_typeET2_T3_PNSH_ISM_E10value_typeET4_T5_PSR_SS_PNS1_23onesweep_lookback_stateEbbT6_jjT7_P12ihipStream_tbENKUlT_T0_SG_SL_E_clIS7_S7_SB_SB_EEDaSZ_S10_SG_SL_EUlSZ_E_NS1_11comp_targetILNS1_3genE6ELNS1_11target_archE950ELNS1_3gpuE13ELNS1_3repE0EEENS1_47radix_sort_onesweep_sort_config_static_selectorELNS0_4arch9wavefront6targetE1EEEvSG_,"axG",@progbits,_ZN7rocprim17ROCPRIM_400000_NS6detail17trampoline_kernelINS0_14default_configENS1_35radix_sort_onesweep_config_selectorIllEEZZNS1_29radix_sort_onesweep_iterationIS3_Lb0EPlS7_N6thrust23THRUST_200600_302600_NS10device_ptrIlEESB_jNS0_19identity_decomposerENS1_16block_id_wrapperIjLb1EEEEE10hipError_tT1_PNSt15iterator_traitsISG_E10value_typeET2_T3_PNSH_ISM_E10value_typeET4_T5_PSR_SS_PNS1_23onesweep_lookback_stateEbbT6_jjT7_P12ihipStream_tbENKUlT_T0_SG_SL_E_clIS7_S7_SB_SB_EEDaSZ_S10_SG_SL_EUlSZ_E_NS1_11comp_targetILNS1_3genE6ELNS1_11target_archE950ELNS1_3gpuE13ELNS1_3repE0EEENS1_47radix_sort_onesweep_sort_config_static_selectorELNS0_4arch9wavefront6targetE1EEEvSG_,comdat
.Lfunc_end1133:
	.size	_ZN7rocprim17ROCPRIM_400000_NS6detail17trampoline_kernelINS0_14default_configENS1_35radix_sort_onesweep_config_selectorIllEEZZNS1_29radix_sort_onesweep_iterationIS3_Lb0EPlS7_N6thrust23THRUST_200600_302600_NS10device_ptrIlEESB_jNS0_19identity_decomposerENS1_16block_id_wrapperIjLb1EEEEE10hipError_tT1_PNSt15iterator_traitsISG_E10value_typeET2_T3_PNSH_ISM_E10value_typeET4_T5_PSR_SS_PNS1_23onesweep_lookback_stateEbbT6_jjT7_P12ihipStream_tbENKUlT_T0_SG_SL_E_clIS7_S7_SB_SB_EEDaSZ_S10_SG_SL_EUlSZ_E_NS1_11comp_targetILNS1_3genE6ELNS1_11target_archE950ELNS1_3gpuE13ELNS1_3repE0EEENS1_47radix_sort_onesweep_sort_config_static_selectorELNS0_4arch9wavefront6targetE1EEEvSG_, .Lfunc_end1133-_ZN7rocprim17ROCPRIM_400000_NS6detail17trampoline_kernelINS0_14default_configENS1_35radix_sort_onesweep_config_selectorIllEEZZNS1_29radix_sort_onesweep_iterationIS3_Lb0EPlS7_N6thrust23THRUST_200600_302600_NS10device_ptrIlEESB_jNS0_19identity_decomposerENS1_16block_id_wrapperIjLb1EEEEE10hipError_tT1_PNSt15iterator_traitsISG_E10value_typeET2_T3_PNSH_ISM_E10value_typeET4_T5_PSR_SS_PNS1_23onesweep_lookback_stateEbbT6_jjT7_P12ihipStream_tbENKUlT_T0_SG_SL_E_clIS7_S7_SB_SB_EEDaSZ_S10_SG_SL_EUlSZ_E_NS1_11comp_targetILNS1_3genE6ELNS1_11target_archE950ELNS1_3gpuE13ELNS1_3repE0EEENS1_47radix_sort_onesweep_sort_config_static_selectorELNS0_4arch9wavefront6targetE1EEEvSG_
                                        ; -- End function
	.section	.AMDGPU.csdata,"",@progbits
; Kernel info:
; codeLenInByte = 0
; NumSgprs: 4
; NumVgprs: 0
; NumAgprs: 0
; TotalNumVgprs: 0
; ScratchSize: 0
; MemoryBound: 0
; FloatMode: 240
; IeeeMode: 1
; LDSByteSize: 0 bytes/workgroup (compile time only)
; SGPRBlocks: 0
; VGPRBlocks: 0
; NumSGPRsForWavesPerEU: 4
; NumVGPRsForWavesPerEU: 1
; AccumOffset: 4
; Occupancy: 8
; WaveLimiterHint : 0
; COMPUTE_PGM_RSRC2:SCRATCH_EN: 0
; COMPUTE_PGM_RSRC2:USER_SGPR: 6
; COMPUTE_PGM_RSRC2:TRAP_HANDLER: 0
; COMPUTE_PGM_RSRC2:TGID_X_EN: 1
; COMPUTE_PGM_RSRC2:TGID_Y_EN: 0
; COMPUTE_PGM_RSRC2:TGID_Z_EN: 0
; COMPUTE_PGM_RSRC2:TIDIG_COMP_CNT: 0
; COMPUTE_PGM_RSRC3_GFX90A:ACCUM_OFFSET: 0
; COMPUTE_PGM_RSRC3_GFX90A:TG_SPLIT: 0
	.section	.text._ZN7rocprim17ROCPRIM_400000_NS6detail17trampoline_kernelINS0_14default_configENS1_35radix_sort_onesweep_config_selectorIllEEZZNS1_29radix_sort_onesweep_iterationIS3_Lb0EPlS7_N6thrust23THRUST_200600_302600_NS10device_ptrIlEESB_jNS0_19identity_decomposerENS1_16block_id_wrapperIjLb1EEEEE10hipError_tT1_PNSt15iterator_traitsISG_E10value_typeET2_T3_PNSH_ISM_E10value_typeET4_T5_PSR_SS_PNS1_23onesweep_lookback_stateEbbT6_jjT7_P12ihipStream_tbENKUlT_T0_SG_SL_E_clIS7_S7_SB_SB_EEDaSZ_S10_SG_SL_EUlSZ_E_NS1_11comp_targetILNS1_3genE5ELNS1_11target_archE942ELNS1_3gpuE9ELNS1_3repE0EEENS1_47radix_sort_onesweep_sort_config_static_selectorELNS0_4arch9wavefront6targetE1EEEvSG_,"axG",@progbits,_ZN7rocprim17ROCPRIM_400000_NS6detail17trampoline_kernelINS0_14default_configENS1_35radix_sort_onesweep_config_selectorIllEEZZNS1_29radix_sort_onesweep_iterationIS3_Lb0EPlS7_N6thrust23THRUST_200600_302600_NS10device_ptrIlEESB_jNS0_19identity_decomposerENS1_16block_id_wrapperIjLb1EEEEE10hipError_tT1_PNSt15iterator_traitsISG_E10value_typeET2_T3_PNSH_ISM_E10value_typeET4_T5_PSR_SS_PNS1_23onesweep_lookback_stateEbbT6_jjT7_P12ihipStream_tbENKUlT_T0_SG_SL_E_clIS7_S7_SB_SB_EEDaSZ_S10_SG_SL_EUlSZ_E_NS1_11comp_targetILNS1_3genE5ELNS1_11target_archE942ELNS1_3gpuE9ELNS1_3repE0EEENS1_47radix_sort_onesweep_sort_config_static_selectorELNS0_4arch9wavefront6targetE1EEEvSG_,comdat
	.protected	_ZN7rocprim17ROCPRIM_400000_NS6detail17trampoline_kernelINS0_14default_configENS1_35radix_sort_onesweep_config_selectorIllEEZZNS1_29radix_sort_onesweep_iterationIS3_Lb0EPlS7_N6thrust23THRUST_200600_302600_NS10device_ptrIlEESB_jNS0_19identity_decomposerENS1_16block_id_wrapperIjLb1EEEEE10hipError_tT1_PNSt15iterator_traitsISG_E10value_typeET2_T3_PNSH_ISM_E10value_typeET4_T5_PSR_SS_PNS1_23onesweep_lookback_stateEbbT6_jjT7_P12ihipStream_tbENKUlT_T0_SG_SL_E_clIS7_S7_SB_SB_EEDaSZ_S10_SG_SL_EUlSZ_E_NS1_11comp_targetILNS1_3genE5ELNS1_11target_archE942ELNS1_3gpuE9ELNS1_3repE0EEENS1_47radix_sort_onesweep_sort_config_static_selectorELNS0_4arch9wavefront6targetE1EEEvSG_ ; -- Begin function _ZN7rocprim17ROCPRIM_400000_NS6detail17trampoline_kernelINS0_14default_configENS1_35radix_sort_onesweep_config_selectorIllEEZZNS1_29radix_sort_onesweep_iterationIS3_Lb0EPlS7_N6thrust23THRUST_200600_302600_NS10device_ptrIlEESB_jNS0_19identity_decomposerENS1_16block_id_wrapperIjLb1EEEEE10hipError_tT1_PNSt15iterator_traitsISG_E10value_typeET2_T3_PNSH_ISM_E10value_typeET4_T5_PSR_SS_PNS1_23onesweep_lookback_stateEbbT6_jjT7_P12ihipStream_tbENKUlT_T0_SG_SL_E_clIS7_S7_SB_SB_EEDaSZ_S10_SG_SL_EUlSZ_E_NS1_11comp_targetILNS1_3genE5ELNS1_11target_archE942ELNS1_3gpuE9ELNS1_3repE0EEENS1_47radix_sort_onesweep_sort_config_static_selectorELNS0_4arch9wavefront6targetE1EEEvSG_
	.globl	_ZN7rocprim17ROCPRIM_400000_NS6detail17trampoline_kernelINS0_14default_configENS1_35radix_sort_onesweep_config_selectorIllEEZZNS1_29radix_sort_onesweep_iterationIS3_Lb0EPlS7_N6thrust23THRUST_200600_302600_NS10device_ptrIlEESB_jNS0_19identity_decomposerENS1_16block_id_wrapperIjLb1EEEEE10hipError_tT1_PNSt15iterator_traitsISG_E10value_typeET2_T3_PNSH_ISM_E10value_typeET4_T5_PSR_SS_PNS1_23onesweep_lookback_stateEbbT6_jjT7_P12ihipStream_tbENKUlT_T0_SG_SL_E_clIS7_S7_SB_SB_EEDaSZ_S10_SG_SL_EUlSZ_E_NS1_11comp_targetILNS1_3genE5ELNS1_11target_archE942ELNS1_3gpuE9ELNS1_3repE0EEENS1_47radix_sort_onesweep_sort_config_static_selectorELNS0_4arch9wavefront6targetE1EEEvSG_
	.p2align	8
	.type	_ZN7rocprim17ROCPRIM_400000_NS6detail17trampoline_kernelINS0_14default_configENS1_35radix_sort_onesweep_config_selectorIllEEZZNS1_29radix_sort_onesweep_iterationIS3_Lb0EPlS7_N6thrust23THRUST_200600_302600_NS10device_ptrIlEESB_jNS0_19identity_decomposerENS1_16block_id_wrapperIjLb1EEEEE10hipError_tT1_PNSt15iterator_traitsISG_E10value_typeET2_T3_PNSH_ISM_E10value_typeET4_T5_PSR_SS_PNS1_23onesweep_lookback_stateEbbT6_jjT7_P12ihipStream_tbENKUlT_T0_SG_SL_E_clIS7_S7_SB_SB_EEDaSZ_S10_SG_SL_EUlSZ_E_NS1_11comp_targetILNS1_3genE5ELNS1_11target_archE942ELNS1_3gpuE9ELNS1_3repE0EEENS1_47radix_sort_onesweep_sort_config_static_selectorELNS0_4arch9wavefront6targetE1EEEvSG_,@function
_ZN7rocprim17ROCPRIM_400000_NS6detail17trampoline_kernelINS0_14default_configENS1_35radix_sort_onesweep_config_selectorIllEEZZNS1_29radix_sort_onesweep_iterationIS3_Lb0EPlS7_N6thrust23THRUST_200600_302600_NS10device_ptrIlEESB_jNS0_19identity_decomposerENS1_16block_id_wrapperIjLb1EEEEE10hipError_tT1_PNSt15iterator_traitsISG_E10value_typeET2_T3_PNSH_ISM_E10value_typeET4_T5_PSR_SS_PNS1_23onesweep_lookback_stateEbbT6_jjT7_P12ihipStream_tbENKUlT_T0_SG_SL_E_clIS7_S7_SB_SB_EEDaSZ_S10_SG_SL_EUlSZ_E_NS1_11comp_targetILNS1_3genE5ELNS1_11target_archE942ELNS1_3gpuE9ELNS1_3repE0EEENS1_47radix_sort_onesweep_sort_config_static_selectorELNS0_4arch9wavefront6targetE1EEEvSG_: ; @_ZN7rocprim17ROCPRIM_400000_NS6detail17trampoline_kernelINS0_14default_configENS1_35radix_sort_onesweep_config_selectorIllEEZZNS1_29radix_sort_onesweep_iterationIS3_Lb0EPlS7_N6thrust23THRUST_200600_302600_NS10device_ptrIlEESB_jNS0_19identity_decomposerENS1_16block_id_wrapperIjLb1EEEEE10hipError_tT1_PNSt15iterator_traitsISG_E10value_typeET2_T3_PNSH_ISM_E10value_typeET4_T5_PSR_SS_PNS1_23onesweep_lookback_stateEbbT6_jjT7_P12ihipStream_tbENKUlT_T0_SG_SL_E_clIS7_S7_SB_SB_EEDaSZ_S10_SG_SL_EUlSZ_E_NS1_11comp_targetILNS1_3genE5ELNS1_11target_archE942ELNS1_3gpuE9ELNS1_3repE0EEENS1_47radix_sort_onesweep_sort_config_static_selectorELNS0_4arch9wavefront6targetE1EEEvSG_
; %bb.0:
	.section	.rodata,"a",@progbits
	.p2align	6, 0x0
	.amdhsa_kernel _ZN7rocprim17ROCPRIM_400000_NS6detail17trampoline_kernelINS0_14default_configENS1_35radix_sort_onesweep_config_selectorIllEEZZNS1_29radix_sort_onesweep_iterationIS3_Lb0EPlS7_N6thrust23THRUST_200600_302600_NS10device_ptrIlEESB_jNS0_19identity_decomposerENS1_16block_id_wrapperIjLb1EEEEE10hipError_tT1_PNSt15iterator_traitsISG_E10value_typeET2_T3_PNSH_ISM_E10value_typeET4_T5_PSR_SS_PNS1_23onesweep_lookback_stateEbbT6_jjT7_P12ihipStream_tbENKUlT_T0_SG_SL_E_clIS7_S7_SB_SB_EEDaSZ_S10_SG_SL_EUlSZ_E_NS1_11comp_targetILNS1_3genE5ELNS1_11target_archE942ELNS1_3gpuE9ELNS1_3repE0EEENS1_47radix_sort_onesweep_sort_config_static_selectorELNS0_4arch9wavefront6targetE1EEEvSG_
		.amdhsa_group_segment_fixed_size 0
		.amdhsa_private_segment_fixed_size 0
		.amdhsa_kernarg_size 88
		.amdhsa_user_sgpr_count 6
		.amdhsa_user_sgpr_private_segment_buffer 1
		.amdhsa_user_sgpr_dispatch_ptr 0
		.amdhsa_user_sgpr_queue_ptr 0
		.amdhsa_user_sgpr_kernarg_segment_ptr 1
		.amdhsa_user_sgpr_dispatch_id 0
		.amdhsa_user_sgpr_flat_scratch_init 0
		.amdhsa_user_sgpr_kernarg_preload_length 0
		.amdhsa_user_sgpr_kernarg_preload_offset 0
		.amdhsa_user_sgpr_private_segment_size 0
		.amdhsa_uses_dynamic_stack 0
		.amdhsa_system_sgpr_private_segment_wavefront_offset 0
		.amdhsa_system_sgpr_workgroup_id_x 1
		.amdhsa_system_sgpr_workgroup_id_y 0
		.amdhsa_system_sgpr_workgroup_id_z 0
		.amdhsa_system_sgpr_workgroup_info 0
		.amdhsa_system_vgpr_workitem_id 0
		.amdhsa_next_free_vgpr 1
		.amdhsa_next_free_sgpr 0
		.amdhsa_accum_offset 4
		.amdhsa_reserve_vcc 0
		.amdhsa_reserve_flat_scratch 0
		.amdhsa_float_round_mode_32 0
		.amdhsa_float_round_mode_16_64 0
		.amdhsa_float_denorm_mode_32 3
		.amdhsa_float_denorm_mode_16_64 3
		.amdhsa_dx10_clamp 1
		.amdhsa_ieee_mode 1
		.amdhsa_fp16_overflow 0
		.amdhsa_tg_split 0
		.amdhsa_exception_fp_ieee_invalid_op 0
		.amdhsa_exception_fp_denorm_src 0
		.amdhsa_exception_fp_ieee_div_zero 0
		.amdhsa_exception_fp_ieee_overflow 0
		.amdhsa_exception_fp_ieee_underflow 0
		.amdhsa_exception_fp_ieee_inexact 0
		.amdhsa_exception_int_div_zero 0
	.end_amdhsa_kernel
	.section	.text._ZN7rocprim17ROCPRIM_400000_NS6detail17trampoline_kernelINS0_14default_configENS1_35radix_sort_onesweep_config_selectorIllEEZZNS1_29radix_sort_onesweep_iterationIS3_Lb0EPlS7_N6thrust23THRUST_200600_302600_NS10device_ptrIlEESB_jNS0_19identity_decomposerENS1_16block_id_wrapperIjLb1EEEEE10hipError_tT1_PNSt15iterator_traitsISG_E10value_typeET2_T3_PNSH_ISM_E10value_typeET4_T5_PSR_SS_PNS1_23onesweep_lookback_stateEbbT6_jjT7_P12ihipStream_tbENKUlT_T0_SG_SL_E_clIS7_S7_SB_SB_EEDaSZ_S10_SG_SL_EUlSZ_E_NS1_11comp_targetILNS1_3genE5ELNS1_11target_archE942ELNS1_3gpuE9ELNS1_3repE0EEENS1_47radix_sort_onesweep_sort_config_static_selectorELNS0_4arch9wavefront6targetE1EEEvSG_,"axG",@progbits,_ZN7rocprim17ROCPRIM_400000_NS6detail17trampoline_kernelINS0_14default_configENS1_35radix_sort_onesweep_config_selectorIllEEZZNS1_29radix_sort_onesweep_iterationIS3_Lb0EPlS7_N6thrust23THRUST_200600_302600_NS10device_ptrIlEESB_jNS0_19identity_decomposerENS1_16block_id_wrapperIjLb1EEEEE10hipError_tT1_PNSt15iterator_traitsISG_E10value_typeET2_T3_PNSH_ISM_E10value_typeET4_T5_PSR_SS_PNS1_23onesweep_lookback_stateEbbT6_jjT7_P12ihipStream_tbENKUlT_T0_SG_SL_E_clIS7_S7_SB_SB_EEDaSZ_S10_SG_SL_EUlSZ_E_NS1_11comp_targetILNS1_3genE5ELNS1_11target_archE942ELNS1_3gpuE9ELNS1_3repE0EEENS1_47radix_sort_onesweep_sort_config_static_selectorELNS0_4arch9wavefront6targetE1EEEvSG_,comdat
.Lfunc_end1134:
	.size	_ZN7rocprim17ROCPRIM_400000_NS6detail17trampoline_kernelINS0_14default_configENS1_35radix_sort_onesweep_config_selectorIllEEZZNS1_29radix_sort_onesweep_iterationIS3_Lb0EPlS7_N6thrust23THRUST_200600_302600_NS10device_ptrIlEESB_jNS0_19identity_decomposerENS1_16block_id_wrapperIjLb1EEEEE10hipError_tT1_PNSt15iterator_traitsISG_E10value_typeET2_T3_PNSH_ISM_E10value_typeET4_T5_PSR_SS_PNS1_23onesweep_lookback_stateEbbT6_jjT7_P12ihipStream_tbENKUlT_T0_SG_SL_E_clIS7_S7_SB_SB_EEDaSZ_S10_SG_SL_EUlSZ_E_NS1_11comp_targetILNS1_3genE5ELNS1_11target_archE942ELNS1_3gpuE9ELNS1_3repE0EEENS1_47radix_sort_onesweep_sort_config_static_selectorELNS0_4arch9wavefront6targetE1EEEvSG_, .Lfunc_end1134-_ZN7rocprim17ROCPRIM_400000_NS6detail17trampoline_kernelINS0_14default_configENS1_35radix_sort_onesweep_config_selectorIllEEZZNS1_29radix_sort_onesweep_iterationIS3_Lb0EPlS7_N6thrust23THRUST_200600_302600_NS10device_ptrIlEESB_jNS0_19identity_decomposerENS1_16block_id_wrapperIjLb1EEEEE10hipError_tT1_PNSt15iterator_traitsISG_E10value_typeET2_T3_PNSH_ISM_E10value_typeET4_T5_PSR_SS_PNS1_23onesweep_lookback_stateEbbT6_jjT7_P12ihipStream_tbENKUlT_T0_SG_SL_E_clIS7_S7_SB_SB_EEDaSZ_S10_SG_SL_EUlSZ_E_NS1_11comp_targetILNS1_3genE5ELNS1_11target_archE942ELNS1_3gpuE9ELNS1_3repE0EEENS1_47radix_sort_onesweep_sort_config_static_selectorELNS0_4arch9wavefront6targetE1EEEvSG_
                                        ; -- End function
	.section	.AMDGPU.csdata,"",@progbits
; Kernel info:
; codeLenInByte = 0
; NumSgprs: 4
; NumVgprs: 0
; NumAgprs: 0
; TotalNumVgprs: 0
; ScratchSize: 0
; MemoryBound: 0
; FloatMode: 240
; IeeeMode: 1
; LDSByteSize: 0 bytes/workgroup (compile time only)
; SGPRBlocks: 0
; VGPRBlocks: 0
; NumSGPRsForWavesPerEU: 4
; NumVGPRsForWavesPerEU: 1
; AccumOffset: 4
; Occupancy: 8
; WaveLimiterHint : 0
; COMPUTE_PGM_RSRC2:SCRATCH_EN: 0
; COMPUTE_PGM_RSRC2:USER_SGPR: 6
; COMPUTE_PGM_RSRC2:TRAP_HANDLER: 0
; COMPUTE_PGM_RSRC2:TGID_X_EN: 1
; COMPUTE_PGM_RSRC2:TGID_Y_EN: 0
; COMPUTE_PGM_RSRC2:TGID_Z_EN: 0
; COMPUTE_PGM_RSRC2:TIDIG_COMP_CNT: 0
; COMPUTE_PGM_RSRC3_GFX90A:ACCUM_OFFSET: 0
; COMPUTE_PGM_RSRC3_GFX90A:TG_SPLIT: 0
	.section	.text._ZN7rocprim17ROCPRIM_400000_NS6detail17trampoline_kernelINS0_14default_configENS1_35radix_sort_onesweep_config_selectorIllEEZZNS1_29radix_sort_onesweep_iterationIS3_Lb0EPlS7_N6thrust23THRUST_200600_302600_NS10device_ptrIlEESB_jNS0_19identity_decomposerENS1_16block_id_wrapperIjLb1EEEEE10hipError_tT1_PNSt15iterator_traitsISG_E10value_typeET2_T3_PNSH_ISM_E10value_typeET4_T5_PSR_SS_PNS1_23onesweep_lookback_stateEbbT6_jjT7_P12ihipStream_tbENKUlT_T0_SG_SL_E_clIS7_S7_SB_SB_EEDaSZ_S10_SG_SL_EUlSZ_E_NS1_11comp_targetILNS1_3genE2ELNS1_11target_archE906ELNS1_3gpuE6ELNS1_3repE0EEENS1_47radix_sort_onesweep_sort_config_static_selectorELNS0_4arch9wavefront6targetE1EEEvSG_,"axG",@progbits,_ZN7rocprim17ROCPRIM_400000_NS6detail17trampoline_kernelINS0_14default_configENS1_35radix_sort_onesweep_config_selectorIllEEZZNS1_29radix_sort_onesweep_iterationIS3_Lb0EPlS7_N6thrust23THRUST_200600_302600_NS10device_ptrIlEESB_jNS0_19identity_decomposerENS1_16block_id_wrapperIjLb1EEEEE10hipError_tT1_PNSt15iterator_traitsISG_E10value_typeET2_T3_PNSH_ISM_E10value_typeET4_T5_PSR_SS_PNS1_23onesweep_lookback_stateEbbT6_jjT7_P12ihipStream_tbENKUlT_T0_SG_SL_E_clIS7_S7_SB_SB_EEDaSZ_S10_SG_SL_EUlSZ_E_NS1_11comp_targetILNS1_3genE2ELNS1_11target_archE906ELNS1_3gpuE6ELNS1_3repE0EEENS1_47radix_sort_onesweep_sort_config_static_selectorELNS0_4arch9wavefront6targetE1EEEvSG_,comdat
	.protected	_ZN7rocprim17ROCPRIM_400000_NS6detail17trampoline_kernelINS0_14default_configENS1_35radix_sort_onesweep_config_selectorIllEEZZNS1_29radix_sort_onesweep_iterationIS3_Lb0EPlS7_N6thrust23THRUST_200600_302600_NS10device_ptrIlEESB_jNS0_19identity_decomposerENS1_16block_id_wrapperIjLb1EEEEE10hipError_tT1_PNSt15iterator_traitsISG_E10value_typeET2_T3_PNSH_ISM_E10value_typeET4_T5_PSR_SS_PNS1_23onesweep_lookback_stateEbbT6_jjT7_P12ihipStream_tbENKUlT_T0_SG_SL_E_clIS7_S7_SB_SB_EEDaSZ_S10_SG_SL_EUlSZ_E_NS1_11comp_targetILNS1_3genE2ELNS1_11target_archE906ELNS1_3gpuE6ELNS1_3repE0EEENS1_47radix_sort_onesweep_sort_config_static_selectorELNS0_4arch9wavefront6targetE1EEEvSG_ ; -- Begin function _ZN7rocprim17ROCPRIM_400000_NS6detail17trampoline_kernelINS0_14default_configENS1_35radix_sort_onesweep_config_selectorIllEEZZNS1_29radix_sort_onesweep_iterationIS3_Lb0EPlS7_N6thrust23THRUST_200600_302600_NS10device_ptrIlEESB_jNS0_19identity_decomposerENS1_16block_id_wrapperIjLb1EEEEE10hipError_tT1_PNSt15iterator_traitsISG_E10value_typeET2_T3_PNSH_ISM_E10value_typeET4_T5_PSR_SS_PNS1_23onesweep_lookback_stateEbbT6_jjT7_P12ihipStream_tbENKUlT_T0_SG_SL_E_clIS7_S7_SB_SB_EEDaSZ_S10_SG_SL_EUlSZ_E_NS1_11comp_targetILNS1_3genE2ELNS1_11target_archE906ELNS1_3gpuE6ELNS1_3repE0EEENS1_47radix_sort_onesweep_sort_config_static_selectorELNS0_4arch9wavefront6targetE1EEEvSG_
	.globl	_ZN7rocprim17ROCPRIM_400000_NS6detail17trampoline_kernelINS0_14default_configENS1_35radix_sort_onesweep_config_selectorIllEEZZNS1_29radix_sort_onesweep_iterationIS3_Lb0EPlS7_N6thrust23THRUST_200600_302600_NS10device_ptrIlEESB_jNS0_19identity_decomposerENS1_16block_id_wrapperIjLb1EEEEE10hipError_tT1_PNSt15iterator_traitsISG_E10value_typeET2_T3_PNSH_ISM_E10value_typeET4_T5_PSR_SS_PNS1_23onesweep_lookback_stateEbbT6_jjT7_P12ihipStream_tbENKUlT_T0_SG_SL_E_clIS7_S7_SB_SB_EEDaSZ_S10_SG_SL_EUlSZ_E_NS1_11comp_targetILNS1_3genE2ELNS1_11target_archE906ELNS1_3gpuE6ELNS1_3repE0EEENS1_47radix_sort_onesweep_sort_config_static_selectorELNS0_4arch9wavefront6targetE1EEEvSG_
	.p2align	8
	.type	_ZN7rocprim17ROCPRIM_400000_NS6detail17trampoline_kernelINS0_14default_configENS1_35radix_sort_onesweep_config_selectorIllEEZZNS1_29radix_sort_onesweep_iterationIS3_Lb0EPlS7_N6thrust23THRUST_200600_302600_NS10device_ptrIlEESB_jNS0_19identity_decomposerENS1_16block_id_wrapperIjLb1EEEEE10hipError_tT1_PNSt15iterator_traitsISG_E10value_typeET2_T3_PNSH_ISM_E10value_typeET4_T5_PSR_SS_PNS1_23onesweep_lookback_stateEbbT6_jjT7_P12ihipStream_tbENKUlT_T0_SG_SL_E_clIS7_S7_SB_SB_EEDaSZ_S10_SG_SL_EUlSZ_E_NS1_11comp_targetILNS1_3genE2ELNS1_11target_archE906ELNS1_3gpuE6ELNS1_3repE0EEENS1_47radix_sort_onesweep_sort_config_static_selectorELNS0_4arch9wavefront6targetE1EEEvSG_,@function
_ZN7rocprim17ROCPRIM_400000_NS6detail17trampoline_kernelINS0_14default_configENS1_35radix_sort_onesweep_config_selectorIllEEZZNS1_29radix_sort_onesweep_iterationIS3_Lb0EPlS7_N6thrust23THRUST_200600_302600_NS10device_ptrIlEESB_jNS0_19identity_decomposerENS1_16block_id_wrapperIjLb1EEEEE10hipError_tT1_PNSt15iterator_traitsISG_E10value_typeET2_T3_PNSH_ISM_E10value_typeET4_T5_PSR_SS_PNS1_23onesweep_lookback_stateEbbT6_jjT7_P12ihipStream_tbENKUlT_T0_SG_SL_E_clIS7_S7_SB_SB_EEDaSZ_S10_SG_SL_EUlSZ_E_NS1_11comp_targetILNS1_3genE2ELNS1_11target_archE906ELNS1_3gpuE6ELNS1_3repE0EEENS1_47radix_sort_onesweep_sort_config_static_selectorELNS0_4arch9wavefront6targetE1EEEvSG_: ; @_ZN7rocprim17ROCPRIM_400000_NS6detail17trampoline_kernelINS0_14default_configENS1_35radix_sort_onesweep_config_selectorIllEEZZNS1_29radix_sort_onesweep_iterationIS3_Lb0EPlS7_N6thrust23THRUST_200600_302600_NS10device_ptrIlEESB_jNS0_19identity_decomposerENS1_16block_id_wrapperIjLb1EEEEE10hipError_tT1_PNSt15iterator_traitsISG_E10value_typeET2_T3_PNSH_ISM_E10value_typeET4_T5_PSR_SS_PNS1_23onesweep_lookback_stateEbbT6_jjT7_P12ihipStream_tbENKUlT_T0_SG_SL_E_clIS7_S7_SB_SB_EEDaSZ_S10_SG_SL_EUlSZ_E_NS1_11comp_targetILNS1_3genE2ELNS1_11target_archE906ELNS1_3gpuE6ELNS1_3repE0EEENS1_47radix_sort_onesweep_sort_config_static_selectorELNS0_4arch9wavefront6targetE1EEEvSG_
; %bb.0:
	.section	.rodata,"a",@progbits
	.p2align	6, 0x0
	.amdhsa_kernel _ZN7rocprim17ROCPRIM_400000_NS6detail17trampoline_kernelINS0_14default_configENS1_35radix_sort_onesweep_config_selectorIllEEZZNS1_29radix_sort_onesweep_iterationIS3_Lb0EPlS7_N6thrust23THRUST_200600_302600_NS10device_ptrIlEESB_jNS0_19identity_decomposerENS1_16block_id_wrapperIjLb1EEEEE10hipError_tT1_PNSt15iterator_traitsISG_E10value_typeET2_T3_PNSH_ISM_E10value_typeET4_T5_PSR_SS_PNS1_23onesweep_lookback_stateEbbT6_jjT7_P12ihipStream_tbENKUlT_T0_SG_SL_E_clIS7_S7_SB_SB_EEDaSZ_S10_SG_SL_EUlSZ_E_NS1_11comp_targetILNS1_3genE2ELNS1_11target_archE906ELNS1_3gpuE6ELNS1_3repE0EEENS1_47radix_sort_onesweep_sort_config_static_selectorELNS0_4arch9wavefront6targetE1EEEvSG_
		.amdhsa_group_segment_fixed_size 0
		.amdhsa_private_segment_fixed_size 0
		.amdhsa_kernarg_size 88
		.amdhsa_user_sgpr_count 6
		.amdhsa_user_sgpr_private_segment_buffer 1
		.amdhsa_user_sgpr_dispatch_ptr 0
		.amdhsa_user_sgpr_queue_ptr 0
		.amdhsa_user_sgpr_kernarg_segment_ptr 1
		.amdhsa_user_sgpr_dispatch_id 0
		.amdhsa_user_sgpr_flat_scratch_init 0
		.amdhsa_user_sgpr_kernarg_preload_length 0
		.amdhsa_user_sgpr_kernarg_preload_offset 0
		.amdhsa_user_sgpr_private_segment_size 0
		.amdhsa_uses_dynamic_stack 0
		.amdhsa_system_sgpr_private_segment_wavefront_offset 0
		.amdhsa_system_sgpr_workgroup_id_x 1
		.amdhsa_system_sgpr_workgroup_id_y 0
		.amdhsa_system_sgpr_workgroup_id_z 0
		.amdhsa_system_sgpr_workgroup_info 0
		.amdhsa_system_vgpr_workitem_id 0
		.amdhsa_next_free_vgpr 1
		.amdhsa_next_free_sgpr 0
		.amdhsa_accum_offset 4
		.amdhsa_reserve_vcc 0
		.amdhsa_reserve_flat_scratch 0
		.amdhsa_float_round_mode_32 0
		.amdhsa_float_round_mode_16_64 0
		.amdhsa_float_denorm_mode_32 3
		.amdhsa_float_denorm_mode_16_64 3
		.amdhsa_dx10_clamp 1
		.amdhsa_ieee_mode 1
		.amdhsa_fp16_overflow 0
		.amdhsa_tg_split 0
		.amdhsa_exception_fp_ieee_invalid_op 0
		.amdhsa_exception_fp_denorm_src 0
		.amdhsa_exception_fp_ieee_div_zero 0
		.amdhsa_exception_fp_ieee_overflow 0
		.amdhsa_exception_fp_ieee_underflow 0
		.amdhsa_exception_fp_ieee_inexact 0
		.amdhsa_exception_int_div_zero 0
	.end_amdhsa_kernel
	.section	.text._ZN7rocprim17ROCPRIM_400000_NS6detail17trampoline_kernelINS0_14default_configENS1_35radix_sort_onesweep_config_selectorIllEEZZNS1_29radix_sort_onesweep_iterationIS3_Lb0EPlS7_N6thrust23THRUST_200600_302600_NS10device_ptrIlEESB_jNS0_19identity_decomposerENS1_16block_id_wrapperIjLb1EEEEE10hipError_tT1_PNSt15iterator_traitsISG_E10value_typeET2_T3_PNSH_ISM_E10value_typeET4_T5_PSR_SS_PNS1_23onesweep_lookback_stateEbbT6_jjT7_P12ihipStream_tbENKUlT_T0_SG_SL_E_clIS7_S7_SB_SB_EEDaSZ_S10_SG_SL_EUlSZ_E_NS1_11comp_targetILNS1_3genE2ELNS1_11target_archE906ELNS1_3gpuE6ELNS1_3repE0EEENS1_47radix_sort_onesweep_sort_config_static_selectorELNS0_4arch9wavefront6targetE1EEEvSG_,"axG",@progbits,_ZN7rocprim17ROCPRIM_400000_NS6detail17trampoline_kernelINS0_14default_configENS1_35radix_sort_onesweep_config_selectorIllEEZZNS1_29radix_sort_onesweep_iterationIS3_Lb0EPlS7_N6thrust23THRUST_200600_302600_NS10device_ptrIlEESB_jNS0_19identity_decomposerENS1_16block_id_wrapperIjLb1EEEEE10hipError_tT1_PNSt15iterator_traitsISG_E10value_typeET2_T3_PNSH_ISM_E10value_typeET4_T5_PSR_SS_PNS1_23onesweep_lookback_stateEbbT6_jjT7_P12ihipStream_tbENKUlT_T0_SG_SL_E_clIS7_S7_SB_SB_EEDaSZ_S10_SG_SL_EUlSZ_E_NS1_11comp_targetILNS1_3genE2ELNS1_11target_archE906ELNS1_3gpuE6ELNS1_3repE0EEENS1_47radix_sort_onesweep_sort_config_static_selectorELNS0_4arch9wavefront6targetE1EEEvSG_,comdat
.Lfunc_end1135:
	.size	_ZN7rocprim17ROCPRIM_400000_NS6detail17trampoline_kernelINS0_14default_configENS1_35radix_sort_onesweep_config_selectorIllEEZZNS1_29radix_sort_onesweep_iterationIS3_Lb0EPlS7_N6thrust23THRUST_200600_302600_NS10device_ptrIlEESB_jNS0_19identity_decomposerENS1_16block_id_wrapperIjLb1EEEEE10hipError_tT1_PNSt15iterator_traitsISG_E10value_typeET2_T3_PNSH_ISM_E10value_typeET4_T5_PSR_SS_PNS1_23onesweep_lookback_stateEbbT6_jjT7_P12ihipStream_tbENKUlT_T0_SG_SL_E_clIS7_S7_SB_SB_EEDaSZ_S10_SG_SL_EUlSZ_E_NS1_11comp_targetILNS1_3genE2ELNS1_11target_archE906ELNS1_3gpuE6ELNS1_3repE0EEENS1_47radix_sort_onesweep_sort_config_static_selectorELNS0_4arch9wavefront6targetE1EEEvSG_, .Lfunc_end1135-_ZN7rocprim17ROCPRIM_400000_NS6detail17trampoline_kernelINS0_14default_configENS1_35radix_sort_onesweep_config_selectorIllEEZZNS1_29radix_sort_onesweep_iterationIS3_Lb0EPlS7_N6thrust23THRUST_200600_302600_NS10device_ptrIlEESB_jNS0_19identity_decomposerENS1_16block_id_wrapperIjLb1EEEEE10hipError_tT1_PNSt15iterator_traitsISG_E10value_typeET2_T3_PNSH_ISM_E10value_typeET4_T5_PSR_SS_PNS1_23onesweep_lookback_stateEbbT6_jjT7_P12ihipStream_tbENKUlT_T0_SG_SL_E_clIS7_S7_SB_SB_EEDaSZ_S10_SG_SL_EUlSZ_E_NS1_11comp_targetILNS1_3genE2ELNS1_11target_archE906ELNS1_3gpuE6ELNS1_3repE0EEENS1_47radix_sort_onesweep_sort_config_static_selectorELNS0_4arch9wavefront6targetE1EEEvSG_
                                        ; -- End function
	.section	.AMDGPU.csdata,"",@progbits
; Kernel info:
; codeLenInByte = 0
; NumSgprs: 4
; NumVgprs: 0
; NumAgprs: 0
; TotalNumVgprs: 0
; ScratchSize: 0
; MemoryBound: 0
; FloatMode: 240
; IeeeMode: 1
; LDSByteSize: 0 bytes/workgroup (compile time only)
; SGPRBlocks: 0
; VGPRBlocks: 0
; NumSGPRsForWavesPerEU: 4
; NumVGPRsForWavesPerEU: 1
; AccumOffset: 4
; Occupancy: 8
; WaveLimiterHint : 0
; COMPUTE_PGM_RSRC2:SCRATCH_EN: 0
; COMPUTE_PGM_RSRC2:USER_SGPR: 6
; COMPUTE_PGM_RSRC2:TRAP_HANDLER: 0
; COMPUTE_PGM_RSRC2:TGID_X_EN: 1
; COMPUTE_PGM_RSRC2:TGID_Y_EN: 0
; COMPUTE_PGM_RSRC2:TGID_Z_EN: 0
; COMPUTE_PGM_RSRC2:TIDIG_COMP_CNT: 0
; COMPUTE_PGM_RSRC3_GFX90A:ACCUM_OFFSET: 0
; COMPUTE_PGM_RSRC3_GFX90A:TG_SPLIT: 0
	.section	.text._ZN7rocprim17ROCPRIM_400000_NS6detail17trampoline_kernelINS0_14default_configENS1_35radix_sort_onesweep_config_selectorIllEEZZNS1_29radix_sort_onesweep_iterationIS3_Lb0EPlS7_N6thrust23THRUST_200600_302600_NS10device_ptrIlEESB_jNS0_19identity_decomposerENS1_16block_id_wrapperIjLb1EEEEE10hipError_tT1_PNSt15iterator_traitsISG_E10value_typeET2_T3_PNSH_ISM_E10value_typeET4_T5_PSR_SS_PNS1_23onesweep_lookback_stateEbbT6_jjT7_P12ihipStream_tbENKUlT_T0_SG_SL_E_clIS7_S7_SB_SB_EEDaSZ_S10_SG_SL_EUlSZ_E_NS1_11comp_targetILNS1_3genE4ELNS1_11target_archE910ELNS1_3gpuE8ELNS1_3repE0EEENS1_47radix_sort_onesweep_sort_config_static_selectorELNS0_4arch9wavefront6targetE1EEEvSG_,"axG",@progbits,_ZN7rocprim17ROCPRIM_400000_NS6detail17trampoline_kernelINS0_14default_configENS1_35radix_sort_onesweep_config_selectorIllEEZZNS1_29radix_sort_onesweep_iterationIS3_Lb0EPlS7_N6thrust23THRUST_200600_302600_NS10device_ptrIlEESB_jNS0_19identity_decomposerENS1_16block_id_wrapperIjLb1EEEEE10hipError_tT1_PNSt15iterator_traitsISG_E10value_typeET2_T3_PNSH_ISM_E10value_typeET4_T5_PSR_SS_PNS1_23onesweep_lookback_stateEbbT6_jjT7_P12ihipStream_tbENKUlT_T0_SG_SL_E_clIS7_S7_SB_SB_EEDaSZ_S10_SG_SL_EUlSZ_E_NS1_11comp_targetILNS1_3genE4ELNS1_11target_archE910ELNS1_3gpuE8ELNS1_3repE0EEENS1_47radix_sort_onesweep_sort_config_static_selectorELNS0_4arch9wavefront6targetE1EEEvSG_,comdat
	.protected	_ZN7rocprim17ROCPRIM_400000_NS6detail17trampoline_kernelINS0_14default_configENS1_35radix_sort_onesweep_config_selectorIllEEZZNS1_29radix_sort_onesweep_iterationIS3_Lb0EPlS7_N6thrust23THRUST_200600_302600_NS10device_ptrIlEESB_jNS0_19identity_decomposerENS1_16block_id_wrapperIjLb1EEEEE10hipError_tT1_PNSt15iterator_traitsISG_E10value_typeET2_T3_PNSH_ISM_E10value_typeET4_T5_PSR_SS_PNS1_23onesweep_lookback_stateEbbT6_jjT7_P12ihipStream_tbENKUlT_T0_SG_SL_E_clIS7_S7_SB_SB_EEDaSZ_S10_SG_SL_EUlSZ_E_NS1_11comp_targetILNS1_3genE4ELNS1_11target_archE910ELNS1_3gpuE8ELNS1_3repE0EEENS1_47radix_sort_onesweep_sort_config_static_selectorELNS0_4arch9wavefront6targetE1EEEvSG_ ; -- Begin function _ZN7rocprim17ROCPRIM_400000_NS6detail17trampoline_kernelINS0_14default_configENS1_35radix_sort_onesweep_config_selectorIllEEZZNS1_29radix_sort_onesweep_iterationIS3_Lb0EPlS7_N6thrust23THRUST_200600_302600_NS10device_ptrIlEESB_jNS0_19identity_decomposerENS1_16block_id_wrapperIjLb1EEEEE10hipError_tT1_PNSt15iterator_traitsISG_E10value_typeET2_T3_PNSH_ISM_E10value_typeET4_T5_PSR_SS_PNS1_23onesweep_lookback_stateEbbT6_jjT7_P12ihipStream_tbENKUlT_T0_SG_SL_E_clIS7_S7_SB_SB_EEDaSZ_S10_SG_SL_EUlSZ_E_NS1_11comp_targetILNS1_3genE4ELNS1_11target_archE910ELNS1_3gpuE8ELNS1_3repE0EEENS1_47radix_sort_onesweep_sort_config_static_selectorELNS0_4arch9wavefront6targetE1EEEvSG_
	.globl	_ZN7rocprim17ROCPRIM_400000_NS6detail17trampoline_kernelINS0_14default_configENS1_35radix_sort_onesweep_config_selectorIllEEZZNS1_29radix_sort_onesweep_iterationIS3_Lb0EPlS7_N6thrust23THRUST_200600_302600_NS10device_ptrIlEESB_jNS0_19identity_decomposerENS1_16block_id_wrapperIjLb1EEEEE10hipError_tT1_PNSt15iterator_traitsISG_E10value_typeET2_T3_PNSH_ISM_E10value_typeET4_T5_PSR_SS_PNS1_23onesweep_lookback_stateEbbT6_jjT7_P12ihipStream_tbENKUlT_T0_SG_SL_E_clIS7_S7_SB_SB_EEDaSZ_S10_SG_SL_EUlSZ_E_NS1_11comp_targetILNS1_3genE4ELNS1_11target_archE910ELNS1_3gpuE8ELNS1_3repE0EEENS1_47radix_sort_onesweep_sort_config_static_selectorELNS0_4arch9wavefront6targetE1EEEvSG_
	.p2align	8
	.type	_ZN7rocprim17ROCPRIM_400000_NS6detail17trampoline_kernelINS0_14default_configENS1_35radix_sort_onesweep_config_selectorIllEEZZNS1_29radix_sort_onesweep_iterationIS3_Lb0EPlS7_N6thrust23THRUST_200600_302600_NS10device_ptrIlEESB_jNS0_19identity_decomposerENS1_16block_id_wrapperIjLb1EEEEE10hipError_tT1_PNSt15iterator_traitsISG_E10value_typeET2_T3_PNSH_ISM_E10value_typeET4_T5_PSR_SS_PNS1_23onesweep_lookback_stateEbbT6_jjT7_P12ihipStream_tbENKUlT_T0_SG_SL_E_clIS7_S7_SB_SB_EEDaSZ_S10_SG_SL_EUlSZ_E_NS1_11comp_targetILNS1_3genE4ELNS1_11target_archE910ELNS1_3gpuE8ELNS1_3repE0EEENS1_47radix_sort_onesweep_sort_config_static_selectorELNS0_4arch9wavefront6targetE1EEEvSG_,@function
_ZN7rocprim17ROCPRIM_400000_NS6detail17trampoline_kernelINS0_14default_configENS1_35radix_sort_onesweep_config_selectorIllEEZZNS1_29radix_sort_onesweep_iterationIS3_Lb0EPlS7_N6thrust23THRUST_200600_302600_NS10device_ptrIlEESB_jNS0_19identity_decomposerENS1_16block_id_wrapperIjLb1EEEEE10hipError_tT1_PNSt15iterator_traitsISG_E10value_typeET2_T3_PNSH_ISM_E10value_typeET4_T5_PSR_SS_PNS1_23onesweep_lookback_stateEbbT6_jjT7_P12ihipStream_tbENKUlT_T0_SG_SL_E_clIS7_S7_SB_SB_EEDaSZ_S10_SG_SL_EUlSZ_E_NS1_11comp_targetILNS1_3genE4ELNS1_11target_archE910ELNS1_3gpuE8ELNS1_3repE0EEENS1_47radix_sort_onesweep_sort_config_static_selectorELNS0_4arch9wavefront6targetE1EEEvSG_: ; @_ZN7rocprim17ROCPRIM_400000_NS6detail17trampoline_kernelINS0_14default_configENS1_35radix_sort_onesweep_config_selectorIllEEZZNS1_29radix_sort_onesweep_iterationIS3_Lb0EPlS7_N6thrust23THRUST_200600_302600_NS10device_ptrIlEESB_jNS0_19identity_decomposerENS1_16block_id_wrapperIjLb1EEEEE10hipError_tT1_PNSt15iterator_traitsISG_E10value_typeET2_T3_PNSH_ISM_E10value_typeET4_T5_PSR_SS_PNS1_23onesweep_lookback_stateEbbT6_jjT7_P12ihipStream_tbENKUlT_T0_SG_SL_E_clIS7_S7_SB_SB_EEDaSZ_S10_SG_SL_EUlSZ_E_NS1_11comp_targetILNS1_3genE4ELNS1_11target_archE910ELNS1_3gpuE8ELNS1_3repE0EEENS1_47radix_sort_onesweep_sort_config_static_selectorELNS0_4arch9wavefront6targetE1EEEvSG_
; %bb.0:
	s_load_dwordx4 s[28:31], s[4:5], 0x28
	s_load_dwordx2 s[26:27], s[4:5], 0x38
	s_load_dwordx4 s[44:47], s[4:5], 0x44
	v_and_b32_e32 v8, 0x3ff, v0
	v_cmp_eq_u32_e64 s[0:1], 0, v8
	s_and_saveexec_b64 s[2:3], s[0:1]
	s_cbranch_execz .LBB1136_4
; %bb.1:
	s_mov_b64 s[10:11], exec
	v_mbcnt_lo_u32_b32 v1, s10, 0
	v_mbcnt_hi_u32_b32 v1, s11, v1
	v_cmp_eq_u32_e32 vcc, 0, v1
                                        ; implicit-def: $vgpr2
	s_and_saveexec_b64 s[8:9], vcc
	s_cbranch_execz .LBB1136_3
; %bb.2:
	s_load_dwordx2 s[12:13], s[4:5], 0x50
	s_bcnt1_i32_b64 s7, s[10:11]
	v_mov_b32_e32 v2, 0
	v_mov_b32_e32 v3, s7
	s_waitcnt lgkmcnt(0)
	global_atomic_add v2, v2, v3, s[12:13] glc
.LBB1136_3:
	s_or_b64 exec, exec, s[8:9]
	s_waitcnt vmcnt(0)
	v_readfirstlane_b32 s7, v2
	v_add_u32_e32 v1, s7, v1
	v_mov_b32_e32 v2, 0
	ds_write_b32 v2, v1 offset:20544
.LBB1136_4:
	s_or_b64 exec, exec, s[2:3]
	v_mov_b32_e32 v1, 0
	s_load_dwordx8 s[36:43], s[4:5], 0x0
	s_load_dword s2, s[4:5], 0x20
	s_waitcnt lgkmcnt(0)
	s_barrier
	ds_read_b32 v1, v1 offset:20544
	s_waitcnt lgkmcnt(0)
	s_barrier
	v_readfirstlane_b32 s33, v1
	v_cmp_le_u32_e32 vcc, s46, v1
	s_mul_i32 s34, s33, 0x1800
	v_mbcnt_lo_u32_b32 v1, -1, 0
	s_cbranch_vccz .LBB1136_55
; %bb.5:
	s_mul_i32 s7, s46, 0xffffe800
	s_mov_b32 s35, 0
	s_add_i32 s7, s7, s2
	s_lshl_b64 s[46:47], s[34:35], 3
	v_mbcnt_hi_u32_b32 v6, -1, v1
	s_add_u32 s2, s36, s46
	v_and_b32_e32 v4, 63, v6
	s_addc_u32 s3, s37, s47
	v_and_b32_e32 v2, 0x3c0, v8
	v_lshlrev_b32_e32 v9, 3, v4
	v_mul_u32_u24_e32 v5, 6, v2
	v_mov_b32_e32 v2, s3
	v_add_co_u32_e32 v3, vcc, s2, v9
	v_addc_co_u32_e32 v7, vcc, 0, v2, vcc
	v_lshlrev_b32_e32 v24, 3, v5
	s_mov_b32 s8, -1
	v_add_co_u32_e32 v2, vcc, v3, v24
	s_brev_b32 s9, -2
	v_addc_co_u32_e32 v3, vcc, 0, v7, vcc
	v_or_b32_e32 v4, v4, v5
	v_cmp_gt_u32_e32 vcc, s7, v4
	v_pk_mov_b32 v[10:11], s[8:9], s[8:9] op_sel:[0,1]
	s_and_saveexec_b64 s[2:3], vcc
	s_cbranch_execz .LBB1136_7
; %bb.6:
	global_load_dwordx2 v[10:11], v[2:3], off
.LBB1136_7:
	s_or_b64 exec, exec, s[2:3]
	v_or_b32_e32 v5, 64, v4
	v_cmp_gt_u32_e64 s[2:3], s7, v5
	v_pk_mov_b32 v[12:13], s[8:9], s[8:9] op_sel:[0,1]
	s_and_saveexec_b64 s[8:9], s[2:3]
	s_cbranch_execz .LBB1136_9
; %bb.8:
	global_load_dwordx2 v[12:13], v[2:3], off offset:512
.LBB1136_9:
	s_or_b64 exec, exec, s[8:9]
	s_mov_b32 s10, -1
	v_add_u32_e32 v5, 0x80, v4
	s_brev_b32 s11, -2
	v_cmp_gt_u32_e64 s[22:23], s7, v5
	v_pk_mov_b32 v[14:15], s[10:11], s[10:11] op_sel:[0,1]
	s_and_saveexec_b64 s[8:9], s[22:23]
	s_cbranch_execz .LBB1136_11
; %bb.10:
	global_load_dwordx2 v[14:15], v[2:3], off offset:1024
.LBB1136_11:
	s_or_b64 exec, exec, s[8:9]
	v_add_u32_e32 v5, 0xc0, v4
	v_cmp_gt_u32_e64 s[8:9], s7, v5
	v_pk_mov_b32 v[16:17], s[10:11], s[10:11] op_sel:[0,1]
	s_and_saveexec_b64 s[10:11], s[8:9]
	s_cbranch_execz .LBB1136_13
; %bb.12:
	global_load_dwordx2 v[16:17], v[2:3], off offset:1536
.LBB1136_13:
	s_or_b64 exec, exec, s[10:11]
	s_mov_b32 s14, -1
	v_add_u32_e32 v5, 0x100, v4
	s_brev_b32 s15, -2
	v_cmp_gt_u32_e64 s[10:11], s7, v5
	v_pk_mov_b32 v[18:19], s[14:15], s[14:15] op_sel:[0,1]
	s_and_saveexec_b64 s[12:13], s[10:11]
	s_cbranch_execz .LBB1136_15
; %bb.14:
	global_load_dwordx2 v[18:19], v[2:3], off offset:2048
.LBB1136_15:
	s_or_b64 exec, exec, s[12:13]
	v_add_u32_e32 v4, 0x140, v4
	v_cmp_gt_u32_e64 s[12:13], s7, v4
	v_pk_mov_b32 v[20:21], s[14:15], s[14:15] op_sel:[0,1]
	s_and_saveexec_b64 s[14:15], s[12:13]
	s_cbranch_execz .LBB1136_17
; %bb.16:
	global_load_dwordx2 v[20:21], v[2:3], off offset:2560
.LBB1136_17:
	s_or_b64 exec, exec, s[14:15]
	s_load_dword s14, s[4:5], 0x64
	s_load_dword s35, s[4:5], 0x58
	s_add_u32 s15, s4, 0x58
	s_addc_u32 s16, s5, 0
	v_mov_b32_e32 v2, 0
	s_waitcnt lgkmcnt(0)
	s_lshr_b32 s17, s14, 16
	s_cmp_lt_u32 s6, s35
	s_cselect_b32 s14, 12, 18
	s_add_u32 s14, s15, s14
	s_addc_u32 s15, s16, 0
	global_load_ushort v22, v2, s[14:15]
	s_waitcnt vmcnt(1)
	v_xor_b32_e32 v11, 0x80000000, v11
	v_mul_u32_u24_e32 v4, 5, v8
	s_lshl_b32 s14, -1, s45
	v_lshlrev_b32_e32 v7, 2, v4
	v_lshrrev_b64 v[4:5], s44, v[10:11]
	s_not_b32 s50, s14
	v_and_b32_e32 v4, s50, v4
	v_and_b32_e32 v25, 1, v4
	v_bfe_u32 v3, v0, 10, 10
	v_bfe_u32 v23, v0, 20, 10
	v_add_co_u32_e64 v26, s[14:15], -1, v25
	v_mad_u32_u24 v5, v23, s17, v3
	v_lshlrev_b32_e32 v3, 30, v4
	v_addc_co_u32_e64 v27, s[14:15], 0, -1, s[14:15]
	v_cmp_ne_u32_e64 s[14:15], 0, v25
	v_cmp_gt_i64_e64 s[16:17], 0, v[2:3]
	v_not_b32_e32 v25, v3
	v_lshlrev_b32_e32 v3, 29, v4
	v_xor_b32_e32 v27, s15, v27
	v_xor_b32_e32 v26, s14, v26
	v_ashrrev_i32_e32 v25, 31, v25
	v_cmp_gt_i64_e64 s[14:15], 0, v[2:3]
	v_not_b32_e32 v28, v3
	v_lshlrev_b32_e32 v3, 28, v4
	v_and_b32_e32 v27, exec_hi, v27
	v_and_b32_e32 v26, exec_lo, v26
	v_xor_b32_e32 v29, s17, v25
	v_xor_b32_e32 v25, s16, v25
	v_ashrrev_i32_e32 v28, 31, v28
	v_cmp_gt_i64_e64 s[16:17], 0, v[2:3]
	v_not_b32_e32 v30, v3
	v_lshlrev_b32_e32 v3, 27, v4
	v_and_b32_e32 v27, v27, v29
	v_and_b32_e32 v25, v26, v25
	v_xor_b32_e32 v26, s15, v28
	v_xor_b32_e32 v28, s14, v28
	v_ashrrev_i32_e32 v29, 31, v30
	v_cmp_gt_i64_e64 s[14:15], 0, v[2:3]
	v_not_b32_e32 v30, v3
	v_lshlrev_b32_e32 v3, 26, v4
	v_and_b32_e32 v26, v27, v26
	v_and_b32_e32 v25, v25, v28
	v_xor_b32_e32 v27, s17, v29
	v_xor_b32_e32 v28, s16, v29
	v_ashrrev_i32_e32 v29, 31, v30
	v_cmp_gt_i64_e64 s[16:17], 0, v[2:3]
	v_not_b32_e32 v30, v3
	v_lshlrev_b32_e32 v3, 25, v4
	v_and_b32_e32 v26, v26, v27
	v_and_b32_e32 v25, v25, v28
	v_xor_b32_e32 v27, s15, v29
	v_xor_b32_e32 v28, s14, v29
	v_ashrrev_i32_e32 v29, 31, v30
	v_not_b32_e32 v30, v3
	v_lshl_add_u32 v23, v4, 4, v4
	v_cmp_gt_i64_e64 s[14:15], 0, v[2:3]
	v_lshlrev_b32_e32 v3, 24, v4
	v_and_b32_e32 v4, v26, v27
	v_and_b32_e32 v25, v25, v28
	v_xor_b32_e32 v26, s17, v29
	v_ashrrev_i32_e32 v28, 31, v30
	v_xor_b32_e32 v27, s16, v29
	v_cmp_gt_i64_e64 s[16:17], 0, v[2:3]
	v_not_b32_e32 v3, v3
	v_and_b32_e32 v4, v4, v26
	v_xor_b32_e32 v26, s15, v28
	v_and_b32_e32 v25, v25, v27
	v_xor_b32_e32 v27, s14, v28
	v_and_b32_e32 v26, v4, v26
	v_ashrrev_i32_e32 v3, 31, v3
	v_and_b32_e32 v25, v25, v27
	ds_write2_b32 v7, v2, v2 offset0:16 offset1:17
	ds_write2_b32 v7, v2, v2 offset0:18 offset1:19
	ds_write_b32 v7, v2 offset:80
	s_waitcnt lgkmcnt(0)
	s_barrier
	s_waitcnt lgkmcnt(0)
	; wave barrier
	s_waitcnt vmcnt(0)
	v_mad_u64_u32 v[4:5], s[14:15], v5, v22, v[8:9]
	v_lshrrev_b32_e32 v34, 6, v4
	v_xor_b32_e32 v4, s17, v3
	v_xor_b32_e32 v3, s16, v3
	v_and_b32_e32 v5, v26, v4
	v_and_b32_e32 v4, v25, v3
	v_mbcnt_lo_u32_b32 v3, v4, 0
	v_mbcnt_hi_u32_b32 v22, v5, v3
	v_cmp_eq_u32_e64 s[14:15], 0, v22
	v_cmp_ne_u64_e64 s[16:17], 0, v[4:5]
	v_add_lshl_u32 v27, v34, v23, 2
	s_and_b64 s[16:17], s[16:17], s[14:15]
	s_and_saveexec_b64 s[14:15], s[16:17]
	s_cbranch_execz .LBB1136_19
; %bb.18:
	v_bcnt_u32_b32 v3, v4, 0
	v_bcnt_u32_b32 v3, v5, v3
	ds_write_b32 v27, v3 offset:64
.LBB1136_19:
	s_or_b64 exec, exec, s[14:15]
	v_xor_b32_e32 v13, 0x80000000, v13
	v_lshrrev_b64 v[4:5], s44, v[12:13]
	v_and_b32_e32 v4, s50, v4
	v_lshl_add_u32 v3, v4, 4, v4
	v_add_lshl_u32 v28, v34, v3, 2
	v_and_b32_e32 v3, 1, v4
	v_add_co_u32_e64 v5, s[14:15], -1, v3
	v_addc_co_u32_e64 v25, s[14:15], 0, -1, s[14:15]
	v_cmp_ne_u32_e64 s[14:15], 0, v3
	v_xor_b32_e32 v3, s15, v25
	v_and_b32_e32 v25, exec_hi, v3
	v_lshlrev_b32_e32 v3, 30, v4
	v_xor_b32_e32 v5, s14, v5
	v_cmp_gt_i64_e64 s[14:15], 0, v[2:3]
	v_not_b32_e32 v3, v3
	v_ashrrev_i32_e32 v3, 31, v3
	v_and_b32_e32 v5, exec_lo, v5
	v_xor_b32_e32 v26, s15, v3
	v_xor_b32_e32 v3, s14, v3
	v_and_b32_e32 v5, v5, v3
	v_lshlrev_b32_e32 v3, 29, v4
	v_cmp_gt_i64_e64 s[14:15], 0, v[2:3]
	v_not_b32_e32 v3, v3
	v_ashrrev_i32_e32 v3, 31, v3
	v_and_b32_e32 v25, v25, v26
	v_xor_b32_e32 v26, s15, v3
	v_xor_b32_e32 v3, s14, v3
	v_and_b32_e32 v5, v5, v3
	v_lshlrev_b32_e32 v3, 28, v4
	v_cmp_gt_i64_e64 s[14:15], 0, v[2:3]
	v_not_b32_e32 v3, v3
	v_ashrrev_i32_e32 v3, 31, v3
	v_and_b32_e32 v25, v25, v26
	;; [unrolled: 8-line block ×5, first 2 shown]
	v_xor_b32_e32 v26, s15, v3
	v_xor_b32_e32 v3, s14, v3
	v_and_b32_e32 v5, v5, v3
	v_lshlrev_b32_e32 v3, 24, v4
	v_cmp_gt_i64_e64 s[14:15], 0, v[2:3]
	v_not_b32_e32 v2, v3
	v_ashrrev_i32_e32 v2, 31, v2
	v_xor_b32_e32 v3, s15, v2
	v_xor_b32_e32 v2, s14, v2
	; wave barrier
	ds_read_b32 v23, v28 offset:64
	v_and_b32_e32 v25, v25, v26
	v_and_b32_e32 v2, v5, v2
	;; [unrolled: 1-line block ×3, first 2 shown]
	v_mbcnt_lo_u32_b32 v4, v2, 0
	v_mbcnt_hi_u32_b32 v25, v3, v4
	v_cmp_eq_u32_e64 s[14:15], 0, v25
	v_cmp_ne_u64_e64 s[16:17], 0, v[2:3]
	s_and_b64 s[16:17], s[16:17], s[14:15]
	; wave barrier
	s_and_saveexec_b64 s[14:15], s[16:17]
	s_cbranch_execz .LBB1136_21
; %bb.20:
	v_bcnt_u32_b32 v2, v2, 0
	v_bcnt_u32_b32 v2, v3, v2
	s_waitcnt lgkmcnt(0)
	v_add_u32_e32 v2, v23, v2
	ds_write_b32 v28, v2 offset:64
.LBB1136_21:
	s_or_b64 exec, exec, s[14:15]
	v_xor_b32_e32 v15, 0x80000000, v15
	v_lshrrev_b64 v[2:3], s44, v[14:15]
	v_and_b32_e32 v4, s50, v2
	v_and_b32_e32 v3, 1, v4
	v_add_co_u32_e64 v5, s[14:15], -1, v3
	v_addc_co_u32_e64 v29, s[14:15], 0, -1, s[14:15]
	v_cmp_ne_u32_e64 s[14:15], 0, v3
	v_lshl_add_u32 v2, v4, 4, v4
	v_xor_b32_e32 v3, s15, v29
	v_add_lshl_u32 v31, v34, v2, 2
	v_mov_b32_e32 v2, 0
	v_and_b32_e32 v29, exec_hi, v3
	v_lshlrev_b32_e32 v3, 30, v4
	v_xor_b32_e32 v5, s14, v5
	v_cmp_gt_i64_e64 s[14:15], 0, v[2:3]
	v_not_b32_e32 v3, v3
	v_ashrrev_i32_e32 v3, 31, v3
	v_and_b32_e32 v5, exec_lo, v5
	v_xor_b32_e32 v30, s15, v3
	v_xor_b32_e32 v3, s14, v3
	v_and_b32_e32 v5, v5, v3
	v_lshlrev_b32_e32 v3, 29, v4
	v_cmp_gt_i64_e64 s[14:15], 0, v[2:3]
	v_not_b32_e32 v3, v3
	v_ashrrev_i32_e32 v3, 31, v3
	v_and_b32_e32 v29, v29, v30
	v_xor_b32_e32 v30, s15, v3
	v_xor_b32_e32 v3, s14, v3
	v_and_b32_e32 v5, v5, v3
	v_lshlrev_b32_e32 v3, 28, v4
	v_cmp_gt_i64_e64 s[14:15], 0, v[2:3]
	v_not_b32_e32 v3, v3
	v_ashrrev_i32_e32 v3, 31, v3
	v_and_b32_e32 v29, v29, v30
	;; [unrolled: 8-line block ×5, first 2 shown]
	v_xor_b32_e32 v30, s15, v3
	v_xor_b32_e32 v3, s14, v3
	v_and_b32_e32 v29, v29, v30
	v_and_b32_e32 v30, v5, v3
	v_lshlrev_b32_e32 v3, 24, v4
	v_cmp_gt_i64_e64 s[14:15], 0, v[2:3]
	v_not_b32_e32 v3, v3
	v_ashrrev_i32_e32 v3, 31, v3
	v_xor_b32_e32 v4, s15, v3
	v_xor_b32_e32 v3, s14, v3
	; wave barrier
	ds_read_b32 v26, v31 offset:64
	v_and_b32_e32 v5, v29, v4
	v_and_b32_e32 v4, v30, v3
	v_mbcnt_lo_u32_b32 v3, v4, 0
	v_mbcnt_hi_u32_b32 v29, v5, v3
	v_cmp_eq_u32_e64 s[14:15], 0, v29
	v_cmp_ne_u64_e64 s[16:17], 0, v[4:5]
	s_and_b64 s[16:17], s[16:17], s[14:15]
	; wave barrier
	s_and_saveexec_b64 s[14:15], s[16:17]
	s_cbranch_execz .LBB1136_23
; %bb.22:
	v_bcnt_u32_b32 v3, v4, 0
	v_bcnt_u32_b32 v3, v5, v3
	s_waitcnt lgkmcnt(0)
	v_add_u32_e32 v3, v26, v3
	ds_write_b32 v31, v3 offset:64
.LBB1136_23:
	s_or_b64 exec, exec, s[14:15]
	v_xor_b32_e32 v17, 0x80000000, v17
	v_lshrrev_b64 v[4:5], s44, v[16:17]
	v_and_b32_e32 v4, s50, v4
	v_lshl_add_u32 v3, v4, 4, v4
	v_add_lshl_u32 v35, v34, v3, 2
	v_and_b32_e32 v3, 1, v4
	v_add_co_u32_e64 v5, s[14:15], -1, v3
	v_addc_co_u32_e64 v32, s[14:15], 0, -1, s[14:15]
	v_cmp_ne_u32_e64 s[14:15], 0, v3
	v_xor_b32_e32 v3, s15, v32
	v_and_b32_e32 v32, exec_hi, v3
	v_lshlrev_b32_e32 v3, 30, v4
	v_xor_b32_e32 v5, s14, v5
	v_cmp_gt_i64_e64 s[14:15], 0, v[2:3]
	v_not_b32_e32 v3, v3
	v_ashrrev_i32_e32 v3, 31, v3
	v_and_b32_e32 v5, exec_lo, v5
	v_xor_b32_e32 v33, s15, v3
	v_xor_b32_e32 v3, s14, v3
	v_and_b32_e32 v5, v5, v3
	v_lshlrev_b32_e32 v3, 29, v4
	v_cmp_gt_i64_e64 s[14:15], 0, v[2:3]
	v_not_b32_e32 v3, v3
	v_ashrrev_i32_e32 v3, 31, v3
	v_and_b32_e32 v32, v32, v33
	v_xor_b32_e32 v33, s15, v3
	v_xor_b32_e32 v3, s14, v3
	v_and_b32_e32 v5, v5, v3
	v_lshlrev_b32_e32 v3, 28, v4
	v_cmp_gt_i64_e64 s[14:15], 0, v[2:3]
	v_not_b32_e32 v3, v3
	v_ashrrev_i32_e32 v3, 31, v3
	v_and_b32_e32 v32, v32, v33
	;; [unrolled: 8-line block ×5, first 2 shown]
	v_xor_b32_e32 v33, s15, v3
	v_xor_b32_e32 v3, s14, v3
	v_and_b32_e32 v5, v5, v3
	v_lshlrev_b32_e32 v3, 24, v4
	v_cmp_gt_i64_e64 s[14:15], 0, v[2:3]
	v_not_b32_e32 v2, v3
	v_ashrrev_i32_e32 v2, 31, v2
	v_xor_b32_e32 v3, s15, v2
	v_xor_b32_e32 v2, s14, v2
	; wave barrier
	ds_read_b32 v30, v35 offset:64
	v_and_b32_e32 v32, v32, v33
	v_and_b32_e32 v2, v5, v2
	;; [unrolled: 1-line block ×3, first 2 shown]
	v_mbcnt_lo_u32_b32 v4, v2, 0
	v_mbcnt_hi_u32_b32 v32, v3, v4
	v_cmp_eq_u32_e64 s[14:15], 0, v32
	v_cmp_ne_u64_e64 s[16:17], 0, v[2:3]
	s_and_b64 s[16:17], s[16:17], s[14:15]
	; wave barrier
	s_and_saveexec_b64 s[14:15], s[16:17]
	s_cbranch_execz .LBB1136_25
; %bb.24:
	v_bcnt_u32_b32 v2, v2, 0
	v_bcnt_u32_b32 v2, v3, v2
	s_waitcnt lgkmcnt(0)
	v_add_u32_e32 v2, v30, v2
	ds_write_b32 v35, v2 offset:64
.LBB1136_25:
	s_or_b64 exec, exec, s[14:15]
	v_xor_b32_e32 v19, 0x80000000, v19
	v_lshrrev_b64 v[2:3], s44, v[18:19]
	v_and_b32_e32 v4, s50, v2
	v_and_b32_e32 v3, 1, v4
	v_add_co_u32_e64 v5, s[14:15], -1, v3
	v_addc_co_u32_e64 v36, s[14:15], 0, -1, s[14:15]
	v_cmp_ne_u32_e64 s[14:15], 0, v3
	v_lshl_add_u32 v2, v4, 4, v4
	v_xor_b32_e32 v3, s15, v36
	v_add_lshl_u32 v38, v34, v2, 2
	v_mov_b32_e32 v2, 0
	v_and_b32_e32 v36, exec_hi, v3
	v_lshlrev_b32_e32 v3, 30, v4
	v_xor_b32_e32 v5, s14, v5
	v_cmp_gt_i64_e64 s[14:15], 0, v[2:3]
	v_not_b32_e32 v3, v3
	v_ashrrev_i32_e32 v3, 31, v3
	v_and_b32_e32 v5, exec_lo, v5
	v_xor_b32_e32 v37, s15, v3
	v_xor_b32_e32 v3, s14, v3
	v_and_b32_e32 v5, v5, v3
	v_lshlrev_b32_e32 v3, 29, v4
	v_cmp_gt_i64_e64 s[14:15], 0, v[2:3]
	v_not_b32_e32 v3, v3
	v_ashrrev_i32_e32 v3, 31, v3
	v_and_b32_e32 v36, v36, v37
	v_xor_b32_e32 v37, s15, v3
	v_xor_b32_e32 v3, s14, v3
	v_and_b32_e32 v5, v5, v3
	v_lshlrev_b32_e32 v3, 28, v4
	v_cmp_gt_i64_e64 s[14:15], 0, v[2:3]
	v_not_b32_e32 v3, v3
	v_ashrrev_i32_e32 v3, 31, v3
	v_and_b32_e32 v36, v36, v37
	;; [unrolled: 8-line block ×5, first 2 shown]
	v_xor_b32_e32 v37, s15, v3
	v_xor_b32_e32 v3, s14, v3
	v_and_b32_e32 v36, v36, v37
	v_and_b32_e32 v37, v5, v3
	v_lshlrev_b32_e32 v3, 24, v4
	v_cmp_gt_i64_e64 s[14:15], 0, v[2:3]
	v_not_b32_e32 v3, v3
	v_ashrrev_i32_e32 v3, 31, v3
	v_xor_b32_e32 v4, s15, v3
	v_xor_b32_e32 v3, s14, v3
	; wave barrier
	ds_read_b32 v33, v38 offset:64
	v_and_b32_e32 v5, v36, v4
	v_and_b32_e32 v4, v37, v3
	v_mbcnt_lo_u32_b32 v3, v4, 0
	v_mbcnt_hi_u32_b32 v36, v5, v3
	v_cmp_eq_u32_e64 s[14:15], 0, v36
	v_cmp_ne_u64_e64 s[16:17], 0, v[4:5]
	s_and_b64 s[16:17], s[16:17], s[14:15]
	; wave barrier
	s_and_saveexec_b64 s[14:15], s[16:17]
	s_cbranch_execz .LBB1136_27
; %bb.26:
	v_bcnt_u32_b32 v3, v4, 0
	v_bcnt_u32_b32 v3, v5, v3
	s_waitcnt lgkmcnt(0)
	v_add_u32_e32 v3, v33, v3
	ds_write_b32 v38, v3 offset:64
.LBB1136_27:
	s_or_b64 exec, exec, s[14:15]
	v_xor_b32_e32 v21, 0x80000000, v21
	v_lshrrev_b64 v[4:5], s44, v[20:21]
	v_and_b32_e32 v4, s50, v4
	v_lshl_add_u32 v3, v4, 4, v4
	v_add_lshl_u32 v34, v34, v3, 2
	v_and_b32_e32 v3, 1, v4
	v_add_co_u32_e64 v5, s[14:15], -1, v3
	v_addc_co_u32_e64 v39, s[14:15], 0, -1, s[14:15]
	v_cmp_ne_u32_e64 s[14:15], 0, v3
	v_xor_b32_e32 v3, s15, v39
	v_and_b32_e32 v39, exec_hi, v3
	v_lshlrev_b32_e32 v3, 30, v4
	v_xor_b32_e32 v5, s14, v5
	v_cmp_gt_i64_e64 s[14:15], 0, v[2:3]
	v_not_b32_e32 v3, v3
	v_ashrrev_i32_e32 v3, 31, v3
	v_and_b32_e32 v5, exec_lo, v5
	v_xor_b32_e32 v41, s15, v3
	v_xor_b32_e32 v3, s14, v3
	v_and_b32_e32 v5, v5, v3
	v_lshlrev_b32_e32 v3, 29, v4
	v_cmp_gt_i64_e64 s[14:15], 0, v[2:3]
	v_not_b32_e32 v3, v3
	v_ashrrev_i32_e32 v3, 31, v3
	v_and_b32_e32 v39, v39, v41
	v_xor_b32_e32 v41, s15, v3
	v_xor_b32_e32 v3, s14, v3
	v_and_b32_e32 v5, v5, v3
	v_lshlrev_b32_e32 v3, 28, v4
	v_cmp_gt_i64_e64 s[14:15], 0, v[2:3]
	v_not_b32_e32 v3, v3
	v_ashrrev_i32_e32 v3, 31, v3
	v_and_b32_e32 v39, v39, v41
	;; [unrolled: 8-line block ×5, first 2 shown]
	v_xor_b32_e32 v41, s15, v3
	v_xor_b32_e32 v3, s14, v3
	v_and_b32_e32 v5, v5, v3
	v_lshlrev_b32_e32 v3, 24, v4
	v_cmp_gt_i64_e64 s[14:15], 0, v[2:3]
	v_not_b32_e32 v2, v3
	v_ashrrev_i32_e32 v2, 31, v2
	v_xor_b32_e32 v3, s15, v2
	v_xor_b32_e32 v2, s14, v2
	; wave barrier
	ds_read_b32 v37, v34 offset:64
	v_and_b32_e32 v39, v39, v41
	v_and_b32_e32 v2, v5, v2
	;; [unrolled: 1-line block ×3, first 2 shown]
	v_mbcnt_lo_u32_b32 v4, v2, 0
	v_mbcnt_hi_u32_b32 v39, v3, v4
	v_cmp_eq_u32_e64 s[14:15], 0, v39
	v_cmp_ne_u64_e64 s[16:17], 0, v[2:3]
	v_add_u32_e32 v40, 64, v7
	s_and_b64 s[16:17], s[16:17], s[14:15]
	; wave barrier
	s_and_saveexec_b64 s[14:15], s[16:17]
	s_cbranch_execz .LBB1136_29
; %bb.28:
	v_bcnt_u32_b32 v2, v2, 0
	v_bcnt_u32_b32 v2, v3, v2
	s_waitcnt lgkmcnt(0)
	v_add_u32_e32 v2, v37, v2
	ds_write_b32 v34, v2 offset:64
.LBB1136_29:
	s_or_b64 exec, exec, s[14:15]
	; wave barrier
	s_waitcnt lgkmcnt(0)
	s_barrier
	ds_read2_b32 v[4:5], v7 offset0:16 offset1:17
	ds_read2_b32 v[2:3], v40 offset0:2 offset1:3
	ds_read_b32 v41, v40 offset:16
	v_cmp_lt_u32_e64 s[24:25], 31, v6
	s_waitcnt lgkmcnt(1)
	v_add3_u32 v42, v5, v4, v2
	s_waitcnt lgkmcnt(0)
	v_add3_u32 v41, v42, v3, v41
	v_and_b32_e32 v42, 15, v6
	v_cmp_eq_u32_e64 s[14:15], 0, v42
	v_mov_b32_dpp v43, v41 row_shr:1 row_mask:0xf bank_mask:0xf
	v_cndmask_b32_e64 v43, v43, 0, s[14:15]
	v_add_u32_e32 v41, v43, v41
	v_cmp_lt_u32_e64 s[16:17], 1, v42
	v_cmp_lt_u32_e64 s[18:19], 3, v42
	v_mov_b32_dpp v43, v41 row_shr:2 row_mask:0xf bank_mask:0xf
	v_cndmask_b32_e64 v43, 0, v43, s[16:17]
	v_add_u32_e32 v41, v41, v43
	v_cmp_lt_u32_e64 s[20:21], 7, v42
	s_nop 0
	v_mov_b32_dpp v43, v41 row_shr:4 row_mask:0xf bank_mask:0xf
	v_cndmask_b32_e64 v43, 0, v43, s[18:19]
	v_add_u32_e32 v41, v41, v43
	s_nop 1
	v_mov_b32_dpp v43, v41 row_shr:8 row_mask:0xf bank_mask:0xf
	v_cndmask_b32_e64 v42, 0, v43, s[20:21]
	v_add_u32_e32 v41, v41, v42
	v_bfe_i32 v43, v6, 4, 1
	s_nop 0
	v_mov_b32_dpp v42, v41 row_bcast:15 row_mask:0xf bank_mask:0xf
	v_and_b32_e32 v42, v43, v42
	v_add_u32_e32 v41, v41, v42
	v_and_b32_e32 v43, 63, v8
	s_nop 0
	v_mov_b32_dpp v42, v41 row_bcast:31 row_mask:0xf bank_mask:0xf
	v_cndmask_b32_e64 v42, 0, v42, s[24:25]
	v_add_u32_e32 v41, v41, v42
	v_lshrrev_b32_e32 v42, 6, v8
	v_cmp_eq_u32_e64 s[24:25], 63, v43
	s_and_saveexec_b64 s[48:49], s[24:25]
	s_cbranch_execz .LBB1136_31
; %bb.30:
	v_lshlrev_b32_e32 v43, 2, v42
	ds_write_b32 v43, v41
.LBB1136_31:
	s_or_b64 exec, exec, s[48:49]
	v_cmp_gt_u32_e64 s[24:25], 16, v8
	s_waitcnt lgkmcnt(0)
	s_barrier
	s_and_saveexec_b64 s[48:49], s[24:25]
	s_cbranch_execz .LBB1136_33
; %bb.32:
	v_lshlrev_b32_e32 v43, 2, v8
	ds_read_b32 v44, v43
	s_waitcnt lgkmcnt(0)
	s_nop 0
	v_mov_b32_dpp v45, v44 row_shr:1 row_mask:0xf bank_mask:0xf
	v_cndmask_b32_e64 v45, v45, 0, s[14:15]
	v_add_u32_e32 v44, v45, v44
	s_nop 1
	v_mov_b32_dpp v45, v44 row_shr:2 row_mask:0xf bank_mask:0xf
	v_cndmask_b32_e64 v45, 0, v45, s[16:17]
	v_add_u32_e32 v44, v44, v45
	;; [unrolled: 4-line block ×4, first 2 shown]
	ds_write_b32 v43, v44
.LBB1136_33:
	s_or_b64 exec, exec, s[48:49]
	v_cmp_lt_u32_e64 s[14:15], 63, v8
	v_mov_b32_e32 v43, 0
	s_waitcnt lgkmcnt(0)
	s_barrier
	s_and_saveexec_b64 s[16:17], s[14:15]
	s_cbranch_execz .LBB1136_35
; %bb.34:
	v_lshl_add_u32 v42, v42, 2, -4
	ds_read_b32 v43, v42
.LBB1136_35:
	s_or_b64 exec, exec, s[16:17]
	v_add_u32_e32 v42, -1, v6
	v_and_b32_e32 v44, 64, v6
	v_cmp_lt_i32_e64 s[14:15], v42, v44
	v_cndmask_b32_e64 v42, v42, v6, s[14:15]
	s_waitcnt lgkmcnt(0)
	v_add_u32_e32 v41, v43, v41
	v_lshlrev_b32_e32 v42, 2, v42
	ds_bpermute_b32 v41, v42, v41
	v_cmp_eq_u32_e64 s[14:15], 0, v6
	s_waitcnt lgkmcnt(0)
	v_cndmask_b32_e64 v6, v41, v43, s[14:15]
	v_cndmask_b32_e64 v6, v6, 0, s[0:1]
	v_add_u32_e32 v4, v6, v4
	v_add_u32_e32 v5, v4, v5
	;; [unrolled: 1-line block ×4, first 2 shown]
	ds_write2_b32 v7, v6, v4 offset0:16 offset1:17
	ds_write2_b32 v40, v5, v2 offset0:2 offset1:3
	ds_write_b32 v40, v3 offset:16
	s_waitcnt lgkmcnt(0)
	s_barrier
	ds_read_b32 v43, v27 offset:64
	ds_read_b32 v40, v28 offset:64
	;; [unrolled: 1-line block ×6, first 2 shown]
	s_movk_i32 s14, 0x100
	v_cmp_gt_u32_e64 s[14:15], s14, v8
                                        ; implicit-def: $vgpr27
                                        ; implicit-def: $vgpr28
	s_and_saveexec_b64 s[18:19], s[14:15]
	s_cbranch_execz .LBB1136_39
; %bb.36:
	v_mul_u32_u24_e32 v2, 17, v8
	v_lshlrev_b32_e32 v3, 2, v2
	ds_read_b32 v27, v3 offset:64
	s_movk_i32 s16, 0xff
	v_cmp_ne_u32_e64 s[16:17], s16, v8
	v_mov_b32_e32 v2, 0x1800
	s_and_saveexec_b64 s[20:21], s[16:17]
	s_cbranch_execz .LBB1136_38
; %bb.37:
	ds_read_b32 v2, v3 offset:132
.LBB1136_38:
	s_or_b64 exec, exec, s[20:21]
	s_waitcnt lgkmcnt(0)
	v_sub_u32_e32 v28, v2, v27
.LBB1136_39:
	s_or_b64 exec, exec, s[18:19]
	s_waitcnt lgkmcnt(0)
	s_barrier
	s_and_saveexec_b64 s[18:19], s[14:15]
	s_cbranch_execz .LBB1136_49
; %bb.40:
	v_lshl_or_b32 v2, s33, 8, v8
	v_mov_b32_e32 v3, 0
	v_lshlrev_b64 v[4:5], 2, v[2:3]
	v_mov_b32_e32 v31, s27
	v_add_co_u32_e64 v4, s[16:17], s26, v4
	v_addc_co_u32_e64 v5, s[16:17], v31, v5, s[16:17]
	v_or_b32_e32 v2, 2.0, v28
	s_mov_b64 s[20:21], 0
	s_brev_b32 s51, 1
	s_mov_b32 s52, s33
	v_mov_b32_e32 v34, 0
	global_store_dword v[4:5], v2, off
                                        ; implicit-def: $sgpr16_sgpr17
	s_branch .LBB1136_42
.LBB1136_41:                            ;   in Loop: Header=BB1136_42 Depth=1
	s_or_b64 exec, exec, s[24:25]
	v_and_b32_e32 v6, 0x3fffffff, v35
	v_add_u32_e32 v34, v6, v34
	v_cmp_eq_u32_e64 s[16:17], s51, v2
	s_and_b64 s[24:25], exec, s[16:17]
	s_or_b64 s[20:21], s[24:25], s[20:21]
	s_andn2_b64 exec, exec, s[20:21]
	s_cbranch_execz .LBB1136_48
.LBB1136_42:                            ; =>This Loop Header: Depth=1
                                        ;     Child Loop BB1136_45 Depth 2
	s_or_b64 s[16:17], s[16:17], exec
	s_cmp_eq_u32 s52, 0
	s_cbranch_scc1 .LBB1136_47
; %bb.43:                               ;   in Loop: Header=BB1136_42 Depth=1
	s_add_i32 s52, s52, -1
	v_lshl_or_b32 v2, s52, 8, v8
	v_lshlrev_b64 v[6:7], 2, v[2:3]
	v_add_co_u32_e64 v6, s[16:17], s26, v6
	v_addc_co_u32_e64 v7, s[16:17], v31, v7, s[16:17]
	global_load_dword v35, v[6:7], off glc
	s_waitcnt vmcnt(0)
	v_and_b32_e32 v2, -2.0, v35
	v_cmp_eq_u32_e64 s[16:17], 0, v2
	s_and_saveexec_b64 s[24:25], s[16:17]
	s_cbranch_execz .LBB1136_41
; %bb.44:                               ;   in Loop: Header=BB1136_42 Depth=1
	s_mov_b64 s[48:49], 0
.LBB1136_45:                            ;   Parent Loop BB1136_42 Depth=1
                                        ; =>  This Inner Loop Header: Depth=2
	global_load_dword v35, v[6:7], off glc
	s_waitcnt vmcnt(0)
	v_and_b32_e32 v2, -2.0, v35
	v_cmp_ne_u32_e64 s[16:17], 0, v2
	s_or_b64 s[48:49], s[16:17], s[48:49]
	s_andn2_b64 exec, exec, s[48:49]
	s_cbranch_execnz .LBB1136_45
; %bb.46:                               ;   in Loop: Header=BB1136_42 Depth=1
	s_or_b64 exec, exec, s[48:49]
	s_branch .LBB1136_41
.LBB1136_47:                            ;   in Loop: Header=BB1136_42 Depth=1
                                        ; implicit-def: $sgpr52
	s_and_b64 s[24:25], exec, s[16:17]
	s_or_b64 s[20:21], s[24:25], s[20:21]
	s_andn2_b64 exec, exec, s[20:21]
	s_cbranch_execnz .LBB1136_42
.LBB1136_48:
	s_or_b64 exec, exec, s[20:21]
	v_add_u32_e32 v2, v34, v28
	v_or_b32_e32 v2, 0x80000000, v2
	global_store_dword v[4:5], v2, off
	v_lshlrev_b32_e32 v2, 2, v8
	global_load_dword v3, v2, s[28:29]
	v_sub_u32_e32 v4, v34, v27
	s_waitcnt vmcnt(0)
	v_add_u32_e32 v3, v4, v3
	ds_write_b32 v2, v3
.LBB1136_49:
	s_or_b64 exec, exec, s[18:19]
	v_lshlrev_b32_e32 v34, 3, v8
	v_add_u32_e32 v31, v43, v22
	s_movk_i32 s20, 0x400
	v_add_u32_e32 v35, 0x400, v34
	v_add3_u32 v37, v39, v44, v37
	v_add3_u32 v33, v36, v38, v33
	;; [unrolled: 1-line block ×5, first 2 shown]
	s_mov_b32 s21, 0
	v_mov_b32_e32 v23, 0
	v_mov_b32_e32 v29, v8
	s_mov_b32 s24, 0
                                        ; implicit-def: $vgpr2_vgpr3_vgpr4_vgpr5_vgpr6_vgpr7
	s_branch .LBB1136_51
.LBB1136_50:                            ;   in Loop: Header=BB1136_51 Depth=1
	s_or_b64 exec, exec, s[18:19]
	s_addk_i32 s24, 0xf800
	s_add_i32 s21, s21, 2
	s_cmpk_eq_i32 s24, 0xe800
	v_add_u32_e32 v29, 0x800, v29
	s_barrier
	s_cbranch_scc1 .LBB1136_56
.LBB1136_51:                            ; =>This Inner Loop Header: Depth=1
	v_add_u32_e32 v22, s24, v31
	v_min_u32_e32 v22, 0x800, v22
	v_lshlrev_b32_e32 v22, 3, v22
	ds_write_b64 v22, v[10:11] offset:1024
	v_add_u32_e32 v22, s24, v25
	v_min_u32_e32 v22, 0x800, v22
	v_lshlrev_b32_e32 v22, 3, v22
	ds_write_b64 v22, v[12:13] offset:1024
	;; [unrolled: 4-line block ×5, first 2 shown]
	v_add_u32_e32 v22, s24, v37
	v_min_u32_e32 v22, 0x800, v22
	v_lshlrev_b32_e32 v22, 3, v22
	v_cmp_gt_u32_e64 s[16:17], s7, v29
	ds_write_b64 v22, v[20:21] offset:1024
	s_waitcnt lgkmcnt(0)
	s_barrier
	s_and_saveexec_b64 s[18:19], s[16:17]
	s_cbranch_execz .LBB1136_53
; %bb.52:                               ;   in Loop: Header=BB1136_51 Depth=1
	ds_read_b64 v[38:39], v34 offset:1024
	s_cmp_eq_u32 s21, 5
	s_cselect_b64 s[16:17], -1, 0
	v_mov_b32_e32 v32, s39
	s_cmp_eq_u32 s21, 4
	s_waitcnt lgkmcnt(0)
	v_lshrrev_b64 v[40:41], s44, v[38:39]
	v_and_b32_e32 v36, s50, v40
	v_lshlrev_b32_e32 v22, 2, v36
	ds_read_b32 v22, v22
	v_cndmask_b32_e64 v7, v7, v36, s[16:17]
	v_xor_b32_e32 v39, 0x80000000, v39
	s_waitcnt lgkmcnt(0)
	v_add_u32_e32 v22, v29, v22
	v_lshlrev_b64 v[40:41], 3, v[22:23]
	v_add_co_u32_e64 v40, s[16:17], s38, v40
	v_addc_co_u32_e64 v41, s[16:17], v32, v41, s[16:17]
	s_cselect_b64 s[16:17], -1, 0
	s_cmp_eq_u32 s21, 3
	v_cndmask_b32_e64 v6, v6, v36, s[16:17]
	s_cselect_b64 s[16:17], -1, 0
	s_cmp_eq_u32 s21, 2
	v_cndmask_b32_e64 v5, v5, v36, s[16:17]
	;; [unrolled: 3-line block ×4, first 2 shown]
	s_cselect_b64 s[16:17], -1, 0
	v_cndmask_b32_e64 v2, v2, v36, s[16:17]
	global_store_dwordx2 v[40:41], v[38:39], off
.LBB1136_53:                            ;   in Loop: Header=BB1136_51 Depth=1
	s_or_b64 exec, exec, s[18:19]
	v_add_u32_e32 v22, 0x400, v29
	v_cmp_gt_u32_e64 s[16:17], s7, v22
	s_and_saveexec_b64 s[18:19], s[16:17]
	s_cbranch_execz .LBB1136_50
; %bb.54:                               ;   in Loop: Header=BB1136_51 Depth=1
	ds_read_b64 v[38:39], v35 offset:8192
	v_mov_b32_e32 v36, s39
	s_add_i32 s25, s21, 1
	s_cmp_eq_u32 s25, 5
	s_waitcnt lgkmcnt(0)
	v_lshrrev_b64 v[40:41], s44, v[38:39]
	v_and_b32_e32 v32, s50, v40
	v_lshlrev_b32_e32 v22, 2, v32
	ds_read_b32 v22, v22
	v_xor_b32_e32 v39, 0x80000000, v39
	s_waitcnt lgkmcnt(0)
	v_add3_u32 v22, v29, v22, s20
	v_lshlrev_b64 v[40:41], 3, v[22:23]
	v_add_co_u32_e64 v40, s[16:17], s38, v40
	v_addc_co_u32_e64 v41, s[16:17], v36, v41, s[16:17]
	s_cselect_b64 s[16:17], -1, 0
	s_cmp_eq_u32 s25, 4
	v_cndmask_b32_e64 v7, v7, v32, s[16:17]
	s_cselect_b64 s[16:17], -1, 0
	s_cmp_eq_u32 s25, 3
	v_cndmask_b32_e64 v6, v6, v32, s[16:17]
	;; [unrolled: 3-line block ×5, first 2 shown]
	s_cselect_b64 s[16:17], -1, 0
	v_cndmask_b32_e64 v2, v2, v32, s[16:17]
	global_store_dwordx2 v[40:41], v[38:39], off
	s_branch .LBB1136_50
.LBB1136_55:
	s_mov_b64 s[10:11], 0
                                        ; implicit-def: $vgpr2
	s_cbranch_execnz .LBB1136_72
	s_branch .LBB1136_111
.LBB1136_56:
	s_add_u32 s16, s40, s46
	s_addc_u32 s17, s41, s47
	v_mov_b32_e32 v10, s17
	v_add_co_u32_e64 v9, s[16:17], s16, v9
	v_addc_co_u32_e64 v10, s[16:17], 0, v10, s[16:17]
	v_add_co_u32_e64 v22, s[16:17], v9, v24
	v_addc_co_u32_e64 v23, s[16:17], 0, v10, s[16:17]
                                        ; implicit-def: $vgpr10_vgpr11
	s_and_saveexec_b64 s[16:17], vcc
	s_cbranch_execnz .LBB1136_114
; %bb.57:
	s_or_b64 exec, exec, s[16:17]
                                        ; implicit-def: $vgpr12_vgpr13
	s_and_saveexec_b64 s[16:17], s[2:3]
	s_cbranch_execnz .LBB1136_115
.LBB1136_58:
	s_or_b64 exec, exec, s[16:17]
                                        ; implicit-def: $vgpr14_vgpr15
	s_and_saveexec_b64 s[2:3], s[22:23]
	s_cbranch_execnz .LBB1136_116
.LBB1136_59:
	s_or_b64 exec, exec, s[2:3]
                                        ; implicit-def: $vgpr16_vgpr17
	s_and_saveexec_b64 s[2:3], s[8:9]
	s_cbranch_execnz .LBB1136_117
.LBB1136_60:
	s_or_b64 exec, exec, s[2:3]
                                        ; implicit-def: $vgpr18_vgpr19
	s_and_saveexec_b64 s[2:3], s[10:11]
	s_cbranch_execnz .LBB1136_118
.LBB1136_61:
	s_or_b64 exec, exec, s[2:3]
                                        ; implicit-def: $vgpr20_vgpr21
	s_and_saveexec_b64 s[2:3], s[12:13]
	s_cbranch_execz .LBB1136_63
.LBB1136_62:
	global_load_dwordx2 v[20:21], v[22:23], off offset:2560
.LBB1136_63:
	s_or_b64 exec, exec, s[2:3]
	s_mov_b32 s8, 0
	v_mov_b32_e32 v23, 0
	s_movk_i32 s9, 0x400
	s_mov_b32 s10, 0
	v_mov_b32_e32 v9, v8
	s_waitcnt vmcnt(0)
	s_branch .LBB1136_65
.LBB1136_64:                            ;   in Loop: Header=BB1136_65 Depth=1
	s_or_b64 exec, exec, s[2:3]
	s_addk_i32 s10, 0xf800
	s_add_i32 s8, s8, 2
	s_cmpk_eq_i32 s10, 0xe800
	v_add_u32_e32 v9, 0x800, v9
	s_barrier
	s_cbranch_scc1 .LBB1136_69
.LBB1136_65:                            ; =>This Inner Loop Header: Depth=1
	v_add_u32_e32 v22, s10, v31
	v_min_u32_e32 v22, 0x800, v22
	v_lshlrev_b32_e32 v22, 3, v22
	ds_write_b64 v22, v[10:11] offset:1024
	v_add_u32_e32 v22, s10, v25
	v_min_u32_e32 v22, 0x800, v22
	v_lshlrev_b32_e32 v22, 3, v22
	ds_write_b64 v22, v[12:13] offset:1024
	;; [unrolled: 4-line block ×5, first 2 shown]
	v_add_u32_e32 v22, s10, v37
	v_min_u32_e32 v22, 0x800, v22
	v_lshlrev_b32_e32 v22, 3, v22
	v_cmp_gt_u32_e32 vcc, s7, v9
	ds_write_b64 v22, v[20:21] offset:1024
	s_waitcnt lgkmcnt(0)
	s_barrier
	s_and_saveexec_b64 s[2:3], vcc
	s_cbranch_execz .LBB1136_67
; %bb.66:                               ;   in Loop: Header=BB1136_65 Depth=1
	s_cmp_eq_u32 s8, 1
	s_cselect_b64 vcc, -1, 0
	s_cmp_eq_u32 s8, 2
	v_cndmask_b32_e32 v22, v2, v3, vcc
	s_cselect_b64 vcc, -1, 0
	s_cmp_eq_u32 s8, 3
	v_cndmask_b32_e32 v22, v22, v4, vcc
	;; [unrolled: 3-line block ×4, first 2 shown]
	s_cselect_b64 vcc, -1, 0
	v_cndmask_b32_e32 v22, v22, v7, vcc
	v_lshlrev_b32_e32 v22, 2, v22
	ds_read_b32 v22, v22
	ds_read_b64 v[38:39], v34 offset:1024
	s_waitcnt lgkmcnt(1)
	v_add_u32_e32 v22, v9, v22
	v_lshlrev_b64 v[40:41], 3, v[22:23]
	v_mov_b32_e32 v22, s43
	v_add_co_u32_e32 v40, vcc, s42, v40
	v_addc_co_u32_e32 v41, vcc, v22, v41, vcc
	s_waitcnt lgkmcnt(0)
	global_store_dwordx2 v[40:41], v[38:39], off
.LBB1136_67:                            ;   in Loop: Header=BB1136_65 Depth=1
	s_or_b64 exec, exec, s[2:3]
	v_add_u32_e32 v22, 0x400, v9
	v_cmp_gt_u32_e32 vcc, s7, v22
	s_and_saveexec_b64 s[2:3], vcc
	s_cbranch_execz .LBB1136_64
; %bb.68:                               ;   in Loop: Header=BB1136_65 Depth=1
	s_add_i32 s11, s8, 1
	s_cmp_eq_u32 s11, 1
	s_cselect_b64 vcc, -1, 0
	s_cmp_eq_u32 s11, 2
	v_cndmask_b32_e32 v22, v2, v3, vcc
	s_cselect_b64 vcc, -1, 0
	s_cmp_eq_u32 s11, 3
	v_cndmask_b32_e32 v22, v22, v4, vcc
	;; [unrolled: 3-line block ×4, first 2 shown]
	s_cselect_b64 vcc, -1, 0
	v_cndmask_b32_e32 v22, v22, v7, vcc
	v_lshlrev_b32_e32 v22, 2, v22
	ds_read_b32 v22, v22
	ds_read_b64 v[38:39], v35 offset:8192
	s_waitcnt lgkmcnt(1)
	v_add3_u32 v22, v9, v22, s9
	v_lshlrev_b64 v[40:41], 3, v[22:23]
	v_mov_b32_e32 v22, s43
	v_add_co_u32_e32 v40, vcc, s42, v40
	v_addc_co_u32_e32 v41, vcc, v22, v41, vcc
	s_waitcnt lgkmcnt(0)
	global_store_dwordx2 v[40:41], v[38:39], off
	s_branch .LBB1136_64
.LBB1136_69:
	s_add_i32 s35, s35, -1
	s_cmp_eq_u32 s35, s33
	s_cselect_b64 s[2:3], -1, 0
	s_and_b64 s[8:9], s[14:15], s[2:3]
	s_mov_b64 s[2:3], 0
	s_mov_b64 s[10:11], 0
                                        ; implicit-def: $vgpr2
	s_and_saveexec_b64 s[12:13], s[8:9]
	s_xor_b64 s[8:9], exec, s[12:13]
; %bb.70:
	s_mov_b64 s[10:11], exec
	v_add_u32_e32 v2, v27, v28
; %bb.71:
	s_or_b64 exec, exec, s[8:9]
	s_and_b64 vcc, exec, s[2:3]
	s_cbranch_vccz .LBB1136_111
.LBB1136_72:
	s_mov_b32 s35, 0
	v_mbcnt_hi_u32_b32 v18, -1, v1
	s_lshl_b64 s[12:13], s[34:35], 3
	v_and_b32_e32 v1, 63, v18
	s_add_u32 s2, s36, s12
	v_lshlrev_b32_e32 v9, 3, v1
	v_add_co_u32_e32 v3, vcc, s2, v9
	s_load_dword s16, s[4:5], 0x58
	s_load_dword s2, s[4:5], 0x64
	s_addc_u32 s3, s37, s13
	v_and_b32_e32 v2, 0x3c0, v8
	v_mul_u32_u24_e32 v2, 6, v2
	v_mov_b32_e32 v1, s3
	v_addc_co_u32_e32 v1, vcc, 0, v1, vcc
	v_lshlrev_b32_e32 v20, 3, v2
	s_add_u32 s3, s4, 0x58
	v_add_co_u32_e32 v16, vcc, v3, v20
	s_addc_u32 s4, s5, 0
	s_waitcnt lgkmcnt(0)
	s_lshr_b32 s5, s2, 16
	v_addc_co_u32_e32 v17, vcc, 0, v1, vcc
	s_cmp_lt_u32 s6, s16
	global_load_dwordx2 v[2:3], v[16:17], off
	s_cselect_b32 s2, 12, 18
	s_add_u32 s2, s3, s2
	v_mov_b32_e32 v14, 0
	s_addc_u32 s3, s4, 0
	global_load_ushort v15, v14, s[2:3]
	v_mul_u32_u24_e32 v4, 5, v8
	v_lshlrev_b32_e32 v19, 2, v4
	v_bfe_u32 v1, v0, 10, 10
	v_bfe_u32 v0, v0, 20, 10
	ds_write2_b32 v19, v14, v14 offset0:16 offset1:17
	ds_write2_b32 v19, v14, v14 offset0:18 offset1:19
	ds_write_b32 v19, v14 offset:80
	v_mad_u32_u24 v21, v0, s5, v1
	global_load_dwordx2 v[0:1], v[16:17], off offset:512
	global_load_dwordx2 v[4:5], v[16:17], off offset:1024
	;; [unrolled: 1-line block ×5, first 2 shown]
	s_lshl_b32 s2, -1, s45
	s_not_b32 s17, s2
	s_waitcnt lgkmcnt(0)
	s_barrier
	s_waitcnt lgkmcnt(0)
	; wave barrier
	s_waitcnt vmcnt(6)
	v_xor_b32_e32 v3, 0x80000000, v3
	v_lshrrev_b64 v[16:17], s44, v[2:3]
	v_and_b32_e32 v22, s17, v16
	s_waitcnt vmcnt(5)
	v_mad_u64_u32 v[16:17], s[2:3], v21, v15, v[8:9]
	v_and_b32_e32 v21, 1, v22
	v_lshrrev_b32_e32 v29, 6, v16
	v_add_co_u32_e32 v16, vcc, -1, v21
	v_lshlrev_b32_e32 v15, 30, v22
	v_addc_co_u32_e64 v24, s[2:3], 0, -1, vcc
	v_lshl_add_u32 v17, v22, 4, v22
	v_cmp_ne_u32_e32 vcc, 0, v21
	v_cmp_gt_i64_e64 s[2:3], 0, v[14:15]
	v_not_b32_e32 v21, v15
	v_lshlrev_b32_e32 v15, 29, v22
	v_add_lshl_u32 v23, v29, v17, 2
	v_xor_b32_e32 v17, vcc_hi, v24
	v_xor_b32_e32 v16, vcc_lo, v16
	v_ashrrev_i32_e32 v21, 31, v21
	v_cmp_gt_i64_e32 vcc, 0, v[14:15]
	v_not_b32_e32 v24, v15
	v_lshlrev_b32_e32 v15, 28, v22
	v_and_b32_e32 v17, exec_hi, v17
	v_and_b32_e32 v16, exec_lo, v16
	v_xor_b32_e32 v25, s3, v21
	v_xor_b32_e32 v21, s2, v21
	v_ashrrev_i32_e32 v24, 31, v24
	v_cmp_gt_i64_e64 s[2:3], 0, v[14:15]
	v_not_b32_e32 v26, v15
	v_lshlrev_b32_e32 v15, 27, v22
	v_and_b32_e32 v17, v17, v25
	v_and_b32_e32 v16, v16, v21
	v_xor_b32_e32 v21, vcc_hi, v24
	v_xor_b32_e32 v24, vcc_lo, v24
	v_ashrrev_i32_e32 v25, 31, v26
	v_cmp_gt_i64_e32 vcc, 0, v[14:15]
	v_not_b32_e32 v15, v15
	v_and_b32_e32 v17, v17, v21
	v_and_b32_e32 v16, v16, v24
	v_xor_b32_e32 v21, s3, v25
	v_xor_b32_e32 v24, s2, v25
	v_ashrrev_i32_e32 v15, 31, v15
	v_and_b32_e32 v17, v17, v21
	v_and_b32_e32 v16, v16, v24
	v_xor_b32_e32 v21, vcc_hi, v15
	v_xor_b32_e32 v15, vcc_lo, v15
	v_and_b32_e32 v16, v16, v15
	v_lshlrev_b32_e32 v15, 26, v22
	v_cmp_gt_i64_e32 vcc, 0, v[14:15]
	v_not_b32_e32 v15, v15
	v_ashrrev_i32_e32 v15, 31, v15
	v_and_b32_e32 v17, v17, v21
	v_xor_b32_e32 v21, vcc_hi, v15
	v_xor_b32_e32 v15, vcc_lo, v15
	v_and_b32_e32 v16, v16, v15
	v_lshlrev_b32_e32 v15, 25, v22
	v_cmp_gt_i64_e32 vcc, 0, v[14:15]
	v_not_b32_e32 v15, v15
	v_ashrrev_i32_e32 v15, 31, v15
	;; [unrolled: 8-line block ×3, first 2 shown]
	v_and_b32_e32 v17, v17, v21
	v_xor_b32_e32 v21, vcc_hi, v15
	v_xor_b32_e32 v15, vcc_lo, v15
	v_and_b32_e32 v16, v16, v15
	v_and_b32_e32 v17, v17, v21
	v_mbcnt_lo_u32_b32 v15, v16, 0
	v_mbcnt_hi_u32_b32 v21, v17, v15
	v_cmp_eq_u32_e32 vcc, 0, v21
	v_cmp_ne_u64_e64 s[2:3], 0, v[16:17]
	s_and_b64 s[4:5], s[2:3], vcc
	s_and_saveexec_b64 s[2:3], s[4:5]
	s_cbranch_execz .LBB1136_74
; %bb.73:
	v_bcnt_u32_b32 v15, v16, 0
	v_bcnt_u32_b32 v15, v17, v15
	ds_write_b32 v23, v15 offset:64
.LBB1136_74:
	s_or_b64 exec, exec, s[2:3]
	s_waitcnt vmcnt(4)
	v_xor_b32_e32 v1, 0x80000000, v1
	v_lshrrev_b64 v[16:17], s44, v[0:1]
	v_and_b32_e32 v16, s17, v16
	v_lshl_add_u32 v15, v16, 4, v16
	v_add_lshl_u32 v26, v29, v15, 2
	v_and_b32_e32 v15, 1, v16
	v_add_co_u32_e32 v17, vcc, -1, v15
	v_addc_co_u32_e64 v24, s[2:3], 0, -1, vcc
	v_cmp_ne_u32_e32 vcc, 0, v15
	v_xor_b32_e32 v15, vcc_hi, v24
	v_and_b32_e32 v24, exec_hi, v15
	v_lshlrev_b32_e32 v15, 30, v16
	v_xor_b32_e32 v17, vcc_lo, v17
	v_cmp_gt_i64_e32 vcc, 0, v[14:15]
	v_not_b32_e32 v15, v15
	v_ashrrev_i32_e32 v15, 31, v15
	v_and_b32_e32 v17, exec_lo, v17
	v_xor_b32_e32 v25, vcc_hi, v15
	v_xor_b32_e32 v15, vcc_lo, v15
	v_and_b32_e32 v17, v17, v15
	v_lshlrev_b32_e32 v15, 29, v16
	v_cmp_gt_i64_e32 vcc, 0, v[14:15]
	v_not_b32_e32 v15, v15
	v_ashrrev_i32_e32 v15, 31, v15
	v_and_b32_e32 v24, v24, v25
	v_xor_b32_e32 v25, vcc_hi, v15
	v_xor_b32_e32 v15, vcc_lo, v15
	v_and_b32_e32 v17, v17, v15
	v_lshlrev_b32_e32 v15, 28, v16
	v_cmp_gt_i64_e32 vcc, 0, v[14:15]
	v_not_b32_e32 v15, v15
	v_ashrrev_i32_e32 v15, 31, v15
	v_and_b32_e32 v24, v24, v25
	;; [unrolled: 8-line block ×5, first 2 shown]
	v_xor_b32_e32 v25, vcc_hi, v15
	v_xor_b32_e32 v15, vcc_lo, v15
	v_and_b32_e32 v17, v17, v15
	v_lshlrev_b32_e32 v15, 24, v16
	v_cmp_gt_i64_e32 vcc, 0, v[14:15]
	v_not_b32_e32 v14, v15
	v_ashrrev_i32_e32 v14, 31, v14
	v_xor_b32_e32 v15, vcc_hi, v14
	v_xor_b32_e32 v14, vcc_lo, v14
	; wave barrier
	ds_read_b32 v22, v26 offset:64
	v_and_b32_e32 v24, v24, v25
	v_and_b32_e32 v14, v17, v14
	v_and_b32_e32 v15, v24, v15
	v_mbcnt_lo_u32_b32 v16, v14, 0
	v_mbcnt_hi_u32_b32 v24, v15, v16
	v_cmp_eq_u32_e32 vcc, 0, v24
	v_cmp_ne_u64_e64 s[2:3], 0, v[14:15]
	s_and_b64 s[4:5], s[2:3], vcc
	; wave barrier
	s_and_saveexec_b64 s[2:3], s[4:5]
	s_cbranch_execz .LBB1136_76
; %bb.75:
	v_bcnt_u32_b32 v14, v14, 0
	v_bcnt_u32_b32 v14, v15, v14
	s_waitcnt lgkmcnt(0)
	v_add_u32_e32 v14, v22, v14
	ds_write_b32 v26, v14 offset:64
.LBB1136_76:
	s_or_b64 exec, exec, s[2:3]
	s_waitcnt vmcnt(3)
	v_xor_b32_e32 v5, 0x80000000, v5
	v_lshrrev_b64 v[14:15], s44, v[4:5]
	v_and_b32_e32 v16, s17, v14
	v_and_b32_e32 v15, 1, v16
	v_add_co_u32_e32 v17, vcc, -1, v15
	v_addc_co_u32_e64 v27, s[2:3], 0, -1, vcc
	v_cmp_ne_u32_e32 vcc, 0, v15
	v_lshl_add_u32 v14, v16, 4, v16
	v_xor_b32_e32 v15, vcc_hi, v27
	v_add_lshl_u32 v30, v29, v14, 2
	v_mov_b32_e32 v14, 0
	v_and_b32_e32 v27, exec_hi, v15
	v_lshlrev_b32_e32 v15, 30, v16
	v_xor_b32_e32 v17, vcc_lo, v17
	v_cmp_gt_i64_e32 vcc, 0, v[14:15]
	v_not_b32_e32 v15, v15
	v_ashrrev_i32_e32 v15, 31, v15
	v_and_b32_e32 v17, exec_lo, v17
	v_xor_b32_e32 v28, vcc_hi, v15
	v_xor_b32_e32 v15, vcc_lo, v15
	v_and_b32_e32 v17, v17, v15
	v_lshlrev_b32_e32 v15, 29, v16
	v_cmp_gt_i64_e32 vcc, 0, v[14:15]
	v_not_b32_e32 v15, v15
	v_ashrrev_i32_e32 v15, 31, v15
	v_and_b32_e32 v27, v27, v28
	v_xor_b32_e32 v28, vcc_hi, v15
	v_xor_b32_e32 v15, vcc_lo, v15
	v_and_b32_e32 v17, v17, v15
	v_lshlrev_b32_e32 v15, 28, v16
	v_cmp_gt_i64_e32 vcc, 0, v[14:15]
	v_not_b32_e32 v15, v15
	v_ashrrev_i32_e32 v15, 31, v15
	v_and_b32_e32 v27, v27, v28
	;; [unrolled: 8-line block ×5, first 2 shown]
	v_xor_b32_e32 v28, vcc_hi, v15
	v_xor_b32_e32 v15, vcc_lo, v15
	v_and_b32_e32 v27, v27, v28
	v_and_b32_e32 v28, v17, v15
	v_lshlrev_b32_e32 v15, 24, v16
	v_cmp_gt_i64_e32 vcc, 0, v[14:15]
	v_not_b32_e32 v15, v15
	v_ashrrev_i32_e32 v15, 31, v15
	v_xor_b32_e32 v16, vcc_hi, v15
	v_xor_b32_e32 v15, vcc_lo, v15
	; wave barrier
	ds_read_b32 v25, v30 offset:64
	v_and_b32_e32 v17, v27, v16
	v_and_b32_e32 v16, v28, v15
	v_mbcnt_lo_u32_b32 v15, v16, 0
	v_mbcnt_hi_u32_b32 v27, v17, v15
	v_cmp_eq_u32_e32 vcc, 0, v27
	v_cmp_ne_u64_e64 s[2:3], 0, v[16:17]
	s_and_b64 s[4:5], s[2:3], vcc
	; wave barrier
	s_and_saveexec_b64 s[2:3], s[4:5]
	s_cbranch_execz .LBB1136_78
; %bb.77:
	v_bcnt_u32_b32 v15, v16, 0
	v_bcnt_u32_b32 v15, v17, v15
	s_waitcnt lgkmcnt(0)
	v_add_u32_e32 v15, v25, v15
	ds_write_b32 v30, v15 offset:64
.LBB1136_78:
	s_or_b64 exec, exec, s[2:3]
	s_waitcnt vmcnt(2)
	v_xor_b32_e32 v7, 0x80000000, v7
	v_lshrrev_b64 v[16:17], s44, v[6:7]
	v_and_b32_e32 v16, s17, v16
	v_lshl_add_u32 v15, v16, 4, v16
	v_add_lshl_u32 v33, v29, v15, 2
	v_and_b32_e32 v15, 1, v16
	v_add_co_u32_e32 v17, vcc, -1, v15
	v_addc_co_u32_e64 v31, s[2:3], 0, -1, vcc
	v_cmp_ne_u32_e32 vcc, 0, v15
	v_xor_b32_e32 v15, vcc_hi, v31
	v_and_b32_e32 v31, exec_hi, v15
	v_lshlrev_b32_e32 v15, 30, v16
	v_xor_b32_e32 v17, vcc_lo, v17
	v_cmp_gt_i64_e32 vcc, 0, v[14:15]
	v_not_b32_e32 v15, v15
	v_ashrrev_i32_e32 v15, 31, v15
	v_and_b32_e32 v17, exec_lo, v17
	v_xor_b32_e32 v32, vcc_hi, v15
	v_xor_b32_e32 v15, vcc_lo, v15
	v_and_b32_e32 v17, v17, v15
	v_lshlrev_b32_e32 v15, 29, v16
	v_cmp_gt_i64_e32 vcc, 0, v[14:15]
	v_not_b32_e32 v15, v15
	v_ashrrev_i32_e32 v15, 31, v15
	v_and_b32_e32 v31, v31, v32
	v_xor_b32_e32 v32, vcc_hi, v15
	v_xor_b32_e32 v15, vcc_lo, v15
	v_and_b32_e32 v17, v17, v15
	v_lshlrev_b32_e32 v15, 28, v16
	v_cmp_gt_i64_e32 vcc, 0, v[14:15]
	v_not_b32_e32 v15, v15
	v_ashrrev_i32_e32 v15, 31, v15
	v_and_b32_e32 v31, v31, v32
	;; [unrolled: 8-line block ×5, first 2 shown]
	v_xor_b32_e32 v32, vcc_hi, v15
	v_xor_b32_e32 v15, vcc_lo, v15
	v_and_b32_e32 v17, v17, v15
	v_lshlrev_b32_e32 v15, 24, v16
	v_cmp_gt_i64_e32 vcc, 0, v[14:15]
	v_not_b32_e32 v14, v15
	v_ashrrev_i32_e32 v14, 31, v14
	v_xor_b32_e32 v15, vcc_hi, v14
	v_xor_b32_e32 v14, vcc_lo, v14
	; wave barrier
	ds_read_b32 v28, v33 offset:64
	v_and_b32_e32 v31, v31, v32
	v_and_b32_e32 v14, v17, v14
	;; [unrolled: 1-line block ×3, first 2 shown]
	v_mbcnt_lo_u32_b32 v16, v14, 0
	v_mbcnt_hi_u32_b32 v31, v15, v16
	v_cmp_eq_u32_e32 vcc, 0, v31
	v_cmp_ne_u64_e64 s[2:3], 0, v[14:15]
	s_and_b64 s[4:5], s[2:3], vcc
	; wave barrier
	s_and_saveexec_b64 s[2:3], s[4:5]
	s_cbranch_execz .LBB1136_80
; %bb.79:
	v_bcnt_u32_b32 v14, v14, 0
	v_bcnt_u32_b32 v14, v15, v14
	s_waitcnt lgkmcnt(0)
	v_add_u32_e32 v14, v28, v14
	ds_write_b32 v33, v14 offset:64
.LBB1136_80:
	s_or_b64 exec, exec, s[2:3]
	s_waitcnt vmcnt(1)
	v_xor_b32_e32 v11, 0x80000000, v11
	v_lshrrev_b64 v[14:15], s44, v[10:11]
	v_and_b32_e32 v16, s17, v14
	v_and_b32_e32 v15, 1, v16
	v_add_co_u32_e32 v17, vcc, -1, v15
	v_addc_co_u32_e64 v34, s[2:3], 0, -1, vcc
	v_cmp_ne_u32_e32 vcc, 0, v15
	v_lshl_add_u32 v14, v16, 4, v16
	v_xor_b32_e32 v15, vcc_hi, v34
	v_add_lshl_u32 v35, v29, v14, 2
	v_mov_b32_e32 v14, 0
	v_and_b32_e32 v34, exec_hi, v15
	v_lshlrev_b32_e32 v15, 30, v16
	v_xor_b32_e32 v17, vcc_lo, v17
	v_cmp_gt_i64_e32 vcc, 0, v[14:15]
	v_not_b32_e32 v15, v15
	v_ashrrev_i32_e32 v15, 31, v15
	v_and_b32_e32 v17, exec_lo, v17
	v_xor_b32_e32 v36, vcc_hi, v15
	v_xor_b32_e32 v15, vcc_lo, v15
	v_and_b32_e32 v17, v17, v15
	v_lshlrev_b32_e32 v15, 29, v16
	v_cmp_gt_i64_e32 vcc, 0, v[14:15]
	v_not_b32_e32 v15, v15
	v_ashrrev_i32_e32 v15, 31, v15
	v_and_b32_e32 v34, v34, v36
	v_xor_b32_e32 v36, vcc_hi, v15
	v_xor_b32_e32 v15, vcc_lo, v15
	v_and_b32_e32 v17, v17, v15
	v_lshlrev_b32_e32 v15, 28, v16
	v_cmp_gt_i64_e32 vcc, 0, v[14:15]
	v_not_b32_e32 v15, v15
	v_ashrrev_i32_e32 v15, 31, v15
	v_and_b32_e32 v34, v34, v36
	;; [unrolled: 8-line block ×5, first 2 shown]
	v_xor_b32_e32 v36, vcc_hi, v15
	v_xor_b32_e32 v15, vcc_lo, v15
	v_and_b32_e32 v34, v34, v36
	v_and_b32_e32 v36, v17, v15
	v_lshlrev_b32_e32 v15, 24, v16
	v_cmp_gt_i64_e32 vcc, 0, v[14:15]
	v_not_b32_e32 v15, v15
	v_ashrrev_i32_e32 v15, 31, v15
	v_xor_b32_e32 v16, vcc_hi, v15
	v_xor_b32_e32 v15, vcc_lo, v15
	; wave barrier
	ds_read_b32 v32, v35 offset:64
	v_and_b32_e32 v17, v34, v16
	v_and_b32_e32 v16, v36, v15
	v_mbcnt_lo_u32_b32 v15, v16, 0
	v_mbcnt_hi_u32_b32 v34, v17, v15
	v_cmp_eq_u32_e32 vcc, 0, v34
	v_cmp_ne_u64_e64 s[2:3], 0, v[16:17]
	s_and_b64 s[4:5], s[2:3], vcc
	; wave barrier
	s_and_saveexec_b64 s[2:3], s[4:5]
	s_cbranch_execz .LBB1136_82
; %bb.81:
	v_bcnt_u32_b32 v15, v16, 0
	v_bcnt_u32_b32 v15, v17, v15
	s_waitcnt lgkmcnt(0)
	v_add_u32_e32 v15, v32, v15
	ds_write_b32 v35, v15 offset:64
.LBB1136_82:
	s_or_b64 exec, exec, s[2:3]
	s_waitcnt vmcnt(0)
	v_xor_b32_e32 v13, 0x80000000, v13
	v_lshrrev_b64 v[16:17], s44, v[12:13]
	v_and_b32_e32 v16, s17, v16
	v_lshl_add_u32 v15, v16, 4, v16
	v_add_lshl_u32 v38, v29, v15, 2
	v_and_b32_e32 v15, 1, v16
	v_add_co_u32_e32 v17, vcc, -1, v15
	v_addc_co_u32_e64 v36, s[2:3], 0, -1, vcc
	v_cmp_ne_u32_e32 vcc, 0, v15
	v_xor_b32_e32 v15, vcc_hi, v36
	v_and_b32_e32 v36, exec_hi, v15
	v_lshlrev_b32_e32 v15, 30, v16
	v_xor_b32_e32 v17, vcc_lo, v17
	v_cmp_gt_i64_e32 vcc, 0, v[14:15]
	v_not_b32_e32 v15, v15
	v_ashrrev_i32_e32 v15, 31, v15
	v_and_b32_e32 v17, exec_lo, v17
	v_xor_b32_e32 v39, vcc_hi, v15
	v_xor_b32_e32 v15, vcc_lo, v15
	v_and_b32_e32 v17, v17, v15
	v_lshlrev_b32_e32 v15, 29, v16
	v_cmp_gt_i64_e32 vcc, 0, v[14:15]
	v_not_b32_e32 v15, v15
	v_ashrrev_i32_e32 v15, 31, v15
	v_and_b32_e32 v36, v36, v39
	v_xor_b32_e32 v39, vcc_hi, v15
	v_xor_b32_e32 v15, vcc_lo, v15
	v_and_b32_e32 v17, v17, v15
	v_lshlrev_b32_e32 v15, 28, v16
	v_cmp_gt_i64_e32 vcc, 0, v[14:15]
	v_not_b32_e32 v15, v15
	v_ashrrev_i32_e32 v15, 31, v15
	v_and_b32_e32 v36, v36, v39
	;; [unrolled: 8-line block ×5, first 2 shown]
	v_xor_b32_e32 v39, vcc_hi, v15
	v_xor_b32_e32 v15, vcc_lo, v15
	v_and_b32_e32 v17, v17, v15
	v_lshlrev_b32_e32 v15, 24, v16
	v_cmp_gt_i64_e32 vcc, 0, v[14:15]
	v_not_b32_e32 v14, v15
	v_ashrrev_i32_e32 v14, 31, v14
	v_xor_b32_e32 v15, vcc_hi, v14
	v_xor_b32_e32 v14, vcc_lo, v14
	; wave barrier
	ds_read_b32 v29, v38 offset:64
	v_and_b32_e32 v36, v36, v39
	v_and_b32_e32 v14, v17, v14
	;; [unrolled: 1-line block ×3, first 2 shown]
	v_mbcnt_lo_u32_b32 v16, v14, 0
	v_mbcnt_hi_u32_b32 v36, v15, v16
	v_cmp_eq_u32_e32 vcc, 0, v36
	v_cmp_ne_u64_e64 s[2:3], 0, v[14:15]
	v_add_u32_e32 v37, 64, v19
	s_and_b64 s[4:5], s[2:3], vcc
	; wave barrier
	s_and_saveexec_b64 s[2:3], s[4:5]
	s_cbranch_execz .LBB1136_84
; %bb.83:
	v_bcnt_u32_b32 v14, v14, 0
	v_bcnt_u32_b32 v14, v15, v14
	s_waitcnt lgkmcnt(0)
	v_add_u32_e32 v14, v29, v14
	ds_write_b32 v38, v14 offset:64
.LBB1136_84:
	s_or_b64 exec, exec, s[2:3]
	; wave barrier
	s_waitcnt lgkmcnt(0)
	s_barrier
	ds_read2_b32 v[16:17], v19 offset0:16 offset1:17
	ds_read2_b32 v[14:15], v37 offset0:2 offset1:3
	ds_read_b32 v39, v37 offset:16
	v_cmp_lt_u32_e64 s[8:9], 31, v18
	s_waitcnt lgkmcnt(1)
	v_add3_u32 v40, v17, v16, v14
	s_waitcnt lgkmcnt(0)
	v_add3_u32 v39, v40, v15, v39
	v_and_b32_e32 v40, 15, v18
	v_cmp_eq_u32_e32 vcc, 0, v40
	v_mov_b32_dpp v41, v39 row_shr:1 row_mask:0xf bank_mask:0xf
	v_cndmask_b32_e64 v41, v41, 0, vcc
	v_add_u32_e32 v39, v41, v39
	v_cmp_lt_u32_e64 s[2:3], 1, v40
	v_cmp_lt_u32_e64 s[4:5], 3, v40
	v_mov_b32_dpp v41, v39 row_shr:2 row_mask:0xf bank_mask:0xf
	v_cndmask_b32_e64 v41, 0, v41, s[2:3]
	v_add_u32_e32 v39, v39, v41
	v_cmp_lt_u32_e64 s[6:7], 7, v40
	s_nop 0
	v_mov_b32_dpp v41, v39 row_shr:4 row_mask:0xf bank_mask:0xf
	v_cndmask_b32_e64 v41, 0, v41, s[4:5]
	v_add_u32_e32 v39, v39, v41
	s_nop 1
	v_mov_b32_dpp v41, v39 row_shr:8 row_mask:0xf bank_mask:0xf
	v_cndmask_b32_e64 v40, 0, v41, s[6:7]
	v_add_u32_e32 v39, v39, v40
	v_bfe_i32 v41, v18, 4, 1
	s_nop 0
	v_mov_b32_dpp v40, v39 row_bcast:15 row_mask:0xf bank_mask:0xf
	v_and_b32_e32 v40, v41, v40
	v_add_u32_e32 v39, v39, v40
	v_and_b32_e32 v41, 63, v8
	s_nop 0
	v_mov_b32_dpp v40, v39 row_bcast:31 row_mask:0xf bank_mask:0xf
	v_cndmask_b32_e64 v40, 0, v40, s[8:9]
	v_add_u32_e32 v39, v39, v40
	v_lshrrev_b32_e32 v40, 6, v8
	v_cmp_eq_u32_e64 s[8:9], 63, v41
	s_and_saveexec_b64 s[14:15], s[8:9]
	s_cbranch_execz .LBB1136_86
; %bb.85:
	v_lshlrev_b32_e32 v41, 2, v40
	ds_write_b32 v41, v39
.LBB1136_86:
	s_or_b64 exec, exec, s[14:15]
	v_cmp_gt_u32_e64 s[8:9], 16, v8
	s_waitcnt lgkmcnt(0)
	s_barrier
	s_and_saveexec_b64 s[14:15], s[8:9]
	s_cbranch_execz .LBB1136_88
; %bb.87:
	v_lshlrev_b32_e32 v41, 2, v8
	ds_read_b32 v42, v41
	s_waitcnt lgkmcnt(0)
	s_nop 0
	v_mov_b32_dpp v43, v42 row_shr:1 row_mask:0xf bank_mask:0xf
	v_cndmask_b32_e64 v43, v43, 0, vcc
	v_add_u32_e32 v42, v43, v42
	s_nop 1
	v_mov_b32_dpp v43, v42 row_shr:2 row_mask:0xf bank_mask:0xf
	v_cndmask_b32_e64 v43, 0, v43, s[2:3]
	v_add_u32_e32 v42, v42, v43
	s_nop 1
	v_mov_b32_dpp v43, v42 row_shr:4 row_mask:0xf bank_mask:0xf
	v_cndmask_b32_e64 v43, 0, v43, s[4:5]
	;; [unrolled: 4-line block ×3, first 2 shown]
	v_add_u32_e32 v42, v42, v43
	ds_write_b32 v41, v42
.LBB1136_88:
	s_or_b64 exec, exec, s[14:15]
	v_cmp_lt_u32_e32 vcc, 63, v8
	v_mov_b32_e32 v41, 0
	s_waitcnt lgkmcnt(0)
	s_barrier
	s_and_saveexec_b64 s[2:3], vcc
	s_cbranch_execz .LBB1136_90
; %bb.89:
	v_lshl_add_u32 v40, v40, 2, -4
	ds_read_b32 v41, v40
.LBB1136_90:
	s_or_b64 exec, exec, s[2:3]
	v_add_u32_e32 v40, -1, v18
	v_and_b32_e32 v42, 64, v18
	v_cmp_lt_i32_e32 vcc, v40, v42
	v_cndmask_b32_e32 v40, v40, v18, vcc
	s_waitcnt lgkmcnt(0)
	v_add_u32_e32 v39, v41, v39
	v_lshlrev_b32_e32 v40, 2, v40
	ds_bpermute_b32 v39, v40, v39
	v_cmp_eq_u32_e32 vcc, 0, v18
	s_waitcnt lgkmcnt(0)
	v_cndmask_b32_e32 v18, v39, v41, vcc
	v_cndmask_b32_e64 v18, v18, 0, s[0:1]
	v_add_u32_e32 v16, v18, v16
	v_add_u32_e32 v17, v16, v17
	;; [unrolled: 1-line block ×4, first 2 shown]
	ds_write2_b32 v19, v18, v16 offset0:16 offset1:17
	ds_write2_b32 v37, v17, v14 offset0:2 offset1:3
	ds_write_b32 v37, v15 offset:16
	s_waitcnt lgkmcnt(0)
	s_barrier
	ds_read_b32 v39, v23 offset:64
	ds_read_b32 v37, v26 offset:64
	;; [unrolled: 1-line block ×6, first 2 shown]
	s_movk_i32 s0, 0x100
	v_cmp_gt_u32_e32 vcc, s0, v8
                                        ; implicit-def: $vgpr23
                                        ; implicit-def: $vgpr26
	s_and_saveexec_b64 s[2:3], vcc
	s_cbranch_execz .LBB1136_94
; %bb.91:
	v_mul_u32_u24_e32 v14, 17, v8
	v_lshlrev_b32_e32 v15, 2, v14
	ds_read_b32 v23, v15 offset:64
	s_movk_i32 s0, 0xff
	v_cmp_ne_u32_e64 s[0:1], s0, v8
	v_mov_b32_e32 v14, 0x1800
	s_and_saveexec_b64 s[4:5], s[0:1]
	s_cbranch_execz .LBB1136_93
; %bb.92:
	ds_read_b32 v14, v15 offset:132
.LBB1136_93:
	s_or_b64 exec, exec, s[4:5]
	s_waitcnt lgkmcnt(0)
	v_sub_u32_e32 v26, v14, v23
.LBB1136_94:
	s_or_b64 exec, exec, s[2:3]
	s_waitcnt lgkmcnt(0)
	s_barrier
	s_and_saveexec_b64 s[2:3], vcc
	s_cbranch_execz .LBB1136_104
; %bb.95:
	v_lshl_or_b32 v14, s33, 8, v8
	v_mov_b32_e32 v15, 0
	v_lshlrev_b64 v[16:17], 2, v[14:15]
	v_mov_b32_e32 v40, s27
	v_add_co_u32_e64 v16, s[0:1], s26, v16
	v_addc_co_u32_e64 v17, s[0:1], v40, v17, s[0:1]
	v_or_b32_e32 v14, 2.0, v26
	s_mov_b64 s[4:5], 0
	s_brev_b32 s14, 1
	s_mov_b32 s15, s33
	v_mov_b32_e32 v41, 0
	global_store_dword v[16:17], v14, off
                                        ; implicit-def: $sgpr0_sgpr1
	s_branch .LBB1136_98
.LBB1136_96:                            ;   in Loop: Header=BB1136_98 Depth=1
	s_or_b64 exec, exec, s[8:9]
.LBB1136_97:                            ;   in Loop: Header=BB1136_98 Depth=1
	s_or_b64 exec, exec, s[6:7]
	v_and_b32_e32 v18, 0x3fffffff, v42
	v_add_u32_e32 v41, v18, v41
	v_cmp_eq_u32_e64 s[0:1], s14, v14
	s_and_b64 s[6:7], exec, s[0:1]
	s_or_b64 s[4:5], s[6:7], s[4:5]
	s_andn2_b64 exec, exec, s[4:5]
	s_cbranch_execz .LBB1136_103
.LBB1136_98:                            ; =>This Loop Header: Depth=1
                                        ;     Child Loop BB1136_101 Depth 2
	s_or_b64 s[0:1], s[0:1], exec
	s_cmp_eq_u32 s15, 0
	s_cbranch_scc1 .LBB1136_102
; %bb.99:                               ;   in Loop: Header=BB1136_98 Depth=1
	s_add_i32 s15, s15, -1
	v_lshl_or_b32 v14, s15, 8, v8
	v_lshlrev_b64 v[18:19], 2, v[14:15]
	v_add_co_u32_e64 v18, s[0:1], s26, v18
	v_addc_co_u32_e64 v19, s[0:1], v40, v19, s[0:1]
	global_load_dword v42, v[18:19], off glc
	s_waitcnt vmcnt(0)
	v_and_b32_e32 v14, -2.0, v42
	v_cmp_eq_u32_e64 s[0:1], 0, v14
	s_and_saveexec_b64 s[6:7], s[0:1]
	s_cbranch_execz .LBB1136_97
; %bb.100:                              ;   in Loop: Header=BB1136_98 Depth=1
	s_mov_b64 s[8:9], 0
.LBB1136_101:                           ;   Parent Loop BB1136_98 Depth=1
                                        ; =>  This Inner Loop Header: Depth=2
	global_load_dword v42, v[18:19], off glc
	s_waitcnt vmcnt(0)
	v_and_b32_e32 v14, -2.0, v42
	v_cmp_ne_u32_e64 s[0:1], 0, v14
	s_or_b64 s[8:9], s[0:1], s[8:9]
	s_andn2_b64 exec, exec, s[8:9]
	s_cbranch_execnz .LBB1136_101
	s_branch .LBB1136_96
.LBB1136_102:                           ;   in Loop: Header=BB1136_98 Depth=1
                                        ; implicit-def: $sgpr15
	s_and_b64 s[6:7], exec, s[0:1]
	s_or_b64 s[4:5], s[6:7], s[4:5]
	s_andn2_b64 exec, exec, s[4:5]
	s_cbranch_execnz .LBB1136_98
.LBB1136_103:
	s_or_b64 exec, exec, s[4:5]
	v_add_u32_e32 v14, v41, v26
	v_or_b32_e32 v14, 0x80000000, v14
	global_store_dword v[16:17], v14, off
	v_lshlrev_b32_e32 v14, 2, v8
	global_load_dword v15, v14, s[28:29]
	v_sub_u32_e32 v16, v41, v23
	s_waitcnt vmcnt(0)
	v_add_u32_e32 v15, v16, v15
	ds_write_b32 v14, v15
.LBB1136_104:
	s_or_b64 exec, exec, s[2:3]
	v_lshlrev_b32_e32 v17, 3, v8
	v_add_u32_e32 v16, v39, v21
	s_movk_i32 s2, 0x400
	v_add_u32_e32 v18, 0x400, v17
	v_add3_u32 v19, v36, v38, v29
	v_add3_u32 v21, v34, v35, v32
	;; [unrolled: 1-line block ×5, first 2 shown]
	s_mov_b32 s3, 0
	s_mov_b32 s4, 1
	v_mov_b32_e32 v33, s39
	v_mov_b32_e32 v15, 0
	;; [unrolled: 1-line block ×3, first 2 shown]
                                        ; implicit-def: $vgpr32
                                        ; implicit-def: $vgpr31
                                        ; implicit-def: $vgpr30
                                        ; implicit-def: $vgpr29
                                        ; implicit-def: $vgpr27
                                        ; implicit-def: $vgpr24
.LBB1136_105:                           ; =>This Inner Loop Header: Depth=1
	v_add_u32_e32 v14, s3, v16
	v_add_u32_e32 v36, s3, v25
	;; [unrolled: 1-line block ×6, first 2 shown]
	v_min_u32_e32 v14, 0x800, v14
	v_min_u32_e32 v36, 0x800, v36
	;; [unrolled: 1-line block ×6, first 2 shown]
	v_lshlrev_b32_e32 v14, 3, v14
	v_lshlrev_b32_e32 v36, 3, v36
	;; [unrolled: 1-line block ×6, first 2 shown]
	ds_write_b64 v14, v[2:3] offset:1024
	ds_write_b64 v35, v[0:1] offset:1024
	;; [unrolled: 1-line block ×6, first 2 shown]
	s_waitcnt lgkmcnt(0)
	s_barrier
	ds_read_b64 v[36:37], v17 offset:1024
	ds_read_b64 v[38:39], v18 offset:8192
	s_add_i32 s5, s4, -1
	s_cmp_eq_u32 s5, 0
	s_cselect_b64 s[0:1], -1, 0
	s_waitcnt lgkmcnt(1)
	v_lshrrev_b64 v[40:41], s44, v[36:37]
	v_and_b32_e32 v14, s17, v40
	s_cmp_eq_u32 s5, 1
	s_waitcnt lgkmcnt(0)
	v_lshrrev_b64 v[42:43], s44, v[38:39]
	v_cndmask_b32_e64 v32, v32, v14, s[0:1]
	s_cselect_b64 s[0:1], -1, 0
	s_cmp_eq_u32 s5, 2
	v_and_b32_e32 v35, s17, v42
	v_lshlrev_b32_e32 v40, 2, v14
	v_cndmask_b32_e64 v44, v31, v14, s[0:1]
	s_cselect_b64 s[0:1], -1, 0
	s_cmp_eq_u32 s5, 3
	v_lshlrev_b32_e32 v31, 2, v35
	v_cndmask_b32_e64 v45, v30, v14, s[0:1]
	ds_read_b32 v30, v40
	ds_read_b32 v40, v31
	s_cselect_b64 s[0:1], -1, 0
	s_cmp_eq_u32 s5, 4
	v_cndmask_b32_e64 v29, v29, v14, s[0:1]
	s_cselect_b64 s[0:1], -1, 0
	s_cmp_eq_u32 s5, 5
	v_cndmask_b32_e64 v27, v27, v14, s[0:1]
	;; [unrolled: 3-line block ×4, first 2 shown]
	s_waitcnt lgkmcnt(1)
	v_add_u32_e32 v14, v34, v30
	s_cselect_b64 s[0:1], -1, 0
	s_cmp_eq_u32 s4, 3
	v_cndmask_b32_e64 v27, v27, v35, s[0:1]
	v_lshlrev_b64 v[30:31], 3, v[14:15]
	s_cselect_b64 s[0:1], -1, 0
	s_waitcnt lgkmcnt(0)
	v_add3_u32 v14, v34, v40, s2
	v_cndmask_b32_e64 v29, v29, v35, s[0:1]
	v_add_co_u32_e64 v40, s[0:1], s38, v30
	s_cmp_eq_u32 s4, 2
	v_addc_co_u32_e64 v41, s[0:1], v33, v31, s[0:1]
	v_xor_b32_e32 v37, 0x80000000, v37
	v_lshlrev_b64 v[42:43], 3, v[14:15]
	s_cselect_b64 s[0:1], -1, 0
	v_cndmask_b32_e64 v30, v45, v35, s[0:1]
	global_store_dwordx2 v[40:41], v[36:37], off
	v_add_co_u32_e64 v36, s[0:1], s38, v42
	s_cmp_eq_u32 s4, 1
	v_addc_co_u32_e64 v37, s[0:1], v33, v43, s[0:1]
	s_cselect_b64 s[0:1], -1, 0
	s_cmp_eq_u32 s4, 0
	v_cndmask_b32_e64 v31, v44, v35, s[0:1]
	s_cselect_b64 s[0:1], -1, 0
	s_addk_i32 s3, 0xf800
	s_add_i32 s4, s4, 2
	v_xor_b32_e32 v39, 0x80000000, v39
	v_add_u32_e32 v34, 0x800, v34
	v_cndmask_b32_e64 v32, v32, v35, s[0:1]
	s_cmpk_lg_i32 s3, 0xe800
	global_store_dwordx2 v[36:37], v[38:39], off
	s_barrier
	s_cbranch_scc1 .LBB1136_105
; %bb.106:
	s_add_u32 s0, s40, s12
	s_addc_u32 s1, s41, s13
	v_mov_b32_e32 v0, s1
	v_add_co_u32_e64 v1, s[0:1], s0, v9
	v_addc_co_u32_e64 v0, s[0:1], 0, v0, s[0:1]
	v_add_co_u32_e64 v14, s[0:1], v1, v20
	v_addc_co_u32_e64 v15, s[0:1], 0, v0, s[0:1]
	global_load_dwordx2 v[0:1], v[14:15], off
	global_load_dwordx2 v[2:3], v[14:15], off offset:512
	global_load_dwordx2 v[4:5], v[14:15], off offset:1024
	;; [unrolled: 1-line block ×5, first 2 shown]
	s_mov_b32 s2, 0
	s_mov_b32 s3, 1
	s_movk_i32 s4, 0x400
	v_mov_b32_e32 v15, 0
	v_mov_b32_e32 v9, s43
	;; [unrolled: 1-line block ×3, first 2 shown]
	s_waitcnt vmcnt(0)
.LBB1136_107:                           ; =>This Inner Loop Header: Depth=1
	s_add_i32 s5, s3, -1
	v_add_u32_e32 v14, s2, v16
	s_cmp_eq_u32 s5, 1
	v_add_u32_e32 v33, s2, v22
	v_add_u32_e32 v34, s2, v25
	;; [unrolled: 1-line block ×5, first 2 shown]
	v_min_u32_e32 v14, 0x800, v14
	s_cselect_b64 s[0:1], -1, 0
	s_cmp_eq_u32 s5, 2
	v_min_u32_e32 v33, 0x800, v33
	v_min_u32_e32 v34, 0x800, v34
	;; [unrolled: 1-line block ×5, first 2 shown]
	v_lshlrev_b32_e32 v14, 3, v14
	v_cndmask_b32_e64 v38, v32, v31, s[0:1]
	s_cselect_b64 s[0:1], -1, 0
	s_cmp_eq_u32 s5, 3
	v_lshlrev_b32_e32 v33, 3, v33
	v_lshlrev_b32_e32 v34, 3, v34
	;; [unrolled: 1-line block ×5, first 2 shown]
	ds_write_b64 v14, v[0:1] offset:1024
	ds_write_b64 v33, v[2:3] offset:1024
	;; [unrolled: 1-line block ×6, first 2 shown]
	v_cndmask_b32_e64 v14, v38, v30, s[0:1]
	s_cselect_b64 s[0:1], -1, 0
	s_cmp_eq_u32 s5, 4
	v_cndmask_b32_e64 v14, v14, v29, s[0:1]
	s_cselect_b64 s[0:1], -1, 0
	s_cmp_eq_u32 s5, 5
	;; [unrolled: 3-line block ×5, first 2 shown]
	v_lshlrev_b32_e32 v14, 2, v14
	v_cndmask_b32_e64 v33, v33, v30, s[0:1]
	s_cselect_b64 s[0:1], -1, 0
	s_cmp_eq_u32 s3, 4
	s_waitcnt lgkmcnt(0)
	s_barrier
	ds_read_b64 v[34:35], v17 offset:1024
	ds_read_b32 v14, v14
	v_cndmask_b32_e64 v33, v33, v29, s[0:1]
	s_cselect_b64 s[0:1], -1, 0
	s_cmp_eq_u32 s3, 5
	v_cndmask_b32_e64 v33, v33, v27, s[0:1]
	s_cselect_b64 s[0:1], -1, 0
	v_cndmask_b32_e64 v33, v33, v24, s[0:1]
	v_lshlrev_b32_e32 v33, 2, v33
	ds_read_b32 v33, v33
	ds_read_b64 v[36:37], v18 offset:8192
	s_waitcnt lgkmcnt(2)
	v_add_u32_e32 v14, v20, v14
	v_lshlrev_b64 v[38:39], 3, v[14:15]
	v_add_co_u32_e64 v38, s[0:1], s42, v38
	v_addc_co_u32_e64 v39, s[0:1], v9, v39, s[0:1]
	s_waitcnt lgkmcnt(1)
	v_add3_u32 v14, v20, v33, s4
	global_store_dwordx2 v[38:39], v[34:35], off
	v_lshlrev_b64 v[34:35], 3, v[14:15]
	s_addk_i32 s2, 0xf800
	s_add_i32 s3, s3, 2
	v_add_co_u32_e64 v34, s[0:1], s42, v34
	s_cmpk_lg_i32 s2, 0xe800
	v_add_u32_e32 v20, 0x800, v20
	v_addc_co_u32_e64 v35, s[0:1], v9, v35, s[0:1]
	s_waitcnt lgkmcnt(0)
	global_store_dwordx2 v[34:35], v[36:37], off
	s_barrier
	s_cbranch_scc1 .LBB1136_107
; %bb.108:
	s_add_i32 s16, s16, -1
	s_cmp_eq_u32 s16, s33
	s_cselect_b64 s[0:1], -1, 0
	s_and_b64 s[2:3], vcc, s[0:1]
                                        ; implicit-def: $vgpr2
	s_and_saveexec_b64 s[0:1], s[2:3]
; %bb.109:
	v_add_u32_e32 v2, v23, v26
	s_or_b64 s[10:11], s[10:11], exec
; %bb.110:
	s_or_b64 exec, exec, s[0:1]
.LBB1136_111:
	s_and_saveexec_b64 s[0:1], s[10:11]
	s_cbranch_execnz .LBB1136_113
; %bb.112:
	s_endpgm
.LBB1136_113:
	v_lshlrev_b32_e32 v0, 2, v8
	ds_read_b32 v1, v0
	s_waitcnt lgkmcnt(0)
	v_add_u32_e32 v1, v1, v2
	global_store_dword v0, v1, s[30:31]
	s_endpgm
.LBB1136_114:
	global_load_dwordx2 v[10:11], v[22:23], off
	s_or_b64 exec, exec, s[16:17]
                                        ; implicit-def: $vgpr12_vgpr13
	s_and_saveexec_b64 s[16:17], s[2:3]
	s_cbranch_execz .LBB1136_58
.LBB1136_115:
	global_load_dwordx2 v[12:13], v[22:23], off offset:512
	s_or_b64 exec, exec, s[16:17]
                                        ; implicit-def: $vgpr14_vgpr15
	s_and_saveexec_b64 s[2:3], s[22:23]
	s_cbranch_execz .LBB1136_59
.LBB1136_116:
	global_load_dwordx2 v[14:15], v[22:23], off offset:1024
	s_or_b64 exec, exec, s[2:3]
                                        ; implicit-def: $vgpr16_vgpr17
	s_and_saveexec_b64 s[2:3], s[8:9]
	s_cbranch_execz .LBB1136_60
.LBB1136_117:
	global_load_dwordx2 v[16:17], v[22:23], off offset:1536
	s_or_b64 exec, exec, s[2:3]
                                        ; implicit-def: $vgpr18_vgpr19
	s_and_saveexec_b64 s[2:3], s[10:11]
	s_cbranch_execz .LBB1136_61
.LBB1136_118:
	global_load_dwordx2 v[18:19], v[22:23], off offset:2048
	s_or_b64 exec, exec, s[2:3]
                                        ; implicit-def: $vgpr20_vgpr21
	s_and_saveexec_b64 s[2:3], s[12:13]
	s_cbranch_execnz .LBB1136_62
	s_branch .LBB1136_63
	.section	.rodata,"a",@progbits
	.p2align	6, 0x0
	.amdhsa_kernel _ZN7rocprim17ROCPRIM_400000_NS6detail17trampoline_kernelINS0_14default_configENS1_35radix_sort_onesweep_config_selectorIllEEZZNS1_29radix_sort_onesweep_iterationIS3_Lb0EPlS7_N6thrust23THRUST_200600_302600_NS10device_ptrIlEESB_jNS0_19identity_decomposerENS1_16block_id_wrapperIjLb1EEEEE10hipError_tT1_PNSt15iterator_traitsISG_E10value_typeET2_T3_PNSH_ISM_E10value_typeET4_T5_PSR_SS_PNS1_23onesweep_lookback_stateEbbT6_jjT7_P12ihipStream_tbENKUlT_T0_SG_SL_E_clIS7_S7_SB_SB_EEDaSZ_S10_SG_SL_EUlSZ_E_NS1_11comp_targetILNS1_3genE4ELNS1_11target_archE910ELNS1_3gpuE8ELNS1_3repE0EEENS1_47radix_sort_onesweep_sort_config_static_selectorELNS0_4arch9wavefront6targetE1EEEvSG_
		.amdhsa_group_segment_fixed_size 20552
		.amdhsa_private_segment_fixed_size 0
		.amdhsa_kernarg_size 344
		.amdhsa_user_sgpr_count 6
		.amdhsa_user_sgpr_private_segment_buffer 1
		.amdhsa_user_sgpr_dispatch_ptr 0
		.amdhsa_user_sgpr_queue_ptr 0
		.amdhsa_user_sgpr_kernarg_segment_ptr 1
		.amdhsa_user_sgpr_dispatch_id 0
		.amdhsa_user_sgpr_flat_scratch_init 0
		.amdhsa_user_sgpr_kernarg_preload_length 0
		.amdhsa_user_sgpr_kernarg_preload_offset 0
		.amdhsa_user_sgpr_private_segment_size 0
		.amdhsa_uses_dynamic_stack 0
		.amdhsa_system_sgpr_private_segment_wavefront_offset 0
		.amdhsa_system_sgpr_workgroup_id_x 1
		.amdhsa_system_sgpr_workgroup_id_y 0
		.amdhsa_system_sgpr_workgroup_id_z 0
		.amdhsa_system_sgpr_workgroup_info 0
		.amdhsa_system_vgpr_workitem_id 2
		.amdhsa_next_free_vgpr 46
		.amdhsa_next_free_sgpr 53
		.amdhsa_accum_offset 48
		.amdhsa_reserve_vcc 1
		.amdhsa_reserve_flat_scratch 0
		.amdhsa_float_round_mode_32 0
		.amdhsa_float_round_mode_16_64 0
		.amdhsa_float_denorm_mode_32 3
		.amdhsa_float_denorm_mode_16_64 3
		.amdhsa_dx10_clamp 1
		.amdhsa_ieee_mode 1
		.amdhsa_fp16_overflow 0
		.amdhsa_tg_split 0
		.amdhsa_exception_fp_ieee_invalid_op 0
		.amdhsa_exception_fp_denorm_src 0
		.amdhsa_exception_fp_ieee_div_zero 0
		.amdhsa_exception_fp_ieee_overflow 0
		.amdhsa_exception_fp_ieee_underflow 0
		.amdhsa_exception_fp_ieee_inexact 0
		.amdhsa_exception_int_div_zero 0
	.end_amdhsa_kernel
	.section	.text._ZN7rocprim17ROCPRIM_400000_NS6detail17trampoline_kernelINS0_14default_configENS1_35radix_sort_onesweep_config_selectorIllEEZZNS1_29radix_sort_onesweep_iterationIS3_Lb0EPlS7_N6thrust23THRUST_200600_302600_NS10device_ptrIlEESB_jNS0_19identity_decomposerENS1_16block_id_wrapperIjLb1EEEEE10hipError_tT1_PNSt15iterator_traitsISG_E10value_typeET2_T3_PNSH_ISM_E10value_typeET4_T5_PSR_SS_PNS1_23onesweep_lookback_stateEbbT6_jjT7_P12ihipStream_tbENKUlT_T0_SG_SL_E_clIS7_S7_SB_SB_EEDaSZ_S10_SG_SL_EUlSZ_E_NS1_11comp_targetILNS1_3genE4ELNS1_11target_archE910ELNS1_3gpuE8ELNS1_3repE0EEENS1_47radix_sort_onesweep_sort_config_static_selectorELNS0_4arch9wavefront6targetE1EEEvSG_,"axG",@progbits,_ZN7rocprim17ROCPRIM_400000_NS6detail17trampoline_kernelINS0_14default_configENS1_35radix_sort_onesweep_config_selectorIllEEZZNS1_29radix_sort_onesweep_iterationIS3_Lb0EPlS7_N6thrust23THRUST_200600_302600_NS10device_ptrIlEESB_jNS0_19identity_decomposerENS1_16block_id_wrapperIjLb1EEEEE10hipError_tT1_PNSt15iterator_traitsISG_E10value_typeET2_T3_PNSH_ISM_E10value_typeET4_T5_PSR_SS_PNS1_23onesweep_lookback_stateEbbT6_jjT7_P12ihipStream_tbENKUlT_T0_SG_SL_E_clIS7_S7_SB_SB_EEDaSZ_S10_SG_SL_EUlSZ_E_NS1_11comp_targetILNS1_3genE4ELNS1_11target_archE910ELNS1_3gpuE8ELNS1_3repE0EEENS1_47radix_sort_onesweep_sort_config_static_selectorELNS0_4arch9wavefront6targetE1EEEvSG_,comdat
.Lfunc_end1136:
	.size	_ZN7rocprim17ROCPRIM_400000_NS6detail17trampoline_kernelINS0_14default_configENS1_35radix_sort_onesweep_config_selectorIllEEZZNS1_29radix_sort_onesweep_iterationIS3_Lb0EPlS7_N6thrust23THRUST_200600_302600_NS10device_ptrIlEESB_jNS0_19identity_decomposerENS1_16block_id_wrapperIjLb1EEEEE10hipError_tT1_PNSt15iterator_traitsISG_E10value_typeET2_T3_PNSH_ISM_E10value_typeET4_T5_PSR_SS_PNS1_23onesweep_lookback_stateEbbT6_jjT7_P12ihipStream_tbENKUlT_T0_SG_SL_E_clIS7_S7_SB_SB_EEDaSZ_S10_SG_SL_EUlSZ_E_NS1_11comp_targetILNS1_3genE4ELNS1_11target_archE910ELNS1_3gpuE8ELNS1_3repE0EEENS1_47radix_sort_onesweep_sort_config_static_selectorELNS0_4arch9wavefront6targetE1EEEvSG_, .Lfunc_end1136-_ZN7rocprim17ROCPRIM_400000_NS6detail17trampoline_kernelINS0_14default_configENS1_35radix_sort_onesweep_config_selectorIllEEZZNS1_29radix_sort_onesweep_iterationIS3_Lb0EPlS7_N6thrust23THRUST_200600_302600_NS10device_ptrIlEESB_jNS0_19identity_decomposerENS1_16block_id_wrapperIjLb1EEEEE10hipError_tT1_PNSt15iterator_traitsISG_E10value_typeET2_T3_PNSH_ISM_E10value_typeET4_T5_PSR_SS_PNS1_23onesweep_lookback_stateEbbT6_jjT7_P12ihipStream_tbENKUlT_T0_SG_SL_E_clIS7_S7_SB_SB_EEDaSZ_S10_SG_SL_EUlSZ_E_NS1_11comp_targetILNS1_3genE4ELNS1_11target_archE910ELNS1_3gpuE8ELNS1_3repE0EEENS1_47radix_sort_onesweep_sort_config_static_selectorELNS0_4arch9wavefront6targetE1EEEvSG_
                                        ; -- End function
	.section	.AMDGPU.csdata,"",@progbits
; Kernel info:
; codeLenInByte = 10704
; NumSgprs: 57
; NumVgprs: 46
; NumAgprs: 0
; TotalNumVgprs: 46
; ScratchSize: 0
; MemoryBound: 0
; FloatMode: 240
; IeeeMode: 1
; LDSByteSize: 20552 bytes/workgroup (compile time only)
; SGPRBlocks: 7
; VGPRBlocks: 5
; NumSGPRsForWavesPerEU: 57
; NumVGPRsForWavesPerEU: 46
; AccumOffset: 48
; Occupancy: 8
; WaveLimiterHint : 1
; COMPUTE_PGM_RSRC2:SCRATCH_EN: 0
; COMPUTE_PGM_RSRC2:USER_SGPR: 6
; COMPUTE_PGM_RSRC2:TRAP_HANDLER: 0
; COMPUTE_PGM_RSRC2:TGID_X_EN: 1
; COMPUTE_PGM_RSRC2:TGID_Y_EN: 0
; COMPUTE_PGM_RSRC2:TGID_Z_EN: 0
; COMPUTE_PGM_RSRC2:TIDIG_COMP_CNT: 2
; COMPUTE_PGM_RSRC3_GFX90A:ACCUM_OFFSET: 11
; COMPUTE_PGM_RSRC3_GFX90A:TG_SPLIT: 0
	.section	.text._ZN7rocprim17ROCPRIM_400000_NS6detail17trampoline_kernelINS0_14default_configENS1_35radix_sort_onesweep_config_selectorIllEEZZNS1_29radix_sort_onesweep_iterationIS3_Lb0EPlS7_N6thrust23THRUST_200600_302600_NS10device_ptrIlEESB_jNS0_19identity_decomposerENS1_16block_id_wrapperIjLb1EEEEE10hipError_tT1_PNSt15iterator_traitsISG_E10value_typeET2_T3_PNSH_ISM_E10value_typeET4_T5_PSR_SS_PNS1_23onesweep_lookback_stateEbbT6_jjT7_P12ihipStream_tbENKUlT_T0_SG_SL_E_clIS7_S7_SB_SB_EEDaSZ_S10_SG_SL_EUlSZ_E_NS1_11comp_targetILNS1_3genE3ELNS1_11target_archE908ELNS1_3gpuE7ELNS1_3repE0EEENS1_47radix_sort_onesweep_sort_config_static_selectorELNS0_4arch9wavefront6targetE1EEEvSG_,"axG",@progbits,_ZN7rocprim17ROCPRIM_400000_NS6detail17trampoline_kernelINS0_14default_configENS1_35radix_sort_onesweep_config_selectorIllEEZZNS1_29radix_sort_onesweep_iterationIS3_Lb0EPlS7_N6thrust23THRUST_200600_302600_NS10device_ptrIlEESB_jNS0_19identity_decomposerENS1_16block_id_wrapperIjLb1EEEEE10hipError_tT1_PNSt15iterator_traitsISG_E10value_typeET2_T3_PNSH_ISM_E10value_typeET4_T5_PSR_SS_PNS1_23onesweep_lookback_stateEbbT6_jjT7_P12ihipStream_tbENKUlT_T0_SG_SL_E_clIS7_S7_SB_SB_EEDaSZ_S10_SG_SL_EUlSZ_E_NS1_11comp_targetILNS1_3genE3ELNS1_11target_archE908ELNS1_3gpuE7ELNS1_3repE0EEENS1_47radix_sort_onesweep_sort_config_static_selectorELNS0_4arch9wavefront6targetE1EEEvSG_,comdat
	.protected	_ZN7rocprim17ROCPRIM_400000_NS6detail17trampoline_kernelINS0_14default_configENS1_35radix_sort_onesweep_config_selectorIllEEZZNS1_29radix_sort_onesweep_iterationIS3_Lb0EPlS7_N6thrust23THRUST_200600_302600_NS10device_ptrIlEESB_jNS0_19identity_decomposerENS1_16block_id_wrapperIjLb1EEEEE10hipError_tT1_PNSt15iterator_traitsISG_E10value_typeET2_T3_PNSH_ISM_E10value_typeET4_T5_PSR_SS_PNS1_23onesweep_lookback_stateEbbT6_jjT7_P12ihipStream_tbENKUlT_T0_SG_SL_E_clIS7_S7_SB_SB_EEDaSZ_S10_SG_SL_EUlSZ_E_NS1_11comp_targetILNS1_3genE3ELNS1_11target_archE908ELNS1_3gpuE7ELNS1_3repE0EEENS1_47radix_sort_onesweep_sort_config_static_selectorELNS0_4arch9wavefront6targetE1EEEvSG_ ; -- Begin function _ZN7rocprim17ROCPRIM_400000_NS6detail17trampoline_kernelINS0_14default_configENS1_35radix_sort_onesweep_config_selectorIllEEZZNS1_29radix_sort_onesweep_iterationIS3_Lb0EPlS7_N6thrust23THRUST_200600_302600_NS10device_ptrIlEESB_jNS0_19identity_decomposerENS1_16block_id_wrapperIjLb1EEEEE10hipError_tT1_PNSt15iterator_traitsISG_E10value_typeET2_T3_PNSH_ISM_E10value_typeET4_T5_PSR_SS_PNS1_23onesweep_lookback_stateEbbT6_jjT7_P12ihipStream_tbENKUlT_T0_SG_SL_E_clIS7_S7_SB_SB_EEDaSZ_S10_SG_SL_EUlSZ_E_NS1_11comp_targetILNS1_3genE3ELNS1_11target_archE908ELNS1_3gpuE7ELNS1_3repE0EEENS1_47radix_sort_onesweep_sort_config_static_selectorELNS0_4arch9wavefront6targetE1EEEvSG_
	.globl	_ZN7rocprim17ROCPRIM_400000_NS6detail17trampoline_kernelINS0_14default_configENS1_35radix_sort_onesweep_config_selectorIllEEZZNS1_29radix_sort_onesweep_iterationIS3_Lb0EPlS7_N6thrust23THRUST_200600_302600_NS10device_ptrIlEESB_jNS0_19identity_decomposerENS1_16block_id_wrapperIjLb1EEEEE10hipError_tT1_PNSt15iterator_traitsISG_E10value_typeET2_T3_PNSH_ISM_E10value_typeET4_T5_PSR_SS_PNS1_23onesweep_lookback_stateEbbT6_jjT7_P12ihipStream_tbENKUlT_T0_SG_SL_E_clIS7_S7_SB_SB_EEDaSZ_S10_SG_SL_EUlSZ_E_NS1_11comp_targetILNS1_3genE3ELNS1_11target_archE908ELNS1_3gpuE7ELNS1_3repE0EEENS1_47radix_sort_onesweep_sort_config_static_selectorELNS0_4arch9wavefront6targetE1EEEvSG_
	.p2align	8
	.type	_ZN7rocprim17ROCPRIM_400000_NS6detail17trampoline_kernelINS0_14default_configENS1_35radix_sort_onesweep_config_selectorIllEEZZNS1_29radix_sort_onesweep_iterationIS3_Lb0EPlS7_N6thrust23THRUST_200600_302600_NS10device_ptrIlEESB_jNS0_19identity_decomposerENS1_16block_id_wrapperIjLb1EEEEE10hipError_tT1_PNSt15iterator_traitsISG_E10value_typeET2_T3_PNSH_ISM_E10value_typeET4_T5_PSR_SS_PNS1_23onesweep_lookback_stateEbbT6_jjT7_P12ihipStream_tbENKUlT_T0_SG_SL_E_clIS7_S7_SB_SB_EEDaSZ_S10_SG_SL_EUlSZ_E_NS1_11comp_targetILNS1_3genE3ELNS1_11target_archE908ELNS1_3gpuE7ELNS1_3repE0EEENS1_47radix_sort_onesweep_sort_config_static_selectorELNS0_4arch9wavefront6targetE1EEEvSG_,@function
_ZN7rocprim17ROCPRIM_400000_NS6detail17trampoline_kernelINS0_14default_configENS1_35radix_sort_onesweep_config_selectorIllEEZZNS1_29radix_sort_onesweep_iterationIS3_Lb0EPlS7_N6thrust23THRUST_200600_302600_NS10device_ptrIlEESB_jNS0_19identity_decomposerENS1_16block_id_wrapperIjLb1EEEEE10hipError_tT1_PNSt15iterator_traitsISG_E10value_typeET2_T3_PNSH_ISM_E10value_typeET4_T5_PSR_SS_PNS1_23onesweep_lookback_stateEbbT6_jjT7_P12ihipStream_tbENKUlT_T0_SG_SL_E_clIS7_S7_SB_SB_EEDaSZ_S10_SG_SL_EUlSZ_E_NS1_11comp_targetILNS1_3genE3ELNS1_11target_archE908ELNS1_3gpuE7ELNS1_3repE0EEENS1_47radix_sort_onesweep_sort_config_static_selectorELNS0_4arch9wavefront6targetE1EEEvSG_: ; @_ZN7rocprim17ROCPRIM_400000_NS6detail17trampoline_kernelINS0_14default_configENS1_35radix_sort_onesweep_config_selectorIllEEZZNS1_29radix_sort_onesweep_iterationIS3_Lb0EPlS7_N6thrust23THRUST_200600_302600_NS10device_ptrIlEESB_jNS0_19identity_decomposerENS1_16block_id_wrapperIjLb1EEEEE10hipError_tT1_PNSt15iterator_traitsISG_E10value_typeET2_T3_PNSH_ISM_E10value_typeET4_T5_PSR_SS_PNS1_23onesweep_lookback_stateEbbT6_jjT7_P12ihipStream_tbENKUlT_T0_SG_SL_E_clIS7_S7_SB_SB_EEDaSZ_S10_SG_SL_EUlSZ_E_NS1_11comp_targetILNS1_3genE3ELNS1_11target_archE908ELNS1_3gpuE7ELNS1_3repE0EEENS1_47radix_sort_onesweep_sort_config_static_selectorELNS0_4arch9wavefront6targetE1EEEvSG_
; %bb.0:
	.section	.rodata,"a",@progbits
	.p2align	6, 0x0
	.amdhsa_kernel _ZN7rocprim17ROCPRIM_400000_NS6detail17trampoline_kernelINS0_14default_configENS1_35radix_sort_onesweep_config_selectorIllEEZZNS1_29radix_sort_onesweep_iterationIS3_Lb0EPlS7_N6thrust23THRUST_200600_302600_NS10device_ptrIlEESB_jNS0_19identity_decomposerENS1_16block_id_wrapperIjLb1EEEEE10hipError_tT1_PNSt15iterator_traitsISG_E10value_typeET2_T3_PNSH_ISM_E10value_typeET4_T5_PSR_SS_PNS1_23onesweep_lookback_stateEbbT6_jjT7_P12ihipStream_tbENKUlT_T0_SG_SL_E_clIS7_S7_SB_SB_EEDaSZ_S10_SG_SL_EUlSZ_E_NS1_11comp_targetILNS1_3genE3ELNS1_11target_archE908ELNS1_3gpuE7ELNS1_3repE0EEENS1_47radix_sort_onesweep_sort_config_static_selectorELNS0_4arch9wavefront6targetE1EEEvSG_
		.amdhsa_group_segment_fixed_size 0
		.amdhsa_private_segment_fixed_size 0
		.amdhsa_kernarg_size 88
		.amdhsa_user_sgpr_count 6
		.amdhsa_user_sgpr_private_segment_buffer 1
		.amdhsa_user_sgpr_dispatch_ptr 0
		.amdhsa_user_sgpr_queue_ptr 0
		.amdhsa_user_sgpr_kernarg_segment_ptr 1
		.amdhsa_user_sgpr_dispatch_id 0
		.amdhsa_user_sgpr_flat_scratch_init 0
		.amdhsa_user_sgpr_kernarg_preload_length 0
		.amdhsa_user_sgpr_kernarg_preload_offset 0
		.amdhsa_user_sgpr_private_segment_size 0
		.amdhsa_uses_dynamic_stack 0
		.amdhsa_system_sgpr_private_segment_wavefront_offset 0
		.amdhsa_system_sgpr_workgroup_id_x 1
		.amdhsa_system_sgpr_workgroup_id_y 0
		.amdhsa_system_sgpr_workgroup_id_z 0
		.amdhsa_system_sgpr_workgroup_info 0
		.amdhsa_system_vgpr_workitem_id 0
		.amdhsa_next_free_vgpr 1
		.amdhsa_next_free_sgpr 0
		.amdhsa_accum_offset 4
		.amdhsa_reserve_vcc 0
		.amdhsa_reserve_flat_scratch 0
		.amdhsa_float_round_mode_32 0
		.amdhsa_float_round_mode_16_64 0
		.amdhsa_float_denorm_mode_32 3
		.amdhsa_float_denorm_mode_16_64 3
		.amdhsa_dx10_clamp 1
		.amdhsa_ieee_mode 1
		.amdhsa_fp16_overflow 0
		.amdhsa_tg_split 0
		.amdhsa_exception_fp_ieee_invalid_op 0
		.amdhsa_exception_fp_denorm_src 0
		.amdhsa_exception_fp_ieee_div_zero 0
		.amdhsa_exception_fp_ieee_overflow 0
		.amdhsa_exception_fp_ieee_underflow 0
		.amdhsa_exception_fp_ieee_inexact 0
		.amdhsa_exception_int_div_zero 0
	.end_amdhsa_kernel
	.section	.text._ZN7rocprim17ROCPRIM_400000_NS6detail17trampoline_kernelINS0_14default_configENS1_35radix_sort_onesweep_config_selectorIllEEZZNS1_29radix_sort_onesweep_iterationIS3_Lb0EPlS7_N6thrust23THRUST_200600_302600_NS10device_ptrIlEESB_jNS0_19identity_decomposerENS1_16block_id_wrapperIjLb1EEEEE10hipError_tT1_PNSt15iterator_traitsISG_E10value_typeET2_T3_PNSH_ISM_E10value_typeET4_T5_PSR_SS_PNS1_23onesweep_lookback_stateEbbT6_jjT7_P12ihipStream_tbENKUlT_T0_SG_SL_E_clIS7_S7_SB_SB_EEDaSZ_S10_SG_SL_EUlSZ_E_NS1_11comp_targetILNS1_3genE3ELNS1_11target_archE908ELNS1_3gpuE7ELNS1_3repE0EEENS1_47radix_sort_onesweep_sort_config_static_selectorELNS0_4arch9wavefront6targetE1EEEvSG_,"axG",@progbits,_ZN7rocprim17ROCPRIM_400000_NS6detail17trampoline_kernelINS0_14default_configENS1_35radix_sort_onesweep_config_selectorIllEEZZNS1_29radix_sort_onesweep_iterationIS3_Lb0EPlS7_N6thrust23THRUST_200600_302600_NS10device_ptrIlEESB_jNS0_19identity_decomposerENS1_16block_id_wrapperIjLb1EEEEE10hipError_tT1_PNSt15iterator_traitsISG_E10value_typeET2_T3_PNSH_ISM_E10value_typeET4_T5_PSR_SS_PNS1_23onesweep_lookback_stateEbbT6_jjT7_P12ihipStream_tbENKUlT_T0_SG_SL_E_clIS7_S7_SB_SB_EEDaSZ_S10_SG_SL_EUlSZ_E_NS1_11comp_targetILNS1_3genE3ELNS1_11target_archE908ELNS1_3gpuE7ELNS1_3repE0EEENS1_47radix_sort_onesweep_sort_config_static_selectorELNS0_4arch9wavefront6targetE1EEEvSG_,comdat
.Lfunc_end1137:
	.size	_ZN7rocprim17ROCPRIM_400000_NS6detail17trampoline_kernelINS0_14default_configENS1_35radix_sort_onesweep_config_selectorIllEEZZNS1_29radix_sort_onesweep_iterationIS3_Lb0EPlS7_N6thrust23THRUST_200600_302600_NS10device_ptrIlEESB_jNS0_19identity_decomposerENS1_16block_id_wrapperIjLb1EEEEE10hipError_tT1_PNSt15iterator_traitsISG_E10value_typeET2_T3_PNSH_ISM_E10value_typeET4_T5_PSR_SS_PNS1_23onesweep_lookback_stateEbbT6_jjT7_P12ihipStream_tbENKUlT_T0_SG_SL_E_clIS7_S7_SB_SB_EEDaSZ_S10_SG_SL_EUlSZ_E_NS1_11comp_targetILNS1_3genE3ELNS1_11target_archE908ELNS1_3gpuE7ELNS1_3repE0EEENS1_47radix_sort_onesweep_sort_config_static_selectorELNS0_4arch9wavefront6targetE1EEEvSG_, .Lfunc_end1137-_ZN7rocprim17ROCPRIM_400000_NS6detail17trampoline_kernelINS0_14default_configENS1_35radix_sort_onesweep_config_selectorIllEEZZNS1_29radix_sort_onesweep_iterationIS3_Lb0EPlS7_N6thrust23THRUST_200600_302600_NS10device_ptrIlEESB_jNS0_19identity_decomposerENS1_16block_id_wrapperIjLb1EEEEE10hipError_tT1_PNSt15iterator_traitsISG_E10value_typeET2_T3_PNSH_ISM_E10value_typeET4_T5_PSR_SS_PNS1_23onesweep_lookback_stateEbbT6_jjT7_P12ihipStream_tbENKUlT_T0_SG_SL_E_clIS7_S7_SB_SB_EEDaSZ_S10_SG_SL_EUlSZ_E_NS1_11comp_targetILNS1_3genE3ELNS1_11target_archE908ELNS1_3gpuE7ELNS1_3repE0EEENS1_47radix_sort_onesweep_sort_config_static_selectorELNS0_4arch9wavefront6targetE1EEEvSG_
                                        ; -- End function
	.section	.AMDGPU.csdata,"",@progbits
; Kernel info:
; codeLenInByte = 0
; NumSgprs: 4
; NumVgprs: 0
; NumAgprs: 0
; TotalNumVgprs: 0
; ScratchSize: 0
; MemoryBound: 0
; FloatMode: 240
; IeeeMode: 1
; LDSByteSize: 0 bytes/workgroup (compile time only)
; SGPRBlocks: 0
; VGPRBlocks: 0
; NumSGPRsForWavesPerEU: 4
; NumVGPRsForWavesPerEU: 1
; AccumOffset: 4
; Occupancy: 8
; WaveLimiterHint : 0
; COMPUTE_PGM_RSRC2:SCRATCH_EN: 0
; COMPUTE_PGM_RSRC2:USER_SGPR: 6
; COMPUTE_PGM_RSRC2:TRAP_HANDLER: 0
; COMPUTE_PGM_RSRC2:TGID_X_EN: 1
; COMPUTE_PGM_RSRC2:TGID_Y_EN: 0
; COMPUTE_PGM_RSRC2:TGID_Z_EN: 0
; COMPUTE_PGM_RSRC2:TIDIG_COMP_CNT: 0
; COMPUTE_PGM_RSRC3_GFX90A:ACCUM_OFFSET: 0
; COMPUTE_PGM_RSRC3_GFX90A:TG_SPLIT: 0
	.section	.text._ZN7rocprim17ROCPRIM_400000_NS6detail17trampoline_kernelINS0_14default_configENS1_35radix_sort_onesweep_config_selectorIllEEZZNS1_29radix_sort_onesweep_iterationIS3_Lb0EPlS7_N6thrust23THRUST_200600_302600_NS10device_ptrIlEESB_jNS0_19identity_decomposerENS1_16block_id_wrapperIjLb1EEEEE10hipError_tT1_PNSt15iterator_traitsISG_E10value_typeET2_T3_PNSH_ISM_E10value_typeET4_T5_PSR_SS_PNS1_23onesweep_lookback_stateEbbT6_jjT7_P12ihipStream_tbENKUlT_T0_SG_SL_E_clIS7_S7_SB_SB_EEDaSZ_S10_SG_SL_EUlSZ_E_NS1_11comp_targetILNS1_3genE10ELNS1_11target_archE1201ELNS1_3gpuE5ELNS1_3repE0EEENS1_47radix_sort_onesweep_sort_config_static_selectorELNS0_4arch9wavefront6targetE1EEEvSG_,"axG",@progbits,_ZN7rocprim17ROCPRIM_400000_NS6detail17trampoline_kernelINS0_14default_configENS1_35radix_sort_onesweep_config_selectorIllEEZZNS1_29radix_sort_onesweep_iterationIS3_Lb0EPlS7_N6thrust23THRUST_200600_302600_NS10device_ptrIlEESB_jNS0_19identity_decomposerENS1_16block_id_wrapperIjLb1EEEEE10hipError_tT1_PNSt15iterator_traitsISG_E10value_typeET2_T3_PNSH_ISM_E10value_typeET4_T5_PSR_SS_PNS1_23onesweep_lookback_stateEbbT6_jjT7_P12ihipStream_tbENKUlT_T0_SG_SL_E_clIS7_S7_SB_SB_EEDaSZ_S10_SG_SL_EUlSZ_E_NS1_11comp_targetILNS1_3genE10ELNS1_11target_archE1201ELNS1_3gpuE5ELNS1_3repE0EEENS1_47radix_sort_onesweep_sort_config_static_selectorELNS0_4arch9wavefront6targetE1EEEvSG_,comdat
	.protected	_ZN7rocprim17ROCPRIM_400000_NS6detail17trampoline_kernelINS0_14default_configENS1_35radix_sort_onesweep_config_selectorIllEEZZNS1_29radix_sort_onesweep_iterationIS3_Lb0EPlS7_N6thrust23THRUST_200600_302600_NS10device_ptrIlEESB_jNS0_19identity_decomposerENS1_16block_id_wrapperIjLb1EEEEE10hipError_tT1_PNSt15iterator_traitsISG_E10value_typeET2_T3_PNSH_ISM_E10value_typeET4_T5_PSR_SS_PNS1_23onesweep_lookback_stateEbbT6_jjT7_P12ihipStream_tbENKUlT_T0_SG_SL_E_clIS7_S7_SB_SB_EEDaSZ_S10_SG_SL_EUlSZ_E_NS1_11comp_targetILNS1_3genE10ELNS1_11target_archE1201ELNS1_3gpuE5ELNS1_3repE0EEENS1_47radix_sort_onesweep_sort_config_static_selectorELNS0_4arch9wavefront6targetE1EEEvSG_ ; -- Begin function _ZN7rocprim17ROCPRIM_400000_NS6detail17trampoline_kernelINS0_14default_configENS1_35radix_sort_onesweep_config_selectorIllEEZZNS1_29radix_sort_onesweep_iterationIS3_Lb0EPlS7_N6thrust23THRUST_200600_302600_NS10device_ptrIlEESB_jNS0_19identity_decomposerENS1_16block_id_wrapperIjLb1EEEEE10hipError_tT1_PNSt15iterator_traitsISG_E10value_typeET2_T3_PNSH_ISM_E10value_typeET4_T5_PSR_SS_PNS1_23onesweep_lookback_stateEbbT6_jjT7_P12ihipStream_tbENKUlT_T0_SG_SL_E_clIS7_S7_SB_SB_EEDaSZ_S10_SG_SL_EUlSZ_E_NS1_11comp_targetILNS1_3genE10ELNS1_11target_archE1201ELNS1_3gpuE5ELNS1_3repE0EEENS1_47radix_sort_onesweep_sort_config_static_selectorELNS0_4arch9wavefront6targetE1EEEvSG_
	.globl	_ZN7rocprim17ROCPRIM_400000_NS6detail17trampoline_kernelINS0_14default_configENS1_35radix_sort_onesweep_config_selectorIllEEZZNS1_29radix_sort_onesweep_iterationIS3_Lb0EPlS7_N6thrust23THRUST_200600_302600_NS10device_ptrIlEESB_jNS0_19identity_decomposerENS1_16block_id_wrapperIjLb1EEEEE10hipError_tT1_PNSt15iterator_traitsISG_E10value_typeET2_T3_PNSH_ISM_E10value_typeET4_T5_PSR_SS_PNS1_23onesweep_lookback_stateEbbT6_jjT7_P12ihipStream_tbENKUlT_T0_SG_SL_E_clIS7_S7_SB_SB_EEDaSZ_S10_SG_SL_EUlSZ_E_NS1_11comp_targetILNS1_3genE10ELNS1_11target_archE1201ELNS1_3gpuE5ELNS1_3repE0EEENS1_47radix_sort_onesweep_sort_config_static_selectorELNS0_4arch9wavefront6targetE1EEEvSG_
	.p2align	8
	.type	_ZN7rocprim17ROCPRIM_400000_NS6detail17trampoline_kernelINS0_14default_configENS1_35radix_sort_onesweep_config_selectorIllEEZZNS1_29radix_sort_onesweep_iterationIS3_Lb0EPlS7_N6thrust23THRUST_200600_302600_NS10device_ptrIlEESB_jNS0_19identity_decomposerENS1_16block_id_wrapperIjLb1EEEEE10hipError_tT1_PNSt15iterator_traitsISG_E10value_typeET2_T3_PNSH_ISM_E10value_typeET4_T5_PSR_SS_PNS1_23onesweep_lookback_stateEbbT6_jjT7_P12ihipStream_tbENKUlT_T0_SG_SL_E_clIS7_S7_SB_SB_EEDaSZ_S10_SG_SL_EUlSZ_E_NS1_11comp_targetILNS1_3genE10ELNS1_11target_archE1201ELNS1_3gpuE5ELNS1_3repE0EEENS1_47radix_sort_onesweep_sort_config_static_selectorELNS0_4arch9wavefront6targetE1EEEvSG_,@function
_ZN7rocprim17ROCPRIM_400000_NS6detail17trampoline_kernelINS0_14default_configENS1_35radix_sort_onesweep_config_selectorIllEEZZNS1_29radix_sort_onesweep_iterationIS3_Lb0EPlS7_N6thrust23THRUST_200600_302600_NS10device_ptrIlEESB_jNS0_19identity_decomposerENS1_16block_id_wrapperIjLb1EEEEE10hipError_tT1_PNSt15iterator_traitsISG_E10value_typeET2_T3_PNSH_ISM_E10value_typeET4_T5_PSR_SS_PNS1_23onesweep_lookback_stateEbbT6_jjT7_P12ihipStream_tbENKUlT_T0_SG_SL_E_clIS7_S7_SB_SB_EEDaSZ_S10_SG_SL_EUlSZ_E_NS1_11comp_targetILNS1_3genE10ELNS1_11target_archE1201ELNS1_3gpuE5ELNS1_3repE0EEENS1_47radix_sort_onesweep_sort_config_static_selectorELNS0_4arch9wavefront6targetE1EEEvSG_: ; @_ZN7rocprim17ROCPRIM_400000_NS6detail17trampoline_kernelINS0_14default_configENS1_35radix_sort_onesweep_config_selectorIllEEZZNS1_29radix_sort_onesweep_iterationIS3_Lb0EPlS7_N6thrust23THRUST_200600_302600_NS10device_ptrIlEESB_jNS0_19identity_decomposerENS1_16block_id_wrapperIjLb1EEEEE10hipError_tT1_PNSt15iterator_traitsISG_E10value_typeET2_T3_PNSH_ISM_E10value_typeET4_T5_PSR_SS_PNS1_23onesweep_lookback_stateEbbT6_jjT7_P12ihipStream_tbENKUlT_T0_SG_SL_E_clIS7_S7_SB_SB_EEDaSZ_S10_SG_SL_EUlSZ_E_NS1_11comp_targetILNS1_3genE10ELNS1_11target_archE1201ELNS1_3gpuE5ELNS1_3repE0EEENS1_47radix_sort_onesweep_sort_config_static_selectorELNS0_4arch9wavefront6targetE1EEEvSG_
; %bb.0:
	.section	.rodata,"a",@progbits
	.p2align	6, 0x0
	.amdhsa_kernel _ZN7rocprim17ROCPRIM_400000_NS6detail17trampoline_kernelINS0_14default_configENS1_35radix_sort_onesweep_config_selectorIllEEZZNS1_29radix_sort_onesweep_iterationIS3_Lb0EPlS7_N6thrust23THRUST_200600_302600_NS10device_ptrIlEESB_jNS0_19identity_decomposerENS1_16block_id_wrapperIjLb1EEEEE10hipError_tT1_PNSt15iterator_traitsISG_E10value_typeET2_T3_PNSH_ISM_E10value_typeET4_T5_PSR_SS_PNS1_23onesweep_lookback_stateEbbT6_jjT7_P12ihipStream_tbENKUlT_T0_SG_SL_E_clIS7_S7_SB_SB_EEDaSZ_S10_SG_SL_EUlSZ_E_NS1_11comp_targetILNS1_3genE10ELNS1_11target_archE1201ELNS1_3gpuE5ELNS1_3repE0EEENS1_47radix_sort_onesweep_sort_config_static_selectorELNS0_4arch9wavefront6targetE1EEEvSG_
		.amdhsa_group_segment_fixed_size 0
		.amdhsa_private_segment_fixed_size 0
		.amdhsa_kernarg_size 88
		.amdhsa_user_sgpr_count 6
		.amdhsa_user_sgpr_private_segment_buffer 1
		.amdhsa_user_sgpr_dispatch_ptr 0
		.amdhsa_user_sgpr_queue_ptr 0
		.amdhsa_user_sgpr_kernarg_segment_ptr 1
		.amdhsa_user_sgpr_dispatch_id 0
		.amdhsa_user_sgpr_flat_scratch_init 0
		.amdhsa_user_sgpr_kernarg_preload_length 0
		.amdhsa_user_sgpr_kernarg_preload_offset 0
		.amdhsa_user_sgpr_private_segment_size 0
		.amdhsa_uses_dynamic_stack 0
		.amdhsa_system_sgpr_private_segment_wavefront_offset 0
		.amdhsa_system_sgpr_workgroup_id_x 1
		.amdhsa_system_sgpr_workgroup_id_y 0
		.amdhsa_system_sgpr_workgroup_id_z 0
		.amdhsa_system_sgpr_workgroup_info 0
		.amdhsa_system_vgpr_workitem_id 0
		.amdhsa_next_free_vgpr 1
		.amdhsa_next_free_sgpr 0
		.amdhsa_accum_offset 4
		.amdhsa_reserve_vcc 0
		.amdhsa_reserve_flat_scratch 0
		.amdhsa_float_round_mode_32 0
		.amdhsa_float_round_mode_16_64 0
		.amdhsa_float_denorm_mode_32 3
		.amdhsa_float_denorm_mode_16_64 3
		.amdhsa_dx10_clamp 1
		.amdhsa_ieee_mode 1
		.amdhsa_fp16_overflow 0
		.amdhsa_tg_split 0
		.amdhsa_exception_fp_ieee_invalid_op 0
		.amdhsa_exception_fp_denorm_src 0
		.amdhsa_exception_fp_ieee_div_zero 0
		.amdhsa_exception_fp_ieee_overflow 0
		.amdhsa_exception_fp_ieee_underflow 0
		.amdhsa_exception_fp_ieee_inexact 0
		.amdhsa_exception_int_div_zero 0
	.end_amdhsa_kernel
	.section	.text._ZN7rocprim17ROCPRIM_400000_NS6detail17trampoline_kernelINS0_14default_configENS1_35radix_sort_onesweep_config_selectorIllEEZZNS1_29radix_sort_onesweep_iterationIS3_Lb0EPlS7_N6thrust23THRUST_200600_302600_NS10device_ptrIlEESB_jNS0_19identity_decomposerENS1_16block_id_wrapperIjLb1EEEEE10hipError_tT1_PNSt15iterator_traitsISG_E10value_typeET2_T3_PNSH_ISM_E10value_typeET4_T5_PSR_SS_PNS1_23onesweep_lookback_stateEbbT6_jjT7_P12ihipStream_tbENKUlT_T0_SG_SL_E_clIS7_S7_SB_SB_EEDaSZ_S10_SG_SL_EUlSZ_E_NS1_11comp_targetILNS1_3genE10ELNS1_11target_archE1201ELNS1_3gpuE5ELNS1_3repE0EEENS1_47radix_sort_onesweep_sort_config_static_selectorELNS0_4arch9wavefront6targetE1EEEvSG_,"axG",@progbits,_ZN7rocprim17ROCPRIM_400000_NS6detail17trampoline_kernelINS0_14default_configENS1_35radix_sort_onesweep_config_selectorIllEEZZNS1_29radix_sort_onesweep_iterationIS3_Lb0EPlS7_N6thrust23THRUST_200600_302600_NS10device_ptrIlEESB_jNS0_19identity_decomposerENS1_16block_id_wrapperIjLb1EEEEE10hipError_tT1_PNSt15iterator_traitsISG_E10value_typeET2_T3_PNSH_ISM_E10value_typeET4_T5_PSR_SS_PNS1_23onesweep_lookback_stateEbbT6_jjT7_P12ihipStream_tbENKUlT_T0_SG_SL_E_clIS7_S7_SB_SB_EEDaSZ_S10_SG_SL_EUlSZ_E_NS1_11comp_targetILNS1_3genE10ELNS1_11target_archE1201ELNS1_3gpuE5ELNS1_3repE0EEENS1_47radix_sort_onesweep_sort_config_static_selectorELNS0_4arch9wavefront6targetE1EEEvSG_,comdat
.Lfunc_end1138:
	.size	_ZN7rocprim17ROCPRIM_400000_NS6detail17trampoline_kernelINS0_14default_configENS1_35radix_sort_onesweep_config_selectorIllEEZZNS1_29radix_sort_onesweep_iterationIS3_Lb0EPlS7_N6thrust23THRUST_200600_302600_NS10device_ptrIlEESB_jNS0_19identity_decomposerENS1_16block_id_wrapperIjLb1EEEEE10hipError_tT1_PNSt15iterator_traitsISG_E10value_typeET2_T3_PNSH_ISM_E10value_typeET4_T5_PSR_SS_PNS1_23onesweep_lookback_stateEbbT6_jjT7_P12ihipStream_tbENKUlT_T0_SG_SL_E_clIS7_S7_SB_SB_EEDaSZ_S10_SG_SL_EUlSZ_E_NS1_11comp_targetILNS1_3genE10ELNS1_11target_archE1201ELNS1_3gpuE5ELNS1_3repE0EEENS1_47radix_sort_onesweep_sort_config_static_selectorELNS0_4arch9wavefront6targetE1EEEvSG_, .Lfunc_end1138-_ZN7rocprim17ROCPRIM_400000_NS6detail17trampoline_kernelINS0_14default_configENS1_35radix_sort_onesweep_config_selectorIllEEZZNS1_29radix_sort_onesweep_iterationIS3_Lb0EPlS7_N6thrust23THRUST_200600_302600_NS10device_ptrIlEESB_jNS0_19identity_decomposerENS1_16block_id_wrapperIjLb1EEEEE10hipError_tT1_PNSt15iterator_traitsISG_E10value_typeET2_T3_PNSH_ISM_E10value_typeET4_T5_PSR_SS_PNS1_23onesweep_lookback_stateEbbT6_jjT7_P12ihipStream_tbENKUlT_T0_SG_SL_E_clIS7_S7_SB_SB_EEDaSZ_S10_SG_SL_EUlSZ_E_NS1_11comp_targetILNS1_3genE10ELNS1_11target_archE1201ELNS1_3gpuE5ELNS1_3repE0EEENS1_47radix_sort_onesweep_sort_config_static_selectorELNS0_4arch9wavefront6targetE1EEEvSG_
                                        ; -- End function
	.section	.AMDGPU.csdata,"",@progbits
; Kernel info:
; codeLenInByte = 0
; NumSgprs: 4
; NumVgprs: 0
; NumAgprs: 0
; TotalNumVgprs: 0
; ScratchSize: 0
; MemoryBound: 0
; FloatMode: 240
; IeeeMode: 1
; LDSByteSize: 0 bytes/workgroup (compile time only)
; SGPRBlocks: 0
; VGPRBlocks: 0
; NumSGPRsForWavesPerEU: 4
; NumVGPRsForWavesPerEU: 1
; AccumOffset: 4
; Occupancy: 8
; WaveLimiterHint : 0
; COMPUTE_PGM_RSRC2:SCRATCH_EN: 0
; COMPUTE_PGM_RSRC2:USER_SGPR: 6
; COMPUTE_PGM_RSRC2:TRAP_HANDLER: 0
; COMPUTE_PGM_RSRC2:TGID_X_EN: 1
; COMPUTE_PGM_RSRC2:TGID_Y_EN: 0
; COMPUTE_PGM_RSRC2:TGID_Z_EN: 0
; COMPUTE_PGM_RSRC2:TIDIG_COMP_CNT: 0
; COMPUTE_PGM_RSRC3_GFX90A:ACCUM_OFFSET: 0
; COMPUTE_PGM_RSRC3_GFX90A:TG_SPLIT: 0
	.section	.text._ZN7rocprim17ROCPRIM_400000_NS6detail17trampoline_kernelINS0_14default_configENS1_35radix_sort_onesweep_config_selectorIllEEZZNS1_29radix_sort_onesweep_iterationIS3_Lb0EPlS7_N6thrust23THRUST_200600_302600_NS10device_ptrIlEESB_jNS0_19identity_decomposerENS1_16block_id_wrapperIjLb1EEEEE10hipError_tT1_PNSt15iterator_traitsISG_E10value_typeET2_T3_PNSH_ISM_E10value_typeET4_T5_PSR_SS_PNS1_23onesweep_lookback_stateEbbT6_jjT7_P12ihipStream_tbENKUlT_T0_SG_SL_E_clIS7_S7_SB_SB_EEDaSZ_S10_SG_SL_EUlSZ_E_NS1_11comp_targetILNS1_3genE9ELNS1_11target_archE1100ELNS1_3gpuE3ELNS1_3repE0EEENS1_47radix_sort_onesweep_sort_config_static_selectorELNS0_4arch9wavefront6targetE1EEEvSG_,"axG",@progbits,_ZN7rocprim17ROCPRIM_400000_NS6detail17trampoline_kernelINS0_14default_configENS1_35radix_sort_onesweep_config_selectorIllEEZZNS1_29radix_sort_onesweep_iterationIS3_Lb0EPlS7_N6thrust23THRUST_200600_302600_NS10device_ptrIlEESB_jNS0_19identity_decomposerENS1_16block_id_wrapperIjLb1EEEEE10hipError_tT1_PNSt15iterator_traitsISG_E10value_typeET2_T3_PNSH_ISM_E10value_typeET4_T5_PSR_SS_PNS1_23onesweep_lookback_stateEbbT6_jjT7_P12ihipStream_tbENKUlT_T0_SG_SL_E_clIS7_S7_SB_SB_EEDaSZ_S10_SG_SL_EUlSZ_E_NS1_11comp_targetILNS1_3genE9ELNS1_11target_archE1100ELNS1_3gpuE3ELNS1_3repE0EEENS1_47radix_sort_onesweep_sort_config_static_selectorELNS0_4arch9wavefront6targetE1EEEvSG_,comdat
	.protected	_ZN7rocprim17ROCPRIM_400000_NS6detail17trampoline_kernelINS0_14default_configENS1_35radix_sort_onesweep_config_selectorIllEEZZNS1_29radix_sort_onesweep_iterationIS3_Lb0EPlS7_N6thrust23THRUST_200600_302600_NS10device_ptrIlEESB_jNS0_19identity_decomposerENS1_16block_id_wrapperIjLb1EEEEE10hipError_tT1_PNSt15iterator_traitsISG_E10value_typeET2_T3_PNSH_ISM_E10value_typeET4_T5_PSR_SS_PNS1_23onesweep_lookback_stateEbbT6_jjT7_P12ihipStream_tbENKUlT_T0_SG_SL_E_clIS7_S7_SB_SB_EEDaSZ_S10_SG_SL_EUlSZ_E_NS1_11comp_targetILNS1_3genE9ELNS1_11target_archE1100ELNS1_3gpuE3ELNS1_3repE0EEENS1_47radix_sort_onesweep_sort_config_static_selectorELNS0_4arch9wavefront6targetE1EEEvSG_ ; -- Begin function _ZN7rocprim17ROCPRIM_400000_NS6detail17trampoline_kernelINS0_14default_configENS1_35radix_sort_onesweep_config_selectorIllEEZZNS1_29radix_sort_onesweep_iterationIS3_Lb0EPlS7_N6thrust23THRUST_200600_302600_NS10device_ptrIlEESB_jNS0_19identity_decomposerENS1_16block_id_wrapperIjLb1EEEEE10hipError_tT1_PNSt15iterator_traitsISG_E10value_typeET2_T3_PNSH_ISM_E10value_typeET4_T5_PSR_SS_PNS1_23onesweep_lookback_stateEbbT6_jjT7_P12ihipStream_tbENKUlT_T0_SG_SL_E_clIS7_S7_SB_SB_EEDaSZ_S10_SG_SL_EUlSZ_E_NS1_11comp_targetILNS1_3genE9ELNS1_11target_archE1100ELNS1_3gpuE3ELNS1_3repE0EEENS1_47radix_sort_onesweep_sort_config_static_selectorELNS0_4arch9wavefront6targetE1EEEvSG_
	.globl	_ZN7rocprim17ROCPRIM_400000_NS6detail17trampoline_kernelINS0_14default_configENS1_35radix_sort_onesweep_config_selectorIllEEZZNS1_29radix_sort_onesweep_iterationIS3_Lb0EPlS7_N6thrust23THRUST_200600_302600_NS10device_ptrIlEESB_jNS0_19identity_decomposerENS1_16block_id_wrapperIjLb1EEEEE10hipError_tT1_PNSt15iterator_traitsISG_E10value_typeET2_T3_PNSH_ISM_E10value_typeET4_T5_PSR_SS_PNS1_23onesweep_lookback_stateEbbT6_jjT7_P12ihipStream_tbENKUlT_T0_SG_SL_E_clIS7_S7_SB_SB_EEDaSZ_S10_SG_SL_EUlSZ_E_NS1_11comp_targetILNS1_3genE9ELNS1_11target_archE1100ELNS1_3gpuE3ELNS1_3repE0EEENS1_47radix_sort_onesweep_sort_config_static_selectorELNS0_4arch9wavefront6targetE1EEEvSG_
	.p2align	8
	.type	_ZN7rocprim17ROCPRIM_400000_NS6detail17trampoline_kernelINS0_14default_configENS1_35radix_sort_onesweep_config_selectorIllEEZZNS1_29radix_sort_onesweep_iterationIS3_Lb0EPlS7_N6thrust23THRUST_200600_302600_NS10device_ptrIlEESB_jNS0_19identity_decomposerENS1_16block_id_wrapperIjLb1EEEEE10hipError_tT1_PNSt15iterator_traitsISG_E10value_typeET2_T3_PNSH_ISM_E10value_typeET4_T5_PSR_SS_PNS1_23onesweep_lookback_stateEbbT6_jjT7_P12ihipStream_tbENKUlT_T0_SG_SL_E_clIS7_S7_SB_SB_EEDaSZ_S10_SG_SL_EUlSZ_E_NS1_11comp_targetILNS1_3genE9ELNS1_11target_archE1100ELNS1_3gpuE3ELNS1_3repE0EEENS1_47radix_sort_onesweep_sort_config_static_selectorELNS0_4arch9wavefront6targetE1EEEvSG_,@function
_ZN7rocprim17ROCPRIM_400000_NS6detail17trampoline_kernelINS0_14default_configENS1_35radix_sort_onesweep_config_selectorIllEEZZNS1_29radix_sort_onesweep_iterationIS3_Lb0EPlS7_N6thrust23THRUST_200600_302600_NS10device_ptrIlEESB_jNS0_19identity_decomposerENS1_16block_id_wrapperIjLb1EEEEE10hipError_tT1_PNSt15iterator_traitsISG_E10value_typeET2_T3_PNSH_ISM_E10value_typeET4_T5_PSR_SS_PNS1_23onesweep_lookback_stateEbbT6_jjT7_P12ihipStream_tbENKUlT_T0_SG_SL_E_clIS7_S7_SB_SB_EEDaSZ_S10_SG_SL_EUlSZ_E_NS1_11comp_targetILNS1_3genE9ELNS1_11target_archE1100ELNS1_3gpuE3ELNS1_3repE0EEENS1_47radix_sort_onesweep_sort_config_static_selectorELNS0_4arch9wavefront6targetE1EEEvSG_: ; @_ZN7rocprim17ROCPRIM_400000_NS6detail17trampoline_kernelINS0_14default_configENS1_35radix_sort_onesweep_config_selectorIllEEZZNS1_29radix_sort_onesweep_iterationIS3_Lb0EPlS7_N6thrust23THRUST_200600_302600_NS10device_ptrIlEESB_jNS0_19identity_decomposerENS1_16block_id_wrapperIjLb1EEEEE10hipError_tT1_PNSt15iterator_traitsISG_E10value_typeET2_T3_PNSH_ISM_E10value_typeET4_T5_PSR_SS_PNS1_23onesweep_lookback_stateEbbT6_jjT7_P12ihipStream_tbENKUlT_T0_SG_SL_E_clIS7_S7_SB_SB_EEDaSZ_S10_SG_SL_EUlSZ_E_NS1_11comp_targetILNS1_3genE9ELNS1_11target_archE1100ELNS1_3gpuE3ELNS1_3repE0EEENS1_47radix_sort_onesweep_sort_config_static_selectorELNS0_4arch9wavefront6targetE1EEEvSG_
; %bb.0:
	.section	.rodata,"a",@progbits
	.p2align	6, 0x0
	.amdhsa_kernel _ZN7rocprim17ROCPRIM_400000_NS6detail17trampoline_kernelINS0_14default_configENS1_35radix_sort_onesweep_config_selectorIllEEZZNS1_29radix_sort_onesweep_iterationIS3_Lb0EPlS7_N6thrust23THRUST_200600_302600_NS10device_ptrIlEESB_jNS0_19identity_decomposerENS1_16block_id_wrapperIjLb1EEEEE10hipError_tT1_PNSt15iterator_traitsISG_E10value_typeET2_T3_PNSH_ISM_E10value_typeET4_T5_PSR_SS_PNS1_23onesweep_lookback_stateEbbT6_jjT7_P12ihipStream_tbENKUlT_T0_SG_SL_E_clIS7_S7_SB_SB_EEDaSZ_S10_SG_SL_EUlSZ_E_NS1_11comp_targetILNS1_3genE9ELNS1_11target_archE1100ELNS1_3gpuE3ELNS1_3repE0EEENS1_47radix_sort_onesweep_sort_config_static_selectorELNS0_4arch9wavefront6targetE1EEEvSG_
		.amdhsa_group_segment_fixed_size 0
		.amdhsa_private_segment_fixed_size 0
		.amdhsa_kernarg_size 88
		.amdhsa_user_sgpr_count 6
		.amdhsa_user_sgpr_private_segment_buffer 1
		.amdhsa_user_sgpr_dispatch_ptr 0
		.amdhsa_user_sgpr_queue_ptr 0
		.amdhsa_user_sgpr_kernarg_segment_ptr 1
		.amdhsa_user_sgpr_dispatch_id 0
		.amdhsa_user_sgpr_flat_scratch_init 0
		.amdhsa_user_sgpr_kernarg_preload_length 0
		.amdhsa_user_sgpr_kernarg_preload_offset 0
		.amdhsa_user_sgpr_private_segment_size 0
		.amdhsa_uses_dynamic_stack 0
		.amdhsa_system_sgpr_private_segment_wavefront_offset 0
		.amdhsa_system_sgpr_workgroup_id_x 1
		.amdhsa_system_sgpr_workgroup_id_y 0
		.amdhsa_system_sgpr_workgroup_id_z 0
		.amdhsa_system_sgpr_workgroup_info 0
		.amdhsa_system_vgpr_workitem_id 0
		.amdhsa_next_free_vgpr 1
		.amdhsa_next_free_sgpr 0
		.amdhsa_accum_offset 4
		.amdhsa_reserve_vcc 0
		.amdhsa_reserve_flat_scratch 0
		.amdhsa_float_round_mode_32 0
		.amdhsa_float_round_mode_16_64 0
		.amdhsa_float_denorm_mode_32 3
		.amdhsa_float_denorm_mode_16_64 3
		.amdhsa_dx10_clamp 1
		.amdhsa_ieee_mode 1
		.amdhsa_fp16_overflow 0
		.amdhsa_tg_split 0
		.amdhsa_exception_fp_ieee_invalid_op 0
		.amdhsa_exception_fp_denorm_src 0
		.amdhsa_exception_fp_ieee_div_zero 0
		.amdhsa_exception_fp_ieee_overflow 0
		.amdhsa_exception_fp_ieee_underflow 0
		.amdhsa_exception_fp_ieee_inexact 0
		.amdhsa_exception_int_div_zero 0
	.end_amdhsa_kernel
	.section	.text._ZN7rocprim17ROCPRIM_400000_NS6detail17trampoline_kernelINS0_14default_configENS1_35radix_sort_onesweep_config_selectorIllEEZZNS1_29radix_sort_onesweep_iterationIS3_Lb0EPlS7_N6thrust23THRUST_200600_302600_NS10device_ptrIlEESB_jNS0_19identity_decomposerENS1_16block_id_wrapperIjLb1EEEEE10hipError_tT1_PNSt15iterator_traitsISG_E10value_typeET2_T3_PNSH_ISM_E10value_typeET4_T5_PSR_SS_PNS1_23onesweep_lookback_stateEbbT6_jjT7_P12ihipStream_tbENKUlT_T0_SG_SL_E_clIS7_S7_SB_SB_EEDaSZ_S10_SG_SL_EUlSZ_E_NS1_11comp_targetILNS1_3genE9ELNS1_11target_archE1100ELNS1_3gpuE3ELNS1_3repE0EEENS1_47radix_sort_onesweep_sort_config_static_selectorELNS0_4arch9wavefront6targetE1EEEvSG_,"axG",@progbits,_ZN7rocprim17ROCPRIM_400000_NS6detail17trampoline_kernelINS0_14default_configENS1_35radix_sort_onesweep_config_selectorIllEEZZNS1_29radix_sort_onesweep_iterationIS3_Lb0EPlS7_N6thrust23THRUST_200600_302600_NS10device_ptrIlEESB_jNS0_19identity_decomposerENS1_16block_id_wrapperIjLb1EEEEE10hipError_tT1_PNSt15iterator_traitsISG_E10value_typeET2_T3_PNSH_ISM_E10value_typeET4_T5_PSR_SS_PNS1_23onesweep_lookback_stateEbbT6_jjT7_P12ihipStream_tbENKUlT_T0_SG_SL_E_clIS7_S7_SB_SB_EEDaSZ_S10_SG_SL_EUlSZ_E_NS1_11comp_targetILNS1_3genE9ELNS1_11target_archE1100ELNS1_3gpuE3ELNS1_3repE0EEENS1_47radix_sort_onesweep_sort_config_static_selectorELNS0_4arch9wavefront6targetE1EEEvSG_,comdat
.Lfunc_end1139:
	.size	_ZN7rocprim17ROCPRIM_400000_NS6detail17trampoline_kernelINS0_14default_configENS1_35radix_sort_onesweep_config_selectorIllEEZZNS1_29radix_sort_onesweep_iterationIS3_Lb0EPlS7_N6thrust23THRUST_200600_302600_NS10device_ptrIlEESB_jNS0_19identity_decomposerENS1_16block_id_wrapperIjLb1EEEEE10hipError_tT1_PNSt15iterator_traitsISG_E10value_typeET2_T3_PNSH_ISM_E10value_typeET4_T5_PSR_SS_PNS1_23onesweep_lookback_stateEbbT6_jjT7_P12ihipStream_tbENKUlT_T0_SG_SL_E_clIS7_S7_SB_SB_EEDaSZ_S10_SG_SL_EUlSZ_E_NS1_11comp_targetILNS1_3genE9ELNS1_11target_archE1100ELNS1_3gpuE3ELNS1_3repE0EEENS1_47radix_sort_onesweep_sort_config_static_selectorELNS0_4arch9wavefront6targetE1EEEvSG_, .Lfunc_end1139-_ZN7rocprim17ROCPRIM_400000_NS6detail17trampoline_kernelINS0_14default_configENS1_35radix_sort_onesweep_config_selectorIllEEZZNS1_29radix_sort_onesweep_iterationIS3_Lb0EPlS7_N6thrust23THRUST_200600_302600_NS10device_ptrIlEESB_jNS0_19identity_decomposerENS1_16block_id_wrapperIjLb1EEEEE10hipError_tT1_PNSt15iterator_traitsISG_E10value_typeET2_T3_PNSH_ISM_E10value_typeET4_T5_PSR_SS_PNS1_23onesweep_lookback_stateEbbT6_jjT7_P12ihipStream_tbENKUlT_T0_SG_SL_E_clIS7_S7_SB_SB_EEDaSZ_S10_SG_SL_EUlSZ_E_NS1_11comp_targetILNS1_3genE9ELNS1_11target_archE1100ELNS1_3gpuE3ELNS1_3repE0EEENS1_47radix_sort_onesweep_sort_config_static_selectorELNS0_4arch9wavefront6targetE1EEEvSG_
                                        ; -- End function
	.section	.AMDGPU.csdata,"",@progbits
; Kernel info:
; codeLenInByte = 0
; NumSgprs: 4
; NumVgprs: 0
; NumAgprs: 0
; TotalNumVgprs: 0
; ScratchSize: 0
; MemoryBound: 0
; FloatMode: 240
; IeeeMode: 1
; LDSByteSize: 0 bytes/workgroup (compile time only)
; SGPRBlocks: 0
; VGPRBlocks: 0
; NumSGPRsForWavesPerEU: 4
; NumVGPRsForWavesPerEU: 1
; AccumOffset: 4
; Occupancy: 8
; WaveLimiterHint : 0
; COMPUTE_PGM_RSRC2:SCRATCH_EN: 0
; COMPUTE_PGM_RSRC2:USER_SGPR: 6
; COMPUTE_PGM_RSRC2:TRAP_HANDLER: 0
; COMPUTE_PGM_RSRC2:TGID_X_EN: 1
; COMPUTE_PGM_RSRC2:TGID_Y_EN: 0
; COMPUTE_PGM_RSRC2:TGID_Z_EN: 0
; COMPUTE_PGM_RSRC2:TIDIG_COMP_CNT: 0
; COMPUTE_PGM_RSRC3_GFX90A:ACCUM_OFFSET: 0
; COMPUTE_PGM_RSRC3_GFX90A:TG_SPLIT: 0
	.section	.text._ZN7rocprim17ROCPRIM_400000_NS6detail17trampoline_kernelINS0_14default_configENS1_35radix_sort_onesweep_config_selectorIllEEZZNS1_29radix_sort_onesweep_iterationIS3_Lb0EPlS7_N6thrust23THRUST_200600_302600_NS10device_ptrIlEESB_jNS0_19identity_decomposerENS1_16block_id_wrapperIjLb1EEEEE10hipError_tT1_PNSt15iterator_traitsISG_E10value_typeET2_T3_PNSH_ISM_E10value_typeET4_T5_PSR_SS_PNS1_23onesweep_lookback_stateEbbT6_jjT7_P12ihipStream_tbENKUlT_T0_SG_SL_E_clIS7_S7_SB_SB_EEDaSZ_S10_SG_SL_EUlSZ_E_NS1_11comp_targetILNS1_3genE8ELNS1_11target_archE1030ELNS1_3gpuE2ELNS1_3repE0EEENS1_47radix_sort_onesweep_sort_config_static_selectorELNS0_4arch9wavefront6targetE1EEEvSG_,"axG",@progbits,_ZN7rocprim17ROCPRIM_400000_NS6detail17trampoline_kernelINS0_14default_configENS1_35radix_sort_onesweep_config_selectorIllEEZZNS1_29radix_sort_onesweep_iterationIS3_Lb0EPlS7_N6thrust23THRUST_200600_302600_NS10device_ptrIlEESB_jNS0_19identity_decomposerENS1_16block_id_wrapperIjLb1EEEEE10hipError_tT1_PNSt15iterator_traitsISG_E10value_typeET2_T3_PNSH_ISM_E10value_typeET4_T5_PSR_SS_PNS1_23onesweep_lookback_stateEbbT6_jjT7_P12ihipStream_tbENKUlT_T0_SG_SL_E_clIS7_S7_SB_SB_EEDaSZ_S10_SG_SL_EUlSZ_E_NS1_11comp_targetILNS1_3genE8ELNS1_11target_archE1030ELNS1_3gpuE2ELNS1_3repE0EEENS1_47radix_sort_onesweep_sort_config_static_selectorELNS0_4arch9wavefront6targetE1EEEvSG_,comdat
	.protected	_ZN7rocprim17ROCPRIM_400000_NS6detail17trampoline_kernelINS0_14default_configENS1_35radix_sort_onesweep_config_selectorIllEEZZNS1_29radix_sort_onesweep_iterationIS3_Lb0EPlS7_N6thrust23THRUST_200600_302600_NS10device_ptrIlEESB_jNS0_19identity_decomposerENS1_16block_id_wrapperIjLb1EEEEE10hipError_tT1_PNSt15iterator_traitsISG_E10value_typeET2_T3_PNSH_ISM_E10value_typeET4_T5_PSR_SS_PNS1_23onesweep_lookback_stateEbbT6_jjT7_P12ihipStream_tbENKUlT_T0_SG_SL_E_clIS7_S7_SB_SB_EEDaSZ_S10_SG_SL_EUlSZ_E_NS1_11comp_targetILNS1_3genE8ELNS1_11target_archE1030ELNS1_3gpuE2ELNS1_3repE0EEENS1_47radix_sort_onesweep_sort_config_static_selectorELNS0_4arch9wavefront6targetE1EEEvSG_ ; -- Begin function _ZN7rocprim17ROCPRIM_400000_NS6detail17trampoline_kernelINS0_14default_configENS1_35radix_sort_onesweep_config_selectorIllEEZZNS1_29radix_sort_onesweep_iterationIS3_Lb0EPlS7_N6thrust23THRUST_200600_302600_NS10device_ptrIlEESB_jNS0_19identity_decomposerENS1_16block_id_wrapperIjLb1EEEEE10hipError_tT1_PNSt15iterator_traitsISG_E10value_typeET2_T3_PNSH_ISM_E10value_typeET4_T5_PSR_SS_PNS1_23onesweep_lookback_stateEbbT6_jjT7_P12ihipStream_tbENKUlT_T0_SG_SL_E_clIS7_S7_SB_SB_EEDaSZ_S10_SG_SL_EUlSZ_E_NS1_11comp_targetILNS1_3genE8ELNS1_11target_archE1030ELNS1_3gpuE2ELNS1_3repE0EEENS1_47radix_sort_onesweep_sort_config_static_selectorELNS0_4arch9wavefront6targetE1EEEvSG_
	.globl	_ZN7rocprim17ROCPRIM_400000_NS6detail17trampoline_kernelINS0_14default_configENS1_35radix_sort_onesweep_config_selectorIllEEZZNS1_29radix_sort_onesweep_iterationIS3_Lb0EPlS7_N6thrust23THRUST_200600_302600_NS10device_ptrIlEESB_jNS0_19identity_decomposerENS1_16block_id_wrapperIjLb1EEEEE10hipError_tT1_PNSt15iterator_traitsISG_E10value_typeET2_T3_PNSH_ISM_E10value_typeET4_T5_PSR_SS_PNS1_23onesweep_lookback_stateEbbT6_jjT7_P12ihipStream_tbENKUlT_T0_SG_SL_E_clIS7_S7_SB_SB_EEDaSZ_S10_SG_SL_EUlSZ_E_NS1_11comp_targetILNS1_3genE8ELNS1_11target_archE1030ELNS1_3gpuE2ELNS1_3repE0EEENS1_47radix_sort_onesweep_sort_config_static_selectorELNS0_4arch9wavefront6targetE1EEEvSG_
	.p2align	8
	.type	_ZN7rocprim17ROCPRIM_400000_NS6detail17trampoline_kernelINS0_14default_configENS1_35radix_sort_onesweep_config_selectorIllEEZZNS1_29radix_sort_onesweep_iterationIS3_Lb0EPlS7_N6thrust23THRUST_200600_302600_NS10device_ptrIlEESB_jNS0_19identity_decomposerENS1_16block_id_wrapperIjLb1EEEEE10hipError_tT1_PNSt15iterator_traitsISG_E10value_typeET2_T3_PNSH_ISM_E10value_typeET4_T5_PSR_SS_PNS1_23onesweep_lookback_stateEbbT6_jjT7_P12ihipStream_tbENKUlT_T0_SG_SL_E_clIS7_S7_SB_SB_EEDaSZ_S10_SG_SL_EUlSZ_E_NS1_11comp_targetILNS1_3genE8ELNS1_11target_archE1030ELNS1_3gpuE2ELNS1_3repE0EEENS1_47radix_sort_onesweep_sort_config_static_selectorELNS0_4arch9wavefront6targetE1EEEvSG_,@function
_ZN7rocprim17ROCPRIM_400000_NS6detail17trampoline_kernelINS0_14default_configENS1_35radix_sort_onesweep_config_selectorIllEEZZNS1_29radix_sort_onesweep_iterationIS3_Lb0EPlS7_N6thrust23THRUST_200600_302600_NS10device_ptrIlEESB_jNS0_19identity_decomposerENS1_16block_id_wrapperIjLb1EEEEE10hipError_tT1_PNSt15iterator_traitsISG_E10value_typeET2_T3_PNSH_ISM_E10value_typeET4_T5_PSR_SS_PNS1_23onesweep_lookback_stateEbbT6_jjT7_P12ihipStream_tbENKUlT_T0_SG_SL_E_clIS7_S7_SB_SB_EEDaSZ_S10_SG_SL_EUlSZ_E_NS1_11comp_targetILNS1_3genE8ELNS1_11target_archE1030ELNS1_3gpuE2ELNS1_3repE0EEENS1_47radix_sort_onesweep_sort_config_static_selectorELNS0_4arch9wavefront6targetE1EEEvSG_: ; @_ZN7rocprim17ROCPRIM_400000_NS6detail17trampoline_kernelINS0_14default_configENS1_35radix_sort_onesweep_config_selectorIllEEZZNS1_29radix_sort_onesweep_iterationIS3_Lb0EPlS7_N6thrust23THRUST_200600_302600_NS10device_ptrIlEESB_jNS0_19identity_decomposerENS1_16block_id_wrapperIjLb1EEEEE10hipError_tT1_PNSt15iterator_traitsISG_E10value_typeET2_T3_PNSH_ISM_E10value_typeET4_T5_PSR_SS_PNS1_23onesweep_lookback_stateEbbT6_jjT7_P12ihipStream_tbENKUlT_T0_SG_SL_E_clIS7_S7_SB_SB_EEDaSZ_S10_SG_SL_EUlSZ_E_NS1_11comp_targetILNS1_3genE8ELNS1_11target_archE1030ELNS1_3gpuE2ELNS1_3repE0EEENS1_47radix_sort_onesweep_sort_config_static_selectorELNS0_4arch9wavefront6targetE1EEEvSG_
; %bb.0:
	.section	.rodata,"a",@progbits
	.p2align	6, 0x0
	.amdhsa_kernel _ZN7rocprim17ROCPRIM_400000_NS6detail17trampoline_kernelINS0_14default_configENS1_35radix_sort_onesweep_config_selectorIllEEZZNS1_29radix_sort_onesweep_iterationIS3_Lb0EPlS7_N6thrust23THRUST_200600_302600_NS10device_ptrIlEESB_jNS0_19identity_decomposerENS1_16block_id_wrapperIjLb1EEEEE10hipError_tT1_PNSt15iterator_traitsISG_E10value_typeET2_T3_PNSH_ISM_E10value_typeET4_T5_PSR_SS_PNS1_23onesweep_lookback_stateEbbT6_jjT7_P12ihipStream_tbENKUlT_T0_SG_SL_E_clIS7_S7_SB_SB_EEDaSZ_S10_SG_SL_EUlSZ_E_NS1_11comp_targetILNS1_3genE8ELNS1_11target_archE1030ELNS1_3gpuE2ELNS1_3repE0EEENS1_47radix_sort_onesweep_sort_config_static_selectorELNS0_4arch9wavefront6targetE1EEEvSG_
		.amdhsa_group_segment_fixed_size 0
		.amdhsa_private_segment_fixed_size 0
		.amdhsa_kernarg_size 88
		.amdhsa_user_sgpr_count 6
		.amdhsa_user_sgpr_private_segment_buffer 1
		.amdhsa_user_sgpr_dispatch_ptr 0
		.amdhsa_user_sgpr_queue_ptr 0
		.amdhsa_user_sgpr_kernarg_segment_ptr 1
		.amdhsa_user_sgpr_dispatch_id 0
		.amdhsa_user_sgpr_flat_scratch_init 0
		.amdhsa_user_sgpr_kernarg_preload_length 0
		.amdhsa_user_sgpr_kernarg_preload_offset 0
		.amdhsa_user_sgpr_private_segment_size 0
		.amdhsa_uses_dynamic_stack 0
		.amdhsa_system_sgpr_private_segment_wavefront_offset 0
		.amdhsa_system_sgpr_workgroup_id_x 1
		.amdhsa_system_sgpr_workgroup_id_y 0
		.amdhsa_system_sgpr_workgroup_id_z 0
		.amdhsa_system_sgpr_workgroup_info 0
		.amdhsa_system_vgpr_workitem_id 0
		.amdhsa_next_free_vgpr 1
		.amdhsa_next_free_sgpr 0
		.amdhsa_accum_offset 4
		.amdhsa_reserve_vcc 0
		.amdhsa_reserve_flat_scratch 0
		.amdhsa_float_round_mode_32 0
		.amdhsa_float_round_mode_16_64 0
		.amdhsa_float_denorm_mode_32 3
		.amdhsa_float_denorm_mode_16_64 3
		.amdhsa_dx10_clamp 1
		.amdhsa_ieee_mode 1
		.amdhsa_fp16_overflow 0
		.amdhsa_tg_split 0
		.amdhsa_exception_fp_ieee_invalid_op 0
		.amdhsa_exception_fp_denorm_src 0
		.amdhsa_exception_fp_ieee_div_zero 0
		.amdhsa_exception_fp_ieee_overflow 0
		.amdhsa_exception_fp_ieee_underflow 0
		.amdhsa_exception_fp_ieee_inexact 0
		.amdhsa_exception_int_div_zero 0
	.end_amdhsa_kernel
	.section	.text._ZN7rocprim17ROCPRIM_400000_NS6detail17trampoline_kernelINS0_14default_configENS1_35radix_sort_onesweep_config_selectorIllEEZZNS1_29radix_sort_onesweep_iterationIS3_Lb0EPlS7_N6thrust23THRUST_200600_302600_NS10device_ptrIlEESB_jNS0_19identity_decomposerENS1_16block_id_wrapperIjLb1EEEEE10hipError_tT1_PNSt15iterator_traitsISG_E10value_typeET2_T3_PNSH_ISM_E10value_typeET4_T5_PSR_SS_PNS1_23onesweep_lookback_stateEbbT6_jjT7_P12ihipStream_tbENKUlT_T0_SG_SL_E_clIS7_S7_SB_SB_EEDaSZ_S10_SG_SL_EUlSZ_E_NS1_11comp_targetILNS1_3genE8ELNS1_11target_archE1030ELNS1_3gpuE2ELNS1_3repE0EEENS1_47radix_sort_onesweep_sort_config_static_selectorELNS0_4arch9wavefront6targetE1EEEvSG_,"axG",@progbits,_ZN7rocprim17ROCPRIM_400000_NS6detail17trampoline_kernelINS0_14default_configENS1_35radix_sort_onesweep_config_selectorIllEEZZNS1_29radix_sort_onesweep_iterationIS3_Lb0EPlS7_N6thrust23THRUST_200600_302600_NS10device_ptrIlEESB_jNS0_19identity_decomposerENS1_16block_id_wrapperIjLb1EEEEE10hipError_tT1_PNSt15iterator_traitsISG_E10value_typeET2_T3_PNSH_ISM_E10value_typeET4_T5_PSR_SS_PNS1_23onesweep_lookback_stateEbbT6_jjT7_P12ihipStream_tbENKUlT_T0_SG_SL_E_clIS7_S7_SB_SB_EEDaSZ_S10_SG_SL_EUlSZ_E_NS1_11comp_targetILNS1_3genE8ELNS1_11target_archE1030ELNS1_3gpuE2ELNS1_3repE0EEENS1_47radix_sort_onesweep_sort_config_static_selectorELNS0_4arch9wavefront6targetE1EEEvSG_,comdat
.Lfunc_end1140:
	.size	_ZN7rocprim17ROCPRIM_400000_NS6detail17trampoline_kernelINS0_14default_configENS1_35radix_sort_onesweep_config_selectorIllEEZZNS1_29radix_sort_onesweep_iterationIS3_Lb0EPlS7_N6thrust23THRUST_200600_302600_NS10device_ptrIlEESB_jNS0_19identity_decomposerENS1_16block_id_wrapperIjLb1EEEEE10hipError_tT1_PNSt15iterator_traitsISG_E10value_typeET2_T3_PNSH_ISM_E10value_typeET4_T5_PSR_SS_PNS1_23onesweep_lookback_stateEbbT6_jjT7_P12ihipStream_tbENKUlT_T0_SG_SL_E_clIS7_S7_SB_SB_EEDaSZ_S10_SG_SL_EUlSZ_E_NS1_11comp_targetILNS1_3genE8ELNS1_11target_archE1030ELNS1_3gpuE2ELNS1_3repE0EEENS1_47radix_sort_onesweep_sort_config_static_selectorELNS0_4arch9wavefront6targetE1EEEvSG_, .Lfunc_end1140-_ZN7rocprim17ROCPRIM_400000_NS6detail17trampoline_kernelINS0_14default_configENS1_35radix_sort_onesweep_config_selectorIllEEZZNS1_29radix_sort_onesweep_iterationIS3_Lb0EPlS7_N6thrust23THRUST_200600_302600_NS10device_ptrIlEESB_jNS0_19identity_decomposerENS1_16block_id_wrapperIjLb1EEEEE10hipError_tT1_PNSt15iterator_traitsISG_E10value_typeET2_T3_PNSH_ISM_E10value_typeET4_T5_PSR_SS_PNS1_23onesweep_lookback_stateEbbT6_jjT7_P12ihipStream_tbENKUlT_T0_SG_SL_E_clIS7_S7_SB_SB_EEDaSZ_S10_SG_SL_EUlSZ_E_NS1_11comp_targetILNS1_3genE8ELNS1_11target_archE1030ELNS1_3gpuE2ELNS1_3repE0EEENS1_47radix_sort_onesweep_sort_config_static_selectorELNS0_4arch9wavefront6targetE1EEEvSG_
                                        ; -- End function
	.section	.AMDGPU.csdata,"",@progbits
; Kernel info:
; codeLenInByte = 0
; NumSgprs: 4
; NumVgprs: 0
; NumAgprs: 0
; TotalNumVgprs: 0
; ScratchSize: 0
; MemoryBound: 0
; FloatMode: 240
; IeeeMode: 1
; LDSByteSize: 0 bytes/workgroup (compile time only)
; SGPRBlocks: 0
; VGPRBlocks: 0
; NumSGPRsForWavesPerEU: 4
; NumVGPRsForWavesPerEU: 1
; AccumOffset: 4
; Occupancy: 8
; WaveLimiterHint : 0
; COMPUTE_PGM_RSRC2:SCRATCH_EN: 0
; COMPUTE_PGM_RSRC2:USER_SGPR: 6
; COMPUTE_PGM_RSRC2:TRAP_HANDLER: 0
; COMPUTE_PGM_RSRC2:TGID_X_EN: 1
; COMPUTE_PGM_RSRC2:TGID_Y_EN: 0
; COMPUTE_PGM_RSRC2:TGID_Z_EN: 0
; COMPUTE_PGM_RSRC2:TIDIG_COMP_CNT: 0
; COMPUTE_PGM_RSRC3_GFX90A:ACCUM_OFFSET: 0
; COMPUTE_PGM_RSRC3_GFX90A:TG_SPLIT: 0
	.section	.text._ZN7rocprim17ROCPRIM_400000_NS6detail17trampoline_kernelINS0_14default_configENS1_35radix_sort_onesweep_config_selectorIllEEZZNS1_29radix_sort_onesweep_iterationIS3_Lb0EPlS7_N6thrust23THRUST_200600_302600_NS10device_ptrIlEESB_jNS0_19identity_decomposerENS1_16block_id_wrapperIjLb1EEEEE10hipError_tT1_PNSt15iterator_traitsISG_E10value_typeET2_T3_PNSH_ISM_E10value_typeET4_T5_PSR_SS_PNS1_23onesweep_lookback_stateEbbT6_jjT7_P12ihipStream_tbENKUlT_T0_SG_SL_E_clIS7_S7_SB_S7_EEDaSZ_S10_SG_SL_EUlSZ_E_NS1_11comp_targetILNS1_3genE0ELNS1_11target_archE4294967295ELNS1_3gpuE0ELNS1_3repE0EEENS1_47radix_sort_onesweep_sort_config_static_selectorELNS0_4arch9wavefront6targetE1EEEvSG_,"axG",@progbits,_ZN7rocprim17ROCPRIM_400000_NS6detail17trampoline_kernelINS0_14default_configENS1_35radix_sort_onesweep_config_selectorIllEEZZNS1_29radix_sort_onesweep_iterationIS3_Lb0EPlS7_N6thrust23THRUST_200600_302600_NS10device_ptrIlEESB_jNS0_19identity_decomposerENS1_16block_id_wrapperIjLb1EEEEE10hipError_tT1_PNSt15iterator_traitsISG_E10value_typeET2_T3_PNSH_ISM_E10value_typeET4_T5_PSR_SS_PNS1_23onesweep_lookback_stateEbbT6_jjT7_P12ihipStream_tbENKUlT_T0_SG_SL_E_clIS7_S7_SB_S7_EEDaSZ_S10_SG_SL_EUlSZ_E_NS1_11comp_targetILNS1_3genE0ELNS1_11target_archE4294967295ELNS1_3gpuE0ELNS1_3repE0EEENS1_47radix_sort_onesweep_sort_config_static_selectorELNS0_4arch9wavefront6targetE1EEEvSG_,comdat
	.protected	_ZN7rocprim17ROCPRIM_400000_NS6detail17trampoline_kernelINS0_14default_configENS1_35radix_sort_onesweep_config_selectorIllEEZZNS1_29radix_sort_onesweep_iterationIS3_Lb0EPlS7_N6thrust23THRUST_200600_302600_NS10device_ptrIlEESB_jNS0_19identity_decomposerENS1_16block_id_wrapperIjLb1EEEEE10hipError_tT1_PNSt15iterator_traitsISG_E10value_typeET2_T3_PNSH_ISM_E10value_typeET4_T5_PSR_SS_PNS1_23onesweep_lookback_stateEbbT6_jjT7_P12ihipStream_tbENKUlT_T0_SG_SL_E_clIS7_S7_SB_S7_EEDaSZ_S10_SG_SL_EUlSZ_E_NS1_11comp_targetILNS1_3genE0ELNS1_11target_archE4294967295ELNS1_3gpuE0ELNS1_3repE0EEENS1_47radix_sort_onesweep_sort_config_static_selectorELNS0_4arch9wavefront6targetE1EEEvSG_ ; -- Begin function _ZN7rocprim17ROCPRIM_400000_NS6detail17trampoline_kernelINS0_14default_configENS1_35radix_sort_onesweep_config_selectorIllEEZZNS1_29radix_sort_onesweep_iterationIS3_Lb0EPlS7_N6thrust23THRUST_200600_302600_NS10device_ptrIlEESB_jNS0_19identity_decomposerENS1_16block_id_wrapperIjLb1EEEEE10hipError_tT1_PNSt15iterator_traitsISG_E10value_typeET2_T3_PNSH_ISM_E10value_typeET4_T5_PSR_SS_PNS1_23onesweep_lookback_stateEbbT6_jjT7_P12ihipStream_tbENKUlT_T0_SG_SL_E_clIS7_S7_SB_S7_EEDaSZ_S10_SG_SL_EUlSZ_E_NS1_11comp_targetILNS1_3genE0ELNS1_11target_archE4294967295ELNS1_3gpuE0ELNS1_3repE0EEENS1_47radix_sort_onesweep_sort_config_static_selectorELNS0_4arch9wavefront6targetE1EEEvSG_
	.globl	_ZN7rocprim17ROCPRIM_400000_NS6detail17trampoline_kernelINS0_14default_configENS1_35radix_sort_onesweep_config_selectorIllEEZZNS1_29radix_sort_onesweep_iterationIS3_Lb0EPlS7_N6thrust23THRUST_200600_302600_NS10device_ptrIlEESB_jNS0_19identity_decomposerENS1_16block_id_wrapperIjLb1EEEEE10hipError_tT1_PNSt15iterator_traitsISG_E10value_typeET2_T3_PNSH_ISM_E10value_typeET4_T5_PSR_SS_PNS1_23onesweep_lookback_stateEbbT6_jjT7_P12ihipStream_tbENKUlT_T0_SG_SL_E_clIS7_S7_SB_S7_EEDaSZ_S10_SG_SL_EUlSZ_E_NS1_11comp_targetILNS1_3genE0ELNS1_11target_archE4294967295ELNS1_3gpuE0ELNS1_3repE0EEENS1_47radix_sort_onesweep_sort_config_static_selectorELNS0_4arch9wavefront6targetE1EEEvSG_
	.p2align	8
	.type	_ZN7rocprim17ROCPRIM_400000_NS6detail17trampoline_kernelINS0_14default_configENS1_35radix_sort_onesweep_config_selectorIllEEZZNS1_29radix_sort_onesweep_iterationIS3_Lb0EPlS7_N6thrust23THRUST_200600_302600_NS10device_ptrIlEESB_jNS0_19identity_decomposerENS1_16block_id_wrapperIjLb1EEEEE10hipError_tT1_PNSt15iterator_traitsISG_E10value_typeET2_T3_PNSH_ISM_E10value_typeET4_T5_PSR_SS_PNS1_23onesweep_lookback_stateEbbT6_jjT7_P12ihipStream_tbENKUlT_T0_SG_SL_E_clIS7_S7_SB_S7_EEDaSZ_S10_SG_SL_EUlSZ_E_NS1_11comp_targetILNS1_3genE0ELNS1_11target_archE4294967295ELNS1_3gpuE0ELNS1_3repE0EEENS1_47radix_sort_onesweep_sort_config_static_selectorELNS0_4arch9wavefront6targetE1EEEvSG_,@function
_ZN7rocprim17ROCPRIM_400000_NS6detail17trampoline_kernelINS0_14default_configENS1_35radix_sort_onesweep_config_selectorIllEEZZNS1_29radix_sort_onesweep_iterationIS3_Lb0EPlS7_N6thrust23THRUST_200600_302600_NS10device_ptrIlEESB_jNS0_19identity_decomposerENS1_16block_id_wrapperIjLb1EEEEE10hipError_tT1_PNSt15iterator_traitsISG_E10value_typeET2_T3_PNSH_ISM_E10value_typeET4_T5_PSR_SS_PNS1_23onesweep_lookback_stateEbbT6_jjT7_P12ihipStream_tbENKUlT_T0_SG_SL_E_clIS7_S7_SB_S7_EEDaSZ_S10_SG_SL_EUlSZ_E_NS1_11comp_targetILNS1_3genE0ELNS1_11target_archE4294967295ELNS1_3gpuE0ELNS1_3repE0EEENS1_47radix_sort_onesweep_sort_config_static_selectorELNS0_4arch9wavefront6targetE1EEEvSG_: ; @_ZN7rocprim17ROCPRIM_400000_NS6detail17trampoline_kernelINS0_14default_configENS1_35radix_sort_onesweep_config_selectorIllEEZZNS1_29radix_sort_onesweep_iterationIS3_Lb0EPlS7_N6thrust23THRUST_200600_302600_NS10device_ptrIlEESB_jNS0_19identity_decomposerENS1_16block_id_wrapperIjLb1EEEEE10hipError_tT1_PNSt15iterator_traitsISG_E10value_typeET2_T3_PNSH_ISM_E10value_typeET4_T5_PSR_SS_PNS1_23onesweep_lookback_stateEbbT6_jjT7_P12ihipStream_tbENKUlT_T0_SG_SL_E_clIS7_S7_SB_S7_EEDaSZ_S10_SG_SL_EUlSZ_E_NS1_11comp_targetILNS1_3genE0ELNS1_11target_archE4294967295ELNS1_3gpuE0ELNS1_3repE0EEENS1_47radix_sort_onesweep_sort_config_static_selectorELNS0_4arch9wavefront6targetE1EEEvSG_
; %bb.0:
	.section	.rodata,"a",@progbits
	.p2align	6, 0x0
	.amdhsa_kernel _ZN7rocprim17ROCPRIM_400000_NS6detail17trampoline_kernelINS0_14default_configENS1_35radix_sort_onesweep_config_selectorIllEEZZNS1_29radix_sort_onesweep_iterationIS3_Lb0EPlS7_N6thrust23THRUST_200600_302600_NS10device_ptrIlEESB_jNS0_19identity_decomposerENS1_16block_id_wrapperIjLb1EEEEE10hipError_tT1_PNSt15iterator_traitsISG_E10value_typeET2_T3_PNSH_ISM_E10value_typeET4_T5_PSR_SS_PNS1_23onesweep_lookback_stateEbbT6_jjT7_P12ihipStream_tbENKUlT_T0_SG_SL_E_clIS7_S7_SB_S7_EEDaSZ_S10_SG_SL_EUlSZ_E_NS1_11comp_targetILNS1_3genE0ELNS1_11target_archE4294967295ELNS1_3gpuE0ELNS1_3repE0EEENS1_47radix_sort_onesweep_sort_config_static_selectorELNS0_4arch9wavefront6targetE1EEEvSG_
		.amdhsa_group_segment_fixed_size 0
		.amdhsa_private_segment_fixed_size 0
		.amdhsa_kernarg_size 88
		.amdhsa_user_sgpr_count 6
		.amdhsa_user_sgpr_private_segment_buffer 1
		.amdhsa_user_sgpr_dispatch_ptr 0
		.amdhsa_user_sgpr_queue_ptr 0
		.amdhsa_user_sgpr_kernarg_segment_ptr 1
		.amdhsa_user_sgpr_dispatch_id 0
		.amdhsa_user_sgpr_flat_scratch_init 0
		.amdhsa_user_sgpr_kernarg_preload_length 0
		.amdhsa_user_sgpr_kernarg_preload_offset 0
		.amdhsa_user_sgpr_private_segment_size 0
		.amdhsa_uses_dynamic_stack 0
		.amdhsa_system_sgpr_private_segment_wavefront_offset 0
		.amdhsa_system_sgpr_workgroup_id_x 1
		.amdhsa_system_sgpr_workgroup_id_y 0
		.amdhsa_system_sgpr_workgroup_id_z 0
		.amdhsa_system_sgpr_workgroup_info 0
		.amdhsa_system_vgpr_workitem_id 0
		.amdhsa_next_free_vgpr 1
		.amdhsa_next_free_sgpr 0
		.amdhsa_accum_offset 4
		.amdhsa_reserve_vcc 0
		.amdhsa_reserve_flat_scratch 0
		.amdhsa_float_round_mode_32 0
		.amdhsa_float_round_mode_16_64 0
		.amdhsa_float_denorm_mode_32 3
		.amdhsa_float_denorm_mode_16_64 3
		.amdhsa_dx10_clamp 1
		.amdhsa_ieee_mode 1
		.amdhsa_fp16_overflow 0
		.amdhsa_tg_split 0
		.amdhsa_exception_fp_ieee_invalid_op 0
		.amdhsa_exception_fp_denorm_src 0
		.amdhsa_exception_fp_ieee_div_zero 0
		.amdhsa_exception_fp_ieee_overflow 0
		.amdhsa_exception_fp_ieee_underflow 0
		.amdhsa_exception_fp_ieee_inexact 0
		.amdhsa_exception_int_div_zero 0
	.end_amdhsa_kernel
	.section	.text._ZN7rocprim17ROCPRIM_400000_NS6detail17trampoline_kernelINS0_14default_configENS1_35radix_sort_onesweep_config_selectorIllEEZZNS1_29radix_sort_onesweep_iterationIS3_Lb0EPlS7_N6thrust23THRUST_200600_302600_NS10device_ptrIlEESB_jNS0_19identity_decomposerENS1_16block_id_wrapperIjLb1EEEEE10hipError_tT1_PNSt15iterator_traitsISG_E10value_typeET2_T3_PNSH_ISM_E10value_typeET4_T5_PSR_SS_PNS1_23onesweep_lookback_stateEbbT6_jjT7_P12ihipStream_tbENKUlT_T0_SG_SL_E_clIS7_S7_SB_S7_EEDaSZ_S10_SG_SL_EUlSZ_E_NS1_11comp_targetILNS1_3genE0ELNS1_11target_archE4294967295ELNS1_3gpuE0ELNS1_3repE0EEENS1_47radix_sort_onesweep_sort_config_static_selectorELNS0_4arch9wavefront6targetE1EEEvSG_,"axG",@progbits,_ZN7rocprim17ROCPRIM_400000_NS6detail17trampoline_kernelINS0_14default_configENS1_35radix_sort_onesweep_config_selectorIllEEZZNS1_29radix_sort_onesweep_iterationIS3_Lb0EPlS7_N6thrust23THRUST_200600_302600_NS10device_ptrIlEESB_jNS0_19identity_decomposerENS1_16block_id_wrapperIjLb1EEEEE10hipError_tT1_PNSt15iterator_traitsISG_E10value_typeET2_T3_PNSH_ISM_E10value_typeET4_T5_PSR_SS_PNS1_23onesweep_lookback_stateEbbT6_jjT7_P12ihipStream_tbENKUlT_T0_SG_SL_E_clIS7_S7_SB_S7_EEDaSZ_S10_SG_SL_EUlSZ_E_NS1_11comp_targetILNS1_3genE0ELNS1_11target_archE4294967295ELNS1_3gpuE0ELNS1_3repE0EEENS1_47radix_sort_onesweep_sort_config_static_selectorELNS0_4arch9wavefront6targetE1EEEvSG_,comdat
.Lfunc_end1141:
	.size	_ZN7rocprim17ROCPRIM_400000_NS6detail17trampoline_kernelINS0_14default_configENS1_35radix_sort_onesweep_config_selectorIllEEZZNS1_29radix_sort_onesweep_iterationIS3_Lb0EPlS7_N6thrust23THRUST_200600_302600_NS10device_ptrIlEESB_jNS0_19identity_decomposerENS1_16block_id_wrapperIjLb1EEEEE10hipError_tT1_PNSt15iterator_traitsISG_E10value_typeET2_T3_PNSH_ISM_E10value_typeET4_T5_PSR_SS_PNS1_23onesweep_lookback_stateEbbT6_jjT7_P12ihipStream_tbENKUlT_T0_SG_SL_E_clIS7_S7_SB_S7_EEDaSZ_S10_SG_SL_EUlSZ_E_NS1_11comp_targetILNS1_3genE0ELNS1_11target_archE4294967295ELNS1_3gpuE0ELNS1_3repE0EEENS1_47radix_sort_onesweep_sort_config_static_selectorELNS0_4arch9wavefront6targetE1EEEvSG_, .Lfunc_end1141-_ZN7rocprim17ROCPRIM_400000_NS6detail17trampoline_kernelINS0_14default_configENS1_35radix_sort_onesweep_config_selectorIllEEZZNS1_29radix_sort_onesweep_iterationIS3_Lb0EPlS7_N6thrust23THRUST_200600_302600_NS10device_ptrIlEESB_jNS0_19identity_decomposerENS1_16block_id_wrapperIjLb1EEEEE10hipError_tT1_PNSt15iterator_traitsISG_E10value_typeET2_T3_PNSH_ISM_E10value_typeET4_T5_PSR_SS_PNS1_23onesweep_lookback_stateEbbT6_jjT7_P12ihipStream_tbENKUlT_T0_SG_SL_E_clIS7_S7_SB_S7_EEDaSZ_S10_SG_SL_EUlSZ_E_NS1_11comp_targetILNS1_3genE0ELNS1_11target_archE4294967295ELNS1_3gpuE0ELNS1_3repE0EEENS1_47radix_sort_onesweep_sort_config_static_selectorELNS0_4arch9wavefront6targetE1EEEvSG_
                                        ; -- End function
	.section	.AMDGPU.csdata,"",@progbits
; Kernel info:
; codeLenInByte = 0
; NumSgprs: 4
; NumVgprs: 0
; NumAgprs: 0
; TotalNumVgprs: 0
; ScratchSize: 0
; MemoryBound: 0
; FloatMode: 240
; IeeeMode: 1
; LDSByteSize: 0 bytes/workgroup (compile time only)
; SGPRBlocks: 0
; VGPRBlocks: 0
; NumSGPRsForWavesPerEU: 4
; NumVGPRsForWavesPerEU: 1
; AccumOffset: 4
; Occupancy: 8
; WaveLimiterHint : 0
; COMPUTE_PGM_RSRC2:SCRATCH_EN: 0
; COMPUTE_PGM_RSRC2:USER_SGPR: 6
; COMPUTE_PGM_RSRC2:TRAP_HANDLER: 0
; COMPUTE_PGM_RSRC2:TGID_X_EN: 1
; COMPUTE_PGM_RSRC2:TGID_Y_EN: 0
; COMPUTE_PGM_RSRC2:TGID_Z_EN: 0
; COMPUTE_PGM_RSRC2:TIDIG_COMP_CNT: 0
; COMPUTE_PGM_RSRC3_GFX90A:ACCUM_OFFSET: 0
; COMPUTE_PGM_RSRC3_GFX90A:TG_SPLIT: 0
	.section	.text._ZN7rocprim17ROCPRIM_400000_NS6detail17trampoline_kernelINS0_14default_configENS1_35radix_sort_onesweep_config_selectorIllEEZZNS1_29radix_sort_onesweep_iterationIS3_Lb0EPlS7_N6thrust23THRUST_200600_302600_NS10device_ptrIlEESB_jNS0_19identity_decomposerENS1_16block_id_wrapperIjLb1EEEEE10hipError_tT1_PNSt15iterator_traitsISG_E10value_typeET2_T3_PNSH_ISM_E10value_typeET4_T5_PSR_SS_PNS1_23onesweep_lookback_stateEbbT6_jjT7_P12ihipStream_tbENKUlT_T0_SG_SL_E_clIS7_S7_SB_S7_EEDaSZ_S10_SG_SL_EUlSZ_E_NS1_11comp_targetILNS1_3genE6ELNS1_11target_archE950ELNS1_3gpuE13ELNS1_3repE0EEENS1_47radix_sort_onesweep_sort_config_static_selectorELNS0_4arch9wavefront6targetE1EEEvSG_,"axG",@progbits,_ZN7rocprim17ROCPRIM_400000_NS6detail17trampoline_kernelINS0_14default_configENS1_35radix_sort_onesweep_config_selectorIllEEZZNS1_29radix_sort_onesweep_iterationIS3_Lb0EPlS7_N6thrust23THRUST_200600_302600_NS10device_ptrIlEESB_jNS0_19identity_decomposerENS1_16block_id_wrapperIjLb1EEEEE10hipError_tT1_PNSt15iterator_traitsISG_E10value_typeET2_T3_PNSH_ISM_E10value_typeET4_T5_PSR_SS_PNS1_23onesweep_lookback_stateEbbT6_jjT7_P12ihipStream_tbENKUlT_T0_SG_SL_E_clIS7_S7_SB_S7_EEDaSZ_S10_SG_SL_EUlSZ_E_NS1_11comp_targetILNS1_3genE6ELNS1_11target_archE950ELNS1_3gpuE13ELNS1_3repE0EEENS1_47radix_sort_onesweep_sort_config_static_selectorELNS0_4arch9wavefront6targetE1EEEvSG_,comdat
	.protected	_ZN7rocprim17ROCPRIM_400000_NS6detail17trampoline_kernelINS0_14default_configENS1_35radix_sort_onesweep_config_selectorIllEEZZNS1_29radix_sort_onesweep_iterationIS3_Lb0EPlS7_N6thrust23THRUST_200600_302600_NS10device_ptrIlEESB_jNS0_19identity_decomposerENS1_16block_id_wrapperIjLb1EEEEE10hipError_tT1_PNSt15iterator_traitsISG_E10value_typeET2_T3_PNSH_ISM_E10value_typeET4_T5_PSR_SS_PNS1_23onesweep_lookback_stateEbbT6_jjT7_P12ihipStream_tbENKUlT_T0_SG_SL_E_clIS7_S7_SB_S7_EEDaSZ_S10_SG_SL_EUlSZ_E_NS1_11comp_targetILNS1_3genE6ELNS1_11target_archE950ELNS1_3gpuE13ELNS1_3repE0EEENS1_47radix_sort_onesweep_sort_config_static_selectorELNS0_4arch9wavefront6targetE1EEEvSG_ ; -- Begin function _ZN7rocprim17ROCPRIM_400000_NS6detail17trampoline_kernelINS0_14default_configENS1_35radix_sort_onesweep_config_selectorIllEEZZNS1_29radix_sort_onesweep_iterationIS3_Lb0EPlS7_N6thrust23THRUST_200600_302600_NS10device_ptrIlEESB_jNS0_19identity_decomposerENS1_16block_id_wrapperIjLb1EEEEE10hipError_tT1_PNSt15iterator_traitsISG_E10value_typeET2_T3_PNSH_ISM_E10value_typeET4_T5_PSR_SS_PNS1_23onesweep_lookback_stateEbbT6_jjT7_P12ihipStream_tbENKUlT_T0_SG_SL_E_clIS7_S7_SB_S7_EEDaSZ_S10_SG_SL_EUlSZ_E_NS1_11comp_targetILNS1_3genE6ELNS1_11target_archE950ELNS1_3gpuE13ELNS1_3repE0EEENS1_47radix_sort_onesweep_sort_config_static_selectorELNS0_4arch9wavefront6targetE1EEEvSG_
	.globl	_ZN7rocprim17ROCPRIM_400000_NS6detail17trampoline_kernelINS0_14default_configENS1_35radix_sort_onesweep_config_selectorIllEEZZNS1_29radix_sort_onesweep_iterationIS3_Lb0EPlS7_N6thrust23THRUST_200600_302600_NS10device_ptrIlEESB_jNS0_19identity_decomposerENS1_16block_id_wrapperIjLb1EEEEE10hipError_tT1_PNSt15iterator_traitsISG_E10value_typeET2_T3_PNSH_ISM_E10value_typeET4_T5_PSR_SS_PNS1_23onesweep_lookback_stateEbbT6_jjT7_P12ihipStream_tbENKUlT_T0_SG_SL_E_clIS7_S7_SB_S7_EEDaSZ_S10_SG_SL_EUlSZ_E_NS1_11comp_targetILNS1_3genE6ELNS1_11target_archE950ELNS1_3gpuE13ELNS1_3repE0EEENS1_47radix_sort_onesweep_sort_config_static_selectorELNS0_4arch9wavefront6targetE1EEEvSG_
	.p2align	8
	.type	_ZN7rocprim17ROCPRIM_400000_NS6detail17trampoline_kernelINS0_14default_configENS1_35radix_sort_onesweep_config_selectorIllEEZZNS1_29radix_sort_onesweep_iterationIS3_Lb0EPlS7_N6thrust23THRUST_200600_302600_NS10device_ptrIlEESB_jNS0_19identity_decomposerENS1_16block_id_wrapperIjLb1EEEEE10hipError_tT1_PNSt15iterator_traitsISG_E10value_typeET2_T3_PNSH_ISM_E10value_typeET4_T5_PSR_SS_PNS1_23onesweep_lookback_stateEbbT6_jjT7_P12ihipStream_tbENKUlT_T0_SG_SL_E_clIS7_S7_SB_S7_EEDaSZ_S10_SG_SL_EUlSZ_E_NS1_11comp_targetILNS1_3genE6ELNS1_11target_archE950ELNS1_3gpuE13ELNS1_3repE0EEENS1_47radix_sort_onesweep_sort_config_static_selectorELNS0_4arch9wavefront6targetE1EEEvSG_,@function
_ZN7rocprim17ROCPRIM_400000_NS6detail17trampoline_kernelINS0_14default_configENS1_35radix_sort_onesweep_config_selectorIllEEZZNS1_29radix_sort_onesweep_iterationIS3_Lb0EPlS7_N6thrust23THRUST_200600_302600_NS10device_ptrIlEESB_jNS0_19identity_decomposerENS1_16block_id_wrapperIjLb1EEEEE10hipError_tT1_PNSt15iterator_traitsISG_E10value_typeET2_T3_PNSH_ISM_E10value_typeET4_T5_PSR_SS_PNS1_23onesweep_lookback_stateEbbT6_jjT7_P12ihipStream_tbENKUlT_T0_SG_SL_E_clIS7_S7_SB_S7_EEDaSZ_S10_SG_SL_EUlSZ_E_NS1_11comp_targetILNS1_3genE6ELNS1_11target_archE950ELNS1_3gpuE13ELNS1_3repE0EEENS1_47radix_sort_onesweep_sort_config_static_selectorELNS0_4arch9wavefront6targetE1EEEvSG_: ; @_ZN7rocprim17ROCPRIM_400000_NS6detail17trampoline_kernelINS0_14default_configENS1_35radix_sort_onesweep_config_selectorIllEEZZNS1_29radix_sort_onesweep_iterationIS3_Lb0EPlS7_N6thrust23THRUST_200600_302600_NS10device_ptrIlEESB_jNS0_19identity_decomposerENS1_16block_id_wrapperIjLb1EEEEE10hipError_tT1_PNSt15iterator_traitsISG_E10value_typeET2_T3_PNSH_ISM_E10value_typeET4_T5_PSR_SS_PNS1_23onesweep_lookback_stateEbbT6_jjT7_P12ihipStream_tbENKUlT_T0_SG_SL_E_clIS7_S7_SB_S7_EEDaSZ_S10_SG_SL_EUlSZ_E_NS1_11comp_targetILNS1_3genE6ELNS1_11target_archE950ELNS1_3gpuE13ELNS1_3repE0EEENS1_47radix_sort_onesweep_sort_config_static_selectorELNS0_4arch9wavefront6targetE1EEEvSG_
; %bb.0:
	.section	.rodata,"a",@progbits
	.p2align	6, 0x0
	.amdhsa_kernel _ZN7rocprim17ROCPRIM_400000_NS6detail17trampoline_kernelINS0_14default_configENS1_35radix_sort_onesweep_config_selectorIllEEZZNS1_29radix_sort_onesweep_iterationIS3_Lb0EPlS7_N6thrust23THRUST_200600_302600_NS10device_ptrIlEESB_jNS0_19identity_decomposerENS1_16block_id_wrapperIjLb1EEEEE10hipError_tT1_PNSt15iterator_traitsISG_E10value_typeET2_T3_PNSH_ISM_E10value_typeET4_T5_PSR_SS_PNS1_23onesweep_lookback_stateEbbT6_jjT7_P12ihipStream_tbENKUlT_T0_SG_SL_E_clIS7_S7_SB_S7_EEDaSZ_S10_SG_SL_EUlSZ_E_NS1_11comp_targetILNS1_3genE6ELNS1_11target_archE950ELNS1_3gpuE13ELNS1_3repE0EEENS1_47radix_sort_onesweep_sort_config_static_selectorELNS0_4arch9wavefront6targetE1EEEvSG_
		.amdhsa_group_segment_fixed_size 0
		.amdhsa_private_segment_fixed_size 0
		.amdhsa_kernarg_size 88
		.amdhsa_user_sgpr_count 6
		.amdhsa_user_sgpr_private_segment_buffer 1
		.amdhsa_user_sgpr_dispatch_ptr 0
		.amdhsa_user_sgpr_queue_ptr 0
		.amdhsa_user_sgpr_kernarg_segment_ptr 1
		.amdhsa_user_sgpr_dispatch_id 0
		.amdhsa_user_sgpr_flat_scratch_init 0
		.amdhsa_user_sgpr_kernarg_preload_length 0
		.amdhsa_user_sgpr_kernarg_preload_offset 0
		.amdhsa_user_sgpr_private_segment_size 0
		.amdhsa_uses_dynamic_stack 0
		.amdhsa_system_sgpr_private_segment_wavefront_offset 0
		.amdhsa_system_sgpr_workgroup_id_x 1
		.amdhsa_system_sgpr_workgroup_id_y 0
		.amdhsa_system_sgpr_workgroup_id_z 0
		.amdhsa_system_sgpr_workgroup_info 0
		.amdhsa_system_vgpr_workitem_id 0
		.amdhsa_next_free_vgpr 1
		.amdhsa_next_free_sgpr 0
		.amdhsa_accum_offset 4
		.amdhsa_reserve_vcc 0
		.amdhsa_reserve_flat_scratch 0
		.amdhsa_float_round_mode_32 0
		.amdhsa_float_round_mode_16_64 0
		.amdhsa_float_denorm_mode_32 3
		.amdhsa_float_denorm_mode_16_64 3
		.amdhsa_dx10_clamp 1
		.amdhsa_ieee_mode 1
		.amdhsa_fp16_overflow 0
		.amdhsa_tg_split 0
		.amdhsa_exception_fp_ieee_invalid_op 0
		.amdhsa_exception_fp_denorm_src 0
		.amdhsa_exception_fp_ieee_div_zero 0
		.amdhsa_exception_fp_ieee_overflow 0
		.amdhsa_exception_fp_ieee_underflow 0
		.amdhsa_exception_fp_ieee_inexact 0
		.amdhsa_exception_int_div_zero 0
	.end_amdhsa_kernel
	.section	.text._ZN7rocprim17ROCPRIM_400000_NS6detail17trampoline_kernelINS0_14default_configENS1_35radix_sort_onesweep_config_selectorIllEEZZNS1_29radix_sort_onesweep_iterationIS3_Lb0EPlS7_N6thrust23THRUST_200600_302600_NS10device_ptrIlEESB_jNS0_19identity_decomposerENS1_16block_id_wrapperIjLb1EEEEE10hipError_tT1_PNSt15iterator_traitsISG_E10value_typeET2_T3_PNSH_ISM_E10value_typeET4_T5_PSR_SS_PNS1_23onesweep_lookback_stateEbbT6_jjT7_P12ihipStream_tbENKUlT_T0_SG_SL_E_clIS7_S7_SB_S7_EEDaSZ_S10_SG_SL_EUlSZ_E_NS1_11comp_targetILNS1_3genE6ELNS1_11target_archE950ELNS1_3gpuE13ELNS1_3repE0EEENS1_47radix_sort_onesweep_sort_config_static_selectorELNS0_4arch9wavefront6targetE1EEEvSG_,"axG",@progbits,_ZN7rocprim17ROCPRIM_400000_NS6detail17trampoline_kernelINS0_14default_configENS1_35radix_sort_onesweep_config_selectorIllEEZZNS1_29radix_sort_onesweep_iterationIS3_Lb0EPlS7_N6thrust23THRUST_200600_302600_NS10device_ptrIlEESB_jNS0_19identity_decomposerENS1_16block_id_wrapperIjLb1EEEEE10hipError_tT1_PNSt15iterator_traitsISG_E10value_typeET2_T3_PNSH_ISM_E10value_typeET4_T5_PSR_SS_PNS1_23onesweep_lookback_stateEbbT6_jjT7_P12ihipStream_tbENKUlT_T0_SG_SL_E_clIS7_S7_SB_S7_EEDaSZ_S10_SG_SL_EUlSZ_E_NS1_11comp_targetILNS1_3genE6ELNS1_11target_archE950ELNS1_3gpuE13ELNS1_3repE0EEENS1_47radix_sort_onesweep_sort_config_static_selectorELNS0_4arch9wavefront6targetE1EEEvSG_,comdat
.Lfunc_end1142:
	.size	_ZN7rocprim17ROCPRIM_400000_NS6detail17trampoline_kernelINS0_14default_configENS1_35radix_sort_onesweep_config_selectorIllEEZZNS1_29radix_sort_onesweep_iterationIS3_Lb0EPlS7_N6thrust23THRUST_200600_302600_NS10device_ptrIlEESB_jNS0_19identity_decomposerENS1_16block_id_wrapperIjLb1EEEEE10hipError_tT1_PNSt15iterator_traitsISG_E10value_typeET2_T3_PNSH_ISM_E10value_typeET4_T5_PSR_SS_PNS1_23onesweep_lookback_stateEbbT6_jjT7_P12ihipStream_tbENKUlT_T0_SG_SL_E_clIS7_S7_SB_S7_EEDaSZ_S10_SG_SL_EUlSZ_E_NS1_11comp_targetILNS1_3genE6ELNS1_11target_archE950ELNS1_3gpuE13ELNS1_3repE0EEENS1_47radix_sort_onesweep_sort_config_static_selectorELNS0_4arch9wavefront6targetE1EEEvSG_, .Lfunc_end1142-_ZN7rocprim17ROCPRIM_400000_NS6detail17trampoline_kernelINS0_14default_configENS1_35radix_sort_onesweep_config_selectorIllEEZZNS1_29radix_sort_onesweep_iterationIS3_Lb0EPlS7_N6thrust23THRUST_200600_302600_NS10device_ptrIlEESB_jNS0_19identity_decomposerENS1_16block_id_wrapperIjLb1EEEEE10hipError_tT1_PNSt15iterator_traitsISG_E10value_typeET2_T3_PNSH_ISM_E10value_typeET4_T5_PSR_SS_PNS1_23onesweep_lookback_stateEbbT6_jjT7_P12ihipStream_tbENKUlT_T0_SG_SL_E_clIS7_S7_SB_S7_EEDaSZ_S10_SG_SL_EUlSZ_E_NS1_11comp_targetILNS1_3genE6ELNS1_11target_archE950ELNS1_3gpuE13ELNS1_3repE0EEENS1_47radix_sort_onesweep_sort_config_static_selectorELNS0_4arch9wavefront6targetE1EEEvSG_
                                        ; -- End function
	.section	.AMDGPU.csdata,"",@progbits
; Kernel info:
; codeLenInByte = 0
; NumSgprs: 4
; NumVgprs: 0
; NumAgprs: 0
; TotalNumVgprs: 0
; ScratchSize: 0
; MemoryBound: 0
; FloatMode: 240
; IeeeMode: 1
; LDSByteSize: 0 bytes/workgroup (compile time only)
; SGPRBlocks: 0
; VGPRBlocks: 0
; NumSGPRsForWavesPerEU: 4
; NumVGPRsForWavesPerEU: 1
; AccumOffset: 4
; Occupancy: 8
; WaveLimiterHint : 0
; COMPUTE_PGM_RSRC2:SCRATCH_EN: 0
; COMPUTE_PGM_RSRC2:USER_SGPR: 6
; COMPUTE_PGM_RSRC2:TRAP_HANDLER: 0
; COMPUTE_PGM_RSRC2:TGID_X_EN: 1
; COMPUTE_PGM_RSRC2:TGID_Y_EN: 0
; COMPUTE_PGM_RSRC2:TGID_Z_EN: 0
; COMPUTE_PGM_RSRC2:TIDIG_COMP_CNT: 0
; COMPUTE_PGM_RSRC3_GFX90A:ACCUM_OFFSET: 0
; COMPUTE_PGM_RSRC3_GFX90A:TG_SPLIT: 0
	.section	.text._ZN7rocprim17ROCPRIM_400000_NS6detail17trampoline_kernelINS0_14default_configENS1_35radix_sort_onesweep_config_selectorIllEEZZNS1_29radix_sort_onesweep_iterationIS3_Lb0EPlS7_N6thrust23THRUST_200600_302600_NS10device_ptrIlEESB_jNS0_19identity_decomposerENS1_16block_id_wrapperIjLb1EEEEE10hipError_tT1_PNSt15iterator_traitsISG_E10value_typeET2_T3_PNSH_ISM_E10value_typeET4_T5_PSR_SS_PNS1_23onesweep_lookback_stateEbbT6_jjT7_P12ihipStream_tbENKUlT_T0_SG_SL_E_clIS7_S7_SB_S7_EEDaSZ_S10_SG_SL_EUlSZ_E_NS1_11comp_targetILNS1_3genE5ELNS1_11target_archE942ELNS1_3gpuE9ELNS1_3repE0EEENS1_47radix_sort_onesweep_sort_config_static_selectorELNS0_4arch9wavefront6targetE1EEEvSG_,"axG",@progbits,_ZN7rocprim17ROCPRIM_400000_NS6detail17trampoline_kernelINS0_14default_configENS1_35radix_sort_onesweep_config_selectorIllEEZZNS1_29radix_sort_onesweep_iterationIS3_Lb0EPlS7_N6thrust23THRUST_200600_302600_NS10device_ptrIlEESB_jNS0_19identity_decomposerENS1_16block_id_wrapperIjLb1EEEEE10hipError_tT1_PNSt15iterator_traitsISG_E10value_typeET2_T3_PNSH_ISM_E10value_typeET4_T5_PSR_SS_PNS1_23onesweep_lookback_stateEbbT6_jjT7_P12ihipStream_tbENKUlT_T0_SG_SL_E_clIS7_S7_SB_S7_EEDaSZ_S10_SG_SL_EUlSZ_E_NS1_11comp_targetILNS1_3genE5ELNS1_11target_archE942ELNS1_3gpuE9ELNS1_3repE0EEENS1_47radix_sort_onesweep_sort_config_static_selectorELNS0_4arch9wavefront6targetE1EEEvSG_,comdat
	.protected	_ZN7rocprim17ROCPRIM_400000_NS6detail17trampoline_kernelINS0_14default_configENS1_35radix_sort_onesweep_config_selectorIllEEZZNS1_29radix_sort_onesweep_iterationIS3_Lb0EPlS7_N6thrust23THRUST_200600_302600_NS10device_ptrIlEESB_jNS0_19identity_decomposerENS1_16block_id_wrapperIjLb1EEEEE10hipError_tT1_PNSt15iterator_traitsISG_E10value_typeET2_T3_PNSH_ISM_E10value_typeET4_T5_PSR_SS_PNS1_23onesweep_lookback_stateEbbT6_jjT7_P12ihipStream_tbENKUlT_T0_SG_SL_E_clIS7_S7_SB_S7_EEDaSZ_S10_SG_SL_EUlSZ_E_NS1_11comp_targetILNS1_3genE5ELNS1_11target_archE942ELNS1_3gpuE9ELNS1_3repE0EEENS1_47radix_sort_onesweep_sort_config_static_selectorELNS0_4arch9wavefront6targetE1EEEvSG_ ; -- Begin function _ZN7rocprim17ROCPRIM_400000_NS6detail17trampoline_kernelINS0_14default_configENS1_35radix_sort_onesweep_config_selectorIllEEZZNS1_29radix_sort_onesweep_iterationIS3_Lb0EPlS7_N6thrust23THRUST_200600_302600_NS10device_ptrIlEESB_jNS0_19identity_decomposerENS1_16block_id_wrapperIjLb1EEEEE10hipError_tT1_PNSt15iterator_traitsISG_E10value_typeET2_T3_PNSH_ISM_E10value_typeET4_T5_PSR_SS_PNS1_23onesweep_lookback_stateEbbT6_jjT7_P12ihipStream_tbENKUlT_T0_SG_SL_E_clIS7_S7_SB_S7_EEDaSZ_S10_SG_SL_EUlSZ_E_NS1_11comp_targetILNS1_3genE5ELNS1_11target_archE942ELNS1_3gpuE9ELNS1_3repE0EEENS1_47radix_sort_onesweep_sort_config_static_selectorELNS0_4arch9wavefront6targetE1EEEvSG_
	.globl	_ZN7rocprim17ROCPRIM_400000_NS6detail17trampoline_kernelINS0_14default_configENS1_35radix_sort_onesweep_config_selectorIllEEZZNS1_29radix_sort_onesweep_iterationIS3_Lb0EPlS7_N6thrust23THRUST_200600_302600_NS10device_ptrIlEESB_jNS0_19identity_decomposerENS1_16block_id_wrapperIjLb1EEEEE10hipError_tT1_PNSt15iterator_traitsISG_E10value_typeET2_T3_PNSH_ISM_E10value_typeET4_T5_PSR_SS_PNS1_23onesweep_lookback_stateEbbT6_jjT7_P12ihipStream_tbENKUlT_T0_SG_SL_E_clIS7_S7_SB_S7_EEDaSZ_S10_SG_SL_EUlSZ_E_NS1_11comp_targetILNS1_3genE5ELNS1_11target_archE942ELNS1_3gpuE9ELNS1_3repE0EEENS1_47radix_sort_onesweep_sort_config_static_selectorELNS0_4arch9wavefront6targetE1EEEvSG_
	.p2align	8
	.type	_ZN7rocprim17ROCPRIM_400000_NS6detail17trampoline_kernelINS0_14default_configENS1_35radix_sort_onesweep_config_selectorIllEEZZNS1_29radix_sort_onesweep_iterationIS3_Lb0EPlS7_N6thrust23THRUST_200600_302600_NS10device_ptrIlEESB_jNS0_19identity_decomposerENS1_16block_id_wrapperIjLb1EEEEE10hipError_tT1_PNSt15iterator_traitsISG_E10value_typeET2_T3_PNSH_ISM_E10value_typeET4_T5_PSR_SS_PNS1_23onesweep_lookback_stateEbbT6_jjT7_P12ihipStream_tbENKUlT_T0_SG_SL_E_clIS7_S7_SB_S7_EEDaSZ_S10_SG_SL_EUlSZ_E_NS1_11comp_targetILNS1_3genE5ELNS1_11target_archE942ELNS1_3gpuE9ELNS1_3repE0EEENS1_47radix_sort_onesweep_sort_config_static_selectorELNS0_4arch9wavefront6targetE1EEEvSG_,@function
_ZN7rocprim17ROCPRIM_400000_NS6detail17trampoline_kernelINS0_14default_configENS1_35radix_sort_onesweep_config_selectorIllEEZZNS1_29radix_sort_onesweep_iterationIS3_Lb0EPlS7_N6thrust23THRUST_200600_302600_NS10device_ptrIlEESB_jNS0_19identity_decomposerENS1_16block_id_wrapperIjLb1EEEEE10hipError_tT1_PNSt15iterator_traitsISG_E10value_typeET2_T3_PNSH_ISM_E10value_typeET4_T5_PSR_SS_PNS1_23onesweep_lookback_stateEbbT6_jjT7_P12ihipStream_tbENKUlT_T0_SG_SL_E_clIS7_S7_SB_S7_EEDaSZ_S10_SG_SL_EUlSZ_E_NS1_11comp_targetILNS1_3genE5ELNS1_11target_archE942ELNS1_3gpuE9ELNS1_3repE0EEENS1_47radix_sort_onesweep_sort_config_static_selectorELNS0_4arch9wavefront6targetE1EEEvSG_: ; @_ZN7rocprim17ROCPRIM_400000_NS6detail17trampoline_kernelINS0_14default_configENS1_35radix_sort_onesweep_config_selectorIllEEZZNS1_29radix_sort_onesweep_iterationIS3_Lb0EPlS7_N6thrust23THRUST_200600_302600_NS10device_ptrIlEESB_jNS0_19identity_decomposerENS1_16block_id_wrapperIjLb1EEEEE10hipError_tT1_PNSt15iterator_traitsISG_E10value_typeET2_T3_PNSH_ISM_E10value_typeET4_T5_PSR_SS_PNS1_23onesweep_lookback_stateEbbT6_jjT7_P12ihipStream_tbENKUlT_T0_SG_SL_E_clIS7_S7_SB_S7_EEDaSZ_S10_SG_SL_EUlSZ_E_NS1_11comp_targetILNS1_3genE5ELNS1_11target_archE942ELNS1_3gpuE9ELNS1_3repE0EEENS1_47radix_sort_onesweep_sort_config_static_selectorELNS0_4arch9wavefront6targetE1EEEvSG_
; %bb.0:
	.section	.rodata,"a",@progbits
	.p2align	6, 0x0
	.amdhsa_kernel _ZN7rocprim17ROCPRIM_400000_NS6detail17trampoline_kernelINS0_14default_configENS1_35radix_sort_onesweep_config_selectorIllEEZZNS1_29radix_sort_onesweep_iterationIS3_Lb0EPlS7_N6thrust23THRUST_200600_302600_NS10device_ptrIlEESB_jNS0_19identity_decomposerENS1_16block_id_wrapperIjLb1EEEEE10hipError_tT1_PNSt15iterator_traitsISG_E10value_typeET2_T3_PNSH_ISM_E10value_typeET4_T5_PSR_SS_PNS1_23onesweep_lookback_stateEbbT6_jjT7_P12ihipStream_tbENKUlT_T0_SG_SL_E_clIS7_S7_SB_S7_EEDaSZ_S10_SG_SL_EUlSZ_E_NS1_11comp_targetILNS1_3genE5ELNS1_11target_archE942ELNS1_3gpuE9ELNS1_3repE0EEENS1_47radix_sort_onesweep_sort_config_static_selectorELNS0_4arch9wavefront6targetE1EEEvSG_
		.amdhsa_group_segment_fixed_size 0
		.amdhsa_private_segment_fixed_size 0
		.amdhsa_kernarg_size 88
		.amdhsa_user_sgpr_count 6
		.amdhsa_user_sgpr_private_segment_buffer 1
		.amdhsa_user_sgpr_dispatch_ptr 0
		.amdhsa_user_sgpr_queue_ptr 0
		.amdhsa_user_sgpr_kernarg_segment_ptr 1
		.amdhsa_user_sgpr_dispatch_id 0
		.amdhsa_user_sgpr_flat_scratch_init 0
		.amdhsa_user_sgpr_kernarg_preload_length 0
		.amdhsa_user_sgpr_kernarg_preload_offset 0
		.amdhsa_user_sgpr_private_segment_size 0
		.amdhsa_uses_dynamic_stack 0
		.amdhsa_system_sgpr_private_segment_wavefront_offset 0
		.amdhsa_system_sgpr_workgroup_id_x 1
		.amdhsa_system_sgpr_workgroup_id_y 0
		.amdhsa_system_sgpr_workgroup_id_z 0
		.amdhsa_system_sgpr_workgroup_info 0
		.amdhsa_system_vgpr_workitem_id 0
		.amdhsa_next_free_vgpr 1
		.amdhsa_next_free_sgpr 0
		.amdhsa_accum_offset 4
		.amdhsa_reserve_vcc 0
		.amdhsa_reserve_flat_scratch 0
		.amdhsa_float_round_mode_32 0
		.amdhsa_float_round_mode_16_64 0
		.amdhsa_float_denorm_mode_32 3
		.amdhsa_float_denorm_mode_16_64 3
		.amdhsa_dx10_clamp 1
		.amdhsa_ieee_mode 1
		.amdhsa_fp16_overflow 0
		.amdhsa_tg_split 0
		.amdhsa_exception_fp_ieee_invalid_op 0
		.amdhsa_exception_fp_denorm_src 0
		.amdhsa_exception_fp_ieee_div_zero 0
		.amdhsa_exception_fp_ieee_overflow 0
		.amdhsa_exception_fp_ieee_underflow 0
		.amdhsa_exception_fp_ieee_inexact 0
		.amdhsa_exception_int_div_zero 0
	.end_amdhsa_kernel
	.section	.text._ZN7rocprim17ROCPRIM_400000_NS6detail17trampoline_kernelINS0_14default_configENS1_35radix_sort_onesweep_config_selectorIllEEZZNS1_29radix_sort_onesweep_iterationIS3_Lb0EPlS7_N6thrust23THRUST_200600_302600_NS10device_ptrIlEESB_jNS0_19identity_decomposerENS1_16block_id_wrapperIjLb1EEEEE10hipError_tT1_PNSt15iterator_traitsISG_E10value_typeET2_T3_PNSH_ISM_E10value_typeET4_T5_PSR_SS_PNS1_23onesweep_lookback_stateEbbT6_jjT7_P12ihipStream_tbENKUlT_T0_SG_SL_E_clIS7_S7_SB_S7_EEDaSZ_S10_SG_SL_EUlSZ_E_NS1_11comp_targetILNS1_3genE5ELNS1_11target_archE942ELNS1_3gpuE9ELNS1_3repE0EEENS1_47radix_sort_onesweep_sort_config_static_selectorELNS0_4arch9wavefront6targetE1EEEvSG_,"axG",@progbits,_ZN7rocprim17ROCPRIM_400000_NS6detail17trampoline_kernelINS0_14default_configENS1_35radix_sort_onesweep_config_selectorIllEEZZNS1_29radix_sort_onesweep_iterationIS3_Lb0EPlS7_N6thrust23THRUST_200600_302600_NS10device_ptrIlEESB_jNS0_19identity_decomposerENS1_16block_id_wrapperIjLb1EEEEE10hipError_tT1_PNSt15iterator_traitsISG_E10value_typeET2_T3_PNSH_ISM_E10value_typeET4_T5_PSR_SS_PNS1_23onesweep_lookback_stateEbbT6_jjT7_P12ihipStream_tbENKUlT_T0_SG_SL_E_clIS7_S7_SB_S7_EEDaSZ_S10_SG_SL_EUlSZ_E_NS1_11comp_targetILNS1_3genE5ELNS1_11target_archE942ELNS1_3gpuE9ELNS1_3repE0EEENS1_47radix_sort_onesweep_sort_config_static_selectorELNS0_4arch9wavefront6targetE1EEEvSG_,comdat
.Lfunc_end1143:
	.size	_ZN7rocprim17ROCPRIM_400000_NS6detail17trampoline_kernelINS0_14default_configENS1_35radix_sort_onesweep_config_selectorIllEEZZNS1_29radix_sort_onesweep_iterationIS3_Lb0EPlS7_N6thrust23THRUST_200600_302600_NS10device_ptrIlEESB_jNS0_19identity_decomposerENS1_16block_id_wrapperIjLb1EEEEE10hipError_tT1_PNSt15iterator_traitsISG_E10value_typeET2_T3_PNSH_ISM_E10value_typeET4_T5_PSR_SS_PNS1_23onesweep_lookback_stateEbbT6_jjT7_P12ihipStream_tbENKUlT_T0_SG_SL_E_clIS7_S7_SB_S7_EEDaSZ_S10_SG_SL_EUlSZ_E_NS1_11comp_targetILNS1_3genE5ELNS1_11target_archE942ELNS1_3gpuE9ELNS1_3repE0EEENS1_47radix_sort_onesweep_sort_config_static_selectorELNS0_4arch9wavefront6targetE1EEEvSG_, .Lfunc_end1143-_ZN7rocprim17ROCPRIM_400000_NS6detail17trampoline_kernelINS0_14default_configENS1_35radix_sort_onesweep_config_selectorIllEEZZNS1_29radix_sort_onesweep_iterationIS3_Lb0EPlS7_N6thrust23THRUST_200600_302600_NS10device_ptrIlEESB_jNS0_19identity_decomposerENS1_16block_id_wrapperIjLb1EEEEE10hipError_tT1_PNSt15iterator_traitsISG_E10value_typeET2_T3_PNSH_ISM_E10value_typeET4_T5_PSR_SS_PNS1_23onesweep_lookback_stateEbbT6_jjT7_P12ihipStream_tbENKUlT_T0_SG_SL_E_clIS7_S7_SB_S7_EEDaSZ_S10_SG_SL_EUlSZ_E_NS1_11comp_targetILNS1_3genE5ELNS1_11target_archE942ELNS1_3gpuE9ELNS1_3repE0EEENS1_47radix_sort_onesweep_sort_config_static_selectorELNS0_4arch9wavefront6targetE1EEEvSG_
                                        ; -- End function
	.section	.AMDGPU.csdata,"",@progbits
; Kernel info:
; codeLenInByte = 0
; NumSgprs: 4
; NumVgprs: 0
; NumAgprs: 0
; TotalNumVgprs: 0
; ScratchSize: 0
; MemoryBound: 0
; FloatMode: 240
; IeeeMode: 1
; LDSByteSize: 0 bytes/workgroup (compile time only)
; SGPRBlocks: 0
; VGPRBlocks: 0
; NumSGPRsForWavesPerEU: 4
; NumVGPRsForWavesPerEU: 1
; AccumOffset: 4
; Occupancy: 8
; WaveLimiterHint : 0
; COMPUTE_PGM_RSRC2:SCRATCH_EN: 0
; COMPUTE_PGM_RSRC2:USER_SGPR: 6
; COMPUTE_PGM_RSRC2:TRAP_HANDLER: 0
; COMPUTE_PGM_RSRC2:TGID_X_EN: 1
; COMPUTE_PGM_RSRC2:TGID_Y_EN: 0
; COMPUTE_PGM_RSRC2:TGID_Z_EN: 0
; COMPUTE_PGM_RSRC2:TIDIG_COMP_CNT: 0
; COMPUTE_PGM_RSRC3_GFX90A:ACCUM_OFFSET: 0
; COMPUTE_PGM_RSRC3_GFX90A:TG_SPLIT: 0
	.section	.text._ZN7rocprim17ROCPRIM_400000_NS6detail17trampoline_kernelINS0_14default_configENS1_35radix_sort_onesweep_config_selectorIllEEZZNS1_29radix_sort_onesweep_iterationIS3_Lb0EPlS7_N6thrust23THRUST_200600_302600_NS10device_ptrIlEESB_jNS0_19identity_decomposerENS1_16block_id_wrapperIjLb1EEEEE10hipError_tT1_PNSt15iterator_traitsISG_E10value_typeET2_T3_PNSH_ISM_E10value_typeET4_T5_PSR_SS_PNS1_23onesweep_lookback_stateEbbT6_jjT7_P12ihipStream_tbENKUlT_T0_SG_SL_E_clIS7_S7_SB_S7_EEDaSZ_S10_SG_SL_EUlSZ_E_NS1_11comp_targetILNS1_3genE2ELNS1_11target_archE906ELNS1_3gpuE6ELNS1_3repE0EEENS1_47radix_sort_onesweep_sort_config_static_selectorELNS0_4arch9wavefront6targetE1EEEvSG_,"axG",@progbits,_ZN7rocprim17ROCPRIM_400000_NS6detail17trampoline_kernelINS0_14default_configENS1_35radix_sort_onesweep_config_selectorIllEEZZNS1_29radix_sort_onesweep_iterationIS3_Lb0EPlS7_N6thrust23THRUST_200600_302600_NS10device_ptrIlEESB_jNS0_19identity_decomposerENS1_16block_id_wrapperIjLb1EEEEE10hipError_tT1_PNSt15iterator_traitsISG_E10value_typeET2_T3_PNSH_ISM_E10value_typeET4_T5_PSR_SS_PNS1_23onesweep_lookback_stateEbbT6_jjT7_P12ihipStream_tbENKUlT_T0_SG_SL_E_clIS7_S7_SB_S7_EEDaSZ_S10_SG_SL_EUlSZ_E_NS1_11comp_targetILNS1_3genE2ELNS1_11target_archE906ELNS1_3gpuE6ELNS1_3repE0EEENS1_47radix_sort_onesweep_sort_config_static_selectorELNS0_4arch9wavefront6targetE1EEEvSG_,comdat
	.protected	_ZN7rocprim17ROCPRIM_400000_NS6detail17trampoline_kernelINS0_14default_configENS1_35radix_sort_onesweep_config_selectorIllEEZZNS1_29radix_sort_onesweep_iterationIS3_Lb0EPlS7_N6thrust23THRUST_200600_302600_NS10device_ptrIlEESB_jNS0_19identity_decomposerENS1_16block_id_wrapperIjLb1EEEEE10hipError_tT1_PNSt15iterator_traitsISG_E10value_typeET2_T3_PNSH_ISM_E10value_typeET4_T5_PSR_SS_PNS1_23onesweep_lookback_stateEbbT6_jjT7_P12ihipStream_tbENKUlT_T0_SG_SL_E_clIS7_S7_SB_S7_EEDaSZ_S10_SG_SL_EUlSZ_E_NS1_11comp_targetILNS1_3genE2ELNS1_11target_archE906ELNS1_3gpuE6ELNS1_3repE0EEENS1_47radix_sort_onesweep_sort_config_static_selectorELNS0_4arch9wavefront6targetE1EEEvSG_ ; -- Begin function _ZN7rocprim17ROCPRIM_400000_NS6detail17trampoline_kernelINS0_14default_configENS1_35radix_sort_onesweep_config_selectorIllEEZZNS1_29radix_sort_onesweep_iterationIS3_Lb0EPlS7_N6thrust23THRUST_200600_302600_NS10device_ptrIlEESB_jNS0_19identity_decomposerENS1_16block_id_wrapperIjLb1EEEEE10hipError_tT1_PNSt15iterator_traitsISG_E10value_typeET2_T3_PNSH_ISM_E10value_typeET4_T5_PSR_SS_PNS1_23onesweep_lookback_stateEbbT6_jjT7_P12ihipStream_tbENKUlT_T0_SG_SL_E_clIS7_S7_SB_S7_EEDaSZ_S10_SG_SL_EUlSZ_E_NS1_11comp_targetILNS1_3genE2ELNS1_11target_archE906ELNS1_3gpuE6ELNS1_3repE0EEENS1_47radix_sort_onesweep_sort_config_static_selectorELNS0_4arch9wavefront6targetE1EEEvSG_
	.globl	_ZN7rocprim17ROCPRIM_400000_NS6detail17trampoline_kernelINS0_14default_configENS1_35radix_sort_onesweep_config_selectorIllEEZZNS1_29radix_sort_onesweep_iterationIS3_Lb0EPlS7_N6thrust23THRUST_200600_302600_NS10device_ptrIlEESB_jNS0_19identity_decomposerENS1_16block_id_wrapperIjLb1EEEEE10hipError_tT1_PNSt15iterator_traitsISG_E10value_typeET2_T3_PNSH_ISM_E10value_typeET4_T5_PSR_SS_PNS1_23onesweep_lookback_stateEbbT6_jjT7_P12ihipStream_tbENKUlT_T0_SG_SL_E_clIS7_S7_SB_S7_EEDaSZ_S10_SG_SL_EUlSZ_E_NS1_11comp_targetILNS1_3genE2ELNS1_11target_archE906ELNS1_3gpuE6ELNS1_3repE0EEENS1_47radix_sort_onesweep_sort_config_static_selectorELNS0_4arch9wavefront6targetE1EEEvSG_
	.p2align	8
	.type	_ZN7rocprim17ROCPRIM_400000_NS6detail17trampoline_kernelINS0_14default_configENS1_35radix_sort_onesweep_config_selectorIllEEZZNS1_29radix_sort_onesweep_iterationIS3_Lb0EPlS7_N6thrust23THRUST_200600_302600_NS10device_ptrIlEESB_jNS0_19identity_decomposerENS1_16block_id_wrapperIjLb1EEEEE10hipError_tT1_PNSt15iterator_traitsISG_E10value_typeET2_T3_PNSH_ISM_E10value_typeET4_T5_PSR_SS_PNS1_23onesweep_lookback_stateEbbT6_jjT7_P12ihipStream_tbENKUlT_T0_SG_SL_E_clIS7_S7_SB_S7_EEDaSZ_S10_SG_SL_EUlSZ_E_NS1_11comp_targetILNS1_3genE2ELNS1_11target_archE906ELNS1_3gpuE6ELNS1_3repE0EEENS1_47radix_sort_onesweep_sort_config_static_selectorELNS0_4arch9wavefront6targetE1EEEvSG_,@function
_ZN7rocprim17ROCPRIM_400000_NS6detail17trampoline_kernelINS0_14default_configENS1_35radix_sort_onesweep_config_selectorIllEEZZNS1_29radix_sort_onesweep_iterationIS3_Lb0EPlS7_N6thrust23THRUST_200600_302600_NS10device_ptrIlEESB_jNS0_19identity_decomposerENS1_16block_id_wrapperIjLb1EEEEE10hipError_tT1_PNSt15iterator_traitsISG_E10value_typeET2_T3_PNSH_ISM_E10value_typeET4_T5_PSR_SS_PNS1_23onesweep_lookback_stateEbbT6_jjT7_P12ihipStream_tbENKUlT_T0_SG_SL_E_clIS7_S7_SB_S7_EEDaSZ_S10_SG_SL_EUlSZ_E_NS1_11comp_targetILNS1_3genE2ELNS1_11target_archE906ELNS1_3gpuE6ELNS1_3repE0EEENS1_47radix_sort_onesweep_sort_config_static_selectorELNS0_4arch9wavefront6targetE1EEEvSG_: ; @_ZN7rocprim17ROCPRIM_400000_NS6detail17trampoline_kernelINS0_14default_configENS1_35radix_sort_onesweep_config_selectorIllEEZZNS1_29radix_sort_onesweep_iterationIS3_Lb0EPlS7_N6thrust23THRUST_200600_302600_NS10device_ptrIlEESB_jNS0_19identity_decomposerENS1_16block_id_wrapperIjLb1EEEEE10hipError_tT1_PNSt15iterator_traitsISG_E10value_typeET2_T3_PNSH_ISM_E10value_typeET4_T5_PSR_SS_PNS1_23onesweep_lookback_stateEbbT6_jjT7_P12ihipStream_tbENKUlT_T0_SG_SL_E_clIS7_S7_SB_S7_EEDaSZ_S10_SG_SL_EUlSZ_E_NS1_11comp_targetILNS1_3genE2ELNS1_11target_archE906ELNS1_3gpuE6ELNS1_3repE0EEENS1_47radix_sort_onesweep_sort_config_static_selectorELNS0_4arch9wavefront6targetE1EEEvSG_
; %bb.0:
	.section	.rodata,"a",@progbits
	.p2align	6, 0x0
	.amdhsa_kernel _ZN7rocprim17ROCPRIM_400000_NS6detail17trampoline_kernelINS0_14default_configENS1_35radix_sort_onesweep_config_selectorIllEEZZNS1_29radix_sort_onesweep_iterationIS3_Lb0EPlS7_N6thrust23THRUST_200600_302600_NS10device_ptrIlEESB_jNS0_19identity_decomposerENS1_16block_id_wrapperIjLb1EEEEE10hipError_tT1_PNSt15iterator_traitsISG_E10value_typeET2_T3_PNSH_ISM_E10value_typeET4_T5_PSR_SS_PNS1_23onesweep_lookback_stateEbbT6_jjT7_P12ihipStream_tbENKUlT_T0_SG_SL_E_clIS7_S7_SB_S7_EEDaSZ_S10_SG_SL_EUlSZ_E_NS1_11comp_targetILNS1_3genE2ELNS1_11target_archE906ELNS1_3gpuE6ELNS1_3repE0EEENS1_47radix_sort_onesweep_sort_config_static_selectorELNS0_4arch9wavefront6targetE1EEEvSG_
		.amdhsa_group_segment_fixed_size 0
		.amdhsa_private_segment_fixed_size 0
		.amdhsa_kernarg_size 88
		.amdhsa_user_sgpr_count 6
		.amdhsa_user_sgpr_private_segment_buffer 1
		.amdhsa_user_sgpr_dispatch_ptr 0
		.amdhsa_user_sgpr_queue_ptr 0
		.amdhsa_user_sgpr_kernarg_segment_ptr 1
		.amdhsa_user_sgpr_dispatch_id 0
		.amdhsa_user_sgpr_flat_scratch_init 0
		.amdhsa_user_sgpr_kernarg_preload_length 0
		.amdhsa_user_sgpr_kernarg_preload_offset 0
		.amdhsa_user_sgpr_private_segment_size 0
		.amdhsa_uses_dynamic_stack 0
		.amdhsa_system_sgpr_private_segment_wavefront_offset 0
		.amdhsa_system_sgpr_workgroup_id_x 1
		.amdhsa_system_sgpr_workgroup_id_y 0
		.amdhsa_system_sgpr_workgroup_id_z 0
		.amdhsa_system_sgpr_workgroup_info 0
		.amdhsa_system_vgpr_workitem_id 0
		.amdhsa_next_free_vgpr 1
		.amdhsa_next_free_sgpr 0
		.amdhsa_accum_offset 4
		.amdhsa_reserve_vcc 0
		.amdhsa_reserve_flat_scratch 0
		.amdhsa_float_round_mode_32 0
		.amdhsa_float_round_mode_16_64 0
		.amdhsa_float_denorm_mode_32 3
		.amdhsa_float_denorm_mode_16_64 3
		.amdhsa_dx10_clamp 1
		.amdhsa_ieee_mode 1
		.amdhsa_fp16_overflow 0
		.amdhsa_tg_split 0
		.amdhsa_exception_fp_ieee_invalid_op 0
		.amdhsa_exception_fp_denorm_src 0
		.amdhsa_exception_fp_ieee_div_zero 0
		.amdhsa_exception_fp_ieee_overflow 0
		.amdhsa_exception_fp_ieee_underflow 0
		.amdhsa_exception_fp_ieee_inexact 0
		.amdhsa_exception_int_div_zero 0
	.end_amdhsa_kernel
	.section	.text._ZN7rocprim17ROCPRIM_400000_NS6detail17trampoline_kernelINS0_14default_configENS1_35radix_sort_onesweep_config_selectorIllEEZZNS1_29radix_sort_onesweep_iterationIS3_Lb0EPlS7_N6thrust23THRUST_200600_302600_NS10device_ptrIlEESB_jNS0_19identity_decomposerENS1_16block_id_wrapperIjLb1EEEEE10hipError_tT1_PNSt15iterator_traitsISG_E10value_typeET2_T3_PNSH_ISM_E10value_typeET4_T5_PSR_SS_PNS1_23onesweep_lookback_stateEbbT6_jjT7_P12ihipStream_tbENKUlT_T0_SG_SL_E_clIS7_S7_SB_S7_EEDaSZ_S10_SG_SL_EUlSZ_E_NS1_11comp_targetILNS1_3genE2ELNS1_11target_archE906ELNS1_3gpuE6ELNS1_3repE0EEENS1_47radix_sort_onesweep_sort_config_static_selectorELNS0_4arch9wavefront6targetE1EEEvSG_,"axG",@progbits,_ZN7rocprim17ROCPRIM_400000_NS6detail17trampoline_kernelINS0_14default_configENS1_35radix_sort_onesweep_config_selectorIllEEZZNS1_29radix_sort_onesweep_iterationIS3_Lb0EPlS7_N6thrust23THRUST_200600_302600_NS10device_ptrIlEESB_jNS0_19identity_decomposerENS1_16block_id_wrapperIjLb1EEEEE10hipError_tT1_PNSt15iterator_traitsISG_E10value_typeET2_T3_PNSH_ISM_E10value_typeET4_T5_PSR_SS_PNS1_23onesweep_lookback_stateEbbT6_jjT7_P12ihipStream_tbENKUlT_T0_SG_SL_E_clIS7_S7_SB_S7_EEDaSZ_S10_SG_SL_EUlSZ_E_NS1_11comp_targetILNS1_3genE2ELNS1_11target_archE906ELNS1_3gpuE6ELNS1_3repE0EEENS1_47radix_sort_onesweep_sort_config_static_selectorELNS0_4arch9wavefront6targetE1EEEvSG_,comdat
.Lfunc_end1144:
	.size	_ZN7rocprim17ROCPRIM_400000_NS6detail17trampoline_kernelINS0_14default_configENS1_35radix_sort_onesweep_config_selectorIllEEZZNS1_29radix_sort_onesweep_iterationIS3_Lb0EPlS7_N6thrust23THRUST_200600_302600_NS10device_ptrIlEESB_jNS0_19identity_decomposerENS1_16block_id_wrapperIjLb1EEEEE10hipError_tT1_PNSt15iterator_traitsISG_E10value_typeET2_T3_PNSH_ISM_E10value_typeET4_T5_PSR_SS_PNS1_23onesweep_lookback_stateEbbT6_jjT7_P12ihipStream_tbENKUlT_T0_SG_SL_E_clIS7_S7_SB_S7_EEDaSZ_S10_SG_SL_EUlSZ_E_NS1_11comp_targetILNS1_3genE2ELNS1_11target_archE906ELNS1_3gpuE6ELNS1_3repE0EEENS1_47radix_sort_onesweep_sort_config_static_selectorELNS0_4arch9wavefront6targetE1EEEvSG_, .Lfunc_end1144-_ZN7rocprim17ROCPRIM_400000_NS6detail17trampoline_kernelINS0_14default_configENS1_35radix_sort_onesweep_config_selectorIllEEZZNS1_29radix_sort_onesweep_iterationIS3_Lb0EPlS7_N6thrust23THRUST_200600_302600_NS10device_ptrIlEESB_jNS0_19identity_decomposerENS1_16block_id_wrapperIjLb1EEEEE10hipError_tT1_PNSt15iterator_traitsISG_E10value_typeET2_T3_PNSH_ISM_E10value_typeET4_T5_PSR_SS_PNS1_23onesweep_lookback_stateEbbT6_jjT7_P12ihipStream_tbENKUlT_T0_SG_SL_E_clIS7_S7_SB_S7_EEDaSZ_S10_SG_SL_EUlSZ_E_NS1_11comp_targetILNS1_3genE2ELNS1_11target_archE906ELNS1_3gpuE6ELNS1_3repE0EEENS1_47radix_sort_onesweep_sort_config_static_selectorELNS0_4arch9wavefront6targetE1EEEvSG_
                                        ; -- End function
	.section	.AMDGPU.csdata,"",@progbits
; Kernel info:
; codeLenInByte = 0
; NumSgprs: 4
; NumVgprs: 0
; NumAgprs: 0
; TotalNumVgprs: 0
; ScratchSize: 0
; MemoryBound: 0
; FloatMode: 240
; IeeeMode: 1
; LDSByteSize: 0 bytes/workgroup (compile time only)
; SGPRBlocks: 0
; VGPRBlocks: 0
; NumSGPRsForWavesPerEU: 4
; NumVGPRsForWavesPerEU: 1
; AccumOffset: 4
; Occupancy: 8
; WaveLimiterHint : 0
; COMPUTE_PGM_RSRC2:SCRATCH_EN: 0
; COMPUTE_PGM_RSRC2:USER_SGPR: 6
; COMPUTE_PGM_RSRC2:TRAP_HANDLER: 0
; COMPUTE_PGM_RSRC2:TGID_X_EN: 1
; COMPUTE_PGM_RSRC2:TGID_Y_EN: 0
; COMPUTE_PGM_RSRC2:TGID_Z_EN: 0
; COMPUTE_PGM_RSRC2:TIDIG_COMP_CNT: 0
; COMPUTE_PGM_RSRC3_GFX90A:ACCUM_OFFSET: 0
; COMPUTE_PGM_RSRC3_GFX90A:TG_SPLIT: 0
	.section	.text._ZN7rocprim17ROCPRIM_400000_NS6detail17trampoline_kernelINS0_14default_configENS1_35radix_sort_onesweep_config_selectorIllEEZZNS1_29radix_sort_onesweep_iterationIS3_Lb0EPlS7_N6thrust23THRUST_200600_302600_NS10device_ptrIlEESB_jNS0_19identity_decomposerENS1_16block_id_wrapperIjLb1EEEEE10hipError_tT1_PNSt15iterator_traitsISG_E10value_typeET2_T3_PNSH_ISM_E10value_typeET4_T5_PSR_SS_PNS1_23onesweep_lookback_stateEbbT6_jjT7_P12ihipStream_tbENKUlT_T0_SG_SL_E_clIS7_S7_SB_S7_EEDaSZ_S10_SG_SL_EUlSZ_E_NS1_11comp_targetILNS1_3genE4ELNS1_11target_archE910ELNS1_3gpuE8ELNS1_3repE0EEENS1_47radix_sort_onesweep_sort_config_static_selectorELNS0_4arch9wavefront6targetE1EEEvSG_,"axG",@progbits,_ZN7rocprim17ROCPRIM_400000_NS6detail17trampoline_kernelINS0_14default_configENS1_35radix_sort_onesweep_config_selectorIllEEZZNS1_29radix_sort_onesweep_iterationIS3_Lb0EPlS7_N6thrust23THRUST_200600_302600_NS10device_ptrIlEESB_jNS0_19identity_decomposerENS1_16block_id_wrapperIjLb1EEEEE10hipError_tT1_PNSt15iterator_traitsISG_E10value_typeET2_T3_PNSH_ISM_E10value_typeET4_T5_PSR_SS_PNS1_23onesweep_lookback_stateEbbT6_jjT7_P12ihipStream_tbENKUlT_T0_SG_SL_E_clIS7_S7_SB_S7_EEDaSZ_S10_SG_SL_EUlSZ_E_NS1_11comp_targetILNS1_3genE4ELNS1_11target_archE910ELNS1_3gpuE8ELNS1_3repE0EEENS1_47radix_sort_onesweep_sort_config_static_selectorELNS0_4arch9wavefront6targetE1EEEvSG_,comdat
	.protected	_ZN7rocprim17ROCPRIM_400000_NS6detail17trampoline_kernelINS0_14default_configENS1_35radix_sort_onesweep_config_selectorIllEEZZNS1_29radix_sort_onesweep_iterationIS3_Lb0EPlS7_N6thrust23THRUST_200600_302600_NS10device_ptrIlEESB_jNS0_19identity_decomposerENS1_16block_id_wrapperIjLb1EEEEE10hipError_tT1_PNSt15iterator_traitsISG_E10value_typeET2_T3_PNSH_ISM_E10value_typeET4_T5_PSR_SS_PNS1_23onesweep_lookback_stateEbbT6_jjT7_P12ihipStream_tbENKUlT_T0_SG_SL_E_clIS7_S7_SB_S7_EEDaSZ_S10_SG_SL_EUlSZ_E_NS1_11comp_targetILNS1_3genE4ELNS1_11target_archE910ELNS1_3gpuE8ELNS1_3repE0EEENS1_47radix_sort_onesweep_sort_config_static_selectorELNS0_4arch9wavefront6targetE1EEEvSG_ ; -- Begin function _ZN7rocprim17ROCPRIM_400000_NS6detail17trampoline_kernelINS0_14default_configENS1_35radix_sort_onesweep_config_selectorIllEEZZNS1_29radix_sort_onesweep_iterationIS3_Lb0EPlS7_N6thrust23THRUST_200600_302600_NS10device_ptrIlEESB_jNS0_19identity_decomposerENS1_16block_id_wrapperIjLb1EEEEE10hipError_tT1_PNSt15iterator_traitsISG_E10value_typeET2_T3_PNSH_ISM_E10value_typeET4_T5_PSR_SS_PNS1_23onesweep_lookback_stateEbbT6_jjT7_P12ihipStream_tbENKUlT_T0_SG_SL_E_clIS7_S7_SB_S7_EEDaSZ_S10_SG_SL_EUlSZ_E_NS1_11comp_targetILNS1_3genE4ELNS1_11target_archE910ELNS1_3gpuE8ELNS1_3repE0EEENS1_47radix_sort_onesweep_sort_config_static_selectorELNS0_4arch9wavefront6targetE1EEEvSG_
	.globl	_ZN7rocprim17ROCPRIM_400000_NS6detail17trampoline_kernelINS0_14default_configENS1_35radix_sort_onesweep_config_selectorIllEEZZNS1_29radix_sort_onesweep_iterationIS3_Lb0EPlS7_N6thrust23THRUST_200600_302600_NS10device_ptrIlEESB_jNS0_19identity_decomposerENS1_16block_id_wrapperIjLb1EEEEE10hipError_tT1_PNSt15iterator_traitsISG_E10value_typeET2_T3_PNSH_ISM_E10value_typeET4_T5_PSR_SS_PNS1_23onesweep_lookback_stateEbbT6_jjT7_P12ihipStream_tbENKUlT_T0_SG_SL_E_clIS7_S7_SB_S7_EEDaSZ_S10_SG_SL_EUlSZ_E_NS1_11comp_targetILNS1_3genE4ELNS1_11target_archE910ELNS1_3gpuE8ELNS1_3repE0EEENS1_47radix_sort_onesweep_sort_config_static_selectorELNS0_4arch9wavefront6targetE1EEEvSG_
	.p2align	8
	.type	_ZN7rocprim17ROCPRIM_400000_NS6detail17trampoline_kernelINS0_14default_configENS1_35radix_sort_onesweep_config_selectorIllEEZZNS1_29radix_sort_onesweep_iterationIS3_Lb0EPlS7_N6thrust23THRUST_200600_302600_NS10device_ptrIlEESB_jNS0_19identity_decomposerENS1_16block_id_wrapperIjLb1EEEEE10hipError_tT1_PNSt15iterator_traitsISG_E10value_typeET2_T3_PNSH_ISM_E10value_typeET4_T5_PSR_SS_PNS1_23onesweep_lookback_stateEbbT6_jjT7_P12ihipStream_tbENKUlT_T0_SG_SL_E_clIS7_S7_SB_S7_EEDaSZ_S10_SG_SL_EUlSZ_E_NS1_11comp_targetILNS1_3genE4ELNS1_11target_archE910ELNS1_3gpuE8ELNS1_3repE0EEENS1_47radix_sort_onesweep_sort_config_static_selectorELNS0_4arch9wavefront6targetE1EEEvSG_,@function
_ZN7rocprim17ROCPRIM_400000_NS6detail17trampoline_kernelINS0_14default_configENS1_35radix_sort_onesweep_config_selectorIllEEZZNS1_29radix_sort_onesweep_iterationIS3_Lb0EPlS7_N6thrust23THRUST_200600_302600_NS10device_ptrIlEESB_jNS0_19identity_decomposerENS1_16block_id_wrapperIjLb1EEEEE10hipError_tT1_PNSt15iterator_traitsISG_E10value_typeET2_T3_PNSH_ISM_E10value_typeET4_T5_PSR_SS_PNS1_23onesweep_lookback_stateEbbT6_jjT7_P12ihipStream_tbENKUlT_T0_SG_SL_E_clIS7_S7_SB_S7_EEDaSZ_S10_SG_SL_EUlSZ_E_NS1_11comp_targetILNS1_3genE4ELNS1_11target_archE910ELNS1_3gpuE8ELNS1_3repE0EEENS1_47radix_sort_onesweep_sort_config_static_selectorELNS0_4arch9wavefront6targetE1EEEvSG_: ; @_ZN7rocprim17ROCPRIM_400000_NS6detail17trampoline_kernelINS0_14default_configENS1_35radix_sort_onesweep_config_selectorIllEEZZNS1_29radix_sort_onesweep_iterationIS3_Lb0EPlS7_N6thrust23THRUST_200600_302600_NS10device_ptrIlEESB_jNS0_19identity_decomposerENS1_16block_id_wrapperIjLb1EEEEE10hipError_tT1_PNSt15iterator_traitsISG_E10value_typeET2_T3_PNSH_ISM_E10value_typeET4_T5_PSR_SS_PNS1_23onesweep_lookback_stateEbbT6_jjT7_P12ihipStream_tbENKUlT_T0_SG_SL_E_clIS7_S7_SB_S7_EEDaSZ_S10_SG_SL_EUlSZ_E_NS1_11comp_targetILNS1_3genE4ELNS1_11target_archE910ELNS1_3gpuE8ELNS1_3repE0EEENS1_47radix_sort_onesweep_sort_config_static_selectorELNS0_4arch9wavefront6targetE1EEEvSG_
; %bb.0:
	s_load_dwordx4 s[28:31], s[4:5], 0x28
	s_load_dwordx2 s[26:27], s[4:5], 0x38
	s_load_dwordx4 s[44:47], s[4:5], 0x44
	v_and_b32_e32 v8, 0x3ff, v0
	v_cmp_eq_u32_e64 s[0:1], 0, v8
	s_and_saveexec_b64 s[2:3], s[0:1]
	s_cbranch_execz .LBB1145_4
; %bb.1:
	s_mov_b64 s[10:11], exec
	v_mbcnt_lo_u32_b32 v1, s10, 0
	v_mbcnt_hi_u32_b32 v1, s11, v1
	v_cmp_eq_u32_e32 vcc, 0, v1
                                        ; implicit-def: $vgpr2
	s_and_saveexec_b64 s[8:9], vcc
	s_cbranch_execz .LBB1145_3
; %bb.2:
	s_load_dwordx2 s[12:13], s[4:5], 0x50
	s_bcnt1_i32_b64 s7, s[10:11]
	v_mov_b32_e32 v2, 0
	v_mov_b32_e32 v3, s7
	s_waitcnt lgkmcnt(0)
	global_atomic_add v2, v2, v3, s[12:13] glc
.LBB1145_3:
	s_or_b64 exec, exec, s[8:9]
	s_waitcnt vmcnt(0)
	v_readfirstlane_b32 s7, v2
	v_add_u32_e32 v1, s7, v1
	v_mov_b32_e32 v2, 0
	ds_write_b32 v2, v1 offset:20544
.LBB1145_4:
	s_or_b64 exec, exec, s[2:3]
	v_mov_b32_e32 v1, 0
	s_load_dwordx8 s[36:43], s[4:5], 0x0
	s_load_dword s2, s[4:5], 0x20
	s_waitcnt lgkmcnt(0)
	s_barrier
	ds_read_b32 v1, v1 offset:20544
	s_waitcnt lgkmcnt(0)
	s_barrier
	v_readfirstlane_b32 s33, v1
	v_cmp_le_u32_e32 vcc, s46, v1
	s_mul_i32 s34, s33, 0x1800
	v_mbcnt_lo_u32_b32 v1, -1, 0
	s_cbranch_vccz .LBB1145_55
; %bb.5:
	s_mul_i32 s7, s46, 0xffffe800
	s_mov_b32 s35, 0
	s_add_i32 s7, s7, s2
	s_lshl_b64 s[46:47], s[34:35], 3
	v_mbcnt_hi_u32_b32 v6, -1, v1
	s_add_u32 s2, s36, s46
	v_and_b32_e32 v4, 63, v6
	s_addc_u32 s3, s37, s47
	v_and_b32_e32 v2, 0x3c0, v8
	v_lshlrev_b32_e32 v9, 3, v4
	v_mul_u32_u24_e32 v5, 6, v2
	v_mov_b32_e32 v2, s3
	v_add_co_u32_e32 v3, vcc, s2, v9
	v_addc_co_u32_e32 v7, vcc, 0, v2, vcc
	v_lshlrev_b32_e32 v24, 3, v5
	s_mov_b32 s8, -1
	v_add_co_u32_e32 v2, vcc, v3, v24
	s_brev_b32 s9, -2
	v_addc_co_u32_e32 v3, vcc, 0, v7, vcc
	v_or_b32_e32 v4, v4, v5
	v_cmp_gt_u32_e32 vcc, s7, v4
	v_pk_mov_b32 v[10:11], s[8:9], s[8:9] op_sel:[0,1]
	s_and_saveexec_b64 s[2:3], vcc
	s_cbranch_execz .LBB1145_7
; %bb.6:
	global_load_dwordx2 v[10:11], v[2:3], off
.LBB1145_7:
	s_or_b64 exec, exec, s[2:3]
	v_or_b32_e32 v5, 64, v4
	v_cmp_gt_u32_e64 s[2:3], s7, v5
	v_pk_mov_b32 v[12:13], s[8:9], s[8:9] op_sel:[0,1]
	s_and_saveexec_b64 s[8:9], s[2:3]
	s_cbranch_execz .LBB1145_9
; %bb.8:
	global_load_dwordx2 v[12:13], v[2:3], off offset:512
.LBB1145_9:
	s_or_b64 exec, exec, s[8:9]
	s_mov_b32 s10, -1
	v_add_u32_e32 v5, 0x80, v4
	s_brev_b32 s11, -2
	v_cmp_gt_u32_e64 s[22:23], s7, v5
	v_pk_mov_b32 v[14:15], s[10:11], s[10:11] op_sel:[0,1]
	s_and_saveexec_b64 s[8:9], s[22:23]
	s_cbranch_execz .LBB1145_11
; %bb.10:
	global_load_dwordx2 v[14:15], v[2:3], off offset:1024
.LBB1145_11:
	s_or_b64 exec, exec, s[8:9]
	v_add_u32_e32 v5, 0xc0, v4
	v_cmp_gt_u32_e64 s[8:9], s7, v5
	v_pk_mov_b32 v[16:17], s[10:11], s[10:11] op_sel:[0,1]
	s_and_saveexec_b64 s[10:11], s[8:9]
	s_cbranch_execz .LBB1145_13
; %bb.12:
	global_load_dwordx2 v[16:17], v[2:3], off offset:1536
.LBB1145_13:
	s_or_b64 exec, exec, s[10:11]
	s_mov_b32 s14, -1
	v_add_u32_e32 v5, 0x100, v4
	s_brev_b32 s15, -2
	v_cmp_gt_u32_e64 s[10:11], s7, v5
	v_pk_mov_b32 v[18:19], s[14:15], s[14:15] op_sel:[0,1]
	s_and_saveexec_b64 s[12:13], s[10:11]
	s_cbranch_execz .LBB1145_15
; %bb.14:
	global_load_dwordx2 v[18:19], v[2:3], off offset:2048
.LBB1145_15:
	s_or_b64 exec, exec, s[12:13]
	v_add_u32_e32 v4, 0x140, v4
	v_cmp_gt_u32_e64 s[12:13], s7, v4
	v_pk_mov_b32 v[20:21], s[14:15], s[14:15] op_sel:[0,1]
	s_and_saveexec_b64 s[14:15], s[12:13]
	s_cbranch_execz .LBB1145_17
; %bb.16:
	global_load_dwordx2 v[20:21], v[2:3], off offset:2560
.LBB1145_17:
	s_or_b64 exec, exec, s[14:15]
	s_load_dword s14, s[4:5], 0x64
	s_load_dword s35, s[4:5], 0x58
	s_add_u32 s15, s4, 0x58
	s_addc_u32 s16, s5, 0
	v_mov_b32_e32 v2, 0
	s_waitcnt lgkmcnt(0)
	s_lshr_b32 s17, s14, 16
	s_cmp_lt_u32 s6, s35
	s_cselect_b32 s14, 12, 18
	s_add_u32 s14, s15, s14
	s_addc_u32 s15, s16, 0
	global_load_ushort v22, v2, s[14:15]
	s_waitcnt vmcnt(1)
	v_xor_b32_e32 v11, 0x80000000, v11
	v_mul_u32_u24_e32 v4, 5, v8
	s_lshl_b32 s14, -1, s45
	v_lshlrev_b32_e32 v7, 2, v4
	v_lshrrev_b64 v[4:5], s44, v[10:11]
	s_not_b32 s50, s14
	v_and_b32_e32 v4, s50, v4
	v_and_b32_e32 v25, 1, v4
	v_bfe_u32 v3, v0, 10, 10
	v_bfe_u32 v23, v0, 20, 10
	v_add_co_u32_e64 v26, s[14:15], -1, v25
	v_mad_u32_u24 v5, v23, s17, v3
	v_lshlrev_b32_e32 v3, 30, v4
	v_addc_co_u32_e64 v27, s[14:15], 0, -1, s[14:15]
	v_cmp_ne_u32_e64 s[14:15], 0, v25
	v_cmp_gt_i64_e64 s[16:17], 0, v[2:3]
	v_not_b32_e32 v25, v3
	v_lshlrev_b32_e32 v3, 29, v4
	v_xor_b32_e32 v27, s15, v27
	v_xor_b32_e32 v26, s14, v26
	v_ashrrev_i32_e32 v25, 31, v25
	v_cmp_gt_i64_e64 s[14:15], 0, v[2:3]
	v_not_b32_e32 v28, v3
	v_lshlrev_b32_e32 v3, 28, v4
	v_and_b32_e32 v27, exec_hi, v27
	v_and_b32_e32 v26, exec_lo, v26
	v_xor_b32_e32 v29, s17, v25
	v_xor_b32_e32 v25, s16, v25
	v_ashrrev_i32_e32 v28, 31, v28
	v_cmp_gt_i64_e64 s[16:17], 0, v[2:3]
	v_not_b32_e32 v30, v3
	v_lshlrev_b32_e32 v3, 27, v4
	v_and_b32_e32 v27, v27, v29
	v_and_b32_e32 v25, v26, v25
	v_xor_b32_e32 v26, s15, v28
	v_xor_b32_e32 v28, s14, v28
	v_ashrrev_i32_e32 v29, 31, v30
	v_cmp_gt_i64_e64 s[14:15], 0, v[2:3]
	v_not_b32_e32 v30, v3
	v_lshlrev_b32_e32 v3, 26, v4
	v_and_b32_e32 v26, v27, v26
	v_and_b32_e32 v25, v25, v28
	;; [unrolled: 8-line block ×3, first 2 shown]
	v_xor_b32_e32 v27, s15, v29
	v_xor_b32_e32 v28, s14, v29
	v_ashrrev_i32_e32 v29, 31, v30
	v_not_b32_e32 v30, v3
	v_lshl_add_u32 v23, v4, 4, v4
	v_cmp_gt_i64_e64 s[14:15], 0, v[2:3]
	v_lshlrev_b32_e32 v3, 24, v4
	v_and_b32_e32 v4, v26, v27
	v_and_b32_e32 v25, v25, v28
	v_xor_b32_e32 v26, s17, v29
	v_ashrrev_i32_e32 v28, 31, v30
	v_xor_b32_e32 v27, s16, v29
	v_cmp_gt_i64_e64 s[16:17], 0, v[2:3]
	v_not_b32_e32 v3, v3
	v_and_b32_e32 v4, v4, v26
	v_xor_b32_e32 v26, s15, v28
	v_and_b32_e32 v25, v25, v27
	v_xor_b32_e32 v27, s14, v28
	v_and_b32_e32 v26, v4, v26
	v_ashrrev_i32_e32 v3, 31, v3
	v_and_b32_e32 v25, v25, v27
	ds_write2_b32 v7, v2, v2 offset0:16 offset1:17
	ds_write2_b32 v7, v2, v2 offset0:18 offset1:19
	ds_write_b32 v7, v2 offset:80
	s_waitcnt lgkmcnt(0)
	s_barrier
	s_waitcnt lgkmcnt(0)
	; wave barrier
	s_waitcnt vmcnt(0)
	v_mad_u64_u32 v[4:5], s[14:15], v5, v22, v[8:9]
	v_lshrrev_b32_e32 v34, 6, v4
	v_xor_b32_e32 v4, s17, v3
	v_xor_b32_e32 v3, s16, v3
	v_and_b32_e32 v5, v26, v4
	v_and_b32_e32 v4, v25, v3
	v_mbcnt_lo_u32_b32 v3, v4, 0
	v_mbcnt_hi_u32_b32 v22, v5, v3
	v_cmp_eq_u32_e64 s[14:15], 0, v22
	v_cmp_ne_u64_e64 s[16:17], 0, v[4:5]
	v_add_lshl_u32 v27, v34, v23, 2
	s_and_b64 s[16:17], s[16:17], s[14:15]
	s_and_saveexec_b64 s[14:15], s[16:17]
	s_cbranch_execz .LBB1145_19
; %bb.18:
	v_bcnt_u32_b32 v3, v4, 0
	v_bcnt_u32_b32 v3, v5, v3
	ds_write_b32 v27, v3 offset:64
.LBB1145_19:
	s_or_b64 exec, exec, s[14:15]
	v_xor_b32_e32 v13, 0x80000000, v13
	v_lshrrev_b64 v[4:5], s44, v[12:13]
	v_and_b32_e32 v4, s50, v4
	v_lshl_add_u32 v3, v4, 4, v4
	v_add_lshl_u32 v28, v34, v3, 2
	v_and_b32_e32 v3, 1, v4
	v_add_co_u32_e64 v5, s[14:15], -1, v3
	v_addc_co_u32_e64 v25, s[14:15], 0, -1, s[14:15]
	v_cmp_ne_u32_e64 s[14:15], 0, v3
	v_xor_b32_e32 v3, s15, v25
	v_and_b32_e32 v25, exec_hi, v3
	v_lshlrev_b32_e32 v3, 30, v4
	v_xor_b32_e32 v5, s14, v5
	v_cmp_gt_i64_e64 s[14:15], 0, v[2:3]
	v_not_b32_e32 v3, v3
	v_ashrrev_i32_e32 v3, 31, v3
	v_and_b32_e32 v5, exec_lo, v5
	v_xor_b32_e32 v26, s15, v3
	v_xor_b32_e32 v3, s14, v3
	v_and_b32_e32 v5, v5, v3
	v_lshlrev_b32_e32 v3, 29, v4
	v_cmp_gt_i64_e64 s[14:15], 0, v[2:3]
	v_not_b32_e32 v3, v3
	v_ashrrev_i32_e32 v3, 31, v3
	v_and_b32_e32 v25, v25, v26
	v_xor_b32_e32 v26, s15, v3
	v_xor_b32_e32 v3, s14, v3
	v_and_b32_e32 v5, v5, v3
	v_lshlrev_b32_e32 v3, 28, v4
	v_cmp_gt_i64_e64 s[14:15], 0, v[2:3]
	v_not_b32_e32 v3, v3
	v_ashrrev_i32_e32 v3, 31, v3
	v_and_b32_e32 v25, v25, v26
	;; [unrolled: 8-line block ×5, first 2 shown]
	v_xor_b32_e32 v26, s15, v3
	v_xor_b32_e32 v3, s14, v3
	v_and_b32_e32 v5, v5, v3
	v_lshlrev_b32_e32 v3, 24, v4
	v_cmp_gt_i64_e64 s[14:15], 0, v[2:3]
	v_not_b32_e32 v2, v3
	v_ashrrev_i32_e32 v2, 31, v2
	v_xor_b32_e32 v3, s15, v2
	v_xor_b32_e32 v2, s14, v2
	; wave barrier
	ds_read_b32 v23, v28 offset:64
	v_and_b32_e32 v25, v25, v26
	v_and_b32_e32 v2, v5, v2
	;; [unrolled: 1-line block ×3, first 2 shown]
	v_mbcnt_lo_u32_b32 v4, v2, 0
	v_mbcnt_hi_u32_b32 v25, v3, v4
	v_cmp_eq_u32_e64 s[14:15], 0, v25
	v_cmp_ne_u64_e64 s[16:17], 0, v[2:3]
	s_and_b64 s[16:17], s[16:17], s[14:15]
	; wave barrier
	s_and_saveexec_b64 s[14:15], s[16:17]
	s_cbranch_execz .LBB1145_21
; %bb.20:
	v_bcnt_u32_b32 v2, v2, 0
	v_bcnt_u32_b32 v2, v3, v2
	s_waitcnt lgkmcnt(0)
	v_add_u32_e32 v2, v23, v2
	ds_write_b32 v28, v2 offset:64
.LBB1145_21:
	s_or_b64 exec, exec, s[14:15]
	v_xor_b32_e32 v15, 0x80000000, v15
	v_lshrrev_b64 v[2:3], s44, v[14:15]
	v_and_b32_e32 v4, s50, v2
	v_and_b32_e32 v3, 1, v4
	v_add_co_u32_e64 v5, s[14:15], -1, v3
	v_addc_co_u32_e64 v29, s[14:15], 0, -1, s[14:15]
	v_cmp_ne_u32_e64 s[14:15], 0, v3
	v_lshl_add_u32 v2, v4, 4, v4
	v_xor_b32_e32 v3, s15, v29
	v_add_lshl_u32 v31, v34, v2, 2
	v_mov_b32_e32 v2, 0
	v_and_b32_e32 v29, exec_hi, v3
	v_lshlrev_b32_e32 v3, 30, v4
	v_xor_b32_e32 v5, s14, v5
	v_cmp_gt_i64_e64 s[14:15], 0, v[2:3]
	v_not_b32_e32 v3, v3
	v_ashrrev_i32_e32 v3, 31, v3
	v_and_b32_e32 v5, exec_lo, v5
	v_xor_b32_e32 v30, s15, v3
	v_xor_b32_e32 v3, s14, v3
	v_and_b32_e32 v5, v5, v3
	v_lshlrev_b32_e32 v3, 29, v4
	v_cmp_gt_i64_e64 s[14:15], 0, v[2:3]
	v_not_b32_e32 v3, v3
	v_ashrrev_i32_e32 v3, 31, v3
	v_and_b32_e32 v29, v29, v30
	v_xor_b32_e32 v30, s15, v3
	v_xor_b32_e32 v3, s14, v3
	v_and_b32_e32 v5, v5, v3
	v_lshlrev_b32_e32 v3, 28, v4
	v_cmp_gt_i64_e64 s[14:15], 0, v[2:3]
	v_not_b32_e32 v3, v3
	v_ashrrev_i32_e32 v3, 31, v3
	v_and_b32_e32 v29, v29, v30
	;; [unrolled: 8-line block ×5, first 2 shown]
	v_xor_b32_e32 v30, s15, v3
	v_xor_b32_e32 v3, s14, v3
	v_and_b32_e32 v29, v29, v30
	v_and_b32_e32 v30, v5, v3
	v_lshlrev_b32_e32 v3, 24, v4
	v_cmp_gt_i64_e64 s[14:15], 0, v[2:3]
	v_not_b32_e32 v3, v3
	v_ashrrev_i32_e32 v3, 31, v3
	v_xor_b32_e32 v4, s15, v3
	v_xor_b32_e32 v3, s14, v3
	; wave barrier
	ds_read_b32 v26, v31 offset:64
	v_and_b32_e32 v5, v29, v4
	v_and_b32_e32 v4, v30, v3
	v_mbcnt_lo_u32_b32 v3, v4, 0
	v_mbcnt_hi_u32_b32 v29, v5, v3
	v_cmp_eq_u32_e64 s[14:15], 0, v29
	v_cmp_ne_u64_e64 s[16:17], 0, v[4:5]
	s_and_b64 s[16:17], s[16:17], s[14:15]
	; wave barrier
	s_and_saveexec_b64 s[14:15], s[16:17]
	s_cbranch_execz .LBB1145_23
; %bb.22:
	v_bcnt_u32_b32 v3, v4, 0
	v_bcnt_u32_b32 v3, v5, v3
	s_waitcnt lgkmcnt(0)
	v_add_u32_e32 v3, v26, v3
	ds_write_b32 v31, v3 offset:64
.LBB1145_23:
	s_or_b64 exec, exec, s[14:15]
	v_xor_b32_e32 v17, 0x80000000, v17
	v_lshrrev_b64 v[4:5], s44, v[16:17]
	v_and_b32_e32 v4, s50, v4
	v_lshl_add_u32 v3, v4, 4, v4
	v_add_lshl_u32 v35, v34, v3, 2
	v_and_b32_e32 v3, 1, v4
	v_add_co_u32_e64 v5, s[14:15], -1, v3
	v_addc_co_u32_e64 v32, s[14:15], 0, -1, s[14:15]
	v_cmp_ne_u32_e64 s[14:15], 0, v3
	v_xor_b32_e32 v3, s15, v32
	v_and_b32_e32 v32, exec_hi, v3
	v_lshlrev_b32_e32 v3, 30, v4
	v_xor_b32_e32 v5, s14, v5
	v_cmp_gt_i64_e64 s[14:15], 0, v[2:3]
	v_not_b32_e32 v3, v3
	v_ashrrev_i32_e32 v3, 31, v3
	v_and_b32_e32 v5, exec_lo, v5
	v_xor_b32_e32 v33, s15, v3
	v_xor_b32_e32 v3, s14, v3
	v_and_b32_e32 v5, v5, v3
	v_lshlrev_b32_e32 v3, 29, v4
	v_cmp_gt_i64_e64 s[14:15], 0, v[2:3]
	v_not_b32_e32 v3, v3
	v_ashrrev_i32_e32 v3, 31, v3
	v_and_b32_e32 v32, v32, v33
	v_xor_b32_e32 v33, s15, v3
	v_xor_b32_e32 v3, s14, v3
	v_and_b32_e32 v5, v5, v3
	v_lshlrev_b32_e32 v3, 28, v4
	v_cmp_gt_i64_e64 s[14:15], 0, v[2:3]
	v_not_b32_e32 v3, v3
	v_ashrrev_i32_e32 v3, 31, v3
	v_and_b32_e32 v32, v32, v33
	;; [unrolled: 8-line block ×5, first 2 shown]
	v_xor_b32_e32 v33, s15, v3
	v_xor_b32_e32 v3, s14, v3
	v_and_b32_e32 v5, v5, v3
	v_lshlrev_b32_e32 v3, 24, v4
	v_cmp_gt_i64_e64 s[14:15], 0, v[2:3]
	v_not_b32_e32 v2, v3
	v_ashrrev_i32_e32 v2, 31, v2
	v_xor_b32_e32 v3, s15, v2
	v_xor_b32_e32 v2, s14, v2
	; wave barrier
	ds_read_b32 v30, v35 offset:64
	v_and_b32_e32 v32, v32, v33
	v_and_b32_e32 v2, v5, v2
	;; [unrolled: 1-line block ×3, first 2 shown]
	v_mbcnt_lo_u32_b32 v4, v2, 0
	v_mbcnt_hi_u32_b32 v32, v3, v4
	v_cmp_eq_u32_e64 s[14:15], 0, v32
	v_cmp_ne_u64_e64 s[16:17], 0, v[2:3]
	s_and_b64 s[16:17], s[16:17], s[14:15]
	; wave barrier
	s_and_saveexec_b64 s[14:15], s[16:17]
	s_cbranch_execz .LBB1145_25
; %bb.24:
	v_bcnt_u32_b32 v2, v2, 0
	v_bcnt_u32_b32 v2, v3, v2
	s_waitcnt lgkmcnt(0)
	v_add_u32_e32 v2, v30, v2
	ds_write_b32 v35, v2 offset:64
.LBB1145_25:
	s_or_b64 exec, exec, s[14:15]
	v_xor_b32_e32 v19, 0x80000000, v19
	v_lshrrev_b64 v[2:3], s44, v[18:19]
	v_and_b32_e32 v4, s50, v2
	v_and_b32_e32 v3, 1, v4
	v_add_co_u32_e64 v5, s[14:15], -1, v3
	v_addc_co_u32_e64 v36, s[14:15], 0, -1, s[14:15]
	v_cmp_ne_u32_e64 s[14:15], 0, v3
	v_lshl_add_u32 v2, v4, 4, v4
	v_xor_b32_e32 v3, s15, v36
	v_add_lshl_u32 v38, v34, v2, 2
	v_mov_b32_e32 v2, 0
	v_and_b32_e32 v36, exec_hi, v3
	v_lshlrev_b32_e32 v3, 30, v4
	v_xor_b32_e32 v5, s14, v5
	v_cmp_gt_i64_e64 s[14:15], 0, v[2:3]
	v_not_b32_e32 v3, v3
	v_ashrrev_i32_e32 v3, 31, v3
	v_and_b32_e32 v5, exec_lo, v5
	v_xor_b32_e32 v37, s15, v3
	v_xor_b32_e32 v3, s14, v3
	v_and_b32_e32 v5, v5, v3
	v_lshlrev_b32_e32 v3, 29, v4
	v_cmp_gt_i64_e64 s[14:15], 0, v[2:3]
	v_not_b32_e32 v3, v3
	v_ashrrev_i32_e32 v3, 31, v3
	v_and_b32_e32 v36, v36, v37
	v_xor_b32_e32 v37, s15, v3
	v_xor_b32_e32 v3, s14, v3
	v_and_b32_e32 v5, v5, v3
	v_lshlrev_b32_e32 v3, 28, v4
	v_cmp_gt_i64_e64 s[14:15], 0, v[2:3]
	v_not_b32_e32 v3, v3
	v_ashrrev_i32_e32 v3, 31, v3
	v_and_b32_e32 v36, v36, v37
	;; [unrolled: 8-line block ×5, first 2 shown]
	v_xor_b32_e32 v37, s15, v3
	v_xor_b32_e32 v3, s14, v3
	v_and_b32_e32 v36, v36, v37
	v_and_b32_e32 v37, v5, v3
	v_lshlrev_b32_e32 v3, 24, v4
	v_cmp_gt_i64_e64 s[14:15], 0, v[2:3]
	v_not_b32_e32 v3, v3
	v_ashrrev_i32_e32 v3, 31, v3
	v_xor_b32_e32 v4, s15, v3
	v_xor_b32_e32 v3, s14, v3
	; wave barrier
	ds_read_b32 v33, v38 offset:64
	v_and_b32_e32 v5, v36, v4
	v_and_b32_e32 v4, v37, v3
	v_mbcnt_lo_u32_b32 v3, v4, 0
	v_mbcnt_hi_u32_b32 v36, v5, v3
	v_cmp_eq_u32_e64 s[14:15], 0, v36
	v_cmp_ne_u64_e64 s[16:17], 0, v[4:5]
	s_and_b64 s[16:17], s[16:17], s[14:15]
	; wave barrier
	s_and_saveexec_b64 s[14:15], s[16:17]
	s_cbranch_execz .LBB1145_27
; %bb.26:
	v_bcnt_u32_b32 v3, v4, 0
	v_bcnt_u32_b32 v3, v5, v3
	s_waitcnt lgkmcnt(0)
	v_add_u32_e32 v3, v33, v3
	ds_write_b32 v38, v3 offset:64
.LBB1145_27:
	s_or_b64 exec, exec, s[14:15]
	v_xor_b32_e32 v21, 0x80000000, v21
	v_lshrrev_b64 v[4:5], s44, v[20:21]
	v_and_b32_e32 v4, s50, v4
	v_lshl_add_u32 v3, v4, 4, v4
	v_add_lshl_u32 v34, v34, v3, 2
	v_and_b32_e32 v3, 1, v4
	v_add_co_u32_e64 v5, s[14:15], -1, v3
	v_addc_co_u32_e64 v39, s[14:15], 0, -1, s[14:15]
	v_cmp_ne_u32_e64 s[14:15], 0, v3
	v_xor_b32_e32 v3, s15, v39
	v_and_b32_e32 v39, exec_hi, v3
	v_lshlrev_b32_e32 v3, 30, v4
	v_xor_b32_e32 v5, s14, v5
	v_cmp_gt_i64_e64 s[14:15], 0, v[2:3]
	v_not_b32_e32 v3, v3
	v_ashrrev_i32_e32 v3, 31, v3
	v_and_b32_e32 v5, exec_lo, v5
	v_xor_b32_e32 v41, s15, v3
	v_xor_b32_e32 v3, s14, v3
	v_and_b32_e32 v5, v5, v3
	v_lshlrev_b32_e32 v3, 29, v4
	v_cmp_gt_i64_e64 s[14:15], 0, v[2:3]
	v_not_b32_e32 v3, v3
	v_ashrrev_i32_e32 v3, 31, v3
	v_and_b32_e32 v39, v39, v41
	v_xor_b32_e32 v41, s15, v3
	v_xor_b32_e32 v3, s14, v3
	v_and_b32_e32 v5, v5, v3
	v_lshlrev_b32_e32 v3, 28, v4
	v_cmp_gt_i64_e64 s[14:15], 0, v[2:3]
	v_not_b32_e32 v3, v3
	v_ashrrev_i32_e32 v3, 31, v3
	v_and_b32_e32 v39, v39, v41
	;; [unrolled: 8-line block ×5, first 2 shown]
	v_xor_b32_e32 v41, s15, v3
	v_xor_b32_e32 v3, s14, v3
	v_and_b32_e32 v5, v5, v3
	v_lshlrev_b32_e32 v3, 24, v4
	v_cmp_gt_i64_e64 s[14:15], 0, v[2:3]
	v_not_b32_e32 v2, v3
	v_ashrrev_i32_e32 v2, 31, v2
	v_xor_b32_e32 v3, s15, v2
	v_xor_b32_e32 v2, s14, v2
	; wave barrier
	ds_read_b32 v37, v34 offset:64
	v_and_b32_e32 v39, v39, v41
	v_and_b32_e32 v2, v5, v2
	;; [unrolled: 1-line block ×3, first 2 shown]
	v_mbcnt_lo_u32_b32 v4, v2, 0
	v_mbcnt_hi_u32_b32 v39, v3, v4
	v_cmp_eq_u32_e64 s[14:15], 0, v39
	v_cmp_ne_u64_e64 s[16:17], 0, v[2:3]
	v_add_u32_e32 v40, 64, v7
	s_and_b64 s[16:17], s[16:17], s[14:15]
	; wave barrier
	s_and_saveexec_b64 s[14:15], s[16:17]
	s_cbranch_execz .LBB1145_29
; %bb.28:
	v_bcnt_u32_b32 v2, v2, 0
	v_bcnt_u32_b32 v2, v3, v2
	s_waitcnt lgkmcnt(0)
	v_add_u32_e32 v2, v37, v2
	ds_write_b32 v34, v2 offset:64
.LBB1145_29:
	s_or_b64 exec, exec, s[14:15]
	; wave barrier
	s_waitcnt lgkmcnt(0)
	s_barrier
	ds_read2_b32 v[4:5], v7 offset0:16 offset1:17
	ds_read2_b32 v[2:3], v40 offset0:2 offset1:3
	ds_read_b32 v41, v40 offset:16
	v_cmp_lt_u32_e64 s[24:25], 31, v6
	s_waitcnt lgkmcnt(1)
	v_add3_u32 v42, v5, v4, v2
	s_waitcnt lgkmcnt(0)
	v_add3_u32 v41, v42, v3, v41
	v_and_b32_e32 v42, 15, v6
	v_cmp_eq_u32_e64 s[14:15], 0, v42
	v_mov_b32_dpp v43, v41 row_shr:1 row_mask:0xf bank_mask:0xf
	v_cndmask_b32_e64 v43, v43, 0, s[14:15]
	v_add_u32_e32 v41, v43, v41
	v_cmp_lt_u32_e64 s[16:17], 1, v42
	v_cmp_lt_u32_e64 s[18:19], 3, v42
	v_mov_b32_dpp v43, v41 row_shr:2 row_mask:0xf bank_mask:0xf
	v_cndmask_b32_e64 v43, 0, v43, s[16:17]
	v_add_u32_e32 v41, v41, v43
	v_cmp_lt_u32_e64 s[20:21], 7, v42
	s_nop 0
	v_mov_b32_dpp v43, v41 row_shr:4 row_mask:0xf bank_mask:0xf
	v_cndmask_b32_e64 v43, 0, v43, s[18:19]
	v_add_u32_e32 v41, v41, v43
	s_nop 1
	v_mov_b32_dpp v43, v41 row_shr:8 row_mask:0xf bank_mask:0xf
	v_cndmask_b32_e64 v42, 0, v43, s[20:21]
	v_add_u32_e32 v41, v41, v42
	v_bfe_i32 v43, v6, 4, 1
	s_nop 0
	v_mov_b32_dpp v42, v41 row_bcast:15 row_mask:0xf bank_mask:0xf
	v_and_b32_e32 v42, v43, v42
	v_add_u32_e32 v41, v41, v42
	v_and_b32_e32 v43, 63, v8
	s_nop 0
	v_mov_b32_dpp v42, v41 row_bcast:31 row_mask:0xf bank_mask:0xf
	v_cndmask_b32_e64 v42, 0, v42, s[24:25]
	v_add_u32_e32 v41, v41, v42
	v_lshrrev_b32_e32 v42, 6, v8
	v_cmp_eq_u32_e64 s[24:25], 63, v43
	s_and_saveexec_b64 s[48:49], s[24:25]
	s_cbranch_execz .LBB1145_31
; %bb.30:
	v_lshlrev_b32_e32 v43, 2, v42
	ds_write_b32 v43, v41
.LBB1145_31:
	s_or_b64 exec, exec, s[48:49]
	v_cmp_gt_u32_e64 s[24:25], 16, v8
	s_waitcnt lgkmcnt(0)
	s_barrier
	s_and_saveexec_b64 s[48:49], s[24:25]
	s_cbranch_execz .LBB1145_33
; %bb.32:
	v_lshlrev_b32_e32 v43, 2, v8
	ds_read_b32 v44, v43
	s_waitcnt lgkmcnt(0)
	s_nop 0
	v_mov_b32_dpp v45, v44 row_shr:1 row_mask:0xf bank_mask:0xf
	v_cndmask_b32_e64 v45, v45, 0, s[14:15]
	v_add_u32_e32 v44, v45, v44
	s_nop 1
	v_mov_b32_dpp v45, v44 row_shr:2 row_mask:0xf bank_mask:0xf
	v_cndmask_b32_e64 v45, 0, v45, s[16:17]
	v_add_u32_e32 v44, v44, v45
	;; [unrolled: 4-line block ×4, first 2 shown]
	ds_write_b32 v43, v44
.LBB1145_33:
	s_or_b64 exec, exec, s[48:49]
	v_cmp_lt_u32_e64 s[14:15], 63, v8
	v_mov_b32_e32 v43, 0
	s_waitcnt lgkmcnt(0)
	s_barrier
	s_and_saveexec_b64 s[16:17], s[14:15]
	s_cbranch_execz .LBB1145_35
; %bb.34:
	v_lshl_add_u32 v42, v42, 2, -4
	ds_read_b32 v43, v42
.LBB1145_35:
	s_or_b64 exec, exec, s[16:17]
	v_add_u32_e32 v42, -1, v6
	v_and_b32_e32 v44, 64, v6
	v_cmp_lt_i32_e64 s[14:15], v42, v44
	v_cndmask_b32_e64 v42, v42, v6, s[14:15]
	s_waitcnt lgkmcnt(0)
	v_add_u32_e32 v41, v43, v41
	v_lshlrev_b32_e32 v42, 2, v42
	ds_bpermute_b32 v41, v42, v41
	v_cmp_eq_u32_e64 s[14:15], 0, v6
	s_waitcnt lgkmcnt(0)
	v_cndmask_b32_e64 v6, v41, v43, s[14:15]
	v_cndmask_b32_e64 v6, v6, 0, s[0:1]
	v_add_u32_e32 v4, v6, v4
	v_add_u32_e32 v5, v4, v5
	;; [unrolled: 1-line block ×4, first 2 shown]
	ds_write2_b32 v7, v6, v4 offset0:16 offset1:17
	ds_write2_b32 v40, v5, v2 offset0:2 offset1:3
	ds_write_b32 v40, v3 offset:16
	s_waitcnt lgkmcnt(0)
	s_barrier
	ds_read_b32 v43, v27 offset:64
	ds_read_b32 v40, v28 offset:64
	;; [unrolled: 1-line block ×6, first 2 shown]
	s_movk_i32 s14, 0x100
	v_cmp_gt_u32_e64 s[14:15], s14, v8
                                        ; implicit-def: $vgpr27
                                        ; implicit-def: $vgpr28
	s_and_saveexec_b64 s[18:19], s[14:15]
	s_cbranch_execz .LBB1145_39
; %bb.36:
	v_mul_u32_u24_e32 v2, 17, v8
	v_lshlrev_b32_e32 v3, 2, v2
	ds_read_b32 v27, v3 offset:64
	s_movk_i32 s16, 0xff
	v_cmp_ne_u32_e64 s[16:17], s16, v8
	v_mov_b32_e32 v2, 0x1800
	s_and_saveexec_b64 s[20:21], s[16:17]
	s_cbranch_execz .LBB1145_38
; %bb.37:
	ds_read_b32 v2, v3 offset:132
.LBB1145_38:
	s_or_b64 exec, exec, s[20:21]
	s_waitcnt lgkmcnt(0)
	v_sub_u32_e32 v28, v2, v27
.LBB1145_39:
	s_or_b64 exec, exec, s[18:19]
	s_waitcnt lgkmcnt(0)
	s_barrier
	s_and_saveexec_b64 s[18:19], s[14:15]
	s_cbranch_execz .LBB1145_49
; %bb.40:
	v_lshl_or_b32 v2, s33, 8, v8
	v_mov_b32_e32 v3, 0
	v_lshlrev_b64 v[4:5], 2, v[2:3]
	v_mov_b32_e32 v31, s27
	v_add_co_u32_e64 v4, s[16:17], s26, v4
	v_addc_co_u32_e64 v5, s[16:17], v31, v5, s[16:17]
	v_or_b32_e32 v2, 2.0, v28
	s_mov_b64 s[20:21], 0
	s_brev_b32 s51, 1
	s_mov_b32 s52, s33
	v_mov_b32_e32 v34, 0
	global_store_dword v[4:5], v2, off
                                        ; implicit-def: $sgpr16_sgpr17
	s_branch .LBB1145_42
.LBB1145_41:                            ;   in Loop: Header=BB1145_42 Depth=1
	s_or_b64 exec, exec, s[24:25]
	v_and_b32_e32 v6, 0x3fffffff, v35
	v_add_u32_e32 v34, v6, v34
	v_cmp_eq_u32_e64 s[16:17], s51, v2
	s_and_b64 s[24:25], exec, s[16:17]
	s_or_b64 s[20:21], s[24:25], s[20:21]
	s_andn2_b64 exec, exec, s[20:21]
	s_cbranch_execz .LBB1145_48
.LBB1145_42:                            ; =>This Loop Header: Depth=1
                                        ;     Child Loop BB1145_45 Depth 2
	s_or_b64 s[16:17], s[16:17], exec
	s_cmp_eq_u32 s52, 0
	s_cbranch_scc1 .LBB1145_47
; %bb.43:                               ;   in Loop: Header=BB1145_42 Depth=1
	s_add_i32 s52, s52, -1
	v_lshl_or_b32 v2, s52, 8, v8
	v_lshlrev_b64 v[6:7], 2, v[2:3]
	v_add_co_u32_e64 v6, s[16:17], s26, v6
	v_addc_co_u32_e64 v7, s[16:17], v31, v7, s[16:17]
	global_load_dword v35, v[6:7], off glc
	s_waitcnt vmcnt(0)
	v_and_b32_e32 v2, -2.0, v35
	v_cmp_eq_u32_e64 s[16:17], 0, v2
	s_and_saveexec_b64 s[24:25], s[16:17]
	s_cbranch_execz .LBB1145_41
; %bb.44:                               ;   in Loop: Header=BB1145_42 Depth=1
	s_mov_b64 s[48:49], 0
.LBB1145_45:                            ;   Parent Loop BB1145_42 Depth=1
                                        ; =>  This Inner Loop Header: Depth=2
	global_load_dword v35, v[6:7], off glc
	s_waitcnt vmcnt(0)
	v_and_b32_e32 v2, -2.0, v35
	v_cmp_ne_u32_e64 s[16:17], 0, v2
	s_or_b64 s[48:49], s[16:17], s[48:49]
	s_andn2_b64 exec, exec, s[48:49]
	s_cbranch_execnz .LBB1145_45
; %bb.46:                               ;   in Loop: Header=BB1145_42 Depth=1
	s_or_b64 exec, exec, s[48:49]
	s_branch .LBB1145_41
.LBB1145_47:                            ;   in Loop: Header=BB1145_42 Depth=1
                                        ; implicit-def: $sgpr52
	s_and_b64 s[24:25], exec, s[16:17]
	s_or_b64 s[20:21], s[24:25], s[20:21]
	s_andn2_b64 exec, exec, s[20:21]
	s_cbranch_execnz .LBB1145_42
.LBB1145_48:
	s_or_b64 exec, exec, s[20:21]
	v_add_u32_e32 v2, v34, v28
	v_or_b32_e32 v2, 0x80000000, v2
	global_store_dword v[4:5], v2, off
	v_lshlrev_b32_e32 v2, 2, v8
	global_load_dword v3, v2, s[28:29]
	v_sub_u32_e32 v4, v34, v27
	s_waitcnt vmcnt(0)
	v_add_u32_e32 v3, v4, v3
	ds_write_b32 v2, v3
.LBB1145_49:
	s_or_b64 exec, exec, s[18:19]
	v_lshlrev_b32_e32 v34, 3, v8
	v_add_u32_e32 v31, v43, v22
	s_movk_i32 s20, 0x400
	v_add_u32_e32 v35, 0x400, v34
	v_add3_u32 v37, v39, v44, v37
	v_add3_u32 v33, v36, v38, v33
	;; [unrolled: 1-line block ×5, first 2 shown]
	s_mov_b32 s21, 0
	v_mov_b32_e32 v23, 0
	v_mov_b32_e32 v29, v8
	s_mov_b32 s24, 0
                                        ; implicit-def: $vgpr2_vgpr3_vgpr4_vgpr5_vgpr6_vgpr7
	s_branch .LBB1145_51
.LBB1145_50:                            ;   in Loop: Header=BB1145_51 Depth=1
	s_or_b64 exec, exec, s[18:19]
	s_addk_i32 s24, 0xf800
	s_add_i32 s21, s21, 2
	s_cmpk_eq_i32 s24, 0xe800
	v_add_u32_e32 v29, 0x800, v29
	s_barrier
	s_cbranch_scc1 .LBB1145_56
.LBB1145_51:                            ; =>This Inner Loop Header: Depth=1
	v_add_u32_e32 v22, s24, v31
	v_min_u32_e32 v22, 0x800, v22
	v_lshlrev_b32_e32 v22, 3, v22
	ds_write_b64 v22, v[10:11] offset:1024
	v_add_u32_e32 v22, s24, v25
	v_min_u32_e32 v22, 0x800, v22
	v_lshlrev_b32_e32 v22, 3, v22
	ds_write_b64 v22, v[12:13] offset:1024
	;; [unrolled: 4-line block ×5, first 2 shown]
	v_add_u32_e32 v22, s24, v37
	v_min_u32_e32 v22, 0x800, v22
	v_lshlrev_b32_e32 v22, 3, v22
	v_cmp_gt_u32_e64 s[16:17], s7, v29
	ds_write_b64 v22, v[20:21] offset:1024
	s_waitcnt lgkmcnt(0)
	s_barrier
	s_and_saveexec_b64 s[18:19], s[16:17]
	s_cbranch_execz .LBB1145_53
; %bb.52:                               ;   in Loop: Header=BB1145_51 Depth=1
	ds_read_b64 v[38:39], v34 offset:1024
	s_cmp_eq_u32 s21, 5
	s_cselect_b64 s[16:17], -1, 0
	v_mov_b32_e32 v32, s39
	s_cmp_eq_u32 s21, 4
	s_waitcnt lgkmcnt(0)
	v_lshrrev_b64 v[40:41], s44, v[38:39]
	v_and_b32_e32 v36, s50, v40
	v_lshlrev_b32_e32 v22, 2, v36
	ds_read_b32 v22, v22
	v_cndmask_b32_e64 v7, v7, v36, s[16:17]
	v_xor_b32_e32 v39, 0x80000000, v39
	s_waitcnt lgkmcnt(0)
	v_add_u32_e32 v22, v29, v22
	v_lshlrev_b64 v[40:41], 3, v[22:23]
	v_add_co_u32_e64 v40, s[16:17], s38, v40
	v_addc_co_u32_e64 v41, s[16:17], v32, v41, s[16:17]
	s_cselect_b64 s[16:17], -1, 0
	s_cmp_eq_u32 s21, 3
	v_cndmask_b32_e64 v6, v6, v36, s[16:17]
	s_cselect_b64 s[16:17], -1, 0
	s_cmp_eq_u32 s21, 2
	v_cndmask_b32_e64 v5, v5, v36, s[16:17]
	;; [unrolled: 3-line block ×4, first 2 shown]
	s_cselect_b64 s[16:17], -1, 0
	v_cndmask_b32_e64 v2, v2, v36, s[16:17]
	global_store_dwordx2 v[40:41], v[38:39], off
.LBB1145_53:                            ;   in Loop: Header=BB1145_51 Depth=1
	s_or_b64 exec, exec, s[18:19]
	v_add_u32_e32 v22, 0x400, v29
	v_cmp_gt_u32_e64 s[16:17], s7, v22
	s_and_saveexec_b64 s[18:19], s[16:17]
	s_cbranch_execz .LBB1145_50
; %bb.54:                               ;   in Loop: Header=BB1145_51 Depth=1
	ds_read_b64 v[38:39], v35 offset:8192
	v_mov_b32_e32 v36, s39
	s_add_i32 s25, s21, 1
	s_cmp_eq_u32 s25, 5
	s_waitcnt lgkmcnt(0)
	v_lshrrev_b64 v[40:41], s44, v[38:39]
	v_and_b32_e32 v32, s50, v40
	v_lshlrev_b32_e32 v22, 2, v32
	ds_read_b32 v22, v22
	v_xor_b32_e32 v39, 0x80000000, v39
	s_waitcnt lgkmcnt(0)
	v_add3_u32 v22, v29, v22, s20
	v_lshlrev_b64 v[40:41], 3, v[22:23]
	v_add_co_u32_e64 v40, s[16:17], s38, v40
	v_addc_co_u32_e64 v41, s[16:17], v36, v41, s[16:17]
	s_cselect_b64 s[16:17], -1, 0
	s_cmp_eq_u32 s25, 4
	v_cndmask_b32_e64 v7, v7, v32, s[16:17]
	s_cselect_b64 s[16:17], -1, 0
	s_cmp_eq_u32 s25, 3
	v_cndmask_b32_e64 v6, v6, v32, s[16:17]
	;; [unrolled: 3-line block ×5, first 2 shown]
	s_cselect_b64 s[16:17], -1, 0
	v_cndmask_b32_e64 v2, v2, v32, s[16:17]
	global_store_dwordx2 v[40:41], v[38:39], off
	s_branch .LBB1145_50
.LBB1145_55:
	s_mov_b64 s[10:11], 0
                                        ; implicit-def: $vgpr2
	s_cbranch_execnz .LBB1145_72
	s_branch .LBB1145_111
.LBB1145_56:
	s_add_u32 s16, s40, s46
	s_addc_u32 s17, s41, s47
	v_mov_b32_e32 v10, s17
	v_add_co_u32_e64 v9, s[16:17], s16, v9
	v_addc_co_u32_e64 v10, s[16:17], 0, v10, s[16:17]
	v_add_co_u32_e64 v22, s[16:17], v9, v24
	v_addc_co_u32_e64 v23, s[16:17], 0, v10, s[16:17]
                                        ; implicit-def: $vgpr10_vgpr11
	s_and_saveexec_b64 s[16:17], vcc
	s_cbranch_execnz .LBB1145_114
; %bb.57:
	s_or_b64 exec, exec, s[16:17]
                                        ; implicit-def: $vgpr12_vgpr13
	s_and_saveexec_b64 s[16:17], s[2:3]
	s_cbranch_execnz .LBB1145_115
.LBB1145_58:
	s_or_b64 exec, exec, s[16:17]
                                        ; implicit-def: $vgpr14_vgpr15
	s_and_saveexec_b64 s[2:3], s[22:23]
	s_cbranch_execnz .LBB1145_116
.LBB1145_59:
	s_or_b64 exec, exec, s[2:3]
                                        ; implicit-def: $vgpr16_vgpr17
	s_and_saveexec_b64 s[2:3], s[8:9]
	s_cbranch_execnz .LBB1145_117
.LBB1145_60:
	s_or_b64 exec, exec, s[2:3]
                                        ; implicit-def: $vgpr18_vgpr19
	s_and_saveexec_b64 s[2:3], s[10:11]
	s_cbranch_execnz .LBB1145_118
.LBB1145_61:
	s_or_b64 exec, exec, s[2:3]
                                        ; implicit-def: $vgpr20_vgpr21
	s_and_saveexec_b64 s[2:3], s[12:13]
	s_cbranch_execz .LBB1145_63
.LBB1145_62:
	global_load_dwordx2 v[20:21], v[22:23], off offset:2560
.LBB1145_63:
	s_or_b64 exec, exec, s[2:3]
	s_mov_b32 s8, 0
	v_mov_b32_e32 v23, 0
	s_movk_i32 s9, 0x400
	s_mov_b32 s10, 0
	v_mov_b32_e32 v9, v8
	s_waitcnt vmcnt(0)
	s_branch .LBB1145_65
.LBB1145_64:                            ;   in Loop: Header=BB1145_65 Depth=1
	s_or_b64 exec, exec, s[2:3]
	s_addk_i32 s10, 0xf800
	s_add_i32 s8, s8, 2
	s_cmpk_eq_i32 s10, 0xe800
	v_add_u32_e32 v9, 0x800, v9
	s_barrier
	s_cbranch_scc1 .LBB1145_69
.LBB1145_65:                            ; =>This Inner Loop Header: Depth=1
	v_add_u32_e32 v22, s10, v31
	v_min_u32_e32 v22, 0x800, v22
	v_lshlrev_b32_e32 v22, 3, v22
	ds_write_b64 v22, v[10:11] offset:1024
	v_add_u32_e32 v22, s10, v25
	v_min_u32_e32 v22, 0x800, v22
	v_lshlrev_b32_e32 v22, 3, v22
	ds_write_b64 v22, v[12:13] offset:1024
	;; [unrolled: 4-line block ×5, first 2 shown]
	v_add_u32_e32 v22, s10, v37
	v_min_u32_e32 v22, 0x800, v22
	v_lshlrev_b32_e32 v22, 3, v22
	v_cmp_gt_u32_e32 vcc, s7, v9
	ds_write_b64 v22, v[20:21] offset:1024
	s_waitcnt lgkmcnt(0)
	s_barrier
	s_and_saveexec_b64 s[2:3], vcc
	s_cbranch_execz .LBB1145_67
; %bb.66:                               ;   in Loop: Header=BB1145_65 Depth=1
	s_cmp_eq_u32 s8, 1
	s_cselect_b64 vcc, -1, 0
	s_cmp_eq_u32 s8, 2
	v_cndmask_b32_e32 v22, v2, v3, vcc
	s_cselect_b64 vcc, -1, 0
	s_cmp_eq_u32 s8, 3
	v_cndmask_b32_e32 v22, v22, v4, vcc
	;; [unrolled: 3-line block ×4, first 2 shown]
	s_cselect_b64 vcc, -1, 0
	v_cndmask_b32_e32 v22, v22, v7, vcc
	v_lshlrev_b32_e32 v22, 2, v22
	ds_read_b32 v22, v22
	ds_read_b64 v[38:39], v34 offset:1024
	s_waitcnt lgkmcnt(1)
	v_add_u32_e32 v22, v9, v22
	v_lshlrev_b64 v[40:41], 3, v[22:23]
	v_mov_b32_e32 v22, s43
	v_add_co_u32_e32 v40, vcc, s42, v40
	v_addc_co_u32_e32 v41, vcc, v22, v41, vcc
	s_waitcnt lgkmcnt(0)
	global_store_dwordx2 v[40:41], v[38:39], off
.LBB1145_67:                            ;   in Loop: Header=BB1145_65 Depth=1
	s_or_b64 exec, exec, s[2:3]
	v_add_u32_e32 v22, 0x400, v9
	v_cmp_gt_u32_e32 vcc, s7, v22
	s_and_saveexec_b64 s[2:3], vcc
	s_cbranch_execz .LBB1145_64
; %bb.68:                               ;   in Loop: Header=BB1145_65 Depth=1
	s_add_i32 s11, s8, 1
	s_cmp_eq_u32 s11, 1
	s_cselect_b64 vcc, -1, 0
	s_cmp_eq_u32 s11, 2
	v_cndmask_b32_e32 v22, v2, v3, vcc
	s_cselect_b64 vcc, -1, 0
	s_cmp_eq_u32 s11, 3
	v_cndmask_b32_e32 v22, v22, v4, vcc
	;; [unrolled: 3-line block ×4, first 2 shown]
	s_cselect_b64 vcc, -1, 0
	v_cndmask_b32_e32 v22, v22, v7, vcc
	v_lshlrev_b32_e32 v22, 2, v22
	ds_read_b32 v22, v22
	ds_read_b64 v[38:39], v35 offset:8192
	s_waitcnt lgkmcnt(1)
	v_add3_u32 v22, v9, v22, s9
	v_lshlrev_b64 v[40:41], 3, v[22:23]
	v_mov_b32_e32 v22, s43
	v_add_co_u32_e32 v40, vcc, s42, v40
	v_addc_co_u32_e32 v41, vcc, v22, v41, vcc
	s_waitcnt lgkmcnt(0)
	global_store_dwordx2 v[40:41], v[38:39], off
	s_branch .LBB1145_64
.LBB1145_69:
	s_add_i32 s35, s35, -1
	s_cmp_eq_u32 s35, s33
	s_cselect_b64 s[2:3], -1, 0
	s_and_b64 s[8:9], s[14:15], s[2:3]
	s_mov_b64 s[2:3], 0
	s_mov_b64 s[10:11], 0
                                        ; implicit-def: $vgpr2
	s_and_saveexec_b64 s[12:13], s[8:9]
	s_xor_b64 s[8:9], exec, s[12:13]
; %bb.70:
	s_mov_b64 s[10:11], exec
	v_add_u32_e32 v2, v27, v28
; %bb.71:
	s_or_b64 exec, exec, s[8:9]
	s_and_b64 vcc, exec, s[2:3]
	s_cbranch_vccz .LBB1145_111
.LBB1145_72:
	s_mov_b32 s35, 0
	v_mbcnt_hi_u32_b32 v18, -1, v1
	s_lshl_b64 s[12:13], s[34:35], 3
	v_and_b32_e32 v1, 63, v18
	s_add_u32 s2, s36, s12
	v_lshlrev_b32_e32 v9, 3, v1
	v_add_co_u32_e32 v3, vcc, s2, v9
	s_load_dword s16, s[4:5], 0x58
	s_load_dword s2, s[4:5], 0x64
	s_addc_u32 s3, s37, s13
	v_and_b32_e32 v2, 0x3c0, v8
	v_mul_u32_u24_e32 v2, 6, v2
	v_mov_b32_e32 v1, s3
	v_addc_co_u32_e32 v1, vcc, 0, v1, vcc
	v_lshlrev_b32_e32 v20, 3, v2
	s_add_u32 s3, s4, 0x58
	v_add_co_u32_e32 v16, vcc, v3, v20
	s_addc_u32 s4, s5, 0
	s_waitcnt lgkmcnt(0)
	s_lshr_b32 s5, s2, 16
	v_addc_co_u32_e32 v17, vcc, 0, v1, vcc
	s_cmp_lt_u32 s6, s16
	global_load_dwordx2 v[2:3], v[16:17], off
	s_cselect_b32 s2, 12, 18
	s_add_u32 s2, s3, s2
	v_mov_b32_e32 v14, 0
	s_addc_u32 s3, s4, 0
	global_load_ushort v15, v14, s[2:3]
	v_mul_u32_u24_e32 v4, 5, v8
	v_lshlrev_b32_e32 v19, 2, v4
	v_bfe_u32 v1, v0, 10, 10
	v_bfe_u32 v0, v0, 20, 10
	ds_write2_b32 v19, v14, v14 offset0:16 offset1:17
	ds_write2_b32 v19, v14, v14 offset0:18 offset1:19
	ds_write_b32 v19, v14 offset:80
	v_mad_u32_u24 v21, v0, s5, v1
	global_load_dwordx2 v[0:1], v[16:17], off offset:512
	global_load_dwordx2 v[4:5], v[16:17], off offset:1024
	;; [unrolled: 1-line block ×5, first 2 shown]
	s_lshl_b32 s2, -1, s45
	s_not_b32 s17, s2
	s_waitcnt lgkmcnt(0)
	s_barrier
	s_waitcnt lgkmcnt(0)
	; wave barrier
	s_waitcnt vmcnt(6)
	v_xor_b32_e32 v3, 0x80000000, v3
	v_lshrrev_b64 v[16:17], s44, v[2:3]
	v_and_b32_e32 v22, s17, v16
	s_waitcnt vmcnt(5)
	v_mad_u64_u32 v[16:17], s[2:3], v21, v15, v[8:9]
	v_and_b32_e32 v21, 1, v22
	v_lshrrev_b32_e32 v29, 6, v16
	v_add_co_u32_e32 v16, vcc, -1, v21
	v_lshlrev_b32_e32 v15, 30, v22
	v_addc_co_u32_e64 v24, s[2:3], 0, -1, vcc
	v_lshl_add_u32 v17, v22, 4, v22
	v_cmp_ne_u32_e32 vcc, 0, v21
	v_cmp_gt_i64_e64 s[2:3], 0, v[14:15]
	v_not_b32_e32 v21, v15
	v_lshlrev_b32_e32 v15, 29, v22
	v_add_lshl_u32 v23, v29, v17, 2
	v_xor_b32_e32 v17, vcc_hi, v24
	v_xor_b32_e32 v16, vcc_lo, v16
	v_ashrrev_i32_e32 v21, 31, v21
	v_cmp_gt_i64_e32 vcc, 0, v[14:15]
	v_not_b32_e32 v24, v15
	v_lshlrev_b32_e32 v15, 28, v22
	v_and_b32_e32 v17, exec_hi, v17
	v_and_b32_e32 v16, exec_lo, v16
	v_xor_b32_e32 v25, s3, v21
	v_xor_b32_e32 v21, s2, v21
	v_ashrrev_i32_e32 v24, 31, v24
	v_cmp_gt_i64_e64 s[2:3], 0, v[14:15]
	v_not_b32_e32 v26, v15
	v_lshlrev_b32_e32 v15, 27, v22
	v_and_b32_e32 v17, v17, v25
	v_and_b32_e32 v16, v16, v21
	v_xor_b32_e32 v21, vcc_hi, v24
	v_xor_b32_e32 v24, vcc_lo, v24
	v_ashrrev_i32_e32 v25, 31, v26
	v_cmp_gt_i64_e32 vcc, 0, v[14:15]
	v_not_b32_e32 v15, v15
	v_and_b32_e32 v17, v17, v21
	v_and_b32_e32 v16, v16, v24
	v_xor_b32_e32 v21, s3, v25
	v_xor_b32_e32 v24, s2, v25
	v_ashrrev_i32_e32 v15, 31, v15
	v_and_b32_e32 v17, v17, v21
	v_and_b32_e32 v16, v16, v24
	v_xor_b32_e32 v21, vcc_hi, v15
	v_xor_b32_e32 v15, vcc_lo, v15
	v_and_b32_e32 v16, v16, v15
	v_lshlrev_b32_e32 v15, 26, v22
	v_cmp_gt_i64_e32 vcc, 0, v[14:15]
	v_not_b32_e32 v15, v15
	v_ashrrev_i32_e32 v15, 31, v15
	v_and_b32_e32 v17, v17, v21
	v_xor_b32_e32 v21, vcc_hi, v15
	v_xor_b32_e32 v15, vcc_lo, v15
	v_and_b32_e32 v16, v16, v15
	v_lshlrev_b32_e32 v15, 25, v22
	v_cmp_gt_i64_e32 vcc, 0, v[14:15]
	v_not_b32_e32 v15, v15
	v_ashrrev_i32_e32 v15, 31, v15
	;; [unrolled: 8-line block ×3, first 2 shown]
	v_and_b32_e32 v17, v17, v21
	v_xor_b32_e32 v21, vcc_hi, v15
	v_xor_b32_e32 v15, vcc_lo, v15
	v_and_b32_e32 v16, v16, v15
	v_and_b32_e32 v17, v17, v21
	v_mbcnt_lo_u32_b32 v15, v16, 0
	v_mbcnt_hi_u32_b32 v21, v17, v15
	v_cmp_eq_u32_e32 vcc, 0, v21
	v_cmp_ne_u64_e64 s[2:3], 0, v[16:17]
	s_and_b64 s[4:5], s[2:3], vcc
	s_and_saveexec_b64 s[2:3], s[4:5]
	s_cbranch_execz .LBB1145_74
; %bb.73:
	v_bcnt_u32_b32 v15, v16, 0
	v_bcnt_u32_b32 v15, v17, v15
	ds_write_b32 v23, v15 offset:64
.LBB1145_74:
	s_or_b64 exec, exec, s[2:3]
	s_waitcnt vmcnt(4)
	v_xor_b32_e32 v1, 0x80000000, v1
	v_lshrrev_b64 v[16:17], s44, v[0:1]
	v_and_b32_e32 v16, s17, v16
	v_lshl_add_u32 v15, v16, 4, v16
	v_add_lshl_u32 v26, v29, v15, 2
	v_and_b32_e32 v15, 1, v16
	v_add_co_u32_e32 v17, vcc, -1, v15
	v_addc_co_u32_e64 v24, s[2:3], 0, -1, vcc
	v_cmp_ne_u32_e32 vcc, 0, v15
	v_xor_b32_e32 v15, vcc_hi, v24
	v_and_b32_e32 v24, exec_hi, v15
	v_lshlrev_b32_e32 v15, 30, v16
	v_xor_b32_e32 v17, vcc_lo, v17
	v_cmp_gt_i64_e32 vcc, 0, v[14:15]
	v_not_b32_e32 v15, v15
	v_ashrrev_i32_e32 v15, 31, v15
	v_and_b32_e32 v17, exec_lo, v17
	v_xor_b32_e32 v25, vcc_hi, v15
	v_xor_b32_e32 v15, vcc_lo, v15
	v_and_b32_e32 v17, v17, v15
	v_lshlrev_b32_e32 v15, 29, v16
	v_cmp_gt_i64_e32 vcc, 0, v[14:15]
	v_not_b32_e32 v15, v15
	v_ashrrev_i32_e32 v15, 31, v15
	v_and_b32_e32 v24, v24, v25
	v_xor_b32_e32 v25, vcc_hi, v15
	v_xor_b32_e32 v15, vcc_lo, v15
	v_and_b32_e32 v17, v17, v15
	v_lshlrev_b32_e32 v15, 28, v16
	v_cmp_gt_i64_e32 vcc, 0, v[14:15]
	v_not_b32_e32 v15, v15
	v_ashrrev_i32_e32 v15, 31, v15
	v_and_b32_e32 v24, v24, v25
	;; [unrolled: 8-line block ×5, first 2 shown]
	v_xor_b32_e32 v25, vcc_hi, v15
	v_xor_b32_e32 v15, vcc_lo, v15
	v_and_b32_e32 v17, v17, v15
	v_lshlrev_b32_e32 v15, 24, v16
	v_cmp_gt_i64_e32 vcc, 0, v[14:15]
	v_not_b32_e32 v14, v15
	v_ashrrev_i32_e32 v14, 31, v14
	v_xor_b32_e32 v15, vcc_hi, v14
	v_xor_b32_e32 v14, vcc_lo, v14
	; wave barrier
	ds_read_b32 v22, v26 offset:64
	v_and_b32_e32 v24, v24, v25
	v_and_b32_e32 v14, v17, v14
	;; [unrolled: 1-line block ×3, first 2 shown]
	v_mbcnt_lo_u32_b32 v16, v14, 0
	v_mbcnt_hi_u32_b32 v24, v15, v16
	v_cmp_eq_u32_e32 vcc, 0, v24
	v_cmp_ne_u64_e64 s[2:3], 0, v[14:15]
	s_and_b64 s[4:5], s[2:3], vcc
	; wave barrier
	s_and_saveexec_b64 s[2:3], s[4:5]
	s_cbranch_execz .LBB1145_76
; %bb.75:
	v_bcnt_u32_b32 v14, v14, 0
	v_bcnt_u32_b32 v14, v15, v14
	s_waitcnt lgkmcnt(0)
	v_add_u32_e32 v14, v22, v14
	ds_write_b32 v26, v14 offset:64
.LBB1145_76:
	s_or_b64 exec, exec, s[2:3]
	s_waitcnt vmcnt(3)
	v_xor_b32_e32 v5, 0x80000000, v5
	v_lshrrev_b64 v[14:15], s44, v[4:5]
	v_and_b32_e32 v16, s17, v14
	v_and_b32_e32 v15, 1, v16
	v_add_co_u32_e32 v17, vcc, -1, v15
	v_addc_co_u32_e64 v27, s[2:3], 0, -1, vcc
	v_cmp_ne_u32_e32 vcc, 0, v15
	v_lshl_add_u32 v14, v16, 4, v16
	v_xor_b32_e32 v15, vcc_hi, v27
	v_add_lshl_u32 v30, v29, v14, 2
	v_mov_b32_e32 v14, 0
	v_and_b32_e32 v27, exec_hi, v15
	v_lshlrev_b32_e32 v15, 30, v16
	v_xor_b32_e32 v17, vcc_lo, v17
	v_cmp_gt_i64_e32 vcc, 0, v[14:15]
	v_not_b32_e32 v15, v15
	v_ashrrev_i32_e32 v15, 31, v15
	v_and_b32_e32 v17, exec_lo, v17
	v_xor_b32_e32 v28, vcc_hi, v15
	v_xor_b32_e32 v15, vcc_lo, v15
	v_and_b32_e32 v17, v17, v15
	v_lshlrev_b32_e32 v15, 29, v16
	v_cmp_gt_i64_e32 vcc, 0, v[14:15]
	v_not_b32_e32 v15, v15
	v_ashrrev_i32_e32 v15, 31, v15
	v_and_b32_e32 v27, v27, v28
	v_xor_b32_e32 v28, vcc_hi, v15
	v_xor_b32_e32 v15, vcc_lo, v15
	v_and_b32_e32 v17, v17, v15
	v_lshlrev_b32_e32 v15, 28, v16
	v_cmp_gt_i64_e32 vcc, 0, v[14:15]
	v_not_b32_e32 v15, v15
	v_ashrrev_i32_e32 v15, 31, v15
	v_and_b32_e32 v27, v27, v28
	;; [unrolled: 8-line block ×5, first 2 shown]
	v_xor_b32_e32 v28, vcc_hi, v15
	v_xor_b32_e32 v15, vcc_lo, v15
	v_and_b32_e32 v27, v27, v28
	v_and_b32_e32 v28, v17, v15
	v_lshlrev_b32_e32 v15, 24, v16
	v_cmp_gt_i64_e32 vcc, 0, v[14:15]
	v_not_b32_e32 v15, v15
	v_ashrrev_i32_e32 v15, 31, v15
	v_xor_b32_e32 v16, vcc_hi, v15
	v_xor_b32_e32 v15, vcc_lo, v15
	; wave barrier
	ds_read_b32 v25, v30 offset:64
	v_and_b32_e32 v17, v27, v16
	v_and_b32_e32 v16, v28, v15
	v_mbcnt_lo_u32_b32 v15, v16, 0
	v_mbcnt_hi_u32_b32 v27, v17, v15
	v_cmp_eq_u32_e32 vcc, 0, v27
	v_cmp_ne_u64_e64 s[2:3], 0, v[16:17]
	s_and_b64 s[4:5], s[2:3], vcc
	; wave barrier
	s_and_saveexec_b64 s[2:3], s[4:5]
	s_cbranch_execz .LBB1145_78
; %bb.77:
	v_bcnt_u32_b32 v15, v16, 0
	v_bcnt_u32_b32 v15, v17, v15
	s_waitcnt lgkmcnt(0)
	v_add_u32_e32 v15, v25, v15
	ds_write_b32 v30, v15 offset:64
.LBB1145_78:
	s_or_b64 exec, exec, s[2:3]
	s_waitcnt vmcnt(2)
	v_xor_b32_e32 v7, 0x80000000, v7
	v_lshrrev_b64 v[16:17], s44, v[6:7]
	v_and_b32_e32 v16, s17, v16
	v_lshl_add_u32 v15, v16, 4, v16
	v_add_lshl_u32 v33, v29, v15, 2
	v_and_b32_e32 v15, 1, v16
	v_add_co_u32_e32 v17, vcc, -1, v15
	v_addc_co_u32_e64 v31, s[2:3], 0, -1, vcc
	v_cmp_ne_u32_e32 vcc, 0, v15
	v_xor_b32_e32 v15, vcc_hi, v31
	v_and_b32_e32 v31, exec_hi, v15
	v_lshlrev_b32_e32 v15, 30, v16
	v_xor_b32_e32 v17, vcc_lo, v17
	v_cmp_gt_i64_e32 vcc, 0, v[14:15]
	v_not_b32_e32 v15, v15
	v_ashrrev_i32_e32 v15, 31, v15
	v_and_b32_e32 v17, exec_lo, v17
	v_xor_b32_e32 v32, vcc_hi, v15
	v_xor_b32_e32 v15, vcc_lo, v15
	v_and_b32_e32 v17, v17, v15
	v_lshlrev_b32_e32 v15, 29, v16
	v_cmp_gt_i64_e32 vcc, 0, v[14:15]
	v_not_b32_e32 v15, v15
	v_ashrrev_i32_e32 v15, 31, v15
	v_and_b32_e32 v31, v31, v32
	v_xor_b32_e32 v32, vcc_hi, v15
	v_xor_b32_e32 v15, vcc_lo, v15
	v_and_b32_e32 v17, v17, v15
	v_lshlrev_b32_e32 v15, 28, v16
	v_cmp_gt_i64_e32 vcc, 0, v[14:15]
	v_not_b32_e32 v15, v15
	v_ashrrev_i32_e32 v15, 31, v15
	v_and_b32_e32 v31, v31, v32
	;; [unrolled: 8-line block ×5, first 2 shown]
	v_xor_b32_e32 v32, vcc_hi, v15
	v_xor_b32_e32 v15, vcc_lo, v15
	v_and_b32_e32 v17, v17, v15
	v_lshlrev_b32_e32 v15, 24, v16
	v_cmp_gt_i64_e32 vcc, 0, v[14:15]
	v_not_b32_e32 v14, v15
	v_ashrrev_i32_e32 v14, 31, v14
	v_xor_b32_e32 v15, vcc_hi, v14
	v_xor_b32_e32 v14, vcc_lo, v14
	; wave barrier
	ds_read_b32 v28, v33 offset:64
	v_and_b32_e32 v31, v31, v32
	v_and_b32_e32 v14, v17, v14
	;; [unrolled: 1-line block ×3, first 2 shown]
	v_mbcnt_lo_u32_b32 v16, v14, 0
	v_mbcnt_hi_u32_b32 v31, v15, v16
	v_cmp_eq_u32_e32 vcc, 0, v31
	v_cmp_ne_u64_e64 s[2:3], 0, v[14:15]
	s_and_b64 s[4:5], s[2:3], vcc
	; wave barrier
	s_and_saveexec_b64 s[2:3], s[4:5]
	s_cbranch_execz .LBB1145_80
; %bb.79:
	v_bcnt_u32_b32 v14, v14, 0
	v_bcnt_u32_b32 v14, v15, v14
	s_waitcnt lgkmcnt(0)
	v_add_u32_e32 v14, v28, v14
	ds_write_b32 v33, v14 offset:64
.LBB1145_80:
	s_or_b64 exec, exec, s[2:3]
	s_waitcnt vmcnt(1)
	v_xor_b32_e32 v11, 0x80000000, v11
	v_lshrrev_b64 v[14:15], s44, v[10:11]
	v_and_b32_e32 v16, s17, v14
	v_and_b32_e32 v15, 1, v16
	v_add_co_u32_e32 v17, vcc, -1, v15
	v_addc_co_u32_e64 v34, s[2:3], 0, -1, vcc
	v_cmp_ne_u32_e32 vcc, 0, v15
	v_lshl_add_u32 v14, v16, 4, v16
	v_xor_b32_e32 v15, vcc_hi, v34
	v_add_lshl_u32 v35, v29, v14, 2
	v_mov_b32_e32 v14, 0
	v_and_b32_e32 v34, exec_hi, v15
	v_lshlrev_b32_e32 v15, 30, v16
	v_xor_b32_e32 v17, vcc_lo, v17
	v_cmp_gt_i64_e32 vcc, 0, v[14:15]
	v_not_b32_e32 v15, v15
	v_ashrrev_i32_e32 v15, 31, v15
	v_and_b32_e32 v17, exec_lo, v17
	v_xor_b32_e32 v36, vcc_hi, v15
	v_xor_b32_e32 v15, vcc_lo, v15
	v_and_b32_e32 v17, v17, v15
	v_lshlrev_b32_e32 v15, 29, v16
	v_cmp_gt_i64_e32 vcc, 0, v[14:15]
	v_not_b32_e32 v15, v15
	v_ashrrev_i32_e32 v15, 31, v15
	v_and_b32_e32 v34, v34, v36
	v_xor_b32_e32 v36, vcc_hi, v15
	v_xor_b32_e32 v15, vcc_lo, v15
	v_and_b32_e32 v17, v17, v15
	v_lshlrev_b32_e32 v15, 28, v16
	v_cmp_gt_i64_e32 vcc, 0, v[14:15]
	v_not_b32_e32 v15, v15
	v_ashrrev_i32_e32 v15, 31, v15
	v_and_b32_e32 v34, v34, v36
	;; [unrolled: 8-line block ×5, first 2 shown]
	v_xor_b32_e32 v36, vcc_hi, v15
	v_xor_b32_e32 v15, vcc_lo, v15
	v_and_b32_e32 v34, v34, v36
	v_and_b32_e32 v36, v17, v15
	v_lshlrev_b32_e32 v15, 24, v16
	v_cmp_gt_i64_e32 vcc, 0, v[14:15]
	v_not_b32_e32 v15, v15
	v_ashrrev_i32_e32 v15, 31, v15
	v_xor_b32_e32 v16, vcc_hi, v15
	v_xor_b32_e32 v15, vcc_lo, v15
	; wave barrier
	ds_read_b32 v32, v35 offset:64
	v_and_b32_e32 v17, v34, v16
	v_and_b32_e32 v16, v36, v15
	v_mbcnt_lo_u32_b32 v15, v16, 0
	v_mbcnt_hi_u32_b32 v34, v17, v15
	v_cmp_eq_u32_e32 vcc, 0, v34
	v_cmp_ne_u64_e64 s[2:3], 0, v[16:17]
	s_and_b64 s[4:5], s[2:3], vcc
	; wave barrier
	s_and_saveexec_b64 s[2:3], s[4:5]
	s_cbranch_execz .LBB1145_82
; %bb.81:
	v_bcnt_u32_b32 v15, v16, 0
	v_bcnt_u32_b32 v15, v17, v15
	s_waitcnt lgkmcnt(0)
	v_add_u32_e32 v15, v32, v15
	ds_write_b32 v35, v15 offset:64
.LBB1145_82:
	s_or_b64 exec, exec, s[2:3]
	s_waitcnt vmcnt(0)
	v_xor_b32_e32 v13, 0x80000000, v13
	v_lshrrev_b64 v[16:17], s44, v[12:13]
	v_and_b32_e32 v16, s17, v16
	v_lshl_add_u32 v15, v16, 4, v16
	v_add_lshl_u32 v38, v29, v15, 2
	v_and_b32_e32 v15, 1, v16
	v_add_co_u32_e32 v17, vcc, -1, v15
	v_addc_co_u32_e64 v36, s[2:3], 0, -1, vcc
	v_cmp_ne_u32_e32 vcc, 0, v15
	v_xor_b32_e32 v15, vcc_hi, v36
	v_and_b32_e32 v36, exec_hi, v15
	v_lshlrev_b32_e32 v15, 30, v16
	v_xor_b32_e32 v17, vcc_lo, v17
	v_cmp_gt_i64_e32 vcc, 0, v[14:15]
	v_not_b32_e32 v15, v15
	v_ashrrev_i32_e32 v15, 31, v15
	v_and_b32_e32 v17, exec_lo, v17
	v_xor_b32_e32 v39, vcc_hi, v15
	v_xor_b32_e32 v15, vcc_lo, v15
	v_and_b32_e32 v17, v17, v15
	v_lshlrev_b32_e32 v15, 29, v16
	v_cmp_gt_i64_e32 vcc, 0, v[14:15]
	v_not_b32_e32 v15, v15
	v_ashrrev_i32_e32 v15, 31, v15
	v_and_b32_e32 v36, v36, v39
	v_xor_b32_e32 v39, vcc_hi, v15
	v_xor_b32_e32 v15, vcc_lo, v15
	v_and_b32_e32 v17, v17, v15
	v_lshlrev_b32_e32 v15, 28, v16
	v_cmp_gt_i64_e32 vcc, 0, v[14:15]
	v_not_b32_e32 v15, v15
	v_ashrrev_i32_e32 v15, 31, v15
	v_and_b32_e32 v36, v36, v39
	;; [unrolled: 8-line block ×5, first 2 shown]
	v_xor_b32_e32 v39, vcc_hi, v15
	v_xor_b32_e32 v15, vcc_lo, v15
	v_and_b32_e32 v17, v17, v15
	v_lshlrev_b32_e32 v15, 24, v16
	v_cmp_gt_i64_e32 vcc, 0, v[14:15]
	v_not_b32_e32 v14, v15
	v_ashrrev_i32_e32 v14, 31, v14
	v_xor_b32_e32 v15, vcc_hi, v14
	v_xor_b32_e32 v14, vcc_lo, v14
	; wave barrier
	ds_read_b32 v29, v38 offset:64
	v_and_b32_e32 v36, v36, v39
	v_and_b32_e32 v14, v17, v14
	;; [unrolled: 1-line block ×3, first 2 shown]
	v_mbcnt_lo_u32_b32 v16, v14, 0
	v_mbcnt_hi_u32_b32 v36, v15, v16
	v_cmp_eq_u32_e32 vcc, 0, v36
	v_cmp_ne_u64_e64 s[2:3], 0, v[14:15]
	v_add_u32_e32 v37, 64, v19
	s_and_b64 s[4:5], s[2:3], vcc
	; wave barrier
	s_and_saveexec_b64 s[2:3], s[4:5]
	s_cbranch_execz .LBB1145_84
; %bb.83:
	v_bcnt_u32_b32 v14, v14, 0
	v_bcnt_u32_b32 v14, v15, v14
	s_waitcnt lgkmcnt(0)
	v_add_u32_e32 v14, v29, v14
	ds_write_b32 v38, v14 offset:64
.LBB1145_84:
	s_or_b64 exec, exec, s[2:3]
	; wave barrier
	s_waitcnt lgkmcnt(0)
	s_barrier
	ds_read2_b32 v[16:17], v19 offset0:16 offset1:17
	ds_read2_b32 v[14:15], v37 offset0:2 offset1:3
	ds_read_b32 v39, v37 offset:16
	v_cmp_lt_u32_e64 s[8:9], 31, v18
	s_waitcnt lgkmcnt(1)
	v_add3_u32 v40, v17, v16, v14
	s_waitcnt lgkmcnt(0)
	v_add3_u32 v39, v40, v15, v39
	v_and_b32_e32 v40, 15, v18
	v_cmp_eq_u32_e32 vcc, 0, v40
	v_mov_b32_dpp v41, v39 row_shr:1 row_mask:0xf bank_mask:0xf
	v_cndmask_b32_e64 v41, v41, 0, vcc
	v_add_u32_e32 v39, v41, v39
	v_cmp_lt_u32_e64 s[2:3], 1, v40
	v_cmp_lt_u32_e64 s[4:5], 3, v40
	v_mov_b32_dpp v41, v39 row_shr:2 row_mask:0xf bank_mask:0xf
	v_cndmask_b32_e64 v41, 0, v41, s[2:3]
	v_add_u32_e32 v39, v39, v41
	v_cmp_lt_u32_e64 s[6:7], 7, v40
	s_nop 0
	v_mov_b32_dpp v41, v39 row_shr:4 row_mask:0xf bank_mask:0xf
	v_cndmask_b32_e64 v41, 0, v41, s[4:5]
	v_add_u32_e32 v39, v39, v41
	s_nop 1
	v_mov_b32_dpp v41, v39 row_shr:8 row_mask:0xf bank_mask:0xf
	v_cndmask_b32_e64 v40, 0, v41, s[6:7]
	v_add_u32_e32 v39, v39, v40
	v_bfe_i32 v41, v18, 4, 1
	s_nop 0
	v_mov_b32_dpp v40, v39 row_bcast:15 row_mask:0xf bank_mask:0xf
	v_and_b32_e32 v40, v41, v40
	v_add_u32_e32 v39, v39, v40
	v_and_b32_e32 v41, 63, v8
	s_nop 0
	v_mov_b32_dpp v40, v39 row_bcast:31 row_mask:0xf bank_mask:0xf
	v_cndmask_b32_e64 v40, 0, v40, s[8:9]
	v_add_u32_e32 v39, v39, v40
	v_lshrrev_b32_e32 v40, 6, v8
	v_cmp_eq_u32_e64 s[8:9], 63, v41
	s_and_saveexec_b64 s[14:15], s[8:9]
	s_cbranch_execz .LBB1145_86
; %bb.85:
	v_lshlrev_b32_e32 v41, 2, v40
	ds_write_b32 v41, v39
.LBB1145_86:
	s_or_b64 exec, exec, s[14:15]
	v_cmp_gt_u32_e64 s[8:9], 16, v8
	s_waitcnt lgkmcnt(0)
	s_barrier
	s_and_saveexec_b64 s[14:15], s[8:9]
	s_cbranch_execz .LBB1145_88
; %bb.87:
	v_lshlrev_b32_e32 v41, 2, v8
	ds_read_b32 v42, v41
	s_waitcnt lgkmcnt(0)
	s_nop 0
	v_mov_b32_dpp v43, v42 row_shr:1 row_mask:0xf bank_mask:0xf
	v_cndmask_b32_e64 v43, v43, 0, vcc
	v_add_u32_e32 v42, v43, v42
	s_nop 1
	v_mov_b32_dpp v43, v42 row_shr:2 row_mask:0xf bank_mask:0xf
	v_cndmask_b32_e64 v43, 0, v43, s[2:3]
	v_add_u32_e32 v42, v42, v43
	s_nop 1
	v_mov_b32_dpp v43, v42 row_shr:4 row_mask:0xf bank_mask:0xf
	v_cndmask_b32_e64 v43, 0, v43, s[4:5]
	;; [unrolled: 4-line block ×3, first 2 shown]
	v_add_u32_e32 v42, v42, v43
	ds_write_b32 v41, v42
.LBB1145_88:
	s_or_b64 exec, exec, s[14:15]
	v_cmp_lt_u32_e32 vcc, 63, v8
	v_mov_b32_e32 v41, 0
	s_waitcnt lgkmcnt(0)
	s_barrier
	s_and_saveexec_b64 s[2:3], vcc
	s_cbranch_execz .LBB1145_90
; %bb.89:
	v_lshl_add_u32 v40, v40, 2, -4
	ds_read_b32 v41, v40
.LBB1145_90:
	s_or_b64 exec, exec, s[2:3]
	v_add_u32_e32 v40, -1, v18
	v_and_b32_e32 v42, 64, v18
	v_cmp_lt_i32_e32 vcc, v40, v42
	v_cndmask_b32_e32 v40, v40, v18, vcc
	s_waitcnt lgkmcnt(0)
	v_add_u32_e32 v39, v41, v39
	v_lshlrev_b32_e32 v40, 2, v40
	ds_bpermute_b32 v39, v40, v39
	v_cmp_eq_u32_e32 vcc, 0, v18
	s_waitcnt lgkmcnt(0)
	v_cndmask_b32_e32 v18, v39, v41, vcc
	v_cndmask_b32_e64 v18, v18, 0, s[0:1]
	v_add_u32_e32 v16, v18, v16
	v_add_u32_e32 v17, v16, v17
	;; [unrolled: 1-line block ×4, first 2 shown]
	ds_write2_b32 v19, v18, v16 offset0:16 offset1:17
	ds_write2_b32 v37, v17, v14 offset0:2 offset1:3
	ds_write_b32 v37, v15 offset:16
	s_waitcnt lgkmcnt(0)
	s_barrier
	ds_read_b32 v39, v23 offset:64
	ds_read_b32 v37, v26 offset:64
	;; [unrolled: 1-line block ×6, first 2 shown]
	s_movk_i32 s0, 0x100
	v_cmp_gt_u32_e32 vcc, s0, v8
                                        ; implicit-def: $vgpr23
                                        ; implicit-def: $vgpr26
	s_and_saveexec_b64 s[2:3], vcc
	s_cbranch_execz .LBB1145_94
; %bb.91:
	v_mul_u32_u24_e32 v14, 17, v8
	v_lshlrev_b32_e32 v15, 2, v14
	ds_read_b32 v23, v15 offset:64
	s_movk_i32 s0, 0xff
	v_cmp_ne_u32_e64 s[0:1], s0, v8
	v_mov_b32_e32 v14, 0x1800
	s_and_saveexec_b64 s[4:5], s[0:1]
	s_cbranch_execz .LBB1145_93
; %bb.92:
	ds_read_b32 v14, v15 offset:132
.LBB1145_93:
	s_or_b64 exec, exec, s[4:5]
	s_waitcnt lgkmcnt(0)
	v_sub_u32_e32 v26, v14, v23
.LBB1145_94:
	s_or_b64 exec, exec, s[2:3]
	s_waitcnt lgkmcnt(0)
	s_barrier
	s_and_saveexec_b64 s[2:3], vcc
	s_cbranch_execz .LBB1145_104
; %bb.95:
	v_lshl_or_b32 v14, s33, 8, v8
	v_mov_b32_e32 v15, 0
	v_lshlrev_b64 v[16:17], 2, v[14:15]
	v_mov_b32_e32 v40, s27
	v_add_co_u32_e64 v16, s[0:1], s26, v16
	v_addc_co_u32_e64 v17, s[0:1], v40, v17, s[0:1]
	v_or_b32_e32 v14, 2.0, v26
	s_mov_b64 s[4:5], 0
	s_brev_b32 s14, 1
	s_mov_b32 s15, s33
	v_mov_b32_e32 v41, 0
	global_store_dword v[16:17], v14, off
                                        ; implicit-def: $sgpr0_sgpr1
	s_branch .LBB1145_98
.LBB1145_96:                            ;   in Loop: Header=BB1145_98 Depth=1
	s_or_b64 exec, exec, s[8:9]
.LBB1145_97:                            ;   in Loop: Header=BB1145_98 Depth=1
	s_or_b64 exec, exec, s[6:7]
	v_and_b32_e32 v18, 0x3fffffff, v42
	v_add_u32_e32 v41, v18, v41
	v_cmp_eq_u32_e64 s[0:1], s14, v14
	s_and_b64 s[6:7], exec, s[0:1]
	s_or_b64 s[4:5], s[6:7], s[4:5]
	s_andn2_b64 exec, exec, s[4:5]
	s_cbranch_execz .LBB1145_103
.LBB1145_98:                            ; =>This Loop Header: Depth=1
                                        ;     Child Loop BB1145_101 Depth 2
	s_or_b64 s[0:1], s[0:1], exec
	s_cmp_eq_u32 s15, 0
	s_cbranch_scc1 .LBB1145_102
; %bb.99:                               ;   in Loop: Header=BB1145_98 Depth=1
	s_add_i32 s15, s15, -1
	v_lshl_or_b32 v14, s15, 8, v8
	v_lshlrev_b64 v[18:19], 2, v[14:15]
	v_add_co_u32_e64 v18, s[0:1], s26, v18
	v_addc_co_u32_e64 v19, s[0:1], v40, v19, s[0:1]
	global_load_dword v42, v[18:19], off glc
	s_waitcnt vmcnt(0)
	v_and_b32_e32 v14, -2.0, v42
	v_cmp_eq_u32_e64 s[0:1], 0, v14
	s_and_saveexec_b64 s[6:7], s[0:1]
	s_cbranch_execz .LBB1145_97
; %bb.100:                              ;   in Loop: Header=BB1145_98 Depth=1
	s_mov_b64 s[8:9], 0
.LBB1145_101:                           ;   Parent Loop BB1145_98 Depth=1
                                        ; =>  This Inner Loop Header: Depth=2
	global_load_dword v42, v[18:19], off glc
	s_waitcnt vmcnt(0)
	v_and_b32_e32 v14, -2.0, v42
	v_cmp_ne_u32_e64 s[0:1], 0, v14
	s_or_b64 s[8:9], s[0:1], s[8:9]
	s_andn2_b64 exec, exec, s[8:9]
	s_cbranch_execnz .LBB1145_101
	s_branch .LBB1145_96
.LBB1145_102:                           ;   in Loop: Header=BB1145_98 Depth=1
                                        ; implicit-def: $sgpr15
	s_and_b64 s[6:7], exec, s[0:1]
	s_or_b64 s[4:5], s[6:7], s[4:5]
	s_andn2_b64 exec, exec, s[4:5]
	s_cbranch_execnz .LBB1145_98
.LBB1145_103:
	s_or_b64 exec, exec, s[4:5]
	v_add_u32_e32 v14, v41, v26
	v_or_b32_e32 v14, 0x80000000, v14
	global_store_dword v[16:17], v14, off
	v_lshlrev_b32_e32 v14, 2, v8
	global_load_dword v15, v14, s[28:29]
	v_sub_u32_e32 v16, v41, v23
	s_waitcnt vmcnt(0)
	v_add_u32_e32 v15, v16, v15
	ds_write_b32 v14, v15
.LBB1145_104:
	s_or_b64 exec, exec, s[2:3]
	v_lshlrev_b32_e32 v17, 3, v8
	v_add_u32_e32 v16, v39, v21
	s_movk_i32 s2, 0x400
	v_add_u32_e32 v18, 0x400, v17
	v_add3_u32 v19, v36, v38, v29
	v_add3_u32 v21, v34, v35, v32
	v_add3_u32 v28, v31, v33, v28
	v_add3_u32 v25, v27, v30, v25
	v_add3_u32 v22, v24, v37, v22
	s_mov_b32 s3, 0
	s_mov_b32 s4, 1
	v_mov_b32_e32 v33, s39
	v_mov_b32_e32 v15, 0
	;; [unrolled: 1-line block ×3, first 2 shown]
                                        ; implicit-def: $vgpr32
                                        ; implicit-def: $vgpr31
                                        ; implicit-def: $vgpr30
                                        ; implicit-def: $vgpr29
                                        ; implicit-def: $vgpr27
                                        ; implicit-def: $vgpr24
.LBB1145_105:                           ; =>This Inner Loop Header: Depth=1
	v_add_u32_e32 v14, s3, v16
	v_add_u32_e32 v36, s3, v25
	;; [unrolled: 1-line block ×6, first 2 shown]
	v_min_u32_e32 v14, 0x800, v14
	v_min_u32_e32 v36, 0x800, v36
	;; [unrolled: 1-line block ×6, first 2 shown]
	v_lshlrev_b32_e32 v14, 3, v14
	v_lshlrev_b32_e32 v36, 3, v36
	v_lshlrev_b32_e32 v37, 3, v37
	v_lshlrev_b32_e32 v38, 3, v38
	v_lshlrev_b32_e32 v39, 3, v39
	v_lshlrev_b32_e32 v35, 3, v35
	ds_write_b64 v14, v[2:3] offset:1024
	ds_write_b64 v35, v[0:1] offset:1024
	;; [unrolled: 1-line block ×6, first 2 shown]
	s_waitcnt lgkmcnt(0)
	s_barrier
	ds_read_b64 v[36:37], v17 offset:1024
	ds_read_b64 v[38:39], v18 offset:8192
	s_add_i32 s5, s4, -1
	s_cmp_eq_u32 s5, 0
	s_cselect_b64 s[0:1], -1, 0
	s_waitcnt lgkmcnt(1)
	v_lshrrev_b64 v[40:41], s44, v[36:37]
	v_and_b32_e32 v14, s17, v40
	s_cmp_eq_u32 s5, 1
	s_waitcnt lgkmcnt(0)
	v_lshrrev_b64 v[42:43], s44, v[38:39]
	v_cndmask_b32_e64 v32, v32, v14, s[0:1]
	s_cselect_b64 s[0:1], -1, 0
	s_cmp_eq_u32 s5, 2
	v_and_b32_e32 v35, s17, v42
	v_lshlrev_b32_e32 v40, 2, v14
	v_cndmask_b32_e64 v44, v31, v14, s[0:1]
	s_cselect_b64 s[0:1], -1, 0
	s_cmp_eq_u32 s5, 3
	v_lshlrev_b32_e32 v31, 2, v35
	v_cndmask_b32_e64 v45, v30, v14, s[0:1]
	ds_read_b32 v30, v40
	ds_read_b32 v40, v31
	s_cselect_b64 s[0:1], -1, 0
	s_cmp_eq_u32 s5, 4
	v_cndmask_b32_e64 v29, v29, v14, s[0:1]
	s_cselect_b64 s[0:1], -1, 0
	s_cmp_eq_u32 s5, 5
	v_cndmask_b32_e64 v27, v27, v14, s[0:1]
	;; [unrolled: 3-line block ×4, first 2 shown]
	s_waitcnt lgkmcnt(1)
	v_add_u32_e32 v14, v34, v30
	s_cselect_b64 s[0:1], -1, 0
	s_cmp_eq_u32 s4, 3
	v_cndmask_b32_e64 v27, v27, v35, s[0:1]
	v_lshlrev_b64 v[30:31], 3, v[14:15]
	s_cselect_b64 s[0:1], -1, 0
	s_waitcnt lgkmcnt(0)
	v_add3_u32 v14, v34, v40, s2
	v_cndmask_b32_e64 v29, v29, v35, s[0:1]
	v_add_co_u32_e64 v40, s[0:1], s38, v30
	s_cmp_eq_u32 s4, 2
	v_addc_co_u32_e64 v41, s[0:1], v33, v31, s[0:1]
	v_xor_b32_e32 v37, 0x80000000, v37
	v_lshlrev_b64 v[42:43], 3, v[14:15]
	s_cselect_b64 s[0:1], -1, 0
	v_cndmask_b32_e64 v30, v45, v35, s[0:1]
	global_store_dwordx2 v[40:41], v[36:37], off
	v_add_co_u32_e64 v36, s[0:1], s38, v42
	s_cmp_eq_u32 s4, 1
	v_addc_co_u32_e64 v37, s[0:1], v33, v43, s[0:1]
	s_cselect_b64 s[0:1], -1, 0
	s_cmp_eq_u32 s4, 0
	v_cndmask_b32_e64 v31, v44, v35, s[0:1]
	s_cselect_b64 s[0:1], -1, 0
	s_addk_i32 s3, 0xf800
	s_add_i32 s4, s4, 2
	v_xor_b32_e32 v39, 0x80000000, v39
	v_add_u32_e32 v34, 0x800, v34
	v_cndmask_b32_e64 v32, v32, v35, s[0:1]
	s_cmpk_lg_i32 s3, 0xe800
	global_store_dwordx2 v[36:37], v[38:39], off
	s_barrier
	s_cbranch_scc1 .LBB1145_105
; %bb.106:
	s_add_u32 s0, s40, s12
	s_addc_u32 s1, s41, s13
	v_mov_b32_e32 v0, s1
	v_add_co_u32_e64 v1, s[0:1], s0, v9
	v_addc_co_u32_e64 v0, s[0:1], 0, v0, s[0:1]
	v_add_co_u32_e64 v14, s[0:1], v1, v20
	v_addc_co_u32_e64 v15, s[0:1], 0, v0, s[0:1]
	global_load_dwordx2 v[0:1], v[14:15], off
	global_load_dwordx2 v[2:3], v[14:15], off offset:512
	global_load_dwordx2 v[4:5], v[14:15], off offset:1024
	;; [unrolled: 1-line block ×5, first 2 shown]
	s_mov_b32 s2, 0
	s_mov_b32 s3, 1
	s_movk_i32 s4, 0x400
	v_mov_b32_e32 v15, 0
	v_mov_b32_e32 v9, s43
	v_mov_b32_e32 v20, v8
	s_waitcnt vmcnt(0)
.LBB1145_107:                           ; =>This Inner Loop Header: Depth=1
	s_add_i32 s5, s3, -1
	v_add_u32_e32 v14, s2, v16
	s_cmp_eq_u32 s5, 1
	v_add_u32_e32 v33, s2, v22
	v_add_u32_e32 v34, s2, v25
	;; [unrolled: 1-line block ×5, first 2 shown]
	v_min_u32_e32 v14, 0x800, v14
	s_cselect_b64 s[0:1], -1, 0
	s_cmp_eq_u32 s5, 2
	v_min_u32_e32 v33, 0x800, v33
	v_min_u32_e32 v34, 0x800, v34
	;; [unrolled: 1-line block ×5, first 2 shown]
	v_lshlrev_b32_e32 v14, 3, v14
	v_cndmask_b32_e64 v38, v32, v31, s[0:1]
	s_cselect_b64 s[0:1], -1, 0
	s_cmp_eq_u32 s5, 3
	v_lshlrev_b32_e32 v33, 3, v33
	v_lshlrev_b32_e32 v34, 3, v34
	v_lshlrev_b32_e32 v35, 3, v35
	v_lshlrev_b32_e32 v36, 3, v36
	v_lshlrev_b32_e32 v37, 3, v37
	ds_write_b64 v14, v[0:1] offset:1024
	ds_write_b64 v33, v[2:3] offset:1024
	ds_write_b64 v34, v[4:5] offset:1024
	ds_write_b64 v35, v[6:7] offset:1024
	ds_write_b64 v36, v[10:11] offset:1024
	ds_write_b64 v37, v[12:13] offset:1024
	v_cndmask_b32_e64 v14, v38, v30, s[0:1]
	s_cselect_b64 s[0:1], -1, 0
	s_cmp_eq_u32 s5, 4
	v_cndmask_b32_e64 v14, v14, v29, s[0:1]
	s_cselect_b64 s[0:1], -1, 0
	s_cmp_eq_u32 s5, 5
	v_cndmask_b32_e64 v14, v14, v27, s[0:1]
	s_cselect_b64 s[0:1], -1, 0
	s_cmp_eq_u32 s3, 1
	v_cndmask_b32_e64 v14, v14, v24, s[0:1]
	s_cselect_b64 s[0:1], -1, 0
	s_cmp_eq_u32 s3, 2
	v_cndmask_b32_e64 v33, v32, v31, s[0:1]
	s_cselect_b64 s[0:1], -1, 0
	s_cmp_eq_u32 s3, 3
	v_lshlrev_b32_e32 v14, 2, v14
	v_cndmask_b32_e64 v33, v33, v30, s[0:1]
	s_cselect_b64 s[0:1], -1, 0
	s_cmp_eq_u32 s3, 4
	s_waitcnt lgkmcnt(0)
	s_barrier
	ds_read_b64 v[34:35], v17 offset:1024
	ds_read_b32 v14, v14
	v_cndmask_b32_e64 v33, v33, v29, s[0:1]
	s_cselect_b64 s[0:1], -1, 0
	s_cmp_eq_u32 s3, 5
	v_cndmask_b32_e64 v33, v33, v27, s[0:1]
	s_cselect_b64 s[0:1], -1, 0
	v_cndmask_b32_e64 v33, v33, v24, s[0:1]
	v_lshlrev_b32_e32 v33, 2, v33
	ds_read_b32 v33, v33
	ds_read_b64 v[36:37], v18 offset:8192
	s_waitcnt lgkmcnt(2)
	v_add_u32_e32 v14, v20, v14
	v_lshlrev_b64 v[38:39], 3, v[14:15]
	v_add_co_u32_e64 v38, s[0:1], s42, v38
	v_addc_co_u32_e64 v39, s[0:1], v9, v39, s[0:1]
	s_waitcnt lgkmcnt(1)
	v_add3_u32 v14, v20, v33, s4
	global_store_dwordx2 v[38:39], v[34:35], off
	v_lshlrev_b64 v[34:35], 3, v[14:15]
	s_addk_i32 s2, 0xf800
	s_add_i32 s3, s3, 2
	v_add_co_u32_e64 v34, s[0:1], s42, v34
	s_cmpk_lg_i32 s2, 0xe800
	v_add_u32_e32 v20, 0x800, v20
	v_addc_co_u32_e64 v35, s[0:1], v9, v35, s[0:1]
	s_waitcnt lgkmcnt(0)
	global_store_dwordx2 v[34:35], v[36:37], off
	s_barrier
	s_cbranch_scc1 .LBB1145_107
; %bb.108:
	s_add_i32 s16, s16, -1
	s_cmp_eq_u32 s16, s33
	s_cselect_b64 s[0:1], -1, 0
	s_and_b64 s[2:3], vcc, s[0:1]
                                        ; implicit-def: $vgpr2
	s_and_saveexec_b64 s[0:1], s[2:3]
; %bb.109:
	v_add_u32_e32 v2, v23, v26
	s_or_b64 s[10:11], s[10:11], exec
; %bb.110:
	s_or_b64 exec, exec, s[0:1]
.LBB1145_111:
	s_and_saveexec_b64 s[0:1], s[10:11]
	s_cbranch_execnz .LBB1145_113
; %bb.112:
	s_endpgm
.LBB1145_113:
	v_lshlrev_b32_e32 v0, 2, v8
	ds_read_b32 v1, v0
	s_waitcnt lgkmcnt(0)
	v_add_u32_e32 v1, v1, v2
	global_store_dword v0, v1, s[30:31]
	s_endpgm
.LBB1145_114:
	global_load_dwordx2 v[10:11], v[22:23], off
	s_or_b64 exec, exec, s[16:17]
                                        ; implicit-def: $vgpr12_vgpr13
	s_and_saveexec_b64 s[16:17], s[2:3]
	s_cbranch_execz .LBB1145_58
.LBB1145_115:
	global_load_dwordx2 v[12:13], v[22:23], off offset:512
	s_or_b64 exec, exec, s[16:17]
                                        ; implicit-def: $vgpr14_vgpr15
	s_and_saveexec_b64 s[2:3], s[22:23]
	s_cbranch_execz .LBB1145_59
.LBB1145_116:
	global_load_dwordx2 v[14:15], v[22:23], off offset:1024
	s_or_b64 exec, exec, s[2:3]
                                        ; implicit-def: $vgpr16_vgpr17
	s_and_saveexec_b64 s[2:3], s[8:9]
	s_cbranch_execz .LBB1145_60
.LBB1145_117:
	global_load_dwordx2 v[16:17], v[22:23], off offset:1536
	s_or_b64 exec, exec, s[2:3]
                                        ; implicit-def: $vgpr18_vgpr19
	s_and_saveexec_b64 s[2:3], s[10:11]
	s_cbranch_execz .LBB1145_61
.LBB1145_118:
	global_load_dwordx2 v[18:19], v[22:23], off offset:2048
	s_or_b64 exec, exec, s[2:3]
                                        ; implicit-def: $vgpr20_vgpr21
	s_and_saveexec_b64 s[2:3], s[12:13]
	s_cbranch_execnz .LBB1145_62
	s_branch .LBB1145_63
	.section	.rodata,"a",@progbits
	.p2align	6, 0x0
	.amdhsa_kernel _ZN7rocprim17ROCPRIM_400000_NS6detail17trampoline_kernelINS0_14default_configENS1_35radix_sort_onesweep_config_selectorIllEEZZNS1_29radix_sort_onesweep_iterationIS3_Lb0EPlS7_N6thrust23THRUST_200600_302600_NS10device_ptrIlEESB_jNS0_19identity_decomposerENS1_16block_id_wrapperIjLb1EEEEE10hipError_tT1_PNSt15iterator_traitsISG_E10value_typeET2_T3_PNSH_ISM_E10value_typeET4_T5_PSR_SS_PNS1_23onesweep_lookback_stateEbbT6_jjT7_P12ihipStream_tbENKUlT_T0_SG_SL_E_clIS7_S7_SB_S7_EEDaSZ_S10_SG_SL_EUlSZ_E_NS1_11comp_targetILNS1_3genE4ELNS1_11target_archE910ELNS1_3gpuE8ELNS1_3repE0EEENS1_47radix_sort_onesweep_sort_config_static_selectorELNS0_4arch9wavefront6targetE1EEEvSG_
		.amdhsa_group_segment_fixed_size 20552
		.amdhsa_private_segment_fixed_size 0
		.amdhsa_kernarg_size 344
		.amdhsa_user_sgpr_count 6
		.amdhsa_user_sgpr_private_segment_buffer 1
		.amdhsa_user_sgpr_dispatch_ptr 0
		.amdhsa_user_sgpr_queue_ptr 0
		.amdhsa_user_sgpr_kernarg_segment_ptr 1
		.amdhsa_user_sgpr_dispatch_id 0
		.amdhsa_user_sgpr_flat_scratch_init 0
		.amdhsa_user_sgpr_kernarg_preload_length 0
		.amdhsa_user_sgpr_kernarg_preload_offset 0
		.amdhsa_user_sgpr_private_segment_size 0
		.amdhsa_uses_dynamic_stack 0
		.amdhsa_system_sgpr_private_segment_wavefront_offset 0
		.amdhsa_system_sgpr_workgroup_id_x 1
		.amdhsa_system_sgpr_workgroup_id_y 0
		.amdhsa_system_sgpr_workgroup_id_z 0
		.amdhsa_system_sgpr_workgroup_info 0
		.amdhsa_system_vgpr_workitem_id 2
		.amdhsa_next_free_vgpr 46
		.amdhsa_next_free_sgpr 53
		.amdhsa_accum_offset 48
		.amdhsa_reserve_vcc 1
		.amdhsa_reserve_flat_scratch 0
		.amdhsa_float_round_mode_32 0
		.amdhsa_float_round_mode_16_64 0
		.amdhsa_float_denorm_mode_32 3
		.amdhsa_float_denorm_mode_16_64 3
		.amdhsa_dx10_clamp 1
		.amdhsa_ieee_mode 1
		.amdhsa_fp16_overflow 0
		.amdhsa_tg_split 0
		.amdhsa_exception_fp_ieee_invalid_op 0
		.amdhsa_exception_fp_denorm_src 0
		.amdhsa_exception_fp_ieee_div_zero 0
		.amdhsa_exception_fp_ieee_overflow 0
		.amdhsa_exception_fp_ieee_underflow 0
		.amdhsa_exception_fp_ieee_inexact 0
		.amdhsa_exception_int_div_zero 0
	.end_amdhsa_kernel
	.section	.text._ZN7rocprim17ROCPRIM_400000_NS6detail17trampoline_kernelINS0_14default_configENS1_35radix_sort_onesweep_config_selectorIllEEZZNS1_29radix_sort_onesweep_iterationIS3_Lb0EPlS7_N6thrust23THRUST_200600_302600_NS10device_ptrIlEESB_jNS0_19identity_decomposerENS1_16block_id_wrapperIjLb1EEEEE10hipError_tT1_PNSt15iterator_traitsISG_E10value_typeET2_T3_PNSH_ISM_E10value_typeET4_T5_PSR_SS_PNS1_23onesweep_lookback_stateEbbT6_jjT7_P12ihipStream_tbENKUlT_T0_SG_SL_E_clIS7_S7_SB_S7_EEDaSZ_S10_SG_SL_EUlSZ_E_NS1_11comp_targetILNS1_3genE4ELNS1_11target_archE910ELNS1_3gpuE8ELNS1_3repE0EEENS1_47radix_sort_onesweep_sort_config_static_selectorELNS0_4arch9wavefront6targetE1EEEvSG_,"axG",@progbits,_ZN7rocprim17ROCPRIM_400000_NS6detail17trampoline_kernelINS0_14default_configENS1_35radix_sort_onesweep_config_selectorIllEEZZNS1_29radix_sort_onesweep_iterationIS3_Lb0EPlS7_N6thrust23THRUST_200600_302600_NS10device_ptrIlEESB_jNS0_19identity_decomposerENS1_16block_id_wrapperIjLb1EEEEE10hipError_tT1_PNSt15iterator_traitsISG_E10value_typeET2_T3_PNSH_ISM_E10value_typeET4_T5_PSR_SS_PNS1_23onesweep_lookback_stateEbbT6_jjT7_P12ihipStream_tbENKUlT_T0_SG_SL_E_clIS7_S7_SB_S7_EEDaSZ_S10_SG_SL_EUlSZ_E_NS1_11comp_targetILNS1_3genE4ELNS1_11target_archE910ELNS1_3gpuE8ELNS1_3repE0EEENS1_47radix_sort_onesweep_sort_config_static_selectorELNS0_4arch9wavefront6targetE1EEEvSG_,comdat
.Lfunc_end1145:
	.size	_ZN7rocprim17ROCPRIM_400000_NS6detail17trampoline_kernelINS0_14default_configENS1_35radix_sort_onesweep_config_selectorIllEEZZNS1_29radix_sort_onesweep_iterationIS3_Lb0EPlS7_N6thrust23THRUST_200600_302600_NS10device_ptrIlEESB_jNS0_19identity_decomposerENS1_16block_id_wrapperIjLb1EEEEE10hipError_tT1_PNSt15iterator_traitsISG_E10value_typeET2_T3_PNSH_ISM_E10value_typeET4_T5_PSR_SS_PNS1_23onesweep_lookback_stateEbbT6_jjT7_P12ihipStream_tbENKUlT_T0_SG_SL_E_clIS7_S7_SB_S7_EEDaSZ_S10_SG_SL_EUlSZ_E_NS1_11comp_targetILNS1_3genE4ELNS1_11target_archE910ELNS1_3gpuE8ELNS1_3repE0EEENS1_47radix_sort_onesweep_sort_config_static_selectorELNS0_4arch9wavefront6targetE1EEEvSG_, .Lfunc_end1145-_ZN7rocprim17ROCPRIM_400000_NS6detail17trampoline_kernelINS0_14default_configENS1_35radix_sort_onesweep_config_selectorIllEEZZNS1_29radix_sort_onesweep_iterationIS3_Lb0EPlS7_N6thrust23THRUST_200600_302600_NS10device_ptrIlEESB_jNS0_19identity_decomposerENS1_16block_id_wrapperIjLb1EEEEE10hipError_tT1_PNSt15iterator_traitsISG_E10value_typeET2_T3_PNSH_ISM_E10value_typeET4_T5_PSR_SS_PNS1_23onesweep_lookback_stateEbbT6_jjT7_P12ihipStream_tbENKUlT_T0_SG_SL_E_clIS7_S7_SB_S7_EEDaSZ_S10_SG_SL_EUlSZ_E_NS1_11comp_targetILNS1_3genE4ELNS1_11target_archE910ELNS1_3gpuE8ELNS1_3repE0EEENS1_47radix_sort_onesweep_sort_config_static_selectorELNS0_4arch9wavefront6targetE1EEEvSG_
                                        ; -- End function
	.section	.AMDGPU.csdata,"",@progbits
; Kernel info:
; codeLenInByte = 10704
; NumSgprs: 57
; NumVgprs: 46
; NumAgprs: 0
; TotalNumVgprs: 46
; ScratchSize: 0
; MemoryBound: 0
; FloatMode: 240
; IeeeMode: 1
; LDSByteSize: 20552 bytes/workgroup (compile time only)
; SGPRBlocks: 7
; VGPRBlocks: 5
; NumSGPRsForWavesPerEU: 57
; NumVGPRsForWavesPerEU: 46
; AccumOffset: 48
; Occupancy: 8
; WaveLimiterHint : 1
; COMPUTE_PGM_RSRC2:SCRATCH_EN: 0
; COMPUTE_PGM_RSRC2:USER_SGPR: 6
; COMPUTE_PGM_RSRC2:TRAP_HANDLER: 0
; COMPUTE_PGM_RSRC2:TGID_X_EN: 1
; COMPUTE_PGM_RSRC2:TGID_Y_EN: 0
; COMPUTE_PGM_RSRC2:TGID_Z_EN: 0
; COMPUTE_PGM_RSRC2:TIDIG_COMP_CNT: 2
; COMPUTE_PGM_RSRC3_GFX90A:ACCUM_OFFSET: 11
; COMPUTE_PGM_RSRC3_GFX90A:TG_SPLIT: 0
	.section	.text._ZN7rocprim17ROCPRIM_400000_NS6detail17trampoline_kernelINS0_14default_configENS1_35radix_sort_onesweep_config_selectorIllEEZZNS1_29radix_sort_onesweep_iterationIS3_Lb0EPlS7_N6thrust23THRUST_200600_302600_NS10device_ptrIlEESB_jNS0_19identity_decomposerENS1_16block_id_wrapperIjLb1EEEEE10hipError_tT1_PNSt15iterator_traitsISG_E10value_typeET2_T3_PNSH_ISM_E10value_typeET4_T5_PSR_SS_PNS1_23onesweep_lookback_stateEbbT6_jjT7_P12ihipStream_tbENKUlT_T0_SG_SL_E_clIS7_S7_SB_S7_EEDaSZ_S10_SG_SL_EUlSZ_E_NS1_11comp_targetILNS1_3genE3ELNS1_11target_archE908ELNS1_3gpuE7ELNS1_3repE0EEENS1_47radix_sort_onesweep_sort_config_static_selectorELNS0_4arch9wavefront6targetE1EEEvSG_,"axG",@progbits,_ZN7rocprim17ROCPRIM_400000_NS6detail17trampoline_kernelINS0_14default_configENS1_35radix_sort_onesweep_config_selectorIllEEZZNS1_29radix_sort_onesweep_iterationIS3_Lb0EPlS7_N6thrust23THRUST_200600_302600_NS10device_ptrIlEESB_jNS0_19identity_decomposerENS1_16block_id_wrapperIjLb1EEEEE10hipError_tT1_PNSt15iterator_traitsISG_E10value_typeET2_T3_PNSH_ISM_E10value_typeET4_T5_PSR_SS_PNS1_23onesweep_lookback_stateEbbT6_jjT7_P12ihipStream_tbENKUlT_T0_SG_SL_E_clIS7_S7_SB_S7_EEDaSZ_S10_SG_SL_EUlSZ_E_NS1_11comp_targetILNS1_3genE3ELNS1_11target_archE908ELNS1_3gpuE7ELNS1_3repE0EEENS1_47radix_sort_onesweep_sort_config_static_selectorELNS0_4arch9wavefront6targetE1EEEvSG_,comdat
	.protected	_ZN7rocprim17ROCPRIM_400000_NS6detail17trampoline_kernelINS0_14default_configENS1_35radix_sort_onesweep_config_selectorIllEEZZNS1_29radix_sort_onesweep_iterationIS3_Lb0EPlS7_N6thrust23THRUST_200600_302600_NS10device_ptrIlEESB_jNS0_19identity_decomposerENS1_16block_id_wrapperIjLb1EEEEE10hipError_tT1_PNSt15iterator_traitsISG_E10value_typeET2_T3_PNSH_ISM_E10value_typeET4_T5_PSR_SS_PNS1_23onesweep_lookback_stateEbbT6_jjT7_P12ihipStream_tbENKUlT_T0_SG_SL_E_clIS7_S7_SB_S7_EEDaSZ_S10_SG_SL_EUlSZ_E_NS1_11comp_targetILNS1_3genE3ELNS1_11target_archE908ELNS1_3gpuE7ELNS1_3repE0EEENS1_47radix_sort_onesweep_sort_config_static_selectorELNS0_4arch9wavefront6targetE1EEEvSG_ ; -- Begin function _ZN7rocprim17ROCPRIM_400000_NS6detail17trampoline_kernelINS0_14default_configENS1_35radix_sort_onesweep_config_selectorIllEEZZNS1_29radix_sort_onesweep_iterationIS3_Lb0EPlS7_N6thrust23THRUST_200600_302600_NS10device_ptrIlEESB_jNS0_19identity_decomposerENS1_16block_id_wrapperIjLb1EEEEE10hipError_tT1_PNSt15iterator_traitsISG_E10value_typeET2_T3_PNSH_ISM_E10value_typeET4_T5_PSR_SS_PNS1_23onesweep_lookback_stateEbbT6_jjT7_P12ihipStream_tbENKUlT_T0_SG_SL_E_clIS7_S7_SB_S7_EEDaSZ_S10_SG_SL_EUlSZ_E_NS1_11comp_targetILNS1_3genE3ELNS1_11target_archE908ELNS1_3gpuE7ELNS1_3repE0EEENS1_47radix_sort_onesweep_sort_config_static_selectorELNS0_4arch9wavefront6targetE1EEEvSG_
	.globl	_ZN7rocprim17ROCPRIM_400000_NS6detail17trampoline_kernelINS0_14default_configENS1_35radix_sort_onesweep_config_selectorIllEEZZNS1_29radix_sort_onesweep_iterationIS3_Lb0EPlS7_N6thrust23THRUST_200600_302600_NS10device_ptrIlEESB_jNS0_19identity_decomposerENS1_16block_id_wrapperIjLb1EEEEE10hipError_tT1_PNSt15iterator_traitsISG_E10value_typeET2_T3_PNSH_ISM_E10value_typeET4_T5_PSR_SS_PNS1_23onesweep_lookback_stateEbbT6_jjT7_P12ihipStream_tbENKUlT_T0_SG_SL_E_clIS7_S7_SB_S7_EEDaSZ_S10_SG_SL_EUlSZ_E_NS1_11comp_targetILNS1_3genE3ELNS1_11target_archE908ELNS1_3gpuE7ELNS1_3repE0EEENS1_47radix_sort_onesweep_sort_config_static_selectorELNS0_4arch9wavefront6targetE1EEEvSG_
	.p2align	8
	.type	_ZN7rocprim17ROCPRIM_400000_NS6detail17trampoline_kernelINS0_14default_configENS1_35radix_sort_onesweep_config_selectorIllEEZZNS1_29radix_sort_onesweep_iterationIS3_Lb0EPlS7_N6thrust23THRUST_200600_302600_NS10device_ptrIlEESB_jNS0_19identity_decomposerENS1_16block_id_wrapperIjLb1EEEEE10hipError_tT1_PNSt15iterator_traitsISG_E10value_typeET2_T3_PNSH_ISM_E10value_typeET4_T5_PSR_SS_PNS1_23onesweep_lookback_stateEbbT6_jjT7_P12ihipStream_tbENKUlT_T0_SG_SL_E_clIS7_S7_SB_S7_EEDaSZ_S10_SG_SL_EUlSZ_E_NS1_11comp_targetILNS1_3genE3ELNS1_11target_archE908ELNS1_3gpuE7ELNS1_3repE0EEENS1_47radix_sort_onesweep_sort_config_static_selectorELNS0_4arch9wavefront6targetE1EEEvSG_,@function
_ZN7rocprim17ROCPRIM_400000_NS6detail17trampoline_kernelINS0_14default_configENS1_35radix_sort_onesweep_config_selectorIllEEZZNS1_29radix_sort_onesweep_iterationIS3_Lb0EPlS7_N6thrust23THRUST_200600_302600_NS10device_ptrIlEESB_jNS0_19identity_decomposerENS1_16block_id_wrapperIjLb1EEEEE10hipError_tT1_PNSt15iterator_traitsISG_E10value_typeET2_T3_PNSH_ISM_E10value_typeET4_T5_PSR_SS_PNS1_23onesweep_lookback_stateEbbT6_jjT7_P12ihipStream_tbENKUlT_T0_SG_SL_E_clIS7_S7_SB_S7_EEDaSZ_S10_SG_SL_EUlSZ_E_NS1_11comp_targetILNS1_3genE3ELNS1_11target_archE908ELNS1_3gpuE7ELNS1_3repE0EEENS1_47radix_sort_onesweep_sort_config_static_selectorELNS0_4arch9wavefront6targetE1EEEvSG_: ; @_ZN7rocprim17ROCPRIM_400000_NS6detail17trampoline_kernelINS0_14default_configENS1_35radix_sort_onesweep_config_selectorIllEEZZNS1_29radix_sort_onesweep_iterationIS3_Lb0EPlS7_N6thrust23THRUST_200600_302600_NS10device_ptrIlEESB_jNS0_19identity_decomposerENS1_16block_id_wrapperIjLb1EEEEE10hipError_tT1_PNSt15iterator_traitsISG_E10value_typeET2_T3_PNSH_ISM_E10value_typeET4_T5_PSR_SS_PNS1_23onesweep_lookback_stateEbbT6_jjT7_P12ihipStream_tbENKUlT_T0_SG_SL_E_clIS7_S7_SB_S7_EEDaSZ_S10_SG_SL_EUlSZ_E_NS1_11comp_targetILNS1_3genE3ELNS1_11target_archE908ELNS1_3gpuE7ELNS1_3repE0EEENS1_47radix_sort_onesweep_sort_config_static_selectorELNS0_4arch9wavefront6targetE1EEEvSG_
; %bb.0:
	.section	.rodata,"a",@progbits
	.p2align	6, 0x0
	.amdhsa_kernel _ZN7rocprim17ROCPRIM_400000_NS6detail17trampoline_kernelINS0_14default_configENS1_35radix_sort_onesweep_config_selectorIllEEZZNS1_29radix_sort_onesweep_iterationIS3_Lb0EPlS7_N6thrust23THRUST_200600_302600_NS10device_ptrIlEESB_jNS0_19identity_decomposerENS1_16block_id_wrapperIjLb1EEEEE10hipError_tT1_PNSt15iterator_traitsISG_E10value_typeET2_T3_PNSH_ISM_E10value_typeET4_T5_PSR_SS_PNS1_23onesweep_lookback_stateEbbT6_jjT7_P12ihipStream_tbENKUlT_T0_SG_SL_E_clIS7_S7_SB_S7_EEDaSZ_S10_SG_SL_EUlSZ_E_NS1_11comp_targetILNS1_3genE3ELNS1_11target_archE908ELNS1_3gpuE7ELNS1_3repE0EEENS1_47radix_sort_onesweep_sort_config_static_selectorELNS0_4arch9wavefront6targetE1EEEvSG_
		.amdhsa_group_segment_fixed_size 0
		.amdhsa_private_segment_fixed_size 0
		.amdhsa_kernarg_size 88
		.amdhsa_user_sgpr_count 6
		.amdhsa_user_sgpr_private_segment_buffer 1
		.amdhsa_user_sgpr_dispatch_ptr 0
		.amdhsa_user_sgpr_queue_ptr 0
		.amdhsa_user_sgpr_kernarg_segment_ptr 1
		.amdhsa_user_sgpr_dispatch_id 0
		.amdhsa_user_sgpr_flat_scratch_init 0
		.amdhsa_user_sgpr_kernarg_preload_length 0
		.amdhsa_user_sgpr_kernarg_preload_offset 0
		.amdhsa_user_sgpr_private_segment_size 0
		.amdhsa_uses_dynamic_stack 0
		.amdhsa_system_sgpr_private_segment_wavefront_offset 0
		.amdhsa_system_sgpr_workgroup_id_x 1
		.amdhsa_system_sgpr_workgroup_id_y 0
		.amdhsa_system_sgpr_workgroup_id_z 0
		.amdhsa_system_sgpr_workgroup_info 0
		.amdhsa_system_vgpr_workitem_id 0
		.amdhsa_next_free_vgpr 1
		.amdhsa_next_free_sgpr 0
		.amdhsa_accum_offset 4
		.amdhsa_reserve_vcc 0
		.amdhsa_reserve_flat_scratch 0
		.amdhsa_float_round_mode_32 0
		.amdhsa_float_round_mode_16_64 0
		.amdhsa_float_denorm_mode_32 3
		.amdhsa_float_denorm_mode_16_64 3
		.amdhsa_dx10_clamp 1
		.amdhsa_ieee_mode 1
		.amdhsa_fp16_overflow 0
		.amdhsa_tg_split 0
		.amdhsa_exception_fp_ieee_invalid_op 0
		.amdhsa_exception_fp_denorm_src 0
		.amdhsa_exception_fp_ieee_div_zero 0
		.amdhsa_exception_fp_ieee_overflow 0
		.amdhsa_exception_fp_ieee_underflow 0
		.amdhsa_exception_fp_ieee_inexact 0
		.amdhsa_exception_int_div_zero 0
	.end_amdhsa_kernel
	.section	.text._ZN7rocprim17ROCPRIM_400000_NS6detail17trampoline_kernelINS0_14default_configENS1_35radix_sort_onesweep_config_selectorIllEEZZNS1_29radix_sort_onesweep_iterationIS3_Lb0EPlS7_N6thrust23THRUST_200600_302600_NS10device_ptrIlEESB_jNS0_19identity_decomposerENS1_16block_id_wrapperIjLb1EEEEE10hipError_tT1_PNSt15iterator_traitsISG_E10value_typeET2_T3_PNSH_ISM_E10value_typeET4_T5_PSR_SS_PNS1_23onesweep_lookback_stateEbbT6_jjT7_P12ihipStream_tbENKUlT_T0_SG_SL_E_clIS7_S7_SB_S7_EEDaSZ_S10_SG_SL_EUlSZ_E_NS1_11comp_targetILNS1_3genE3ELNS1_11target_archE908ELNS1_3gpuE7ELNS1_3repE0EEENS1_47radix_sort_onesweep_sort_config_static_selectorELNS0_4arch9wavefront6targetE1EEEvSG_,"axG",@progbits,_ZN7rocprim17ROCPRIM_400000_NS6detail17trampoline_kernelINS0_14default_configENS1_35radix_sort_onesweep_config_selectorIllEEZZNS1_29radix_sort_onesweep_iterationIS3_Lb0EPlS7_N6thrust23THRUST_200600_302600_NS10device_ptrIlEESB_jNS0_19identity_decomposerENS1_16block_id_wrapperIjLb1EEEEE10hipError_tT1_PNSt15iterator_traitsISG_E10value_typeET2_T3_PNSH_ISM_E10value_typeET4_T5_PSR_SS_PNS1_23onesweep_lookback_stateEbbT6_jjT7_P12ihipStream_tbENKUlT_T0_SG_SL_E_clIS7_S7_SB_S7_EEDaSZ_S10_SG_SL_EUlSZ_E_NS1_11comp_targetILNS1_3genE3ELNS1_11target_archE908ELNS1_3gpuE7ELNS1_3repE0EEENS1_47radix_sort_onesweep_sort_config_static_selectorELNS0_4arch9wavefront6targetE1EEEvSG_,comdat
.Lfunc_end1146:
	.size	_ZN7rocprim17ROCPRIM_400000_NS6detail17trampoline_kernelINS0_14default_configENS1_35radix_sort_onesweep_config_selectorIllEEZZNS1_29radix_sort_onesweep_iterationIS3_Lb0EPlS7_N6thrust23THRUST_200600_302600_NS10device_ptrIlEESB_jNS0_19identity_decomposerENS1_16block_id_wrapperIjLb1EEEEE10hipError_tT1_PNSt15iterator_traitsISG_E10value_typeET2_T3_PNSH_ISM_E10value_typeET4_T5_PSR_SS_PNS1_23onesweep_lookback_stateEbbT6_jjT7_P12ihipStream_tbENKUlT_T0_SG_SL_E_clIS7_S7_SB_S7_EEDaSZ_S10_SG_SL_EUlSZ_E_NS1_11comp_targetILNS1_3genE3ELNS1_11target_archE908ELNS1_3gpuE7ELNS1_3repE0EEENS1_47radix_sort_onesweep_sort_config_static_selectorELNS0_4arch9wavefront6targetE1EEEvSG_, .Lfunc_end1146-_ZN7rocprim17ROCPRIM_400000_NS6detail17trampoline_kernelINS0_14default_configENS1_35radix_sort_onesweep_config_selectorIllEEZZNS1_29radix_sort_onesweep_iterationIS3_Lb0EPlS7_N6thrust23THRUST_200600_302600_NS10device_ptrIlEESB_jNS0_19identity_decomposerENS1_16block_id_wrapperIjLb1EEEEE10hipError_tT1_PNSt15iterator_traitsISG_E10value_typeET2_T3_PNSH_ISM_E10value_typeET4_T5_PSR_SS_PNS1_23onesweep_lookback_stateEbbT6_jjT7_P12ihipStream_tbENKUlT_T0_SG_SL_E_clIS7_S7_SB_S7_EEDaSZ_S10_SG_SL_EUlSZ_E_NS1_11comp_targetILNS1_3genE3ELNS1_11target_archE908ELNS1_3gpuE7ELNS1_3repE0EEENS1_47radix_sort_onesweep_sort_config_static_selectorELNS0_4arch9wavefront6targetE1EEEvSG_
                                        ; -- End function
	.section	.AMDGPU.csdata,"",@progbits
; Kernel info:
; codeLenInByte = 0
; NumSgprs: 4
; NumVgprs: 0
; NumAgprs: 0
; TotalNumVgprs: 0
; ScratchSize: 0
; MemoryBound: 0
; FloatMode: 240
; IeeeMode: 1
; LDSByteSize: 0 bytes/workgroup (compile time only)
; SGPRBlocks: 0
; VGPRBlocks: 0
; NumSGPRsForWavesPerEU: 4
; NumVGPRsForWavesPerEU: 1
; AccumOffset: 4
; Occupancy: 8
; WaveLimiterHint : 0
; COMPUTE_PGM_RSRC2:SCRATCH_EN: 0
; COMPUTE_PGM_RSRC2:USER_SGPR: 6
; COMPUTE_PGM_RSRC2:TRAP_HANDLER: 0
; COMPUTE_PGM_RSRC2:TGID_X_EN: 1
; COMPUTE_PGM_RSRC2:TGID_Y_EN: 0
; COMPUTE_PGM_RSRC2:TGID_Z_EN: 0
; COMPUTE_PGM_RSRC2:TIDIG_COMP_CNT: 0
; COMPUTE_PGM_RSRC3_GFX90A:ACCUM_OFFSET: 0
; COMPUTE_PGM_RSRC3_GFX90A:TG_SPLIT: 0
	.section	.text._ZN7rocprim17ROCPRIM_400000_NS6detail17trampoline_kernelINS0_14default_configENS1_35radix_sort_onesweep_config_selectorIllEEZZNS1_29radix_sort_onesweep_iterationIS3_Lb0EPlS7_N6thrust23THRUST_200600_302600_NS10device_ptrIlEESB_jNS0_19identity_decomposerENS1_16block_id_wrapperIjLb1EEEEE10hipError_tT1_PNSt15iterator_traitsISG_E10value_typeET2_T3_PNSH_ISM_E10value_typeET4_T5_PSR_SS_PNS1_23onesweep_lookback_stateEbbT6_jjT7_P12ihipStream_tbENKUlT_T0_SG_SL_E_clIS7_S7_SB_S7_EEDaSZ_S10_SG_SL_EUlSZ_E_NS1_11comp_targetILNS1_3genE10ELNS1_11target_archE1201ELNS1_3gpuE5ELNS1_3repE0EEENS1_47radix_sort_onesweep_sort_config_static_selectorELNS0_4arch9wavefront6targetE1EEEvSG_,"axG",@progbits,_ZN7rocprim17ROCPRIM_400000_NS6detail17trampoline_kernelINS0_14default_configENS1_35radix_sort_onesweep_config_selectorIllEEZZNS1_29radix_sort_onesweep_iterationIS3_Lb0EPlS7_N6thrust23THRUST_200600_302600_NS10device_ptrIlEESB_jNS0_19identity_decomposerENS1_16block_id_wrapperIjLb1EEEEE10hipError_tT1_PNSt15iterator_traitsISG_E10value_typeET2_T3_PNSH_ISM_E10value_typeET4_T5_PSR_SS_PNS1_23onesweep_lookback_stateEbbT6_jjT7_P12ihipStream_tbENKUlT_T0_SG_SL_E_clIS7_S7_SB_S7_EEDaSZ_S10_SG_SL_EUlSZ_E_NS1_11comp_targetILNS1_3genE10ELNS1_11target_archE1201ELNS1_3gpuE5ELNS1_3repE0EEENS1_47radix_sort_onesweep_sort_config_static_selectorELNS0_4arch9wavefront6targetE1EEEvSG_,comdat
	.protected	_ZN7rocprim17ROCPRIM_400000_NS6detail17trampoline_kernelINS0_14default_configENS1_35radix_sort_onesweep_config_selectorIllEEZZNS1_29radix_sort_onesweep_iterationIS3_Lb0EPlS7_N6thrust23THRUST_200600_302600_NS10device_ptrIlEESB_jNS0_19identity_decomposerENS1_16block_id_wrapperIjLb1EEEEE10hipError_tT1_PNSt15iterator_traitsISG_E10value_typeET2_T3_PNSH_ISM_E10value_typeET4_T5_PSR_SS_PNS1_23onesweep_lookback_stateEbbT6_jjT7_P12ihipStream_tbENKUlT_T0_SG_SL_E_clIS7_S7_SB_S7_EEDaSZ_S10_SG_SL_EUlSZ_E_NS1_11comp_targetILNS1_3genE10ELNS1_11target_archE1201ELNS1_3gpuE5ELNS1_3repE0EEENS1_47radix_sort_onesweep_sort_config_static_selectorELNS0_4arch9wavefront6targetE1EEEvSG_ ; -- Begin function _ZN7rocprim17ROCPRIM_400000_NS6detail17trampoline_kernelINS0_14default_configENS1_35radix_sort_onesweep_config_selectorIllEEZZNS1_29radix_sort_onesweep_iterationIS3_Lb0EPlS7_N6thrust23THRUST_200600_302600_NS10device_ptrIlEESB_jNS0_19identity_decomposerENS1_16block_id_wrapperIjLb1EEEEE10hipError_tT1_PNSt15iterator_traitsISG_E10value_typeET2_T3_PNSH_ISM_E10value_typeET4_T5_PSR_SS_PNS1_23onesweep_lookback_stateEbbT6_jjT7_P12ihipStream_tbENKUlT_T0_SG_SL_E_clIS7_S7_SB_S7_EEDaSZ_S10_SG_SL_EUlSZ_E_NS1_11comp_targetILNS1_3genE10ELNS1_11target_archE1201ELNS1_3gpuE5ELNS1_3repE0EEENS1_47radix_sort_onesweep_sort_config_static_selectorELNS0_4arch9wavefront6targetE1EEEvSG_
	.globl	_ZN7rocprim17ROCPRIM_400000_NS6detail17trampoline_kernelINS0_14default_configENS1_35radix_sort_onesweep_config_selectorIllEEZZNS1_29radix_sort_onesweep_iterationIS3_Lb0EPlS7_N6thrust23THRUST_200600_302600_NS10device_ptrIlEESB_jNS0_19identity_decomposerENS1_16block_id_wrapperIjLb1EEEEE10hipError_tT1_PNSt15iterator_traitsISG_E10value_typeET2_T3_PNSH_ISM_E10value_typeET4_T5_PSR_SS_PNS1_23onesweep_lookback_stateEbbT6_jjT7_P12ihipStream_tbENKUlT_T0_SG_SL_E_clIS7_S7_SB_S7_EEDaSZ_S10_SG_SL_EUlSZ_E_NS1_11comp_targetILNS1_3genE10ELNS1_11target_archE1201ELNS1_3gpuE5ELNS1_3repE0EEENS1_47radix_sort_onesweep_sort_config_static_selectorELNS0_4arch9wavefront6targetE1EEEvSG_
	.p2align	8
	.type	_ZN7rocprim17ROCPRIM_400000_NS6detail17trampoline_kernelINS0_14default_configENS1_35radix_sort_onesweep_config_selectorIllEEZZNS1_29radix_sort_onesweep_iterationIS3_Lb0EPlS7_N6thrust23THRUST_200600_302600_NS10device_ptrIlEESB_jNS0_19identity_decomposerENS1_16block_id_wrapperIjLb1EEEEE10hipError_tT1_PNSt15iterator_traitsISG_E10value_typeET2_T3_PNSH_ISM_E10value_typeET4_T5_PSR_SS_PNS1_23onesweep_lookback_stateEbbT6_jjT7_P12ihipStream_tbENKUlT_T0_SG_SL_E_clIS7_S7_SB_S7_EEDaSZ_S10_SG_SL_EUlSZ_E_NS1_11comp_targetILNS1_3genE10ELNS1_11target_archE1201ELNS1_3gpuE5ELNS1_3repE0EEENS1_47radix_sort_onesweep_sort_config_static_selectorELNS0_4arch9wavefront6targetE1EEEvSG_,@function
_ZN7rocprim17ROCPRIM_400000_NS6detail17trampoline_kernelINS0_14default_configENS1_35radix_sort_onesweep_config_selectorIllEEZZNS1_29radix_sort_onesweep_iterationIS3_Lb0EPlS7_N6thrust23THRUST_200600_302600_NS10device_ptrIlEESB_jNS0_19identity_decomposerENS1_16block_id_wrapperIjLb1EEEEE10hipError_tT1_PNSt15iterator_traitsISG_E10value_typeET2_T3_PNSH_ISM_E10value_typeET4_T5_PSR_SS_PNS1_23onesweep_lookback_stateEbbT6_jjT7_P12ihipStream_tbENKUlT_T0_SG_SL_E_clIS7_S7_SB_S7_EEDaSZ_S10_SG_SL_EUlSZ_E_NS1_11comp_targetILNS1_3genE10ELNS1_11target_archE1201ELNS1_3gpuE5ELNS1_3repE0EEENS1_47radix_sort_onesweep_sort_config_static_selectorELNS0_4arch9wavefront6targetE1EEEvSG_: ; @_ZN7rocprim17ROCPRIM_400000_NS6detail17trampoline_kernelINS0_14default_configENS1_35radix_sort_onesweep_config_selectorIllEEZZNS1_29radix_sort_onesweep_iterationIS3_Lb0EPlS7_N6thrust23THRUST_200600_302600_NS10device_ptrIlEESB_jNS0_19identity_decomposerENS1_16block_id_wrapperIjLb1EEEEE10hipError_tT1_PNSt15iterator_traitsISG_E10value_typeET2_T3_PNSH_ISM_E10value_typeET4_T5_PSR_SS_PNS1_23onesweep_lookback_stateEbbT6_jjT7_P12ihipStream_tbENKUlT_T0_SG_SL_E_clIS7_S7_SB_S7_EEDaSZ_S10_SG_SL_EUlSZ_E_NS1_11comp_targetILNS1_3genE10ELNS1_11target_archE1201ELNS1_3gpuE5ELNS1_3repE0EEENS1_47radix_sort_onesweep_sort_config_static_selectorELNS0_4arch9wavefront6targetE1EEEvSG_
; %bb.0:
	.section	.rodata,"a",@progbits
	.p2align	6, 0x0
	.amdhsa_kernel _ZN7rocprim17ROCPRIM_400000_NS6detail17trampoline_kernelINS0_14default_configENS1_35radix_sort_onesweep_config_selectorIllEEZZNS1_29radix_sort_onesweep_iterationIS3_Lb0EPlS7_N6thrust23THRUST_200600_302600_NS10device_ptrIlEESB_jNS0_19identity_decomposerENS1_16block_id_wrapperIjLb1EEEEE10hipError_tT1_PNSt15iterator_traitsISG_E10value_typeET2_T3_PNSH_ISM_E10value_typeET4_T5_PSR_SS_PNS1_23onesweep_lookback_stateEbbT6_jjT7_P12ihipStream_tbENKUlT_T0_SG_SL_E_clIS7_S7_SB_S7_EEDaSZ_S10_SG_SL_EUlSZ_E_NS1_11comp_targetILNS1_3genE10ELNS1_11target_archE1201ELNS1_3gpuE5ELNS1_3repE0EEENS1_47radix_sort_onesweep_sort_config_static_selectorELNS0_4arch9wavefront6targetE1EEEvSG_
		.amdhsa_group_segment_fixed_size 0
		.amdhsa_private_segment_fixed_size 0
		.amdhsa_kernarg_size 88
		.amdhsa_user_sgpr_count 6
		.amdhsa_user_sgpr_private_segment_buffer 1
		.amdhsa_user_sgpr_dispatch_ptr 0
		.amdhsa_user_sgpr_queue_ptr 0
		.amdhsa_user_sgpr_kernarg_segment_ptr 1
		.amdhsa_user_sgpr_dispatch_id 0
		.amdhsa_user_sgpr_flat_scratch_init 0
		.amdhsa_user_sgpr_kernarg_preload_length 0
		.amdhsa_user_sgpr_kernarg_preload_offset 0
		.amdhsa_user_sgpr_private_segment_size 0
		.amdhsa_uses_dynamic_stack 0
		.amdhsa_system_sgpr_private_segment_wavefront_offset 0
		.amdhsa_system_sgpr_workgroup_id_x 1
		.amdhsa_system_sgpr_workgroup_id_y 0
		.amdhsa_system_sgpr_workgroup_id_z 0
		.amdhsa_system_sgpr_workgroup_info 0
		.amdhsa_system_vgpr_workitem_id 0
		.amdhsa_next_free_vgpr 1
		.amdhsa_next_free_sgpr 0
		.amdhsa_accum_offset 4
		.amdhsa_reserve_vcc 0
		.amdhsa_reserve_flat_scratch 0
		.amdhsa_float_round_mode_32 0
		.amdhsa_float_round_mode_16_64 0
		.amdhsa_float_denorm_mode_32 3
		.amdhsa_float_denorm_mode_16_64 3
		.amdhsa_dx10_clamp 1
		.amdhsa_ieee_mode 1
		.amdhsa_fp16_overflow 0
		.amdhsa_tg_split 0
		.amdhsa_exception_fp_ieee_invalid_op 0
		.amdhsa_exception_fp_denorm_src 0
		.amdhsa_exception_fp_ieee_div_zero 0
		.amdhsa_exception_fp_ieee_overflow 0
		.amdhsa_exception_fp_ieee_underflow 0
		.amdhsa_exception_fp_ieee_inexact 0
		.amdhsa_exception_int_div_zero 0
	.end_amdhsa_kernel
	.section	.text._ZN7rocprim17ROCPRIM_400000_NS6detail17trampoline_kernelINS0_14default_configENS1_35radix_sort_onesweep_config_selectorIllEEZZNS1_29radix_sort_onesweep_iterationIS3_Lb0EPlS7_N6thrust23THRUST_200600_302600_NS10device_ptrIlEESB_jNS0_19identity_decomposerENS1_16block_id_wrapperIjLb1EEEEE10hipError_tT1_PNSt15iterator_traitsISG_E10value_typeET2_T3_PNSH_ISM_E10value_typeET4_T5_PSR_SS_PNS1_23onesweep_lookback_stateEbbT6_jjT7_P12ihipStream_tbENKUlT_T0_SG_SL_E_clIS7_S7_SB_S7_EEDaSZ_S10_SG_SL_EUlSZ_E_NS1_11comp_targetILNS1_3genE10ELNS1_11target_archE1201ELNS1_3gpuE5ELNS1_3repE0EEENS1_47radix_sort_onesweep_sort_config_static_selectorELNS0_4arch9wavefront6targetE1EEEvSG_,"axG",@progbits,_ZN7rocprim17ROCPRIM_400000_NS6detail17trampoline_kernelINS0_14default_configENS1_35radix_sort_onesweep_config_selectorIllEEZZNS1_29radix_sort_onesweep_iterationIS3_Lb0EPlS7_N6thrust23THRUST_200600_302600_NS10device_ptrIlEESB_jNS0_19identity_decomposerENS1_16block_id_wrapperIjLb1EEEEE10hipError_tT1_PNSt15iterator_traitsISG_E10value_typeET2_T3_PNSH_ISM_E10value_typeET4_T5_PSR_SS_PNS1_23onesweep_lookback_stateEbbT6_jjT7_P12ihipStream_tbENKUlT_T0_SG_SL_E_clIS7_S7_SB_S7_EEDaSZ_S10_SG_SL_EUlSZ_E_NS1_11comp_targetILNS1_3genE10ELNS1_11target_archE1201ELNS1_3gpuE5ELNS1_3repE0EEENS1_47radix_sort_onesweep_sort_config_static_selectorELNS0_4arch9wavefront6targetE1EEEvSG_,comdat
.Lfunc_end1147:
	.size	_ZN7rocprim17ROCPRIM_400000_NS6detail17trampoline_kernelINS0_14default_configENS1_35radix_sort_onesweep_config_selectorIllEEZZNS1_29radix_sort_onesweep_iterationIS3_Lb0EPlS7_N6thrust23THRUST_200600_302600_NS10device_ptrIlEESB_jNS0_19identity_decomposerENS1_16block_id_wrapperIjLb1EEEEE10hipError_tT1_PNSt15iterator_traitsISG_E10value_typeET2_T3_PNSH_ISM_E10value_typeET4_T5_PSR_SS_PNS1_23onesweep_lookback_stateEbbT6_jjT7_P12ihipStream_tbENKUlT_T0_SG_SL_E_clIS7_S7_SB_S7_EEDaSZ_S10_SG_SL_EUlSZ_E_NS1_11comp_targetILNS1_3genE10ELNS1_11target_archE1201ELNS1_3gpuE5ELNS1_3repE0EEENS1_47radix_sort_onesweep_sort_config_static_selectorELNS0_4arch9wavefront6targetE1EEEvSG_, .Lfunc_end1147-_ZN7rocprim17ROCPRIM_400000_NS6detail17trampoline_kernelINS0_14default_configENS1_35radix_sort_onesweep_config_selectorIllEEZZNS1_29radix_sort_onesweep_iterationIS3_Lb0EPlS7_N6thrust23THRUST_200600_302600_NS10device_ptrIlEESB_jNS0_19identity_decomposerENS1_16block_id_wrapperIjLb1EEEEE10hipError_tT1_PNSt15iterator_traitsISG_E10value_typeET2_T3_PNSH_ISM_E10value_typeET4_T5_PSR_SS_PNS1_23onesweep_lookback_stateEbbT6_jjT7_P12ihipStream_tbENKUlT_T0_SG_SL_E_clIS7_S7_SB_S7_EEDaSZ_S10_SG_SL_EUlSZ_E_NS1_11comp_targetILNS1_3genE10ELNS1_11target_archE1201ELNS1_3gpuE5ELNS1_3repE0EEENS1_47radix_sort_onesweep_sort_config_static_selectorELNS0_4arch9wavefront6targetE1EEEvSG_
                                        ; -- End function
	.section	.AMDGPU.csdata,"",@progbits
; Kernel info:
; codeLenInByte = 0
; NumSgprs: 4
; NumVgprs: 0
; NumAgprs: 0
; TotalNumVgprs: 0
; ScratchSize: 0
; MemoryBound: 0
; FloatMode: 240
; IeeeMode: 1
; LDSByteSize: 0 bytes/workgroup (compile time only)
; SGPRBlocks: 0
; VGPRBlocks: 0
; NumSGPRsForWavesPerEU: 4
; NumVGPRsForWavesPerEU: 1
; AccumOffset: 4
; Occupancy: 8
; WaveLimiterHint : 0
; COMPUTE_PGM_RSRC2:SCRATCH_EN: 0
; COMPUTE_PGM_RSRC2:USER_SGPR: 6
; COMPUTE_PGM_RSRC2:TRAP_HANDLER: 0
; COMPUTE_PGM_RSRC2:TGID_X_EN: 1
; COMPUTE_PGM_RSRC2:TGID_Y_EN: 0
; COMPUTE_PGM_RSRC2:TGID_Z_EN: 0
; COMPUTE_PGM_RSRC2:TIDIG_COMP_CNT: 0
; COMPUTE_PGM_RSRC3_GFX90A:ACCUM_OFFSET: 0
; COMPUTE_PGM_RSRC3_GFX90A:TG_SPLIT: 0
	.section	.text._ZN7rocprim17ROCPRIM_400000_NS6detail17trampoline_kernelINS0_14default_configENS1_35radix_sort_onesweep_config_selectorIllEEZZNS1_29radix_sort_onesweep_iterationIS3_Lb0EPlS7_N6thrust23THRUST_200600_302600_NS10device_ptrIlEESB_jNS0_19identity_decomposerENS1_16block_id_wrapperIjLb1EEEEE10hipError_tT1_PNSt15iterator_traitsISG_E10value_typeET2_T3_PNSH_ISM_E10value_typeET4_T5_PSR_SS_PNS1_23onesweep_lookback_stateEbbT6_jjT7_P12ihipStream_tbENKUlT_T0_SG_SL_E_clIS7_S7_SB_S7_EEDaSZ_S10_SG_SL_EUlSZ_E_NS1_11comp_targetILNS1_3genE9ELNS1_11target_archE1100ELNS1_3gpuE3ELNS1_3repE0EEENS1_47radix_sort_onesweep_sort_config_static_selectorELNS0_4arch9wavefront6targetE1EEEvSG_,"axG",@progbits,_ZN7rocprim17ROCPRIM_400000_NS6detail17trampoline_kernelINS0_14default_configENS1_35radix_sort_onesweep_config_selectorIllEEZZNS1_29radix_sort_onesweep_iterationIS3_Lb0EPlS7_N6thrust23THRUST_200600_302600_NS10device_ptrIlEESB_jNS0_19identity_decomposerENS1_16block_id_wrapperIjLb1EEEEE10hipError_tT1_PNSt15iterator_traitsISG_E10value_typeET2_T3_PNSH_ISM_E10value_typeET4_T5_PSR_SS_PNS1_23onesweep_lookback_stateEbbT6_jjT7_P12ihipStream_tbENKUlT_T0_SG_SL_E_clIS7_S7_SB_S7_EEDaSZ_S10_SG_SL_EUlSZ_E_NS1_11comp_targetILNS1_3genE9ELNS1_11target_archE1100ELNS1_3gpuE3ELNS1_3repE0EEENS1_47radix_sort_onesweep_sort_config_static_selectorELNS0_4arch9wavefront6targetE1EEEvSG_,comdat
	.protected	_ZN7rocprim17ROCPRIM_400000_NS6detail17trampoline_kernelINS0_14default_configENS1_35radix_sort_onesweep_config_selectorIllEEZZNS1_29radix_sort_onesweep_iterationIS3_Lb0EPlS7_N6thrust23THRUST_200600_302600_NS10device_ptrIlEESB_jNS0_19identity_decomposerENS1_16block_id_wrapperIjLb1EEEEE10hipError_tT1_PNSt15iterator_traitsISG_E10value_typeET2_T3_PNSH_ISM_E10value_typeET4_T5_PSR_SS_PNS1_23onesweep_lookback_stateEbbT6_jjT7_P12ihipStream_tbENKUlT_T0_SG_SL_E_clIS7_S7_SB_S7_EEDaSZ_S10_SG_SL_EUlSZ_E_NS1_11comp_targetILNS1_3genE9ELNS1_11target_archE1100ELNS1_3gpuE3ELNS1_3repE0EEENS1_47radix_sort_onesweep_sort_config_static_selectorELNS0_4arch9wavefront6targetE1EEEvSG_ ; -- Begin function _ZN7rocprim17ROCPRIM_400000_NS6detail17trampoline_kernelINS0_14default_configENS1_35radix_sort_onesweep_config_selectorIllEEZZNS1_29radix_sort_onesweep_iterationIS3_Lb0EPlS7_N6thrust23THRUST_200600_302600_NS10device_ptrIlEESB_jNS0_19identity_decomposerENS1_16block_id_wrapperIjLb1EEEEE10hipError_tT1_PNSt15iterator_traitsISG_E10value_typeET2_T3_PNSH_ISM_E10value_typeET4_T5_PSR_SS_PNS1_23onesweep_lookback_stateEbbT6_jjT7_P12ihipStream_tbENKUlT_T0_SG_SL_E_clIS7_S7_SB_S7_EEDaSZ_S10_SG_SL_EUlSZ_E_NS1_11comp_targetILNS1_3genE9ELNS1_11target_archE1100ELNS1_3gpuE3ELNS1_3repE0EEENS1_47radix_sort_onesweep_sort_config_static_selectorELNS0_4arch9wavefront6targetE1EEEvSG_
	.globl	_ZN7rocprim17ROCPRIM_400000_NS6detail17trampoline_kernelINS0_14default_configENS1_35radix_sort_onesweep_config_selectorIllEEZZNS1_29radix_sort_onesweep_iterationIS3_Lb0EPlS7_N6thrust23THRUST_200600_302600_NS10device_ptrIlEESB_jNS0_19identity_decomposerENS1_16block_id_wrapperIjLb1EEEEE10hipError_tT1_PNSt15iterator_traitsISG_E10value_typeET2_T3_PNSH_ISM_E10value_typeET4_T5_PSR_SS_PNS1_23onesweep_lookback_stateEbbT6_jjT7_P12ihipStream_tbENKUlT_T0_SG_SL_E_clIS7_S7_SB_S7_EEDaSZ_S10_SG_SL_EUlSZ_E_NS1_11comp_targetILNS1_3genE9ELNS1_11target_archE1100ELNS1_3gpuE3ELNS1_3repE0EEENS1_47radix_sort_onesweep_sort_config_static_selectorELNS0_4arch9wavefront6targetE1EEEvSG_
	.p2align	8
	.type	_ZN7rocprim17ROCPRIM_400000_NS6detail17trampoline_kernelINS0_14default_configENS1_35radix_sort_onesweep_config_selectorIllEEZZNS1_29radix_sort_onesweep_iterationIS3_Lb0EPlS7_N6thrust23THRUST_200600_302600_NS10device_ptrIlEESB_jNS0_19identity_decomposerENS1_16block_id_wrapperIjLb1EEEEE10hipError_tT1_PNSt15iterator_traitsISG_E10value_typeET2_T3_PNSH_ISM_E10value_typeET4_T5_PSR_SS_PNS1_23onesweep_lookback_stateEbbT6_jjT7_P12ihipStream_tbENKUlT_T0_SG_SL_E_clIS7_S7_SB_S7_EEDaSZ_S10_SG_SL_EUlSZ_E_NS1_11comp_targetILNS1_3genE9ELNS1_11target_archE1100ELNS1_3gpuE3ELNS1_3repE0EEENS1_47radix_sort_onesweep_sort_config_static_selectorELNS0_4arch9wavefront6targetE1EEEvSG_,@function
_ZN7rocprim17ROCPRIM_400000_NS6detail17trampoline_kernelINS0_14default_configENS1_35radix_sort_onesweep_config_selectorIllEEZZNS1_29radix_sort_onesweep_iterationIS3_Lb0EPlS7_N6thrust23THRUST_200600_302600_NS10device_ptrIlEESB_jNS0_19identity_decomposerENS1_16block_id_wrapperIjLb1EEEEE10hipError_tT1_PNSt15iterator_traitsISG_E10value_typeET2_T3_PNSH_ISM_E10value_typeET4_T5_PSR_SS_PNS1_23onesweep_lookback_stateEbbT6_jjT7_P12ihipStream_tbENKUlT_T0_SG_SL_E_clIS7_S7_SB_S7_EEDaSZ_S10_SG_SL_EUlSZ_E_NS1_11comp_targetILNS1_3genE9ELNS1_11target_archE1100ELNS1_3gpuE3ELNS1_3repE0EEENS1_47radix_sort_onesweep_sort_config_static_selectorELNS0_4arch9wavefront6targetE1EEEvSG_: ; @_ZN7rocprim17ROCPRIM_400000_NS6detail17trampoline_kernelINS0_14default_configENS1_35radix_sort_onesweep_config_selectorIllEEZZNS1_29radix_sort_onesweep_iterationIS3_Lb0EPlS7_N6thrust23THRUST_200600_302600_NS10device_ptrIlEESB_jNS0_19identity_decomposerENS1_16block_id_wrapperIjLb1EEEEE10hipError_tT1_PNSt15iterator_traitsISG_E10value_typeET2_T3_PNSH_ISM_E10value_typeET4_T5_PSR_SS_PNS1_23onesweep_lookback_stateEbbT6_jjT7_P12ihipStream_tbENKUlT_T0_SG_SL_E_clIS7_S7_SB_S7_EEDaSZ_S10_SG_SL_EUlSZ_E_NS1_11comp_targetILNS1_3genE9ELNS1_11target_archE1100ELNS1_3gpuE3ELNS1_3repE0EEENS1_47radix_sort_onesweep_sort_config_static_selectorELNS0_4arch9wavefront6targetE1EEEvSG_
; %bb.0:
	.section	.rodata,"a",@progbits
	.p2align	6, 0x0
	.amdhsa_kernel _ZN7rocprim17ROCPRIM_400000_NS6detail17trampoline_kernelINS0_14default_configENS1_35radix_sort_onesweep_config_selectorIllEEZZNS1_29radix_sort_onesweep_iterationIS3_Lb0EPlS7_N6thrust23THRUST_200600_302600_NS10device_ptrIlEESB_jNS0_19identity_decomposerENS1_16block_id_wrapperIjLb1EEEEE10hipError_tT1_PNSt15iterator_traitsISG_E10value_typeET2_T3_PNSH_ISM_E10value_typeET4_T5_PSR_SS_PNS1_23onesweep_lookback_stateEbbT6_jjT7_P12ihipStream_tbENKUlT_T0_SG_SL_E_clIS7_S7_SB_S7_EEDaSZ_S10_SG_SL_EUlSZ_E_NS1_11comp_targetILNS1_3genE9ELNS1_11target_archE1100ELNS1_3gpuE3ELNS1_3repE0EEENS1_47radix_sort_onesweep_sort_config_static_selectorELNS0_4arch9wavefront6targetE1EEEvSG_
		.amdhsa_group_segment_fixed_size 0
		.amdhsa_private_segment_fixed_size 0
		.amdhsa_kernarg_size 88
		.amdhsa_user_sgpr_count 6
		.amdhsa_user_sgpr_private_segment_buffer 1
		.amdhsa_user_sgpr_dispatch_ptr 0
		.amdhsa_user_sgpr_queue_ptr 0
		.amdhsa_user_sgpr_kernarg_segment_ptr 1
		.amdhsa_user_sgpr_dispatch_id 0
		.amdhsa_user_sgpr_flat_scratch_init 0
		.amdhsa_user_sgpr_kernarg_preload_length 0
		.amdhsa_user_sgpr_kernarg_preload_offset 0
		.amdhsa_user_sgpr_private_segment_size 0
		.amdhsa_uses_dynamic_stack 0
		.amdhsa_system_sgpr_private_segment_wavefront_offset 0
		.amdhsa_system_sgpr_workgroup_id_x 1
		.amdhsa_system_sgpr_workgroup_id_y 0
		.amdhsa_system_sgpr_workgroup_id_z 0
		.amdhsa_system_sgpr_workgroup_info 0
		.amdhsa_system_vgpr_workitem_id 0
		.amdhsa_next_free_vgpr 1
		.amdhsa_next_free_sgpr 0
		.amdhsa_accum_offset 4
		.amdhsa_reserve_vcc 0
		.amdhsa_reserve_flat_scratch 0
		.amdhsa_float_round_mode_32 0
		.amdhsa_float_round_mode_16_64 0
		.amdhsa_float_denorm_mode_32 3
		.amdhsa_float_denorm_mode_16_64 3
		.amdhsa_dx10_clamp 1
		.amdhsa_ieee_mode 1
		.amdhsa_fp16_overflow 0
		.amdhsa_tg_split 0
		.amdhsa_exception_fp_ieee_invalid_op 0
		.amdhsa_exception_fp_denorm_src 0
		.amdhsa_exception_fp_ieee_div_zero 0
		.amdhsa_exception_fp_ieee_overflow 0
		.amdhsa_exception_fp_ieee_underflow 0
		.amdhsa_exception_fp_ieee_inexact 0
		.amdhsa_exception_int_div_zero 0
	.end_amdhsa_kernel
	.section	.text._ZN7rocprim17ROCPRIM_400000_NS6detail17trampoline_kernelINS0_14default_configENS1_35radix_sort_onesweep_config_selectorIllEEZZNS1_29radix_sort_onesweep_iterationIS3_Lb0EPlS7_N6thrust23THRUST_200600_302600_NS10device_ptrIlEESB_jNS0_19identity_decomposerENS1_16block_id_wrapperIjLb1EEEEE10hipError_tT1_PNSt15iterator_traitsISG_E10value_typeET2_T3_PNSH_ISM_E10value_typeET4_T5_PSR_SS_PNS1_23onesweep_lookback_stateEbbT6_jjT7_P12ihipStream_tbENKUlT_T0_SG_SL_E_clIS7_S7_SB_S7_EEDaSZ_S10_SG_SL_EUlSZ_E_NS1_11comp_targetILNS1_3genE9ELNS1_11target_archE1100ELNS1_3gpuE3ELNS1_3repE0EEENS1_47radix_sort_onesweep_sort_config_static_selectorELNS0_4arch9wavefront6targetE1EEEvSG_,"axG",@progbits,_ZN7rocprim17ROCPRIM_400000_NS6detail17trampoline_kernelINS0_14default_configENS1_35radix_sort_onesweep_config_selectorIllEEZZNS1_29radix_sort_onesweep_iterationIS3_Lb0EPlS7_N6thrust23THRUST_200600_302600_NS10device_ptrIlEESB_jNS0_19identity_decomposerENS1_16block_id_wrapperIjLb1EEEEE10hipError_tT1_PNSt15iterator_traitsISG_E10value_typeET2_T3_PNSH_ISM_E10value_typeET4_T5_PSR_SS_PNS1_23onesweep_lookback_stateEbbT6_jjT7_P12ihipStream_tbENKUlT_T0_SG_SL_E_clIS7_S7_SB_S7_EEDaSZ_S10_SG_SL_EUlSZ_E_NS1_11comp_targetILNS1_3genE9ELNS1_11target_archE1100ELNS1_3gpuE3ELNS1_3repE0EEENS1_47radix_sort_onesweep_sort_config_static_selectorELNS0_4arch9wavefront6targetE1EEEvSG_,comdat
.Lfunc_end1148:
	.size	_ZN7rocprim17ROCPRIM_400000_NS6detail17trampoline_kernelINS0_14default_configENS1_35radix_sort_onesweep_config_selectorIllEEZZNS1_29radix_sort_onesweep_iterationIS3_Lb0EPlS7_N6thrust23THRUST_200600_302600_NS10device_ptrIlEESB_jNS0_19identity_decomposerENS1_16block_id_wrapperIjLb1EEEEE10hipError_tT1_PNSt15iterator_traitsISG_E10value_typeET2_T3_PNSH_ISM_E10value_typeET4_T5_PSR_SS_PNS1_23onesweep_lookback_stateEbbT6_jjT7_P12ihipStream_tbENKUlT_T0_SG_SL_E_clIS7_S7_SB_S7_EEDaSZ_S10_SG_SL_EUlSZ_E_NS1_11comp_targetILNS1_3genE9ELNS1_11target_archE1100ELNS1_3gpuE3ELNS1_3repE0EEENS1_47radix_sort_onesweep_sort_config_static_selectorELNS0_4arch9wavefront6targetE1EEEvSG_, .Lfunc_end1148-_ZN7rocprim17ROCPRIM_400000_NS6detail17trampoline_kernelINS0_14default_configENS1_35radix_sort_onesweep_config_selectorIllEEZZNS1_29radix_sort_onesweep_iterationIS3_Lb0EPlS7_N6thrust23THRUST_200600_302600_NS10device_ptrIlEESB_jNS0_19identity_decomposerENS1_16block_id_wrapperIjLb1EEEEE10hipError_tT1_PNSt15iterator_traitsISG_E10value_typeET2_T3_PNSH_ISM_E10value_typeET4_T5_PSR_SS_PNS1_23onesweep_lookback_stateEbbT6_jjT7_P12ihipStream_tbENKUlT_T0_SG_SL_E_clIS7_S7_SB_S7_EEDaSZ_S10_SG_SL_EUlSZ_E_NS1_11comp_targetILNS1_3genE9ELNS1_11target_archE1100ELNS1_3gpuE3ELNS1_3repE0EEENS1_47radix_sort_onesweep_sort_config_static_selectorELNS0_4arch9wavefront6targetE1EEEvSG_
                                        ; -- End function
	.section	.AMDGPU.csdata,"",@progbits
; Kernel info:
; codeLenInByte = 0
; NumSgprs: 4
; NumVgprs: 0
; NumAgprs: 0
; TotalNumVgprs: 0
; ScratchSize: 0
; MemoryBound: 0
; FloatMode: 240
; IeeeMode: 1
; LDSByteSize: 0 bytes/workgroup (compile time only)
; SGPRBlocks: 0
; VGPRBlocks: 0
; NumSGPRsForWavesPerEU: 4
; NumVGPRsForWavesPerEU: 1
; AccumOffset: 4
; Occupancy: 8
; WaveLimiterHint : 0
; COMPUTE_PGM_RSRC2:SCRATCH_EN: 0
; COMPUTE_PGM_RSRC2:USER_SGPR: 6
; COMPUTE_PGM_RSRC2:TRAP_HANDLER: 0
; COMPUTE_PGM_RSRC2:TGID_X_EN: 1
; COMPUTE_PGM_RSRC2:TGID_Y_EN: 0
; COMPUTE_PGM_RSRC2:TGID_Z_EN: 0
; COMPUTE_PGM_RSRC2:TIDIG_COMP_CNT: 0
; COMPUTE_PGM_RSRC3_GFX90A:ACCUM_OFFSET: 0
; COMPUTE_PGM_RSRC3_GFX90A:TG_SPLIT: 0
	.section	.text._ZN7rocprim17ROCPRIM_400000_NS6detail17trampoline_kernelINS0_14default_configENS1_35radix_sort_onesweep_config_selectorIllEEZZNS1_29radix_sort_onesweep_iterationIS3_Lb0EPlS7_N6thrust23THRUST_200600_302600_NS10device_ptrIlEESB_jNS0_19identity_decomposerENS1_16block_id_wrapperIjLb1EEEEE10hipError_tT1_PNSt15iterator_traitsISG_E10value_typeET2_T3_PNSH_ISM_E10value_typeET4_T5_PSR_SS_PNS1_23onesweep_lookback_stateEbbT6_jjT7_P12ihipStream_tbENKUlT_T0_SG_SL_E_clIS7_S7_SB_S7_EEDaSZ_S10_SG_SL_EUlSZ_E_NS1_11comp_targetILNS1_3genE8ELNS1_11target_archE1030ELNS1_3gpuE2ELNS1_3repE0EEENS1_47radix_sort_onesweep_sort_config_static_selectorELNS0_4arch9wavefront6targetE1EEEvSG_,"axG",@progbits,_ZN7rocprim17ROCPRIM_400000_NS6detail17trampoline_kernelINS0_14default_configENS1_35radix_sort_onesweep_config_selectorIllEEZZNS1_29radix_sort_onesweep_iterationIS3_Lb0EPlS7_N6thrust23THRUST_200600_302600_NS10device_ptrIlEESB_jNS0_19identity_decomposerENS1_16block_id_wrapperIjLb1EEEEE10hipError_tT1_PNSt15iterator_traitsISG_E10value_typeET2_T3_PNSH_ISM_E10value_typeET4_T5_PSR_SS_PNS1_23onesweep_lookback_stateEbbT6_jjT7_P12ihipStream_tbENKUlT_T0_SG_SL_E_clIS7_S7_SB_S7_EEDaSZ_S10_SG_SL_EUlSZ_E_NS1_11comp_targetILNS1_3genE8ELNS1_11target_archE1030ELNS1_3gpuE2ELNS1_3repE0EEENS1_47radix_sort_onesweep_sort_config_static_selectorELNS0_4arch9wavefront6targetE1EEEvSG_,comdat
	.protected	_ZN7rocprim17ROCPRIM_400000_NS6detail17trampoline_kernelINS0_14default_configENS1_35radix_sort_onesweep_config_selectorIllEEZZNS1_29radix_sort_onesweep_iterationIS3_Lb0EPlS7_N6thrust23THRUST_200600_302600_NS10device_ptrIlEESB_jNS0_19identity_decomposerENS1_16block_id_wrapperIjLb1EEEEE10hipError_tT1_PNSt15iterator_traitsISG_E10value_typeET2_T3_PNSH_ISM_E10value_typeET4_T5_PSR_SS_PNS1_23onesweep_lookback_stateEbbT6_jjT7_P12ihipStream_tbENKUlT_T0_SG_SL_E_clIS7_S7_SB_S7_EEDaSZ_S10_SG_SL_EUlSZ_E_NS1_11comp_targetILNS1_3genE8ELNS1_11target_archE1030ELNS1_3gpuE2ELNS1_3repE0EEENS1_47radix_sort_onesweep_sort_config_static_selectorELNS0_4arch9wavefront6targetE1EEEvSG_ ; -- Begin function _ZN7rocprim17ROCPRIM_400000_NS6detail17trampoline_kernelINS0_14default_configENS1_35radix_sort_onesweep_config_selectorIllEEZZNS1_29radix_sort_onesweep_iterationIS3_Lb0EPlS7_N6thrust23THRUST_200600_302600_NS10device_ptrIlEESB_jNS0_19identity_decomposerENS1_16block_id_wrapperIjLb1EEEEE10hipError_tT1_PNSt15iterator_traitsISG_E10value_typeET2_T3_PNSH_ISM_E10value_typeET4_T5_PSR_SS_PNS1_23onesweep_lookback_stateEbbT6_jjT7_P12ihipStream_tbENKUlT_T0_SG_SL_E_clIS7_S7_SB_S7_EEDaSZ_S10_SG_SL_EUlSZ_E_NS1_11comp_targetILNS1_3genE8ELNS1_11target_archE1030ELNS1_3gpuE2ELNS1_3repE0EEENS1_47radix_sort_onesweep_sort_config_static_selectorELNS0_4arch9wavefront6targetE1EEEvSG_
	.globl	_ZN7rocprim17ROCPRIM_400000_NS6detail17trampoline_kernelINS0_14default_configENS1_35radix_sort_onesweep_config_selectorIllEEZZNS1_29radix_sort_onesweep_iterationIS3_Lb0EPlS7_N6thrust23THRUST_200600_302600_NS10device_ptrIlEESB_jNS0_19identity_decomposerENS1_16block_id_wrapperIjLb1EEEEE10hipError_tT1_PNSt15iterator_traitsISG_E10value_typeET2_T3_PNSH_ISM_E10value_typeET4_T5_PSR_SS_PNS1_23onesweep_lookback_stateEbbT6_jjT7_P12ihipStream_tbENKUlT_T0_SG_SL_E_clIS7_S7_SB_S7_EEDaSZ_S10_SG_SL_EUlSZ_E_NS1_11comp_targetILNS1_3genE8ELNS1_11target_archE1030ELNS1_3gpuE2ELNS1_3repE0EEENS1_47radix_sort_onesweep_sort_config_static_selectorELNS0_4arch9wavefront6targetE1EEEvSG_
	.p2align	8
	.type	_ZN7rocprim17ROCPRIM_400000_NS6detail17trampoline_kernelINS0_14default_configENS1_35radix_sort_onesweep_config_selectorIllEEZZNS1_29radix_sort_onesweep_iterationIS3_Lb0EPlS7_N6thrust23THRUST_200600_302600_NS10device_ptrIlEESB_jNS0_19identity_decomposerENS1_16block_id_wrapperIjLb1EEEEE10hipError_tT1_PNSt15iterator_traitsISG_E10value_typeET2_T3_PNSH_ISM_E10value_typeET4_T5_PSR_SS_PNS1_23onesweep_lookback_stateEbbT6_jjT7_P12ihipStream_tbENKUlT_T0_SG_SL_E_clIS7_S7_SB_S7_EEDaSZ_S10_SG_SL_EUlSZ_E_NS1_11comp_targetILNS1_3genE8ELNS1_11target_archE1030ELNS1_3gpuE2ELNS1_3repE0EEENS1_47radix_sort_onesweep_sort_config_static_selectorELNS0_4arch9wavefront6targetE1EEEvSG_,@function
_ZN7rocprim17ROCPRIM_400000_NS6detail17trampoline_kernelINS0_14default_configENS1_35radix_sort_onesweep_config_selectorIllEEZZNS1_29radix_sort_onesweep_iterationIS3_Lb0EPlS7_N6thrust23THRUST_200600_302600_NS10device_ptrIlEESB_jNS0_19identity_decomposerENS1_16block_id_wrapperIjLb1EEEEE10hipError_tT1_PNSt15iterator_traitsISG_E10value_typeET2_T3_PNSH_ISM_E10value_typeET4_T5_PSR_SS_PNS1_23onesweep_lookback_stateEbbT6_jjT7_P12ihipStream_tbENKUlT_T0_SG_SL_E_clIS7_S7_SB_S7_EEDaSZ_S10_SG_SL_EUlSZ_E_NS1_11comp_targetILNS1_3genE8ELNS1_11target_archE1030ELNS1_3gpuE2ELNS1_3repE0EEENS1_47radix_sort_onesweep_sort_config_static_selectorELNS0_4arch9wavefront6targetE1EEEvSG_: ; @_ZN7rocprim17ROCPRIM_400000_NS6detail17trampoline_kernelINS0_14default_configENS1_35radix_sort_onesweep_config_selectorIllEEZZNS1_29radix_sort_onesweep_iterationIS3_Lb0EPlS7_N6thrust23THRUST_200600_302600_NS10device_ptrIlEESB_jNS0_19identity_decomposerENS1_16block_id_wrapperIjLb1EEEEE10hipError_tT1_PNSt15iterator_traitsISG_E10value_typeET2_T3_PNSH_ISM_E10value_typeET4_T5_PSR_SS_PNS1_23onesweep_lookback_stateEbbT6_jjT7_P12ihipStream_tbENKUlT_T0_SG_SL_E_clIS7_S7_SB_S7_EEDaSZ_S10_SG_SL_EUlSZ_E_NS1_11comp_targetILNS1_3genE8ELNS1_11target_archE1030ELNS1_3gpuE2ELNS1_3repE0EEENS1_47radix_sort_onesweep_sort_config_static_selectorELNS0_4arch9wavefront6targetE1EEEvSG_
; %bb.0:
	.section	.rodata,"a",@progbits
	.p2align	6, 0x0
	.amdhsa_kernel _ZN7rocprim17ROCPRIM_400000_NS6detail17trampoline_kernelINS0_14default_configENS1_35radix_sort_onesweep_config_selectorIllEEZZNS1_29radix_sort_onesweep_iterationIS3_Lb0EPlS7_N6thrust23THRUST_200600_302600_NS10device_ptrIlEESB_jNS0_19identity_decomposerENS1_16block_id_wrapperIjLb1EEEEE10hipError_tT1_PNSt15iterator_traitsISG_E10value_typeET2_T3_PNSH_ISM_E10value_typeET4_T5_PSR_SS_PNS1_23onesweep_lookback_stateEbbT6_jjT7_P12ihipStream_tbENKUlT_T0_SG_SL_E_clIS7_S7_SB_S7_EEDaSZ_S10_SG_SL_EUlSZ_E_NS1_11comp_targetILNS1_3genE8ELNS1_11target_archE1030ELNS1_3gpuE2ELNS1_3repE0EEENS1_47radix_sort_onesweep_sort_config_static_selectorELNS0_4arch9wavefront6targetE1EEEvSG_
		.amdhsa_group_segment_fixed_size 0
		.amdhsa_private_segment_fixed_size 0
		.amdhsa_kernarg_size 88
		.amdhsa_user_sgpr_count 6
		.amdhsa_user_sgpr_private_segment_buffer 1
		.amdhsa_user_sgpr_dispatch_ptr 0
		.amdhsa_user_sgpr_queue_ptr 0
		.amdhsa_user_sgpr_kernarg_segment_ptr 1
		.amdhsa_user_sgpr_dispatch_id 0
		.amdhsa_user_sgpr_flat_scratch_init 0
		.amdhsa_user_sgpr_kernarg_preload_length 0
		.amdhsa_user_sgpr_kernarg_preload_offset 0
		.amdhsa_user_sgpr_private_segment_size 0
		.amdhsa_uses_dynamic_stack 0
		.amdhsa_system_sgpr_private_segment_wavefront_offset 0
		.amdhsa_system_sgpr_workgroup_id_x 1
		.amdhsa_system_sgpr_workgroup_id_y 0
		.amdhsa_system_sgpr_workgroup_id_z 0
		.amdhsa_system_sgpr_workgroup_info 0
		.amdhsa_system_vgpr_workitem_id 0
		.amdhsa_next_free_vgpr 1
		.amdhsa_next_free_sgpr 0
		.amdhsa_accum_offset 4
		.amdhsa_reserve_vcc 0
		.amdhsa_reserve_flat_scratch 0
		.amdhsa_float_round_mode_32 0
		.amdhsa_float_round_mode_16_64 0
		.amdhsa_float_denorm_mode_32 3
		.amdhsa_float_denorm_mode_16_64 3
		.amdhsa_dx10_clamp 1
		.amdhsa_ieee_mode 1
		.amdhsa_fp16_overflow 0
		.amdhsa_tg_split 0
		.amdhsa_exception_fp_ieee_invalid_op 0
		.amdhsa_exception_fp_denorm_src 0
		.amdhsa_exception_fp_ieee_div_zero 0
		.amdhsa_exception_fp_ieee_overflow 0
		.amdhsa_exception_fp_ieee_underflow 0
		.amdhsa_exception_fp_ieee_inexact 0
		.amdhsa_exception_int_div_zero 0
	.end_amdhsa_kernel
	.section	.text._ZN7rocprim17ROCPRIM_400000_NS6detail17trampoline_kernelINS0_14default_configENS1_35radix_sort_onesweep_config_selectorIllEEZZNS1_29radix_sort_onesweep_iterationIS3_Lb0EPlS7_N6thrust23THRUST_200600_302600_NS10device_ptrIlEESB_jNS0_19identity_decomposerENS1_16block_id_wrapperIjLb1EEEEE10hipError_tT1_PNSt15iterator_traitsISG_E10value_typeET2_T3_PNSH_ISM_E10value_typeET4_T5_PSR_SS_PNS1_23onesweep_lookback_stateEbbT6_jjT7_P12ihipStream_tbENKUlT_T0_SG_SL_E_clIS7_S7_SB_S7_EEDaSZ_S10_SG_SL_EUlSZ_E_NS1_11comp_targetILNS1_3genE8ELNS1_11target_archE1030ELNS1_3gpuE2ELNS1_3repE0EEENS1_47radix_sort_onesweep_sort_config_static_selectorELNS0_4arch9wavefront6targetE1EEEvSG_,"axG",@progbits,_ZN7rocprim17ROCPRIM_400000_NS6detail17trampoline_kernelINS0_14default_configENS1_35radix_sort_onesweep_config_selectorIllEEZZNS1_29radix_sort_onesweep_iterationIS3_Lb0EPlS7_N6thrust23THRUST_200600_302600_NS10device_ptrIlEESB_jNS0_19identity_decomposerENS1_16block_id_wrapperIjLb1EEEEE10hipError_tT1_PNSt15iterator_traitsISG_E10value_typeET2_T3_PNSH_ISM_E10value_typeET4_T5_PSR_SS_PNS1_23onesweep_lookback_stateEbbT6_jjT7_P12ihipStream_tbENKUlT_T0_SG_SL_E_clIS7_S7_SB_S7_EEDaSZ_S10_SG_SL_EUlSZ_E_NS1_11comp_targetILNS1_3genE8ELNS1_11target_archE1030ELNS1_3gpuE2ELNS1_3repE0EEENS1_47radix_sort_onesweep_sort_config_static_selectorELNS0_4arch9wavefront6targetE1EEEvSG_,comdat
.Lfunc_end1149:
	.size	_ZN7rocprim17ROCPRIM_400000_NS6detail17trampoline_kernelINS0_14default_configENS1_35radix_sort_onesweep_config_selectorIllEEZZNS1_29radix_sort_onesweep_iterationIS3_Lb0EPlS7_N6thrust23THRUST_200600_302600_NS10device_ptrIlEESB_jNS0_19identity_decomposerENS1_16block_id_wrapperIjLb1EEEEE10hipError_tT1_PNSt15iterator_traitsISG_E10value_typeET2_T3_PNSH_ISM_E10value_typeET4_T5_PSR_SS_PNS1_23onesweep_lookback_stateEbbT6_jjT7_P12ihipStream_tbENKUlT_T0_SG_SL_E_clIS7_S7_SB_S7_EEDaSZ_S10_SG_SL_EUlSZ_E_NS1_11comp_targetILNS1_3genE8ELNS1_11target_archE1030ELNS1_3gpuE2ELNS1_3repE0EEENS1_47radix_sort_onesweep_sort_config_static_selectorELNS0_4arch9wavefront6targetE1EEEvSG_, .Lfunc_end1149-_ZN7rocprim17ROCPRIM_400000_NS6detail17trampoline_kernelINS0_14default_configENS1_35radix_sort_onesweep_config_selectorIllEEZZNS1_29radix_sort_onesweep_iterationIS3_Lb0EPlS7_N6thrust23THRUST_200600_302600_NS10device_ptrIlEESB_jNS0_19identity_decomposerENS1_16block_id_wrapperIjLb1EEEEE10hipError_tT1_PNSt15iterator_traitsISG_E10value_typeET2_T3_PNSH_ISM_E10value_typeET4_T5_PSR_SS_PNS1_23onesweep_lookback_stateEbbT6_jjT7_P12ihipStream_tbENKUlT_T0_SG_SL_E_clIS7_S7_SB_S7_EEDaSZ_S10_SG_SL_EUlSZ_E_NS1_11comp_targetILNS1_3genE8ELNS1_11target_archE1030ELNS1_3gpuE2ELNS1_3repE0EEENS1_47radix_sort_onesweep_sort_config_static_selectorELNS0_4arch9wavefront6targetE1EEEvSG_
                                        ; -- End function
	.section	.AMDGPU.csdata,"",@progbits
; Kernel info:
; codeLenInByte = 0
; NumSgprs: 4
; NumVgprs: 0
; NumAgprs: 0
; TotalNumVgprs: 0
; ScratchSize: 0
; MemoryBound: 0
; FloatMode: 240
; IeeeMode: 1
; LDSByteSize: 0 bytes/workgroup (compile time only)
; SGPRBlocks: 0
; VGPRBlocks: 0
; NumSGPRsForWavesPerEU: 4
; NumVGPRsForWavesPerEU: 1
; AccumOffset: 4
; Occupancy: 8
; WaveLimiterHint : 0
; COMPUTE_PGM_RSRC2:SCRATCH_EN: 0
; COMPUTE_PGM_RSRC2:USER_SGPR: 6
; COMPUTE_PGM_RSRC2:TRAP_HANDLER: 0
; COMPUTE_PGM_RSRC2:TGID_X_EN: 1
; COMPUTE_PGM_RSRC2:TGID_Y_EN: 0
; COMPUTE_PGM_RSRC2:TGID_Z_EN: 0
; COMPUTE_PGM_RSRC2:TIDIG_COMP_CNT: 0
; COMPUTE_PGM_RSRC3_GFX90A:ACCUM_OFFSET: 0
; COMPUTE_PGM_RSRC3_GFX90A:TG_SPLIT: 0
	.section	.text._ZN7rocprim17ROCPRIM_400000_NS6detail17trampoline_kernelINS0_14default_configENS1_35radix_sort_onesweep_config_selectorIllEEZZNS1_29radix_sort_onesweep_iterationIS3_Lb0EPlS7_N6thrust23THRUST_200600_302600_NS10device_ptrIlEESB_jNS0_19identity_decomposerENS1_16block_id_wrapperIjLb1EEEEE10hipError_tT1_PNSt15iterator_traitsISG_E10value_typeET2_T3_PNSH_ISM_E10value_typeET4_T5_PSR_SS_PNS1_23onesweep_lookback_stateEbbT6_jjT7_P12ihipStream_tbENKUlT_T0_SG_SL_E_clIS7_S7_S7_SB_EEDaSZ_S10_SG_SL_EUlSZ_E_NS1_11comp_targetILNS1_3genE0ELNS1_11target_archE4294967295ELNS1_3gpuE0ELNS1_3repE0EEENS1_47radix_sort_onesweep_sort_config_static_selectorELNS0_4arch9wavefront6targetE1EEEvSG_,"axG",@progbits,_ZN7rocprim17ROCPRIM_400000_NS6detail17trampoline_kernelINS0_14default_configENS1_35radix_sort_onesweep_config_selectorIllEEZZNS1_29radix_sort_onesweep_iterationIS3_Lb0EPlS7_N6thrust23THRUST_200600_302600_NS10device_ptrIlEESB_jNS0_19identity_decomposerENS1_16block_id_wrapperIjLb1EEEEE10hipError_tT1_PNSt15iterator_traitsISG_E10value_typeET2_T3_PNSH_ISM_E10value_typeET4_T5_PSR_SS_PNS1_23onesweep_lookback_stateEbbT6_jjT7_P12ihipStream_tbENKUlT_T0_SG_SL_E_clIS7_S7_S7_SB_EEDaSZ_S10_SG_SL_EUlSZ_E_NS1_11comp_targetILNS1_3genE0ELNS1_11target_archE4294967295ELNS1_3gpuE0ELNS1_3repE0EEENS1_47radix_sort_onesweep_sort_config_static_selectorELNS0_4arch9wavefront6targetE1EEEvSG_,comdat
	.protected	_ZN7rocprim17ROCPRIM_400000_NS6detail17trampoline_kernelINS0_14default_configENS1_35radix_sort_onesweep_config_selectorIllEEZZNS1_29radix_sort_onesweep_iterationIS3_Lb0EPlS7_N6thrust23THRUST_200600_302600_NS10device_ptrIlEESB_jNS0_19identity_decomposerENS1_16block_id_wrapperIjLb1EEEEE10hipError_tT1_PNSt15iterator_traitsISG_E10value_typeET2_T3_PNSH_ISM_E10value_typeET4_T5_PSR_SS_PNS1_23onesweep_lookback_stateEbbT6_jjT7_P12ihipStream_tbENKUlT_T0_SG_SL_E_clIS7_S7_S7_SB_EEDaSZ_S10_SG_SL_EUlSZ_E_NS1_11comp_targetILNS1_3genE0ELNS1_11target_archE4294967295ELNS1_3gpuE0ELNS1_3repE0EEENS1_47radix_sort_onesweep_sort_config_static_selectorELNS0_4arch9wavefront6targetE1EEEvSG_ ; -- Begin function _ZN7rocprim17ROCPRIM_400000_NS6detail17trampoline_kernelINS0_14default_configENS1_35radix_sort_onesweep_config_selectorIllEEZZNS1_29radix_sort_onesweep_iterationIS3_Lb0EPlS7_N6thrust23THRUST_200600_302600_NS10device_ptrIlEESB_jNS0_19identity_decomposerENS1_16block_id_wrapperIjLb1EEEEE10hipError_tT1_PNSt15iterator_traitsISG_E10value_typeET2_T3_PNSH_ISM_E10value_typeET4_T5_PSR_SS_PNS1_23onesweep_lookback_stateEbbT6_jjT7_P12ihipStream_tbENKUlT_T0_SG_SL_E_clIS7_S7_S7_SB_EEDaSZ_S10_SG_SL_EUlSZ_E_NS1_11comp_targetILNS1_3genE0ELNS1_11target_archE4294967295ELNS1_3gpuE0ELNS1_3repE0EEENS1_47radix_sort_onesweep_sort_config_static_selectorELNS0_4arch9wavefront6targetE1EEEvSG_
	.globl	_ZN7rocprim17ROCPRIM_400000_NS6detail17trampoline_kernelINS0_14default_configENS1_35radix_sort_onesweep_config_selectorIllEEZZNS1_29radix_sort_onesweep_iterationIS3_Lb0EPlS7_N6thrust23THRUST_200600_302600_NS10device_ptrIlEESB_jNS0_19identity_decomposerENS1_16block_id_wrapperIjLb1EEEEE10hipError_tT1_PNSt15iterator_traitsISG_E10value_typeET2_T3_PNSH_ISM_E10value_typeET4_T5_PSR_SS_PNS1_23onesweep_lookback_stateEbbT6_jjT7_P12ihipStream_tbENKUlT_T0_SG_SL_E_clIS7_S7_S7_SB_EEDaSZ_S10_SG_SL_EUlSZ_E_NS1_11comp_targetILNS1_3genE0ELNS1_11target_archE4294967295ELNS1_3gpuE0ELNS1_3repE0EEENS1_47radix_sort_onesweep_sort_config_static_selectorELNS0_4arch9wavefront6targetE1EEEvSG_
	.p2align	8
	.type	_ZN7rocprim17ROCPRIM_400000_NS6detail17trampoline_kernelINS0_14default_configENS1_35radix_sort_onesweep_config_selectorIllEEZZNS1_29radix_sort_onesweep_iterationIS3_Lb0EPlS7_N6thrust23THRUST_200600_302600_NS10device_ptrIlEESB_jNS0_19identity_decomposerENS1_16block_id_wrapperIjLb1EEEEE10hipError_tT1_PNSt15iterator_traitsISG_E10value_typeET2_T3_PNSH_ISM_E10value_typeET4_T5_PSR_SS_PNS1_23onesweep_lookback_stateEbbT6_jjT7_P12ihipStream_tbENKUlT_T0_SG_SL_E_clIS7_S7_S7_SB_EEDaSZ_S10_SG_SL_EUlSZ_E_NS1_11comp_targetILNS1_3genE0ELNS1_11target_archE4294967295ELNS1_3gpuE0ELNS1_3repE0EEENS1_47radix_sort_onesweep_sort_config_static_selectorELNS0_4arch9wavefront6targetE1EEEvSG_,@function
_ZN7rocprim17ROCPRIM_400000_NS6detail17trampoline_kernelINS0_14default_configENS1_35radix_sort_onesweep_config_selectorIllEEZZNS1_29radix_sort_onesweep_iterationIS3_Lb0EPlS7_N6thrust23THRUST_200600_302600_NS10device_ptrIlEESB_jNS0_19identity_decomposerENS1_16block_id_wrapperIjLb1EEEEE10hipError_tT1_PNSt15iterator_traitsISG_E10value_typeET2_T3_PNSH_ISM_E10value_typeET4_T5_PSR_SS_PNS1_23onesweep_lookback_stateEbbT6_jjT7_P12ihipStream_tbENKUlT_T0_SG_SL_E_clIS7_S7_S7_SB_EEDaSZ_S10_SG_SL_EUlSZ_E_NS1_11comp_targetILNS1_3genE0ELNS1_11target_archE4294967295ELNS1_3gpuE0ELNS1_3repE0EEENS1_47radix_sort_onesweep_sort_config_static_selectorELNS0_4arch9wavefront6targetE1EEEvSG_: ; @_ZN7rocprim17ROCPRIM_400000_NS6detail17trampoline_kernelINS0_14default_configENS1_35radix_sort_onesweep_config_selectorIllEEZZNS1_29radix_sort_onesweep_iterationIS3_Lb0EPlS7_N6thrust23THRUST_200600_302600_NS10device_ptrIlEESB_jNS0_19identity_decomposerENS1_16block_id_wrapperIjLb1EEEEE10hipError_tT1_PNSt15iterator_traitsISG_E10value_typeET2_T3_PNSH_ISM_E10value_typeET4_T5_PSR_SS_PNS1_23onesweep_lookback_stateEbbT6_jjT7_P12ihipStream_tbENKUlT_T0_SG_SL_E_clIS7_S7_S7_SB_EEDaSZ_S10_SG_SL_EUlSZ_E_NS1_11comp_targetILNS1_3genE0ELNS1_11target_archE4294967295ELNS1_3gpuE0ELNS1_3repE0EEENS1_47radix_sort_onesweep_sort_config_static_selectorELNS0_4arch9wavefront6targetE1EEEvSG_
; %bb.0:
	.section	.rodata,"a",@progbits
	.p2align	6, 0x0
	.amdhsa_kernel _ZN7rocprim17ROCPRIM_400000_NS6detail17trampoline_kernelINS0_14default_configENS1_35radix_sort_onesweep_config_selectorIllEEZZNS1_29radix_sort_onesweep_iterationIS3_Lb0EPlS7_N6thrust23THRUST_200600_302600_NS10device_ptrIlEESB_jNS0_19identity_decomposerENS1_16block_id_wrapperIjLb1EEEEE10hipError_tT1_PNSt15iterator_traitsISG_E10value_typeET2_T3_PNSH_ISM_E10value_typeET4_T5_PSR_SS_PNS1_23onesweep_lookback_stateEbbT6_jjT7_P12ihipStream_tbENKUlT_T0_SG_SL_E_clIS7_S7_S7_SB_EEDaSZ_S10_SG_SL_EUlSZ_E_NS1_11comp_targetILNS1_3genE0ELNS1_11target_archE4294967295ELNS1_3gpuE0ELNS1_3repE0EEENS1_47radix_sort_onesweep_sort_config_static_selectorELNS0_4arch9wavefront6targetE1EEEvSG_
		.amdhsa_group_segment_fixed_size 0
		.amdhsa_private_segment_fixed_size 0
		.amdhsa_kernarg_size 88
		.amdhsa_user_sgpr_count 6
		.amdhsa_user_sgpr_private_segment_buffer 1
		.amdhsa_user_sgpr_dispatch_ptr 0
		.amdhsa_user_sgpr_queue_ptr 0
		.amdhsa_user_sgpr_kernarg_segment_ptr 1
		.amdhsa_user_sgpr_dispatch_id 0
		.amdhsa_user_sgpr_flat_scratch_init 0
		.amdhsa_user_sgpr_kernarg_preload_length 0
		.amdhsa_user_sgpr_kernarg_preload_offset 0
		.amdhsa_user_sgpr_private_segment_size 0
		.amdhsa_uses_dynamic_stack 0
		.amdhsa_system_sgpr_private_segment_wavefront_offset 0
		.amdhsa_system_sgpr_workgroup_id_x 1
		.amdhsa_system_sgpr_workgroup_id_y 0
		.amdhsa_system_sgpr_workgroup_id_z 0
		.amdhsa_system_sgpr_workgroup_info 0
		.amdhsa_system_vgpr_workitem_id 0
		.amdhsa_next_free_vgpr 1
		.amdhsa_next_free_sgpr 0
		.amdhsa_accum_offset 4
		.amdhsa_reserve_vcc 0
		.amdhsa_reserve_flat_scratch 0
		.amdhsa_float_round_mode_32 0
		.amdhsa_float_round_mode_16_64 0
		.amdhsa_float_denorm_mode_32 3
		.amdhsa_float_denorm_mode_16_64 3
		.amdhsa_dx10_clamp 1
		.amdhsa_ieee_mode 1
		.amdhsa_fp16_overflow 0
		.amdhsa_tg_split 0
		.amdhsa_exception_fp_ieee_invalid_op 0
		.amdhsa_exception_fp_denorm_src 0
		.amdhsa_exception_fp_ieee_div_zero 0
		.amdhsa_exception_fp_ieee_overflow 0
		.amdhsa_exception_fp_ieee_underflow 0
		.amdhsa_exception_fp_ieee_inexact 0
		.amdhsa_exception_int_div_zero 0
	.end_amdhsa_kernel
	.section	.text._ZN7rocprim17ROCPRIM_400000_NS6detail17trampoline_kernelINS0_14default_configENS1_35radix_sort_onesweep_config_selectorIllEEZZNS1_29radix_sort_onesweep_iterationIS3_Lb0EPlS7_N6thrust23THRUST_200600_302600_NS10device_ptrIlEESB_jNS0_19identity_decomposerENS1_16block_id_wrapperIjLb1EEEEE10hipError_tT1_PNSt15iterator_traitsISG_E10value_typeET2_T3_PNSH_ISM_E10value_typeET4_T5_PSR_SS_PNS1_23onesweep_lookback_stateEbbT6_jjT7_P12ihipStream_tbENKUlT_T0_SG_SL_E_clIS7_S7_S7_SB_EEDaSZ_S10_SG_SL_EUlSZ_E_NS1_11comp_targetILNS1_3genE0ELNS1_11target_archE4294967295ELNS1_3gpuE0ELNS1_3repE0EEENS1_47radix_sort_onesweep_sort_config_static_selectorELNS0_4arch9wavefront6targetE1EEEvSG_,"axG",@progbits,_ZN7rocprim17ROCPRIM_400000_NS6detail17trampoline_kernelINS0_14default_configENS1_35radix_sort_onesweep_config_selectorIllEEZZNS1_29radix_sort_onesweep_iterationIS3_Lb0EPlS7_N6thrust23THRUST_200600_302600_NS10device_ptrIlEESB_jNS0_19identity_decomposerENS1_16block_id_wrapperIjLb1EEEEE10hipError_tT1_PNSt15iterator_traitsISG_E10value_typeET2_T3_PNSH_ISM_E10value_typeET4_T5_PSR_SS_PNS1_23onesweep_lookback_stateEbbT6_jjT7_P12ihipStream_tbENKUlT_T0_SG_SL_E_clIS7_S7_S7_SB_EEDaSZ_S10_SG_SL_EUlSZ_E_NS1_11comp_targetILNS1_3genE0ELNS1_11target_archE4294967295ELNS1_3gpuE0ELNS1_3repE0EEENS1_47radix_sort_onesweep_sort_config_static_selectorELNS0_4arch9wavefront6targetE1EEEvSG_,comdat
.Lfunc_end1150:
	.size	_ZN7rocprim17ROCPRIM_400000_NS6detail17trampoline_kernelINS0_14default_configENS1_35radix_sort_onesweep_config_selectorIllEEZZNS1_29radix_sort_onesweep_iterationIS3_Lb0EPlS7_N6thrust23THRUST_200600_302600_NS10device_ptrIlEESB_jNS0_19identity_decomposerENS1_16block_id_wrapperIjLb1EEEEE10hipError_tT1_PNSt15iterator_traitsISG_E10value_typeET2_T3_PNSH_ISM_E10value_typeET4_T5_PSR_SS_PNS1_23onesweep_lookback_stateEbbT6_jjT7_P12ihipStream_tbENKUlT_T0_SG_SL_E_clIS7_S7_S7_SB_EEDaSZ_S10_SG_SL_EUlSZ_E_NS1_11comp_targetILNS1_3genE0ELNS1_11target_archE4294967295ELNS1_3gpuE0ELNS1_3repE0EEENS1_47radix_sort_onesweep_sort_config_static_selectorELNS0_4arch9wavefront6targetE1EEEvSG_, .Lfunc_end1150-_ZN7rocprim17ROCPRIM_400000_NS6detail17trampoline_kernelINS0_14default_configENS1_35radix_sort_onesweep_config_selectorIllEEZZNS1_29radix_sort_onesweep_iterationIS3_Lb0EPlS7_N6thrust23THRUST_200600_302600_NS10device_ptrIlEESB_jNS0_19identity_decomposerENS1_16block_id_wrapperIjLb1EEEEE10hipError_tT1_PNSt15iterator_traitsISG_E10value_typeET2_T3_PNSH_ISM_E10value_typeET4_T5_PSR_SS_PNS1_23onesweep_lookback_stateEbbT6_jjT7_P12ihipStream_tbENKUlT_T0_SG_SL_E_clIS7_S7_S7_SB_EEDaSZ_S10_SG_SL_EUlSZ_E_NS1_11comp_targetILNS1_3genE0ELNS1_11target_archE4294967295ELNS1_3gpuE0ELNS1_3repE0EEENS1_47radix_sort_onesweep_sort_config_static_selectorELNS0_4arch9wavefront6targetE1EEEvSG_
                                        ; -- End function
	.section	.AMDGPU.csdata,"",@progbits
; Kernel info:
; codeLenInByte = 0
; NumSgprs: 4
; NumVgprs: 0
; NumAgprs: 0
; TotalNumVgprs: 0
; ScratchSize: 0
; MemoryBound: 0
; FloatMode: 240
; IeeeMode: 1
; LDSByteSize: 0 bytes/workgroup (compile time only)
; SGPRBlocks: 0
; VGPRBlocks: 0
; NumSGPRsForWavesPerEU: 4
; NumVGPRsForWavesPerEU: 1
; AccumOffset: 4
; Occupancy: 8
; WaveLimiterHint : 0
; COMPUTE_PGM_RSRC2:SCRATCH_EN: 0
; COMPUTE_PGM_RSRC2:USER_SGPR: 6
; COMPUTE_PGM_RSRC2:TRAP_HANDLER: 0
; COMPUTE_PGM_RSRC2:TGID_X_EN: 1
; COMPUTE_PGM_RSRC2:TGID_Y_EN: 0
; COMPUTE_PGM_RSRC2:TGID_Z_EN: 0
; COMPUTE_PGM_RSRC2:TIDIG_COMP_CNT: 0
; COMPUTE_PGM_RSRC3_GFX90A:ACCUM_OFFSET: 0
; COMPUTE_PGM_RSRC3_GFX90A:TG_SPLIT: 0
	.section	.text._ZN7rocprim17ROCPRIM_400000_NS6detail17trampoline_kernelINS0_14default_configENS1_35radix_sort_onesweep_config_selectorIllEEZZNS1_29radix_sort_onesweep_iterationIS3_Lb0EPlS7_N6thrust23THRUST_200600_302600_NS10device_ptrIlEESB_jNS0_19identity_decomposerENS1_16block_id_wrapperIjLb1EEEEE10hipError_tT1_PNSt15iterator_traitsISG_E10value_typeET2_T3_PNSH_ISM_E10value_typeET4_T5_PSR_SS_PNS1_23onesweep_lookback_stateEbbT6_jjT7_P12ihipStream_tbENKUlT_T0_SG_SL_E_clIS7_S7_S7_SB_EEDaSZ_S10_SG_SL_EUlSZ_E_NS1_11comp_targetILNS1_3genE6ELNS1_11target_archE950ELNS1_3gpuE13ELNS1_3repE0EEENS1_47radix_sort_onesweep_sort_config_static_selectorELNS0_4arch9wavefront6targetE1EEEvSG_,"axG",@progbits,_ZN7rocprim17ROCPRIM_400000_NS6detail17trampoline_kernelINS0_14default_configENS1_35radix_sort_onesweep_config_selectorIllEEZZNS1_29radix_sort_onesweep_iterationIS3_Lb0EPlS7_N6thrust23THRUST_200600_302600_NS10device_ptrIlEESB_jNS0_19identity_decomposerENS1_16block_id_wrapperIjLb1EEEEE10hipError_tT1_PNSt15iterator_traitsISG_E10value_typeET2_T3_PNSH_ISM_E10value_typeET4_T5_PSR_SS_PNS1_23onesweep_lookback_stateEbbT6_jjT7_P12ihipStream_tbENKUlT_T0_SG_SL_E_clIS7_S7_S7_SB_EEDaSZ_S10_SG_SL_EUlSZ_E_NS1_11comp_targetILNS1_3genE6ELNS1_11target_archE950ELNS1_3gpuE13ELNS1_3repE0EEENS1_47radix_sort_onesweep_sort_config_static_selectorELNS0_4arch9wavefront6targetE1EEEvSG_,comdat
	.protected	_ZN7rocprim17ROCPRIM_400000_NS6detail17trampoline_kernelINS0_14default_configENS1_35radix_sort_onesweep_config_selectorIllEEZZNS1_29radix_sort_onesweep_iterationIS3_Lb0EPlS7_N6thrust23THRUST_200600_302600_NS10device_ptrIlEESB_jNS0_19identity_decomposerENS1_16block_id_wrapperIjLb1EEEEE10hipError_tT1_PNSt15iterator_traitsISG_E10value_typeET2_T3_PNSH_ISM_E10value_typeET4_T5_PSR_SS_PNS1_23onesweep_lookback_stateEbbT6_jjT7_P12ihipStream_tbENKUlT_T0_SG_SL_E_clIS7_S7_S7_SB_EEDaSZ_S10_SG_SL_EUlSZ_E_NS1_11comp_targetILNS1_3genE6ELNS1_11target_archE950ELNS1_3gpuE13ELNS1_3repE0EEENS1_47radix_sort_onesweep_sort_config_static_selectorELNS0_4arch9wavefront6targetE1EEEvSG_ ; -- Begin function _ZN7rocprim17ROCPRIM_400000_NS6detail17trampoline_kernelINS0_14default_configENS1_35radix_sort_onesweep_config_selectorIllEEZZNS1_29radix_sort_onesweep_iterationIS3_Lb0EPlS7_N6thrust23THRUST_200600_302600_NS10device_ptrIlEESB_jNS0_19identity_decomposerENS1_16block_id_wrapperIjLb1EEEEE10hipError_tT1_PNSt15iterator_traitsISG_E10value_typeET2_T3_PNSH_ISM_E10value_typeET4_T5_PSR_SS_PNS1_23onesweep_lookback_stateEbbT6_jjT7_P12ihipStream_tbENKUlT_T0_SG_SL_E_clIS7_S7_S7_SB_EEDaSZ_S10_SG_SL_EUlSZ_E_NS1_11comp_targetILNS1_3genE6ELNS1_11target_archE950ELNS1_3gpuE13ELNS1_3repE0EEENS1_47radix_sort_onesweep_sort_config_static_selectorELNS0_4arch9wavefront6targetE1EEEvSG_
	.globl	_ZN7rocprim17ROCPRIM_400000_NS6detail17trampoline_kernelINS0_14default_configENS1_35radix_sort_onesweep_config_selectorIllEEZZNS1_29radix_sort_onesweep_iterationIS3_Lb0EPlS7_N6thrust23THRUST_200600_302600_NS10device_ptrIlEESB_jNS0_19identity_decomposerENS1_16block_id_wrapperIjLb1EEEEE10hipError_tT1_PNSt15iterator_traitsISG_E10value_typeET2_T3_PNSH_ISM_E10value_typeET4_T5_PSR_SS_PNS1_23onesweep_lookback_stateEbbT6_jjT7_P12ihipStream_tbENKUlT_T0_SG_SL_E_clIS7_S7_S7_SB_EEDaSZ_S10_SG_SL_EUlSZ_E_NS1_11comp_targetILNS1_3genE6ELNS1_11target_archE950ELNS1_3gpuE13ELNS1_3repE0EEENS1_47radix_sort_onesweep_sort_config_static_selectorELNS0_4arch9wavefront6targetE1EEEvSG_
	.p2align	8
	.type	_ZN7rocprim17ROCPRIM_400000_NS6detail17trampoline_kernelINS0_14default_configENS1_35radix_sort_onesweep_config_selectorIllEEZZNS1_29radix_sort_onesweep_iterationIS3_Lb0EPlS7_N6thrust23THRUST_200600_302600_NS10device_ptrIlEESB_jNS0_19identity_decomposerENS1_16block_id_wrapperIjLb1EEEEE10hipError_tT1_PNSt15iterator_traitsISG_E10value_typeET2_T3_PNSH_ISM_E10value_typeET4_T5_PSR_SS_PNS1_23onesweep_lookback_stateEbbT6_jjT7_P12ihipStream_tbENKUlT_T0_SG_SL_E_clIS7_S7_S7_SB_EEDaSZ_S10_SG_SL_EUlSZ_E_NS1_11comp_targetILNS1_3genE6ELNS1_11target_archE950ELNS1_3gpuE13ELNS1_3repE0EEENS1_47radix_sort_onesweep_sort_config_static_selectorELNS0_4arch9wavefront6targetE1EEEvSG_,@function
_ZN7rocprim17ROCPRIM_400000_NS6detail17trampoline_kernelINS0_14default_configENS1_35radix_sort_onesweep_config_selectorIllEEZZNS1_29radix_sort_onesweep_iterationIS3_Lb0EPlS7_N6thrust23THRUST_200600_302600_NS10device_ptrIlEESB_jNS0_19identity_decomposerENS1_16block_id_wrapperIjLb1EEEEE10hipError_tT1_PNSt15iterator_traitsISG_E10value_typeET2_T3_PNSH_ISM_E10value_typeET4_T5_PSR_SS_PNS1_23onesweep_lookback_stateEbbT6_jjT7_P12ihipStream_tbENKUlT_T0_SG_SL_E_clIS7_S7_S7_SB_EEDaSZ_S10_SG_SL_EUlSZ_E_NS1_11comp_targetILNS1_3genE6ELNS1_11target_archE950ELNS1_3gpuE13ELNS1_3repE0EEENS1_47radix_sort_onesweep_sort_config_static_selectorELNS0_4arch9wavefront6targetE1EEEvSG_: ; @_ZN7rocprim17ROCPRIM_400000_NS6detail17trampoline_kernelINS0_14default_configENS1_35radix_sort_onesweep_config_selectorIllEEZZNS1_29radix_sort_onesweep_iterationIS3_Lb0EPlS7_N6thrust23THRUST_200600_302600_NS10device_ptrIlEESB_jNS0_19identity_decomposerENS1_16block_id_wrapperIjLb1EEEEE10hipError_tT1_PNSt15iterator_traitsISG_E10value_typeET2_T3_PNSH_ISM_E10value_typeET4_T5_PSR_SS_PNS1_23onesweep_lookback_stateEbbT6_jjT7_P12ihipStream_tbENKUlT_T0_SG_SL_E_clIS7_S7_S7_SB_EEDaSZ_S10_SG_SL_EUlSZ_E_NS1_11comp_targetILNS1_3genE6ELNS1_11target_archE950ELNS1_3gpuE13ELNS1_3repE0EEENS1_47radix_sort_onesweep_sort_config_static_selectorELNS0_4arch9wavefront6targetE1EEEvSG_
; %bb.0:
	.section	.rodata,"a",@progbits
	.p2align	6, 0x0
	.amdhsa_kernel _ZN7rocprim17ROCPRIM_400000_NS6detail17trampoline_kernelINS0_14default_configENS1_35radix_sort_onesweep_config_selectorIllEEZZNS1_29radix_sort_onesweep_iterationIS3_Lb0EPlS7_N6thrust23THRUST_200600_302600_NS10device_ptrIlEESB_jNS0_19identity_decomposerENS1_16block_id_wrapperIjLb1EEEEE10hipError_tT1_PNSt15iterator_traitsISG_E10value_typeET2_T3_PNSH_ISM_E10value_typeET4_T5_PSR_SS_PNS1_23onesweep_lookback_stateEbbT6_jjT7_P12ihipStream_tbENKUlT_T0_SG_SL_E_clIS7_S7_S7_SB_EEDaSZ_S10_SG_SL_EUlSZ_E_NS1_11comp_targetILNS1_3genE6ELNS1_11target_archE950ELNS1_3gpuE13ELNS1_3repE0EEENS1_47radix_sort_onesweep_sort_config_static_selectorELNS0_4arch9wavefront6targetE1EEEvSG_
		.amdhsa_group_segment_fixed_size 0
		.amdhsa_private_segment_fixed_size 0
		.amdhsa_kernarg_size 88
		.amdhsa_user_sgpr_count 6
		.amdhsa_user_sgpr_private_segment_buffer 1
		.amdhsa_user_sgpr_dispatch_ptr 0
		.amdhsa_user_sgpr_queue_ptr 0
		.amdhsa_user_sgpr_kernarg_segment_ptr 1
		.amdhsa_user_sgpr_dispatch_id 0
		.amdhsa_user_sgpr_flat_scratch_init 0
		.amdhsa_user_sgpr_kernarg_preload_length 0
		.amdhsa_user_sgpr_kernarg_preload_offset 0
		.amdhsa_user_sgpr_private_segment_size 0
		.amdhsa_uses_dynamic_stack 0
		.amdhsa_system_sgpr_private_segment_wavefront_offset 0
		.amdhsa_system_sgpr_workgroup_id_x 1
		.amdhsa_system_sgpr_workgroup_id_y 0
		.amdhsa_system_sgpr_workgroup_id_z 0
		.amdhsa_system_sgpr_workgroup_info 0
		.amdhsa_system_vgpr_workitem_id 0
		.amdhsa_next_free_vgpr 1
		.amdhsa_next_free_sgpr 0
		.amdhsa_accum_offset 4
		.amdhsa_reserve_vcc 0
		.amdhsa_reserve_flat_scratch 0
		.amdhsa_float_round_mode_32 0
		.amdhsa_float_round_mode_16_64 0
		.amdhsa_float_denorm_mode_32 3
		.amdhsa_float_denorm_mode_16_64 3
		.amdhsa_dx10_clamp 1
		.amdhsa_ieee_mode 1
		.amdhsa_fp16_overflow 0
		.amdhsa_tg_split 0
		.amdhsa_exception_fp_ieee_invalid_op 0
		.amdhsa_exception_fp_denorm_src 0
		.amdhsa_exception_fp_ieee_div_zero 0
		.amdhsa_exception_fp_ieee_overflow 0
		.amdhsa_exception_fp_ieee_underflow 0
		.amdhsa_exception_fp_ieee_inexact 0
		.amdhsa_exception_int_div_zero 0
	.end_amdhsa_kernel
	.section	.text._ZN7rocprim17ROCPRIM_400000_NS6detail17trampoline_kernelINS0_14default_configENS1_35radix_sort_onesweep_config_selectorIllEEZZNS1_29radix_sort_onesweep_iterationIS3_Lb0EPlS7_N6thrust23THRUST_200600_302600_NS10device_ptrIlEESB_jNS0_19identity_decomposerENS1_16block_id_wrapperIjLb1EEEEE10hipError_tT1_PNSt15iterator_traitsISG_E10value_typeET2_T3_PNSH_ISM_E10value_typeET4_T5_PSR_SS_PNS1_23onesweep_lookback_stateEbbT6_jjT7_P12ihipStream_tbENKUlT_T0_SG_SL_E_clIS7_S7_S7_SB_EEDaSZ_S10_SG_SL_EUlSZ_E_NS1_11comp_targetILNS1_3genE6ELNS1_11target_archE950ELNS1_3gpuE13ELNS1_3repE0EEENS1_47radix_sort_onesweep_sort_config_static_selectorELNS0_4arch9wavefront6targetE1EEEvSG_,"axG",@progbits,_ZN7rocprim17ROCPRIM_400000_NS6detail17trampoline_kernelINS0_14default_configENS1_35radix_sort_onesweep_config_selectorIllEEZZNS1_29radix_sort_onesweep_iterationIS3_Lb0EPlS7_N6thrust23THRUST_200600_302600_NS10device_ptrIlEESB_jNS0_19identity_decomposerENS1_16block_id_wrapperIjLb1EEEEE10hipError_tT1_PNSt15iterator_traitsISG_E10value_typeET2_T3_PNSH_ISM_E10value_typeET4_T5_PSR_SS_PNS1_23onesweep_lookback_stateEbbT6_jjT7_P12ihipStream_tbENKUlT_T0_SG_SL_E_clIS7_S7_S7_SB_EEDaSZ_S10_SG_SL_EUlSZ_E_NS1_11comp_targetILNS1_3genE6ELNS1_11target_archE950ELNS1_3gpuE13ELNS1_3repE0EEENS1_47radix_sort_onesweep_sort_config_static_selectorELNS0_4arch9wavefront6targetE1EEEvSG_,comdat
.Lfunc_end1151:
	.size	_ZN7rocprim17ROCPRIM_400000_NS6detail17trampoline_kernelINS0_14default_configENS1_35radix_sort_onesweep_config_selectorIllEEZZNS1_29radix_sort_onesweep_iterationIS3_Lb0EPlS7_N6thrust23THRUST_200600_302600_NS10device_ptrIlEESB_jNS0_19identity_decomposerENS1_16block_id_wrapperIjLb1EEEEE10hipError_tT1_PNSt15iterator_traitsISG_E10value_typeET2_T3_PNSH_ISM_E10value_typeET4_T5_PSR_SS_PNS1_23onesweep_lookback_stateEbbT6_jjT7_P12ihipStream_tbENKUlT_T0_SG_SL_E_clIS7_S7_S7_SB_EEDaSZ_S10_SG_SL_EUlSZ_E_NS1_11comp_targetILNS1_3genE6ELNS1_11target_archE950ELNS1_3gpuE13ELNS1_3repE0EEENS1_47radix_sort_onesweep_sort_config_static_selectorELNS0_4arch9wavefront6targetE1EEEvSG_, .Lfunc_end1151-_ZN7rocprim17ROCPRIM_400000_NS6detail17trampoline_kernelINS0_14default_configENS1_35radix_sort_onesweep_config_selectorIllEEZZNS1_29radix_sort_onesweep_iterationIS3_Lb0EPlS7_N6thrust23THRUST_200600_302600_NS10device_ptrIlEESB_jNS0_19identity_decomposerENS1_16block_id_wrapperIjLb1EEEEE10hipError_tT1_PNSt15iterator_traitsISG_E10value_typeET2_T3_PNSH_ISM_E10value_typeET4_T5_PSR_SS_PNS1_23onesweep_lookback_stateEbbT6_jjT7_P12ihipStream_tbENKUlT_T0_SG_SL_E_clIS7_S7_S7_SB_EEDaSZ_S10_SG_SL_EUlSZ_E_NS1_11comp_targetILNS1_3genE6ELNS1_11target_archE950ELNS1_3gpuE13ELNS1_3repE0EEENS1_47radix_sort_onesweep_sort_config_static_selectorELNS0_4arch9wavefront6targetE1EEEvSG_
                                        ; -- End function
	.section	.AMDGPU.csdata,"",@progbits
; Kernel info:
; codeLenInByte = 0
; NumSgprs: 4
; NumVgprs: 0
; NumAgprs: 0
; TotalNumVgprs: 0
; ScratchSize: 0
; MemoryBound: 0
; FloatMode: 240
; IeeeMode: 1
; LDSByteSize: 0 bytes/workgroup (compile time only)
; SGPRBlocks: 0
; VGPRBlocks: 0
; NumSGPRsForWavesPerEU: 4
; NumVGPRsForWavesPerEU: 1
; AccumOffset: 4
; Occupancy: 8
; WaveLimiterHint : 0
; COMPUTE_PGM_RSRC2:SCRATCH_EN: 0
; COMPUTE_PGM_RSRC2:USER_SGPR: 6
; COMPUTE_PGM_RSRC2:TRAP_HANDLER: 0
; COMPUTE_PGM_RSRC2:TGID_X_EN: 1
; COMPUTE_PGM_RSRC2:TGID_Y_EN: 0
; COMPUTE_PGM_RSRC2:TGID_Z_EN: 0
; COMPUTE_PGM_RSRC2:TIDIG_COMP_CNT: 0
; COMPUTE_PGM_RSRC3_GFX90A:ACCUM_OFFSET: 0
; COMPUTE_PGM_RSRC3_GFX90A:TG_SPLIT: 0
	.section	.text._ZN7rocprim17ROCPRIM_400000_NS6detail17trampoline_kernelINS0_14default_configENS1_35radix_sort_onesweep_config_selectorIllEEZZNS1_29radix_sort_onesweep_iterationIS3_Lb0EPlS7_N6thrust23THRUST_200600_302600_NS10device_ptrIlEESB_jNS0_19identity_decomposerENS1_16block_id_wrapperIjLb1EEEEE10hipError_tT1_PNSt15iterator_traitsISG_E10value_typeET2_T3_PNSH_ISM_E10value_typeET4_T5_PSR_SS_PNS1_23onesweep_lookback_stateEbbT6_jjT7_P12ihipStream_tbENKUlT_T0_SG_SL_E_clIS7_S7_S7_SB_EEDaSZ_S10_SG_SL_EUlSZ_E_NS1_11comp_targetILNS1_3genE5ELNS1_11target_archE942ELNS1_3gpuE9ELNS1_3repE0EEENS1_47radix_sort_onesweep_sort_config_static_selectorELNS0_4arch9wavefront6targetE1EEEvSG_,"axG",@progbits,_ZN7rocprim17ROCPRIM_400000_NS6detail17trampoline_kernelINS0_14default_configENS1_35radix_sort_onesweep_config_selectorIllEEZZNS1_29radix_sort_onesweep_iterationIS3_Lb0EPlS7_N6thrust23THRUST_200600_302600_NS10device_ptrIlEESB_jNS0_19identity_decomposerENS1_16block_id_wrapperIjLb1EEEEE10hipError_tT1_PNSt15iterator_traitsISG_E10value_typeET2_T3_PNSH_ISM_E10value_typeET4_T5_PSR_SS_PNS1_23onesweep_lookback_stateEbbT6_jjT7_P12ihipStream_tbENKUlT_T0_SG_SL_E_clIS7_S7_S7_SB_EEDaSZ_S10_SG_SL_EUlSZ_E_NS1_11comp_targetILNS1_3genE5ELNS1_11target_archE942ELNS1_3gpuE9ELNS1_3repE0EEENS1_47radix_sort_onesweep_sort_config_static_selectorELNS0_4arch9wavefront6targetE1EEEvSG_,comdat
	.protected	_ZN7rocprim17ROCPRIM_400000_NS6detail17trampoline_kernelINS0_14default_configENS1_35radix_sort_onesweep_config_selectorIllEEZZNS1_29radix_sort_onesweep_iterationIS3_Lb0EPlS7_N6thrust23THRUST_200600_302600_NS10device_ptrIlEESB_jNS0_19identity_decomposerENS1_16block_id_wrapperIjLb1EEEEE10hipError_tT1_PNSt15iterator_traitsISG_E10value_typeET2_T3_PNSH_ISM_E10value_typeET4_T5_PSR_SS_PNS1_23onesweep_lookback_stateEbbT6_jjT7_P12ihipStream_tbENKUlT_T0_SG_SL_E_clIS7_S7_S7_SB_EEDaSZ_S10_SG_SL_EUlSZ_E_NS1_11comp_targetILNS1_3genE5ELNS1_11target_archE942ELNS1_3gpuE9ELNS1_3repE0EEENS1_47radix_sort_onesweep_sort_config_static_selectorELNS0_4arch9wavefront6targetE1EEEvSG_ ; -- Begin function _ZN7rocprim17ROCPRIM_400000_NS6detail17trampoline_kernelINS0_14default_configENS1_35radix_sort_onesweep_config_selectorIllEEZZNS1_29radix_sort_onesweep_iterationIS3_Lb0EPlS7_N6thrust23THRUST_200600_302600_NS10device_ptrIlEESB_jNS0_19identity_decomposerENS1_16block_id_wrapperIjLb1EEEEE10hipError_tT1_PNSt15iterator_traitsISG_E10value_typeET2_T3_PNSH_ISM_E10value_typeET4_T5_PSR_SS_PNS1_23onesweep_lookback_stateEbbT6_jjT7_P12ihipStream_tbENKUlT_T0_SG_SL_E_clIS7_S7_S7_SB_EEDaSZ_S10_SG_SL_EUlSZ_E_NS1_11comp_targetILNS1_3genE5ELNS1_11target_archE942ELNS1_3gpuE9ELNS1_3repE0EEENS1_47radix_sort_onesweep_sort_config_static_selectorELNS0_4arch9wavefront6targetE1EEEvSG_
	.globl	_ZN7rocprim17ROCPRIM_400000_NS6detail17trampoline_kernelINS0_14default_configENS1_35radix_sort_onesweep_config_selectorIllEEZZNS1_29radix_sort_onesweep_iterationIS3_Lb0EPlS7_N6thrust23THRUST_200600_302600_NS10device_ptrIlEESB_jNS0_19identity_decomposerENS1_16block_id_wrapperIjLb1EEEEE10hipError_tT1_PNSt15iterator_traitsISG_E10value_typeET2_T3_PNSH_ISM_E10value_typeET4_T5_PSR_SS_PNS1_23onesweep_lookback_stateEbbT6_jjT7_P12ihipStream_tbENKUlT_T0_SG_SL_E_clIS7_S7_S7_SB_EEDaSZ_S10_SG_SL_EUlSZ_E_NS1_11comp_targetILNS1_3genE5ELNS1_11target_archE942ELNS1_3gpuE9ELNS1_3repE0EEENS1_47radix_sort_onesweep_sort_config_static_selectorELNS0_4arch9wavefront6targetE1EEEvSG_
	.p2align	8
	.type	_ZN7rocprim17ROCPRIM_400000_NS6detail17trampoline_kernelINS0_14default_configENS1_35radix_sort_onesweep_config_selectorIllEEZZNS1_29radix_sort_onesweep_iterationIS3_Lb0EPlS7_N6thrust23THRUST_200600_302600_NS10device_ptrIlEESB_jNS0_19identity_decomposerENS1_16block_id_wrapperIjLb1EEEEE10hipError_tT1_PNSt15iterator_traitsISG_E10value_typeET2_T3_PNSH_ISM_E10value_typeET4_T5_PSR_SS_PNS1_23onesweep_lookback_stateEbbT6_jjT7_P12ihipStream_tbENKUlT_T0_SG_SL_E_clIS7_S7_S7_SB_EEDaSZ_S10_SG_SL_EUlSZ_E_NS1_11comp_targetILNS1_3genE5ELNS1_11target_archE942ELNS1_3gpuE9ELNS1_3repE0EEENS1_47radix_sort_onesweep_sort_config_static_selectorELNS0_4arch9wavefront6targetE1EEEvSG_,@function
_ZN7rocprim17ROCPRIM_400000_NS6detail17trampoline_kernelINS0_14default_configENS1_35radix_sort_onesweep_config_selectorIllEEZZNS1_29radix_sort_onesweep_iterationIS3_Lb0EPlS7_N6thrust23THRUST_200600_302600_NS10device_ptrIlEESB_jNS0_19identity_decomposerENS1_16block_id_wrapperIjLb1EEEEE10hipError_tT1_PNSt15iterator_traitsISG_E10value_typeET2_T3_PNSH_ISM_E10value_typeET4_T5_PSR_SS_PNS1_23onesweep_lookback_stateEbbT6_jjT7_P12ihipStream_tbENKUlT_T0_SG_SL_E_clIS7_S7_S7_SB_EEDaSZ_S10_SG_SL_EUlSZ_E_NS1_11comp_targetILNS1_3genE5ELNS1_11target_archE942ELNS1_3gpuE9ELNS1_3repE0EEENS1_47radix_sort_onesweep_sort_config_static_selectorELNS0_4arch9wavefront6targetE1EEEvSG_: ; @_ZN7rocprim17ROCPRIM_400000_NS6detail17trampoline_kernelINS0_14default_configENS1_35radix_sort_onesweep_config_selectorIllEEZZNS1_29radix_sort_onesweep_iterationIS3_Lb0EPlS7_N6thrust23THRUST_200600_302600_NS10device_ptrIlEESB_jNS0_19identity_decomposerENS1_16block_id_wrapperIjLb1EEEEE10hipError_tT1_PNSt15iterator_traitsISG_E10value_typeET2_T3_PNSH_ISM_E10value_typeET4_T5_PSR_SS_PNS1_23onesweep_lookback_stateEbbT6_jjT7_P12ihipStream_tbENKUlT_T0_SG_SL_E_clIS7_S7_S7_SB_EEDaSZ_S10_SG_SL_EUlSZ_E_NS1_11comp_targetILNS1_3genE5ELNS1_11target_archE942ELNS1_3gpuE9ELNS1_3repE0EEENS1_47radix_sort_onesweep_sort_config_static_selectorELNS0_4arch9wavefront6targetE1EEEvSG_
; %bb.0:
	.section	.rodata,"a",@progbits
	.p2align	6, 0x0
	.amdhsa_kernel _ZN7rocprim17ROCPRIM_400000_NS6detail17trampoline_kernelINS0_14default_configENS1_35radix_sort_onesweep_config_selectorIllEEZZNS1_29radix_sort_onesweep_iterationIS3_Lb0EPlS7_N6thrust23THRUST_200600_302600_NS10device_ptrIlEESB_jNS0_19identity_decomposerENS1_16block_id_wrapperIjLb1EEEEE10hipError_tT1_PNSt15iterator_traitsISG_E10value_typeET2_T3_PNSH_ISM_E10value_typeET4_T5_PSR_SS_PNS1_23onesweep_lookback_stateEbbT6_jjT7_P12ihipStream_tbENKUlT_T0_SG_SL_E_clIS7_S7_S7_SB_EEDaSZ_S10_SG_SL_EUlSZ_E_NS1_11comp_targetILNS1_3genE5ELNS1_11target_archE942ELNS1_3gpuE9ELNS1_3repE0EEENS1_47radix_sort_onesweep_sort_config_static_selectorELNS0_4arch9wavefront6targetE1EEEvSG_
		.amdhsa_group_segment_fixed_size 0
		.amdhsa_private_segment_fixed_size 0
		.amdhsa_kernarg_size 88
		.amdhsa_user_sgpr_count 6
		.amdhsa_user_sgpr_private_segment_buffer 1
		.amdhsa_user_sgpr_dispatch_ptr 0
		.amdhsa_user_sgpr_queue_ptr 0
		.amdhsa_user_sgpr_kernarg_segment_ptr 1
		.amdhsa_user_sgpr_dispatch_id 0
		.amdhsa_user_sgpr_flat_scratch_init 0
		.amdhsa_user_sgpr_kernarg_preload_length 0
		.amdhsa_user_sgpr_kernarg_preload_offset 0
		.amdhsa_user_sgpr_private_segment_size 0
		.amdhsa_uses_dynamic_stack 0
		.amdhsa_system_sgpr_private_segment_wavefront_offset 0
		.amdhsa_system_sgpr_workgroup_id_x 1
		.amdhsa_system_sgpr_workgroup_id_y 0
		.amdhsa_system_sgpr_workgroup_id_z 0
		.amdhsa_system_sgpr_workgroup_info 0
		.amdhsa_system_vgpr_workitem_id 0
		.amdhsa_next_free_vgpr 1
		.amdhsa_next_free_sgpr 0
		.amdhsa_accum_offset 4
		.amdhsa_reserve_vcc 0
		.amdhsa_reserve_flat_scratch 0
		.amdhsa_float_round_mode_32 0
		.amdhsa_float_round_mode_16_64 0
		.amdhsa_float_denorm_mode_32 3
		.amdhsa_float_denorm_mode_16_64 3
		.amdhsa_dx10_clamp 1
		.amdhsa_ieee_mode 1
		.amdhsa_fp16_overflow 0
		.amdhsa_tg_split 0
		.amdhsa_exception_fp_ieee_invalid_op 0
		.amdhsa_exception_fp_denorm_src 0
		.amdhsa_exception_fp_ieee_div_zero 0
		.amdhsa_exception_fp_ieee_overflow 0
		.amdhsa_exception_fp_ieee_underflow 0
		.amdhsa_exception_fp_ieee_inexact 0
		.amdhsa_exception_int_div_zero 0
	.end_amdhsa_kernel
	.section	.text._ZN7rocprim17ROCPRIM_400000_NS6detail17trampoline_kernelINS0_14default_configENS1_35radix_sort_onesweep_config_selectorIllEEZZNS1_29radix_sort_onesweep_iterationIS3_Lb0EPlS7_N6thrust23THRUST_200600_302600_NS10device_ptrIlEESB_jNS0_19identity_decomposerENS1_16block_id_wrapperIjLb1EEEEE10hipError_tT1_PNSt15iterator_traitsISG_E10value_typeET2_T3_PNSH_ISM_E10value_typeET4_T5_PSR_SS_PNS1_23onesweep_lookback_stateEbbT6_jjT7_P12ihipStream_tbENKUlT_T0_SG_SL_E_clIS7_S7_S7_SB_EEDaSZ_S10_SG_SL_EUlSZ_E_NS1_11comp_targetILNS1_3genE5ELNS1_11target_archE942ELNS1_3gpuE9ELNS1_3repE0EEENS1_47radix_sort_onesweep_sort_config_static_selectorELNS0_4arch9wavefront6targetE1EEEvSG_,"axG",@progbits,_ZN7rocprim17ROCPRIM_400000_NS6detail17trampoline_kernelINS0_14default_configENS1_35radix_sort_onesweep_config_selectorIllEEZZNS1_29radix_sort_onesweep_iterationIS3_Lb0EPlS7_N6thrust23THRUST_200600_302600_NS10device_ptrIlEESB_jNS0_19identity_decomposerENS1_16block_id_wrapperIjLb1EEEEE10hipError_tT1_PNSt15iterator_traitsISG_E10value_typeET2_T3_PNSH_ISM_E10value_typeET4_T5_PSR_SS_PNS1_23onesweep_lookback_stateEbbT6_jjT7_P12ihipStream_tbENKUlT_T0_SG_SL_E_clIS7_S7_S7_SB_EEDaSZ_S10_SG_SL_EUlSZ_E_NS1_11comp_targetILNS1_3genE5ELNS1_11target_archE942ELNS1_3gpuE9ELNS1_3repE0EEENS1_47radix_sort_onesweep_sort_config_static_selectorELNS0_4arch9wavefront6targetE1EEEvSG_,comdat
.Lfunc_end1152:
	.size	_ZN7rocprim17ROCPRIM_400000_NS6detail17trampoline_kernelINS0_14default_configENS1_35radix_sort_onesweep_config_selectorIllEEZZNS1_29radix_sort_onesweep_iterationIS3_Lb0EPlS7_N6thrust23THRUST_200600_302600_NS10device_ptrIlEESB_jNS0_19identity_decomposerENS1_16block_id_wrapperIjLb1EEEEE10hipError_tT1_PNSt15iterator_traitsISG_E10value_typeET2_T3_PNSH_ISM_E10value_typeET4_T5_PSR_SS_PNS1_23onesweep_lookback_stateEbbT6_jjT7_P12ihipStream_tbENKUlT_T0_SG_SL_E_clIS7_S7_S7_SB_EEDaSZ_S10_SG_SL_EUlSZ_E_NS1_11comp_targetILNS1_3genE5ELNS1_11target_archE942ELNS1_3gpuE9ELNS1_3repE0EEENS1_47radix_sort_onesweep_sort_config_static_selectorELNS0_4arch9wavefront6targetE1EEEvSG_, .Lfunc_end1152-_ZN7rocprim17ROCPRIM_400000_NS6detail17trampoline_kernelINS0_14default_configENS1_35radix_sort_onesweep_config_selectorIllEEZZNS1_29radix_sort_onesweep_iterationIS3_Lb0EPlS7_N6thrust23THRUST_200600_302600_NS10device_ptrIlEESB_jNS0_19identity_decomposerENS1_16block_id_wrapperIjLb1EEEEE10hipError_tT1_PNSt15iterator_traitsISG_E10value_typeET2_T3_PNSH_ISM_E10value_typeET4_T5_PSR_SS_PNS1_23onesweep_lookback_stateEbbT6_jjT7_P12ihipStream_tbENKUlT_T0_SG_SL_E_clIS7_S7_S7_SB_EEDaSZ_S10_SG_SL_EUlSZ_E_NS1_11comp_targetILNS1_3genE5ELNS1_11target_archE942ELNS1_3gpuE9ELNS1_3repE0EEENS1_47radix_sort_onesweep_sort_config_static_selectorELNS0_4arch9wavefront6targetE1EEEvSG_
                                        ; -- End function
	.section	.AMDGPU.csdata,"",@progbits
; Kernel info:
; codeLenInByte = 0
; NumSgprs: 4
; NumVgprs: 0
; NumAgprs: 0
; TotalNumVgprs: 0
; ScratchSize: 0
; MemoryBound: 0
; FloatMode: 240
; IeeeMode: 1
; LDSByteSize: 0 bytes/workgroup (compile time only)
; SGPRBlocks: 0
; VGPRBlocks: 0
; NumSGPRsForWavesPerEU: 4
; NumVGPRsForWavesPerEU: 1
; AccumOffset: 4
; Occupancy: 8
; WaveLimiterHint : 0
; COMPUTE_PGM_RSRC2:SCRATCH_EN: 0
; COMPUTE_PGM_RSRC2:USER_SGPR: 6
; COMPUTE_PGM_RSRC2:TRAP_HANDLER: 0
; COMPUTE_PGM_RSRC2:TGID_X_EN: 1
; COMPUTE_PGM_RSRC2:TGID_Y_EN: 0
; COMPUTE_PGM_RSRC2:TGID_Z_EN: 0
; COMPUTE_PGM_RSRC2:TIDIG_COMP_CNT: 0
; COMPUTE_PGM_RSRC3_GFX90A:ACCUM_OFFSET: 0
; COMPUTE_PGM_RSRC3_GFX90A:TG_SPLIT: 0
	.section	.text._ZN7rocprim17ROCPRIM_400000_NS6detail17trampoline_kernelINS0_14default_configENS1_35radix_sort_onesweep_config_selectorIllEEZZNS1_29radix_sort_onesweep_iterationIS3_Lb0EPlS7_N6thrust23THRUST_200600_302600_NS10device_ptrIlEESB_jNS0_19identity_decomposerENS1_16block_id_wrapperIjLb1EEEEE10hipError_tT1_PNSt15iterator_traitsISG_E10value_typeET2_T3_PNSH_ISM_E10value_typeET4_T5_PSR_SS_PNS1_23onesweep_lookback_stateEbbT6_jjT7_P12ihipStream_tbENKUlT_T0_SG_SL_E_clIS7_S7_S7_SB_EEDaSZ_S10_SG_SL_EUlSZ_E_NS1_11comp_targetILNS1_3genE2ELNS1_11target_archE906ELNS1_3gpuE6ELNS1_3repE0EEENS1_47radix_sort_onesweep_sort_config_static_selectorELNS0_4arch9wavefront6targetE1EEEvSG_,"axG",@progbits,_ZN7rocprim17ROCPRIM_400000_NS6detail17trampoline_kernelINS0_14default_configENS1_35radix_sort_onesweep_config_selectorIllEEZZNS1_29radix_sort_onesweep_iterationIS3_Lb0EPlS7_N6thrust23THRUST_200600_302600_NS10device_ptrIlEESB_jNS0_19identity_decomposerENS1_16block_id_wrapperIjLb1EEEEE10hipError_tT1_PNSt15iterator_traitsISG_E10value_typeET2_T3_PNSH_ISM_E10value_typeET4_T5_PSR_SS_PNS1_23onesweep_lookback_stateEbbT6_jjT7_P12ihipStream_tbENKUlT_T0_SG_SL_E_clIS7_S7_S7_SB_EEDaSZ_S10_SG_SL_EUlSZ_E_NS1_11comp_targetILNS1_3genE2ELNS1_11target_archE906ELNS1_3gpuE6ELNS1_3repE0EEENS1_47radix_sort_onesweep_sort_config_static_selectorELNS0_4arch9wavefront6targetE1EEEvSG_,comdat
	.protected	_ZN7rocprim17ROCPRIM_400000_NS6detail17trampoline_kernelINS0_14default_configENS1_35radix_sort_onesweep_config_selectorIllEEZZNS1_29radix_sort_onesweep_iterationIS3_Lb0EPlS7_N6thrust23THRUST_200600_302600_NS10device_ptrIlEESB_jNS0_19identity_decomposerENS1_16block_id_wrapperIjLb1EEEEE10hipError_tT1_PNSt15iterator_traitsISG_E10value_typeET2_T3_PNSH_ISM_E10value_typeET4_T5_PSR_SS_PNS1_23onesweep_lookback_stateEbbT6_jjT7_P12ihipStream_tbENKUlT_T0_SG_SL_E_clIS7_S7_S7_SB_EEDaSZ_S10_SG_SL_EUlSZ_E_NS1_11comp_targetILNS1_3genE2ELNS1_11target_archE906ELNS1_3gpuE6ELNS1_3repE0EEENS1_47radix_sort_onesweep_sort_config_static_selectorELNS0_4arch9wavefront6targetE1EEEvSG_ ; -- Begin function _ZN7rocprim17ROCPRIM_400000_NS6detail17trampoline_kernelINS0_14default_configENS1_35radix_sort_onesweep_config_selectorIllEEZZNS1_29radix_sort_onesweep_iterationIS3_Lb0EPlS7_N6thrust23THRUST_200600_302600_NS10device_ptrIlEESB_jNS0_19identity_decomposerENS1_16block_id_wrapperIjLb1EEEEE10hipError_tT1_PNSt15iterator_traitsISG_E10value_typeET2_T3_PNSH_ISM_E10value_typeET4_T5_PSR_SS_PNS1_23onesweep_lookback_stateEbbT6_jjT7_P12ihipStream_tbENKUlT_T0_SG_SL_E_clIS7_S7_S7_SB_EEDaSZ_S10_SG_SL_EUlSZ_E_NS1_11comp_targetILNS1_3genE2ELNS1_11target_archE906ELNS1_3gpuE6ELNS1_3repE0EEENS1_47radix_sort_onesweep_sort_config_static_selectorELNS0_4arch9wavefront6targetE1EEEvSG_
	.globl	_ZN7rocprim17ROCPRIM_400000_NS6detail17trampoline_kernelINS0_14default_configENS1_35radix_sort_onesweep_config_selectorIllEEZZNS1_29radix_sort_onesweep_iterationIS3_Lb0EPlS7_N6thrust23THRUST_200600_302600_NS10device_ptrIlEESB_jNS0_19identity_decomposerENS1_16block_id_wrapperIjLb1EEEEE10hipError_tT1_PNSt15iterator_traitsISG_E10value_typeET2_T3_PNSH_ISM_E10value_typeET4_T5_PSR_SS_PNS1_23onesweep_lookback_stateEbbT6_jjT7_P12ihipStream_tbENKUlT_T0_SG_SL_E_clIS7_S7_S7_SB_EEDaSZ_S10_SG_SL_EUlSZ_E_NS1_11comp_targetILNS1_3genE2ELNS1_11target_archE906ELNS1_3gpuE6ELNS1_3repE0EEENS1_47radix_sort_onesweep_sort_config_static_selectorELNS0_4arch9wavefront6targetE1EEEvSG_
	.p2align	8
	.type	_ZN7rocprim17ROCPRIM_400000_NS6detail17trampoline_kernelINS0_14default_configENS1_35radix_sort_onesweep_config_selectorIllEEZZNS1_29radix_sort_onesweep_iterationIS3_Lb0EPlS7_N6thrust23THRUST_200600_302600_NS10device_ptrIlEESB_jNS0_19identity_decomposerENS1_16block_id_wrapperIjLb1EEEEE10hipError_tT1_PNSt15iterator_traitsISG_E10value_typeET2_T3_PNSH_ISM_E10value_typeET4_T5_PSR_SS_PNS1_23onesweep_lookback_stateEbbT6_jjT7_P12ihipStream_tbENKUlT_T0_SG_SL_E_clIS7_S7_S7_SB_EEDaSZ_S10_SG_SL_EUlSZ_E_NS1_11comp_targetILNS1_3genE2ELNS1_11target_archE906ELNS1_3gpuE6ELNS1_3repE0EEENS1_47radix_sort_onesweep_sort_config_static_selectorELNS0_4arch9wavefront6targetE1EEEvSG_,@function
_ZN7rocprim17ROCPRIM_400000_NS6detail17trampoline_kernelINS0_14default_configENS1_35radix_sort_onesweep_config_selectorIllEEZZNS1_29radix_sort_onesweep_iterationIS3_Lb0EPlS7_N6thrust23THRUST_200600_302600_NS10device_ptrIlEESB_jNS0_19identity_decomposerENS1_16block_id_wrapperIjLb1EEEEE10hipError_tT1_PNSt15iterator_traitsISG_E10value_typeET2_T3_PNSH_ISM_E10value_typeET4_T5_PSR_SS_PNS1_23onesweep_lookback_stateEbbT6_jjT7_P12ihipStream_tbENKUlT_T0_SG_SL_E_clIS7_S7_S7_SB_EEDaSZ_S10_SG_SL_EUlSZ_E_NS1_11comp_targetILNS1_3genE2ELNS1_11target_archE906ELNS1_3gpuE6ELNS1_3repE0EEENS1_47radix_sort_onesweep_sort_config_static_selectorELNS0_4arch9wavefront6targetE1EEEvSG_: ; @_ZN7rocprim17ROCPRIM_400000_NS6detail17trampoline_kernelINS0_14default_configENS1_35radix_sort_onesweep_config_selectorIllEEZZNS1_29radix_sort_onesweep_iterationIS3_Lb0EPlS7_N6thrust23THRUST_200600_302600_NS10device_ptrIlEESB_jNS0_19identity_decomposerENS1_16block_id_wrapperIjLb1EEEEE10hipError_tT1_PNSt15iterator_traitsISG_E10value_typeET2_T3_PNSH_ISM_E10value_typeET4_T5_PSR_SS_PNS1_23onesweep_lookback_stateEbbT6_jjT7_P12ihipStream_tbENKUlT_T0_SG_SL_E_clIS7_S7_S7_SB_EEDaSZ_S10_SG_SL_EUlSZ_E_NS1_11comp_targetILNS1_3genE2ELNS1_11target_archE906ELNS1_3gpuE6ELNS1_3repE0EEENS1_47radix_sort_onesweep_sort_config_static_selectorELNS0_4arch9wavefront6targetE1EEEvSG_
; %bb.0:
	.section	.rodata,"a",@progbits
	.p2align	6, 0x0
	.amdhsa_kernel _ZN7rocprim17ROCPRIM_400000_NS6detail17trampoline_kernelINS0_14default_configENS1_35radix_sort_onesweep_config_selectorIllEEZZNS1_29radix_sort_onesweep_iterationIS3_Lb0EPlS7_N6thrust23THRUST_200600_302600_NS10device_ptrIlEESB_jNS0_19identity_decomposerENS1_16block_id_wrapperIjLb1EEEEE10hipError_tT1_PNSt15iterator_traitsISG_E10value_typeET2_T3_PNSH_ISM_E10value_typeET4_T5_PSR_SS_PNS1_23onesweep_lookback_stateEbbT6_jjT7_P12ihipStream_tbENKUlT_T0_SG_SL_E_clIS7_S7_S7_SB_EEDaSZ_S10_SG_SL_EUlSZ_E_NS1_11comp_targetILNS1_3genE2ELNS1_11target_archE906ELNS1_3gpuE6ELNS1_3repE0EEENS1_47radix_sort_onesweep_sort_config_static_selectorELNS0_4arch9wavefront6targetE1EEEvSG_
		.amdhsa_group_segment_fixed_size 0
		.amdhsa_private_segment_fixed_size 0
		.amdhsa_kernarg_size 88
		.amdhsa_user_sgpr_count 6
		.amdhsa_user_sgpr_private_segment_buffer 1
		.amdhsa_user_sgpr_dispatch_ptr 0
		.amdhsa_user_sgpr_queue_ptr 0
		.amdhsa_user_sgpr_kernarg_segment_ptr 1
		.amdhsa_user_sgpr_dispatch_id 0
		.amdhsa_user_sgpr_flat_scratch_init 0
		.amdhsa_user_sgpr_kernarg_preload_length 0
		.amdhsa_user_sgpr_kernarg_preload_offset 0
		.amdhsa_user_sgpr_private_segment_size 0
		.amdhsa_uses_dynamic_stack 0
		.amdhsa_system_sgpr_private_segment_wavefront_offset 0
		.amdhsa_system_sgpr_workgroup_id_x 1
		.amdhsa_system_sgpr_workgroup_id_y 0
		.amdhsa_system_sgpr_workgroup_id_z 0
		.amdhsa_system_sgpr_workgroup_info 0
		.amdhsa_system_vgpr_workitem_id 0
		.amdhsa_next_free_vgpr 1
		.amdhsa_next_free_sgpr 0
		.amdhsa_accum_offset 4
		.amdhsa_reserve_vcc 0
		.amdhsa_reserve_flat_scratch 0
		.amdhsa_float_round_mode_32 0
		.amdhsa_float_round_mode_16_64 0
		.amdhsa_float_denorm_mode_32 3
		.amdhsa_float_denorm_mode_16_64 3
		.amdhsa_dx10_clamp 1
		.amdhsa_ieee_mode 1
		.amdhsa_fp16_overflow 0
		.amdhsa_tg_split 0
		.amdhsa_exception_fp_ieee_invalid_op 0
		.amdhsa_exception_fp_denorm_src 0
		.amdhsa_exception_fp_ieee_div_zero 0
		.amdhsa_exception_fp_ieee_overflow 0
		.amdhsa_exception_fp_ieee_underflow 0
		.amdhsa_exception_fp_ieee_inexact 0
		.amdhsa_exception_int_div_zero 0
	.end_amdhsa_kernel
	.section	.text._ZN7rocprim17ROCPRIM_400000_NS6detail17trampoline_kernelINS0_14default_configENS1_35radix_sort_onesweep_config_selectorIllEEZZNS1_29radix_sort_onesweep_iterationIS3_Lb0EPlS7_N6thrust23THRUST_200600_302600_NS10device_ptrIlEESB_jNS0_19identity_decomposerENS1_16block_id_wrapperIjLb1EEEEE10hipError_tT1_PNSt15iterator_traitsISG_E10value_typeET2_T3_PNSH_ISM_E10value_typeET4_T5_PSR_SS_PNS1_23onesweep_lookback_stateEbbT6_jjT7_P12ihipStream_tbENKUlT_T0_SG_SL_E_clIS7_S7_S7_SB_EEDaSZ_S10_SG_SL_EUlSZ_E_NS1_11comp_targetILNS1_3genE2ELNS1_11target_archE906ELNS1_3gpuE6ELNS1_3repE0EEENS1_47radix_sort_onesweep_sort_config_static_selectorELNS0_4arch9wavefront6targetE1EEEvSG_,"axG",@progbits,_ZN7rocprim17ROCPRIM_400000_NS6detail17trampoline_kernelINS0_14default_configENS1_35radix_sort_onesweep_config_selectorIllEEZZNS1_29radix_sort_onesweep_iterationIS3_Lb0EPlS7_N6thrust23THRUST_200600_302600_NS10device_ptrIlEESB_jNS0_19identity_decomposerENS1_16block_id_wrapperIjLb1EEEEE10hipError_tT1_PNSt15iterator_traitsISG_E10value_typeET2_T3_PNSH_ISM_E10value_typeET4_T5_PSR_SS_PNS1_23onesweep_lookback_stateEbbT6_jjT7_P12ihipStream_tbENKUlT_T0_SG_SL_E_clIS7_S7_S7_SB_EEDaSZ_S10_SG_SL_EUlSZ_E_NS1_11comp_targetILNS1_3genE2ELNS1_11target_archE906ELNS1_3gpuE6ELNS1_3repE0EEENS1_47radix_sort_onesweep_sort_config_static_selectorELNS0_4arch9wavefront6targetE1EEEvSG_,comdat
.Lfunc_end1153:
	.size	_ZN7rocprim17ROCPRIM_400000_NS6detail17trampoline_kernelINS0_14default_configENS1_35radix_sort_onesweep_config_selectorIllEEZZNS1_29radix_sort_onesweep_iterationIS3_Lb0EPlS7_N6thrust23THRUST_200600_302600_NS10device_ptrIlEESB_jNS0_19identity_decomposerENS1_16block_id_wrapperIjLb1EEEEE10hipError_tT1_PNSt15iterator_traitsISG_E10value_typeET2_T3_PNSH_ISM_E10value_typeET4_T5_PSR_SS_PNS1_23onesweep_lookback_stateEbbT6_jjT7_P12ihipStream_tbENKUlT_T0_SG_SL_E_clIS7_S7_S7_SB_EEDaSZ_S10_SG_SL_EUlSZ_E_NS1_11comp_targetILNS1_3genE2ELNS1_11target_archE906ELNS1_3gpuE6ELNS1_3repE0EEENS1_47radix_sort_onesweep_sort_config_static_selectorELNS0_4arch9wavefront6targetE1EEEvSG_, .Lfunc_end1153-_ZN7rocprim17ROCPRIM_400000_NS6detail17trampoline_kernelINS0_14default_configENS1_35radix_sort_onesweep_config_selectorIllEEZZNS1_29radix_sort_onesweep_iterationIS3_Lb0EPlS7_N6thrust23THRUST_200600_302600_NS10device_ptrIlEESB_jNS0_19identity_decomposerENS1_16block_id_wrapperIjLb1EEEEE10hipError_tT1_PNSt15iterator_traitsISG_E10value_typeET2_T3_PNSH_ISM_E10value_typeET4_T5_PSR_SS_PNS1_23onesweep_lookback_stateEbbT6_jjT7_P12ihipStream_tbENKUlT_T0_SG_SL_E_clIS7_S7_S7_SB_EEDaSZ_S10_SG_SL_EUlSZ_E_NS1_11comp_targetILNS1_3genE2ELNS1_11target_archE906ELNS1_3gpuE6ELNS1_3repE0EEENS1_47radix_sort_onesweep_sort_config_static_selectorELNS0_4arch9wavefront6targetE1EEEvSG_
                                        ; -- End function
	.section	.AMDGPU.csdata,"",@progbits
; Kernel info:
; codeLenInByte = 0
; NumSgprs: 4
; NumVgprs: 0
; NumAgprs: 0
; TotalNumVgprs: 0
; ScratchSize: 0
; MemoryBound: 0
; FloatMode: 240
; IeeeMode: 1
; LDSByteSize: 0 bytes/workgroup (compile time only)
; SGPRBlocks: 0
; VGPRBlocks: 0
; NumSGPRsForWavesPerEU: 4
; NumVGPRsForWavesPerEU: 1
; AccumOffset: 4
; Occupancy: 8
; WaveLimiterHint : 0
; COMPUTE_PGM_RSRC2:SCRATCH_EN: 0
; COMPUTE_PGM_RSRC2:USER_SGPR: 6
; COMPUTE_PGM_RSRC2:TRAP_HANDLER: 0
; COMPUTE_PGM_RSRC2:TGID_X_EN: 1
; COMPUTE_PGM_RSRC2:TGID_Y_EN: 0
; COMPUTE_PGM_RSRC2:TGID_Z_EN: 0
; COMPUTE_PGM_RSRC2:TIDIG_COMP_CNT: 0
; COMPUTE_PGM_RSRC3_GFX90A:ACCUM_OFFSET: 0
; COMPUTE_PGM_RSRC3_GFX90A:TG_SPLIT: 0
	.section	.text._ZN7rocprim17ROCPRIM_400000_NS6detail17trampoline_kernelINS0_14default_configENS1_35radix_sort_onesweep_config_selectorIllEEZZNS1_29radix_sort_onesweep_iterationIS3_Lb0EPlS7_N6thrust23THRUST_200600_302600_NS10device_ptrIlEESB_jNS0_19identity_decomposerENS1_16block_id_wrapperIjLb1EEEEE10hipError_tT1_PNSt15iterator_traitsISG_E10value_typeET2_T3_PNSH_ISM_E10value_typeET4_T5_PSR_SS_PNS1_23onesweep_lookback_stateEbbT6_jjT7_P12ihipStream_tbENKUlT_T0_SG_SL_E_clIS7_S7_S7_SB_EEDaSZ_S10_SG_SL_EUlSZ_E_NS1_11comp_targetILNS1_3genE4ELNS1_11target_archE910ELNS1_3gpuE8ELNS1_3repE0EEENS1_47radix_sort_onesweep_sort_config_static_selectorELNS0_4arch9wavefront6targetE1EEEvSG_,"axG",@progbits,_ZN7rocprim17ROCPRIM_400000_NS6detail17trampoline_kernelINS0_14default_configENS1_35radix_sort_onesweep_config_selectorIllEEZZNS1_29radix_sort_onesweep_iterationIS3_Lb0EPlS7_N6thrust23THRUST_200600_302600_NS10device_ptrIlEESB_jNS0_19identity_decomposerENS1_16block_id_wrapperIjLb1EEEEE10hipError_tT1_PNSt15iterator_traitsISG_E10value_typeET2_T3_PNSH_ISM_E10value_typeET4_T5_PSR_SS_PNS1_23onesweep_lookback_stateEbbT6_jjT7_P12ihipStream_tbENKUlT_T0_SG_SL_E_clIS7_S7_S7_SB_EEDaSZ_S10_SG_SL_EUlSZ_E_NS1_11comp_targetILNS1_3genE4ELNS1_11target_archE910ELNS1_3gpuE8ELNS1_3repE0EEENS1_47radix_sort_onesweep_sort_config_static_selectorELNS0_4arch9wavefront6targetE1EEEvSG_,comdat
	.protected	_ZN7rocprim17ROCPRIM_400000_NS6detail17trampoline_kernelINS0_14default_configENS1_35radix_sort_onesweep_config_selectorIllEEZZNS1_29radix_sort_onesweep_iterationIS3_Lb0EPlS7_N6thrust23THRUST_200600_302600_NS10device_ptrIlEESB_jNS0_19identity_decomposerENS1_16block_id_wrapperIjLb1EEEEE10hipError_tT1_PNSt15iterator_traitsISG_E10value_typeET2_T3_PNSH_ISM_E10value_typeET4_T5_PSR_SS_PNS1_23onesweep_lookback_stateEbbT6_jjT7_P12ihipStream_tbENKUlT_T0_SG_SL_E_clIS7_S7_S7_SB_EEDaSZ_S10_SG_SL_EUlSZ_E_NS1_11comp_targetILNS1_3genE4ELNS1_11target_archE910ELNS1_3gpuE8ELNS1_3repE0EEENS1_47radix_sort_onesweep_sort_config_static_selectorELNS0_4arch9wavefront6targetE1EEEvSG_ ; -- Begin function _ZN7rocprim17ROCPRIM_400000_NS6detail17trampoline_kernelINS0_14default_configENS1_35radix_sort_onesweep_config_selectorIllEEZZNS1_29radix_sort_onesweep_iterationIS3_Lb0EPlS7_N6thrust23THRUST_200600_302600_NS10device_ptrIlEESB_jNS0_19identity_decomposerENS1_16block_id_wrapperIjLb1EEEEE10hipError_tT1_PNSt15iterator_traitsISG_E10value_typeET2_T3_PNSH_ISM_E10value_typeET4_T5_PSR_SS_PNS1_23onesweep_lookback_stateEbbT6_jjT7_P12ihipStream_tbENKUlT_T0_SG_SL_E_clIS7_S7_S7_SB_EEDaSZ_S10_SG_SL_EUlSZ_E_NS1_11comp_targetILNS1_3genE4ELNS1_11target_archE910ELNS1_3gpuE8ELNS1_3repE0EEENS1_47radix_sort_onesweep_sort_config_static_selectorELNS0_4arch9wavefront6targetE1EEEvSG_
	.globl	_ZN7rocprim17ROCPRIM_400000_NS6detail17trampoline_kernelINS0_14default_configENS1_35radix_sort_onesweep_config_selectorIllEEZZNS1_29radix_sort_onesweep_iterationIS3_Lb0EPlS7_N6thrust23THRUST_200600_302600_NS10device_ptrIlEESB_jNS0_19identity_decomposerENS1_16block_id_wrapperIjLb1EEEEE10hipError_tT1_PNSt15iterator_traitsISG_E10value_typeET2_T3_PNSH_ISM_E10value_typeET4_T5_PSR_SS_PNS1_23onesweep_lookback_stateEbbT6_jjT7_P12ihipStream_tbENKUlT_T0_SG_SL_E_clIS7_S7_S7_SB_EEDaSZ_S10_SG_SL_EUlSZ_E_NS1_11comp_targetILNS1_3genE4ELNS1_11target_archE910ELNS1_3gpuE8ELNS1_3repE0EEENS1_47radix_sort_onesweep_sort_config_static_selectorELNS0_4arch9wavefront6targetE1EEEvSG_
	.p2align	8
	.type	_ZN7rocprim17ROCPRIM_400000_NS6detail17trampoline_kernelINS0_14default_configENS1_35radix_sort_onesweep_config_selectorIllEEZZNS1_29radix_sort_onesweep_iterationIS3_Lb0EPlS7_N6thrust23THRUST_200600_302600_NS10device_ptrIlEESB_jNS0_19identity_decomposerENS1_16block_id_wrapperIjLb1EEEEE10hipError_tT1_PNSt15iterator_traitsISG_E10value_typeET2_T3_PNSH_ISM_E10value_typeET4_T5_PSR_SS_PNS1_23onesweep_lookback_stateEbbT6_jjT7_P12ihipStream_tbENKUlT_T0_SG_SL_E_clIS7_S7_S7_SB_EEDaSZ_S10_SG_SL_EUlSZ_E_NS1_11comp_targetILNS1_3genE4ELNS1_11target_archE910ELNS1_3gpuE8ELNS1_3repE0EEENS1_47radix_sort_onesweep_sort_config_static_selectorELNS0_4arch9wavefront6targetE1EEEvSG_,@function
_ZN7rocprim17ROCPRIM_400000_NS6detail17trampoline_kernelINS0_14default_configENS1_35radix_sort_onesweep_config_selectorIllEEZZNS1_29radix_sort_onesweep_iterationIS3_Lb0EPlS7_N6thrust23THRUST_200600_302600_NS10device_ptrIlEESB_jNS0_19identity_decomposerENS1_16block_id_wrapperIjLb1EEEEE10hipError_tT1_PNSt15iterator_traitsISG_E10value_typeET2_T3_PNSH_ISM_E10value_typeET4_T5_PSR_SS_PNS1_23onesweep_lookback_stateEbbT6_jjT7_P12ihipStream_tbENKUlT_T0_SG_SL_E_clIS7_S7_S7_SB_EEDaSZ_S10_SG_SL_EUlSZ_E_NS1_11comp_targetILNS1_3genE4ELNS1_11target_archE910ELNS1_3gpuE8ELNS1_3repE0EEENS1_47radix_sort_onesweep_sort_config_static_selectorELNS0_4arch9wavefront6targetE1EEEvSG_: ; @_ZN7rocprim17ROCPRIM_400000_NS6detail17trampoline_kernelINS0_14default_configENS1_35radix_sort_onesweep_config_selectorIllEEZZNS1_29radix_sort_onesweep_iterationIS3_Lb0EPlS7_N6thrust23THRUST_200600_302600_NS10device_ptrIlEESB_jNS0_19identity_decomposerENS1_16block_id_wrapperIjLb1EEEEE10hipError_tT1_PNSt15iterator_traitsISG_E10value_typeET2_T3_PNSH_ISM_E10value_typeET4_T5_PSR_SS_PNS1_23onesweep_lookback_stateEbbT6_jjT7_P12ihipStream_tbENKUlT_T0_SG_SL_E_clIS7_S7_S7_SB_EEDaSZ_S10_SG_SL_EUlSZ_E_NS1_11comp_targetILNS1_3genE4ELNS1_11target_archE910ELNS1_3gpuE8ELNS1_3repE0EEENS1_47radix_sort_onesweep_sort_config_static_selectorELNS0_4arch9wavefront6targetE1EEEvSG_
; %bb.0:
	s_load_dwordx4 s[28:31], s[4:5], 0x28
	s_load_dwordx2 s[26:27], s[4:5], 0x38
	s_load_dwordx4 s[44:47], s[4:5], 0x44
	v_and_b32_e32 v8, 0x3ff, v0
	v_cmp_eq_u32_e64 s[0:1], 0, v8
	s_and_saveexec_b64 s[2:3], s[0:1]
	s_cbranch_execz .LBB1154_4
; %bb.1:
	s_mov_b64 s[10:11], exec
	v_mbcnt_lo_u32_b32 v1, s10, 0
	v_mbcnt_hi_u32_b32 v1, s11, v1
	v_cmp_eq_u32_e32 vcc, 0, v1
                                        ; implicit-def: $vgpr2
	s_and_saveexec_b64 s[8:9], vcc
	s_cbranch_execz .LBB1154_3
; %bb.2:
	s_load_dwordx2 s[12:13], s[4:5], 0x50
	s_bcnt1_i32_b64 s7, s[10:11]
	v_mov_b32_e32 v2, 0
	v_mov_b32_e32 v3, s7
	s_waitcnt lgkmcnt(0)
	global_atomic_add v2, v2, v3, s[12:13] glc
.LBB1154_3:
	s_or_b64 exec, exec, s[8:9]
	s_waitcnt vmcnt(0)
	v_readfirstlane_b32 s7, v2
	v_add_u32_e32 v1, s7, v1
	v_mov_b32_e32 v2, 0
	ds_write_b32 v2, v1 offset:20544
.LBB1154_4:
	s_or_b64 exec, exec, s[2:3]
	v_mov_b32_e32 v1, 0
	s_load_dwordx8 s[36:43], s[4:5], 0x0
	s_load_dword s2, s[4:5], 0x20
	s_waitcnt lgkmcnt(0)
	s_barrier
	ds_read_b32 v1, v1 offset:20544
	s_waitcnt lgkmcnt(0)
	s_barrier
	v_readfirstlane_b32 s33, v1
	v_cmp_le_u32_e32 vcc, s46, v1
	s_mul_i32 s34, s33, 0x1800
	v_mbcnt_lo_u32_b32 v1, -1, 0
	s_cbranch_vccz .LBB1154_55
; %bb.5:
	s_mul_i32 s7, s46, 0xffffe800
	s_mov_b32 s35, 0
	s_add_i32 s7, s7, s2
	s_lshl_b64 s[46:47], s[34:35], 3
	v_mbcnt_hi_u32_b32 v6, -1, v1
	s_add_u32 s2, s36, s46
	v_and_b32_e32 v4, 63, v6
	s_addc_u32 s3, s37, s47
	v_and_b32_e32 v2, 0x3c0, v8
	v_lshlrev_b32_e32 v9, 3, v4
	v_mul_u32_u24_e32 v5, 6, v2
	v_mov_b32_e32 v2, s3
	v_add_co_u32_e32 v3, vcc, s2, v9
	v_addc_co_u32_e32 v7, vcc, 0, v2, vcc
	v_lshlrev_b32_e32 v24, 3, v5
	s_mov_b32 s8, -1
	v_add_co_u32_e32 v2, vcc, v3, v24
	s_brev_b32 s9, -2
	v_addc_co_u32_e32 v3, vcc, 0, v7, vcc
	v_or_b32_e32 v4, v4, v5
	v_cmp_gt_u32_e32 vcc, s7, v4
	v_pk_mov_b32 v[10:11], s[8:9], s[8:9] op_sel:[0,1]
	s_and_saveexec_b64 s[2:3], vcc
	s_cbranch_execz .LBB1154_7
; %bb.6:
	global_load_dwordx2 v[10:11], v[2:3], off
.LBB1154_7:
	s_or_b64 exec, exec, s[2:3]
	v_or_b32_e32 v5, 64, v4
	v_cmp_gt_u32_e64 s[2:3], s7, v5
	v_pk_mov_b32 v[12:13], s[8:9], s[8:9] op_sel:[0,1]
	s_and_saveexec_b64 s[8:9], s[2:3]
	s_cbranch_execz .LBB1154_9
; %bb.8:
	global_load_dwordx2 v[12:13], v[2:3], off offset:512
.LBB1154_9:
	s_or_b64 exec, exec, s[8:9]
	s_mov_b32 s10, -1
	v_add_u32_e32 v5, 0x80, v4
	s_brev_b32 s11, -2
	v_cmp_gt_u32_e64 s[22:23], s7, v5
	v_pk_mov_b32 v[14:15], s[10:11], s[10:11] op_sel:[0,1]
	s_and_saveexec_b64 s[8:9], s[22:23]
	s_cbranch_execz .LBB1154_11
; %bb.10:
	global_load_dwordx2 v[14:15], v[2:3], off offset:1024
.LBB1154_11:
	s_or_b64 exec, exec, s[8:9]
	v_add_u32_e32 v5, 0xc0, v4
	v_cmp_gt_u32_e64 s[8:9], s7, v5
	v_pk_mov_b32 v[16:17], s[10:11], s[10:11] op_sel:[0,1]
	s_and_saveexec_b64 s[10:11], s[8:9]
	s_cbranch_execz .LBB1154_13
; %bb.12:
	global_load_dwordx2 v[16:17], v[2:3], off offset:1536
.LBB1154_13:
	s_or_b64 exec, exec, s[10:11]
	s_mov_b32 s14, -1
	v_add_u32_e32 v5, 0x100, v4
	s_brev_b32 s15, -2
	v_cmp_gt_u32_e64 s[10:11], s7, v5
	v_pk_mov_b32 v[18:19], s[14:15], s[14:15] op_sel:[0,1]
	s_and_saveexec_b64 s[12:13], s[10:11]
	s_cbranch_execz .LBB1154_15
; %bb.14:
	global_load_dwordx2 v[18:19], v[2:3], off offset:2048
.LBB1154_15:
	s_or_b64 exec, exec, s[12:13]
	v_add_u32_e32 v4, 0x140, v4
	v_cmp_gt_u32_e64 s[12:13], s7, v4
	v_pk_mov_b32 v[20:21], s[14:15], s[14:15] op_sel:[0,1]
	s_and_saveexec_b64 s[14:15], s[12:13]
	s_cbranch_execz .LBB1154_17
; %bb.16:
	global_load_dwordx2 v[20:21], v[2:3], off offset:2560
.LBB1154_17:
	s_or_b64 exec, exec, s[14:15]
	s_load_dword s14, s[4:5], 0x64
	s_load_dword s35, s[4:5], 0x58
	s_add_u32 s15, s4, 0x58
	s_addc_u32 s16, s5, 0
	v_mov_b32_e32 v2, 0
	s_waitcnt lgkmcnt(0)
	s_lshr_b32 s17, s14, 16
	s_cmp_lt_u32 s6, s35
	s_cselect_b32 s14, 12, 18
	s_add_u32 s14, s15, s14
	s_addc_u32 s15, s16, 0
	global_load_ushort v22, v2, s[14:15]
	s_waitcnt vmcnt(1)
	v_xor_b32_e32 v11, 0x80000000, v11
	v_mul_u32_u24_e32 v4, 5, v8
	s_lshl_b32 s14, -1, s45
	v_lshlrev_b32_e32 v7, 2, v4
	v_lshrrev_b64 v[4:5], s44, v[10:11]
	s_not_b32 s50, s14
	v_and_b32_e32 v4, s50, v4
	v_and_b32_e32 v25, 1, v4
	v_bfe_u32 v3, v0, 10, 10
	v_bfe_u32 v23, v0, 20, 10
	v_add_co_u32_e64 v26, s[14:15], -1, v25
	v_mad_u32_u24 v5, v23, s17, v3
	v_lshlrev_b32_e32 v3, 30, v4
	v_addc_co_u32_e64 v27, s[14:15], 0, -1, s[14:15]
	v_cmp_ne_u32_e64 s[14:15], 0, v25
	v_cmp_gt_i64_e64 s[16:17], 0, v[2:3]
	v_not_b32_e32 v25, v3
	v_lshlrev_b32_e32 v3, 29, v4
	v_xor_b32_e32 v27, s15, v27
	v_xor_b32_e32 v26, s14, v26
	v_ashrrev_i32_e32 v25, 31, v25
	v_cmp_gt_i64_e64 s[14:15], 0, v[2:3]
	v_not_b32_e32 v28, v3
	v_lshlrev_b32_e32 v3, 28, v4
	v_and_b32_e32 v27, exec_hi, v27
	v_and_b32_e32 v26, exec_lo, v26
	v_xor_b32_e32 v29, s17, v25
	v_xor_b32_e32 v25, s16, v25
	v_ashrrev_i32_e32 v28, 31, v28
	v_cmp_gt_i64_e64 s[16:17], 0, v[2:3]
	v_not_b32_e32 v30, v3
	v_lshlrev_b32_e32 v3, 27, v4
	v_and_b32_e32 v27, v27, v29
	v_and_b32_e32 v25, v26, v25
	v_xor_b32_e32 v26, s15, v28
	v_xor_b32_e32 v28, s14, v28
	v_ashrrev_i32_e32 v29, 31, v30
	v_cmp_gt_i64_e64 s[14:15], 0, v[2:3]
	v_not_b32_e32 v30, v3
	v_lshlrev_b32_e32 v3, 26, v4
	v_and_b32_e32 v26, v27, v26
	v_and_b32_e32 v25, v25, v28
	;; [unrolled: 8-line block ×3, first 2 shown]
	v_xor_b32_e32 v27, s15, v29
	v_xor_b32_e32 v28, s14, v29
	v_ashrrev_i32_e32 v29, 31, v30
	v_not_b32_e32 v30, v3
	v_lshl_add_u32 v23, v4, 4, v4
	v_cmp_gt_i64_e64 s[14:15], 0, v[2:3]
	v_lshlrev_b32_e32 v3, 24, v4
	v_and_b32_e32 v4, v26, v27
	v_and_b32_e32 v25, v25, v28
	v_xor_b32_e32 v26, s17, v29
	v_ashrrev_i32_e32 v28, 31, v30
	v_xor_b32_e32 v27, s16, v29
	v_cmp_gt_i64_e64 s[16:17], 0, v[2:3]
	v_not_b32_e32 v3, v3
	v_and_b32_e32 v4, v4, v26
	v_xor_b32_e32 v26, s15, v28
	v_and_b32_e32 v25, v25, v27
	v_xor_b32_e32 v27, s14, v28
	v_and_b32_e32 v26, v4, v26
	v_ashrrev_i32_e32 v3, 31, v3
	v_and_b32_e32 v25, v25, v27
	ds_write2_b32 v7, v2, v2 offset0:16 offset1:17
	ds_write2_b32 v7, v2, v2 offset0:18 offset1:19
	ds_write_b32 v7, v2 offset:80
	s_waitcnt lgkmcnt(0)
	s_barrier
	s_waitcnt lgkmcnt(0)
	; wave barrier
	s_waitcnt vmcnt(0)
	v_mad_u64_u32 v[4:5], s[14:15], v5, v22, v[8:9]
	v_lshrrev_b32_e32 v34, 6, v4
	v_xor_b32_e32 v4, s17, v3
	v_xor_b32_e32 v3, s16, v3
	v_and_b32_e32 v5, v26, v4
	v_and_b32_e32 v4, v25, v3
	v_mbcnt_lo_u32_b32 v3, v4, 0
	v_mbcnt_hi_u32_b32 v22, v5, v3
	v_cmp_eq_u32_e64 s[14:15], 0, v22
	v_cmp_ne_u64_e64 s[16:17], 0, v[4:5]
	v_add_lshl_u32 v27, v34, v23, 2
	s_and_b64 s[16:17], s[16:17], s[14:15]
	s_and_saveexec_b64 s[14:15], s[16:17]
	s_cbranch_execz .LBB1154_19
; %bb.18:
	v_bcnt_u32_b32 v3, v4, 0
	v_bcnt_u32_b32 v3, v5, v3
	ds_write_b32 v27, v3 offset:64
.LBB1154_19:
	s_or_b64 exec, exec, s[14:15]
	v_xor_b32_e32 v13, 0x80000000, v13
	v_lshrrev_b64 v[4:5], s44, v[12:13]
	v_and_b32_e32 v4, s50, v4
	v_lshl_add_u32 v3, v4, 4, v4
	v_add_lshl_u32 v28, v34, v3, 2
	v_and_b32_e32 v3, 1, v4
	v_add_co_u32_e64 v5, s[14:15], -1, v3
	v_addc_co_u32_e64 v25, s[14:15], 0, -1, s[14:15]
	v_cmp_ne_u32_e64 s[14:15], 0, v3
	v_xor_b32_e32 v3, s15, v25
	v_and_b32_e32 v25, exec_hi, v3
	v_lshlrev_b32_e32 v3, 30, v4
	v_xor_b32_e32 v5, s14, v5
	v_cmp_gt_i64_e64 s[14:15], 0, v[2:3]
	v_not_b32_e32 v3, v3
	v_ashrrev_i32_e32 v3, 31, v3
	v_and_b32_e32 v5, exec_lo, v5
	v_xor_b32_e32 v26, s15, v3
	v_xor_b32_e32 v3, s14, v3
	v_and_b32_e32 v5, v5, v3
	v_lshlrev_b32_e32 v3, 29, v4
	v_cmp_gt_i64_e64 s[14:15], 0, v[2:3]
	v_not_b32_e32 v3, v3
	v_ashrrev_i32_e32 v3, 31, v3
	v_and_b32_e32 v25, v25, v26
	v_xor_b32_e32 v26, s15, v3
	v_xor_b32_e32 v3, s14, v3
	v_and_b32_e32 v5, v5, v3
	v_lshlrev_b32_e32 v3, 28, v4
	v_cmp_gt_i64_e64 s[14:15], 0, v[2:3]
	v_not_b32_e32 v3, v3
	v_ashrrev_i32_e32 v3, 31, v3
	v_and_b32_e32 v25, v25, v26
	;; [unrolled: 8-line block ×5, first 2 shown]
	v_xor_b32_e32 v26, s15, v3
	v_xor_b32_e32 v3, s14, v3
	v_and_b32_e32 v5, v5, v3
	v_lshlrev_b32_e32 v3, 24, v4
	v_cmp_gt_i64_e64 s[14:15], 0, v[2:3]
	v_not_b32_e32 v2, v3
	v_ashrrev_i32_e32 v2, 31, v2
	v_xor_b32_e32 v3, s15, v2
	v_xor_b32_e32 v2, s14, v2
	; wave barrier
	ds_read_b32 v23, v28 offset:64
	v_and_b32_e32 v25, v25, v26
	v_and_b32_e32 v2, v5, v2
	;; [unrolled: 1-line block ×3, first 2 shown]
	v_mbcnt_lo_u32_b32 v4, v2, 0
	v_mbcnt_hi_u32_b32 v25, v3, v4
	v_cmp_eq_u32_e64 s[14:15], 0, v25
	v_cmp_ne_u64_e64 s[16:17], 0, v[2:3]
	s_and_b64 s[16:17], s[16:17], s[14:15]
	; wave barrier
	s_and_saveexec_b64 s[14:15], s[16:17]
	s_cbranch_execz .LBB1154_21
; %bb.20:
	v_bcnt_u32_b32 v2, v2, 0
	v_bcnt_u32_b32 v2, v3, v2
	s_waitcnt lgkmcnt(0)
	v_add_u32_e32 v2, v23, v2
	ds_write_b32 v28, v2 offset:64
.LBB1154_21:
	s_or_b64 exec, exec, s[14:15]
	v_xor_b32_e32 v15, 0x80000000, v15
	v_lshrrev_b64 v[2:3], s44, v[14:15]
	v_and_b32_e32 v4, s50, v2
	v_and_b32_e32 v3, 1, v4
	v_add_co_u32_e64 v5, s[14:15], -1, v3
	v_addc_co_u32_e64 v29, s[14:15], 0, -1, s[14:15]
	v_cmp_ne_u32_e64 s[14:15], 0, v3
	v_lshl_add_u32 v2, v4, 4, v4
	v_xor_b32_e32 v3, s15, v29
	v_add_lshl_u32 v31, v34, v2, 2
	v_mov_b32_e32 v2, 0
	v_and_b32_e32 v29, exec_hi, v3
	v_lshlrev_b32_e32 v3, 30, v4
	v_xor_b32_e32 v5, s14, v5
	v_cmp_gt_i64_e64 s[14:15], 0, v[2:3]
	v_not_b32_e32 v3, v3
	v_ashrrev_i32_e32 v3, 31, v3
	v_and_b32_e32 v5, exec_lo, v5
	v_xor_b32_e32 v30, s15, v3
	v_xor_b32_e32 v3, s14, v3
	v_and_b32_e32 v5, v5, v3
	v_lshlrev_b32_e32 v3, 29, v4
	v_cmp_gt_i64_e64 s[14:15], 0, v[2:3]
	v_not_b32_e32 v3, v3
	v_ashrrev_i32_e32 v3, 31, v3
	v_and_b32_e32 v29, v29, v30
	v_xor_b32_e32 v30, s15, v3
	v_xor_b32_e32 v3, s14, v3
	v_and_b32_e32 v5, v5, v3
	v_lshlrev_b32_e32 v3, 28, v4
	v_cmp_gt_i64_e64 s[14:15], 0, v[2:3]
	v_not_b32_e32 v3, v3
	v_ashrrev_i32_e32 v3, 31, v3
	v_and_b32_e32 v29, v29, v30
	;; [unrolled: 8-line block ×5, first 2 shown]
	v_xor_b32_e32 v30, s15, v3
	v_xor_b32_e32 v3, s14, v3
	v_and_b32_e32 v29, v29, v30
	v_and_b32_e32 v30, v5, v3
	v_lshlrev_b32_e32 v3, 24, v4
	v_cmp_gt_i64_e64 s[14:15], 0, v[2:3]
	v_not_b32_e32 v3, v3
	v_ashrrev_i32_e32 v3, 31, v3
	v_xor_b32_e32 v4, s15, v3
	v_xor_b32_e32 v3, s14, v3
	; wave barrier
	ds_read_b32 v26, v31 offset:64
	v_and_b32_e32 v5, v29, v4
	v_and_b32_e32 v4, v30, v3
	v_mbcnt_lo_u32_b32 v3, v4, 0
	v_mbcnt_hi_u32_b32 v29, v5, v3
	v_cmp_eq_u32_e64 s[14:15], 0, v29
	v_cmp_ne_u64_e64 s[16:17], 0, v[4:5]
	s_and_b64 s[16:17], s[16:17], s[14:15]
	; wave barrier
	s_and_saveexec_b64 s[14:15], s[16:17]
	s_cbranch_execz .LBB1154_23
; %bb.22:
	v_bcnt_u32_b32 v3, v4, 0
	v_bcnt_u32_b32 v3, v5, v3
	s_waitcnt lgkmcnt(0)
	v_add_u32_e32 v3, v26, v3
	ds_write_b32 v31, v3 offset:64
.LBB1154_23:
	s_or_b64 exec, exec, s[14:15]
	v_xor_b32_e32 v17, 0x80000000, v17
	v_lshrrev_b64 v[4:5], s44, v[16:17]
	v_and_b32_e32 v4, s50, v4
	v_lshl_add_u32 v3, v4, 4, v4
	v_add_lshl_u32 v35, v34, v3, 2
	v_and_b32_e32 v3, 1, v4
	v_add_co_u32_e64 v5, s[14:15], -1, v3
	v_addc_co_u32_e64 v32, s[14:15], 0, -1, s[14:15]
	v_cmp_ne_u32_e64 s[14:15], 0, v3
	v_xor_b32_e32 v3, s15, v32
	v_and_b32_e32 v32, exec_hi, v3
	v_lshlrev_b32_e32 v3, 30, v4
	v_xor_b32_e32 v5, s14, v5
	v_cmp_gt_i64_e64 s[14:15], 0, v[2:3]
	v_not_b32_e32 v3, v3
	v_ashrrev_i32_e32 v3, 31, v3
	v_and_b32_e32 v5, exec_lo, v5
	v_xor_b32_e32 v33, s15, v3
	v_xor_b32_e32 v3, s14, v3
	v_and_b32_e32 v5, v5, v3
	v_lshlrev_b32_e32 v3, 29, v4
	v_cmp_gt_i64_e64 s[14:15], 0, v[2:3]
	v_not_b32_e32 v3, v3
	v_ashrrev_i32_e32 v3, 31, v3
	v_and_b32_e32 v32, v32, v33
	v_xor_b32_e32 v33, s15, v3
	v_xor_b32_e32 v3, s14, v3
	v_and_b32_e32 v5, v5, v3
	v_lshlrev_b32_e32 v3, 28, v4
	v_cmp_gt_i64_e64 s[14:15], 0, v[2:3]
	v_not_b32_e32 v3, v3
	v_ashrrev_i32_e32 v3, 31, v3
	v_and_b32_e32 v32, v32, v33
	;; [unrolled: 8-line block ×5, first 2 shown]
	v_xor_b32_e32 v33, s15, v3
	v_xor_b32_e32 v3, s14, v3
	v_and_b32_e32 v5, v5, v3
	v_lshlrev_b32_e32 v3, 24, v4
	v_cmp_gt_i64_e64 s[14:15], 0, v[2:3]
	v_not_b32_e32 v2, v3
	v_ashrrev_i32_e32 v2, 31, v2
	v_xor_b32_e32 v3, s15, v2
	v_xor_b32_e32 v2, s14, v2
	; wave barrier
	ds_read_b32 v30, v35 offset:64
	v_and_b32_e32 v32, v32, v33
	v_and_b32_e32 v2, v5, v2
	;; [unrolled: 1-line block ×3, first 2 shown]
	v_mbcnt_lo_u32_b32 v4, v2, 0
	v_mbcnt_hi_u32_b32 v32, v3, v4
	v_cmp_eq_u32_e64 s[14:15], 0, v32
	v_cmp_ne_u64_e64 s[16:17], 0, v[2:3]
	s_and_b64 s[16:17], s[16:17], s[14:15]
	; wave barrier
	s_and_saveexec_b64 s[14:15], s[16:17]
	s_cbranch_execz .LBB1154_25
; %bb.24:
	v_bcnt_u32_b32 v2, v2, 0
	v_bcnt_u32_b32 v2, v3, v2
	s_waitcnt lgkmcnt(0)
	v_add_u32_e32 v2, v30, v2
	ds_write_b32 v35, v2 offset:64
.LBB1154_25:
	s_or_b64 exec, exec, s[14:15]
	v_xor_b32_e32 v19, 0x80000000, v19
	v_lshrrev_b64 v[2:3], s44, v[18:19]
	v_and_b32_e32 v4, s50, v2
	v_and_b32_e32 v3, 1, v4
	v_add_co_u32_e64 v5, s[14:15], -1, v3
	v_addc_co_u32_e64 v36, s[14:15], 0, -1, s[14:15]
	v_cmp_ne_u32_e64 s[14:15], 0, v3
	v_lshl_add_u32 v2, v4, 4, v4
	v_xor_b32_e32 v3, s15, v36
	v_add_lshl_u32 v38, v34, v2, 2
	v_mov_b32_e32 v2, 0
	v_and_b32_e32 v36, exec_hi, v3
	v_lshlrev_b32_e32 v3, 30, v4
	v_xor_b32_e32 v5, s14, v5
	v_cmp_gt_i64_e64 s[14:15], 0, v[2:3]
	v_not_b32_e32 v3, v3
	v_ashrrev_i32_e32 v3, 31, v3
	v_and_b32_e32 v5, exec_lo, v5
	v_xor_b32_e32 v37, s15, v3
	v_xor_b32_e32 v3, s14, v3
	v_and_b32_e32 v5, v5, v3
	v_lshlrev_b32_e32 v3, 29, v4
	v_cmp_gt_i64_e64 s[14:15], 0, v[2:3]
	v_not_b32_e32 v3, v3
	v_ashrrev_i32_e32 v3, 31, v3
	v_and_b32_e32 v36, v36, v37
	v_xor_b32_e32 v37, s15, v3
	v_xor_b32_e32 v3, s14, v3
	v_and_b32_e32 v5, v5, v3
	v_lshlrev_b32_e32 v3, 28, v4
	v_cmp_gt_i64_e64 s[14:15], 0, v[2:3]
	v_not_b32_e32 v3, v3
	v_ashrrev_i32_e32 v3, 31, v3
	v_and_b32_e32 v36, v36, v37
	;; [unrolled: 8-line block ×5, first 2 shown]
	v_xor_b32_e32 v37, s15, v3
	v_xor_b32_e32 v3, s14, v3
	v_and_b32_e32 v36, v36, v37
	v_and_b32_e32 v37, v5, v3
	v_lshlrev_b32_e32 v3, 24, v4
	v_cmp_gt_i64_e64 s[14:15], 0, v[2:3]
	v_not_b32_e32 v3, v3
	v_ashrrev_i32_e32 v3, 31, v3
	v_xor_b32_e32 v4, s15, v3
	v_xor_b32_e32 v3, s14, v3
	; wave barrier
	ds_read_b32 v33, v38 offset:64
	v_and_b32_e32 v5, v36, v4
	v_and_b32_e32 v4, v37, v3
	v_mbcnt_lo_u32_b32 v3, v4, 0
	v_mbcnt_hi_u32_b32 v36, v5, v3
	v_cmp_eq_u32_e64 s[14:15], 0, v36
	v_cmp_ne_u64_e64 s[16:17], 0, v[4:5]
	s_and_b64 s[16:17], s[16:17], s[14:15]
	; wave barrier
	s_and_saveexec_b64 s[14:15], s[16:17]
	s_cbranch_execz .LBB1154_27
; %bb.26:
	v_bcnt_u32_b32 v3, v4, 0
	v_bcnt_u32_b32 v3, v5, v3
	s_waitcnt lgkmcnt(0)
	v_add_u32_e32 v3, v33, v3
	ds_write_b32 v38, v3 offset:64
.LBB1154_27:
	s_or_b64 exec, exec, s[14:15]
	v_xor_b32_e32 v21, 0x80000000, v21
	v_lshrrev_b64 v[4:5], s44, v[20:21]
	v_and_b32_e32 v4, s50, v4
	v_lshl_add_u32 v3, v4, 4, v4
	v_add_lshl_u32 v34, v34, v3, 2
	v_and_b32_e32 v3, 1, v4
	v_add_co_u32_e64 v5, s[14:15], -1, v3
	v_addc_co_u32_e64 v39, s[14:15], 0, -1, s[14:15]
	v_cmp_ne_u32_e64 s[14:15], 0, v3
	v_xor_b32_e32 v3, s15, v39
	v_and_b32_e32 v39, exec_hi, v3
	v_lshlrev_b32_e32 v3, 30, v4
	v_xor_b32_e32 v5, s14, v5
	v_cmp_gt_i64_e64 s[14:15], 0, v[2:3]
	v_not_b32_e32 v3, v3
	v_ashrrev_i32_e32 v3, 31, v3
	v_and_b32_e32 v5, exec_lo, v5
	v_xor_b32_e32 v41, s15, v3
	v_xor_b32_e32 v3, s14, v3
	v_and_b32_e32 v5, v5, v3
	v_lshlrev_b32_e32 v3, 29, v4
	v_cmp_gt_i64_e64 s[14:15], 0, v[2:3]
	v_not_b32_e32 v3, v3
	v_ashrrev_i32_e32 v3, 31, v3
	v_and_b32_e32 v39, v39, v41
	v_xor_b32_e32 v41, s15, v3
	v_xor_b32_e32 v3, s14, v3
	v_and_b32_e32 v5, v5, v3
	v_lshlrev_b32_e32 v3, 28, v4
	v_cmp_gt_i64_e64 s[14:15], 0, v[2:3]
	v_not_b32_e32 v3, v3
	v_ashrrev_i32_e32 v3, 31, v3
	v_and_b32_e32 v39, v39, v41
	;; [unrolled: 8-line block ×5, first 2 shown]
	v_xor_b32_e32 v41, s15, v3
	v_xor_b32_e32 v3, s14, v3
	v_and_b32_e32 v5, v5, v3
	v_lshlrev_b32_e32 v3, 24, v4
	v_cmp_gt_i64_e64 s[14:15], 0, v[2:3]
	v_not_b32_e32 v2, v3
	v_ashrrev_i32_e32 v2, 31, v2
	v_xor_b32_e32 v3, s15, v2
	v_xor_b32_e32 v2, s14, v2
	; wave barrier
	ds_read_b32 v37, v34 offset:64
	v_and_b32_e32 v39, v39, v41
	v_and_b32_e32 v2, v5, v2
	;; [unrolled: 1-line block ×3, first 2 shown]
	v_mbcnt_lo_u32_b32 v4, v2, 0
	v_mbcnt_hi_u32_b32 v39, v3, v4
	v_cmp_eq_u32_e64 s[14:15], 0, v39
	v_cmp_ne_u64_e64 s[16:17], 0, v[2:3]
	v_add_u32_e32 v40, 64, v7
	s_and_b64 s[16:17], s[16:17], s[14:15]
	; wave barrier
	s_and_saveexec_b64 s[14:15], s[16:17]
	s_cbranch_execz .LBB1154_29
; %bb.28:
	v_bcnt_u32_b32 v2, v2, 0
	v_bcnt_u32_b32 v2, v3, v2
	s_waitcnt lgkmcnt(0)
	v_add_u32_e32 v2, v37, v2
	ds_write_b32 v34, v2 offset:64
.LBB1154_29:
	s_or_b64 exec, exec, s[14:15]
	; wave barrier
	s_waitcnt lgkmcnt(0)
	s_barrier
	ds_read2_b32 v[4:5], v7 offset0:16 offset1:17
	ds_read2_b32 v[2:3], v40 offset0:2 offset1:3
	ds_read_b32 v41, v40 offset:16
	v_cmp_lt_u32_e64 s[24:25], 31, v6
	s_waitcnt lgkmcnt(1)
	v_add3_u32 v42, v5, v4, v2
	s_waitcnt lgkmcnt(0)
	v_add3_u32 v41, v42, v3, v41
	v_and_b32_e32 v42, 15, v6
	v_cmp_eq_u32_e64 s[14:15], 0, v42
	v_mov_b32_dpp v43, v41 row_shr:1 row_mask:0xf bank_mask:0xf
	v_cndmask_b32_e64 v43, v43, 0, s[14:15]
	v_add_u32_e32 v41, v43, v41
	v_cmp_lt_u32_e64 s[16:17], 1, v42
	v_cmp_lt_u32_e64 s[18:19], 3, v42
	v_mov_b32_dpp v43, v41 row_shr:2 row_mask:0xf bank_mask:0xf
	v_cndmask_b32_e64 v43, 0, v43, s[16:17]
	v_add_u32_e32 v41, v41, v43
	v_cmp_lt_u32_e64 s[20:21], 7, v42
	s_nop 0
	v_mov_b32_dpp v43, v41 row_shr:4 row_mask:0xf bank_mask:0xf
	v_cndmask_b32_e64 v43, 0, v43, s[18:19]
	v_add_u32_e32 v41, v41, v43
	s_nop 1
	v_mov_b32_dpp v43, v41 row_shr:8 row_mask:0xf bank_mask:0xf
	v_cndmask_b32_e64 v42, 0, v43, s[20:21]
	v_add_u32_e32 v41, v41, v42
	v_bfe_i32 v43, v6, 4, 1
	s_nop 0
	v_mov_b32_dpp v42, v41 row_bcast:15 row_mask:0xf bank_mask:0xf
	v_and_b32_e32 v42, v43, v42
	v_add_u32_e32 v41, v41, v42
	v_and_b32_e32 v43, 63, v8
	s_nop 0
	v_mov_b32_dpp v42, v41 row_bcast:31 row_mask:0xf bank_mask:0xf
	v_cndmask_b32_e64 v42, 0, v42, s[24:25]
	v_add_u32_e32 v41, v41, v42
	v_lshrrev_b32_e32 v42, 6, v8
	v_cmp_eq_u32_e64 s[24:25], 63, v43
	s_and_saveexec_b64 s[48:49], s[24:25]
	s_cbranch_execz .LBB1154_31
; %bb.30:
	v_lshlrev_b32_e32 v43, 2, v42
	ds_write_b32 v43, v41
.LBB1154_31:
	s_or_b64 exec, exec, s[48:49]
	v_cmp_gt_u32_e64 s[24:25], 16, v8
	s_waitcnt lgkmcnt(0)
	s_barrier
	s_and_saveexec_b64 s[48:49], s[24:25]
	s_cbranch_execz .LBB1154_33
; %bb.32:
	v_lshlrev_b32_e32 v43, 2, v8
	ds_read_b32 v44, v43
	s_waitcnt lgkmcnt(0)
	s_nop 0
	v_mov_b32_dpp v45, v44 row_shr:1 row_mask:0xf bank_mask:0xf
	v_cndmask_b32_e64 v45, v45, 0, s[14:15]
	v_add_u32_e32 v44, v45, v44
	s_nop 1
	v_mov_b32_dpp v45, v44 row_shr:2 row_mask:0xf bank_mask:0xf
	v_cndmask_b32_e64 v45, 0, v45, s[16:17]
	v_add_u32_e32 v44, v44, v45
	;; [unrolled: 4-line block ×4, first 2 shown]
	ds_write_b32 v43, v44
.LBB1154_33:
	s_or_b64 exec, exec, s[48:49]
	v_cmp_lt_u32_e64 s[14:15], 63, v8
	v_mov_b32_e32 v43, 0
	s_waitcnt lgkmcnt(0)
	s_barrier
	s_and_saveexec_b64 s[16:17], s[14:15]
	s_cbranch_execz .LBB1154_35
; %bb.34:
	v_lshl_add_u32 v42, v42, 2, -4
	ds_read_b32 v43, v42
.LBB1154_35:
	s_or_b64 exec, exec, s[16:17]
	v_add_u32_e32 v42, -1, v6
	v_and_b32_e32 v44, 64, v6
	v_cmp_lt_i32_e64 s[14:15], v42, v44
	v_cndmask_b32_e64 v42, v42, v6, s[14:15]
	s_waitcnt lgkmcnt(0)
	v_add_u32_e32 v41, v43, v41
	v_lshlrev_b32_e32 v42, 2, v42
	ds_bpermute_b32 v41, v42, v41
	v_cmp_eq_u32_e64 s[14:15], 0, v6
	s_waitcnt lgkmcnt(0)
	v_cndmask_b32_e64 v6, v41, v43, s[14:15]
	v_cndmask_b32_e64 v6, v6, 0, s[0:1]
	v_add_u32_e32 v4, v6, v4
	v_add_u32_e32 v5, v4, v5
	;; [unrolled: 1-line block ×4, first 2 shown]
	ds_write2_b32 v7, v6, v4 offset0:16 offset1:17
	ds_write2_b32 v40, v5, v2 offset0:2 offset1:3
	ds_write_b32 v40, v3 offset:16
	s_waitcnt lgkmcnt(0)
	s_barrier
	ds_read_b32 v43, v27 offset:64
	ds_read_b32 v40, v28 offset:64
	ds_read_b32 v41, v31 offset:64
	ds_read_b32 v42, v35 offset:64
	ds_read_b32 v38, v38 offset:64
	ds_read_b32 v44, v34 offset:64
	s_movk_i32 s14, 0x100
	v_cmp_gt_u32_e64 s[14:15], s14, v8
                                        ; implicit-def: $vgpr27
                                        ; implicit-def: $vgpr28
	s_and_saveexec_b64 s[18:19], s[14:15]
	s_cbranch_execz .LBB1154_39
; %bb.36:
	v_mul_u32_u24_e32 v2, 17, v8
	v_lshlrev_b32_e32 v3, 2, v2
	ds_read_b32 v27, v3 offset:64
	s_movk_i32 s16, 0xff
	v_cmp_ne_u32_e64 s[16:17], s16, v8
	v_mov_b32_e32 v2, 0x1800
	s_and_saveexec_b64 s[20:21], s[16:17]
	s_cbranch_execz .LBB1154_38
; %bb.37:
	ds_read_b32 v2, v3 offset:132
.LBB1154_38:
	s_or_b64 exec, exec, s[20:21]
	s_waitcnt lgkmcnt(0)
	v_sub_u32_e32 v28, v2, v27
.LBB1154_39:
	s_or_b64 exec, exec, s[18:19]
	s_waitcnt lgkmcnt(0)
	s_barrier
	s_and_saveexec_b64 s[18:19], s[14:15]
	s_cbranch_execz .LBB1154_49
; %bb.40:
	v_lshl_or_b32 v2, s33, 8, v8
	v_mov_b32_e32 v3, 0
	v_lshlrev_b64 v[4:5], 2, v[2:3]
	v_mov_b32_e32 v31, s27
	v_add_co_u32_e64 v4, s[16:17], s26, v4
	v_addc_co_u32_e64 v5, s[16:17], v31, v5, s[16:17]
	v_or_b32_e32 v2, 2.0, v28
	s_mov_b64 s[20:21], 0
	s_brev_b32 s51, 1
	s_mov_b32 s52, s33
	v_mov_b32_e32 v34, 0
	global_store_dword v[4:5], v2, off
                                        ; implicit-def: $sgpr16_sgpr17
	s_branch .LBB1154_42
.LBB1154_41:                            ;   in Loop: Header=BB1154_42 Depth=1
	s_or_b64 exec, exec, s[24:25]
	v_and_b32_e32 v6, 0x3fffffff, v35
	v_add_u32_e32 v34, v6, v34
	v_cmp_eq_u32_e64 s[16:17], s51, v2
	s_and_b64 s[24:25], exec, s[16:17]
	s_or_b64 s[20:21], s[24:25], s[20:21]
	s_andn2_b64 exec, exec, s[20:21]
	s_cbranch_execz .LBB1154_48
.LBB1154_42:                            ; =>This Loop Header: Depth=1
                                        ;     Child Loop BB1154_45 Depth 2
	s_or_b64 s[16:17], s[16:17], exec
	s_cmp_eq_u32 s52, 0
	s_cbranch_scc1 .LBB1154_47
; %bb.43:                               ;   in Loop: Header=BB1154_42 Depth=1
	s_add_i32 s52, s52, -1
	v_lshl_or_b32 v2, s52, 8, v8
	v_lshlrev_b64 v[6:7], 2, v[2:3]
	v_add_co_u32_e64 v6, s[16:17], s26, v6
	v_addc_co_u32_e64 v7, s[16:17], v31, v7, s[16:17]
	global_load_dword v35, v[6:7], off glc
	s_waitcnt vmcnt(0)
	v_and_b32_e32 v2, -2.0, v35
	v_cmp_eq_u32_e64 s[16:17], 0, v2
	s_and_saveexec_b64 s[24:25], s[16:17]
	s_cbranch_execz .LBB1154_41
; %bb.44:                               ;   in Loop: Header=BB1154_42 Depth=1
	s_mov_b64 s[48:49], 0
.LBB1154_45:                            ;   Parent Loop BB1154_42 Depth=1
                                        ; =>  This Inner Loop Header: Depth=2
	global_load_dword v35, v[6:7], off glc
	s_waitcnt vmcnt(0)
	v_and_b32_e32 v2, -2.0, v35
	v_cmp_ne_u32_e64 s[16:17], 0, v2
	s_or_b64 s[48:49], s[16:17], s[48:49]
	s_andn2_b64 exec, exec, s[48:49]
	s_cbranch_execnz .LBB1154_45
; %bb.46:                               ;   in Loop: Header=BB1154_42 Depth=1
	s_or_b64 exec, exec, s[48:49]
	s_branch .LBB1154_41
.LBB1154_47:                            ;   in Loop: Header=BB1154_42 Depth=1
                                        ; implicit-def: $sgpr52
	s_and_b64 s[24:25], exec, s[16:17]
	s_or_b64 s[20:21], s[24:25], s[20:21]
	s_andn2_b64 exec, exec, s[20:21]
	s_cbranch_execnz .LBB1154_42
.LBB1154_48:
	s_or_b64 exec, exec, s[20:21]
	v_add_u32_e32 v2, v34, v28
	v_or_b32_e32 v2, 0x80000000, v2
	global_store_dword v[4:5], v2, off
	v_lshlrev_b32_e32 v2, 2, v8
	global_load_dword v3, v2, s[28:29]
	v_sub_u32_e32 v4, v34, v27
	s_waitcnt vmcnt(0)
	v_add_u32_e32 v3, v4, v3
	ds_write_b32 v2, v3
.LBB1154_49:
	s_or_b64 exec, exec, s[18:19]
	v_lshlrev_b32_e32 v34, 3, v8
	v_add_u32_e32 v31, v43, v22
	s_movk_i32 s20, 0x400
	v_add_u32_e32 v35, 0x400, v34
	v_add3_u32 v37, v39, v44, v37
	v_add3_u32 v33, v36, v38, v33
	;; [unrolled: 1-line block ×5, first 2 shown]
	s_mov_b32 s21, 0
	v_mov_b32_e32 v23, 0
	v_mov_b32_e32 v29, v8
	s_mov_b32 s24, 0
                                        ; implicit-def: $vgpr2_vgpr3_vgpr4_vgpr5_vgpr6_vgpr7
	s_branch .LBB1154_51
.LBB1154_50:                            ;   in Loop: Header=BB1154_51 Depth=1
	s_or_b64 exec, exec, s[18:19]
	s_addk_i32 s24, 0xf800
	s_add_i32 s21, s21, 2
	s_cmpk_eq_i32 s24, 0xe800
	v_add_u32_e32 v29, 0x800, v29
	s_barrier
	s_cbranch_scc1 .LBB1154_56
.LBB1154_51:                            ; =>This Inner Loop Header: Depth=1
	v_add_u32_e32 v22, s24, v31
	v_min_u32_e32 v22, 0x800, v22
	v_lshlrev_b32_e32 v22, 3, v22
	ds_write_b64 v22, v[10:11] offset:1024
	v_add_u32_e32 v22, s24, v25
	v_min_u32_e32 v22, 0x800, v22
	v_lshlrev_b32_e32 v22, 3, v22
	ds_write_b64 v22, v[12:13] offset:1024
	;; [unrolled: 4-line block ×5, first 2 shown]
	v_add_u32_e32 v22, s24, v37
	v_min_u32_e32 v22, 0x800, v22
	v_lshlrev_b32_e32 v22, 3, v22
	v_cmp_gt_u32_e64 s[16:17], s7, v29
	ds_write_b64 v22, v[20:21] offset:1024
	s_waitcnt lgkmcnt(0)
	s_barrier
	s_and_saveexec_b64 s[18:19], s[16:17]
	s_cbranch_execz .LBB1154_53
; %bb.52:                               ;   in Loop: Header=BB1154_51 Depth=1
	ds_read_b64 v[38:39], v34 offset:1024
	s_cmp_eq_u32 s21, 5
	s_cselect_b64 s[16:17], -1, 0
	v_mov_b32_e32 v32, s39
	s_cmp_eq_u32 s21, 4
	s_waitcnt lgkmcnt(0)
	v_lshrrev_b64 v[40:41], s44, v[38:39]
	v_and_b32_e32 v36, s50, v40
	v_lshlrev_b32_e32 v22, 2, v36
	ds_read_b32 v22, v22
	v_cndmask_b32_e64 v7, v7, v36, s[16:17]
	v_xor_b32_e32 v39, 0x80000000, v39
	s_waitcnt lgkmcnt(0)
	v_add_u32_e32 v22, v29, v22
	v_lshlrev_b64 v[40:41], 3, v[22:23]
	v_add_co_u32_e64 v40, s[16:17], s38, v40
	v_addc_co_u32_e64 v41, s[16:17], v32, v41, s[16:17]
	s_cselect_b64 s[16:17], -1, 0
	s_cmp_eq_u32 s21, 3
	v_cndmask_b32_e64 v6, v6, v36, s[16:17]
	s_cselect_b64 s[16:17], -1, 0
	s_cmp_eq_u32 s21, 2
	v_cndmask_b32_e64 v5, v5, v36, s[16:17]
	;; [unrolled: 3-line block ×4, first 2 shown]
	s_cselect_b64 s[16:17], -1, 0
	v_cndmask_b32_e64 v2, v2, v36, s[16:17]
	global_store_dwordx2 v[40:41], v[38:39], off
.LBB1154_53:                            ;   in Loop: Header=BB1154_51 Depth=1
	s_or_b64 exec, exec, s[18:19]
	v_add_u32_e32 v22, 0x400, v29
	v_cmp_gt_u32_e64 s[16:17], s7, v22
	s_and_saveexec_b64 s[18:19], s[16:17]
	s_cbranch_execz .LBB1154_50
; %bb.54:                               ;   in Loop: Header=BB1154_51 Depth=1
	ds_read_b64 v[38:39], v35 offset:8192
	v_mov_b32_e32 v36, s39
	s_add_i32 s25, s21, 1
	s_cmp_eq_u32 s25, 5
	s_waitcnt lgkmcnt(0)
	v_lshrrev_b64 v[40:41], s44, v[38:39]
	v_and_b32_e32 v32, s50, v40
	v_lshlrev_b32_e32 v22, 2, v32
	ds_read_b32 v22, v22
	v_xor_b32_e32 v39, 0x80000000, v39
	s_waitcnt lgkmcnt(0)
	v_add3_u32 v22, v29, v22, s20
	v_lshlrev_b64 v[40:41], 3, v[22:23]
	v_add_co_u32_e64 v40, s[16:17], s38, v40
	v_addc_co_u32_e64 v41, s[16:17], v36, v41, s[16:17]
	s_cselect_b64 s[16:17], -1, 0
	s_cmp_eq_u32 s25, 4
	v_cndmask_b32_e64 v7, v7, v32, s[16:17]
	s_cselect_b64 s[16:17], -1, 0
	s_cmp_eq_u32 s25, 3
	v_cndmask_b32_e64 v6, v6, v32, s[16:17]
	s_cselect_b64 s[16:17], -1, 0
	s_cmp_eq_u32 s25, 2
	v_cndmask_b32_e64 v5, v5, v32, s[16:17]
	s_cselect_b64 s[16:17], -1, 0
	s_cmp_eq_u32 s25, 1
	v_cndmask_b32_e64 v4, v4, v32, s[16:17]
	s_cselect_b64 s[16:17], -1, 0
	s_cmp_eq_u32 s25, 0
	v_cndmask_b32_e64 v3, v3, v32, s[16:17]
	s_cselect_b64 s[16:17], -1, 0
	v_cndmask_b32_e64 v2, v2, v32, s[16:17]
	global_store_dwordx2 v[40:41], v[38:39], off
	s_branch .LBB1154_50
.LBB1154_55:
	s_mov_b64 s[10:11], 0
                                        ; implicit-def: $vgpr2
	s_cbranch_execnz .LBB1154_72
	s_branch .LBB1154_111
.LBB1154_56:
	s_add_u32 s16, s40, s46
	s_addc_u32 s17, s41, s47
	v_mov_b32_e32 v10, s17
	v_add_co_u32_e64 v9, s[16:17], s16, v9
	v_addc_co_u32_e64 v10, s[16:17], 0, v10, s[16:17]
	v_add_co_u32_e64 v22, s[16:17], v9, v24
	v_addc_co_u32_e64 v23, s[16:17], 0, v10, s[16:17]
                                        ; implicit-def: $vgpr10_vgpr11
	s_and_saveexec_b64 s[16:17], vcc
	s_cbranch_execnz .LBB1154_114
; %bb.57:
	s_or_b64 exec, exec, s[16:17]
                                        ; implicit-def: $vgpr12_vgpr13
	s_and_saveexec_b64 s[16:17], s[2:3]
	s_cbranch_execnz .LBB1154_115
.LBB1154_58:
	s_or_b64 exec, exec, s[16:17]
                                        ; implicit-def: $vgpr14_vgpr15
	s_and_saveexec_b64 s[2:3], s[22:23]
	s_cbranch_execnz .LBB1154_116
.LBB1154_59:
	s_or_b64 exec, exec, s[2:3]
                                        ; implicit-def: $vgpr16_vgpr17
	s_and_saveexec_b64 s[2:3], s[8:9]
	s_cbranch_execnz .LBB1154_117
.LBB1154_60:
	s_or_b64 exec, exec, s[2:3]
                                        ; implicit-def: $vgpr18_vgpr19
	s_and_saveexec_b64 s[2:3], s[10:11]
	s_cbranch_execnz .LBB1154_118
.LBB1154_61:
	s_or_b64 exec, exec, s[2:3]
                                        ; implicit-def: $vgpr20_vgpr21
	s_and_saveexec_b64 s[2:3], s[12:13]
	s_cbranch_execz .LBB1154_63
.LBB1154_62:
	global_load_dwordx2 v[20:21], v[22:23], off offset:2560
.LBB1154_63:
	s_or_b64 exec, exec, s[2:3]
	s_mov_b32 s8, 0
	v_mov_b32_e32 v23, 0
	s_movk_i32 s9, 0x400
	s_mov_b32 s10, 0
	v_mov_b32_e32 v9, v8
	s_waitcnt vmcnt(0)
	s_branch .LBB1154_65
.LBB1154_64:                            ;   in Loop: Header=BB1154_65 Depth=1
	s_or_b64 exec, exec, s[2:3]
	s_addk_i32 s10, 0xf800
	s_add_i32 s8, s8, 2
	s_cmpk_eq_i32 s10, 0xe800
	v_add_u32_e32 v9, 0x800, v9
	s_barrier
	s_cbranch_scc1 .LBB1154_69
.LBB1154_65:                            ; =>This Inner Loop Header: Depth=1
	v_add_u32_e32 v22, s10, v31
	v_min_u32_e32 v22, 0x800, v22
	v_lshlrev_b32_e32 v22, 3, v22
	ds_write_b64 v22, v[10:11] offset:1024
	v_add_u32_e32 v22, s10, v25
	v_min_u32_e32 v22, 0x800, v22
	v_lshlrev_b32_e32 v22, 3, v22
	ds_write_b64 v22, v[12:13] offset:1024
	;; [unrolled: 4-line block ×5, first 2 shown]
	v_add_u32_e32 v22, s10, v37
	v_min_u32_e32 v22, 0x800, v22
	v_lshlrev_b32_e32 v22, 3, v22
	v_cmp_gt_u32_e32 vcc, s7, v9
	ds_write_b64 v22, v[20:21] offset:1024
	s_waitcnt lgkmcnt(0)
	s_barrier
	s_and_saveexec_b64 s[2:3], vcc
	s_cbranch_execz .LBB1154_67
; %bb.66:                               ;   in Loop: Header=BB1154_65 Depth=1
	s_cmp_eq_u32 s8, 1
	s_cselect_b64 vcc, -1, 0
	s_cmp_eq_u32 s8, 2
	v_cndmask_b32_e32 v22, v2, v3, vcc
	s_cselect_b64 vcc, -1, 0
	s_cmp_eq_u32 s8, 3
	v_cndmask_b32_e32 v22, v22, v4, vcc
	s_cselect_b64 vcc, -1, 0
	s_cmp_eq_u32 s8, 4
	v_cndmask_b32_e32 v22, v22, v5, vcc
	s_cselect_b64 vcc, -1, 0
	s_cmp_eq_u32 s8, 5
	v_cndmask_b32_e32 v22, v22, v6, vcc
	s_cselect_b64 vcc, -1, 0
	v_cndmask_b32_e32 v22, v22, v7, vcc
	v_lshlrev_b32_e32 v22, 2, v22
	ds_read_b32 v22, v22
	ds_read_b64 v[38:39], v34 offset:1024
	s_waitcnt lgkmcnt(1)
	v_add_u32_e32 v22, v9, v22
	v_lshlrev_b64 v[40:41], 3, v[22:23]
	v_mov_b32_e32 v22, s43
	v_add_co_u32_e32 v40, vcc, s42, v40
	v_addc_co_u32_e32 v41, vcc, v22, v41, vcc
	s_waitcnt lgkmcnt(0)
	global_store_dwordx2 v[40:41], v[38:39], off
.LBB1154_67:                            ;   in Loop: Header=BB1154_65 Depth=1
	s_or_b64 exec, exec, s[2:3]
	v_add_u32_e32 v22, 0x400, v9
	v_cmp_gt_u32_e32 vcc, s7, v22
	s_and_saveexec_b64 s[2:3], vcc
	s_cbranch_execz .LBB1154_64
; %bb.68:                               ;   in Loop: Header=BB1154_65 Depth=1
	s_add_i32 s11, s8, 1
	s_cmp_eq_u32 s11, 1
	s_cselect_b64 vcc, -1, 0
	s_cmp_eq_u32 s11, 2
	v_cndmask_b32_e32 v22, v2, v3, vcc
	s_cselect_b64 vcc, -1, 0
	s_cmp_eq_u32 s11, 3
	v_cndmask_b32_e32 v22, v22, v4, vcc
	;; [unrolled: 3-line block ×4, first 2 shown]
	s_cselect_b64 vcc, -1, 0
	v_cndmask_b32_e32 v22, v22, v7, vcc
	v_lshlrev_b32_e32 v22, 2, v22
	ds_read_b32 v22, v22
	ds_read_b64 v[38:39], v35 offset:8192
	s_waitcnt lgkmcnt(1)
	v_add3_u32 v22, v9, v22, s9
	v_lshlrev_b64 v[40:41], 3, v[22:23]
	v_mov_b32_e32 v22, s43
	v_add_co_u32_e32 v40, vcc, s42, v40
	v_addc_co_u32_e32 v41, vcc, v22, v41, vcc
	s_waitcnt lgkmcnt(0)
	global_store_dwordx2 v[40:41], v[38:39], off
	s_branch .LBB1154_64
.LBB1154_69:
	s_add_i32 s35, s35, -1
	s_cmp_eq_u32 s35, s33
	s_cselect_b64 s[2:3], -1, 0
	s_and_b64 s[8:9], s[14:15], s[2:3]
	s_mov_b64 s[2:3], 0
	s_mov_b64 s[10:11], 0
                                        ; implicit-def: $vgpr2
	s_and_saveexec_b64 s[12:13], s[8:9]
	s_xor_b64 s[8:9], exec, s[12:13]
; %bb.70:
	s_mov_b64 s[10:11], exec
	v_add_u32_e32 v2, v27, v28
; %bb.71:
	s_or_b64 exec, exec, s[8:9]
	s_and_b64 vcc, exec, s[2:3]
	s_cbranch_vccz .LBB1154_111
.LBB1154_72:
	s_mov_b32 s35, 0
	v_mbcnt_hi_u32_b32 v18, -1, v1
	s_lshl_b64 s[12:13], s[34:35], 3
	v_and_b32_e32 v1, 63, v18
	s_add_u32 s2, s36, s12
	v_lshlrev_b32_e32 v9, 3, v1
	v_add_co_u32_e32 v3, vcc, s2, v9
	s_load_dword s16, s[4:5], 0x58
	s_load_dword s2, s[4:5], 0x64
	s_addc_u32 s3, s37, s13
	v_and_b32_e32 v2, 0x3c0, v8
	v_mul_u32_u24_e32 v2, 6, v2
	v_mov_b32_e32 v1, s3
	v_addc_co_u32_e32 v1, vcc, 0, v1, vcc
	v_lshlrev_b32_e32 v20, 3, v2
	s_add_u32 s3, s4, 0x58
	v_add_co_u32_e32 v16, vcc, v3, v20
	s_addc_u32 s4, s5, 0
	s_waitcnt lgkmcnt(0)
	s_lshr_b32 s5, s2, 16
	v_addc_co_u32_e32 v17, vcc, 0, v1, vcc
	s_cmp_lt_u32 s6, s16
	global_load_dwordx2 v[2:3], v[16:17], off
	s_cselect_b32 s2, 12, 18
	s_add_u32 s2, s3, s2
	v_mov_b32_e32 v14, 0
	s_addc_u32 s3, s4, 0
	global_load_ushort v15, v14, s[2:3]
	v_mul_u32_u24_e32 v4, 5, v8
	v_lshlrev_b32_e32 v19, 2, v4
	v_bfe_u32 v1, v0, 10, 10
	v_bfe_u32 v0, v0, 20, 10
	ds_write2_b32 v19, v14, v14 offset0:16 offset1:17
	ds_write2_b32 v19, v14, v14 offset0:18 offset1:19
	ds_write_b32 v19, v14 offset:80
	v_mad_u32_u24 v21, v0, s5, v1
	global_load_dwordx2 v[0:1], v[16:17], off offset:512
	global_load_dwordx2 v[4:5], v[16:17], off offset:1024
	;; [unrolled: 1-line block ×5, first 2 shown]
	s_lshl_b32 s2, -1, s45
	s_not_b32 s17, s2
	s_waitcnt lgkmcnt(0)
	s_barrier
	s_waitcnt lgkmcnt(0)
	; wave barrier
	s_waitcnt vmcnt(6)
	v_xor_b32_e32 v3, 0x80000000, v3
	v_lshrrev_b64 v[16:17], s44, v[2:3]
	v_and_b32_e32 v22, s17, v16
	s_waitcnt vmcnt(5)
	v_mad_u64_u32 v[16:17], s[2:3], v21, v15, v[8:9]
	v_and_b32_e32 v21, 1, v22
	v_lshrrev_b32_e32 v29, 6, v16
	v_add_co_u32_e32 v16, vcc, -1, v21
	v_lshlrev_b32_e32 v15, 30, v22
	v_addc_co_u32_e64 v24, s[2:3], 0, -1, vcc
	v_lshl_add_u32 v17, v22, 4, v22
	v_cmp_ne_u32_e32 vcc, 0, v21
	v_cmp_gt_i64_e64 s[2:3], 0, v[14:15]
	v_not_b32_e32 v21, v15
	v_lshlrev_b32_e32 v15, 29, v22
	v_add_lshl_u32 v23, v29, v17, 2
	v_xor_b32_e32 v17, vcc_hi, v24
	v_xor_b32_e32 v16, vcc_lo, v16
	v_ashrrev_i32_e32 v21, 31, v21
	v_cmp_gt_i64_e32 vcc, 0, v[14:15]
	v_not_b32_e32 v24, v15
	v_lshlrev_b32_e32 v15, 28, v22
	v_and_b32_e32 v17, exec_hi, v17
	v_and_b32_e32 v16, exec_lo, v16
	v_xor_b32_e32 v25, s3, v21
	v_xor_b32_e32 v21, s2, v21
	v_ashrrev_i32_e32 v24, 31, v24
	v_cmp_gt_i64_e64 s[2:3], 0, v[14:15]
	v_not_b32_e32 v26, v15
	v_lshlrev_b32_e32 v15, 27, v22
	v_and_b32_e32 v17, v17, v25
	v_and_b32_e32 v16, v16, v21
	v_xor_b32_e32 v21, vcc_hi, v24
	v_xor_b32_e32 v24, vcc_lo, v24
	v_ashrrev_i32_e32 v25, 31, v26
	v_cmp_gt_i64_e32 vcc, 0, v[14:15]
	v_not_b32_e32 v15, v15
	v_and_b32_e32 v17, v17, v21
	v_and_b32_e32 v16, v16, v24
	v_xor_b32_e32 v21, s3, v25
	v_xor_b32_e32 v24, s2, v25
	v_ashrrev_i32_e32 v15, 31, v15
	v_and_b32_e32 v17, v17, v21
	v_and_b32_e32 v16, v16, v24
	v_xor_b32_e32 v21, vcc_hi, v15
	v_xor_b32_e32 v15, vcc_lo, v15
	v_and_b32_e32 v16, v16, v15
	v_lshlrev_b32_e32 v15, 26, v22
	v_cmp_gt_i64_e32 vcc, 0, v[14:15]
	v_not_b32_e32 v15, v15
	v_ashrrev_i32_e32 v15, 31, v15
	v_and_b32_e32 v17, v17, v21
	v_xor_b32_e32 v21, vcc_hi, v15
	v_xor_b32_e32 v15, vcc_lo, v15
	v_and_b32_e32 v16, v16, v15
	v_lshlrev_b32_e32 v15, 25, v22
	v_cmp_gt_i64_e32 vcc, 0, v[14:15]
	v_not_b32_e32 v15, v15
	v_ashrrev_i32_e32 v15, 31, v15
	;; [unrolled: 8-line block ×3, first 2 shown]
	v_and_b32_e32 v17, v17, v21
	v_xor_b32_e32 v21, vcc_hi, v15
	v_xor_b32_e32 v15, vcc_lo, v15
	v_and_b32_e32 v16, v16, v15
	v_and_b32_e32 v17, v17, v21
	v_mbcnt_lo_u32_b32 v15, v16, 0
	v_mbcnt_hi_u32_b32 v21, v17, v15
	v_cmp_eq_u32_e32 vcc, 0, v21
	v_cmp_ne_u64_e64 s[2:3], 0, v[16:17]
	s_and_b64 s[4:5], s[2:3], vcc
	s_and_saveexec_b64 s[2:3], s[4:5]
	s_cbranch_execz .LBB1154_74
; %bb.73:
	v_bcnt_u32_b32 v15, v16, 0
	v_bcnt_u32_b32 v15, v17, v15
	ds_write_b32 v23, v15 offset:64
.LBB1154_74:
	s_or_b64 exec, exec, s[2:3]
	s_waitcnt vmcnt(4)
	v_xor_b32_e32 v1, 0x80000000, v1
	v_lshrrev_b64 v[16:17], s44, v[0:1]
	v_and_b32_e32 v16, s17, v16
	v_lshl_add_u32 v15, v16, 4, v16
	v_add_lshl_u32 v26, v29, v15, 2
	v_and_b32_e32 v15, 1, v16
	v_add_co_u32_e32 v17, vcc, -1, v15
	v_addc_co_u32_e64 v24, s[2:3], 0, -1, vcc
	v_cmp_ne_u32_e32 vcc, 0, v15
	v_xor_b32_e32 v15, vcc_hi, v24
	v_and_b32_e32 v24, exec_hi, v15
	v_lshlrev_b32_e32 v15, 30, v16
	v_xor_b32_e32 v17, vcc_lo, v17
	v_cmp_gt_i64_e32 vcc, 0, v[14:15]
	v_not_b32_e32 v15, v15
	v_ashrrev_i32_e32 v15, 31, v15
	v_and_b32_e32 v17, exec_lo, v17
	v_xor_b32_e32 v25, vcc_hi, v15
	v_xor_b32_e32 v15, vcc_lo, v15
	v_and_b32_e32 v17, v17, v15
	v_lshlrev_b32_e32 v15, 29, v16
	v_cmp_gt_i64_e32 vcc, 0, v[14:15]
	v_not_b32_e32 v15, v15
	v_ashrrev_i32_e32 v15, 31, v15
	v_and_b32_e32 v24, v24, v25
	v_xor_b32_e32 v25, vcc_hi, v15
	v_xor_b32_e32 v15, vcc_lo, v15
	v_and_b32_e32 v17, v17, v15
	v_lshlrev_b32_e32 v15, 28, v16
	v_cmp_gt_i64_e32 vcc, 0, v[14:15]
	v_not_b32_e32 v15, v15
	v_ashrrev_i32_e32 v15, 31, v15
	v_and_b32_e32 v24, v24, v25
	;; [unrolled: 8-line block ×5, first 2 shown]
	v_xor_b32_e32 v25, vcc_hi, v15
	v_xor_b32_e32 v15, vcc_lo, v15
	v_and_b32_e32 v17, v17, v15
	v_lshlrev_b32_e32 v15, 24, v16
	v_cmp_gt_i64_e32 vcc, 0, v[14:15]
	v_not_b32_e32 v14, v15
	v_ashrrev_i32_e32 v14, 31, v14
	v_xor_b32_e32 v15, vcc_hi, v14
	v_xor_b32_e32 v14, vcc_lo, v14
	; wave barrier
	ds_read_b32 v22, v26 offset:64
	v_and_b32_e32 v24, v24, v25
	v_and_b32_e32 v14, v17, v14
	;; [unrolled: 1-line block ×3, first 2 shown]
	v_mbcnt_lo_u32_b32 v16, v14, 0
	v_mbcnt_hi_u32_b32 v24, v15, v16
	v_cmp_eq_u32_e32 vcc, 0, v24
	v_cmp_ne_u64_e64 s[2:3], 0, v[14:15]
	s_and_b64 s[4:5], s[2:3], vcc
	; wave barrier
	s_and_saveexec_b64 s[2:3], s[4:5]
	s_cbranch_execz .LBB1154_76
; %bb.75:
	v_bcnt_u32_b32 v14, v14, 0
	v_bcnt_u32_b32 v14, v15, v14
	s_waitcnt lgkmcnt(0)
	v_add_u32_e32 v14, v22, v14
	ds_write_b32 v26, v14 offset:64
.LBB1154_76:
	s_or_b64 exec, exec, s[2:3]
	s_waitcnt vmcnt(3)
	v_xor_b32_e32 v5, 0x80000000, v5
	v_lshrrev_b64 v[14:15], s44, v[4:5]
	v_and_b32_e32 v16, s17, v14
	v_and_b32_e32 v15, 1, v16
	v_add_co_u32_e32 v17, vcc, -1, v15
	v_addc_co_u32_e64 v27, s[2:3], 0, -1, vcc
	v_cmp_ne_u32_e32 vcc, 0, v15
	v_lshl_add_u32 v14, v16, 4, v16
	v_xor_b32_e32 v15, vcc_hi, v27
	v_add_lshl_u32 v30, v29, v14, 2
	v_mov_b32_e32 v14, 0
	v_and_b32_e32 v27, exec_hi, v15
	v_lshlrev_b32_e32 v15, 30, v16
	v_xor_b32_e32 v17, vcc_lo, v17
	v_cmp_gt_i64_e32 vcc, 0, v[14:15]
	v_not_b32_e32 v15, v15
	v_ashrrev_i32_e32 v15, 31, v15
	v_and_b32_e32 v17, exec_lo, v17
	v_xor_b32_e32 v28, vcc_hi, v15
	v_xor_b32_e32 v15, vcc_lo, v15
	v_and_b32_e32 v17, v17, v15
	v_lshlrev_b32_e32 v15, 29, v16
	v_cmp_gt_i64_e32 vcc, 0, v[14:15]
	v_not_b32_e32 v15, v15
	v_ashrrev_i32_e32 v15, 31, v15
	v_and_b32_e32 v27, v27, v28
	v_xor_b32_e32 v28, vcc_hi, v15
	v_xor_b32_e32 v15, vcc_lo, v15
	v_and_b32_e32 v17, v17, v15
	v_lshlrev_b32_e32 v15, 28, v16
	v_cmp_gt_i64_e32 vcc, 0, v[14:15]
	v_not_b32_e32 v15, v15
	v_ashrrev_i32_e32 v15, 31, v15
	v_and_b32_e32 v27, v27, v28
	;; [unrolled: 8-line block ×5, first 2 shown]
	v_xor_b32_e32 v28, vcc_hi, v15
	v_xor_b32_e32 v15, vcc_lo, v15
	v_and_b32_e32 v27, v27, v28
	v_and_b32_e32 v28, v17, v15
	v_lshlrev_b32_e32 v15, 24, v16
	v_cmp_gt_i64_e32 vcc, 0, v[14:15]
	v_not_b32_e32 v15, v15
	v_ashrrev_i32_e32 v15, 31, v15
	v_xor_b32_e32 v16, vcc_hi, v15
	v_xor_b32_e32 v15, vcc_lo, v15
	; wave barrier
	ds_read_b32 v25, v30 offset:64
	v_and_b32_e32 v17, v27, v16
	v_and_b32_e32 v16, v28, v15
	v_mbcnt_lo_u32_b32 v15, v16, 0
	v_mbcnt_hi_u32_b32 v27, v17, v15
	v_cmp_eq_u32_e32 vcc, 0, v27
	v_cmp_ne_u64_e64 s[2:3], 0, v[16:17]
	s_and_b64 s[4:5], s[2:3], vcc
	; wave barrier
	s_and_saveexec_b64 s[2:3], s[4:5]
	s_cbranch_execz .LBB1154_78
; %bb.77:
	v_bcnt_u32_b32 v15, v16, 0
	v_bcnt_u32_b32 v15, v17, v15
	s_waitcnt lgkmcnt(0)
	v_add_u32_e32 v15, v25, v15
	ds_write_b32 v30, v15 offset:64
.LBB1154_78:
	s_or_b64 exec, exec, s[2:3]
	s_waitcnt vmcnt(2)
	v_xor_b32_e32 v7, 0x80000000, v7
	v_lshrrev_b64 v[16:17], s44, v[6:7]
	v_and_b32_e32 v16, s17, v16
	v_lshl_add_u32 v15, v16, 4, v16
	v_add_lshl_u32 v33, v29, v15, 2
	v_and_b32_e32 v15, 1, v16
	v_add_co_u32_e32 v17, vcc, -1, v15
	v_addc_co_u32_e64 v31, s[2:3], 0, -1, vcc
	v_cmp_ne_u32_e32 vcc, 0, v15
	v_xor_b32_e32 v15, vcc_hi, v31
	v_and_b32_e32 v31, exec_hi, v15
	v_lshlrev_b32_e32 v15, 30, v16
	v_xor_b32_e32 v17, vcc_lo, v17
	v_cmp_gt_i64_e32 vcc, 0, v[14:15]
	v_not_b32_e32 v15, v15
	v_ashrrev_i32_e32 v15, 31, v15
	v_and_b32_e32 v17, exec_lo, v17
	v_xor_b32_e32 v32, vcc_hi, v15
	v_xor_b32_e32 v15, vcc_lo, v15
	v_and_b32_e32 v17, v17, v15
	v_lshlrev_b32_e32 v15, 29, v16
	v_cmp_gt_i64_e32 vcc, 0, v[14:15]
	v_not_b32_e32 v15, v15
	v_ashrrev_i32_e32 v15, 31, v15
	v_and_b32_e32 v31, v31, v32
	v_xor_b32_e32 v32, vcc_hi, v15
	v_xor_b32_e32 v15, vcc_lo, v15
	v_and_b32_e32 v17, v17, v15
	v_lshlrev_b32_e32 v15, 28, v16
	v_cmp_gt_i64_e32 vcc, 0, v[14:15]
	v_not_b32_e32 v15, v15
	v_ashrrev_i32_e32 v15, 31, v15
	v_and_b32_e32 v31, v31, v32
	;; [unrolled: 8-line block ×5, first 2 shown]
	v_xor_b32_e32 v32, vcc_hi, v15
	v_xor_b32_e32 v15, vcc_lo, v15
	v_and_b32_e32 v17, v17, v15
	v_lshlrev_b32_e32 v15, 24, v16
	v_cmp_gt_i64_e32 vcc, 0, v[14:15]
	v_not_b32_e32 v14, v15
	v_ashrrev_i32_e32 v14, 31, v14
	v_xor_b32_e32 v15, vcc_hi, v14
	v_xor_b32_e32 v14, vcc_lo, v14
	; wave barrier
	ds_read_b32 v28, v33 offset:64
	v_and_b32_e32 v31, v31, v32
	v_and_b32_e32 v14, v17, v14
	;; [unrolled: 1-line block ×3, first 2 shown]
	v_mbcnt_lo_u32_b32 v16, v14, 0
	v_mbcnt_hi_u32_b32 v31, v15, v16
	v_cmp_eq_u32_e32 vcc, 0, v31
	v_cmp_ne_u64_e64 s[2:3], 0, v[14:15]
	s_and_b64 s[4:5], s[2:3], vcc
	; wave barrier
	s_and_saveexec_b64 s[2:3], s[4:5]
	s_cbranch_execz .LBB1154_80
; %bb.79:
	v_bcnt_u32_b32 v14, v14, 0
	v_bcnt_u32_b32 v14, v15, v14
	s_waitcnt lgkmcnt(0)
	v_add_u32_e32 v14, v28, v14
	ds_write_b32 v33, v14 offset:64
.LBB1154_80:
	s_or_b64 exec, exec, s[2:3]
	s_waitcnt vmcnt(1)
	v_xor_b32_e32 v11, 0x80000000, v11
	v_lshrrev_b64 v[14:15], s44, v[10:11]
	v_and_b32_e32 v16, s17, v14
	v_and_b32_e32 v15, 1, v16
	v_add_co_u32_e32 v17, vcc, -1, v15
	v_addc_co_u32_e64 v34, s[2:3], 0, -1, vcc
	v_cmp_ne_u32_e32 vcc, 0, v15
	v_lshl_add_u32 v14, v16, 4, v16
	v_xor_b32_e32 v15, vcc_hi, v34
	v_add_lshl_u32 v35, v29, v14, 2
	v_mov_b32_e32 v14, 0
	v_and_b32_e32 v34, exec_hi, v15
	v_lshlrev_b32_e32 v15, 30, v16
	v_xor_b32_e32 v17, vcc_lo, v17
	v_cmp_gt_i64_e32 vcc, 0, v[14:15]
	v_not_b32_e32 v15, v15
	v_ashrrev_i32_e32 v15, 31, v15
	v_and_b32_e32 v17, exec_lo, v17
	v_xor_b32_e32 v36, vcc_hi, v15
	v_xor_b32_e32 v15, vcc_lo, v15
	v_and_b32_e32 v17, v17, v15
	v_lshlrev_b32_e32 v15, 29, v16
	v_cmp_gt_i64_e32 vcc, 0, v[14:15]
	v_not_b32_e32 v15, v15
	v_ashrrev_i32_e32 v15, 31, v15
	v_and_b32_e32 v34, v34, v36
	v_xor_b32_e32 v36, vcc_hi, v15
	v_xor_b32_e32 v15, vcc_lo, v15
	v_and_b32_e32 v17, v17, v15
	v_lshlrev_b32_e32 v15, 28, v16
	v_cmp_gt_i64_e32 vcc, 0, v[14:15]
	v_not_b32_e32 v15, v15
	v_ashrrev_i32_e32 v15, 31, v15
	v_and_b32_e32 v34, v34, v36
	;; [unrolled: 8-line block ×5, first 2 shown]
	v_xor_b32_e32 v36, vcc_hi, v15
	v_xor_b32_e32 v15, vcc_lo, v15
	v_and_b32_e32 v34, v34, v36
	v_and_b32_e32 v36, v17, v15
	v_lshlrev_b32_e32 v15, 24, v16
	v_cmp_gt_i64_e32 vcc, 0, v[14:15]
	v_not_b32_e32 v15, v15
	v_ashrrev_i32_e32 v15, 31, v15
	v_xor_b32_e32 v16, vcc_hi, v15
	v_xor_b32_e32 v15, vcc_lo, v15
	; wave barrier
	ds_read_b32 v32, v35 offset:64
	v_and_b32_e32 v17, v34, v16
	v_and_b32_e32 v16, v36, v15
	v_mbcnt_lo_u32_b32 v15, v16, 0
	v_mbcnt_hi_u32_b32 v34, v17, v15
	v_cmp_eq_u32_e32 vcc, 0, v34
	v_cmp_ne_u64_e64 s[2:3], 0, v[16:17]
	s_and_b64 s[4:5], s[2:3], vcc
	; wave barrier
	s_and_saveexec_b64 s[2:3], s[4:5]
	s_cbranch_execz .LBB1154_82
; %bb.81:
	v_bcnt_u32_b32 v15, v16, 0
	v_bcnt_u32_b32 v15, v17, v15
	s_waitcnt lgkmcnt(0)
	v_add_u32_e32 v15, v32, v15
	ds_write_b32 v35, v15 offset:64
.LBB1154_82:
	s_or_b64 exec, exec, s[2:3]
	s_waitcnt vmcnt(0)
	v_xor_b32_e32 v13, 0x80000000, v13
	v_lshrrev_b64 v[16:17], s44, v[12:13]
	v_and_b32_e32 v16, s17, v16
	v_lshl_add_u32 v15, v16, 4, v16
	v_add_lshl_u32 v38, v29, v15, 2
	v_and_b32_e32 v15, 1, v16
	v_add_co_u32_e32 v17, vcc, -1, v15
	v_addc_co_u32_e64 v36, s[2:3], 0, -1, vcc
	v_cmp_ne_u32_e32 vcc, 0, v15
	v_xor_b32_e32 v15, vcc_hi, v36
	v_and_b32_e32 v36, exec_hi, v15
	v_lshlrev_b32_e32 v15, 30, v16
	v_xor_b32_e32 v17, vcc_lo, v17
	v_cmp_gt_i64_e32 vcc, 0, v[14:15]
	v_not_b32_e32 v15, v15
	v_ashrrev_i32_e32 v15, 31, v15
	v_and_b32_e32 v17, exec_lo, v17
	v_xor_b32_e32 v39, vcc_hi, v15
	v_xor_b32_e32 v15, vcc_lo, v15
	v_and_b32_e32 v17, v17, v15
	v_lshlrev_b32_e32 v15, 29, v16
	v_cmp_gt_i64_e32 vcc, 0, v[14:15]
	v_not_b32_e32 v15, v15
	v_ashrrev_i32_e32 v15, 31, v15
	v_and_b32_e32 v36, v36, v39
	v_xor_b32_e32 v39, vcc_hi, v15
	v_xor_b32_e32 v15, vcc_lo, v15
	v_and_b32_e32 v17, v17, v15
	v_lshlrev_b32_e32 v15, 28, v16
	v_cmp_gt_i64_e32 vcc, 0, v[14:15]
	v_not_b32_e32 v15, v15
	v_ashrrev_i32_e32 v15, 31, v15
	v_and_b32_e32 v36, v36, v39
	;; [unrolled: 8-line block ×5, first 2 shown]
	v_xor_b32_e32 v39, vcc_hi, v15
	v_xor_b32_e32 v15, vcc_lo, v15
	v_and_b32_e32 v17, v17, v15
	v_lshlrev_b32_e32 v15, 24, v16
	v_cmp_gt_i64_e32 vcc, 0, v[14:15]
	v_not_b32_e32 v14, v15
	v_ashrrev_i32_e32 v14, 31, v14
	v_xor_b32_e32 v15, vcc_hi, v14
	v_xor_b32_e32 v14, vcc_lo, v14
	; wave barrier
	ds_read_b32 v29, v38 offset:64
	v_and_b32_e32 v36, v36, v39
	v_and_b32_e32 v14, v17, v14
	;; [unrolled: 1-line block ×3, first 2 shown]
	v_mbcnt_lo_u32_b32 v16, v14, 0
	v_mbcnt_hi_u32_b32 v36, v15, v16
	v_cmp_eq_u32_e32 vcc, 0, v36
	v_cmp_ne_u64_e64 s[2:3], 0, v[14:15]
	v_add_u32_e32 v37, 64, v19
	s_and_b64 s[4:5], s[2:3], vcc
	; wave barrier
	s_and_saveexec_b64 s[2:3], s[4:5]
	s_cbranch_execz .LBB1154_84
; %bb.83:
	v_bcnt_u32_b32 v14, v14, 0
	v_bcnt_u32_b32 v14, v15, v14
	s_waitcnt lgkmcnt(0)
	v_add_u32_e32 v14, v29, v14
	ds_write_b32 v38, v14 offset:64
.LBB1154_84:
	s_or_b64 exec, exec, s[2:3]
	; wave barrier
	s_waitcnt lgkmcnt(0)
	s_barrier
	ds_read2_b32 v[16:17], v19 offset0:16 offset1:17
	ds_read2_b32 v[14:15], v37 offset0:2 offset1:3
	ds_read_b32 v39, v37 offset:16
	v_cmp_lt_u32_e64 s[8:9], 31, v18
	s_waitcnt lgkmcnt(1)
	v_add3_u32 v40, v17, v16, v14
	s_waitcnt lgkmcnt(0)
	v_add3_u32 v39, v40, v15, v39
	v_and_b32_e32 v40, 15, v18
	v_cmp_eq_u32_e32 vcc, 0, v40
	v_mov_b32_dpp v41, v39 row_shr:1 row_mask:0xf bank_mask:0xf
	v_cndmask_b32_e64 v41, v41, 0, vcc
	v_add_u32_e32 v39, v41, v39
	v_cmp_lt_u32_e64 s[2:3], 1, v40
	v_cmp_lt_u32_e64 s[4:5], 3, v40
	v_mov_b32_dpp v41, v39 row_shr:2 row_mask:0xf bank_mask:0xf
	v_cndmask_b32_e64 v41, 0, v41, s[2:3]
	v_add_u32_e32 v39, v39, v41
	v_cmp_lt_u32_e64 s[6:7], 7, v40
	s_nop 0
	v_mov_b32_dpp v41, v39 row_shr:4 row_mask:0xf bank_mask:0xf
	v_cndmask_b32_e64 v41, 0, v41, s[4:5]
	v_add_u32_e32 v39, v39, v41
	s_nop 1
	v_mov_b32_dpp v41, v39 row_shr:8 row_mask:0xf bank_mask:0xf
	v_cndmask_b32_e64 v40, 0, v41, s[6:7]
	v_add_u32_e32 v39, v39, v40
	v_bfe_i32 v41, v18, 4, 1
	s_nop 0
	v_mov_b32_dpp v40, v39 row_bcast:15 row_mask:0xf bank_mask:0xf
	v_and_b32_e32 v40, v41, v40
	v_add_u32_e32 v39, v39, v40
	v_and_b32_e32 v41, 63, v8
	s_nop 0
	v_mov_b32_dpp v40, v39 row_bcast:31 row_mask:0xf bank_mask:0xf
	v_cndmask_b32_e64 v40, 0, v40, s[8:9]
	v_add_u32_e32 v39, v39, v40
	v_lshrrev_b32_e32 v40, 6, v8
	v_cmp_eq_u32_e64 s[8:9], 63, v41
	s_and_saveexec_b64 s[14:15], s[8:9]
	s_cbranch_execz .LBB1154_86
; %bb.85:
	v_lshlrev_b32_e32 v41, 2, v40
	ds_write_b32 v41, v39
.LBB1154_86:
	s_or_b64 exec, exec, s[14:15]
	v_cmp_gt_u32_e64 s[8:9], 16, v8
	s_waitcnt lgkmcnt(0)
	s_barrier
	s_and_saveexec_b64 s[14:15], s[8:9]
	s_cbranch_execz .LBB1154_88
; %bb.87:
	v_lshlrev_b32_e32 v41, 2, v8
	ds_read_b32 v42, v41
	s_waitcnt lgkmcnt(0)
	s_nop 0
	v_mov_b32_dpp v43, v42 row_shr:1 row_mask:0xf bank_mask:0xf
	v_cndmask_b32_e64 v43, v43, 0, vcc
	v_add_u32_e32 v42, v43, v42
	s_nop 1
	v_mov_b32_dpp v43, v42 row_shr:2 row_mask:0xf bank_mask:0xf
	v_cndmask_b32_e64 v43, 0, v43, s[2:3]
	v_add_u32_e32 v42, v42, v43
	s_nop 1
	v_mov_b32_dpp v43, v42 row_shr:4 row_mask:0xf bank_mask:0xf
	v_cndmask_b32_e64 v43, 0, v43, s[4:5]
	;; [unrolled: 4-line block ×3, first 2 shown]
	v_add_u32_e32 v42, v42, v43
	ds_write_b32 v41, v42
.LBB1154_88:
	s_or_b64 exec, exec, s[14:15]
	v_cmp_lt_u32_e32 vcc, 63, v8
	v_mov_b32_e32 v41, 0
	s_waitcnt lgkmcnt(0)
	s_barrier
	s_and_saveexec_b64 s[2:3], vcc
	s_cbranch_execz .LBB1154_90
; %bb.89:
	v_lshl_add_u32 v40, v40, 2, -4
	ds_read_b32 v41, v40
.LBB1154_90:
	s_or_b64 exec, exec, s[2:3]
	v_add_u32_e32 v40, -1, v18
	v_and_b32_e32 v42, 64, v18
	v_cmp_lt_i32_e32 vcc, v40, v42
	v_cndmask_b32_e32 v40, v40, v18, vcc
	s_waitcnt lgkmcnt(0)
	v_add_u32_e32 v39, v41, v39
	v_lshlrev_b32_e32 v40, 2, v40
	ds_bpermute_b32 v39, v40, v39
	v_cmp_eq_u32_e32 vcc, 0, v18
	s_waitcnt lgkmcnt(0)
	v_cndmask_b32_e32 v18, v39, v41, vcc
	v_cndmask_b32_e64 v18, v18, 0, s[0:1]
	v_add_u32_e32 v16, v18, v16
	v_add_u32_e32 v17, v16, v17
	;; [unrolled: 1-line block ×4, first 2 shown]
	ds_write2_b32 v19, v18, v16 offset0:16 offset1:17
	ds_write2_b32 v37, v17, v14 offset0:2 offset1:3
	ds_write_b32 v37, v15 offset:16
	s_waitcnt lgkmcnt(0)
	s_barrier
	ds_read_b32 v39, v23 offset:64
	ds_read_b32 v37, v26 offset:64
	ds_read_b32 v30, v30 offset:64
	ds_read_b32 v33, v33 offset:64
	ds_read_b32 v35, v35 offset:64
	ds_read_b32 v38, v38 offset:64
	s_movk_i32 s0, 0x100
	v_cmp_gt_u32_e32 vcc, s0, v8
                                        ; implicit-def: $vgpr23
                                        ; implicit-def: $vgpr26
	s_and_saveexec_b64 s[2:3], vcc
	s_cbranch_execz .LBB1154_94
; %bb.91:
	v_mul_u32_u24_e32 v14, 17, v8
	v_lshlrev_b32_e32 v15, 2, v14
	ds_read_b32 v23, v15 offset:64
	s_movk_i32 s0, 0xff
	v_cmp_ne_u32_e64 s[0:1], s0, v8
	v_mov_b32_e32 v14, 0x1800
	s_and_saveexec_b64 s[4:5], s[0:1]
	s_cbranch_execz .LBB1154_93
; %bb.92:
	ds_read_b32 v14, v15 offset:132
.LBB1154_93:
	s_or_b64 exec, exec, s[4:5]
	s_waitcnt lgkmcnt(0)
	v_sub_u32_e32 v26, v14, v23
.LBB1154_94:
	s_or_b64 exec, exec, s[2:3]
	s_waitcnt lgkmcnt(0)
	s_barrier
	s_and_saveexec_b64 s[2:3], vcc
	s_cbranch_execz .LBB1154_104
; %bb.95:
	v_lshl_or_b32 v14, s33, 8, v8
	v_mov_b32_e32 v15, 0
	v_lshlrev_b64 v[16:17], 2, v[14:15]
	v_mov_b32_e32 v40, s27
	v_add_co_u32_e64 v16, s[0:1], s26, v16
	v_addc_co_u32_e64 v17, s[0:1], v40, v17, s[0:1]
	v_or_b32_e32 v14, 2.0, v26
	s_mov_b64 s[4:5], 0
	s_brev_b32 s14, 1
	s_mov_b32 s15, s33
	v_mov_b32_e32 v41, 0
	global_store_dword v[16:17], v14, off
                                        ; implicit-def: $sgpr0_sgpr1
	s_branch .LBB1154_98
.LBB1154_96:                            ;   in Loop: Header=BB1154_98 Depth=1
	s_or_b64 exec, exec, s[8:9]
.LBB1154_97:                            ;   in Loop: Header=BB1154_98 Depth=1
	s_or_b64 exec, exec, s[6:7]
	v_and_b32_e32 v18, 0x3fffffff, v42
	v_add_u32_e32 v41, v18, v41
	v_cmp_eq_u32_e64 s[0:1], s14, v14
	s_and_b64 s[6:7], exec, s[0:1]
	s_or_b64 s[4:5], s[6:7], s[4:5]
	s_andn2_b64 exec, exec, s[4:5]
	s_cbranch_execz .LBB1154_103
.LBB1154_98:                            ; =>This Loop Header: Depth=1
                                        ;     Child Loop BB1154_101 Depth 2
	s_or_b64 s[0:1], s[0:1], exec
	s_cmp_eq_u32 s15, 0
	s_cbranch_scc1 .LBB1154_102
; %bb.99:                               ;   in Loop: Header=BB1154_98 Depth=1
	s_add_i32 s15, s15, -1
	v_lshl_or_b32 v14, s15, 8, v8
	v_lshlrev_b64 v[18:19], 2, v[14:15]
	v_add_co_u32_e64 v18, s[0:1], s26, v18
	v_addc_co_u32_e64 v19, s[0:1], v40, v19, s[0:1]
	global_load_dword v42, v[18:19], off glc
	s_waitcnt vmcnt(0)
	v_and_b32_e32 v14, -2.0, v42
	v_cmp_eq_u32_e64 s[0:1], 0, v14
	s_and_saveexec_b64 s[6:7], s[0:1]
	s_cbranch_execz .LBB1154_97
; %bb.100:                              ;   in Loop: Header=BB1154_98 Depth=1
	s_mov_b64 s[8:9], 0
.LBB1154_101:                           ;   Parent Loop BB1154_98 Depth=1
                                        ; =>  This Inner Loop Header: Depth=2
	global_load_dword v42, v[18:19], off glc
	s_waitcnt vmcnt(0)
	v_and_b32_e32 v14, -2.0, v42
	v_cmp_ne_u32_e64 s[0:1], 0, v14
	s_or_b64 s[8:9], s[0:1], s[8:9]
	s_andn2_b64 exec, exec, s[8:9]
	s_cbranch_execnz .LBB1154_101
	s_branch .LBB1154_96
.LBB1154_102:                           ;   in Loop: Header=BB1154_98 Depth=1
                                        ; implicit-def: $sgpr15
	s_and_b64 s[6:7], exec, s[0:1]
	s_or_b64 s[4:5], s[6:7], s[4:5]
	s_andn2_b64 exec, exec, s[4:5]
	s_cbranch_execnz .LBB1154_98
.LBB1154_103:
	s_or_b64 exec, exec, s[4:5]
	v_add_u32_e32 v14, v41, v26
	v_or_b32_e32 v14, 0x80000000, v14
	global_store_dword v[16:17], v14, off
	v_lshlrev_b32_e32 v14, 2, v8
	global_load_dword v15, v14, s[28:29]
	v_sub_u32_e32 v16, v41, v23
	s_waitcnt vmcnt(0)
	v_add_u32_e32 v15, v16, v15
	ds_write_b32 v14, v15
.LBB1154_104:
	s_or_b64 exec, exec, s[2:3]
	v_lshlrev_b32_e32 v17, 3, v8
	v_add_u32_e32 v16, v39, v21
	s_movk_i32 s2, 0x400
	v_add_u32_e32 v18, 0x400, v17
	v_add3_u32 v19, v36, v38, v29
	v_add3_u32 v21, v34, v35, v32
	;; [unrolled: 1-line block ×5, first 2 shown]
	s_mov_b32 s3, 0
	s_mov_b32 s4, 1
	v_mov_b32_e32 v33, s39
	v_mov_b32_e32 v15, 0
	;; [unrolled: 1-line block ×3, first 2 shown]
                                        ; implicit-def: $vgpr32
                                        ; implicit-def: $vgpr31
                                        ; implicit-def: $vgpr30
                                        ; implicit-def: $vgpr29
                                        ; implicit-def: $vgpr27
                                        ; implicit-def: $vgpr24
.LBB1154_105:                           ; =>This Inner Loop Header: Depth=1
	v_add_u32_e32 v14, s3, v16
	v_add_u32_e32 v36, s3, v25
	;; [unrolled: 1-line block ×6, first 2 shown]
	v_min_u32_e32 v14, 0x800, v14
	v_min_u32_e32 v36, 0x800, v36
	;; [unrolled: 1-line block ×6, first 2 shown]
	v_lshlrev_b32_e32 v14, 3, v14
	v_lshlrev_b32_e32 v36, 3, v36
	;; [unrolled: 1-line block ×6, first 2 shown]
	ds_write_b64 v14, v[2:3] offset:1024
	ds_write_b64 v35, v[0:1] offset:1024
	;; [unrolled: 1-line block ×6, first 2 shown]
	s_waitcnt lgkmcnt(0)
	s_barrier
	ds_read_b64 v[36:37], v17 offset:1024
	ds_read_b64 v[38:39], v18 offset:8192
	s_add_i32 s5, s4, -1
	s_cmp_eq_u32 s5, 0
	s_cselect_b64 s[0:1], -1, 0
	s_waitcnt lgkmcnt(1)
	v_lshrrev_b64 v[40:41], s44, v[36:37]
	v_and_b32_e32 v14, s17, v40
	s_cmp_eq_u32 s5, 1
	s_waitcnt lgkmcnt(0)
	v_lshrrev_b64 v[42:43], s44, v[38:39]
	v_cndmask_b32_e64 v32, v32, v14, s[0:1]
	s_cselect_b64 s[0:1], -1, 0
	s_cmp_eq_u32 s5, 2
	v_and_b32_e32 v35, s17, v42
	v_lshlrev_b32_e32 v40, 2, v14
	v_cndmask_b32_e64 v44, v31, v14, s[0:1]
	s_cselect_b64 s[0:1], -1, 0
	s_cmp_eq_u32 s5, 3
	v_lshlrev_b32_e32 v31, 2, v35
	v_cndmask_b32_e64 v45, v30, v14, s[0:1]
	ds_read_b32 v30, v40
	ds_read_b32 v40, v31
	s_cselect_b64 s[0:1], -1, 0
	s_cmp_eq_u32 s5, 4
	v_cndmask_b32_e64 v29, v29, v14, s[0:1]
	s_cselect_b64 s[0:1], -1, 0
	s_cmp_eq_u32 s5, 5
	v_cndmask_b32_e64 v27, v27, v14, s[0:1]
	;; [unrolled: 3-line block ×4, first 2 shown]
	s_waitcnt lgkmcnt(1)
	v_add_u32_e32 v14, v34, v30
	s_cselect_b64 s[0:1], -1, 0
	s_cmp_eq_u32 s4, 3
	v_cndmask_b32_e64 v27, v27, v35, s[0:1]
	v_lshlrev_b64 v[30:31], 3, v[14:15]
	s_cselect_b64 s[0:1], -1, 0
	s_waitcnt lgkmcnt(0)
	v_add3_u32 v14, v34, v40, s2
	v_cndmask_b32_e64 v29, v29, v35, s[0:1]
	v_add_co_u32_e64 v40, s[0:1], s38, v30
	s_cmp_eq_u32 s4, 2
	v_addc_co_u32_e64 v41, s[0:1], v33, v31, s[0:1]
	v_xor_b32_e32 v37, 0x80000000, v37
	v_lshlrev_b64 v[42:43], 3, v[14:15]
	s_cselect_b64 s[0:1], -1, 0
	v_cndmask_b32_e64 v30, v45, v35, s[0:1]
	global_store_dwordx2 v[40:41], v[36:37], off
	v_add_co_u32_e64 v36, s[0:1], s38, v42
	s_cmp_eq_u32 s4, 1
	v_addc_co_u32_e64 v37, s[0:1], v33, v43, s[0:1]
	s_cselect_b64 s[0:1], -1, 0
	s_cmp_eq_u32 s4, 0
	v_cndmask_b32_e64 v31, v44, v35, s[0:1]
	s_cselect_b64 s[0:1], -1, 0
	s_addk_i32 s3, 0xf800
	s_add_i32 s4, s4, 2
	v_xor_b32_e32 v39, 0x80000000, v39
	v_add_u32_e32 v34, 0x800, v34
	v_cndmask_b32_e64 v32, v32, v35, s[0:1]
	s_cmpk_lg_i32 s3, 0xe800
	global_store_dwordx2 v[36:37], v[38:39], off
	s_barrier
	s_cbranch_scc1 .LBB1154_105
; %bb.106:
	s_add_u32 s0, s40, s12
	s_addc_u32 s1, s41, s13
	v_mov_b32_e32 v0, s1
	v_add_co_u32_e64 v1, s[0:1], s0, v9
	v_addc_co_u32_e64 v0, s[0:1], 0, v0, s[0:1]
	v_add_co_u32_e64 v14, s[0:1], v1, v20
	v_addc_co_u32_e64 v15, s[0:1], 0, v0, s[0:1]
	global_load_dwordx2 v[0:1], v[14:15], off
	global_load_dwordx2 v[2:3], v[14:15], off offset:512
	global_load_dwordx2 v[4:5], v[14:15], off offset:1024
	;; [unrolled: 1-line block ×5, first 2 shown]
	s_mov_b32 s2, 0
	s_mov_b32 s3, 1
	s_movk_i32 s4, 0x400
	v_mov_b32_e32 v15, 0
	v_mov_b32_e32 v9, s43
	;; [unrolled: 1-line block ×3, first 2 shown]
	s_waitcnt vmcnt(0)
.LBB1154_107:                           ; =>This Inner Loop Header: Depth=1
	s_add_i32 s5, s3, -1
	v_add_u32_e32 v14, s2, v16
	s_cmp_eq_u32 s5, 1
	v_add_u32_e32 v33, s2, v22
	v_add_u32_e32 v34, s2, v25
	;; [unrolled: 1-line block ×5, first 2 shown]
	v_min_u32_e32 v14, 0x800, v14
	s_cselect_b64 s[0:1], -1, 0
	s_cmp_eq_u32 s5, 2
	v_min_u32_e32 v33, 0x800, v33
	v_min_u32_e32 v34, 0x800, v34
	;; [unrolled: 1-line block ×5, first 2 shown]
	v_lshlrev_b32_e32 v14, 3, v14
	v_cndmask_b32_e64 v38, v32, v31, s[0:1]
	s_cselect_b64 s[0:1], -1, 0
	s_cmp_eq_u32 s5, 3
	v_lshlrev_b32_e32 v33, 3, v33
	v_lshlrev_b32_e32 v34, 3, v34
	;; [unrolled: 1-line block ×5, first 2 shown]
	ds_write_b64 v14, v[0:1] offset:1024
	ds_write_b64 v33, v[2:3] offset:1024
	;; [unrolled: 1-line block ×6, first 2 shown]
	v_cndmask_b32_e64 v14, v38, v30, s[0:1]
	s_cselect_b64 s[0:1], -1, 0
	s_cmp_eq_u32 s5, 4
	v_cndmask_b32_e64 v14, v14, v29, s[0:1]
	s_cselect_b64 s[0:1], -1, 0
	s_cmp_eq_u32 s5, 5
	;; [unrolled: 3-line block ×5, first 2 shown]
	v_lshlrev_b32_e32 v14, 2, v14
	v_cndmask_b32_e64 v33, v33, v30, s[0:1]
	s_cselect_b64 s[0:1], -1, 0
	s_cmp_eq_u32 s3, 4
	s_waitcnt lgkmcnt(0)
	s_barrier
	ds_read_b64 v[34:35], v17 offset:1024
	ds_read_b32 v14, v14
	v_cndmask_b32_e64 v33, v33, v29, s[0:1]
	s_cselect_b64 s[0:1], -1, 0
	s_cmp_eq_u32 s3, 5
	v_cndmask_b32_e64 v33, v33, v27, s[0:1]
	s_cselect_b64 s[0:1], -1, 0
	v_cndmask_b32_e64 v33, v33, v24, s[0:1]
	v_lshlrev_b32_e32 v33, 2, v33
	ds_read_b32 v33, v33
	ds_read_b64 v[36:37], v18 offset:8192
	s_waitcnt lgkmcnt(2)
	v_add_u32_e32 v14, v20, v14
	v_lshlrev_b64 v[38:39], 3, v[14:15]
	v_add_co_u32_e64 v38, s[0:1], s42, v38
	v_addc_co_u32_e64 v39, s[0:1], v9, v39, s[0:1]
	s_waitcnt lgkmcnt(1)
	v_add3_u32 v14, v20, v33, s4
	global_store_dwordx2 v[38:39], v[34:35], off
	v_lshlrev_b64 v[34:35], 3, v[14:15]
	s_addk_i32 s2, 0xf800
	s_add_i32 s3, s3, 2
	v_add_co_u32_e64 v34, s[0:1], s42, v34
	s_cmpk_lg_i32 s2, 0xe800
	v_add_u32_e32 v20, 0x800, v20
	v_addc_co_u32_e64 v35, s[0:1], v9, v35, s[0:1]
	s_waitcnt lgkmcnt(0)
	global_store_dwordx2 v[34:35], v[36:37], off
	s_barrier
	s_cbranch_scc1 .LBB1154_107
; %bb.108:
	s_add_i32 s16, s16, -1
	s_cmp_eq_u32 s16, s33
	s_cselect_b64 s[0:1], -1, 0
	s_and_b64 s[2:3], vcc, s[0:1]
                                        ; implicit-def: $vgpr2
	s_and_saveexec_b64 s[0:1], s[2:3]
; %bb.109:
	v_add_u32_e32 v2, v23, v26
	s_or_b64 s[10:11], s[10:11], exec
; %bb.110:
	s_or_b64 exec, exec, s[0:1]
.LBB1154_111:
	s_and_saveexec_b64 s[0:1], s[10:11]
	s_cbranch_execnz .LBB1154_113
; %bb.112:
	s_endpgm
.LBB1154_113:
	v_lshlrev_b32_e32 v0, 2, v8
	ds_read_b32 v1, v0
	s_waitcnt lgkmcnt(0)
	v_add_u32_e32 v1, v1, v2
	global_store_dword v0, v1, s[30:31]
	s_endpgm
.LBB1154_114:
	global_load_dwordx2 v[10:11], v[22:23], off
	s_or_b64 exec, exec, s[16:17]
                                        ; implicit-def: $vgpr12_vgpr13
	s_and_saveexec_b64 s[16:17], s[2:3]
	s_cbranch_execz .LBB1154_58
.LBB1154_115:
	global_load_dwordx2 v[12:13], v[22:23], off offset:512
	s_or_b64 exec, exec, s[16:17]
                                        ; implicit-def: $vgpr14_vgpr15
	s_and_saveexec_b64 s[2:3], s[22:23]
	s_cbranch_execz .LBB1154_59
.LBB1154_116:
	global_load_dwordx2 v[14:15], v[22:23], off offset:1024
	s_or_b64 exec, exec, s[2:3]
                                        ; implicit-def: $vgpr16_vgpr17
	s_and_saveexec_b64 s[2:3], s[8:9]
	s_cbranch_execz .LBB1154_60
.LBB1154_117:
	global_load_dwordx2 v[16:17], v[22:23], off offset:1536
	s_or_b64 exec, exec, s[2:3]
                                        ; implicit-def: $vgpr18_vgpr19
	s_and_saveexec_b64 s[2:3], s[10:11]
	s_cbranch_execz .LBB1154_61
.LBB1154_118:
	global_load_dwordx2 v[18:19], v[22:23], off offset:2048
	s_or_b64 exec, exec, s[2:3]
                                        ; implicit-def: $vgpr20_vgpr21
	s_and_saveexec_b64 s[2:3], s[12:13]
	s_cbranch_execnz .LBB1154_62
	s_branch .LBB1154_63
	.section	.rodata,"a",@progbits
	.p2align	6, 0x0
	.amdhsa_kernel _ZN7rocprim17ROCPRIM_400000_NS6detail17trampoline_kernelINS0_14default_configENS1_35radix_sort_onesweep_config_selectorIllEEZZNS1_29radix_sort_onesweep_iterationIS3_Lb0EPlS7_N6thrust23THRUST_200600_302600_NS10device_ptrIlEESB_jNS0_19identity_decomposerENS1_16block_id_wrapperIjLb1EEEEE10hipError_tT1_PNSt15iterator_traitsISG_E10value_typeET2_T3_PNSH_ISM_E10value_typeET4_T5_PSR_SS_PNS1_23onesweep_lookback_stateEbbT6_jjT7_P12ihipStream_tbENKUlT_T0_SG_SL_E_clIS7_S7_S7_SB_EEDaSZ_S10_SG_SL_EUlSZ_E_NS1_11comp_targetILNS1_3genE4ELNS1_11target_archE910ELNS1_3gpuE8ELNS1_3repE0EEENS1_47radix_sort_onesweep_sort_config_static_selectorELNS0_4arch9wavefront6targetE1EEEvSG_
		.amdhsa_group_segment_fixed_size 20552
		.amdhsa_private_segment_fixed_size 0
		.amdhsa_kernarg_size 344
		.amdhsa_user_sgpr_count 6
		.amdhsa_user_sgpr_private_segment_buffer 1
		.amdhsa_user_sgpr_dispatch_ptr 0
		.amdhsa_user_sgpr_queue_ptr 0
		.amdhsa_user_sgpr_kernarg_segment_ptr 1
		.amdhsa_user_sgpr_dispatch_id 0
		.amdhsa_user_sgpr_flat_scratch_init 0
		.amdhsa_user_sgpr_kernarg_preload_length 0
		.amdhsa_user_sgpr_kernarg_preload_offset 0
		.amdhsa_user_sgpr_private_segment_size 0
		.amdhsa_uses_dynamic_stack 0
		.amdhsa_system_sgpr_private_segment_wavefront_offset 0
		.amdhsa_system_sgpr_workgroup_id_x 1
		.amdhsa_system_sgpr_workgroup_id_y 0
		.amdhsa_system_sgpr_workgroup_id_z 0
		.amdhsa_system_sgpr_workgroup_info 0
		.amdhsa_system_vgpr_workitem_id 2
		.amdhsa_next_free_vgpr 46
		.amdhsa_next_free_sgpr 53
		.amdhsa_accum_offset 48
		.amdhsa_reserve_vcc 1
		.amdhsa_reserve_flat_scratch 0
		.amdhsa_float_round_mode_32 0
		.amdhsa_float_round_mode_16_64 0
		.amdhsa_float_denorm_mode_32 3
		.amdhsa_float_denorm_mode_16_64 3
		.amdhsa_dx10_clamp 1
		.amdhsa_ieee_mode 1
		.amdhsa_fp16_overflow 0
		.amdhsa_tg_split 0
		.amdhsa_exception_fp_ieee_invalid_op 0
		.amdhsa_exception_fp_denorm_src 0
		.amdhsa_exception_fp_ieee_div_zero 0
		.amdhsa_exception_fp_ieee_overflow 0
		.amdhsa_exception_fp_ieee_underflow 0
		.amdhsa_exception_fp_ieee_inexact 0
		.amdhsa_exception_int_div_zero 0
	.end_amdhsa_kernel
	.section	.text._ZN7rocprim17ROCPRIM_400000_NS6detail17trampoline_kernelINS0_14default_configENS1_35radix_sort_onesweep_config_selectorIllEEZZNS1_29radix_sort_onesweep_iterationIS3_Lb0EPlS7_N6thrust23THRUST_200600_302600_NS10device_ptrIlEESB_jNS0_19identity_decomposerENS1_16block_id_wrapperIjLb1EEEEE10hipError_tT1_PNSt15iterator_traitsISG_E10value_typeET2_T3_PNSH_ISM_E10value_typeET4_T5_PSR_SS_PNS1_23onesweep_lookback_stateEbbT6_jjT7_P12ihipStream_tbENKUlT_T0_SG_SL_E_clIS7_S7_S7_SB_EEDaSZ_S10_SG_SL_EUlSZ_E_NS1_11comp_targetILNS1_3genE4ELNS1_11target_archE910ELNS1_3gpuE8ELNS1_3repE0EEENS1_47radix_sort_onesweep_sort_config_static_selectorELNS0_4arch9wavefront6targetE1EEEvSG_,"axG",@progbits,_ZN7rocprim17ROCPRIM_400000_NS6detail17trampoline_kernelINS0_14default_configENS1_35radix_sort_onesweep_config_selectorIllEEZZNS1_29radix_sort_onesweep_iterationIS3_Lb0EPlS7_N6thrust23THRUST_200600_302600_NS10device_ptrIlEESB_jNS0_19identity_decomposerENS1_16block_id_wrapperIjLb1EEEEE10hipError_tT1_PNSt15iterator_traitsISG_E10value_typeET2_T3_PNSH_ISM_E10value_typeET4_T5_PSR_SS_PNS1_23onesweep_lookback_stateEbbT6_jjT7_P12ihipStream_tbENKUlT_T0_SG_SL_E_clIS7_S7_S7_SB_EEDaSZ_S10_SG_SL_EUlSZ_E_NS1_11comp_targetILNS1_3genE4ELNS1_11target_archE910ELNS1_3gpuE8ELNS1_3repE0EEENS1_47radix_sort_onesweep_sort_config_static_selectorELNS0_4arch9wavefront6targetE1EEEvSG_,comdat
.Lfunc_end1154:
	.size	_ZN7rocprim17ROCPRIM_400000_NS6detail17trampoline_kernelINS0_14default_configENS1_35radix_sort_onesweep_config_selectorIllEEZZNS1_29radix_sort_onesweep_iterationIS3_Lb0EPlS7_N6thrust23THRUST_200600_302600_NS10device_ptrIlEESB_jNS0_19identity_decomposerENS1_16block_id_wrapperIjLb1EEEEE10hipError_tT1_PNSt15iterator_traitsISG_E10value_typeET2_T3_PNSH_ISM_E10value_typeET4_T5_PSR_SS_PNS1_23onesweep_lookback_stateEbbT6_jjT7_P12ihipStream_tbENKUlT_T0_SG_SL_E_clIS7_S7_S7_SB_EEDaSZ_S10_SG_SL_EUlSZ_E_NS1_11comp_targetILNS1_3genE4ELNS1_11target_archE910ELNS1_3gpuE8ELNS1_3repE0EEENS1_47radix_sort_onesweep_sort_config_static_selectorELNS0_4arch9wavefront6targetE1EEEvSG_, .Lfunc_end1154-_ZN7rocprim17ROCPRIM_400000_NS6detail17trampoline_kernelINS0_14default_configENS1_35radix_sort_onesweep_config_selectorIllEEZZNS1_29radix_sort_onesweep_iterationIS3_Lb0EPlS7_N6thrust23THRUST_200600_302600_NS10device_ptrIlEESB_jNS0_19identity_decomposerENS1_16block_id_wrapperIjLb1EEEEE10hipError_tT1_PNSt15iterator_traitsISG_E10value_typeET2_T3_PNSH_ISM_E10value_typeET4_T5_PSR_SS_PNS1_23onesweep_lookback_stateEbbT6_jjT7_P12ihipStream_tbENKUlT_T0_SG_SL_E_clIS7_S7_S7_SB_EEDaSZ_S10_SG_SL_EUlSZ_E_NS1_11comp_targetILNS1_3genE4ELNS1_11target_archE910ELNS1_3gpuE8ELNS1_3repE0EEENS1_47radix_sort_onesweep_sort_config_static_selectorELNS0_4arch9wavefront6targetE1EEEvSG_
                                        ; -- End function
	.section	.AMDGPU.csdata,"",@progbits
; Kernel info:
; codeLenInByte = 10704
; NumSgprs: 57
; NumVgprs: 46
; NumAgprs: 0
; TotalNumVgprs: 46
; ScratchSize: 0
; MemoryBound: 0
; FloatMode: 240
; IeeeMode: 1
; LDSByteSize: 20552 bytes/workgroup (compile time only)
; SGPRBlocks: 7
; VGPRBlocks: 5
; NumSGPRsForWavesPerEU: 57
; NumVGPRsForWavesPerEU: 46
; AccumOffset: 48
; Occupancy: 8
; WaveLimiterHint : 1
; COMPUTE_PGM_RSRC2:SCRATCH_EN: 0
; COMPUTE_PGM_RSRC2:USER_SGPR: 6
; COMPUTE_PGM_RSRC2:TRAP_HANDLER: 0
; COMPUTE_PGM_RSRC2:TGID_X_EN: 1
; COMPUTE_PGM_RSRC2:TGID_Y_EN: 0
; COMPUTE_PGM_RSRC2:TGID_Z_EN: 0
; COMPUTE_PGM_RSRC2:TIDIG_COMP_CNT: 2
; COMPUTE_PGM_RSRC3_GFX90A:ACCUM_OFFSET: 11
; COMPUTE_PGM_RSRC3_GFX90A:TG_SPLIT: 0
	.section	.text._ZN7rocprim17ROCPRIM_400000_NS6detail17trampoline_kernelINS0_14default_configENS1_35radix_sort_onesweep_config_selectorIllEEZZNS1_29radix_sort_onesweep_iterationIS3_Lb0EPlS7_N6thrust23THRUST_200600_302600_NS10device_ptrIlEESB_jNS0_19identity_decomposerENS1_16block_id_wrapperIjLb1EEEEE10hipError_tT1_PNSt15iterator_traitsISG_E10value_typeET2_T3_PNSH_ISM_E10value_typeET4_T5_PSR_SS_PNS1_23onesweep_lookback_stateEbbT6_jjT7_P12ihipStream_tbENKUlT_T0_SG_SL_E_clIS7_S7_S7_SB_EEDaSZ_S10_SG_SL_EUlSZ_E_NS1_11comp_targetILNS1_3genE3ELNS1_11target_archE908ELNS1_3gpuE7ELNS1_3repE0EEENS1_47radix_sort_onesweep_sort_config_static_selectorELNS0_4arch9wavefront6targetE1EEEvSG_,"axG",@progbits,_ZN7rocprim17ROCPRIM_400000_NS6detail17trampoline_kernelINS0_14default_configENS1_35radix_sort_onesweep_config_selectorIllEEZZNS1_29radix_sort_onesweep_iterationIS3_Lb0EPlS7_N6thrust23THRUST_200600_302600_NS10device_ptrIlEESB_jNS0_19identity_decomposerENS1_16block_id_wrapperIjLb1EEEEE10hipError_tT1_PNSt15iterator_traitsISG_E10value_typeET2_T3_PNSH_ISM_E10value_typeET4_T5_PSR_SS_PNS1_23onesweep_lookback_stateEbbT6_jjT7_P12ihipStream_tbENKUlT_T0_SG_SL_E_clIS7_S7_S7_SB_EEDaSZ_S10_SG_SL_EUlSZ_E_NS1_11comp_targetILNS1_3genE3ELNS1_11target_archE908ELNS1_3gpuE7ELNS1_3repE0EEENS1_47radix_sort_onesweep_sort_config_static_selectorELNS0_4arch9wavefront6targetE1EEEvSG_,comdat
	.protected	_ZN7rocprim17ROCPRIM_400000_NS6detail17trampoline_kernelINS0_14default_configENS1_35radix_sort_onesweep_config_selectorIllEEZZNS1_29radix_sort_onesweep_iterationIS3_Lb0EPlS7_N6thrust23THRUST_200600_302600_NS10device_ptrIlEESB_jNS0_19identity_decomposerENS1_16block_id_wrapperIjLb1EEEEE10hipError_tT1_PNSt15iterator_traitsISG_E10value_typeET2_T3_PNSH_ISM_E10value_typeET4_T5_PSR_SS_PNS1_23onesweep_lookback_stateEbbT6_jjT7_P12ihipStream_tbENKUlT_T0_SG_SL_E_clIS7_S7_S7_SB_EEDaSZ_S10_SG_SL_EUlSZ_E_NS1_11comp_targetILNS1_3genE3ELNS1_11target_archE908ELNS1_3gpuE7ELNS1_3repE0EEENS1_47radix_sort_onesweep_sort_config_static_selectorELNS0_4arch9wavefront6targetE1EEEvSG_ ; -- Begin function _ZN7rocprim17ROCPRIM_400000_NS6detail17trampoline_kernelINS0_14default_configENS1_35radix_sort_onesweep_config_selectorIllEEZZNS1_29radix_sort_onesweep_iterationIS3_Lb0EPlS7_N6thrust23THRUST_200600_302600_NS10device_ptrIlEESB_jNS0_19identity_decomposerENS1_16block_id_wrapperIjLb1EEEEE10hipError_tT1_PNSt15iterator_traitsISG_E10value_typeET2_T3_PNSH_ISM_E10value_typeET4_T5_PSR_SS_PNS1_23onesweep_lookback_stateEbbT6_jjT7_P12ihipStream_tbENKUlT_T0_SG_SL_E_clIS7_S7_S7_SB_EEDaSZ_S10_SG_SL_EUlSZ_E_NS1_11comp_targetILNS1_3genE3ELNS1_11target_archE908ELNS1_3gpuE7ELNS1_3repE0EEENS1_47radix_sort_onesweep_sort_config_static_selectorELNS0_4arch9wavefront6targetE1EEEvSG_
	.globl	_ZN7rocprim17ROCPRIM_400000_NS6detail17trampoline_kernelINS0_14default_configENS1_35radix_sort_onesweep_config_selectorIllEEZZNS1_29radix_sort_onesweep_iterationIS3_Lb0EPlS7_N6thrust23THRUST_200600_302600_NS10device_ptrIlEESB_jNS0_19identity_decomposerENS1_16block_id_wrapperIjLb1EEEEE10hipError_tT1_PNSt15iterator_traitsISG_E10value_typeET2_T3_PNSH_ISM_E10value_typeET4_T5_PSR_SS_PNS1_23onesweep_lookback_stateEbbT6_jjT7_P12ihipStream_tbENKUlT_T0_SG_SL_E_clIS7_S7_S7_SB_EEDaSZ_S10_SG_SL_EUlSZ_E_NS1_11comp_targetILNS1_3genE3ELNS1_11target_archE908ELNS1_3gpuE7ELNS1_3repE0EEENS1_47radix_sort_onesweep_sort_config_static_selectorELNS0_4arch9wavefront6targetE1EEEvSG_
	.p2align	8
	.type	_ZN7rocprim17ROCPRIM_400000_NS6detail17trampoline_kernelINS0_14default_configENS1_35radix_sort_onesweep_config_selectorIllEEZZNS1_29radix_sort_onesweep_iterationIS3_Lb0EPlS7_N6thrust23THRUST_200600_302600_NS10device_ptrIlEESB_jNS0_19identity_decomposerENS1_16block_id_wrapperIjLb1EEEEE10hipError_tT1_PNSt15iterator_traitsISG_E10value_typeET2_T3_PNSH_ISM_E10value_typeET4_T5_PSR_SS_PNS1_23onesweep_lookback_stateEbbT6_jjT7_P12ihipStream_tbENKUlT_T0_SG_SL_E_clIS7_S7_S7_SB_EEDaSZ_S10_SG_SL_EUlSZ_E_NS1_11comp_targetILNS1_3genE3ELNS1_11target_archE908ELNS1_3gpuE7ELNS1_3repE0EEENS1_47radix_sort_onesweep_sort_config_static_selectorELNS0_4arch9wavefront6targetE1EEEvSG_,@function
_ZN7rocprim17ROCPRIM_400000_NS6detail17trampoline_kernelINS0_14default_configENS1_35radix_sort_onesweep_config_selectorIllEEZZNS1_29radix_sort_onesweep_iterationIS3_Lb0EPlS7_N6thrust23THRUST_200600_302600_NS10device_ptrIlEESB_jNS0_19identity_decomposerENS1_16block_id_wrapperIjLb1EEEEE10hipError_tT1_PNSt15iterator_traitsISG_E10value_typeET2_T3_PNSH_ISM_E10value_typeET4_T5_PSR_SS_PNS1_23onesweep_lookback_stateEbbT6_jjT7_P12ihipStream_tbENKUlT_T0_SG_SL_E_clIS7_S7_S7_SB_EEDaSZ_S10_SG_SL_EUlSZ_E_NS1_11comp_targetILNS1_3genE3ELNS1_11target_archE908ELNS1_3gpuE7ELNS1_3repE0EEENS1_47radix_sort_onesweep_sort_config_static_selectorELNS0_4arch9wavefront6targetE1EEEvSG_: ; @_ZN7rocprim17ROCPRIM_400000_NS6detail17trampoline_kernelINS0_14default_configENS1_35radix_sort_onesweep_config_selectorIllEEZZNS1_29radix_sort_onesweep_iterationIS3_Lb0EPlS7_N6thrust23THRUST_200600_302600_NS10device_ptrIlEESB_jNS0_19identity_decomposerENS1_16block_id_wrapperIjLb1EEEEE10hipError_tT1_PNSt15iterator_traitsISG_E10value_typeET2_T3_PNSH_ISM_E10value_typeET4_T5_PSR_SS_PNS1_23onesweep_lookback_stateEbbT6_jjT7_P12ihipStream_tbENKUlT_T0_SG_SL_E_clIS7_S7_S7_SB_EEDaSZ_S10_SG_SL_EUlSZ_E_NS1_11comp_targetILNS1_3genE3ELNS1_11target_archE908ELNS1_3gpuE7ELNS1_3repE0EEENS1_47radix_sort_onesweep_sort_config_static_selectorELNS0_4arch9wavefront6targetE1EEEvSG_
; %bb.0:
	.section	.rodata,"a",@progbits
	.p2align	6, 0x0
	.amdhsa_kernel _ZN7rocprim17ROCPRIM_400000_NS6detail17trampoline_kernelINS0_14default_configENS1_35radix_sort_onesweep_config_selectorIllEEZZNS1_29radix_sort_onesweep_iterationIS3_Lb0EPlS7_N6thrust23THRUST_200600_302600_NS10device_ptrIlEESB_jNS0_19identity_decomposerENS1_16block_id_wrapperIjLb1EEEEE10hipError_tT1_PNSt15iterator_traitsISG_E10value_typeET2_T3_PNSH_ISM_E10value_typeET4_T5_PSR_SS_PNS1_23onesweep_lookback_stateEbbT6_jjT7_P12ihipStream_tbENKUlT_T0_SG_SL_E_clIS7_S7_S7_SB_EEDaSZ_S10_SG_SL_EUlSZ_E_NS1_11comp_targetILNS1_3genE3ELNS1_11target_archE908ELNS1_3gpuE7ELNS1_3repE0EEENS1_47radix_sort_onesweep_sort_config_static_selectorELNS0_4arch9wavefront6targetE1EEEvSG_
		.amdhsa_group_segment_fixed_size 0
		.amdhsa_private_segment_fixed_size 0
		.amdhsa_kernarg_size 88
		.amdhsa_user_sgpr_count 6
		.amdhsa_user_sgpr_private_segment_buffer 1
		.amdhsa_user_sgpr_dispatch_ptr 0
		.amdhsa_user_sgpr_queue_ptr 0
		.amdhsa_user_sgpr_kernarg_segment_ptr 1
		.amdhsa_user_sgpr_dispatch_id 0
		.amdhsa_user_sgpr_flat_scratch_init 0
		.amdhsa_user_sgpr_kernarg_preload_length 0
		.amdhsa_user_sgpr_kernarg_preload_offset 0
		.amdhsa_user_sgpr_private_segment_size 0
		.amdhsa_uses_dynamic_stack 0
		.amdhsa_system_sgpr_private_segment_wavefront_offset 0
		.amdhsa_system_sgpr_workgroup_id_x 1
		.amdhsa_system_sgpr_workgroup_id_y 0
		.amdhsa_system_sgpr_workgroup_id_z 0
		.amdhsa_system_sgpr_workgroup_info 0
		.amdhsa_system_vgpr_workitem_id 0
		.amdhsa_next_free_vgpr 1
		.amdhsa_next_free_sgpr 0
		.amdhsa_accum_offset 4
		.amdhsa_reserve_vcc 0
		.amdhsa_reserve_flat_scratch 0
		.amdhsa_float_round_mode_32 0
		.amdhsa_float_round_mode_16_64 0
		.amdhsa_float_denorm_mode_32 3
		.amdhsa_float_denorm_mode_16_64 3
		.amdhsa_dx10_clamp 1
		.amdhsa_ieee_mode 1
		.amdhsa_fp16_overflow 0
		.amdhsa_tg_split 0
		.amdhsa_exception_fp_ieee_invalid_op 0
		.amdhsa_exception_fp_denorm_src 0
		.amdhsa_exception_fp_ieee_div_zero 0
		.amdhsa_exception_fp_ieee_overflow 0
		.amdhsa_exception_fp_ieee_underflow 0
		.amdhsa_exception_fp_ieee_inexact 0
		.amdhsa_exception_int_div_zero 0
	.end_amdhsa_kernel
	.section	.text._ZN7rocprim17ROCPRIM_400000_NS6detail17trampoline_kernelINS0_14default_configENS1_35radix_sort_onesweep_config_selectorIllEEZZNS1_29radix_sort_onesweep_iterationIS3_Lb0EPlS7_N6thrust23THRUST_200600_302600_NS10device_ptrIlEESB_jNS0_19identity_decomposerENS1_16block_id_wrapperIjLb1EEEEE10hipError_tT1_PNSt15iterator_traitsISG_E10value_typeET2_T3_PNSH_ISM_E10value_typeET4_T5_PSR_SS_PNS1_23onesweep_lookback_stateEbbT6_jjT7_P12ihipStream_tbENKUlT_T0_SG_SL_E_clIS7_S7_S7_SB_EEDaSZ_S10_SG_SL_EUlSZ_E_NS1_11comp_targetILNS1_3genE3ELNS1_11target_archE908ELNS1_3gpuE7ELNS1_3repE0EEENS1_47radix_sort_onesweep_sort_config_static_selectorELNS0_4arch9wavefront6targetE1EEEvSG_,"axG",@progbits,_ZN7rocprim17ROCPRIM_400000_NS6detail17trampoline_kernelINS0_14default_configENS1_35radix_sort_onesweep_config_selectorIllEEZZNS1_29radix_sort_onesweep_iterationIS3_Lb0EPlS7_N6thrust23THRUST_200600_302600_NS10device_ptrIlEESB_jNS0_19identity_decomposerENS1_16block_id_wrapperIjLb1EEEEE10hipError_tT1_PNSt15iterator_traitsISG_E10value_typeET2_T3_PNSH_ISM_E10value_typeET4_T5_PSR_SS_PNS1_23onesweep_lookback_stateEbbT6_jjT7_P12ihipStream_tbENKUlT_T0_SG_SL_E_clIS7_S7_S7_SB_EEDaSZ_S10_SG_SL_EUlSZ_E_NS1_11comp_targetILNS1_3genE3ELNS1_11target_archE908ELNS1_3gpuE7ELNS1_3repE0EEENS1_47radix_sort_onesweep_sort_config_static_selectorELNS0_4arch9wavefront6targetE1EEEvSG_,comdat
.Lfunc_end1155:
	.size	_ZN7rocprim17ROCPRIM_400000_NS6detail17trampoline_kernelINS0_14default_configENS1_35radix_sort_onesweep_config_selectorIllEEZZNS1_29radix_sort_onesweep_iterationIS3_Lb0EPlS7_N6thrust23THRUST_200600_302600_NS10device_ptrIlEESB_jNS0_19identity_decomposerENS1_16block_id_wrapperIjLb1EEEEE10hipError_tT1_PNSt15iterator_traitsISG_E10value_typeET2_T3_PNSH_ISM_E10value_typeET4_T5_PSR_SS_PNS1_23onesweep_lookback_stateEbbT6_jjT7_P12ihipStream_tbENKUlT_T0_SG_SL_E_clIS7_S7_S7_SB_EEDaSZ_S10_SG_SL_EUlSZ_E_NS1_11comp_targetILNS1_3genE3ELNS1_11target_archE908ELNS1_3gpuE7ELNS1_3repE0EEENS1_47radix_sort_onesweep_sort_config_static_selectorELNS0_4arch9wavefront6targetE1EEEvSG_, .Lfunc_end1155-_ZN7rocprim17ROCPRIM_400000_NS6detail17trampoline_kernelINS0_14default_configENS1_35radix_sort_onesweep_config_selectorIllEEZZNS1_29radix_sort_onesweep_iterationIS3_Lb0EPlS7_N6thrust23THRUST_200600_302600_NS10device_ptrIlEESB_jNS0_19identity_decomposerENS1_16block_id_wrapperIjLb1EEEEE10hipError_tT1_PNSt15iterator_traitsISG_E10value_typeET2_T3_PNSH_ISM_E10value_typeET4_T5_PSR_SS_PNS1_23onesweep_lookback_stateEbbT6_jjT7_P12ihipStream_tbENKUlT_T0_SG_SL_E_clIS7_S7_S7_SB_EEDaSZ_S10_SG_SL_EUlSZ_E_NS1_11comp_targetILNS1_3genE3ELNS1_11target_archE908ELNS1_3gpuE7ELNS1_3repE0EEENS1_47radix_sort_onesweep_sort_config_static_selectorELNS0_4arch9wavefront6targetE1EEEvSG_
                                        ; -- End function
	.section	.AMDGPU.csdata,"",@progbits
; Kernel info:
; codeLenInByte = 0
; NumSgprs: 4
; NumVgprs: 0
; NumAgprs: 0
; TotalNumVgprs: 0
; ScratchSize: 0
; MemoryBound: 0
; FloatMode: 240
; IeeeMode: 1
; LDSByteSize: 0 bytes/workgroup (compile time only)
; SGPRBlocks: 0
; VGPRBlocks: 0
; NumSGPRsForWavesPerEU: 4
; NumVGPRsForWavesPerEU: 1
; AccumOffset: 4
; Occupancy: 8
; WaveLimiterHint : 0
; COMPUTE_PGM_RSRC2:SCRATCH_EN: 0
; COMPUTE_PGM_RSRC2:USER_SGPR: 6
; COMPUTE_PGM_RSRC2:TRAP_HANDLER: 0
; COMPUTE_PGM_RSRC2:TGID_X_EN: 1
; COMPUTE_PGM_RSRC2:TGID_Y_EN: 0
; COMPUTE_PGM_RSRC2:TGID_Z_EN: 0
; COMPUTE_PGM_RSRC2:TIDIG_COMP_CNT: 0
; COMPUTE_PGM_RSRC3_GFX90A:ACCUM_OFFSET: 0
; COMPUTE_PGM_RSRC3_GFX90A:TG_SPLIT: 0
	.section	.text._ZN7rocprim17ROCPRIM_400000_NS6detail17trampoline_kernelINS0_14default_configENS1_35radix_sort_onesweep_config_selectorIllEEZZNS1_29radix_sort_onesweep_iterationIS3_Lb0EPlS7_N6thrust23THRUST_200600_302600_NS10device_ptrIlEESB_jNS0_19identity_decomposerENS1_16block_id_wrapperIjLb1EEEEE10hipError_tT1_PNSt15iterator_traitsISG_E10value_typeET2_T3_PNSH_ISM_E10value_typeET4_T5_PSR_SS_PNS1_23onesweep_lookback_stateEbbT6_jjT7_P12ihipStream_tbENKUlT_T0_SG_SL_E_clIS7_S7_S7_SB_EEDaSZ_S10_SG_SL_EUlSZ_E_NS1_11comp_targetILNS1_3genE10ELNS1_11target_archE1201ELNS1_3gpuE5ELNS1_3repE0EEENS1_47radix_sort_onesweep_sort_config_static_selectorELNS0_4arch9wavefront6targetE1EEEvSG_,"axG",@progbits,_ZN7rocprim17ROCPRIM_400000_NS6detail17trampoline_kernelINS0_14default_configENS1_35radix_sort_onesweep_config_selectorIllEEZZNS1_29radix_sort_onesweep_iterationIS3_Lb0EPlS7_N6thrust23THRUST_200600_302600_NS10device_ptrIlEESB_jNS0_19identity_decomposerENS1_16block_id_wrapperIjLb1EEEEE10hipError_tT1_PNSt15iterator_traitsISG_E10value_typeET2_T3_PNSH_ISM_E10value_typeET4_T5_PSR_SS_PNS1_23onesweep_lookback_stateEbbT6_jjT7_P12ihipStream_tbENKUlT_T0_SG_SL_E_clIS7_S7_S7_SB_EEDaSZ_S10_SG_SL_EUlSZ_E_NS1_11comp_targetILNS1_3genE10ELNS1_11target_archE1201ELNS1_3gpuE5ELNS1_3repE0EEENS1_47radix_sort_onesweep_sort_config_static_selectorELNS0_4arch9wavefront6targetE1EEEvSG_,comdat
	.protected	_ZN7rocprim17ROCPRIM_400000_NS6detail17trampoline_kernelINS0_14default_configENS1_35radix_sort_onesweep_config_selectorIllEEZZNS1_29radix_sort_onesweep_iterationIS3_Lb0EPlS7_N6thrust23THRUST_200600_302600_NS10device_ptrIlEESB_jNS0_19identity_decomposerENS1_16block_id_wrapperIjLb1EEEEE10hipError_tT1_PNSt15iterator_traitsISG_E10value_typeET2_T3_PNSH_ISM_E10value_typeET4_T5_PSR_SS_PNS1_23onesweep_lookback_stateEbbT6_jjT7_P12ihipStream_tbENKUlT_T0_SG_SL_E_clIS7_S7_S7_SB_EEDaSZ_S10_SG_SL_EUlSZ_E_NS1_11comp_targetILNS1_3genE10ELNS1_11target_archE1201ELNS1_3gpuE5ELNS1_3repE0EEENS1_47radix_sort_onesweep_sort_config_static_selectorELNS0_4arch9wavefront6targetE1EEEvSG_ ; -- Begin function _ZN7rocprim17ROCPRIM_400000_NS6detail17trampoline_kernelINS0_14default_configENS1_35radix_sort_onesweep_config_selectorIllEEZZNS1_29radix_sort_onesweep_iterationIS3_Lb0EPlS7_N6thrust23THRUST_200600_302600_NS10device_ptrIlEESB_jNS0_19identity_decomposerENS1_16block_id_wrapperIjLb1EEEEE10hipError_tT1_PNSt15iterator_traitsISG_E10value_typeET2_T3_PNSH_ISM_E10value_typeET4_T5_PSR_SS_PNS1_23onesweep_lookback_stateEbbT6_jjT7_P12ihipStream_tbENKUlT_T0_SG_SL_E_clIS7_S7_S7_SB_EEDaSZ_S10_SG_SL_EUlSZ_E_NS1_11comp_targetILNS1_3genE10ELNS1_11target_archE1201ELNS1_3gpuE5ELNS1_3repE0EEENS1_47radix_sort_onesweep_sort_config_static_selectorELNS0_4arch9wavefront6targetE1EEEvSG_
	.globl	_ZN7rocprim17ROCPRIM_400000_NS6detail17trampoline_kernelINS0_14default_configENS1_35radix_sort_onesweep_config_selectorIllEEZZNS1_29radix_sort_onesweep_iterationIS3_Lb0EPlS7_N6thrust23THRUST_200600_302600_NS10device_ptrIlEESB_jNS0_19identity_decomposerENS1_16block_id_wrapperIjLb1EEEEE10hipError_tT1_PNSt15iterator_traitsISG_E10value_typeET2_T3_PNSH_ISM_E10value_typeET4_T5_PSR_SS_PNS1_23onesweep_lookback_stateEbbT6_jjT7_P12ihipStream_tbENKUlT_T0_SG_SL_E_clIS7_S7_S7_SB_EEDaSZ_S10_SG_SL_EUlSZ_E_NS1_11comp_targetILNS1_3genE10ELNS1_11target_archE1201ELNS1_3gpuE5ELNS1_3repE0EEENS1_47radix_sort_onesweep_sort_config_static_selectorELNS0_4arch9wavefront6targetE1EEEvSG_
	.p2align	8
	.type	_ZN7rocprim17ROCPRIM_400000_NS6detail17trampoline_kernelINS0_14default_configENS1_35radix_sort_onesweep_config_selectorIllEEZZNS1_29radix_sort_onesweep_iterationIS3_Lb0EPlS7_N6thrust23THRUST_200600_302600_NS10device_ptrIlEESB_jNS0_19identity_decomposerENS1_16block_id_wrapperIjLb1EEEEE10hipError_tT1_PNSt15iterator_traitsISG_E10value_typeET2_T3_PNSH_ISM_E10value_typeET4_T5_PSR_SS_PNS1_23onesweep_lookback_stateEbbT6_jjT7_P12ihipStream_tbENKUlT_T0_SG_SL_E_clIS7_S7_S7_SB_EEDaSZ_S10_SG_SL_EUlSZ_E_NS1_11comp_targetILNS1_3genE10ELNS1_11target_archE1201ELNS1_3gpuE5ELNS1_3repE0EEENS1_47radix_sort_onesweep_sort_config_static_selectorELNS0_4arch9wavefront6targetE1EEEvSG_,@function
_ZN7rocprim17ROCPRIM_400000_NS6detail17trampoline_kernelINS0_14default_configENS1_35radix_sort_onesweep_config_selectorIllEEZZNS1_29radix_sort_onesweep_iterationIS3_Lb0EPlS7_N6thrust23THRUST_200600_302600_NS10device_ptrIlEESB_jNS0_19identity_decomposerENS1_16block_id_wrapperIjLb1EEEEE10hipError_tT1_PNSt15iterator_traitsISG_E10value_typeET2_T3_PNSH_ISM_E10value_typeET4_T5_PSR_SS_PNS1_23onesweep_lookback_stateEbbT6_jjT7_P12ihipStream_tbENKUlT_T0_SG_SL_E_clIS7_S7_S7_SB_EEDaSZ_S10_SG_SL_EUlSZ_E_NS1_11comp_targetILNS1_3genE10ELNS1_11target_archE1201ELNS1_3gpuE5ELNS1_3repE0EEENS1_47radix_sort_onesweep_sort_config_static_selectorELNS0_4arch9wavefront6targetE1EEEvSG_: ; @_ZN7rocprim17ROCPRIM_400000_NS6detail17trampoline_kernelINS0_14default_configENS1_35radix_sort_onesweep_config_selectorIllEEZZNS1_29radix_sort_onesweep_iterationIS3_Lb0EPlS7_N6thrust23THRUST_200600_302600_NS10device_ptrIlEESB_jNS0_19identity_decomposerENS1_16block_id_wrapperIjLb1EEEEE10hipError_tT1_PNSt15iterator_traitsISG_E10value_typeET2_T3_PNSH_ISM_E10value_typeET4_T5_PSR_SS_PNS1_23onesweep_lookback_stateEbbT6_jjT7_P12ihipStream_tbENKUlT_T0_SG_SL_E_clIS7_S7_S7_SB_EEDaSZ_S10_SG_SL_EUlSZ_E_NS1_11comp_targetILNS1_3genE10ELNS1_11target_archE1201ELNS1_3gpuE5ELNS1_3repE0EEENS1_47radix_sort_onesweep_sort_config_static_selectorELNS0_4arch9wavefront6targetE1EEEvSG_
; %bb.0:
	.section	.rodata,"a",@progbits
	.p2align	6, 0x0
	.amdhsa_kernel _ZN7rocprim17ROCPRIM_400000_NS6detail17trampoline_kernelINS0_14default_configENS1_35radix_sort_onesweep_config_selectorIllEEZZNS1_29radix_sort_onesweep_iterationIS3_Lb0EPlS7_N6thrust23THRUST_200600_302600_NS10device_ptrIlEESB_jNS0_19identity_decomposerENS1_16block_id_wrapperIjLb1EEEEE10hipError_tT1_PNSt15iterator_traitsISG_E10value_typeET2_T3_PNSH_ISM_E10value_typeET4_T5_PSR_SS_PNS1_23onesweep_lookback_stateEbbT6_jjT7_P12ihipStream_tbENKUlT_T0_SG_SL_E_clIS7_S7_S7_SB_EEDaSZ_S10_SG_SL_EUlSZ_E_NS1_11comp_targetILNS1_3genE10ELNS1_11target_archE1201ELNS1_3gpuE5ELNS1_3repE0EEENS1_47radix_sort_onesweep_sort_config_static_selectorELNS0_4arch9wavefront6targetE1EEEvSG_
		.amdhsa_group_segment_fixed_size 0
		.amdhsa_private_segment_fixed_size 0
		.amdhsa_kernarg_size 88
		.amdhsa_user_sgpr_count 6
		.amdhsa_user_sgpr_private_segment_buffer 1
		.amdhsa_user_sgpr_dispatch_ptr 0
		.amdhsa_user_sgpr_queue_ptr 0
		.amdhsa_user_sgpr_kernarg_segment_ptr 1
		.amdhsa_user_sgpr_dispatch_id 0
		.amdhsa_user_sgpr_flat_scratch_init 0
		.amdhsa_user_sgpr_kernarg_preload_length 0
		.amdhsa_user_sgpr_kernarg_preload_offset 0
		.amdhsa_user_sgpr_private_segment_size 0
		.amdhsa_uses_dynamic_stack 0
		.amdhsa_system_sgpr_private_segment_wavefront_offset 0
		.amdhsa_system_sgpr_workgroup_id_x 1
		.amdhsa_system_sgpr_workgroup_id_y 0
		.amdhsa_system_sgpr_workgroup_id_z 0
		.amdhsa_system_sgpr_workgroup_info 0
		.amdhsa_system_vgpr_workitem_id 0
		.amdhsa_next_free_vgpr 1
		.amdhsa_next_free_sgpr 0
		.amdhsa_accum_offset 4
		.amdhsa_reserve_vcc 0
		.amdhsa_reserve_flat_scratch 0
		.amdhsa_float_round_mode_32 0
		.amdhsa_float_round_mode_16_64 0
		.amdhsa_float_denorm_mode_32 3
		.amdhsa_float_denorm_mode_16_64 3
		.amdhsa_dx10_clamp 1
		.amdhsa_ieee_mode 1
		.amdhsa_fp16_overflow 0
		.amdhsa_tg_split 0
		.amdhsa_exception_fp_ieee_invalid_op 0
		.amdhsa_exception_fp_denorm_src 0
		.amdhsa_exception_fp_ieee_div_zero 0
		.amdhsa_exception_fp_ieee_overflow 0
		.amdhsa_exception_fp_ieee_underflow 0
		.amdhsa_exception_fp_ieee_inexact 0
		.amdhsa_exception_int_div_zero 0
	.end_amdhsa_kernel
	.section	.text._ZN7rocprim17ROCPRIM_400000_NS6detail17trampoline_kernelINS0_14default_configENS1_35radix_sort_onesweep_config_selectorIllEEZZNS1_29radix_sort_onesweep_iterationIS3_Lb0EPlS7_N6thrust23THRUST_200600_302600_NS10device_ptrIlEESB_jNS0_19identity_decomposerENS1_16block_id_wrapperIjLb1EEEEE10hipError_tT1_PNSt15iterator_traitsISG_E10value_typeET2_T3_PNSH_ISM_E10value_typeET4_T5_PSR_SS_PNS1_23onesweep_lookback_stateEbbT6_jjT7_P12ihipStream_tbENKUlT_T0_SG_SL_E_clIS7_S7_S7_SB_EEDaSZ_S10_SG_SL_EUlSZ_E_NS1_11comp_targetILNS1_3genE10ELNS1_11target_archE1201ELNS1_3gpuE5ELNS1_3repE0EEENS1_47radix_sort_onesweep_sort_config_static_selectorELNS0_4arch9wavefront6targetE1EEEvSG_,"axG",@progbits,_ZN7rocprim17ROCPRIM_400000_NS6detail17trampoline_kernelINS0_14default_configENS1_35radix_sort_onesweep_config_selectorIllEEZZNS1_29radix_sort_onesweep_iterationIS3_Lb0EPlS7_N6thrust23THRUST_200600_302600_NS10device_ptrIlEESB_jNS0_19identity_decomposerENS1_16block_id_wrapperIjLb1EEEEE10hipError_tT1_PNSt15iterator_traitsISG_E10value_typeET2_T3_PNSH_ISM_E10value_typeET4_T5_PSR_SS_PNS1_23onesweep_lookback_stateEbbT6_jjT7_P12ihipStream_tbENKUlT_T0_SG_SL_E_clIS7_S7_S7_SB_EEDaSZ_S10_SG_SL_EUlSZ_E_NS1_11comp_targetILNS1_3genE10ELNS1_11target_archE1201ELNS1_3gpuE5ELNS1_3repE0EEENS1_47radix_sort_onesweep_sort_config_static_selectorELNS0_4arch9wavefront6targetE1EEEvSG_,comdat
.Lfunc_end1156:
	.size	_ZN7rocprim17ROCPRIM_400000_NS6detail17trampoline_kernelINS0_14default_configENS1_35radix_sort_onesweep_config_selectorIllEEZZNS1_29radix_sort_onesweep_iterationIS3_Lb0EPlS7_N6thrust23THRUST_200600_302600_NS10device_ptrIlEESB_jNS0_19identity_decomposerENS1_16block_id_wrapperIjLb1EEEEE10hipError_tT1_PNSt15iterator_traitsISG_E10value_typeET2_T3_PNSH_ISM_E10value_typeET4_T5_PSR_SS_PNS1_23onesweep_lookback_stateEbbT6_jjT7_P12ihipStream_tbENKUlT_T0_SG_SL_E_clIS7_S7_S7_SB_EEDaSZ_S10_SG_SL_EUlSZ_E_NS1_11comp_targetILNS1_3genE10ELNS1_11target_archE1201ELNS1_3gpuE5ELNS1_3repE0EEENS1_47radix_sort_onesweep_sort_config_static_selectorELNS0_4arch9wavefront6targetE1EEEvSG_, .Lfunc_end1156-_ZN7rocprim17ROCPRIM_400000_NS6detail17trampoline_kernelINS0_14default_configENS1_35radix_sort_onesweep_config_selectorIllEEZZNS1_29radix_sort_onesweep_iterationIS3_Lb0EPlS7_N6thrust23THRUST_200600_302600_NS10device_ptrIlEESB_jNS0_19identity_decomposerENS1_16block_id_wrapperIjLb1EEEEE10hipError_tT1_PNSt15iterator_traitsISG_E10value_typeET2_T3_PNSH_ISM_E10value_typeET4_T5_PSR_SS_PNS1_23onesweep_lookback_stateEbbT6_jjT7_P12ihipStream_tbENKUlT_T0_SG_SL_E_clIS7_S7_S7_SB_EEDaSZ_S10_SG_SL_EUlSZ_E_NS1_11comp_targetILNS1_3genE10ELNS1_11target_archE1201ELNS1_3gpuE5ELNS1_3repE0EEENS1_47radix_sort_onesweep_sort_config_static_selectorELNS0_4arch9wavefront6targetE1EEEvSG_
                                        ; -- End function
	.section	.AMDGPU.csdata,"",@progbits
; Kernel info:
; codeLenInByte = 0
; NumSgprs: 4
; NumVgprs: 0
; NumAgprs: 0
; TotalNumVgprs: 0
; ScratchSize: 0
; MemoryBound: 0
; FloatMode: 240
; IeeeMode: 1
; LDSByteSize: 0 bytes/workgroup (compile time only)
; SGPRBlocks: 0
; VGPRBlocks: 0
; NumSGPRsForWavesPerEU: 4
; NumVGPRsForWavesPerEU: 1
; AccumOffset: 4
; Occupancy: 8
; WaveLimiterHint : 0
; COMPUTE_PGM_RSRC2:SCRATCH_EN: 0
; COMPUTE_PGM_RSRC2:USER_SGPR: 6
; COMPUTE_PGM_RSRC2:TRAP_HANDLER: 0
; COMPUTE_PGM_RSRC2:TGID_X_EN: 1
; COMPUTE_PGM_RSRC2:TGID_Y_EN: 0
; COMPUTE_PGM_RSRC2:TGID_Z_EN: 0
; COMPUTE_PGM_RSRC2:TIDIG_COMP_CNT: 0
; COMPUTE_PGM_RSRC3_GFX90A:ACCUM_OFFSET: 0
; COMPUTE_PGM_RSRC3_GFX90A:TG_SPLIT: 0
	.section	.text._ZN7rocprim17ROCPRIM_400000_NS6detail17trampoline_kernelINS0_14default_configENS1_35radix_sort_onesweep_config_selectorIllEEZZNS1_29radix_sort_onesweep_iterationIS3_Lb0EPlS7_N6thrust23THRUST_200600_302600_NS10device_ptrIlEESB_jNS0_19identity_decomposerENS1_16block_id_wrapperIjLb1EEEEE10hipError_tT1_PNSt15iterator_traitsISG_E10value_typeET2_T3_PNSH_ISM_E10value_typeET4_T5_PSR_SS_PNS1_23onesweep_lookback_stateEbbT6_jjT7_P12ihipStream_tbENKUlT_T0_SG_SL_E_clIS7_S7_S7_SB_EEDaSZ_S10_SG_SL_EUlSZ_E_NS1_11comp_targetILNS1_3genE9ELNS1_11target_archE1100ELNS1_3gpuE3ELNS1_3repE0EEENS1_47radix_sort_onesweep_sort_config_static_selectorELNS0_4arch9wavefront6targetE1EEEvSG_,"axG",@progbits,_ZN7rocprim17ROCPRIM_400000_NS6detail17trampoline_kernelINS0_14default_configENS1_35radix_sort_onesweep_config_selectorIllEEZZNS1_29radix_sort_onesweep_iterationIS3_Lb0EPlS7_N6thrust23THRUST_200600_302600_NS10device_ptrIlEESB_jNS0_19identity_decomposerENS1_16block_id_wrapperIjLb1EEEEE10hipError_tT1_PNSt15iterator_traitsISG_E10value_typeET2_T3_PNSH_ISM_E10value_typeET4_T5_PSR_SS_PNS1_23onesweep_lookback_stateEbbT6_jjT7_P12ihipStream_tbENKUlT_T0_SG_SL_E_clIS7_S7_S7_SB_EEDaSZ_S10_SG_SL_EUlSZ_E_NS1_11comp_targetILNS1_3genE9ELNS1_11target_archE1100ELNS1_3gpuE3ELNS1_3repE0EEENS1_47radix_sort_onesweep_sort_config_static_selectorELNS0_4arch9wavefront6targetE1EEEvSG_,comdat
	.protected	_ZN7rocprim17ROCPRIM_400000_NS6detail17trampoline_kernelINS0_14default_configENS1_35radix_sort_onesweep_config_selectorIllEEZZNS1_29radix_sort_onesweep_iterationIS3_Lb0EPlS7_N6thrust23THRUST_200600_302600_NS10device_ptrIlEESB_jNS0_19identity_decomposerENS1_16block_id_wrapperIjLb1EEEEE10hipError_tT1_PNSt15iterator_traitsISG_E10value_typeET2_T3_PNSH_ISM_E10value_typeET4_T5_PSR_SS_PNS1_23onesweep_lookback_stateEbbT6_jjT7_P12ihipStream_tbENKUlT_T0_SG_SL_E_clIS7_S7_S7_SB_EEDaSZ_S10_SG_SL_EUlSZ_E_NS1_11comp_targetILNS1_3genE9ELNS1_11target_archE1100ELNS1_3gpuE3ELNS1_3repE0EEENS1_47radix_sort_onesweep_sort_config_static_selectorELNS0_4arch9wavefront6targetE1EEEvSG_ ; -- Begin function _ZN7rocprim17ROCPRIM_400000_NS6detail17trampoline_kernelINS0_14default_configENS1_35radix_sort_onesweep_config_selectorIllEEZZNS1_29radix_sort_onesweep_iterationIS3_Lb0EPlS7_N6thrust23THRUST_200600_302600_NS10device_ptrIlEESB_jNS0_19identity_decomposerENS1_16block_id_wrapperIjLb1EEEEE10hipError_tT1_PNSt15iterator_traitsISG_E10value_typeET2_T3_PNSH_ISM_E10value_typeET4_T5_PSR_SS_PNS1_23onesweep_lookback_stateEbbT6_jjT7_P12ihipStream_tbENKUlT_T0_SG_SL_E_clIS7_S7_S7_SB_EEDaSZ_S10_SG_SL_EUlSZ_E_NS1_11comp_targetILNS1_3genE9ELNS1_11target_archE1100ELNS1_3gpuE3ELNS1_3repE0EEENS1_47radix_sort_onesweep_sort_config_static_selectorELNS0_4arch9wavefront6targetE1EEEvSG_
	.globl	_ZN7rocprim17ROCPRIM_400000_NS6detail17trampoline_kernelINS0_14default_configENS1_35radix_sort_onesweep_config_selectorIllEEZZNS1_29radix_sort_onesweep_iterationIS3_Lb0EPlS7_N6thrust23THRUST_200600_302600_NS10device_ptrIlEESB_jNS0_19identity_decomposerENS1_16block_id_wrapperIjLb1EEEEE10hipError_tT1_PNSt15iterator_traitsISG_E10value_typeET2_T3_PNSH_ISM_E10value_typeET4_T5_PSR_SS_PNS1_23onesweep_lookback_stateEbbT6_jjT7_P12ihipStream_tbENKUlT_T0_SG_SL_E_clIS7_S7_S7_SB_EEDaSZ_S10_SG_SL_EUlSZ_E_NS1_11comp_targetILNS1_3genE9ELNS1_11target_archE1100ELNS1_3gpuE3ELNS1_3repE0EEENS1_47radix_sort_onesweep_sort_config_static_selectorELNS0_4arch9wavefront6targetE1EEEvSG_
	.p2align	8
	.type	_ZN7rocprim17ROCPRIM_400000_NS6detail17trampoline_kernelINS0_14default_configENS1_35radix_sort_onesweep_config_selectorIllEEZZNS1_29radix_sort_onesweep_iterationIS3_Lb0EPlS7_N6thrust23THRUST_200600_302600_NS10device_ptrIlEESB_jNS0_19identity_decomposerENS1_16block_id_wrapperIjLb1EEEEE10hipError_tT1_PNSt15iterator_traitsISG_E10value_typeET2_T3_PNSH_ISM_E10value_typeET4_T5_PSR_SS_PNS1_23onesweep_lookback_stateEbbT6_jjT7_P12ihipStream_tbENKUlT_T0_SG_SL_E_clIS7_S7_S7_SB_EEDaSZ_S10_SG_SL_EUlSZ_E_NS1_11comp_targetILNS1_3genE9ELNS1_11target_archE1100ELNS1_3gpuE3ELNS1_3repE0EEENS1_47radix_sort_onesweep_sort_config_static_selectorELNS0_4arch9wavefront6targetE1EEEvSG_,@function
_ZN7rocprim17ROCPRIM_400000_NS6detail17trampoline_kernelINS0_14default_configENS1_35radix_sort_onesweep_config_selectorIllEEZZNS1_29radix_sort_onesweep_iterationIS3_Lb0EPlS7_N6thrust23THRUST_200600_302600_NS10device_ptrIlEESB_jNS0_19identity_decomposerENS1_16block_id_wrapperIjLb1EEEEE10hipError_tT1_PNSt15iterator_traitsISG_E10value_typeET2_T3_PNSH_ISM_E10value_typeET4_T5_PSR_SS_PNS1_23onesweep_lookback_stateEbbT6_jjT7_P12ihipStream_tbENKUlT_T0_SG_SL_E_clIS7_S7_S7_SB_EEDaSZ_S10_SG_SL_EUlSZ_E_NS1_11comp_targetILNS1_3genE9ELNS1_11target_archE1100ELNS1_3gpuE3ELNS1_3repE0EEENS1_47radix_sort_onesweep_sort_config_static_selectorELNS0_4arch9wavefront6targetE1EEEvSG_: ; @_ZN7rocprim17ROCPRIM_400000_NS6detail17trampoline_kernelINS0_14default_configENS1_35radix_sort_onesweep_config_selectorIllEEZZNS1_29radix_sort_onesweep_iterationIS3_Lb0EPlS7_N6thrust23THRUST_200600_302600_NS10device_ptrIlEESB_jNS0_19identity_decomposerENS1_16block_id_wrapperIjLb1EEEEE10hipError_tT1_PNSt15iterator_traitsISG_E10value_typeET2_T3_PNSH_ISM_E10value_typeET4_T5_PSR_SS_PNS1_23onesweep_lookback_stateEbbT6_jjT7_P12ihipStream_tbENKUlT_T0_SG_SL_E_clIS7_S7_S7_SB_EEDaSZ_S10_SG_SL_EUlSZ_E_NS1_11comp_targetILNS1_3genE9ELNS1_11target_archE1100ELNS1_3gpuE3ELNS1_3repE0EEENS1_47radix_sort_onesweep_sort_config_static_selectorELNS0_4arch9wavefront6targetE1EEEvSG_
; %bb.0:
	.section	.rodata,"a",@progbits
	.p2align	6, 0x0
	.amdhsa_kernel _ZN7rocprim17ROCPRIM_400000_NS6detail17trampoline_kernelINS0_14default_configENS1_35radix_sort_onesweep_config_selectorIllEEZZNS1_29radix_sort_onesweep_iterationIS3_Lb0EPlS7_N6thrust23THRUST_200600_302600_NS10device_ptrIlEESB_jNS0_19identity_decomposerENS1_16block_id_wrapperIjLb1EEEEE10hipError_tT1_PNSt15iterator_traitsISG_E10value_typeET2_T3_PNSH_ISM_E10value_typeET4_T5_PSR_SS_PNS1_23onesweep_lookback_stateEbbT6_jjT7_P12ihipStream_tbENKUlT_T0_SG_SL_E_clIS7_S7_S7_SB_EEDaSZ_S10_SG_SL_EUlSZ_E_NS1_11comp_targetILNS1_3genE9ELNS1_11target_archE1100ELNS1_3gpuE3ELNS1_3repE0EEENS1_47radix_sort_onesweep_sort_config_static_selectorELNS0_4arch9wavefront6targetE1EEEvSG_
		.amdhsa_group_segment_fixed_size 0
		.amdhsa_private_segment_fixed_size 0
		.amdhsa_kernarg_size 88
		.amdhsa_user_sgpr_count 6
		.amdhsa_user_sgpr_private_segment_buffer 1
		.amdhsa_user_sgpr_dispatch_ptr 0
		.amdhsa_user_sgpr_queue_ptr 0
		.amdhsa_user_sgpr_kernarg_segment_ptr 1
		.amdhsa_user_sgpr_dispatch_id 0
		.amdhsa_user_sgpr_flat_scratch_init 0
		.amdhsa_user_sgpr_kernarg_preload_length 0
		.amdhsa_user_sgpr_kernarg_preload_offset 0
		.amdhsa_user_sgpr_private_segment_size 0
		.amdhsa_uses_dynamic_stack 0
		.amdhsa_system_sgpr_private_segment_wavefront_offset 0
		.amdhsa_system_sgpr_workgroup_id_x 1
		.amdhsa_system_sgpr_workgroup_id_y 0
		.amdhsa_system_sgpr_workgroup_id_z 0
		.amdhsa_system_sgpr_workgroup_info 0
		.amdhsa_system_vgpr_workitem_id 0
		.amdhsa_next_free_vgpr 1
		.amdhsa_next_free_sgpr 0
		.amdhsa_accum_offset 4
		.amdhsa_reserve_vcc 0
		.amdhsa_reserve_flat_scratch 0
		.amdhsa_float_round_mode_32 0
		.amdhsa_float_round_mode_16_64 0
		.amdhsa_float_denorm_mode_32 3
		.amdhsa_float_denorm_mode_16_64 3
		.amdhsa_dx10_clamp 1
		.amdhsa_ieee_mode 1
		.amdhsa_fp16_overflow 0
		.amdhsa_tg_split 0
		.amdhsa_exception_fp_ieee_invalid_op 0
		.amdhsa_exception_fp_denorm_src 0
		.amdhsa_exception_fp_ieee_div_zero 0
		.amdhsa_exception_fp_ieee_overflow 0
		.amdhsa_exception_fp_ieee_underflow 0
		.amdhsa_exception_fp_ieee_inexact 0
		.amdhsa_exception_int_div_zero 0
	.end_amdhsa_kernel
	.section	.text._ZN7rocprim17ROCPRIM_400000_NS6detail17trampoline_kernelINS0_14default_configENS1_35radix_sort_onesweep_config_selectorIllEEZZNS1_29radix_sort_onesweep_iterationIS3_Lb0EPlS7_N6thrust23THRUST_200600_302600_NS10device_ptrIlEESB_jNS0_19identity_decomposerENS1_16block_id_wrapperIjLb1EEEEE10hipError_tT1_PNSt15iterator_traitsISG_E10value_typeET2_T3_PNSH_ISM_E10value_typeET4_T5_PSR_SS_PNS1_23onesweep_lookback_stateEbbT6_jjT7_P12ihipStream_tbENKUlT_T0_SG_SL_E_clIS7_S7_S7_SB_EEDaSZ_S10_SG_SL_EUlSZ_E_NS1_11comp_targetILNS1_3genE9ELNS1_11target_archE1100ELNS1_3gpuE3ELNS1_3repE0EEENS1_47radix_sort_onesweep_sort_config_static_selectorELNS0_4arch9wavefront6targetE1EEEvSG_,"axG",@progbits,_ZN7rocprim17ROCPRIM_400000_NS6detail17trampoline_kernelINS0_14default_configENS1_35radix_sort_onesweep_config_selectorIllEEZZNS1_29radix_sort_onesweep_iterationIS3_Lb0EPlS7_N6thrust23THRUST_200600_302600_NS10device_ptrIlEESB_jNS0_19identity_decomposerENS1_16block_id_wrapperIjLb1EEEEE10hipError_tT1_PNSt15iterator_traitsISG_E10value_typeET2_T3_PNSH_ISM_E10value_typeET4_T5_PSR_SS_PNS1_23onesweep_lookback_stateEbbT6_jjT7_P12ihipStream_tbENKUlT_T0_SG_SL_E_clIS7_S7_S7_SB_EEDaSZ_S10_SG_SL_EUlSZ_E_NS1_11comp_targetILNS1_3genE9ELNS1_11target_archE1100ELNS1_3gpuE3ELNS1_3repE0EEENS1_47radix_sort_onesweep_sort_config_static_selectorELNS0_4arch9wavefront6targetE1EEEvSG_,comdat
.Lfunc_end1157:
	.size	_ZN7rocprim17ROCPRIM_400000_NS6detail17trampoline_kernelINS0_14default_configENS1_35radix_sort_onesweep_config_selectorIllEEZZNS1_29radix_sort_onesweep_iterationIS3_Lb0EPlS7_N6thrust23THRUST_200600_302600_NS10device_ptrIlEESB_jNS0_19identity_decomposerENS1_16block_id_wrapperIjLb1EEEEE10hipError_tT1_PNSt15iterator_traitsISG_E10value_typeET2_T3_PNSH_ISM_E10value_typeET4_T5_PSR_SS_PNS1_23onesweep_lookback_stateEbbT6_jjT7_P12ihipStream_tbENKUlT_T0_SG_SL_E_clIS7_S7_S7_SB_EEDaSZ_S10_SG_SL_EUlSZ_E_NS1_11comp_targetILNS1_3genE9ELNS1_11target_archE1100ELNS1_3gpuE3ELNS1_3repE0EEENS1_47radix_sort_onesweep_sort_config_static_selectorELNS0_4arch9wavefront6targetE1EEEvSG_, .Lfunc_end1157-_ZN7rocprim17ROCPRIM_400000_NS6detail17trampoline_kernelINS0_14default_configENS1_35radix_sort_onesweep_config_selectorIllEEZZNS1_29radix_sort_onesweep_iterationIS3_Lb0EPlS7_N6thrust23THRUST_200600_302600_NS10device_ptrIlEESB_jNS0_19identity_decomposerENS1_16block_id_wrapperIjLb1EEEEE10hipError_tT1_PNSt15iterator_traitsISG_E10value_typeET2_T3_PNSH_ISM_E10value_typeET4_T5_PSR_SS_PNS1_23onesweep_lookback_stateEbbT6_jjT7_P12ihipStream_tbENKUlT_T0_SG_SL_E_clIS7_S7_S7_SB_EEDaSZ_S10_SG_SL_EUlSZ_E_NS1_11comp_targetILNS1_3genE9ELNS1_11target_archE1100ELNS1_3gpuE3ELNS1_3repE0EEENS1_47radix_sort_onesweep_sort_config_static_selectorELNS0_4arch9wavefront6targetE1EEEvSG_
                                        ; -- End function
	.section	.AMDGPU.csdata,"",@progbits
; Kernel info:
; codeLenInByte = 0
; NumSgprs: 4
; NumVgprs: 0
; NumAgprs: 0
; TotalNumVgprs: 0
; ScratchSize: 0
; MemoryBound: 0
; FloatMode: 240
; IeeeMode: 1
; LDSByteSize: 0 bytes/workgroup (compile time only)
; SGPRBlocks: 0
; VGPRBlocks: 0
; NumSGPRsForWavesPerEU: 4
; NumVGPRsForWavesPerEU: 1
; AccumOffset: 4
; Occupancy: 8
; WaveLimiterHint : 0
; COMPUTE_PGM_RSRC2:SCRATCH_EN: 0
; COMPUTE_PGM_RSRC2:USER_SGPR: 6
; COMPUTE_PGM_RSRC2:TRAP_HANDLER: 0
; COMPUTE_PGM_RSRC2:TGID_X_EN: 1
; COMPUTE_PGM_RSRC2:TGID_Y_EN: 0
; COMPUTE_PGM_RSRC2:TGID_Z_EN: 0
; COMPUTE_PGM_RSRC2:TIDIG_COMP_CNT: 0
; COMPUTE_PGM_RSRC3_GFX90A:ACCUM_OFFSET: 0
; COMPUTE_PGM_RSRC3_GFX90A:TG_SPLIT: 0
	.section	.text._ZN7rocprim17ROCPRIM_400000_NS6detail17trampoline_kernelINS0_14default_configENS1_35radix_sort_onesweep_config_selectorIllEEZZNS1_29radix_sort_onesweep_iterationIS3_Lb0EPlS7_N6thrust23THRUST_200600_302600_NS10device_ptrIlEESB_jNS0_19identity_decomposerENS1_16block_id_wrapperIjLb1EEEEE10hipError_tT1_PNSt15iterator_traitsISG_E10value_typeET2_T3_PNSH_ISM_E10value_typeET4_T5_PSR_SS_PNS1_23onesweep_lookback_stateEbbT6_jjT7_P12ihipStream_tbENKUlT_T0_SG_SL_E_clIS7_S7_S7_SB_EEDaSZ_S10_SG_SL_EUlSZ_E_NS1_11comp_targetILNS1_3genE8ELNS1_11target_archE1030ELNS1_3gpuE2ELNS1_3repE0EEENS1_47radix_sort_onesweep_sort_config_static_selectorELNS0_4arch9wavefront6targetE1EEEvSG_,"axG",@progbits,_ZN7rocprim17ROCPRIM_400000_NS6detail17trampoline_kernelINS0_14default_configENS1_35radix_sort_onesweep_config_selectorIllEEZZNS1_29radix_sort_onesweep_iterationIS3_Lb0EPlS7_N6thrust23THRUST_200600_302600_NS10device_ptrIlEESB_jNS0_19identity_decomposerENS1_16block_id_wrapperIjLb1EEEEE10hipError_tT1_PNSt15iterator_traitsISG_E10value_typeET2_T3_PNSH_ISM_E10value_typeET4_T5_PSR_SS_PNS1_23onesweep_lookback_stateEbbT6_jjT7_P12ihipStream_tbENKUlT_T0_SG_SL_E_clIS7_S7_S7_SB_EEDaSZ_S10_SG_SL_EUlSZ_E_NS1_11comp_targetILNS1_3genE8ELNS1_11target_archE1030ELNS1_3gpuE2ELNS1_3repE0EEENS1_47radix_sort_onesweep_sort_config_static_selectorELNS0_4arch9wavefront6targetE1EEEvSG_,comdat
	.protected	_ZN7rocprim17ROCPRIM_400000_NS6detail17trampoline_kernelINS0_14default_configENS1_35radix_sort_onesweep_config_selectorIllEEZZNS1_29radix_sort_onesweep_iterationIS3_Lb0EPlS7_N6thrust23THRUST_200600_302600_NS10device_ptrIlEESB_jNS0_19identity_decomposerENS1_16block_id_wrapperIjLb1EEEEE10hipError_tT1_PNSt15iterator_traitsISG_E10value_typeET2_T3_PNSH_ISM_E10value_typeET4_T5_PSR_SS_PNS1_23onesweep_lookback_stateEbbT6_jjT7_P12ihipStream_tbENKUlT_T0_SG_SL_E_clIS7_S7_S7_SB_EEDaSZ_S10_SG_SL_EUlSZ_E_NS1_11comp_targetILNS1_3genE8ELNS1_11target_archE1030ELNS1_3gpuE2ELNS1_3repE0EEENS1_47radix_sort_onesweep_sort_config_static_selectorELNS0_4arch9wavefront6targetE1EEEvSG_ ; -- Begin function _ZN7rocprim17ROCPRIM_400000_NS6detail17trampoline_kernelINS0_14default_configENS1_35radix_sort_onesweep_config_selectorIllEEZZNS1_29radix_sort_onesweep_iterationIS3_Lb0EPlS7_N6thrust23THRUST_200600_302600_NS10device_ptrIlEESB_jNS0_19identity_decomposerENS1_16block_id_wrapperIjLb1EEEEE10hipError_tT1_PNSt15iterator_traitsISG_E10value_typeET2_T3_PNSH_ISM_E10value_typeET4_T5_PSR_SS_PNS1_23onesweep_lookback_stateEbbT6_jjT7_P12ihipStream_tbENKUlT_T0_SG_SL_E_clIS7_S7_S7_SB_EEDaSZ_S10_SG_SL_EUlSZ_E_NS1_11comp_targetILNS1_3genE8ELNS1_11target_archE1030ELNS1_3gpuE2ELNS1_3repE0EEENS1_47radix_sort_onesweep_sort_config_static_selectorELNS0_4arch9wavefront6targetE1EEEvSG_
	.globl	_ZN7rocprim17ROCPRIM_400000_NS6detail17trampoline_kernelINS0_14default_configENS1_35radix_sort_onesweep_config_selectorIllEEZZNS1_29radix_sort_onesweep_iterationIS3_Lb0EPlS7_N6thrust23THRUST_200600_302600_NS10device_ptrIlEESB_jNS0_19identity_decomposerENS1_16block_id_wrapperIjLb1EEEEE10hipError_tT1_PNSt15iterator_traitsISG_E10value_typeET2_T3_PNSH_ISM_E10value_typeET4_T5_PSR_SS_PNS1_23onesweep_lookback_stateEbbT6_jjT7_P12ihipStream_tbENKUlT_T0_SG_SL_E_clIS7_S7_S7_SB_EEDaSZ_S10_SG_SL_EUlSZ_E_NS1_11comp_targetILNS1_3genE8ELNS1_11target_archE1030ELNS1_3gpuE2ELNS1_3repE0EEENS1_47radix_sort_onesweep_sort_config_static_selectorELNS0_4arch9wavefront6targetE1EEEvSG_
	.p2align	8
	.type	_ZN7rocprim17ROCPRIM_400000_NS6detail17trampoline_kernelINS0_14default_configENS1_35radix_sort_onesweep_config_selectorIllEEZZNS1_29radix_sort_onesweep_iterationIS3_Lb0EPlS7_N6thrust23THRUST_200600_302600_NS10device_ptrIlEESB_jNS0_19identity_decomposerENS1_16block_id_wrapperIjLb1EEEEE10hipError_tT1_PNSt15iterator_traitsISG_E10value_typeET2_T3_PNSH_ISM_E10value_typeET4_T5_PSR_SS_PNS1_23onesweep_lookback_stateEbbT6_jjT7_P12ihipStream_tbENKUlT_T0_SG_SL_E_clIS7_S7_S7_SB_EEDaSZ_S10_SG_SL_EUlSZ_E_NS1_11comp_targetILNS1_3genE8ELNS1_11target_archE1030ELNS1_3gpuE2ELNS1_3repE0EEENS1_47radix_sort_onesweep_sort_config_static_selectorELNS0_4arch9wavefront6targetE1EEEvSG_,@function
_ZN7rocprim17ROCPRIM_400000_NS6detail17trampoline_kernelINS0_14default_configENS1_35radix_sort_onesweep_config_selectorIllEEZZNS1_29radix_sort_onesweep_iterationIS3_Lb0EPlS7_N6thrust23THRUST_200600_302600_NS10device_ptrIlEESB_jNS0_19identity_decomposerENS1_16block_id_wrapperIjLb1EEEEE10hipError_tT1_PNSt15iterator_traitsISG_E10value_typeET2_T3_PNSH_ISM_E10value_typeET4_T5_PSR_SS_PNS1_23onesweep_lookback_stateEbbT6_jjT7_P12ihipStream_tbENKUlT_T0_SG_SL_E_clIS7_S7_S7_SB_EEDaSZ_S10_SG_SL_EUlSZ_E_NS1_11comp_targetILNS1_3genE8ELNS1_11target_archE1030ELNS1_3gpuE2ELNS1_3repE0EEENS1_47radix_sort_onesweep_sort_config_static_selectorELNS0_4arch9wavefront6targetE1EEEvSG_: ; @_ZN7rocprim17ROCPRIM_400000_NS6detail17trampoline_kernelINS0_14default_configENS1_35radix_sort_onesweep_config_selectorIllEEZZNS1_29radix_sort_onesweep_iterationIS3_Lb0EPlS7_N6thrust23THRUST_200600_302600_NS10device_ptrIlEESB_jNS0_19identity_decomposerENS1_16block_id_wrapperIjLb1EEEEE10hipError_tT1_PNSt15iterator_traitsISG_E10value_typeET2_T3_PNSH_ISM_E10value_typeET4_T5_PSR_SS_PNS1_23onesweep_lookback_stateEbbT6_jjT7_P12ihipStream_tbENKUlT_T0_SG_SL_E_clIS7_S7_S7_SB_EEDaSZ_S10_SG_SL_EUlSZ_E_NS1_11comp_targetILNS1_3genE8ELNS1_11target_archE1030ELNS1_3gpuE2ELNS1_3repE0EEENS1_47radix_sort_onesweep_sort_config_static_selectorELNS0_4arch9wavefront6targetE1EEEvSG_
; %bb.0:
	.section	.rodata,"a",@progbits
	.p2align	6, 0x0
	.amdhsa_kernel _ZN7rocprim17ROCPRIM_400000_NS6detail17trampoline_kernelINS0_14default_configENS1_35radix_sort_onesweep_config_selectorIllEEZZNS1_29radix_sort_onesweep_iterationIS3_Lb0EPlS7_N6thrust23THRUST_200600_302600_NS10device_ptrIlEESB_jNS0_19identity_decomposerENS1_16block_id_wrapperIjLb1EEEEE10hipError_tT1_PNSt15iterator_traitsISG_E10value_typeET2_T3_PNSH_ISM_E10value_typeET4_T5_PSR_SS_PNS1_23onesweep_lookback_stateEbbT6_jjT7_P12ihipStream_tbENKUlT_T0_SG_SL_E_clIS7_S7_S7_SB_EEDaSZ_S10_SG_SL_EUlSZ_E_NS1_11comp_targetILNS1_3genE8ELNS1_11target_archE1030ELNS1_3gpuE2ELNS1_3repE0EEENS1_47radix_sort_onesweep_sort_config_static_selectorELNS0_4arch9wavefront6targetE1EEEvSG_
		.amdhsa_group_segment_fixed_size 0
		.amdhsa_private_segment_fixed_size 0
		.amdhsa_kernarg_size 88
		.amdhsa_user_sgpr_count 6
		.amdhsa_user_sgpr_private_segment_buffer 1
		.amdhsa_user_sgpr_dispatch_ptr 0
		.amdhsa_user_sgpr_queue_ptr 0
		.amdhsa_user_sgpr_kernarg_segment_ptr 1
		.amdhsa_user_sgpr_dispatch_id 0
		.amdhsa_user_sgpr_flat_scratch_init 0
		.amdhsa_user_sgpr_kernarg_preload_length 0
		.amdhsa_user_sgpr_kernarg_preload_offset 0
		.amdhsa_user_sgpr_private_segment_size 0
		.amdhsa_uses_dynamic_stack 0
		.amdhsa_system_sgpr_private_segment_wavefront_offset 0
		.amdhsa_system_sgpr_workgroup_id_x 1
		.amdhsa_system_sgpr_workgroup_id_y 0
		.amdhsa_system_sgpr_workgroup_id_z 0
		.amdhsa_system_sgpr_workgroup_info 0
		.amdhsa_system_vgpr_workitem_id 0
		.amdhsa_next_free_vgpr 1
		.amdhsa_next_free_sgpr 0
		.amdhsa_accum_offset 4
		.amdhsa_reserve_vcc 0
		.amdhsa_reserve_flat_scratch 0
		.amdhsa_float_round_mode_32 0
		.amdhsa_float_round_mode_16_64 0
		.amdhsa_float_denorm_mode_32 3
		.amdhsa_float_denorm_mode_16_64 3
		.amdhsa_dx10_clamp 1
		.amdhsa_ieee_mode 1
		.amdhsa_fp16_overflow 0
		.amdhsa_tg_split 0
		.amdhsa_exception_fp_ieee_invalid_op 0
		.amdhsa_exception_fp_denorm_src 0
		.amdhsa_exception_fp_ieee_div_zero 0
		.amdhsa_exception_fp_ieee_overflow 0
		.amdhsa_exception_fp_ieee_underflow 0
		.amdhsa_exception_fp_ieee_inexact 0
		.amdhsa_exception_int_div_zero 0
	.end_amdhsa_kernel
	.section	.text._ZN7rocprim17ROCPRIM_400000_NS6detail17trampoline_kernelINS0_14default_configENS1_35radix_sort_onesweep_config_selectorIllEEZZNS1_29radix_sort_onesweep_iterationIS3_Lb0EPlS7_N6thrust23THRUST_200600_302600_NS10device_ptrIlEESB_jNS0_19identity_decomposerENS1_16block_id_wrapperIjLb1EEEEE10hipError_tT1_PNSt15iterator_traitsISG_E10value_typeET2_T3_PNSH_ISM_E10value_typeET4_T5_PSR_SS_PNS1_23onesweep_lookback_stateEbbT6_jjT7_P12ihipStream_tbENKUlT_T0_SG_SL_E_clIS7_S7_S7_SB_EEDaSZ_S10_SG_SL_EUlSZ_E_NS1_11comp_targetILNS1_3genE8ELNS1_11target_archE1030ELNS1_3gpuE2ELNS1_3repE0EEENS1_47radix_sort_onesweep_sort_config_static_selectorELNS0_4arch9wavefront6targetE1EEEvSG_,"axG",@progbits,_ZN7rocprim17ROCPRIM_400000_NS6detail17trampoline_kernelINS0_14default_configENS1_35radix_sort_onesweep_config_selectorIllEEZZNS1_29radix_sort_onesweep_iterationIS3_Lb0EPlS7_N6thrust23THRUST_200600_302600_NS10device_ptrIlEESB_jNS0_19identity_decomposerENS1_16block_id_wrapperIjLb1EEEEE10hipError_tT1_PNSt15iterator_traitsISG_E10value_typeET2_T3_PNSH_ISM_E10value_typeET4_T5_PSR_SS_PNS1_23onesweep_lookback_stateEbbT6_jjT7_P12ihipStream_tbENKUlT_T0_SG_SL_E_clIS7_S7_S7_SB_EEDaSZ_S10_SG_SL_EUlSZ_E_NS1_11comp_targetILNS1_3genE8ELNS1_11target_archE1030ELNS1_3gpuE2ELNS1_3repE0EEENS1_47radix_sort_onesweep_sort_config_static_selectorELNS0_4arch9wavefront6targetE1EEEvSG_,comdat
.Lfunc_end1158:
	.size	_ZN7rocprim17ROCPRIM_400000_NS6detail17trampoline_kernelINS0_14default_configENS1_35radix_sort_onesweep_config_selectorIllEEZZNS1_29radix_sort_onesweep_iterationIS3_Lb0EPlS7_N6thrust23THRUST_200600_302600_NS10device_ptrIlEESB_jNS0_19identity_decomposerENS1_16block_id_wrapperIjLb1EEEEE10hipError_tT1_PNSt15iterator_traitsISG_E10value_typeET2_T3_PNSH_ISM_E10value_typeET4_T5_PSR_SS_PNS1_23onesweep_lookback_stateEbbT6_jjT7_P12ihipStream_tbENKUlT_T0_SG_SL_E_clIS7_S7_S7_SB_EEDaSZ_S10_SG_SL_EUlSZ_E_NS1_11comp_targetILNS1_3genE8ELNS1_11target_archE1030ELNS1_3gpuE2ELNS1_3repE0EEENS1_47radix_sort_onesweep_sort_config_static_selectorELNS0_4arch9wavefront6targetE1EEEvSG_, .Lfunc_end1158-_ZN7rocprim17ROCPRIM_400000_NS6detail17trampoline_kernelINS0_14default_configENS1_35radix_sort_onesweep_config_selectorIllEEZZNS1_29radix_sort_onesweep_iterationIS3_Lb0EPlS7_N6thrust23THRUST_200600_302600_NS10device_ptrIlEESB_jNS0_19identity_decomposerENS1_16block_id_wrapperIjLb1EEEEE10hipError_tT1_PNSt15iterator_traitsISG_E10value_typeET2_T3_PNSH_ISM_E10value_typeET4_T5_PSR_SS_PNS1_23onesweep_lookback_stateEbbT6_jjT7_P12ihipStream_tbENKUlT_T0_SG_SL_E_clIS7_S7_S7_SB_EEDaSZ_S10_SG_SL_EUlSZ_E_NS1_11comp_targetILNS1_3genE8ELNS1_11target_archE1030ELNS1_3gpuE2ELNS1_3repE0EEENS1_47radix_sort_onesweep_sort_config_static_selectorELNS0_4arch9wavefront6targetE1EEEvSG_
                                        ; -- End function
	.section	.AMDGPU.csdata,"",@progbits
; Kernel info:
; codeLenInByte = 0
; NumSgprs: 4
; NumVgprs: 0
; NumAgprs: 0
; TotalNumVgprs: 0
; ScratchSize: 0
; MemoryBound: 0
; FloatMode: 240
; IeeeMode: 1
; LDSByteSize: 0 bytes/workgroup (compile time only)
; SGPRBlocks: 0
; VGPRBlocks: 0
; NumSGPRsForWavesPerEU: 4
; NumVGPRsForWavesPerEU: 1
; AccumOffset: 4
; Occupancy: 8
; WaveLimiterHint : 0
; COMPUTE_PGM_RSRC2:SCRATCH_EN: 0
; COMPUTE_PGM_RSRC2:USER_SGPR: 6
; COMPUTE_PGM_RSRC2:TRAP_HANDLER: 0
; COMPUTE_PGM_RSRC2:TGID_X_EN: 1
; COMPUTE_PGM_RSRC2:TGID_Y_EN: 0
; COMPUTE_PGM_RSRC2:TGID_Z_EN: 0
; COMPUTE_PGM_RSRC2:TIDIG_COMP_CNT: 0
; COMPUTE_PGM_RSRC3_GFX90A:ACCUM_OFFSET: 0
; COMPUTE_PGM_RSRC3_GFX90A:TG_SPLIT: 0
	.section	.text._ZN7rocprim17ROCPRIM_400000_NS6detail17trampoline_kernelINS0_14default_configENS1_35radix_sort_onesweep_config_selectorIllEEZZNS1_29radix_sort_onesweep_iterationIS3_Lb0EPlS7_N6thrust23THRUST_200600_302600_NS10device_ptrIlEESB_jNS0_19identity_decomposerENS1_16block_id_wrapperIjLb0EEEEE10hipError_tT1_PNSt15iterator_traitsISG_E10value_typeET2_T3_PNSH_ISM_E10value_typeET4_T5_PSR_SS_PNS1_23onesweep_lookback_stateEbbT6_jjT7_P12ihipStream_tbENKUlT_T0_SG_SL_E_clIS7_S7_SB_SB_EEDaSZ_S10_SG_SL_EUlSZ_E_NS1_11comp_targetILNS1_3genE0ELNS1_11target_archE4294967295ELNS1_3gpuE0ELNS1_3repE0EEENS1_47radix_sort_onesweep_sort_config_static_selectorELNS0_4arch9wavefront6targetE1EEEvSG_,"axG",@progbits,_ZN7rocprim17ROCPRIM_400000_NS6detail17trampoline_kernelINS0_14default_configENS1_35radix_sort_onesweep_config_selectorIllEEZZNS1_29radix_sort_onesweep_iterationIS3_Lb0EPlS7_N6thrust23THRUST_200600_302600_NS10device_ptrIlEESB_jNS0_19identity_decomposerENS1_16block_id_wrapperIjLb0EEEEE10hipError_tT1_PNSt15iterator_traitsISG_E10value_typeET2_T3_PNSH_ISM_E10value_typeET4_T5_PSR_SS_PNS1_23onesweep_lookback_stateEbbT6_jjT7_P12ihipStream_tbENKUlT_T0_SG_SL_E_clIS7_S7_SB_SB_EEDaSZ_S10_SG_SL_EUlSZ_E_NS1_11comp_targetILNS1_3genE0ELNS1_11target_archE4294967295ELNS1_3gpuE0ELNS1_3repE0EEENS1_47radix_sort_onesweep_sort_config_static_selectorELNS0_4arch9wavefront6targetE1EEEvSG_,comdat
	.protected	_ZN7rocprim17ROCPRIM_400000_NS6detail17trampoline_kernelINS0_14default_configENS1_35radix_sort_onesweep_config_selectorIllEEZZNS1_29radix_sort_onesweep_iterationIS3_Lb0EPlS7_N6thrust23THRUST_200600_302600_NS10device_ptrIlEESB_jNS0_19identity_decomposerENS1_16block_id_wrapperIjLb0EEEEE10hipError_tT1_PNSt15iterator_traitsISG_E10value_typeET2_T3_PNSH_ISM_E10value_typeET4_T5_PSR_SS_PNS1_23onesweep_lookback_stateEbbT6_jjT7_P12ihipStream_tbENKUlT_T0_SG_SL_E_clIS7_S7_SB_SB_EEDaSZ_S10_SG_SL_EUlSZ_E_NS1_11comp_targetILNS1_3genE0ELNS1_11target_archE4294967295ELNS1_3gpuE0ELNS1_3repE0EEENS1_47radix_sort_onesweep_sort_config_static_selectorELNS0_4arch9wavefront6targetE1EEEvSG_ ; -- Begin function _ZN7rocprim17ROCPRIM_400000_NS6detail17trampoline_kernelINS0_14default_configENS1_35radix_sort_onesweep_config_selectorIllEEZZNS1_29radix_sort_onesweep_iterationIS3_Lb0EPlS7_N6thrust23THRUST_200600_302600_NS10device_ptrIlEESB_jNS0_19identity_decomposerENS1_16block_id_wrapperIjLb0EEEEE10hipError_tT1_PNSt15iterator_traitsISG_E10value_typeET2_T3_PNSH_ISM_E10value_typeET4_T5_PSR_SS_PNS1_23onesweep_lookback_stateEbbT6_jjT7_P12ihipStream_tbENKUlT_T0_SG_SL_E_clIS7_S7_SB_SB_EEDaSZ_S10_SG_SL_EUlSZ_E_NS1_11comp_targetILNS1_3genE0ELNS1_11target_archE4294967295ELNS1_3gpuE0ELNS1_3repE0EEENS1_47radix_sort_onesweep_sort_config_static_selectorELNS0_4arch9wavefront6targetE1EEEvSG_
	.globl	_ZN7rocprim17ROCPRIM_400000_NS6detail17trampoline_kernelINS0_14default_configENS1_35radix_sort_onesweep_config_selectorIllEEZZNS1_29radix_sort_onesweep_iterationIS3_Lb0EPlS7_N6thrust23THRUST_200600_302600_NS10device_ptrIlEESB_jNS0_19identity_decomposerENS1_16block_id_wrapperIjLb0EEEEE10hipError_tT1_PNSt15iterator_traitsISG_E10value_typeET2_T3_PNSH_ISM_E10value_typeET4_T5_PSR_SS_PNS1_23onesweep_lookback_stateEbbT6_jjT7_P12ihipStream_tbENKUlT_T0_SG_SL_E_clIS7_S7_SB_SB_EEDaSZ_S10_SG_SL_EUlSZ_E_NS1_11comp_targetILNS1_3genE0ELNS1_11target_archE4294967295ELNS1_3gpuE0ELNS1_3repE0EEENS1_47radix_sort_onesweep_sort_config_static_selectorELNS0_4arch9wavefront6targetE1EEEvSG_
	.p2align	8
	.type	_ZN7rocprim17ROCPRIM_400000_NS6detail17trampoline_kernelINS0_14default_configENS1_35radix_sort_onesweep_config_selectorIllEEZZNS1_29radix_sort_onesweep_iterationIS3_Lb0EPlS7_N6thrust23THRUST_200600_302600_NS10device_ptrIlEESB_jNS0_19identity_decomposerENS1_16block_id_wrapperIjLb0EEEEE10hipError_tT1_PNSt15iterator_traitsISG_E10value_typeET2_T3_PNSH_ISM_E10value_typeET4_T5_PSR_SS_PNS1_23onesweep_lookback_stateEbbT6_jjT7_P12ihipStream_tbENKUlT_T0_SG_SL_E_clIS7_S7_SB_SB_EEDaSZ_S10_SG_SL_EUlSZ_E_NS1_11comp_targetILNS1_3genE0ELNS1_11target_archE4294967295ELNS1_3gpuE0ELNS1_3repE0EEENS1_47radix_sort_onesweep_sort_config_static_selectorELNS0_4arch9wavefront6targetE1EEEvSG_,@function
_ZN7rocprim17ROCPRIM_400000_NS6detail17trampoline_kernelINS0_14default_configENS1_35radix_sort_onesweep_config_selectorIllEEZZNS1_29radix_sort_onesweep_iterationIS3_Lb0EPlS7_N6thrust23THRUST_200600_302600_NS10device_ptrIlEESB_jNS0_19identity_decomposerENS1_16block_id_wrapperIjLb0EEEEE10hipError_tT1_PNSt15iterator_traitsISG_E10value_typeET2_T3_PNSH_ISM_E10value_typeET4_T5_PSR_SS_PNS1_23onesweep_lookback_stateEbbT6_jjT7_P12ihipStream_tbENKUlT_T0_SG_SL_E_clIS7_S7_SB_SB_EEDaSZ_S10_SG_SL_EUlSZ_E_NS1_11comp_targetILNS1_3genE0ELNS1_11target_archE4294967295ELNS1_3gpuE0ELNS1_3repE0EEENS1_47radix_sort_onesweep_sort_config_static_selectorELNS0_4arch9wavefront6targetE1EEEvSG_: ; @_ZN7rocprim17ROCPRIM_400000_NS6detail17trampoline_kernelINS0_14default_configENS1_35radix_sort_onesweep_config_selectorIllEEZZNS1_29radix_sort_onesweep_iterationIS3_Lb0EPlS7_N6thrust23THRUST_200600_302600_NS10device_ptrIlEESB_jNS0_19identity_decomposerENS1_16block_id_wrapperIjLb0EEEEE10hipError_tT1_PNSt15iterator_traitsISG_E10value_typeET2_T3_PNSH_ISM_E10value_typeET4_T5_PSR_SS_PNS1_23onesweep_lookback_stateEbbT6_jjT7_P12ihipStream_tbENKUlT_T0_SG_SL_E_clIS7_S7_SB_SB_EEDaSZ_S10_SG_SL_EUlSZ_E_NS1_11comp_targetILNS1_3genE0ELNS1_11target_archE4294967295ELNS1_3gpuE0ELNS1_3repE0EEENS1_47radix_sort_onesweep_sort_config_static_selectorELNS0_4arch9wavefront6targetE1EEEvSG_
; %bb.0:
	.section	.rodata,"a",@progbits
	.p2align	6, 0x0
	.amdhsa_kernel _ZN7rocprim17ROCPRIM_400000_NS6detail17trampoline_kernelINS0_14default_configENS1_35radix_sort_onesweep_config_selectorIllEEZZNS1_29radix_sort_onesweep_iterationIS3_Lb0EPlS7_N6thrust23THRUST_200600_302600_NS10device_ptrIlEESB_jNS0_19identity_decomposerENS1_16block_id_wrapperIjLb0EEEEE10hipError_tT1_PNSt15iterator_traitsISG_E10value_typeET2_T3_PNSH_ISM_E10value_typeET4_T5_PSR_SS_PNS1_23onesweep_lookback_stateEbbT6_jjT7_P12ihipStream_tbENKUlT_T0_SG_SL_E_clIS7_S7_SB_SB_EEDaSZ_S10_SG_SL_EUlSZ_E_NS1_11comp_targetILNS1_3genE0ELNS1_11target_archE4294967295ELNS1_3gpuE0ELNS1_3repE0EEENS1_47radix_sort_onesweep_sort_config_static_selectorELNS0_4arch9wavefront6targetE1EEEvSG_
		.amdhsa_group_segment_fixed_size 0
		.amdhsa_private_segment_fixed_size 0
		.amdhsa_kernarg_size 88
		.amdhsa_user_sgpr_count 6
		.amdhsa_user_sgpr_private_segment_buffer 1
		.amdhsa_user_sgpr_dispatch_ptr 0
		.amdhsa_user_sgpr_queue_ptr 0
		.amdhsa_user_sgpr_kernarg_segment_ptr 1
		.amdhsa_user_sgpr_dispatch_id 0
		.amdhsa_user_sgpr_flat_scratch_init 0
		.amdhsa_user_sgpr_kernarg_preload_length 0
		.amdhsa_user_sgpr_kernarg_preload_offset 0
		.amdhsa_user_sgpr_private_segment_size 0
		.amdhsa_uses_dynamic_stack 0
		.amdhsa_system_sgpr_private_segment_wavefront_offset 0
		.amdhsa_system_sgpr_workgroup_id_x 1
		.amdhsa_system_sgpr_workgroup_id_y 0
		.amdhsa_system_sgpr_workgroup_id_z 0
		.amdhsa_system_sgpr_workgroup_info 0
		.amdhsa_system_vgpr_workitem_id 0
		.amdhsa_next_free_vgpr 1
		.amdhsa_next_free_sgpr 0
		.amdhsa_accum_offset 4
		.amdhsa_reserve_vcc 0
		.amdhsa_reserve_flat_scratch 0
		.amdhsa_float_round_mode_32 0
		.amdhsa_float_round_mode_16_64 0
		.amdhsa_float_denorm_mode_32 3
		.amdhsa_float_denorm_mode_16_64 3
		.amdhsa_dx10_clamp 1
		.amdhsa_ieee_mode 1
		.amdhsa_fp16_overflow 0
		.amdhsa_tg_split 0
		.amdhsa_exception_fp_ieee_invalid_op 0
		.amdhsa_exception_fp_denorm_src 0
		.amdhsa_exception_fp_ieee_div_zero 0
		.amdhsa_exception_fp_ieee_overflow 0
		.amdhsa_exception_fp_ieee_underflow 0
		.amdhsa_exception_fp_ieee_inexact 0
		.amdhsa_exception_int_div_zero 0
	.end_amdhsa_kernel
	.section	.text._ZN7rocprim17ROCPRIM_400000_NS6detail17trampoline_kernelINS0_14default_configENS1_35radix_sort_onesweep_config_selectorIllEEZZNS1_29radix_sort_onesweep_iterationIS3_Lb0EPlS7_N6thrust23THRUST_200600_302600_NS10device_ptrIlEESB_jNS0_19identity_decomposerENS1_16block_id_wrapperIjLb0EEEEE10hipError_tT1_PNSt15iterator_traitsISG_E10value_typeET2_T3_PNSH_ISM_E10value_typeET4_T5_PSR_SS_PNS1_23onesweep_lookback_stateEbbT6_jjT7_P12ihipStream_tbENKUlT_T0_SG_SL_E_clIS7_S7_SB_SB_EEDaSZ_S10_SG_SL_EUlSZ_E_NS1_11comp_targetILNS1_3genE0ELNS1_11target_archE4294967295ELNS1_3gpuE0ELNS1_3repE0EEENS1_47radix_sort_onesweep_sort_config_static_selectorELNS0_4arch9wavefront6targetE1EEEvSG_,"axG",@progbits,_ZN7rocprim17ROCPRIM_400000_NS6detail17trampoline_kernelINS0_14default_configENS1_35radix_sort_onesweep_config_selectorIllEEZZNS1_29radix_sort_onesweep_iterationIS3_Lb0EPlS7_N6thrust23THRUST_200600_302600_NS10device_ptrIlEESB_jNS0_19identity_decomposerENS1_16block_id_wrapperIjLb0EEEEE10hipError_tT1_PNSt15iterator_traitsISG_E10value_typeET2_T3_PNSH_ISM_E10value_typeET4_T5_PSR_SS_PNS1_23onesweep_lookback_stateEbbT6_jjT7_P12ihipStream_tbENKUlT_T0_SG_SL_E_clIS7_S7_SB_SB_EEDaSZ_S10_SG_SL_EUlSZ_E_NS1_11comp_targetILNS1_3genE0ELNS1_11target_archE4294967295ELNS1_3gpuE0ELNS1_3repE0EEENS1_47radix_sort_onesweep_sort_config_static_selectorELNS0_4arch9wavefront6targetE1EEEvSG_,comdat
.Lfunc_end1159:
	.size	_ZN7rocprim17ROCPRIM_400000_NS6detail17trampoline_kernelINS0_14default_configENS1_35radix_sort_onesweep_config_selectorIllEEZZNS1_29radix_sort_onesweep_iterationIS3_Lb0EPlS7_N6thrust23THRUST_200600_302600_NS10device_ptrIlEESB_jNS0_19identity_decomposerENS1_16block_id_wrapperIjLb0EEEEE10hipError_tT1_PNSt15iterator_traitsISG_E10value_typeET2_T3_PNSH_ISM_E10value_typeET4_T5_PSR_SS_PNS1_23onesweep_lookback_stateEbbT6_jjT7_P12ihipStream_tbENKUlT_T0_SG_SL_E_clIS7_S7_SB_SB_EEDaSZ_S10_SG_SL_EUlSZ_E_NS1_11comp_targetILNS1_3genE0ELNS1_11target_archE4294967295ELNS1_3gpuE0ELNS1_3repE0EEENS1_47radix_sort_onesweep_sort_config_static_selectorELNS0_4arch9wavefront6targetE1EEEvSG_, .Lfunc_end1159-_ZN7rocprim17ROCPRIM_400000_NS6detail17trampoline_kernelINS0_14default_configENS1_35radix_sort_onesweep_config_selectorIllEEZZNS1_29radix_sort_onesweep_iterationIS3_Lb0EPlS7_N6thrust23THRUST_200600_302600_NS10device_ptrIlEESB_jNS0_19identity_decomposerENS1_16block_id_wrapperIjLb0EEEEE10hipError_tT1_PNSt15iterator_traitsISG_E10value_typeET2_T3_PNSH_ISM_E10value_typeET4_T5_PSR_SS_PNS1_23onesweep_lookback_stateEbbT6_jjT7_P12ihipStream_tbENKUlT_T0_SG_SL_E_clIS7_S7_SB_SB_EEDaSZ_S10_SG_SL_EUlSZ_E_NS1_11comp_targetILNS1_3genE0ELNS1_11target_archE4294967295ELNS1_3gpuE0ELNS1_3repE0EEENS1_47radix_sort_onesweep_sort_config_static_selectorELNS0_4arch9wavefront6targetE1EEEvSG_
                                        ; -- End function
	.section	.AMDGPU.csdata,"",@progbits
; Kernel info:
; codeLenInByte = 0
; NumSgprs: 4
; NumVgprs: 0
; NumAgprs: 0
; TotalNumVgprs: 0
; ScratchSize: 0
; MemoryBound: 0
; FloatMode: 240
; IeeeMode: 1
; LDSByteSize: 0 bytes/workgroup (compile time only)
; SGPRBlocks: 0
; VGPRBlocks: 0
; NumSGPRsForWavesPerEU: 4
; NumVGPRsForWavesPerEU: 1
; AccumOffset: 4
; Occupancy: 8
; WaveLimiterHint : 0
; COMPUTE_PGM_RSRC2:SCRATCH_EN: 0
; COMPUTE_PGM_RSRC2:USER_SGPR: 6
; COMPUTE_PGM_RSRC2:TRAP_HANDLER: 0
; COMPUTE_PGM_RSRC2:TGID_X_EN: 1
; COMPUTE_PGM_RSRC2:TGID_Y_EN: 0
; COMPUTE_PGM_RSRC2:TGID_Z_EN: 0
; COMPUTE_PGM_RSRC2:TIDIG_COMP_CNT: 0
; COMPUTE_PGM_RSRC3_GFX90A:ACCUM_OFFSET: 0
; COMPUTE_PGM_RSRC3_GFX90A:TG_SPLIT: 0
	.section	.text._ZN7rocprim17ROCPRIM_400000_NS6detail17trampoline_kernelINS0_14default_configENS1_35radix_sort_onesweep_config_selectorIllEEZZNS1_29radix_sort_onesweep_iterationIS3_Lb0EPlS7_N6thrust23THRUST_200600_302600_NS10device_ptrIlEESB_jNS0_19identity_decomposerENS1_16block_id_wrapperIjLb0EEEEE10hipError_tT1_PNSt15iterator_traitsISG_E10value_typeET2_T3_PNSH_ISM_E10value_typeET4_T5_PSR_SS_PNS1_23onesweep_lookback_stateEbbT6_jjT7_P12ihipStream_tbENKUlT_T0_SG_SL_E_clIS7_S7_SB_SB_EEDaSZ_S10_SG_SL_EUlSZ_E_NS1_11comp_targetILNS1_3genE6ELNS1_11target_archE950ELNS1_3gpuE13ELNS1_3repE0EEENS1_47radix_sort_onesweep_sort_config_static_selectorELNS0_4arch9wavefront6targetE1EEEvSG_,"axG",@progbits,_ZN7rocprim17ROCPRIM_400000_NS6detail17trampoline_kernelINS0_14default_configENS1_35radix_sort_onesweep_config_selectorIllEEZZNS1_29radix_sort_onesweep_iterationIS3_Lb0EPlS7_N6thrust23THRUST_200600_302600_NS10device_ptrIlEESB_jNS0_19identity_decomposerENS1_16block_id_wrapperIjLb0EEEEE10hipError_tT1_PNSt15iterator_traitsISG_E10value_typeET2_T3_PNSH_ISM_E10value_typeET4_T5_PSR_SS_PNS1_23onesweep_lookback_stateEbbT6_jjT7_P12ihipStream_tbENKUlT_T0_SG_SL_E_clIS7_S7_SB_SB_EEDaSZ_S10_SG_SL_EUlSZ_E_NS1_11comp_targetILNS1_3genE6ELNS1_11target_archE950ELNS1_3gpuE13ELNS1_3repE0EEENS1_47radix_sort_onesweep_sort_config_static_selectorELNS0_4arch9wavefront6targetE1EEEvSG_,comdat
	.protected	_ZN7rocprim17ROCPRIM_400000_NS6detail17trampoline_kernelINS0_14default_configENS1_35radix_sort_onesweep_config_selectorIllEEZZNS1_29radix_sort_onesweep_iterationIS3_Lb0EPlS7_N6thrust23THRUST_200600_302600_NS10device_ptrIlEESB_jNS0_19identity_decomposerENS1_16block_id_wrapperIjLb0EEEEE10hipError_tT1_PNSt15iterator_traitsISG_E10value_typeET2_T3_PNSH_ISM_E10value_typeET4_T5_PSR_SS_PNS1_23onesweep_lookback_stateEbbT6_jjT7_P12ihipStream_tbENKUlT_T0_SG_SL_E_clIS7_S7_SB_SB_EEDaSZ_S10_SG_SL_EUlSZ_E_NS1_11comp_targetILNS1_3genE6ELNS1_11target_archE950ELNS1_3gpuE13ELNS1_3repE0EEENS1_47radix_sort_onesweep_sort_config_static_selectorELNS0_4arch9wavefront6targetE1EEEvSG_ ; -- Begin function _ZN7rocprim17ROCPRIM_400000_NS6detail17trampoline_kernelINS0_14default_configENS1_35radix_sort_onesweep_config_selectorIllEEZZNS1_29radix_sort_onesweep_iterationIS3_Lb0EPlS7_N6thrust23THRUST_200600_302600_NS10device_ptrIlEESB_jNS0_19identity_decomposerENS1_16block_id_wrapperIjLb0EEEEE10hipError_tT1_PNSt15iterator_traitsISG_E10value_typeET2_T3_PNSH_ISM_E10value_typeET4_T5_PSR_SS_PNS1_23onesweep_lookback_stateEbbT6_jjT7_P12ihipStream_tbENKUlT_T0_SG_SL_E_clIS7_S7_SB_SB_EEDaSZ_S10_SG_SL_EUlSZ_E_NS1_11comp_targetILNS1_3genE6ELNS1_11target_archE950ELNS1_3gpuE13ELNS1_3repE0EEENS1_47radix_sort_onesweep_sort_config_static_selectorELNS0_4arch9wavefront6targetE1EEEvSG_
	.globl	_ZN7rocprim17ROCPRIM_400000_NS6detail17trampoline_kernelINS0_14default_configENS1_35radix_sort_onesweep_config_selectorIllEEZZNS1_29radix_sort_onesweep_iterationIS3_Lb0EPlS7_N6thrust23THRUST_200600_302600_NS10device_ptrIlEESB_jNS0_19identity_decomposerENS1_16block_id_wrapperIjLb0EEEEE10hipError_tT1_PNSt15iterator_traitsISG_E10value_typeET2_T3_PNSH_ISM_E10value_typeET4_T5_PSR_SS_PNS1_23onesweep_lookback_stateEbbT6_jjT7_P12ihipStream_tbENKUlT_T0_SG_SL_E_clIS7_S7_SB_SB_EEDaSZ_S10_SG_SL_EUlSZ_E_NS1_11comp_targetILNS1_3genE6ELNS1_11target_archE950ELNS1_3gpuE13ELNS1_3repE0EEENS1_47radix_sort_onesweep_sort_config_static_selectorELNS0_4arch9wavefront6targetE1EEEvSG_
	.p2align	8
	.type	_ZN7rocprim17ROCPRIM_400000_NS6detail17trampoline_kernelINS0_14default_configENS1_35radix_sort_onesweep_config_selectorIllEEZZNS1_29radix_sort_onesweep_iterationIS3_Lb0EPlS7_N6thrust23THRUST_200600_302600_NS10device_ptrIlEESB_jNS0_19identity_decomposerENS1_16block_id_wrapperIjLb0EEEEE10hipError_tT1_PNSt15iterator_traitsISG_E10value_typeET2_T3_PNSH_ISM_E10value_typeET4_T5_PSR_SS_PNS1_23onesweep_lookback_stateEbbT6_jjT7_P12ihipStream_tbENKUlT_T0_SG_SL_E_clIS7_S7_SB_SB_EEDaSZ_S10_SG_SL_EUlSZ_E_NS1_11comp_targetILNS1_3genE6ELNS1_11target_archE950ELNS1_3gpuE13ELNS1_3repE0EEENS1_47radix_sort_onesweep_sort_config_static_selectorELNS0_4arch9wavefront6targetE1EEEvSG_,@function
_ZN7rocprim17ROCPRIM_400000_NS6detail17trampoline_kernelINS0_14default_configENS1_35radix_sort_onesweep_config_selectorIllEEZZNS1_29radix_sort_onesweep_iterationIS3_Lb0EPlS7_N6thrust23THRUST_200600_302600_NS10device_ptrIlEESB_jNS0_19identity_decomposerENS1_16block_id_wrapperIjLb0EEEEE10hipError_tT1_PNSt15iterator_traitsISG_E10value_typeET2_T3_PNSH_ISM_E10value_typeET4_T5_PSR_SS_PNS1_23onesweep_lookback_stateEbbT6_jjT7_P12ihipStream_tbENKUlT_T0_SG_SL_E_clIS7_S7_SB_SB_EEDaSZ_S10_SG_SL_EUlSZ_E_NS1_11comp_targetILNS1_3genE6ELNS1_11target_archE950ELNS1_3gpuE13ELNS1_3repE0EEENS1_47radix_sort_onesweep_sort_config_static_selectorELNS0_4arch9wavefront6targetE1EEEvSG_: ; @_ZN7rocprim17ROCPRIM_400000_NS6detail17trampoline_kernelINS0_14default_configENS1_35radix_sort_onesweep_config_selectorIllEEZZNS1_29radix_sort_onesweep_iterationIS3_Lb0EPlS7_N6thrust23THRUST_200600_302600_NS10device_ptrIlEESB_jNS0_19identity_decomposerENS1_16block_id_wrapperIjLb0EEEEE10hipError_tT1_PNSt15iterator_traitsISG_E10value_typeET2_T3_PNSH_ISM_E10value_typeET4_T5_PSR_SS_PNS1_23onesweep_lookback_stateEbbT6_jjT7_P12ihipStream_tbENKUlT_T0_SG_SL_E_clIS7_S7_SB_SB_EEDaSZ_S10_SG_SL_EUlSZ_E_NS1_11comp_targetILNS1_3genE6ELNS1_11target_archE950ELNS1_3gpuE13ELNS1_3repE0EEENS1_47radix_sort_onesweep_sort_config_static_selectorELNS0_4arch9wavefront6targetE1EEEvSG_
; %bb.0:
	.section	.rodata,"a",@progbits
	.p2align	6, 0x0
	.amdhsa_kernel _ZN7rocprim17ROCPRIM_400000_NS6detail17trampoline_kernelINS0_14default_configENS1_35radix_sort_onesweep_config_selectorIllEEZZNS1_29radix_sort_onesweep_iterationIS3_Lb0EPlS7_N6thrust23THRUST_200600_302600_NS10device_ptrIlEESB_jNS0_19identity_decomposerENS1_16block_id_wrapperIjLb0EEEEE10hipError_tT1_PNSt15iterator_traitsISG_E10value_typeET2_T3_PNSH_ISM_E10value_typeET4_T5_PSR_SS_PNS1_23onesweep_lookback_stateEbbT6_jjT7_P12ihipStream_tbENKUlT_T0_SG_SL_E_clIS7_S7_SB_SB_EEDaSZ_S10_SG_SL_EUlSZ_E_NS1_11comp_targetILNS1_3genE6ELNS1_11target_archE950ELNS1_3gpuE13ELNS1_3repE0EEENS1_47radix_sort_onesweep_sort_config_static_selectorELNS0_4arch9wavefront6targetE1EEEvSG_
		.amdhsa_group_segment_fixed_size 0
		.amdhsa_private_segment_fixed_size 0
		.amdhsa_kernarg_size 88
		.amdhsa_user_sgpr_count 6
		.amdhsa_user_sgpr_private_segment_buffer 1
		.amdhsa_user_sgpr_dispatch_ptr 0
		.amdhsa_user_sgpr_queue_ptr 0
		.amdhsa_user_sgpr_kernarg_segment_ptr 1
		.amdhsa_user_sgpr_dispatch_id 0
		.amdhsa_user_sgpr_flat_scratch_init 0
		.amdhsa_user_sgpr_kernarg_preload_length 0
		.amdhsa_user_sgpr_kernarg_preload_offset 0
		.amdhsa_user_sgpr_private_segment_size 0
		.amdhsa_uses_dynamic_stack 0
		.amdhsa_system_sgpr_private_segment_wavefront_offset 0
		.amdhsa_system_sgpr_workgroup_id_x 1
		.amdhsa_system_sgpr_workgroup_id_y 0
		.amdhsa_system_sgpr_workgroup_id_z 0
		.amdhsa_system_sgpr_workgroup_info 0
		.amdhsa_system_vgpr_workitem_id 0
		.amdhsa_next_free_vgpr 1
		.amdhsa_next_free_sgpr 0
		.amdhsa_accum_offset 4
		.amdhsa_reserve_vcc 0
		.amdhsa_reserve_flat_scratch 0
		.amdhsa_float_round_mode_32 0
		.amdhsa_float_round_mode_16_64 0
		.amdhsa_float_denorm_mode_32 3
		.amdhsa_float_denorm_mode_16_64 3
		.amdhsa_dx10_clamp 1
		.amdhsa_ieee_mode 1
		.amdhsa_fp16_overflow 0
		.amdhsa_tg_split 0
		.amdhsa_exception_fp_ieee_invalid_op 0
		.amdhsa_exception_fp_denorm_src 0
		.amdhsa_exception_fp_ieee_div_zero 0
		.amdhsa_exception_fp_ieee_overflow 0
		.amdhsa_exception_fp_ieee_underflow 0
		.amdhsa_exception_fp_ieee_inexact 0
		.amdhsa_exception_int_div_zero 0
	.end_amdhsa_kernel
	.section	.text._ZN7rocprim17ROCPRIM_400000_NS6detail17trampoline_kernelINS0_14default_configENS1_35radix_sort_onesweep_config_selectorIllEEZZNS1_29radix_sort_onesweep_iterationIS3_Lb0EPlS7_N6thrust23THRUST_200600_302600_NS10device_ptrIlEESB_jNS0_19identity_decomposerENS1_16block_id_wrapperIjLb0EEEEE10hipError_tT1_PNSt15iterator_traitsISG_E10value_typeET2_T3_PNSH_ISM_E10value_typeET4_T5_PSR_SS_PNS1_23onesweep_lookback_stateEbbT6_jjT7_P12ihipStream_tbENKUlT_T0_SG_SL_E_clIS7_S7_SB_SB_EEDaSZ_S10_SG_SL_EUlSZ_E_NS1_11comp_targetILNS1_3genE6ELNS1_11target_archE950ELNS1_3gpuE13ELNS1_3repE0EEENS1_47radix_sort_onesweep_sort_config_static_selectorELNS0_4arch9wavefront6targetE1EEEvSG_,"axG",@progbits,_ZN7rocprim17ROCPRIM_400000_NS6detail17trampoline_kernelINS0_14default_configENS1_35radix_sort_onesweep_config_selectorIllEEZZNS1_29radix_sort_onesweep_iterationIS3_Lb0EPlS7_N6thrust23THRUST_200600_302600_NS10device_ptrIlEESB_jNS0_19identity_decomposerENS1_16block_id_wrapperIjLb0EEEEE10hipError_tT1_PNSt15iterator_traitsISG_E10value_typeET2_T3_PNSH_ISM_E10value_typeET4_T5_PSR_SS_PNS1_23onesweep_lookback_stateEbbT6_jjT7_P12ihipStream_tbENKUlT_T0_SG_SL_E_clIS7_S7_SB_SB_EEDaSZ_S10_SG_SL_EUlSZ_E_NS1_11comp_targetILNS1_3genE6ELNS1_11target_archE950ELNS1_3gpuE13ELNS1_3repE0EEENS1_47radix_sort_onesweep_sort_config_static_selectorELNS0_4arch9wavefront6targetE1EEEvSG_,comdat
.Lfunc_end1160:
	.size	_ZN7rocprim17ROCPRIM_400000_NS6detail17trampoline_kernelINS0_14default_configENS1_35radix_sort_onesweep_config_selectorIllEEZZNS1_29radix_sort_onesweep_iterationIS3_Lb0EPlS7_N6thrust23THRUST_200600_302600_NS10device_ptrIlEESB_jNS0_19identity_decomposerENS1_16block_id_wrapperIjLb0EEEEE10hipError_tT1_PNSt15iterator_traitsISG_E10value_typeET2_T3_PNSH_ISM_E10value_typeET4_T5_PSR_SS_PNS1_23onesweep_lookback_stateEbbT6_jjT7_P12ihipStream_tbENKUlT_T0_SG_SL_E_clIS7_S7_SB_SB_EEDaSZ_S10_SG_SL_EUlSZ_E_NS1_11comp_targetILNS1_3genE6ELNS1_11target_archE950ELNS1_3gpuE13ELNS1_3repE0EEENS1_47radix_sort_onesweep_sort_config_static_selectorELNS0_4arch9wavefront6targetE1EEEvSG_, .Lfunc_end1160-_ZN7rocprim17ROCPRIM_400000_NS6detail17trampoline_kernelINS0_14default_configENS1_35radix_sort_onesweep_config_selectorIllEEZZNS1_29radix_sort_onesweep_iterationIS3_Lb0EPlS7_N6thrust23THRUST_200600_302600_NS10device_ptrIlEESB_jNS0_19identity_decomposerENS1_16block_id_wrapperIjLb0EEEEE10hipError_tT1_PNSt15iterator_traitsISG_E10value_typeET2_T3_PNSH_ISM_E10value_typeET4_T5_PSR_SS_PNS1_23onesweep_lookback_stateEbbT6_jjT7_P12ihipStream_tbENKUlT_T0_SG_SL_E_clIS7_S7_SB_SB_EEDaSZ_S10_SG_SL_EUlSZ_E_NS1_11comp_targetILNS1_3genE6ELNS1_11target_archE950ELNS1_3gpuE13ELNS1_3repE0EEENS1_47radix_sort_onesweep_sort_config_static_selectorELNS0_4arch9wavefront6targetE1EEEvSG_
                                        ; -- End function
	.section	.AMDGPU.csdata,"",@progbits
; Kernel info:
; codeLenInByte = 0
; NumSgprs: 4
; NumVgprs: 0
; NumAgprs: 0
; TotalNumVgprs: 0
; ScratchSize: 0
; MemoryBound: 0
; FloatMode: 240
; IeeeMode: 1
; LDSByteSize: 0 bytes/workgroup (compile time only)
; SGPRBlocks: 0
; VGPRBlocks: 0
; NumSGPRsForWavesPerEU: 4
; NumVGPRsForWavesPerEU: 1
; AccumOffset: 4
; Occupancy: 8
; WaveLimiterHint : 0
; COMPUTE_PGM_RSRC2:SCRATCH_EN: 0
; COMPUTE_PGM_RSRC2:USER_SGPR: 6
; COMPUTE_PGM_RSRC2:TRAP_HANDLER: 0
; COMPUTE_PGM_RSRC2:TGID_X_EN: 1
; COMPUTE_PGM_RSRC2:TGID_Y_EN: 0
; COMPUTE_PGM_RSRC2:TGID_Z_EN: 0
; COMPUTE_PGM_RSRC2:TIDIG_COMP_CNT: 0
; COMPUTE_PGM_RSRC3_GFX90A:ACCUM_OFFSET: 0
; COMPUTE_PGM_RSRC3_GFX90A:TG_SPLIT: 0
	.section	.text._ZN7rocprim17ROCPRIM_400000_NS6detail17trampoline_kernelINS0_14default_configENS1_35radix_sort_onesweep_config_selectorIllEEZZNS1_29radix_sort_onesweep_iterationIS3_Lb0EPlS7_N6thrust23THRUST_200600_302600_NS10device_ptrIlEESB_jNS0_19identity_decomposerENS1_16block_id_wrapperIjLb0EEEEE10hipError_tT1_PNSt15iterator_traitsISG_E10value_typeET2_T3_PNSH_ISM_E10value_typeET4_T5_PSR_SS_PNS1_23onesweep_lookback_stateEbbT6_jjT7_P12ihipStream_tbENKUlT_T0_SG_SL_E_clIS7_S7_SB_SB_EEDaSZ_S10_SG_SL_EUlSZ_E_NS1_11comp_targetILNS1_3genE5ELNS1_11target_archE942ELNS1_3gpuE9ELNS1_3repE0EEENS1_47radix_sort_onesweep_sort_config_static_selectorELNS0_4arch9wavefront6targetE1EEEvSG_,"axG",@progbits,_ZN7rocprim17ROCPRIM_400000_NS6detail17trampoline_kernelINS0_14default_configENS1_35radix_sort_onesweep_config_selectorIllEEZZNS1_29radix_sort_onesweep_iterationIS3_Lb0EPlS7_N6thrust23THRUST_200600_302600_NS10device_ptrIlEESB_jNS0_19identity_decomposerENS1_16block_id_wrapperIjLb0EEEEE10hipError_tT1_PNSt15iterator_traitsISG_E10value_typeET2_T3_PNSH_ISM_E10value_typeET4_T5_PSR_SS_PNS1_23onesweep_lookback_stateEbbT6_jjT7_P12ihipStream_tbENKUlT_T0_SG_SL_E_clIS7_S7_SB_SB_EEDaSZ_S10_SG_SL_EUlSZ_E_NS1_11comp_targetILNS1_3genE5ELNS1_11target_archE942ELNS1_3gpuE9ELNS1_3repE0EEENS1_47radix_sort_onesweep_sort_config_static_selectorELNS0_4arch9wavefront6targetE1EEEvSG_,comdat
	.protected	_ZN7rocprim17ROCPRIM_400000_NS6detail17trampoline_kernelINS0_14default_configENS1_35radix_sort_onesweep_config_selectorIllEEZZNS1_29radix_sort_onesweep_iterationIS3_Lb0EPlS7_N6thrust23THRUST_200600_302600_NS10device_ptrIlEESB_jNS0_19identity_decomposerENS1_16block_id_wrapperIjLb0EEEEE10hipError_tT1_PNSt15iterator_traitsISG_E10value_typeET2_T3_PNSH_ISM_E10value_typeET4_T5_PSR_SS_PNS1_23onesweep_lookback_stateEbbT6_jjT7_P12ihipStream_tbENKUlT_T0_SG_SL_E_clIS7_S7_SB_SB_EEDaSZ_S10_SG_SL_EUlSZ_E_NS1_11comp_targetILNS1_3genE5ELNS1_11target_archE942ELNS1_3gpuE9ELNS1_3repE0EEENS1_47radix_sort_onesweep_sort_config_static_selectorELNS0_4arch9wavefront6targetE1EEEvSG_ ; -- Begin function _ZN7rocprim17ROCPRIM_400000_NS6detail17trampoline_kernelINS0_14default_configENS1_35radix_sort_onesweep_config_selectorIllEEZZNS1_29radix_sort_onesweep_iterationIS3_Lb0EPlS7_N6thrust23THRUST_200600_302600_NS10device_ptrIlEESB_jNS0_19identity_decomposerENS1_16block_id_wrapperIjLb0EEEEE10hipError_tT1_PNSt15iterator_traitsISG_E10value_typeET2_T3_PNSH_ISM_E10value_typeET4_T5_PSR_SS_PNS1_23onesweep_lookback_stateEbbT6_jjT7_P12ihipStream_tbENKUlT_T0_SG_SL_E_clIS7_S7_SB_SB_EEDaSZ_S10_SG_SL_EUlSZ_E_NS1_11comp_targetILNS1_3genE5ELNS1_11target_archE942ELNS1_3gpuE9ELNS1_3repE0EEENS1_47radix_sort_onesweep_sort_config_static_selectorELNS0_4arch9wavefront6targetE1EEEvSG_
	.globl	_ZN7rocprim17ROCPRIM_400000_NS6detail17trampoline_kernelINS0_14default_configENS1_35radix_sort_onesweep_config_selectorIllEEZZNS1_29radix_sort_onesweep_iterationIS3_Lb0EPlS7_N6thrust23THRUST_200600_302600_NS10device_ptrIlEESB_jNS0_19identity_decomposerENS1_16block_id_wrapperIjLb0EEEEE10hipError_tT1_PNSt15iterator_traitsISG_E10value_typeET2_T3_PNSH_ISM_E10value_typeET4_T5_PSR_SS_PNS1_23onesweep_lookback_stateEbbT6_jjT7_P12ihipStream_tbENKUlT_T0_SG_SL_E_clIS7_S7_SB_SB_EEDaSZ_S10_SG_SL_EUlSZ_E_NS1_11comp_targetILNS1_3genE5ELNS1_11target_archE942ELNS1_3gpuE9ELNS1_3repE0EEENS1_47radix_sort_onesweep_sort_config_static_selectorELNS0_4arch9wavefront6targetE1EEEvSG_
	.p2align	8
	.type	_ZN7rocprim17ROCPRIM_400000_NS6detail17trampoline_kernelINS0_14default_configENS1_35radix_sort_onesweep_config_selectorIllEEZZNS1_29radix_sort_onesweep_iterationIS3_Lb0EPlS7_N6thrust23THRUST_200600_302600_NS10device_ptrIlEESB_jNS0_19identity_decomposerENS1_16block_id_wrapperIjLb0EEEEE10hipError_tT1_PNSt15iterator_traitsISG_E10value_typeET2_T3_PNSH_ISM_E10value_typeET4_T5_PSR_SS_PNS1_23onesweep_lookback_stateEbbT6_jjT7_P12ihipStream_tbENKUlT_T0_SG_SL_E_clIS7_S7_SB_SB_EEDaSZ_S10_SG_SL_EUlSZ_E_NS1_11comp_targetILNS1_3genE5ELNS1_11target_archE942ELNS1_3gpuE9ELNS1_3repE0EEENS1_47radix_sort_onesweep_sort_config_static_selectorELNS0_4arch9wavefront6targetE1EEEvSG_,@function
_ZN7rocprim17ROCPRIM_400000_NS6detail17trampoline_kernelINS0_14default_configENS1_35radix_sort_onesweep_config_selectorIllEEZZNS1_29radix_sort_onesweep_iterationIS3_Lb0EPlS7_N6thrust23THRUST_200600_302600_NS10device_ptrIlEESB_jNS0_19identity_decomposerENS1_16block_id_wrapperIjLb0EEEEE10hipError_tT1_PNSt15iterator_traitsISG_E10value_typeET2_T3_PNSH_ISM_E10value_typeET4_T5_PSR_SS_PNS1_23onesweep_lookback_stateEbbT6_jjT7_P12ihipStream_tbENKUlT_T0_SG_SL_E_clIS7_S7_SB_SB_EEDaSZ_S10_SG_SL_EUlSZ_E_NS1_11comp_targetILNS1_3genE5ELNS1_11target_archE942ELNS1_3gpuE9ELNS1_3repE0EEENS1_47radix_sort_onesweep_sort_config_static_selectorELNS0_4arch9wavefront6targetE1EEEvSG_: ; @_ZN7rocprim17ROCPRIM_400000_NS6detail17trampoline_kernelINS0_14default_configENS1_35radix_sort_onesweep_config_selectorIllEEZZNS1_29radix_sort_onesweep_iterationIS3_Lb0EPlS7_N6thrust23THRUST_200600_302600_NS10device_ptrIlEESB_jNS0_19identity_decomposerENS1_16block_id_wrapperIjLb0EEEEE10hipError_tT1_PNSt15iterator_traitsISG_E10value_typeET2_T3_PNSH_ISM_E10value_typeET4_T5_PSR_SS_PNS1_23onesweep_lookback_stateEbbT6_jjT7_P12ihipStream_tbENKUlT_T0_SG_SL_E_clIS7_S7_SB_SB_EEDaSZ_S10_SG_SL_EUlSZ_E_NS1_11comp_targetILNS1_3genE5ELNS1_11target_archE942ELNS1_3gpuE9ELNS1_3repE0EEENS1_47radix_sort_onesweep_sort_config_static_selectorELNS0_4arch9wavefront6targetE1EEEvSG_
; %bb.0:
	.section	.rodata,"a",@progbits
	.p2align	6, 0x0
	.amdhsa_kernel _ZN7rocprim17ROCPRIM_400000_NS6detail17trampoline_kernelINS0_14default_configENS1_35radix_sort_onesweep_config_selectorIllEEZZNS1_29radix_sort_onesweep_iterationIS3_Lb0EPlS7_N6thrust23THRUST_200600_302600_NS10device_ptrIlEESB_jNS0_19identity_decomposerENS1_16block_id_wrapperIjLb0EEEEE10hipError_tT1_PNSt15iterator_traitsISG_E10value_typeET2_T3_PNSH_ISM_E10value_typeET4_T5_PSR_SS_PNS1_23onesweep_lookback_stateEbbT6_jjT7_P12ihipStream_tbENKUlT_T0_SG_SL_E_clIS7_S7_SB_SB_EEDaSZ_S10_SG_SL_EUlSZ_E_NS1_11comp_targetILNS1_3genE5ELNS1_11target_archE942ELNS1_3gpuE9ELNS1_3repE0EEENS1_47radix_sort_onesweep_sort_config_static_selectorELNS0_4arch9wavefront6targetE1EEEvSG_
		.amdhsa_group_segment_fixed_size 0
		.amdhsa_private_segment_fixed_size 0
		.amdhsa_kernarg_size 88
		.amdhsa_user_sgpr_count 6
		.amdhsa_user_sgpr_private_segment_buffer 1
		.amdhsa_user_sgpr_dispatch_ptr 0
		.amdhsa_user_sgpr_queue_ptr 0
		.amdhsa_user_sgpr_kernarg_segment_ptr 1
		.amdhsa_user_sgpr_dispatch_id 0
		.amdhsa_user_sgpr_flat_scratch_init 0
		.amdhsa_user_sgpr_kernarg_preload_length 0
		.amdhsa_user_sgpr_kernarg_preload_offset 0
		.amdhsa_user_sgpr_private_segment_size 0
		.amdhsa_uses_dynamic_stack 0
		.amdhsa_system_sgpr_private_segment_wavefront_offset 0
		.amdhsa_system_sgpr_workgroup_id_x 1
		.amdhsa_system_sgpr_workgroup_id_y 0
		.amdhsa_system_sgpr_workgroup_id_z 0
		.amdhsa_system_sgpr_workgroup_info 0
		.amdhsa_system_vgpr_workitem_id 0
		.amdhsa_next_free_vgpr 1
		.amdhsa_next_free_sgpr 0
		.amdhsa_accum_offset 4
		.amdhsa_reserve_vcc 0
		.amdhsa_reserve_flat_scratch 0
		.amdhsa_float_round_mode_32 0
		.amdhsa_float_round_mode_16_64 0
		.amdhsa_float_denorm_mode_32 3
		.amdhsa_float_denorm_mode_16_64 3
		.amdhsa_dx10_clamp 1
		.amdhsa_ieee_mode 1
		.amdhsa_fp16_overflow 0
		.amdhsa_tg_split 0
		.amdhsa_exception_fp_ieee_invalid_op 0
		.amdhsa_exception_fp_denorm_src 0
		.amdhsa_exception_fp_ieee_div_zero 0
		.amdhsa_exception_fp_ieee_overflow 0
		.amdhsa_exception_fp_ieee_underflow 0
		.amdhsa_exception_fp_ieee_inexact 0
		.amdhsa_exception_int_div_zero 0
	.end_amdhsa_kernel
	.section	.text._ZN7rocprim17ROCPRIM_400000_NS6detail17trampoline_kernelINS0_14default_configENS1_35radix_sort_onesweep_config_selectorIllEEZZNS1_29radix_sort_onesweep_iterationIS3_Lb0EPlS7_N6thrust23THRUST_200600_302600_NS10device_ptrIlEESB_jNS0_19identity_decomposerENS1_16block_id_wrapperIjLb0EEEEE10hipError_tT1_PNSt15iterator_traitsISG_E10value_typeET2_T3_PNSH_ISM_E10value_typeET4_T5_PSR_SS_PNS1_23onesweep_lookback_stateEbbT6_jjT7_P12ihipStream_tbENKUlT_T0_SG_SL_E_clIS7_S7_SB_SB_EEDaSZ_S10_SG_SL_EUlSZ_E_NS1_11comp_targetILNS1_3genE5ELNS1_11target_archE942ELNS1_3gpuE9ELNS1_3repE0EEENS1_47radix_sort_onesweep_sort_config_static_selectorELNS0_4arch9wavefront6targetE1EEEvSG_,"axG",@progbits,_ZN7rocprim17ROCPRIM_400000_NS6detail17trampoline_kernelINS0_14default_configENS1_35radix_sort_onesweep_config_selectorIllEEZZNS1_29radix_sort_onesweep_iterationIS3_Lb0EPlS7_N6thrust23THRUST_200600_302600_NS10device_ptrIlEESB_jNS0_19identity_decomposerENS1_16block_id_wrapperIjLb0EEEEE10hipError_tT1_PNSt15iterator_traitsISG_E10value_typeET2_T3_PNSH_ISM_E10value_typeET4_T5_PSR_SS_PNS1_23onesweep_lookback_stateEbbT6_jjT7_P12ihipStream_tbENKUlT_T0_SG_SL_E_clIS7_S7_SB_SB_EEDaSZ_S10_SG_SL_EUlSZ_E_NS1_11comp_targetILNS1_3genE5ELNS1_11target_archE942ELNS1_3gpuE9ELNS1_3repE0EEENS1_47radix_sort_onesweep_sort_config_static_selectorELNS0_4arch9wavefront6targetE1EEEvSG_,comdat
.Lfunc_end1161:
	.size	_ZN7rocprim17ROCPRIM_400000_NS6detail17trampoline_kernelINS0_14default_configENS1_35radix_sort_onesweep_config_selectorIllEEZZNS1_29radix_sort_onesweep_iterationIS3_Lb0EPlS7_N6thrust23THRUST_200600_302600_NS10device_ptrIlEESB_jNS0_19identity_decomposerENS1_16block_id_wrapperIjLb0EEEEE10hipError_tT1_PNSt15iterator_traitsISG_E10value_typeET2_T3_PNSH_ISM_E10value_typeET4_T5_PSR_SS_PNS1_23onesweep_lookback_stateEbbT6_jjT7_P12ihipStream_tbENKUlT_T0_SG_SL_E_clIS7_S7_SB_SB_EEDaSZ_S10_SG_SL_EUlSZ_E_NS1_11comp_targetILNS1_3genE5ELNS1_11target_archE942ELNS1_3gpuE9ELNS1_3repE0EEENS1_47radix_sort_onesweep_sort_config_static_selectorELNS0_4arch9wavefront6targetE1EEEvSG_, .Lfunc_end1161-_ZN7rocprim17ROCPRIM_400000_NS6detail17trampoline_kernelINS0_14default_configENS1_35radix_sort_onesweep_config_selectorIllEEZZNS1_29radix_sort_onesweep_iterationIS3_Lb0EPlS7_N6thrust23THRUST_200600_302600_NS10device_ptrIlEESB_jNS0_19identity_decomposerENS1_16block_id_wrapperIjLb0EEEEE10hipError_tT1_PNSt15iterator_traitsISG_E10value_typeET2_T3_PNSH_ISM_E10value_typeET4_T5_PSR_SS_PNS1_23onesweep_lookback_stateEbbT6_jjT7_P12ihipStream_tbENKUlT_T0_SG_SL_E_clIS7_S7_SB_SB_EEDaSZ_S10_SG_SL_EUlSZ_E_NS1_11comp_targetILNS1_3genE5ELNS1_11target_archE942ELNS1_3gpuE9ELNS1_3repE0EEENS1_47radix_sort_onesweep_sort_config_static_selectorELNS0_4arch9wavefront6targetE1EEEvSG_
                                        ; -- End function
	.section	.AMDGPU.csdata,"",@progbits
; Kernel info:
; codeLenInByte = 0
; NumSgprs: 4
; NumVgprs: 0
; NumAgprs: 0
; TotalNumVgprs: 0
; ScratchSize: 0
; MemoryBound: 0
; FloatMode: 240
; IeeeMode: 1
; LDSByteSize: 0 bytes/workgroup (compile time only)
; SGPRBlocks: 0
; VGPRBlocks: 0
; NumSGPRsForWavesPerEU: 4
; NumVGPRsForWavesPerEU: 1
; AccumOffset: 4
; Occupancy: 8
; WaveLimiterHint : 0
; COMPUTE_PGM_RSRC2:SCRATCH_EN: 0
; COMPUTE_PGM_RSRC2:USER_SGPR: 6
; COMPUTE_PGM_RSRC2:TRAP_HANDLER: 0
; COMPUTE_PGM_RSRC2:TGID_X_EN: 1
; COMPUTE_PGM_RSRC2:TGID_Y_EN: 0
; COMPUTE_PGM_RSRC2:TGID_Z_EN: 0
; COMPUTE_PGM_RSRC2:TIDIG_COMP_CNT: 0
; COMPUTE_PGM_RSRC3_GFX90A:ACCUM_OFFSET: 0
; COMPUTE_PGM_RSRC3_GFX90A:TG_SPLIT: 0
	.section	.text._ZN7rocprim17ROCPRIM_400000_NS6detail17trampoline_kernelINS0_14default_configENS1_35radix_sort_onesweep_config_selectorIllEEZZNS1_29radix_sort_onesweep_iterationIS3_Lb0EPlS7_N6thrust23THRUST_200600_302600_NS10device_ptrIlEESB_jNS0_19identity_decomposerENS1_16block_id_wrapperIjLb0EEEEE10hipError_tT1_PNSt15iterator_traitsISG_E10value_typeET2_T3_PNSH_ISM_E10value_typeET4_T5_PSR_SS_PNS1_23onesweep_lookback_stateEbbT6_jjT7_P12ihipStream_tbENKUlT_T0_SG_SL_E_clIS7_S7_SB_SB_EEDaSZ_S10_SG_SL_EUlSZ_E_NS1_11comp_targetILNS1_3genE2ELNS1_11target_archE906ELNS1_3gpuE6ELNS1_3repE0EEENS1_47radix_sort_onesweep_sort_config_static_selectorELNS0_4arch9wavefront6targetE1EEEvSG_,"axG",@progbits,_ZN7rocprim17ROCPRIM_400000_NS6detail17trampoline_kernelINS0_14default_configENS1_35radix_sort_onesweep_config_selectorIllEEZZNS1_29radix_sort_onesweep_iterationIS3_Lb0EPlS7_N6thrust23THRUST_200600_302600_NS10device_ptrIlEESB_jNS0_19identity_decomposerENS1_16block_id_wrapperIjLb0EEEEE10hipError_tT1_PNSt15iterator_traitsISG_E10value_typeET2_T3_PNSH_ISM_E10value_typeET4_T5_PSR_SS_PNS1_23onesweep_lookback_stateEbbT6_jjT7_P12ihipStream_tbENKUlT_T0_SG_SL_E_clIS7_S7_SB_SB_EEDaSZ_S10_SG_SL_EUlSZ_E_NS1_11comp_targetILNS1_3genE2ELNS1_11target_archE906ELNS1_3gpuE6ELNS1_3repE0EEENS1_47radix_sort_onesweep_sort_config_static_selectorELNS0_4arch9wavefront6targetE1EEEvSG_,comdat
	.protected	_ZN7rocprim17ROCPRIM_400000_NS6detail17trampoline_kernelINS0_14default_configENS1_35radix_sort_onesweep_config_selectorIllEEZZNS1_29radix_sort_onesweep_iterationIS3_Lb0EPlS7_N6thrust23THRUST_200600_302600_NS10device_ptrIlEESB_jNS0_19identity_decomposerENS1_16block_id_wrapperIjLb0EEEEE10hipError_tT1_PNSt15iterator_traitsISG_E10value_typeET2_T3_PNSH_ISM_E10value_typeET4_T5_PSR_SS_PNS1_23onesweep_lookback_stateEbbT6_jjT7_P12ihipStream_tbENKUlT_T0_SG_SL_E_clIS7_S7_SB_SB_EEDaSZ_S10_SG_SL_EUlSZ_E_NS1_11comp_targetILNS1_3genE2ELNS1_11target_archE906ELNS1_3gpuE6ELNS1_3repE0EEENS1_47radix_sort_onesweep_sort_config_static_selectorELNS0_4arch9wavefront6targetE1EEEvSG_ ; -- Begin function _ZN7rocprim17ROCPRIM_400000_NS6detail17trampoline_kernelINS0_14default_configENS1_35radix_sort_onesweep_config_selectorIllEEZZNS1_29radix_sort_onesweep_iterationIS3_Lb0EPlS7_N6thrust23THRUST_200600_302600_NS10device_ptrIlEESB_jNS0_19identity_decomposerENS1_16block_id_wrapperIjLb0EEEEE10hipError_tT1_PNSt15iterator_traitsISG_E10value_typeET2_T3_PNSH_ISM_E10value_typeET4_T5_PSR_SS_PNS1_23onesweep_lookback_stateEbbT6_jjT7_P12ihipStream_tbENKUlT_T0_SG_SL_E_clIS7_S7_SB_SB_EEDaSZ_S10_SG_SL_EUlSZ_E_NS1_11comp_targetILNS1_3genE2ELNS1_11target_archE906ELNS1_3gpuE6ELNS1_3repE0EEENS1_47radix_sort_onesweep_sort_config_static_selectorELNS0_4arch9wavefront6targetE1EEEvSG_
	.globl	_ZN7rocprim17ROCPRIM_400000_NS6detail17trampoline_kernelINS0_14default_configENS1_35radix_sort_onesweep_config_selectorIllEEZZNS1_29radix_sort_onesweep_iterationIS3_Lb0EPlS7_N6thrust23THRUST_200600_302600_NS10device_ptrIlEESB_jNS0_19identity_decomposerENS1_16block_id_wrapperIjLb0EEEEE10hipError_tT1_PNSt15iterator_traitsISG_E10value_typeET2_T3_PNSH_ISM_E10value_typeET4_T5_PSR_SS_PNS1_23onesweep_lookback_stateEbbT6_jjT7_P12ihipStream_tbENKUlT_T0_SG_SL_E_clIS7_S7_SB_SB_EEDaSZ_S10_SG_SL_EUlSZ_E_NS1_11comp_targetILNS1_3genE2ELNS1_11target_archE906ELNS1_3gpuE6ELNS1_3repE0EEENS1_47radix_sort_onesweep_sort_config_static_selectorELNS0_4arch9wavefront6targetE1EEEvSG_
	.p2align	8
	.type	_ZN7rocprim17ROCPRIM_400000_NS6detail17trampoline_kernelINS0_14default_configENS1_35radix_sort_onesweep_config_selectorIllEEZZNS1_29radix_sort_onesweep_iterationIS3_Lb0EPlS7_N6thrust23THRUST_200600_302600_NS10device_ptrIlEESB_jNS0_19identity_decomposerENS1_16block_id_wrapperIjLb0EEEEE10hipError_tT1_PNSt15iterator_traitsISG_E10value_typeET2_T3_PNSH_ISM_E10value_typeET4_T5_PSR_SS_PNS1_23onesweep_lookback_stateEbbT6_jjT7_P12ihipStream_tbENKUlT_T0_SG_SL_E_clIS7_S7_SB_SB_EEDaSZ_S10_SG_SL_EUlSZ_E_NS1_11comp_targetILNS1_3genE2ELNS1_11target_archE906ELNS1_3gpuE6ELNS1_3repE0EEENS1_47radix_sort_onesweep_sort_config_static_selectorELNS0_4arch9wavefront6targetE1EEEvSG_,@function
_ZN7rocprim17ROCPRIM_400000_NS6detail17trampoline_kernelINS0_14default_configENS1_35radix_sort_onesweep_config_selectorIllEEZZNS1_29radix_sort_onesweep_iterationIS3_Lb0EPlS7_N6thrust23THRUST_200600_302600_NS10device_ptrIlEESB_jNS0_19identity_decomposerENS1_16block_id_wrapperIjLb0EEEEE10hipError_tT1_PNSt15iterator_traitsISG_E10value_typeET2_T3_PNSH_ISM_E10value_typeET4_T5_PSR_SS_PNS1_23onesweep_lookback_stateEbbT6_jjT7_P12ihipStream_tbENKUlT_T0_SG_SL_E_clIS7_S7_SB_SB_EEDaSZ_S10_SG_SL_EUlSZ_E_NS1_11comp_targetILNS1_3genE2ELNS1_11target_archE906ELNS1_3gpuE6ELNS1_3repE0EEENS1_47radix_sort_onesweep_sort_config_static_selectorELNS0_4arch9wavefront6targetE1EEEvSG_: ; @_ZN7rocprim17ROCPRIM_400000_NS6detail17trampoline_kernelINS0_14default_configENS1_35radix_sort_onesweep_config_selectorIllEEZZNS1_29radix_sort_onesweep_iterationIS3_Lb0EPlS7_N6thrust23THRUST_200600_302600_NS10device_ptrIlEESB_jNS0_19identity_decomposerENS1_16block_id_wrapperIjLb0EEEEE10hipError_tT1_PNSt15iterator_traitsISG_E10value_typeET2_T3_PNSH_ISM_E10value_typeET4_T5_PSR_SS_PNS1_23onesweep_lookback_stateEbbT6_jjT7_P12ihipStream_tbENKUlT_T0_SG_SL_E_clIS7_S7_SB_SB_EEDaSZ_S10_SG_SL_EUlSZ_E_NS1_11comp_targetILNS1_3genE2ELNS1_11target_archE906ELNS1_3gpuE6ELNS1_3repE0EEENS1_47radix_sort_onesweep_sort_config_static_selectorELNS0_4arch9wavefront6targetE1EEEvSG_
; %bb.0:
	.section	.rodata,"a",@progbits
	.p2align	6, 0x0
	.amdhsa_kernel _ZN7rocprim17ROCPRIM_400000_NS6detail17trampoline_kernelINS0_14default_configENS1_35radix_sort_onesweep_config_selectorIllEEZZNS1_29radix_sort_onesweep_iterationIS3_Lb0EPlS7_N6thrust23THRUST_200600_302600_NS10device_ptrIlEESB_jNS0_19identity_decomposerENS1_16block_id_wrapperIjLb0EEEEE10hipError_tT1_PNSt15iterator_traitsISG_E10value_typeET2_T3_PNSH_ISM_E10value_typeET4_T5_PSR_SS_PNS1_23onesweep_lookback_stateEbbT6_jjT7_P12ihipStream_tbENKUlT_T0_SG_SL_E_clIS7_S7_SB_SB_EEDaSZ_S10_SG_SL_EUlSZ_E_NS1_11comp_targetILNS1_3genE2ELNS1_11target_archE906ELNS1_3gpuE6ELNS1_3repE0EEENS1_47radix_sort_onesweep_sort_config_static_selectorELNS0_4arch9wavefront6targetE1EEEvSG_
		.amdhsa_group_segment_fixed_size 0
		.amdhsa_private_segment_fixed_size 0
		.amdhsa_kernarg_size 88
		.amdhsa_user_sgpr_count 6
		.amdhsa_user_sgpr_private_segment_buffer 1
		.amdhsa_user_sgpr_dispatch_ptr 0
		.amdhsa_user_sgpr_queue_ptr 0
		.amdhsa_user_sgpr_kernarg_segment_ptr 1
		.amdhsa_user_sgpr_dispatch_id 0
		.amdhsa_user_sgpr_flat_scratch_init 0
		.amdhsa_user_sgpr_kernarg_preload_length 0
		.amdhsa_user_sgpr_kernarg_preload_offset 0
		.amdhsa_user_sgpr_private_segment_size 0
		.amdhsa_uses_dynamic_stack 0
		.amdhsa_system_sgpr_private_segment_wavefront_offset 0
		.amdhsa_system_sgpr_workgroup_id_x 1
		.amdhsa_system_sgpr_workgroup_id_y 0
		.amdhsa_system_sgpr_workgroup_id_z 0
		.amdhsa_system_sgpr_workgroup_info 0
		.amdhsa_system_vgpr_workitem_id 0
		.amdhsa_next_free_vgpr 1
		.amdhsa_next_free_sgpr 0
		.amdhsa_accum_offset 4
		.amdhsa_reserve_vcc 0
		.amdhsa_reserve_flat_scratch 0
		.amdhsa_float_round_mode_32 0
		.amdhsa_float_round_mode_16_64 0
		.amdhsa_float_denorm_mode_32 3
		.amdhsa_float_denorm_mode_16_64 3
		.amdhsa_dx10_clamp 1
		.amdhsa_ieee_mode 1
		.amdhsa_fp16_overflow 0
		.amdhsa_tg_split 0
		.amdhsa_exception_fp_ieee_invalid_op 0
		.amdhsa_exception_fp_denorm_src 0
		.amdhsa_exception_fp_ieee_div_zero 0
		.amdhsa_exception_fp_ieee_overflow 0
		.amdhsa_exception_fp_ieee_underflow 0
		.amdhsa_exception_fp_ieee_inexact 0
		.amdhsa_exception_int_div_zero 0
	.end_amdhsa_kernel
	.section	.text._ZN7rocprim17ROCPRIM_400000_NS6detail17trampoline_kernelINS0_14default_configENS1_35radix_sort_onesweep_config_selectorIllEEZZNS1_29radix_sort_onesweep_iterationIS3_Lb0EPlS7_N6thrust23THRUST_200600_302600_NS10device_ptrIlEESB_jNS0_19identity_decomposerENS1_16block_id_wrapperIjLb0EEEEE10hipError_tT1_PNSt15iterator_traitsISG_E10value_typeET2_T3_PNSH_ISM_E10value_typeET4_T5_PSR_SS_PNS1_23onesweep_lookback_stateEbbT6_jjT7_P12ihipStream_tbENKUlT_T0_SG_SL_E_clIS7_S7_SB_SB_EEDaSZ_S10_SG_SL_EUlSZ_E_NS1_11comp_targetILNS1_3genE2ELNS1_11target_archE906ELNS1_3gpuE6ELNS1_3repE0EEENS1_47radix_sort_onesweep_sort_config_static_selectorELNS0_4arch9wavefront6targetE1EEEvSG_,"axG",@progbits,_ZN7rocprim17ROCPRIM_400000_NS6detail17trampoline_kernelINS0_14default_configENS1_35radix_sort_onesweep_config_selectorIllEEZZNS1_29radix_sort_onesweep_iterationIS3_Lb0EPlS7_N6thrust23THRUST_200600_302600_NS10device_ptrIlEESB_jNS0_19identity_decomposerENS1_16block_id_wrapperIjLb0EEEEE10hipError_tT1_PNSt15iterator_traitsISG_E10value_typeET2_T3_PNSH_ISM_E10value_typeET4_T5_PSR_SS_PNS1_23onesweep_lookback_stateEbbT6_jjT7_P12ihipStream_tbENKUlT_T0_SG_SL_E_clIS7_S7_SB_SB_EEDaSZ_S10_SG_SL_EUlSZ_E_NS1_11comp_targetILNS1_3genE2ELNS1_11target_archE906ELNS1_3gpuE6ELNS1_3repE0EEENS1_47radix_sort_onesweep_sort_config_static_selectorELNS0_4arch9wavefront6targetE1EEEvSG_,comdat
.Lfunc_end1162:
	.size	_ZN7rocprim17ROCPRIM_400000_NS6detail17trampoline_kernelINS0_14default_configENS1_35radix_sort_onesweep_config_selectorIllEEZZNS1_29radix_sort_onesweep_iterationIS3_Lb0EPlS7_N6thrust23THRUST_200600_302600_NS10device_ptrIlEESB_jNS0_19identity_decomposerENS1_16block_id_wrapperIjLb0EEEEE10hipError_tT1_PNSt15iterator_traitsISG_E10value_typeET2_T3_PNSH_ISM_E10value_typeET4_T5_PSR_SS_PNS1_23onesweep_lookback_stateEbbT6_jjT7_P12ihipStream_tbENKUlT_T0_SG_SL_E_clIS7_S7_SB_SB_EEDaSZ_S10_SG_SL_EUlSZ_E_NS1_11comp_targetILNS1_3genE2ELNS1_11target_archE906ELNS1_3gpuE6ELNS1_3repE0EEENS1_47radix_sort_onesweep_sort_config_static_selectorELNS0_4arch9wavefront6targetE1EEEvSG_, .Lfunc_end1162-_ZN7rocprim17ROCPRIM_400000_NS6detail17trampoline_kernelINS0_14default_configENS1_35radix_sort_onesweep_config_selectorIllEEZZNS1_29radix_sort_onesweep_iterationIS3_Lb0EPlS7_N6thrust23THRUST_200600_302600_NS10device_ptrIlEESB_jNS0_19identity_decomposerENS1_16block_id_wrapperIjLb0EEEEE10hipError_tT1_PNSt15iterator_traitsISG_E10value_typeET2_T3_PNSH_ISM_E10value_typeET4_T5_PSR_SS_PNS1_23onesweep_lookback_stateEbbT6_jjT7_P12ihipStream_tbENKUlT_T0_SG_SL_E_clIS7_S7_SB_SB_EEDaSZ_S10_SG_SL_EUlSZ_E_NS1_11comp_targetILNS1_3genE2ELNS1_11target_archE906ELNS1_3gpuE6ELNS1_3repE0EEENS1_47radix_sort_onesweep_sort_config_static_selectorELNS0_4arch9wavefront6targetE1EEEvSG_
                                        ; -- End function
	.section	.AMDGPU.csdata,"",@progbits
; Kernel info:
; codeLenInByte = 0
; NumSgprs: 4
; NumVgprs: 0
; NumAgprs: 0
; TotalNumVgprs: 0
; ScratchSize: 0
; MemoryBound: 0
; FloatMode: 240
; IeeeMode: 1
; LDSByteSize: 0 bytes/workgroup (compile time only)
; SGPRBlocks: 0
; VGPRBlocks: 0
; NumSGPRsForWavesPerEU: 4
; NumVGPRsForWavesPerEU: 1
; AccumOffset: 4
; Occupancy: 8
; WaveLimiterHint : 0
; COMPUTE_PGM_RSRC2:SCRATCH_EN: 0
; COMPUTE_PGM_RSRC2:USER_SGPR: 6
; COMPUTE_PGM_RSRC2:TRAP_HANDLER: 0
; COMPUTE_PGM_RSRC2:TGID_X_EN: 1
; COMPUTE_PGM_RSRC2:TGID_Y_EN: 0
; COMPUTE_PGM_RSRC2:TGID_Z_EN: 0
; COMPUTE_PGM_RSRC2:TIDIG_COMP_CNT: 0
; COMPUTE_PGM_RSRC3_GFX90A:ACCUM_OFFSET: 0
; COMPUTE_PGM_RSRC3_GFX90A:TG_SPLIT: 0
	.section	.text._ZN7rocprim17ROCPRIM_400000_NS6detail17trampoline_kernelINS0_14default_configENS1_35radix_sort_onesweep_config_selectorIllEEZZNS1_29radix_sort_onesweep_iterationIS3_Lb0EPlS7_N6thrust23THRUST_200600_302600_NS10device_ptrIlEESB_jNS0_19identity_decomposerENS1_16block_id_wrapperIjLb0EEEEE10hipError_tT1_PNSt15iterator_traitsISG_E10value_typeET2_T3_PNSH_ISM_E10value_typeET4_T5_PSR_SS_PNS1_23onesweep_lookback_stateEbbT6_jjT7_P12ihipStream_tbENKUlT_T0_SG_SL_E_clIS7_S7_SB_SB_EEDaSZ_S10_SG_SL_EUlSZ_E_NS1_11comp_targetILNS1_3genE4ELNS1_11target_archE910ELNS1_3gpuE8ELNS1_3repE0EEENS1_47radix_sort_onesweep_sort_config_static_selectorELNS0_4arch9wavefront6targetE1EEEvSG_,"axG",@progbits,_ZN7rocprim17ROCPRIM_400000_NS6detail17trampoline_kernelINS0_14default_configENS1_35radix_sort_onesweep_config_selectorIllEEZZNS1_29radix_sort_onesweep_iterationIS3_Lb0EPlS7_N6thrust23THRUST_200600_302600_NS10device_ptrIlEESB_jNS0_19identity_decomposerENS1_16block_id_wrapperIjLb0EEEEE10hipError_tT1_PNSt15iterator_traitsISG_E10value_typeET2_T3_PNSH_ISM_E10value_typeET4_T5_PSR_SS_PNS1_23onesweep_lookback_stateEbbT6_jjT7_P12ihipStream_tbENKUlT_T0_SG_SL_E_clIS7_S7_SB_SB_EEDaSZ_S10_SG_SL_EUlSZ_E_NS1_11comp_targetILNS1_3genE4ELNS1_11target_archE910ELNS1_3gpuE8ELNS1_3repE0EEENS1_47radix_sort_onesweep_sort_config_static_selectorELNS0_4arch9wavefront6targetE1EEEvSG_,comdat
	.protected	_ZN7rocprim17ROCPRIM_400000_NS6detail17trampoline_kernelINS0_14default_configENS1_35radix_sort_onesweep_config_selectorIllEEZZNS1_29radix_sort_onesweep_iterationIS3_Lb0EPlS7_N6thrust23THRUST_200600_302600_NS10device_ptrIlEESB_jNS0_19identity_decomposerENS1_16block_id_wrapperIjLb0EEEEE10hipError_tT1_PNSt15iterator_traitsISG_E10value_typeET2_T3_PNSH_ISM_E10value_typeET4_T5_PSR_SS_PNS1_23onesweep_lookback_stateEbbT6_jjT7_P12ihipStream_tbENKUlT_T0_SG_SL_E_clIS7_S7_SB_SB_EEDaSZ_S10_SG_SL_EUlSZ_E_NS1_11comp_targetILNS1_3genE4ELNS1_11target_archE910ELNS1_3gpuE8ELNS1_3repE0EEENS1_47radix_sort_onesweep_sort_config_static_selectorELNS0_4arch9wavefront6targetE1EEEvSG_ ; -- Begin function _ZN7rocprim17ROCPRIM_400000_NS6detail17trampoline_kernelINS0_14default_configENS1_35radix_sort_onesweep_config_selectorIllEEZZNS1_29radix_sort_onesweep_iterationIS3_Lb0EPlS7_N6thrust23THRUST_200600_302600_NS10device_ptrIlEESB_jNS0_19identity_decomposerENS1_16block_id_wrapperIjLb0EEEEE10hipError_tT1_PNSt15iterator_traitsISG_E10value_typeET2_T3_PNSH_ISM_E10value_typeET4_T5_PSR_SS_PNS1_23onesweep_lookback_stateEbbT6_jjT7_P12ihipStream_tbENKUlT_T0_SG_SL_E_clIS7_S7_SB_SB_EEDaSZ_S10_SG_SL_EUlSZ_E_NS1_11comp_targetILNS1_3genE4ELNS1_11target_archE910ELNS1_3gpuE8ELNS1_3repE0EEENS1_47radix_sort_onesweep_sort_config_static_selectorELNS0_4arch9wavefront6targetE1EEEvSG_
	.globl	_ZN7rocprim17ROCPRIM_400000_NS6detail17trampoline_kernelINS0_14default_configENS1_35radix_sort_onesweep_config_selectorIllEEZZNS1_29radix_sort_onesweep_iterationIS3_Lb0EPlS7_N6thrust23THRUST_200600_302600_NS10device_ptrIlEESB_jNS0_19identity_decomposerENS1_16block_id_wrapperIjLb0EEEEE10hipError_tT1_PNSt15iterator_traitsISG_E10value_typeET2_T3_PNSH_ISM_E10value_typeET4_T5_PSR_SS_PNS1_23onesweep_lookback_stateEbbT6_jjT7_P12ihipStream_tbENKUlT_T0_SG_SL_E_clIS7_S7_SB_SB_EEDaSZ_S10_SG_SL_EUlSZ_E_NS1_11comp_targetILNS1_3genE4ELNS1_11target_archE910ELNS1_3gpuE8ELNS1_3repE0EEENS1_47radix_sort_onesweep_sort_config_static_selectorELNS0_4arch9wavefront6targetE1EEEvSG_
	.p2align	8
	.type	_ZN7rocprim17ROCPRIM_400000_NS6detail17trampoline_kernelINS0_14default_configENS1_35radix_sort_onesweep_config_selectorIllEEZZNS1_29radix_sort_onesweep_iterationIS3_Lb0EPlS7_N6thrust23THRUST_200600_302600_NS10device_ptrIlEESB_jNS0_19identity_decomposerENS1_16block_id_wrapperIjLb0EEEEE10hipError_tT1_PNSt15iterator_traitsISG_E10value_typeET2_T3_PNSH_ISM_E10value_typeET4_T5_PSR_SS_PNS1_23onesweep_lookback_stateEbbT6_jjT7_P12ihipStream_tbENKUlT_T0_SG_SL_E_clIS7_S7_SB_SB_EEDaSZ_S10_SG_SL_EUlSZ_E_NS1_11comp_targetILNS1_3genE4ELNS1_11target_archE910ELNS1_3gpuE8ELNS1_3repE0EEENS1_47radix_sort_onesweep_sort_config_static_selectorELNS0_4arch9wavefront6targetE1EEEvSG_,@function
_ZN7rocprim17ROCPRIM_400000_NS6detail17trampoline_kernelINS0_14default_configENS1_35radix_sort_onesweep_config_selectorIllEEZZNS1_29radix_sort_onesweep_iterationIS3_Lb0EPlS7_N6thrust23THRUST_200600_302600_NS10device_ptrIlEESB_jNS0_19identity_decomposerENS1_16block_id_wrapperIjLb0EEEEE10hipError_tT1_PNSt15iterator_traitsISG_E10value_typeET2_T3_PNSH_ISM_E10value_typeET4_T5_PSR_SS_PNS1_23onesweep_lookback_stateEbbT6_jjT7_P12ihipStream_tbENKUlT_T0_SG_SL_E_clIS7_S7_SB_SB_EEDaSZ_S10_SG_SL_EUlSZ_E_NS1_11comp_targetILNS1_3genE4ELNS1_11target_archE910ELNS1_3gpuE8ELNS1_3repE0EEENS1_47radix_sort_onesweep_sort_config_static_selectorELNS0_4arch9wavefront6targetE1EEEvSG_: ; @_ZN7rocprim17ROCPRIM_400000_NS6detail17trampoline_kernelINS0_14default_configENS1_35radix_sort_onesweep_config_selectorIllEEZZNS1_29radix_sort_onesweep_iterationIS3_Lb0EPlS7_N6thrust23THRUST_200600_302600_NS10device_ptrIlEESB_jNS0_19identity_decomposerENS1_16block_id_wrapperIjLb0EEEEE10hipError_tT1_PNSt15iterator_traitsISG_E10value_typeET2_T3_PNSH_ISM_E10value_typeET4_T5_PSR_SS_PNS1_23onesweep_lookback_stateEbbT6_jjT7_P12ihipStream_tbENKUlT_T0_SG_SL_E_clIS7_S7_SB_SB_EEDaSZ_S10_SG_SL_EUlSZ_E_NS1_11comp_targetILNS1_3genE4ELNS1_11target_archE910ELNS1_3gpuE8ELNS1_3repE0EEENS1_47radix_sort_onesweep_sort_config_static_selectorELNS0_4arch9wavefront6targetE1EEEvSG_
; %bb.0:
	s_load_dwordx4 s[40:43], s[4:5], 0x44
	s_load_dwordx8 s[24:31], s[4:5], 0x0
	s_load_dwordx4 s[36:39], s[4:5], 0x28
	s_load_dwordx2 s[34:35], s[4:5], 0x38
	s_mul_i32 s44, s6, 0x1800
	s_waitcnt lgkmcnt(0)
	s_cmp_ge_u32 s6, s42
	v_mbcnt_lo_u32_b32 v1, -1, 0
	s_cbranch_scc0 .LBB1163_51
; %bb.1:
	s_load_dword s7, s[4:5], 0x20
	s_mul_i32 s0, s42, 0xffffe800
	s_mov_b32 s45, 0
	s_lshl_b64 s[42:43], s[44:45], 3
	v_mbcnt_hi_u32_b32 v6, -1, v1
	s_waitcnt lgkmcnt(0)
	s_add_i32 s7, s7, s0
	v_and_b32_e32 v8, 0x3ff, v0
	s_add_u32 s0, s24, s42
	v_and_b32_e32 v4, 63, v6
	s_addc_u32 s1, s25, s43
	v_and_b32_e32 v2, 0x3c0, v8
	v_lshlrev_b32_e32 v9, 3, v4
	v_mul_u32_u24_e32 v5, 6, v2
	v_mov_b32_e32 v2, s1
	v_add_co_u32_e32 v3, vcc, s0, v9
	v_addc_co_u32_e32 v7, vcc, 0, v2, vcc
	v_lshlrev_b32_e32 v24, 3, v5
	s_mov_b32 s2, -1
	v_add_co_u32_e32 v2, vcc, v3, v24
	s_brev_b32 s3, -2
	v_addc_co_u32_e32 v3, vcc, 0, v7, vcc
	v_or_b32_e32 v4, v4, v5
	v_cmp_gt_u32_e32 vcc, s7, v4
	v_pk_mov_b32 v[10:11], s[2:3], s[2:3] op_sel:[0,1]
	s_and_saveexec_b64 s[0:1], vcc
	s_cbranch_execz .LBB1163_3
; %bb.2:
	global_load_dwordx2 v[10:11], v[2:3], off
.LBB1163_3:
	s_or_b64 exec, exec, s[0:1]
	v_or_b32_e32 v5, 64, v4
	v_cmp_gt_u32_e64 s[0:1], s7, v5
	v_pk_mov_b32 v[12:13], s[2:3], s[2:3] op_sel:[0,1]
	s_and_saveexec_b64 s[2:3], s[0:1]
	s_cbranch_execz .LBB1163_5
; %bb.4:
	global_load_dwordx2 v[12:13], v[2:3], off offset:512
.LBB1163_5:
	s_or_b64 exec, exec, s[2:3]
	s_mov_b32 s8, -1
	v_add_u32_e32 v5, 0x80, v4
	s_brev_b32 s9, -2
	v_cmp_gt_u32_e64 s[2:3], s7, v5
	v_pk_mov_b32 v[14:15], s[8:9], s[8:9] op_sel:[0,1]
	s_and_saveexec_b64 s[10:11], s[2:3]
	s_cbranch_execz .LBB1163_7
; %bb.6:
	global_load_dwordx2 v[14:15], v[2:3], off offset:1024
.LBB1163_7:
	s_or_b64 exec, exec, s[10:11]
	v_add_u32_e32 v5, 0xc0, v4
	v_cmp_gt_u32_e64 s[20:21], s7, v5
	v_pk_mov_b32 v[16:17], s[8:9], s[8:9] op_sel:[0,1]
	s_and_saveexec_b64 s[8:9], s[20:21]
	s_cbranch_execz .LBB1163_9
; %bb.8:
	global_load_dwordx2 v[16:17], v[2:3], off offset:1536
.LBB1163_9:
	s_or_b64 exec, exec, s[8:9]
	s_mov_b32 s12, -1
	v_add_u32_e32 v5, 0x100, v4
	s_brev_b32 s13, -2
	v_cmp_gt_u32_e64 s[8:9], s7, v5
	v_pk_mov_b32 v[18:19], s[12:13], s[12:13] op_sel:[0,1]
	s_and_saveexec_b64 s[10:11], s[8:9]
	s_cbranch_execz .LBB1163_11
; %bb.10:
	global_load_dwordx2 v[18:19], v[2:3], off offset:2048
.LBB1163_11:
	s_or_b64 exec, exec, s[10:11]
	v_add_u32_e32 v4, 0x140, v4
	v_cmp_gt_u32_e64 s[10:11], s7, v4
	v_pk_mov_b32 v[20:21], s[12:13], s[12:13] op_sel:[0,1]
	s_and_saveexec_b64 s[12:13], s[10:11]
	s_cbranch_execz .LBB1163_13
; %bb.12:
	global_load_dwordx2 v[20:21], v[2:3], off offset:2560
.LBB1163_13:
	s_or_b64 exec, exec, s[12:13]
	s_load_dword s12, s[4:5], 0x64
	s_load_dword s33, s[4:5], 0x58
	s_add_u32 s13, s4, 0x58
	s_addc_u32 s14, s5, 0
	v_mov_b32_e32 v2, 0
	s_waitcnt lgkmcnt(0)
	s_lshr_b32 s15, s12, 16
	s_cmp_lt_u32 s6, s33
	s_cselect_b32 s12, 12, 18
	s_add_u32 s12, s13, s12
	s_addc_u32 s13, s14, 0
	global_load_ushort v22, v2, s[12:13]
	s_waitcnt vmcnt(1)
	v_xor_b32_e32 v11, 0x80000000, v11
	v_mul_u32_u24_e32 v4, 5, v8
	s_lshl_b32 s12, -1, s41
	v_lshlrev_b32_e32 v7, 2, v4
	v_lshrrev_b64 v[4:5], s40, v[10:11]
	s_not_b32 s45, s12
	v_and_b32_e32 v4, s45, v4
	v_and_b32_e32 v25, 1, v4
	v_bfe_u32 v3, v0, 10, 10
	v_bfe_u32 v23, v0, 20, 10
	v_add_co_u32_e64 v26, s[12:13], -1, v25
	v_mad_u32_u24 v5, v23, s15, v3
	v_lshlrev_b32_e32 v3, 30, v4
	v_addc_co_u32_e64 v27, s[12:13], 0, -1, s[12:13]
	v_cmp_ne_u32_e64 s[12:13], 0, v25
	v_cmp_gt_i64_e64 s[14:15], 0, v[2:3]
	v_not_b32_e32 v25, v3
	v_lshlrev_b32_e32 v3, 29, v4
	v_xor_b32_e32 v27, s13, v27
	v_xor_b32_e32 v26, s12, v26
	v_ashrrev_i32_e32 v25, 31, v25
	v_cmp_gt_i64_e64 s[12:13], 0, v[2:3]
	v_not_b32_e32 v28, v3
	v_lshlrev_b32_e32 v3, 28, v4
	v_and_b32_e32 v27, exec_hi, v27
	v_and_b32_e32 v26, exec_lo, v26
	v_xor_b32_e32 v29, s15, v25
	v_xor_b32_e32 v25, s14, v25
	v_ashrrev_i32_e32 v28, 31, v28
	v_cmp_gt_i64_e64 s[14:15], 0, v[2:3]
	v_not_b32_e32 v30, v3
	v_lshlrev_b32_e32 v3, 27, v4
	v_and_b32_e32 v27, v27, v29
	v_and_b32_e32 v25, v26, v25
	v_xor_b32_e32 v26, s13, v28
	v_xor_b32_e32 v28, s12, v28
	v_ashrrev_i32_e32 v29, 31, v30
	v_cmp_gt_i64_e64 s[12:13], 0, v[2:3]
	v_not_b32_e32 v30, v3
	v_lshlrev_b32_e32 v3, 26, v4
	v_and_b32_e32 v26, v27, v26
	v_and_b32_e32 v25, v25, v28
	;; [unrolled: 8-line block ×3, first 2 shown]
	v_xor_b32_e32 v27, s13, v29
	v_xor_b32_e32 v28, s12, v29
	v_ashrrev_i32_e32 v29, 31, v30
	v_not_b32_e32 v30, v3
	v_lshl_add_u32 v23, v4, 4, v4
	v_cmp_gt_i64_e64 s[12:13], 0, v[2:3]
	v_lshlrev_b32_e32 v3, 24, v4
	v_and_b32_e32 v4, v26, v27
	v_and_b32_e32 v25, v25, v28
	v_xor_b32_e32 v26, s15, v29
	v_ashrrev_i32_e32 v28, 31, v30
	v_xor_b32_e32 v27, s14, v29
	v_cmp_gt_i64_e64 s[14:15], 0, v[2:3]
	v_not_b32_e32 v3, v3
	v_and_b32_e32 v4, v4, v26
	v_xor_b32_e32 v26, s13, v28
	v_and_b32_e32 v25, v25, v27
	v_xor_b32_e32 v27, s12, v28
	v_and_b32_e32 v26, v4, v26
	v_ashrrev_i32_e32 v3, 31, v3
	v_and_b32_e32 v25, v25, v27
	ds_write2_b32 v7, v2, v2 offset0:16 offset1:17
	ds_write2_b32 v7, v2, v2 offset0:18 offset1:19
	ds_write_b32 v7, v2 offset:80
	s_waitcnt lgkmcnt(0)
	s_barrier
	s_waitcnt lgkmcnt(0)
	; wave barrier
	s_waitcnt vmcnt(0)
	v_mad_u64_u32 v[4:5], s[12:13], v5, v22, v[8:9]
	v_lshrrev_b32_e32 v34, 6, v4
	v_xor_b32_e32 v4, s15, v3
	v_xor_b32_e32 v3, s14, v3
	v_and_b32_e32 v5, v26, v4
	v_and_b32_e32 v4, v25, v3
	v_mbcnt_lo_u32_b32 v3, v4, 0
	v_mbcnt_hi_u32_b32 v22, v5, v3
	v_cmp_eq_u32_e64 s[12:13], 0, v22
	v_cmp_ne_u64_e64 s[14:15], 0, v[4:5]
	v_add_lshl_u32 v27, v34, v23, 2
	s_and_b64 s[14:15], s[14:15], s[12:13]
	s_and_saveexec_b64 s[12:13], s[14:15]
	s_cbranch_execz .LBB1163_15
; %bb.14:
	v_bcnt_u32_b32 v3, v4, 0
	v_bcnt_u32_b32 v3, v5, v3
	ds_write_b32 v27, v3 offset:64
.LBB1163_15:
	s_or_b64 exec, exec, s[12:13]
	v_xor_b32_e32 v13, 0x80000000, v13
	v_lshrrev_b64 v[4:5], s40, v[12:13]
	v_and_b32_e32 v4, s45, v4
	v_lshl_add_u32 v3, v4, 4, v4
	v_add_lshl_u32 v28, v34, v3, 2
	v_and_b32_e32 v3, 1, v4
	v_add_co_u32_e64 v5, s[12:13], -1, v3
	v_addc_co_u32_e64 v25, s[12:13], 0, -1, s[12:13]
	v_cmp_ne_u32_e64 s[12:13], 0, v3
	v_xor_b32_e32 v3, s13, v25
	v_and_b32_e32 v25, exec_hi, v3
	v_lshlrev_b32_e32 v3, 30, v4
	v_xor_b32_e32 v5, s12, v5
	v_cmp_gt_i64_e64 s[12:13], 0, v[2:3]
	v_not_b32_e32 v3, v3
	v_ashrrev_i32_e32 v3, 31, v3
	v_and_b32_e32 v5, exec_lo, v5
	v_xor_b32_e32 v26, s13, v3
	v_xor_b32_e32 v3, s12, v3
	v_and_b32_e32 v5, v5, v3
	v_lshlrev_b32_e32 v3, 29, v4
	v_cmp_gt_i64_e64 s[12:13], 0, v[2:3]
	v_not_b32_e32 v3, v3
	v_ashrrev_i32_e32 v3, 31, v3
	v_and_b32_e32 v25, v25, v26
	v_xor_b32_e32 v26, s13, v3
	v_xor_b32_e32 v3, s12, v3
	v_and_b32_e32 v5, v5, v3
	v_lshlrev_b32_e32 v3, 28, v4
	v_cmp_gt_i64_e64 s[12:13], 0, v[2:3]
	v_not_b32_e32 v3, v3
	v_ashrrev_i32_e32 v3, 31, v3
	v_and_b32_e32 v25, v25, v26
	;; [unrolled: 8-line block ×5, first 2 shown]
	v_xor_b32_e32 v26, s13, v3
	v_xor_b32_e32 v3, s12, v3
	v_and_b32_e32 v5, v5, v3
	v_lshlrev_b32_e32 v3, 24, v4
	v_cmp_gt_i64_e64 s[12:13], 0, v[2:3]
	v_not_b32_e32 v2, v3
	v_ashrrev_i32_e32 v2, 31, v2
	v_xor_b32_e32 v3, s13, v2
	v_xor_b32_e32 v2, s12, v2
	; wave barrier
	ds_read_b32 v23, v28 offset:64
	v_and_b32_e32 v25, v25, v26
	v_and_b32_e32 v2, v5, v2
	;; [unrolled: 1-line block ×3, first 2 shown]
	v_mbcnt_lo_u32_b32 v4, v2, 0
	v_mbcnt_hi_u32_b32 v25, v3, v4
	v_cmp_eq_u32_e64 s[12:13], 0, v25
	v_cmp_ne_u64_e64 s[14:15], 0, v[2:3]
	s_and_b64 s[14:15], s[14:15], s[12:13]
	; wave barrier
	s_and_saveexec_b64 s[12:13], s[14:15]
	s_cbranch_execz .LBB1163_17
; %bb.16:
	v_bcnt_u32_b32 v2, v2, 0
	v_bcnt_u32_b32 v2, v3, v2
	s_waitcnt lgkmcnt(0)
	v_add_u32_e32 v2, v23, v2
	ds_write_b32 v28, v2 offset:64
.LBB1163_17:
	s_or_b64 exec, exec, s[12:13]
	v_xor_b32_e32 v15, 0x80000000, v15
	v_lshrrev_b64 v[2:3], s40, v[14:15]
	v_and_b32_e32 v4, s45, v2
	v_and_b32_e32 v3, 1, v4
	v_add_co_u32_e64 v5, s[12:13], -1, v3
	v_addc_co_u32_e64 v29, s[12:13], 0, -1, s[12:13]
	v_cmp_ne_u32_e64 s[12:13], 0, v3
	v_lshl_add_u32 v2, v4, 4, v4
	v_xor_b32_e32 v3, s13, v29
	v_add_lshl_u32 v31, v34, v2, 2
	v_mov_b32_e32 v2, 0
	v_and_b32_e32 v29, exec_hi, v3
	v_lshlrev_b32_e32 v3, 30, v4
	v_xor_b32_e32 v5, s12, v5
	v_cmp_gt_i64_e64 s[12:13], 0, v[2:3]
	v_not_b32_e32 v3, v3
	v_ashrrev_i32_e32 v3, 31, v3
	v_and_b32_e32 v5, exec_lo, v5
	v_xor_b32_e32 v30, s13, v3
	v_xor_b32_e32 v3, s12, v3
	v_and_b32_e32 v5, v5, v3
	v_lshlrev_b32_e32 v3, 29, v4
	v_cmp_gt_i64_e64 s[12:13], 0, v[2:3]
	v_not_b32_e32 v3, v3
	v_ashrrev_i32_e32 v3, 31, v3
	v_and_b32_e32 v29, v29, v30
	v_xor_b32_e32 v30, s13, v3
	v_xor_b32_e32 v3, s12, v3
	v_and_b32_e32 v5, v5, v3
	v_lshlrev_b32_e32 v3, 28, v4
	v_cmp_gt_i64_e64 s[12:13], 0, v[2:3]
	v_not_b32_e32 v3, v3
	v_ashrrev_i32_e32 v3, 31, v3
	v_and_b32_e32 v29, v29, v30
	;; [unrolled: 8-line block ×5, first 2 shown]
	v_xor_b32_e32 v30, s13, v3
	v_xor_b32_e32 v3, s12, v3
	v_and_b32_e32 v29, v29, v30
	v_and_b32_e32 v30, v5, v3
	v_lshlrev_b32_e32 v3, 24, v4
	v_cmp_gt_i64_e64 s[12:13], 0, v[2:3]
	v_not_b32_e32 v3, v3
	v_ashrrev_i32_e32 v3, 31, v3
	v_xor_b32_e32 v4, s13, v3
	v_xor_b32_e32 v3, s12, v3
	; wave barrier
	ds_read_b32 v26, v31 offset:64
	v_and_b32_e32 v5, v29, v4
	v_and_b32_e32 v4, v30, v3
	v_mbcnt_lo_u32_b32 v3, v4, 0
	v_mbcnt_hi_u32_b32 v29, v5, v3
	v_cmp_eq_u32_e64 s[12:13], 0, v29
	v_cmp_ne_u64_e64 s[14:15], 0, v[4:5]
	s_and_b64 s[14:15], s[14:15], s[12:13]
	; wave barrier
	s_and_saveexec_b64 s[12:13], s[14:15]
	s_cbranch_execz .LBB1163_19
; %bb.18:
	v_bcnt_u32_b32 v3, v4, 0
	v_bcnt_u32_b32 v3, v5, v3
	s_waitcnt lgkmcnt(0)
	v_add_u32_e32 v3, v26, v3
	ds_write_b32 v31, v3 offset:64
.LBB1163_19:
	s_or_b64 exec, exec, s[12:13]
	v_xor_b32_e32 v17, 0x80000000, v17
	v_lshrrev_b64 v[4:5], s40, v[16:17]
	v_and_b32_e32 v4, s45, v4
	v_lshl_add_u32 v3, v4, 4, v4
	v_add_lshl_u32 v35, v34, v3, 2
	v_and_b32_e32 v3, 1, v4
	v_add_co_u32_e64 v5, s[12:13], -1, v3
	v_addc_co_u32_e64 v32, s[12:13], 0, -1, s[12:13]
	v_cmp_ne_u32_e64 s[12:13], 0, v3
	v_xor_b32_e32 v3, s13, v32
	v_and_b32_e32 v32, exec_hi, v3
	v_lshlrev_b32_e32 v3, 30, v4
	v_xor_b32_e32 v5, s12, v5
	v_cmp_gt_i64_e64 s[12:13], 0, v[2:3]
	v_not_b32_e32 v3, v3
	v_ashrrev_i32_e32 v3, 31, v3
	v_and_b32_e32 v5, exec_lo, v5
	v_xor_b32_e32 v33, s13, v3
	v_xor_b32_e32 v3, s12, v3
	v_and_b32_e32 v5, v5, v3
	v_lshlrev_b32_e32 v3, 29, v4
	v_cmp_gt_i64_e64 s[12:13], 0, v[2:3]
	v_not_b32_e32 v3, v3
	v_ashrrev_i32_e32 v3, 31, v3
	v_and_b32_e32 v32, v32, v33
	v_xor_b32_e32 v33, s13, v3
	v_xor_b32_e32 v3, s12, v3
	v_and_b32_e32 v5, v5, v3
	v_lshlrev_b32_e32 v3, 28, v4
	v_cmp_gt_i64_e64 s[12:13], 0, v[2:3]
	v_not_b32_e32 v3, v3
	v_ashrrev_i32_e32 v3, 31, v3
	v_and_b32_e32 v32, v32, v33
	v_xor_b32_e32 v33, s13, v3
	v_xor_b32_e32 v3, s12, v3
	v_and_b32_e32 v5, v5, v3
	v_lshlrev_b32_e32 v3, 27, v4
	v_cmp_gt_i64_e64 s[12:13], 0, v[2:3]
	v_not_b32_e32 v3, v3
	v_ashrrev_i32_e32 v3, 31, v3
	v_and_b32_e32 v32, v32, v33
	v_xor_b32_e32 v33, s13, v3
	v_xor_b32_e32 v3, s12, v3
	v_and_b32_e32 v5, v5, v3
	v_lshlrev_b32_e32 v3, 26, v4
	v_cmp_gt_i64_e64 s[12:13], 0, v[2:3]
	v_not_b32_e32 v3, v3
	v_ashrrev_i32_e32 v3, 31, v3
	v_and_b32_e32 v32, v32, v33
	v_xor_b32_e32 v33, s13, v3
	v_xor_b32_e32 v3, s12, v3
	v_and_b32_e32 v5, v5, v3
	v_lshlrev_b32_e32 v3, 25, v4
	v_cmp_gt_i64_e64 s[12:13], 0, v[2:3]
	v_not_b32_e32 v3, v3
	v_ashrrev_i32_e32 v3, 31, v3
	v_and_b32_e32 v32, v32, v33
	v_xor_b32_e32 v33, s13, v3
	v_xor_b32_e32 v3, s12, v3
	v_and_b32_e32 v5, v5, v3
	v_lshlrev_b32_e32 v3, 24, v4
	v_cmp_gt_i64_e64 s[12:13], 0, v[2:3]
	v_not_b32_e32 v2, v3
	v_ashrrev_i32_e32 v2, 31, v2
	v_xor_b32_e32 v3, s13, v2
	v_xor_b32_e32 v2, s12, v2
	; wave barrier
	ds_read_b32 v30, v35 offset:64
	v_and_b32_e32 v32, v32, v33
	v_and_b32_e32 v2, v5, v2
	;; [unrolled: 1-line block ×3, first 2 shown]
	v_mbcnt_lo_u32_b32 v4, v2, 0
	v_mbcnt_hi_u32_b32 v32, v3, v4
	v_cmp_eq_u32_e64 s[12:13], 0, v32
	v_cmp_ne_u64_e64 s[14:15], 0, v[2:3]
	s_and_b64 s[14:15], s[14:15], s[12:13]
	; wave barrier
	s_and_saveexec_b64 s[12:13], s[14:15]
	s_cbranch_execz .LBB1163_21
; %bb.20:
	v_bcnt_u32_b32 v2, v2, 0
	v_bcnt_u32_b32 v2, v3, v2
	s_waitcnt lgkmcnt(0)
	v_add_u32_e32 v2, v30, v2
	ds_write_b32 v35, v2 offset:64
.LBB1163_21:
	s_or_b64 exec, exec, s[12:13]
	v_xor_b32_e32 v19, 0x80000000, v19
	v_lshrrev_b64 v[2:3], s40, v[18:19]
	v_and_b32_e32 v4, s45, v2
	v_and_b32_e32 v3, 1, v4
	v_add_co_u32_e64 v5, s[12:13], -1, v3
	v_addc_co_u32_e64 v36, s[12:13], 0, -1, s[12:13]
	v_cmp_ne_u32_e64 s[12:13], 0, v3
	v_lshl_add_u32 v2, v4, 4, v4
	v_xor_b32_e32 v3, s13, v36
	v_add_lshl_u32 v38, v34, v2, 2
	v_mov_b32_e32 v2, 0
	v_and_b32_e32 v36, exec_hi, v3
	v_lshlrev_b32_e32 v3, 30, v4
	v_xor_b32_e32 v5, s12, v5
	v_cmp_gt_i64_e64 s[12:13], 0, v[2:3]
	v_not_b32_e32 v3, v3
	v_ashrrev_i32_e32 v3, 31, v3
	v_and_b32_e32 v5, exec_lo, v5
	v_xor_b32_e32 v37, s13, v3
	v_xor_b32_e32 v3, s12, v3
	v_and_b32_e32 v5, v5, v3
	v_lshlrev_b32_e32 v3, 29, v4
	v_cmp_gt_i64_e64 s[12:13], 0, v[2:3]
	v_not_b32_e32 v3, v3
	v_ashrrev_i32_e32 v3, 31, v3
	v_and_b32_e32 v36, v36, v37
	v_xor_b32_e32 v37, s13, v3
	v_xor_b32_e32 v3, s12, v3
	v_and_b32_e32 v5, v5, v3
	v_lshlrev_b32_e32 v3, 28, v4
	v_cmp_gt_i64_e64 s[12:13], 0, v[2:3]
	v_not_b32_e32 v3, v3
	v_ashrrev_i32_e32 v3, 31, v3
	v_and_b32_e32 v36, v36, v37
	;; [unrolled: 8-line block ×5, first 2 shown]
	v_xor_b32_e32 v37, s13, v3
	v_xor_b32_e32 v3, s12, v3
	v_and_b32_e32 v36, v36, v37
	v_and_b32_e32 v37, v5, v3
	v_lshlrev_b32_e32 v3, 24, v4
	v_cmp_gt_i64_e64 s[12:13], 0, v[2:3]
	v_not_b32_e32 v3, v3
	v_ashrrev_i32_e32 v3, 31, v3
	v_xor_b32_e32 v4, s13, v3
	v_xor_b32_e32 v3, s12, v3
	; wave barrier
	ds_read_b32 v33, v38 offset:64
	v_and_b32_e32 v5, v36, v4
	v_and_b32_e32 v4, v37, v3
	v_mbcnt_lo_u32_b32 v3, v4, 0
	v_mbcnt_hi_u32_b32 v36, v5, v3
	v_cmp_eq_u32_e64 s[12:13], 0, v36
	v_cmp_ne_u64_e64 s[14:15], 0, v[4:5]
	s_and_b64 s[14:15], s[14:15], s[12:13]
	; wave barrier
	s_and_saveexec_b64 s[12:13], s[14:15]
	s_cbranch_execz .LBB1163_23
; %bb.22:
	v_bcnt_u32_b32 v3, v4, 0
	v_bcnt_u32_b32 v3, v5, v3
	s_waitcnt lgkmcnt(0)
	v_add_u32_e32 v3, v33, v3
	ds_write_b32 v38, v3 offset:64
.LBB1163_23:
	s_or_b64 exec, exec, s[12:13]
	v_xor_b32_e32 v21, 0x80000000, v21
	v_lshrrev_b64 v[4:5], s40, v[20:21]
	v_and_b32_e32 v4, s45, v4
	v_lshl_add_u32 v3, v4, 4, v4
	v_add_lshl_u32 v41, v34, v3, 2
	v_and_b32_e32 v3, 1, v4
	v_add_co_u32_e64 v5, s[12:13], -1, v3
	v_addc_co_u32_e64 v34, s[12:13], 0, -1, s[12:13]
	v_cmp_ne_u32_e64 s[12:13], 0, v3
	v_xor_b32_e32 v3, s13, v34
	v_and_b32_e32 v34, exec_hi, v3
	v_lshlrev_b32_e32 v3, 30, v4
	v_xor_b32_e32 v5, s12, v5
	v_cmp_gt_i64_e64 s[12:13], 0, v[2:3]
	v_not_b32_e32 v3, v3
	v_ashrrev_i32_e32 v3, 31, v3
	v_and_b32_e32 v5, exec_lo, v5
	v_xor_b32_e32 v39, s13, v3
	v_xor_b32_e32 v3, s12, v3
	v_and_b32_e32 v5, v5, v3
	v_lshlrev_b32_e32 v3, 29, v4
	v_cmp_gt_i64_e64 s[12:13], 0, v[2:3]
	v_not_b32_e32 v3, v3
	v_ashrrev_i32_e32 v3, 31, v3
	v_and_b32_e32 v34, v34, v39
	v_xor_b32_e32 v39, s13, v3
	v_xor_b32_e32 v3, s12, v3
	v_and_b32_e32 v5, v5, v3
	v_lshlrev_b32_e32 v3, 28, v4
	v_cmp_gt_i64_e64 s[12:13], 0, v[2:3]
	v_not_b32_e32 v3, v3
	v_ashrrev_i32_e32 v3, 31, v3
	v_and_b32_e32 v34, v34, v39
	;; [unrolled: 8-line block ×5, first 2 shown]
	v_xor_b32_e32 v39, s13, v3
	v_xor_b32_e32 v3, s12, v3
	v_and_b32_e32 v5, v5, v3
	v_lshlrev_b32_e32 v3, 24, v4
	v_cmp_gt_i64_e64 s[12:13], 0, v[2:3]
	v_not_b32_e32 v2, v3
	v_ashrrev_i32_e32 v2, 31, v2
	v_xor_b32_e32 v3, s13, v2
	v_xor_b32_e32 v2, s12, v2
	; wave barrier
	ds_read_b32 v37, v41 offset:64
	v_and_b32_e32 v34, v34, v39
	v_and_b32_e32 v2, v5, v2
	;; [unrolled: 1-line block ×3, first 2 shown]
	v_mbcnt_lo_u32_b32 v4, v2, 0
	v_mbcnt_hi_u32_b32 v39, v3, v4
	v_cmp_eq_u32_e64 s[12:13], 0, v39
	v_cmp_ne_u64_e64 s[14:15], 0, v[2:3]
	v_add_u32_e32 v40, 64, v7
	s_and_b64 s[14:15], s[14:15], s[12:13]
	; wave barrier
	s_and_saveexec_b64 s[12:13], s[14:15]
	s_cbranch_execz .LBB1163_25
; %bb.24:
	v_bcnt_u32_b32 v2, v2, 0
	v_bcnt_u32_b32 v2, v3, v2
	s_waitcnt lgkmcnt(0)
	v_add_u32_e32 v2, v37, v2
	ds_write_b32 v41, v2 offset:64
.LBB1163_25:
	s_or_b64 exec, exec, s[12:13]
	; wave barrier
	s_waitcnt lgkmcnt(0)
	s_barrier
	ds_read2_b32 v[4:5], v7 offset0:16 offset1:17
	ds_read2_b32 v[2:3], v40 offset0:2 offset1:3
	ds_read_b32 v34, v40 offset:16
	v_cmp_lt_u32_e64 s[22:23], 31, v6
	s_waitcnt lgkmcnt(1)
	v_add3_u32 v42, v5, v4, v2
	s_waitcnt lgkmcnt(0)
	v_add3_u32 v34, v42, v3, v34
	v_and_b32_e32 v42, 15, v6
	v_cmp_eq_u32_e64 s[12:13], 0, v42
	v_mov_b32_dpp v43, v34 row_shr:1 row_mask:0xf bank_mask:0xf
	v_cndmask_b32_e64 v43, v43, 0, s[12:13]
	v_add_u32_e32 v34, v43, v34
	v_cmp_lt_u32_e64 s[14:15], 1, v42
	v_cmp_lt_u32_e64 s[16:17], 3, v42
	v_mov_b32_dpp v43, v34 row_shr:2 row_mask:0xf bank_mask:0xf
	v_cndmask_b32_e64 v43, 0, v43, s[14:15]
	v_add_u32_e32 v34, v34, v43
	v_cmp_lt_u32_e64 s[18:19], 7, v42
	s_nop 0
	v_mov_b32_dpp v43, v34 row_shr:4 row_mask:0xf bank_mask:0xf
	v_cndmask_b32_e64 v43, 0, v43, s[16:17]
	v_add_u32_e32 v34, v34, v43
	s_nop 1
	v_mov_b32_dpp v43, v34 row_shr:8 row_mask:0xf bank_mask:0xf
	v_cndmask_b32_e64 v42, 0, v43, s[18:19]
	v_add_u32_e32 v34, v34, v42
	v_bfe_i32 v43, v6, 4, 1
	s_nop 0
	v_mov_b32_dpp v42, v34 row_bcast:15 row_mask:0xf bank_mask:0xf
	v_and_b32_e32 v42, v43, v42
	v_add_u32_e32 v34, v34, v42
	v_lshrrev_b32_e32 v43, 6, v8
	s_nop 0
	v_mov_b32_dpp v42, v34 row_bcast:31 row_mask:0xf bank_mask:0xf
	v_cndmask_b32_e64 v42, 0, v42, s[22:23]
	v_add_u32_e32 v42, v34, v42
	v_and_b32_e32 v34, 63, v8
	v_cmp_eq_u32_e64 s[22:23], 63, v34
	s_and_saveexec_b64 s[46:47], s[22:23]
	s_cbranch_execz .LBB1163_27
; %bb.26:
	v_lshlrev_b32_e32 v34, 2, v43
	ds_write_b32 v34, v42
.LBB1163_27:
	s_or_b64 exec, exec, s[46:47]
	v_cmp_gt_u32_e64 s[22:23], 16, v8
	v_lshlrev_b32_e32 v34, 2, v8
	s_waitcnt lgkmcnt(0)
	s_barrier
	s_and_saveexec_b64 s[46:47], s[22:23]
	s_cbranch_execz .LBB1163_29
; %bb.28:
	ds_read_b32 v44, v34
	s_waitcnt lgkmcnt(0)
	s_nop 0
	v_mov_b32_dpp v45, v44 row_shr:1 row_mask:0xf bank_mask:0xf
	v_cndmask_b32_e64 v45, v45, 0, s[12:13]
	v_add_u32_e32 v44, v45, v44
	s_nop 1
	v_mov_b32_dpp v45, v44 row_shr:2 row_mask:0xf bank_mask:0xf
	v_cndmask_b32_e64 v45, 0, v45, s[14:15]
	v_add_u32_e32 v44, v44, v45
	;; [unrolled: 4-line block ×4, first 2 shown]
	ds_write_b32 v34, v44
.LBB1163_29:
	s_or_b64 exec, exec, s[46:47]
	v_cmp_lt_u32_e64 s[12:13], 63, v8
	v_mov_b32_e32 v44, 0
	s_waitcnt lgkmcnt(0)
	s_barrier
	s_and_saveexec_b64 s[14:15], s[12:13]
	s_cbranch_execz .LBB1163_31
; %bb.30:
	v_lshl_add_u32 v43, v43, 2, -4
	ds_read_b32 v44, v43
.LBB1163_31:
	s_or_b64 exec, exec, s[14:15]
	v_add_u32_e32 v43, -1, v6
	v_and_b32_e32 v45, 64, v6
	v_cmp_lt_i32_e64 s[12:13], v43, v45
	v_cndmask_b32_e64 v43, v43, v6, s[12:13]
	s_waitcnt lgkmcnt(0)
	v_add_u32_e32 v42, v44, v42
	v_lshlrev_b32_e32 v43, 2, v43
	ds_bpermute_b32 v42, v43, v42
	v_cmp_eq_u32_e64 s[12:13], 0, v6
	s_waitcnt lgkmcnt(0)
	v_cndmask_b32_e64 v6, v42, v44, s[12:13]
	v_cmp_ne_u32_e64 s[12:13], 0, v8
	v_cndmask_b32_e64 v6, 0, v6, s[12:13]
	v_add_u32_e32 v4, v6, v4
	v_add_u32_e32 v5, v4, v5
	;; [unrolled: 1-line block ×4, first 2 shown]
	ds_write2_b32 v7, v6, v4 offset0:16 offset1:17
	ds_write2_b32 v40, v5, v2 offset0:2 offset1:3
	ds_write_b32 v40, v3 offset:16
	s_waitcnt lgkmcnt(0)
	s_barrier
	ds_read_b32 v44, v27 offset:64
	ds_read_b32 v40, v28 offset:64
	;; [unrolled: 1-line block ×6, first 2 shown]
	s_movk_i32 s12, 0x100
	v_cmp_gt_u32_e64 s[12:13], s12, v8
                                        ; implicit-def: $vgpr27
                                        ; implicit-def: $vgpr28
	s_and_saveexec_b64 s[16:17], s[12:13]
	s_cbranch_execz .LBB1163_35
; %bb.32:
	v_mul_u32_u24_e32 v2, 17, v8
	v_lshlrev_b32_e32 v3, 2, v2
	ds_read_b32 v27, v3 offset:64
	s_movk_i32 s14, 0xff
	v_cmp_ne_u32_e64 s[14:15], s14, v8
	v_mov_b32_e32 v2, 0x1800
	s_and_saveexec_b64 s[18:19], s[14:15]
	s_cbranch_execz .LBB1163_34
; %bb.33:
	ds_read_b32 v2, v3 offset:132
.LBB1163_34:
	s_or_b64 exec, exec, s[18:19]
	s_waitcnt lgkmcnt(0)
	v_sub_u32_e32 v28, v2, v27
.LBB1163_35:
	s_or_b64 exec, exec, s[16:17]
	s_waitcnt lgkmcnt(0)
	s_barrier
	s_and_saveexec_b64 s[16:17], s[12:13]
	s_cbranch_execz .LBB1163_45
; %bb.36:
	v_lshl_or_b32 v2, s6, 8, v8
	v_mov_b32_e32 v3, 0
	v_lshlrev_b64 v[4:5], 2, v[2:3]
	v_mov_b32_e32 v31, s35
	v_add_co_u32_e64 v4, s[14:15], s34, v4
	v_addc_co_u32_e64 v5, s[14:15], v31, v5, s[14:15]
	v_or_b32_e32 v2, 2.0, v28
	s_mov_b64 s[18:19], 0
	s_brev_b32 s48, 1
	s_mov_b32 s49, s6
	v_mov_b32_e32 v35, 0
	global_store_dword v[4:5], v2, off
                                        ; implicit-def: $sgpr14_sgpr15
	s_branch .LBB1163_38
.LBB1163_37:                            ;   in Loop: Header=BB1163_38 Depth=1
	s_or_b64 exec, exec, s[22:23]
	v_and_b32_e32 v6, 0x3fffffff, v45
	v_add_u32_e32 v35, v6, v35
	v_cmp_eq_u32_e64 s[14:15], s48, v2
	s_and_b64 s[22:23], exec, s[14:15]
	s_or_b64 s[18:19], s[22:23], s[18:19]
	s_andn2_b64 exec, exec, s[18:19]
	s_cbranch_execz .LBB1163_44
.LBB1163_38:                            ; =>This Loop Header: Depth=1
                                        ;     Child Loop BB1163_41 Depth 2
	s_or_b64 s[14:15], s[14:15], exec
	s_cmp_eq_u32 s49, 0
	s_cbranch_scc1 .LBB1163_43
; %bb.39:                               ;   in Loop: Header=BB1163_38 Depth=1
	s_add_i32 s49, s49, -1
	v_lshl_or_b32 v2, s49, 8, v8
	v_lshlrev_b64 v[6:7], 2, v[2:3]
	v_add_co_u32_e64 v6, s[14:15], s34, v6
	v_addc_co_u32_e64 v7, s[14:15], v31, v7, s[14:15]
	global_load_dword v45, v[6:7], off glc
	s_waitcnt vmcnt(0)
	v_and_b32_e32 v2, -2.0, v45
	v_cmp_eq_u32_e64 s[14:15], 0, v2
	s_and_saveexec_b64 s[22:23], s[14:15]
	s_cbranch_execz .LBB1163_37
; %bb.40:                               ;   in Loop: Header=BB1163_38 Depth=1
	s_mov_b64 s[46:47], 0
.LBB1163_41:                            ;   Parent Loop BB1163_38 Depth=1
                                        ; =>  This Inner Loop Header: Depth=2
	global_load_dword v45, v[6:7], off glc
	s_waitcnt vmcnt(0)
	v_and_b32_e32 v2, -2.0, v45
	v_cmp_ne_u32_e64 s[14:15], 0, v2
	s_or_b64 s[46:47], s[14:15], s[46:47]
	s_andn2_b64 exec, exec, s[46:47]
	s_cbranch_execnz .LBB1163_41
; %bb.42:                               ;   in Loop: Header=BB1163_38 Depth=1
	s_or_b64 exec, exec, s[46:47]
	s_branch .LBB1163_37
.LBB1163_43:                            ;   in Loop: Header=BB1163_38 Depth=1
                                        ; implicit-def: $sgpr49
	s_and_b64 s[22:23], exec, s[14:15]
	s_or_b64 s[18:19], s[22:23], s[18:19]
	s_andn2_b64 exec, exec, s[18:19]
	s_cbranch_execnz .LBB1163_38
.LBB1163_44:
	s_or_b64 exec, exec, s[18:19]
	v_add_u32_e32 v2, v35, v28
	v_or_b32_e32 v2, 0x80000000, v2
	global_store_dword v[4:5], v2, off
	global_load_dword v2, v34, s[36:37]
	v_sub_u32_e32 v3, v35, v27
	s_waitcnt vmcnt(0)
	v_add_u32_e32 v2, v3, v2
	ds_write_b32 v34, v2
.LBB1163_45:
	s_or_b64 exec, exec, s[16:17]
	v_lshlrev_b32_e32 v34, 3, v8
	v_add_u32_e32 v31, v44, v22
	s_movk_i32 s18, 0x400
	v_add_u32_e32 v35, 0x400, v34
	v_add3_u32 v37, v39, v41, v37
	v_add3_u32 v33, v36, v38, v33
	;; [unrolled: 1-line block ×5, first 2 shown]
	s_mov_b32 s19, 0
	v_mov_b32_e32 v23, 0
	v_mov_b32_e32 v29, v8
	s_mov_b32 s22, 0
                                        ; implicit-def: $vgpr2_vgpr3_vgpr4_vgpr5_vgpr6_vgpr7
	s_branch .LBB1163_47
.LBB1163_46:                            ;   in Loop: Header=BB1163_47 Depth=1
	s_or_b64 exec, exec, s[16:17]
	s_addk_i32 s22, 0xf800
	s_add_i32 s19, s19, 2
	s_cmpk_eq_i32 s22, 0xe800
	v_add_u32_e32 v29, 0x800, v29
	s_barrier
	s_cbranch_scc1 .LBB1163_52
.LBB1163_47:                            ; =>This Inner Loop Header: Depth=1
	v_add_u32_e32 v22, s22, v31
	v_min_u32_e32 v22, 0x800, v22
	v_lshlrev_b32_e32 v22, 3, v22
	ds_write_b64 v22, v[10:11] offset:1024
	v_add_u32_e32 v22, s22, v25
	v_min_u32_e32 v22, 0x800, v22
	v_lshlrev_b32_e32 v22, 3, v22
	ds_write_b64 v22, v[12:13] offset:1024
	;; [unrolled: 4-line block ×5, first 2 shown]
	v_add_u32_e32 v22, s22, v37
	v_min_u32_e32 v22, 0x800, v22
	v_lshlrev_b32_e32 v22, 3, v22
	v_cmp_gt_u32_e64 s[14:15], s7, v29
	ds_write_b64 v22, v[20:21] offset:1024
	s_waitcnt lgkmcnt(0)
	s_barrier
	s_and_saveexec_b64 s[16:17], s[14:15]
	s_cbranch_execz .LBB1163_49
; %bb.48:                               ;   in Loop: Header=BB1163_47 Depth=1
	ds_read_b64 v[38:39], v34 offset:1024
	s_cmp_eq_u32 s19, 5
	s_cselect_b64 s[14:15], -1, 0
	v_mov_b32_e32 v32, s27
	s_cmp_eq_u32 s19, 4
	s_waitcnt lgkmcnt(0)
	v_lshrrev_b64 v[40:41], s40, v[38:39]
	v_and_b32_e32 v36, s45, v40
	v_lshlrev_b32_e32 v22, 2, v36
	ds_read_b32 v22, v22
	v_cndmask_b32_e64 v7, v7, v36, s[14:15]
	v_xor_b32_e32 v39, 0x80000000, v39
	s_waitcnt lgkmcnt(0)
	v_add_u32_e32 v22, v29, v22
	v_lshlrev_b64 v[40:41], 3, v[22:23]
	v_add_co_u32_e64 v40, s[14:15], s26, v40
	v_addc_co_u32_e64 v41, s[14:15], v32, v41, s[14:15]
	s_cselect_b64 s[14:15], -1, 0
	s_cmp_eq_u32 s19, 3
	v_cndmask_b32_e64 v6, v6, v36, s[14:15]
	s_cselect_b64 s[14:15], -1, 0
	s_cmp_eq_u32 s19, 2
	v_cndmask_b32_e64 v5, v5, v36, s[14:15]
	;; [unrolled: 3-line block ×4, first 2 shown]
	s_cselect_b64 s[14:15], -1, 0
	v_cndmask_b32_e64 v2, v2, v36, s[14:15]
	global_store_dwordx2 v[40:41], v[38:39], off
.LBB1163_49:                            ;   in Loop: Header=BB1163_47 Depth=1
	s_or_b64 exec, exec, s[16:17]
	v_add_u32_e32 v22, 0x400, v29
	v_cmp_gt_u32_e64 s[14:15], s7, v22
	s_and_saveexec_b64 s[16:17], s[14:15]
	s_cbranch_execz .LBB1163_46
; %bb.50:                               ;   in Loop: Header=BB1163_47 Depth=1
	ds_read_b64 v[38:39], v35 offset:8192
	v_mov_b32_e32 v36, s27
	s_add_i32 s23, s19, 1
	s_cmp_eq_u32 s23, 5
	s_waitcnt lgkmcnt(0)
	v_lshrrev_b64 v[40:41], s40, v[38:39]
	v_and_b32_e32 v32, s45, v40
	v_lshlrev_b32_e32 v22, 2, v32
	ds_read_b32 v22, v22
	v_xor_b32_e32 v39, 0x80000000, v39
	s_waitcnt lgkmcnt(0)
	v_add3_u32 v22, v29, v22, s18
	v_lshlrev_b64 v[40:41], 3, v[22:23]
	v_add_co_u32_e64 v40, s[14:15], s26, v40
	v_addc_co_u32_e64 v41, s[14:15], v36, v41, s[14:15]
	s_cselect_b64 s[14:15], -1, 0
	s_cmp_eq_u32 s23, 4
	v_cndmask_b32_e64 v7, v7, v32, s[14:15]
	s_cselect_b64 s[14:15], -1, 0
	s_cmp_eq_u32 s23, 3
	v_cndmask_b32_e64 v6, v6, v32, s[14:15]
	;; [unrolled: 3-line block ×5, first 2 shown]
	s_cselect_b64 s[14:15], -1, 0
	v_cndmask_b32_e64 v2, v2, v32, s[14:15]
	global_store_dwordx2 v[40:41], v[38:39], off
	s_branch .LBB1163_46
.LBB1163_51:
	s_mov_b64 s[10:11], 0
                                        ; implicit-def: $vgpr2
                                        ; implicit-def: $vgpr8
	s_cbranch_execnz .LBB1163_68
	s_branch .LBB1163_107
.LBB1163_52:
	s_add_u32 s14, s28, s42
	s_addc_u32 s15, s29, s43
	v_mov_b32_e32 v10, s15
	v_add_co_u32_e64 v9, s[14:15], s14, v9
	v_addc_co_u32_e64 v10, s[14:15], 0, v10, s[14:15]
	v_add_co_u32_e64 v22, s[14:15], v9, v24
	v_addc_co_u32_e64 v23, s[14:15], 0, v10, s[14:15]
                                        ; implicit-def: $vgpr10_vgpr11
	s_and_saveexec_b64 s[14:15], vcc
	s_cbranch_execnz .LBB1163_110
; %bb.53:
	s_or_b64 exec, exec, s[14:15]
                                        ; implicit-def: $vgpr12_vgpr13
	s_and_saveexec_b64 s[14:15], s[0:1]
	s_cbranch_execnz .LBB1163_111
.LBB1163_54:
	s_or_b64 exec, exec, s[14:15]
                                        ; implicit-def: $vgpr14_vgpr15
	s_and_saveexec_b64 s[0:1], s[2:3]
	s_cbranch_execnz .LBB1163_112
.LBB1163_55:
	s_or_b64 exec, exec, s[0:1]
                                        ; implicit-def: $vgpr16_vgpr17
	s_and_saveexec_b64 s[0:1], s[20:21]
	s_cbranch_execnz .LBB1163_113
.LBB1163_56:
	s_or_b64 exec, exec, s[0:1]
                                        ; implicit-def: $vgpr18_vgpr19
	s_and_saveexec_b64 s[0:1], s[8:9]
	s_cbranch_execnz .LBB1163_114
.LBB1163_57:
	s_or_b64 exec, exec, s[0:1]
                                        ; implicit-def: $vgpr20_vgpr21
	s_and_saveexec_b64 s[0:1], s[10:11]
	s_cbranch_execz .LBB1163_59
.LBB1163_58:
	global_load_dwordx2 v[20:21], v[22:23], off offset:2560
.LBB1163_59:
	s_or_b64 exec, exec, s[0:1]
	s_mov_b32 s2, 0
	v_mov_b32_e32 v23, 0
	s_movk_i32 s3, 0x400
	s_mov_b32 s8, 0
	v_mov_b32_e32 v9, v8
	s_waitcnt vmcnt(0)
	s_branch .LBB1163_61
.LBB1163_60:                            ;   in Loop: Header=BB1163_61 Depth=1
	s_or_b64 exec, exec, s[0:1]
	s_addk_i32 s8, 0xf800
	s_add_i32 s2, s2, 2
	s_cmpk_eq_i32 s8, 0xe800
	v_add_u32_e32 v9, 0x800, v9
	s_barrier
	s_cbranch_scc1 .LBB1163_65
.LBB1163_61:                            ; =>This Inner Loop Header: Depth=1
	v_add_u32_e32 v22, s8, v31
	v_min_u32_e32 v22, 0x800, v22
	v_lshlrev_b32_e32 v22, 3, v22
	ds_write_b64 v22, v[10:11] offset:1024
	v_add_u32_e32 v22, s8, v25
	v_min_u32_e32 v22, 0x800, v22
	v_lshlrev_b32_e32 v22, 3, v22
	ds_write_b64 v22, v[12:13] offset:1024
	;; [unrolled: 4-line block ×5, first 2 shown]
	v_add_u32_e32 v22, s8, v37
	v_min_u32_e32 v22, 0x800, v22
	v_lshlrev_b32_e32 v22, 3, v22
	v_cmp_gt_u32_e32 vcc, s7, v9
	ds_write_b64 v22, v[20:21] offset:1024
	s_waitcnt lgkmcnt(0)
	s_barrier
	s_and_saveexec_b64 s[0:1], vcc
	s_cbranch_execz .LBB1163_63
; %bb.62:                               ;   in Loop: Header=BB1163_61 Depth=1
	s_cmp_eq_u32 s2, 1
	s_cselect_b64 vcc, -1, 0
	s_cmp_eq_u32 s2, 2
	v_cndmask_b32_e32 v22, v2, v3, vcc
	s_cselect_b64 vcc, -1, 0
	s_cmp_eq_u32 s2, 3
	v_cndmask_b32_e32 v22, v22, v4, vcc
	;; [unrolled: 3-line block ×4, first 2 shown]
	s_cselect_b64 vcc, -1, 0
	v_cndmask_b32_e32 v22, v22, v7, vcc
	v_lshlrev_b32_e32 v22, 2, v22
	ds_read_b32 v22, v22
	ds_read_b64 v[38:39], v34 offset:1024
	s_waitcnt lgkmcnt(1)
	v_add_u32_e32 v22, v9, v22
	v_lshlrev_b64 v[40:41], 3, v[22:23]
	v_mov_b32_e32 v22, s31
	v_add_co_u32_e32 v40, vcc, s30, v40
	v_addc_co_u32_e32 v41, vcc, v22, v41, vcc
	s_waitcnt lgkmcnt(0)
	global_store_dwordx2 v[40:41], v[38:39], off
.LBB1163_63:                            ;   in Loop: Header=BB1163_61 Depth=1
	s_or_b64 exec, exec, s[0:1]
	v_add_u32_e32 v22, 0x400, v9
	v_cmp_gt_u32_e32 vcc, s7, v22
	s_and_saveexec_b64 s[0:1], vcc
	s_cbranch_execz .LBB1163_60
; %bb.64:                               ;   in Loop: Header=BB1163_61 Depth=1
	s_add_i32 s9, s2, 1
	s_cmp_eq_u32 s9, 1
	s_cselect_b64 vcc, -1, 0
	s_cmp_eq_u32 s9, 2
	v_cndmask_b32_e32 v22, v2, v3, vcc
	s_cselect_b64 vcc, -1, 0
	s_cmp_eq_u32 s9, 3
	v_cndmask_b32_e32 v22, v22, v4, vcc
	;; [unrolled: 3-line block ×4, first 2 shown]
	s_cselect_b64 vcc, -1, 0
	v_cndmask_b32_e32 v22, v22, v7, vcc
	v_lshlrev_b32_e32 v22, 2, v22
	ds_read_b32 v22, v22
	ds_read_b64 v[38:39], v35 offset:8192
	s_waitcnt lgkmcnt(1)
	v_add3_u32 v22, v9, v22, s3
	v_lshlrev_b64 v[40:41], 3, v[22:23]
	v_mov_b32_e32 v22, s31
	v_add_co_u32_e32 v40, vcc, s30, v40
	v_addc_co_u32_e32 v41, vcc, v22, v41, vcc
	s_waitcnt lgkmcnt(0)
	global_store_dwordx2 v[40:41], v[38:39], off
	s_branch .LBB1163_60
.LBB1163_65:
	s_add_i32 s33, s33, -1
	s_cmp_eq_u32 s33, s6
	s_cselect_b64 s[0:1], -1, 0
	s_and_b64 s[2:3], s[12:13], s[0:1]
	s_mov_b64 s[0:1], 0
	s_mov_b64 s[10:11], 0
                                        ; implicit-def: $vgpr2
	s_and_saveexec_b64 s[8:9], s[2:3]
	s_xor_b64 s[2:3], exec, s[8:9]
; %bb.66:
	s_mov_b64 s[10:11], exec
	v_add_u32_e32 v2, v27, v28
; %bb.67:
	s_or_b64 exec, exec, s[2:3]
	s_and_b64 vcc, exec, s[0:1]
	s_cbranch_vccz .LBB1163_107
.LBB1163_68:
	s_mov_b32 s45, 0
	v_mbcnt_hi_u32_b32 v18, -1, v1
	s_lshl_b64 s[12:13], s[44:45], 3
	v_and_b32_e32 v1, 63, v18
	s_add_u32 s0, s24, s12
	v_lshlrev_b32_e32 v9, 3, v1
	v_add_co_u32_e32 v3, vcc, s0, v9
	s_load_dword s7, s[4:5], 0x58
	s_load_dword s0, s[4:5], 0x64
	v_and_b32_e32 v8, 0x3ff, v0
	s_addc_u32 s1, s25, s13
	v_and_b32_e32 v2, 0x3c0, v8
	v_mul_u32_u24_e32 v2, 6, v2
	v_mov_b32_e32 v1, s1
	v_addc_co_u32_e32 v1, vcc, 0, v1, vcc
	v_lshlrev_b32_e32 v20, 3, v2
	s_add_u32 s1, s4, 0x58
	v_add_co_u32_e32 v16, vcc, v3, v20
	s_addc_u32 s2, s5, 0
	s_waitcnt lgkmcnt(0)
	s_lshr_b32 s3, s0, 16
	v_addc_co_u32_e32 v17, vcc, 0, v1, vcc
	s_cmp_lt_u32 s6, s7
	global_load_dwordx2 v[2:3], v[16:17], off
	s_cselect_b32 s0, 12, 18
	s_add_u32 s0, s1, s0
	v_mov_b32_e32 v14, 0
	s_addc_u32 s1, s2, 0
	global_load_ushort v15, v14, s[0:1]
	v_mul_u32_u24_e32 v4, 5, v8
	v_lshlrev_b32_e32 v19, 2, v4
	v_bfe_u32 v1, v0, 10, 10
	v_bfe_u32 v0, v0, 20, 10
	ds_write2_b32 v19, v14, v14 offset0:16 offset1:17
	ds_write2_b32 v19, v14, v14 offset0:18 offset1:19
	ds_write_b32 v19, v14 offset:80
	v_mad_u32_u24 v21, v0, s3, v1
	global_load_dwordx2 v[0:1], v[16:17], off offset:512
	global_load_dwordx2 v[4:5], v[16:17], off offset:1024
	;; [unrolled: 1-line block ×5, first 2 shown]
	s_lshl_b32 s0, -1, s41
	s_not_b32 s16, s0
	s_waitcnt lgkmcnt(0)
	s_barrier
	s_waitcnt lgkmcnt(0)
	; wave barrier
	s_waitcnt vmcnt(6)
	v_xor_b32_e32 v3, 0x80000000, v3
	v_lshrrev_b64 v[16:17], s40, v[2:3]
	v_and_b32_e32 v22, s16, v16
	s_waitcnt vmcnt(5)
	v_mad_u64_u32 v[16:17], s[0:1], v21, v15, v[8:9]
	v_and_b32_e32 v21, 1, v22
	v_lshrrev_b32_e32 v29, 6, v16
	v_add_co_u32_e32 v16, vcc, -1, v21
	v_lshlrev_b32_e32 v15, 30, v22
	v_addc_co_u32_e64 v24, s[0:1], 0, -1, vcc
	v_lshl_add_u32 v17, v22, 4, v22
	v_cmp_ne_u32_e32 vcc, 0, v21
	v_cmp_gt_i64_e64 s[0:1], 0, v[14:15]
	v_not_b32_e32 v21, v15
	v_lshlrev_b32_e32 v15, 29, v22
	v_add_lshl_u32 v23, v29, v17, 2
	v_xor_b32_e32 v17, vcc_hi, v24
	v_xor_b32_e32 v16, vcc_lo, v16
	v_ashrrev_i32_e32 v21, 31, v21
	v_cmp_gt_i64_e32 vcc, 0, v[14:15]
	v_not_b32_e32 v24, v15
	v_lshlrev_b32_e32 v15, 28, v22
	v_and_b32_e32 v17, exec_hi, v17
	v_and_b32_e32 v16, exec_lo, v16
	v_xor_b32_e32 v25, s1, v21
	v_xor_b32_e32 v21, s0, v21
	v_ashrrev_i32_e32 v24, 31, v24
	v_cmp_gt_i64_e64 s[0:1], 0, v[14:15]
	v_not_b32_e32 v26, v15
	v_lshlrev_b32_e32 v15, 27, v22
	v_and_b32_e32 v17, v17, v25
	v_and_b32_e32 v16, v16, v21
	v_xor_b32_e32 v21, vcc_hi, v24
	v_xor_b32_e32 v24, vcc_lo, v24
	v_ashrrev_i32_e32 v25, 31, v26
	v_cmp_gt_i64_e32 vcc, 0, v[14:15]
	v_not_b32_e32 v15, v15
	v_and_b32_e32 v17, v17, v21
	v_and_b32_e32 v16, v16, v24
	v_xor_b32_e32 v21, s1, v25
	v_xor_b32_e32 v24, s0, v25
	v_ashrrev_i32_e32 v15, 31, v15
	v_and_b32_e32 v17, v17, v21
	v_and_b32_e32 v16, v16, v24
	v_xor_b32_e32 v21, vcc_hi, v15
	v_xor_b32_e32 v15, vcc_lo, v15
	v_and_b32_e32 v16, v16, v15
	v_lshlrev_b32_e32 v15, 26, v22
	v_cmp_gt_i64_e32 vcc, 0, v[14:15]
	v_not_b32_e32 v15, v15
	v_ashrrev_i32_e32 v15, 31, v15
	v_and_b32_e32 v17, v17, v21
	v_xor_b32_e32 v21, vcc_hi, v15
	v_xor_b32_e32 v15, vcc_lo, v15
	v_and_b32_e32 v16, v16, v15
	v_lshlrev_b32_e32 v15, 25, v22
	v_cmp_gt_i64_e32 vcc, 0, v[14:15]
	v_not_b32_e32 v15, v15
	v_ashrrev_i32_e32 v15, 31, v15
	;; [unrolled: 8-line block ×3, first 2 shown]
	v_and_b32_e32 v17, v17, v21
	v_xor_b32_e32 v21, vcc_hi, v15
	v_xor_b32_e32 v15, vcc_lo, v15
	v_and_b32_e32 v16, v16, v15
	v_and_b32_e32 v17, v17, v21
	v_mbcnt_lo_u32_b32 v15, v16, 0
	v_mbcnt_hi_u32_b32 v21, v17, v15
	v_cmp_eq_u32_e32 vcc, 0, v21
	v_cmp_ne_u64_e64 s[0:1], 0, v[16:17]
	s_and_b64 s[2:3], s[0:1], vcc
	s_and_saveexec_b64 s[0:1], s[2:3]
	s_cbranch_execz .LBB1163_70
; %bb.69:
	v_bcnt_u32_b32 v15, v16, 0
	v_bcnt_u32_b32 v15, v17, v15
	ds_write_b32 v23, v15 offset:64
.LBB1163_70:
	s_or_b64 exec, exec, s[0:1]
	s_waitcnt vmcnt(4)
	v_xor_b32_e32 v1, 0x80000000, v1
	v_lshrrev_b64 v[16:17], s40, v[0:1]
	v_and_b32_e32 v16, s16, v16
	v_lshl_add_u32 v15, v16, 4, v16
	v_add_lshl_u32 v26, v29, v15, 2
	v_and_b32_e32 v15, 1, v16
	v_add_co_u32_e32 v17, vcc, -1, v15
	v_addc_co_u32_e64 v24, s[0:1], 0, -1, vcc
	v_cmp_ne_u32_e32 vcc, 0, v15
	v_xor_b32_e32 v15, vcc_hi, v24
	v_and_b32_e32 v24, exec_hi, v15
	v_lshlrev_b32_e32 v15, 30, v16
	v_xor_b32_e32 v17, vcc_lo, v17
	v_cmp_gt_i64_e32 vcc, 0, v[14:15]
	v_not_b32_e32 v15, v15
	v_ashrrev_i32_e32 v15, 31, v15
	v_and_b32_e32 v17, exec_lo, v17
	v_xor_b32_e32 v25, vcc_hi, v15
	v_xor_b32_e32 v15, vcc_lo, v15
	v_and_b32_e32 v17, v17, v15
	v_lshlrev_b32_e32 v15, 29, v16
	v_cmp_gt_i64_e32 vcc, 0, v[14:15]
	v_not_b32_e32 v15, v15
	v_ashrrev_i32_e32 v15, 31, v15
	v_and_b32_e32 v24, v24, v25
	v_xor_b32_e32 v25, vcc_hi, v15
	v_xor_b32_e32 v15, vcc_lo, v15
	v_and_b32_e32 v17, v17, v15
	v_lshlrev_b32_e32 v15, 28, v16
	v_cmp_gt_i64_e32 vcc, 0, v[14:15]
	v_not_b32_e32 v15, v15
	v_ashrrev_i32_e32 v15, 31, v15
	v_and_b32_e32 v24, v24, v25
	;; [unrolled: 8-line block ×5, first 2 shown]
	v_xor_b32_e32 v25, vcc_hi, v15
	v_xor_b32_e32 v15, vcc_lo, v15
	v_and_b32_e32 v17, v17, v15
	v_lshlrev_b32_e32 v15, 24, v16
	v_cmp_gt_i64_e32 vcc, 0, v[14:15]
	v_not_b32_e32 v14, v15
	v_ashrrev_i32_e32 v14, 31, v14
	v_xor_b32_e32 v15, vcc_hi, v14
	v_xor_b32_e32 v14, vcc_lo, v14
	; wave barrier
	ds_read_b32 v22, v26 offset:64
	v_and_b32_e32 v24, v24, v25
	v_and_b32_e32 v14, v17, v14
	;; [unrolled: 1-line block ×3, first 2 shown]
	v_mbcnt_lo_u32_b32 v16, v14, 0
	v_mbcnt_hi_u32_b32 v24, v15, v16
	v_cmp_eq_u32_e32 vcc, 0, v24
	v_cmp_ne_u64_e64 s[0:1], 0, v[14:15]
	s_and_b64 s[2:3], s[0:1], vcc
	; wave barrier
	s_and_saveexec_b64 s[0:1], s[2:3]
	s_cbranch_execz .LBB1163_72
; %bb.71:
	v_bcnt_u32_b32 v14, v14, 0
	v_bcnt_u32_b32 v14, v15, v14
	s_waitcnt lgkmcnt(0)
	v_add_u32_e32 v14, v22, v14
	ds_write_b32 v26, v14 offset:64
.LBB1163_72:
	s_or_b64 exec, exec, s[0:1]
	s_waitcnt vmcnt(3)
	v_xor_b32_e32 v5, 0x80000000, v5
	v_lshrrev_b64 v[14:15], s40, v[4:5]
	v_and_b32_e32 v16, s16, v14
	v_and_b32_e32 v15, 1, v16
	v_add_co_u32_e32 v17, vcc, -1, v15
	v_addc_co_u32_e64 v27, s[0:1], 0, -1, vcc
	v_cmp_ne_u32_e32 vcc, 0, v15
	v_lshl_add_u32 v14, v16, 4, v16
	v_xor_b32_e32 v15, vcc_hi, v27
	v_add_lshl_u32 v30, v29, v14, 2
	v_mov_b32_e32 v14, 0
	v_and_b32_e32 v27, exec_hi, v15
	v_lshlrev_b32_e32 v15, 30, v16
	v_xor_b32_e32 v17, vcc_lo, v17
	v_cmp_gt_i64_e32 vcc, 0, v[14:15]
	v_not_b32_e32 v15, v15
	v_ashrrev_i32_e32 v15, 31, v15
	v_and_b32_e32 v17, exec_lo, v17
	v_xor_b32_e32 v28, vcc_hi, v15
	v_xor_b32_e32 v15, vcc_lo, v15
	v_and_b32_e32 v17, v17, v15
	v_lshlrev_b32_e32 v15, 29, v16
	v_cmp_gt_i64_e32 vcc, 0, v[14:15]
	v_not_b32_e32 v15, v15
	v_ashrrev_i32_e32 v15, 31, v15
	v_and_b32_e32 v27, v27, v28
	v_xor_b32_e32 v28, vcc_hi, v15
	v_xor_b32_e32 v15, vcc_lo, v15
	v_and_b32_e32 v17, v17, v15
	v_lshlrev_b32_e32 v15, 28, v16
	v_cmp_gt_i64_e32 vcc, 0, v[14:15]
	v_not_b32_e32 v15, v15
	v_ashrrev_i32_e32 v15, 31, v15
	v_and_b32_e32 v27, v27, v28
	;; [unrolled: 8-line block ×5, first 2 shown]
	v_xor_b32_e32 v28, vcc_hi, v15
	v_xor_b32_e32 v15, vcc_lo, v15
	v_and_b32_e32 v27, v27, v28
	v_and_b32_e32 v28, v17, v15
	v_lshlrev_b32_e32 v15, 24, v16
	v_cmp_gt_i64_e32 vcc, 0, v[14:15]
	v_not_b32_e32 v15, v15
	v_ashrrev_i32_e32 v15, 31, v15
	v_xor_b32_e32 v16, vcc_hi, v15
	v_xor_b32_e32 v15, vcc_lo, v15
	; wave barrier
	ds_read_b32 v25, v30 offset:64
	v_and_b32_e32 v17, v27, v16
	v_and_b32_e32 v16, v28, v15
	v_mbcnt_lo_u32_b32 v15, v16, 0
	v_mbcnt_hi_u32_b32 v27, v17, v15
	v_cmp_eq_u32_e32 vcc, 0, v27
	v_cmp_ne_u64_e64 s[0:1], 0, v[16:17]
	s_and_b64 s[2:3], s[0:1], vcc
	; wave barrier
	s_and_saveexec_b64 s[0:1], s[2:3]
	s_cbranch_execz .LBB1163_74
; %bb.73:
	v_bcnt_u32_b32 v15, v16, 0
	v_bcnt_u32_b32 v15, v17, v15
	s_waitcnt lgkmcnt(0)
	v_add_u32_e32 v15, v25, v15
	ds_write_b32 v30, v15 offset:64
.LBB1163_74:
	s_or_b64 exec, exec, s[0:1]
	s_waitcnt vmcnt(2)
	v_xor_b32_e32 v7, 0x80000000, v7
	v_lshrrev_b64 v[16:17], s40, v[6:7]
	v_and_b32_e32 v16, s16, v16
	v_lshl_add_u32 v15, v16, 4, v16
	v_add_lshl_u32 v33, v29, v15, 2
	v_and_b32_e32 v15, 1, v16
	v_add_co_u32_e32 v17, vcc, -1, v15
	v_addc_co_u32_e64 v31, s[0:1], 0, -1, vcc
	v_cmp_ne_u32_e32 vcc, 0, v15
	v_xor_b32_e32 v15, vcc_hi, v31
	v_and_b32_e32 v31, exec_hi, v15
	v_lshlrev_b32_e32 v15, 30, v16
	v_xor_b32_e32 v17, vcc_lo, v17
	v_cmp_gt_i64_e32 vcc, 0, v[14:15]
	v_not_b32_e32 v15, v15
	v_ashrrev_i32_e32 v15, 31, v15
	v_and_b32_e32 v17, exec_lo, v17
	v_xor_b32_e32 v32, vcc_hi, v15
	v_xor_b32_e32 v15, vcc_lo, v15
	v_and_b32_e32 v17, v17, v15
	v_lshlrev_b32_e32 v15, 29, v16
	v_cmp_gt_i64_e32 vcc, 0, v[14:15]
	v_not_b32_e32 v15, v15
	v_ashrrev_i32_e32 v15, 31, v15
	v_and_b32_e32 v31, v31, v32
	v_xor_b32_e32 v32, vcc_hi, v15
	v_xor_b32_e32 v15, vcc_lo, v15
	v_and_b32_e32 v17, v17, v15
	v_lshlrev_b32_e32 v15, 28, v16
	v_cmp_gt_i64_e32 vcc, 0, v[14:15]
	v_not_b32_e32 v15, v15
	v_ashrrev_i32_e32 v15, 31, v15
	v_and_b32_e32 v31, v31, v32
	;; [unrolled: 8-line block ×5, first 2 shown]
	v_xor_b32_e32 v32, vcc_hi, v15
	v_xor_b32_e32 v15, vcc_lo, v15
	v_and_b32_e32 v17, v17, v15
	v_lshlrev_b32_e32 v15, 24, v16
	v_cmp_gt_i64_e32 vcc, 0, v[14:15]
	v_not_b32_e32 v14, v15
	v_ashrrev_i32_e32 v14, 31, v14
	v_xor_b32_e32 v15, vcc_hi, v14
	v_xor_b32_e32 v14, vcc_lo, v14
	; wave barrier
	ds_read_b32 v28, v33 offset:64
	v_and_b32_e32 v31, v31, v32
	v_and_b32_e32 v14, v17, v14
	;; [unrolled: 1-line block ×3, first 2 shown]
	v_mbcnt_lo_u32_b32 v16, v14, 0
	v_mbcnt_hi_u32_b32 v31, v15, v16
	v_cmp_eq_u32_e32 vcc, 0, v31
	v_cmp_ne_u64_e64 s[0:1], 0, v[14:15]
	s_and_b64 s[2:3], s[0:1], vcc
	; wave barrier
	s_and_saveexec_b64 s[0:1], s[2:3]
	s_cbranch_execz .LBB1163_76
; %bb.75:
	v_bcnt_u32_b32 v14, v14, 0
	v_bcnt_u32_b32 v14, v15, v14
	s_waitcnt lgkmcnt(0)
	v_add_u32_e32 v14, v28, v14
	ds_write_b32 v33, v14 offset:64
.LBB1163_76:
	s_or_b64 exec, exec, s[0:1]
	s_waitcnt vmcnt(1)
	v_xor_b32_e32 v11, 0x80000000, v11
	v_lshrrev_b64 v[14:15], s40, v[10:11]
	v_and_b32_e32 v16, s16, v14
	v_and_b32_e32 v15, 1, v16
	v_add_co_u32_e32 v17, vcc, -1, v15
	v_addc_co_u32_e64 v34, s[0:1], 0, -1, vcc
	v_cmp_ne_u32_e32 vcc, 0, v15
	v_lshl_add_u32 v14, v16, 4, v16
	v_xor_b32_e32 v15, vcc_hi, v34
	v_add_lshl_u32 v35, v29, v14, 2
	v_mov_b32_e32 v14, 0
	v_and_b32_e32 v34, exec_hi, v15
	v_lshlrev_b32_e32 v15, 30, v16
	v_xor_b32_e32 v17, vcc_lo, v17
	v_cmp_gt_i64_e32 vcc, 0, v[14:15]
	v_not_b32_e32 v15, v15
	v_ashrrev_i32_e32 v15, 31, v15
	v_and_b32_e32 v17, exec_lo, v17
	v_xor_b32_e32 v36, vcc_hi, v15
	v_xor_b32_e32 v15, vcc_lo, v15
	v_and_b32_e32 v17, v17, v15
	v_lshlrev_b32_e32 v15, 29, v16
	v_cmp_gt_i64_e32 vcc, 0, v[14:15]
	v_not_b32_e32 v15, v15
	v_ashrrev_i32_e32 v15, 31, v15
	v_and_b32_e32 v34, v34, v36
	v_xor_b32_e32 v36, vcc_hi, v15
	v_xor_b32_e32 v15, vcc_lo, v15
	v_and_b32_e32 v17, v17, v15
	v_lshlrev_b32_e32 v15, 28, v16
	v_cmp_gt_i64_e32 vcc, 0, v[14:15]
	v_not_b32_e32 v15, v15
	v_ashrrev_i32_e32 v15, 31, v15
	v_and_b32_e32 v34, v34, v36
	;; [unrolled: 8-line block ×5, first 2 shown]
	v_xor_b32_e32 v36, vcc_hi, v15
	v_xor_b32_e32 v15, vcc_lo, v15
	v_and_b32_e32 v34, v34, v36
	v_and_b32_e32 v36, v17, v15
	v_lshlrev_b32_e32 v15, 24, v16
	v_cmp_gt_i64_e32 vcc, 0, v[14:15]
	v_not_b32_e32 v15, v15
	v_ashrrev_i32_e32 v15, 31, v15
	v_xor_b32_e32 v16, vcc_hi, v15
	v_xor_b32_e32 v15, vcc_lo, v15
	; wave barrier
	ds_read_b32 v32, v35 offset:64
	v_and_b32_e32 v17, v34, v16
	v_and_b32_e32 v16, v36, v15
	v_mbcnt_lo_u32_b32 v15, v16, 0
	v_mbcnt_hi_u32_b32 v34, v17, v15
	v_cmp_eq_u32_e32 vcc, 0, v34
	v_cmp_ne_u64_e64 s[0:1], 0, v[16:17]
	s_and_b64 s[2:3], s[0:1], vcc
	; wave barrier
	s_and_saveexec_b64 s[0:1], s[2:3]
	s_cbranch_execz .LBB1163_78
; %bb.77:
	v_bcnt_u32_b32 v15, v16, 0
	v_bcnt_u32_b32 v15, v17, v15
	s_waitcnt lgkmcnt(0)
	v_add_u32_e32 v15, v32, v15
	ds_write_b32 v35, v15 offset:64
.LBB1163_78:
	s_or_b64 exec, exec, s[0:1]
	s_waitcnt vmcnt(0)
	v_xor_b32_e32 v13, 0x80000000, v13
	v_lshrrev_b64 v[16:17], s40, v[12:13]
	v_and_b32_e32 v16, s16, v16
	v_lshl_add_u32 v15, v16, 4, v16
	v_add_lshl_u32 v39, v29, v15, 2
	v_and_b32_e32 v15, 1, v16
	v_add_co_u32_e32 v17, vcc, -1, v15
	v_addc_co_u32_e64 v36, s[0:1], 0, -1, vcc
	v_cmp_ne_u32_e32 vcc, 0, v15
	v_xor_b32_e32 v15, vcc_hi, v36
	v_and_b32_e32 v36, exec_hi, v15
	v_lshlrev_b32_e32 v15, 30, v16
	v_xor_b32_e32 v17, vcc_lo, v17
	v_cmp_gt_i64_e32 vcc, 0, v[14:15]
	v_not_b32_e32 v15, v15
	v_ashrrev_i32_e32 v15, 31, v15
	v_and_b32_e32 v17, exec_lo, v17
	v_xor_b32_e32 v37, vcc_hi, v15
	v_xor_b32_e32 v15, vcc_lo, v15
	v_and_b32_e32 v17, v17, v15
	v_lshlrev_b32_e32 v15, 29, v16
	v_cmp_gt_i64_e32 vcc, 0, v[14:15]
	v_not_b32_e32 v15, v15
	v_ashrrev_i32_e32 v15, 31, v15
	v_and_b32_e32 v36, v36, v37
	v_xor_b32_e32 v37, vcc_hi, v15
	v_xor_b32_e32 v15, vcc_lo, v15
	v_and_b32_e32 v17, v17, v15
	v_lshlrev_b32_e32 v15, 28, v16
	v_cmp_gt_i64_e32 vcc, 0, v[14:15]
	v_not_b32_e32 v15, v15
	v_ashrrev_i32_e32 v15, 31, v15
	v_and_b32_e32 v36, v36, v37
	;; [unrolled: 8-line block ×5, first 2 shown]
	v_xor_b32_e32 v37, vcc_hi, v15
	v_xor_b32_e32 v15, vcc_lo, v15
	v_and_b32_e32 v17, v17, v15
	v_lshlrev_b32_e32 v15, 24, v16
	v_cmp_gt_i64_e32 vcc, 0, v[14:15]
	v_not_b32_e32 v14, v15
	v_ashrrev_i32_e32 v14, 31, v14
	v_xor_b32_e32 v15, vcc_hi, v14
	v_xor_b32_e32 v14, vcc_lo, v14
	; wave barrier
	ds_read_b32 v29, v39 offset:64
	v_and_b32_e32 v36, v36, v37
	v_and_b32_e32 v14, v17, v14
	;; [unrolled: 1-line block ×3, first 2 shown]
	v_mbcnt_lo_u32_b32 v16, v14, 0
	v_mbcnt_hi_u32_b32 v36, v15, v16
	v_cmp_eq_u32_e32 vcc, 0, v36
	v_cmp_ne_u64_e64 s[0:1], 0, v[14:15]
	v_add_u32_e32 v38, 64, v19
	s_and_b64 s[2:3], s[0:1], vcc
	; wave barrier
	s_and_saveexec_b64 s[0:1], s[2:3]
	s_cbranch_execz .LBB1163_80
; %bb.79:
	v_bcnt_u32_b32 v14, v14, 0
	v_bcnt_u32_b32 v14, v15, v14
	s_waitcnt lgkmcnt(0)
	v_add_u32_e32 v14, v29, v14
	ds_write_b32 v39, v14 offset:64
.LBB1163_80:
	s_or_b64 exec, exec, s[0:1]
	; wave barrier
	s_waitcnt lgkmcnt(0)
	s_barrier
	ds_read2_b32 v[16:17], v19 offset0:16 offset1:17
	ds_read2_b32 v[14:15], v38 offset0:2 offset1:3
	ds_read_b32 v37, v38 offset:16
	v_cmp_lt_u32_e64 s[8:9], 31, v18
	s_waitcnt lgkmcnt(1)
	v_add3_u32 v40, v17, v16, v14
	s_waitcnt lgkmcnt(0)
	v_add3_u32 v37, v40, v15, v37
	v_and_b32_e32 v40, 15, v18
	v_cmp_eq_u32_e32 vcc, 0, v40
	v_mov_b32_dpp v41, v37 row_shr:1 row_mask:0xf bank_mask:0xf
	v_cndmask_b32_e64 v41, v41, 0, vcc
	v_add_u32_e32 v37, v41, v37
	v_cmp_lt_u32_e64 s[0:1], 1, v40
	v_cmp_lt_u32_e64 s[2:3], 3, v40
	v_mov_b32_dpp v41, v37 row_shr:2 row_mask:0xf bank_mask:0xf
	v_cndmask_b32_e64 v41, 0, v41, s[0:1]
	v_add_u32_e32 v37, v37, v41
	v_cmp_lt_u32_e64 s[4:5], 7, v40
	s_nop 0
	v_mov_b32_dpp v41, v37 row_shr:4 row_mask:0xf bank_mask:0xf
	v_cndmask_b32_e64 v41, 0, v41, s[2:3]
	v_add_u32_e32 v37, v37, v41
	s_nop 1
	v_mov_b32_dpp v41, v37 row_shr:8 row_mask:0xf bank_mask:0xf
	v_cndmask_b32_e64 v40, 0, v41, s[4:5]
	v_add_u32_e32 v37, v37, v40
	v_bfe_i32 v41, v18, 4, 1
	s_nop 0
	v_mov_b32_dpp v40, v37 row_bcast:15 row_mask:0xf bank_mask:0xf
	v_and_b32_e32 v40, v41, v40
	v_add_u32_e32 v37, v37, v40
	v_lshrrev_b32_e32 v41, 6, v8
	s_nop 0
	v_mov_b32_dpp v40, v37 row_bcast:31 row_mask:0xf bank_mask:0xf
	v_cndmask_b32_e64 v40, 0, v40, s[8:9]
	v_add_u32_e32 v40, v37, v40
	v_and_b32_e32 v37, 63, v8
	v_cmp_eq_u32_e64 s[8:9], 63, v37
	s_and_saveexec_b64 s[14:15], s[8:9]
	s_cbranch_execz .LBB1163_82
; %bb.81:
	v_lshlrev_b32_e32 v37, 2, v41
	ds_write_b32 v37, v40
.LBB1163_82:
	s_or_b64 exec, exec, s[14:15]
	v_cmp_gt_u32_e64 s[8:9], 16, v8
	v_lshlrev_b32_e32 v37, 2, v8
	s_waitcnt lgkmcnt(0)
	s_barrier
	s_and_saveexec_b64 s[14:15], s[8:9]
	s_cbranch_execz .LBB1163_84
; %bb.83:
	ds_read_b32 v42, v37
	s_waitcnt lgkmcnt(0)
	s_nop 0
	v_mov_b32_dpp v43, v42 row_shr:1 row_mask:0xf bank_mask:0xf
	v_cndmask_b32_e64 v43, v43, 0, vcc
	v_add_u32_e32 v42, v43, v42
	s_nop 1
	v_mov_b32_dpp v43, v42 row_shr:2 row_mask:0xf bank_mask:0xf
	v_cndmask_b32_e64 v43, 0, v43, s[0:1]
	v_add_u32_e32 v42, v42, v43
	s_nop 1
	v_mov_b32_dpp v43, v42 row_shr:4 row_mask:0xf bank_mask:0xf
	v_cndmask_b32_e64 v43, 0, v43, s[2:3]
	;; [unrolled: 4-line block ×3, first 2 shown]
	v_add_u32_e32 v42, v42, v43
	ds_write_b32 v37, v42
.LBB1163_84:
	s_or_b64 exec, exec, s[14:15]
	v_cmp_lt_u32_e32 vcc, 63, v8
	v_mov_b32_e32 v42, 0
	s_waitcnt lgkmcnt(0)
	s_barrier
	s_and_saveexec_b64 s[0:1], vcc
	s_cbranch_execz .LBB1163_86
; %bb.85:
	v_lshl_add_u32 v41, v41, 2, -4
	ds_read_b32 v42, v41
.LBB1163_86:
	s_or_b64 exec, exec, s[0:1]
	v_add_u32_e32 v41, -1, v18
	v_and_b32_e32 v43, 64, v18
	v_cmp_lt_i32_e32 vcc, v41, v43
	v_cndmask_b32_e32 v41, v41, v18, vcc
	s_waitcnt lgkmcnt(0)
	v_add_u32_e32 v40, v42, v40
	v_lshlrev_b32_e32 v41, 2, v41
	ds_bpermute_b32 v40, v41, v40
	v_cmp_eq_u32_e32 vcc, 0, v18
	s_movk_i32 s0, 0x100
	s_waitcnt lgkmcnt(0)
	v_cndmask_b32_e32 v18, v40, v42, vcc
	v_cmp_ne_u32_e32 vcc, 0, v8
	v_cndmask_b32_e32 v18, 0, v18, vcc
	v_add_u32_e32 v16, v18, v16
	v_add_u32_e32 v17, v16, v17
	;; [unrolled: 1-line block ×4, first 2 shown]
	ds_write2_b32 v19, v18, v16 offset0:16 offset1:17
	ds_write2_b32 v38, v17, v14 offset0:2 offset1:3
	ds_write_b32 v38, v15 offset:16
	s_waitcnt lgkmcnt(0)
	s_barrier
	ds_read_b32 v40, v23 offset:64
	ds_read_b32 v38, v26 offset:64
	;; [unrolled: 1-line block ×6, first 2 shown]
	v_cmp_gt_u32_e32 vcc, s0, v8
                                        ; implicit-def: $vgpr23
                                        ; implicit-def: $vgpr26
	s_and_saveexec_b64 s[2:3], vcc
	s_cbranch_execz .LBB1163_90
; %bb.87:
	v_mul_u32_u24_e32 v14, 17, v8
	v_lshlrev_b32_e32 v15, 2, v14
	ds_read_b32 v23, v15 offset:64
	s_movk_i32 s0, 0xff
	v_cmp_ne_u32_e64 s[0:1], s0, v8
	v_mov_b32_e32 v14, 0x1800
	s_and_saveexec_b64 s[4:5], s[0:1]
	s_cbranch_execz .LBB1163_89
; %bb.88:
	ds_read_b32 v14, v15 offset:132
.LBB1163_89:
	s_or_b64 exec, exec, s[4:5]
	s_waitcnt lgkmcnt(0)
	v_sub_u32_e32 v26, v14, v23
.LBB1163_90:
	s_or_b64 exec, exec, s[2:3]
	s_waitcnt lgkmcnt(0)
	s_barrier
	s_and_saveexec_b64 s[2:3], vcc
	s_cbranch_execz .LBB1163_100
; %bb.91:
	v_lshl_or_b32 v14, s6, 8, v8
	v_mov_b32_e32 v15, 0
	v_lshlrev_b64 v[16:17], 2, v[14:15]
	v_mov_b32_e32 v41, s35
	v_add_co_u32_e64 v16, s[0:1], s34, v16
	v_addc_co_u32_e64 v17, s[0:1], v41, v17, s[0:1]
	v_or_b32_e32 v14, 2.0, v26
	s_mov_b64 s[4:5], 0
	s_brev_b32 s17, 1
	s_mov_b32 s18, s6
	v_mov_b32_e32 v42, 0
	global_store_dword v[16:17], v14, off
                                        ; implicit-def: $sgpr0_sgpr1
	s_branch .LBB1163_94
.LBB1163_92:                            ;   in Loop: Header=BB1163_94 Depth=1
	s_or_b64 exec, exec, s[14:15]
.LBB1163_93:                            ;   in Loop: Header=BB1163_94 Depth=1
	s_or_b64 exec, exec, s[8:9]
	v_and_b32_e32 v18, 0x3fffffff, v43
	v_add_u32_e32 v42, v18, v42
	v_cmp_eq_u32_e64 s[0:1], s17, v14
	s_and_b64 s[8:9], exec, s[0:1]
	s_or_b64 s[4:5], s[8:9], s[4:5]
	s_andn2_b64 exec, exec, s[4:5]
	s_cbranch_execz .LBB1163_99
.LBB1163_94:                            ; =>This Loop Header: Depth=1
                                        ;     Child Loop BB1163_97 Depth 2
	s_or_b64 s[0:1], s[0:1], exec
	s_cmp_eq_u32 s18, 0
	s_cbranch_scc1 .LBB1163_98
; %bb.95:                               ;   in Loop: Header=BB1163_94 Depth=1
	s_add_i32 s18, s18, -1
	v_lshl_or_b32 v14, s18, 8, v8
	v_lshlrev_b64 v[18:19], 2, v[14:15]
	v_add_co_u32_e64 v18, s[0:1], s34, v18
	v_addc_co_u32_e64 v19, s[0:1], v41, v19, s[0:1]
	global_load_dword v43, v[18:19], off glc
	s_waitcnt vmcnt(0)
	v_and_b32_e32 v14, -2.0, v43
	v_cmp_eq_u32_e64 s[0:1], 0, v14
	s_and_saveexec_b64 s[8:9], s[0:1]
	s_cbranch_execz .LBB1163_93
; %bb.96:                               ;   in Loop: Header=BB1163_94 Depth=1
	s_mov_b64 s[14:15], 0
.LBB1163_97:                            ;   Parent Loop BB1163_94 Depth=1
                                        ; =>  This Inner Loop Header: Depth=2
	global_load_dword v43, v[18:19], off glc
	s_waitcnt vmcnt(0)
	v_and_b32_e32 v14, -2.0, v43
	v_cmp_ne_u32_e64 s[0:1], 0, v14
	s_or_b64 s[14:15], s[0:1], s[14:15]
	s_andn2_b64 exec, exec, s[14:15]
	s_cbranch_execnz .LBB1163_97
	s_branch .LBB1163_92
.LBB1163_98:                            ;   in Loop: Header=BB1163_94 Depth=1
                                        ; implicit-def: $sgpr18
	s_and_b64 s[8:9], exec, s[0:1]
	s_or_b64 s[4:5], s[8:9], s[4:5]
	s_andn2_b64 exec, exec, s[4:5]
	s_cbranch_execnz .LBB1163_94
.LBB1163_99:
	s_or_b64 exec, exec, s[4:5]
	v_add_u32_e32 v14, v42, v26
	v_or_b32_e32 v14, 0x80000000, v14
	global_store_dword v[16:17], v14, off
	global_load_dword v14, v37, s[36:37]
	v_sub_u32_e32 v15, v42, v23
	s_waitcnt vmcnt(0)
	v_add_u32_e32 v14, v15, v14
	ds_write_b32 v37, v14
.LBB1163_100:
	s_or_b64 exec, exec, s[2:3]
	v_lshlrev_b32_e32 v17, 3, v8
	v_add_u32_e32 v16, v40, v21
	s_movk_i32 s2, 0x400
	v_add_u32_e32 v18, 0x400, v17
	v_add3_u32 v19, v36, v39, v29
	v_add3_u32 v21, v34, v35, v32
	;; [unrolled: 1-line block ×5, first 2 shown]
	s_mov_b32 s3, 0
	s_mov_b32 s4, 1
	v_mov_b32_e32 v33, s27
	v_mov_b32_e32 v15, 0
	;; [unrolled: 1-line block ×3, first 2 shown]
                                        ; implicit-def: $vgpr32
                                        ; implicit-def: $vgpr31
                                        ; implicit-def: $vgpr30
                                        ; implicit-def: $vgpr29
                                        ; implicit-def: $vgpr27
                                        ; implicit-def: $vgpr24
.LBB1163_101:                           ; =>This Inner Loop Header: Depth=1
	v_add_u32_e32 v14, s3, v16
	v_add_u32_e32 v36, s3, v25
	;; [unrolled: 1-line block ×6, first 2 shown]
	v_min_u32_e32 v14, 0x800, v14
	v_min_u32_e32 v36, 0x800, v36
	;; [unrolled: 1-line block ×6, first 2 shown]
	v_lshlrev_b32_e32 v14, 3, v14
	v_lshlrev_b32_e32 v36, 3, v36
	;; [unrolled: 1-line block ×6, first 2 shown]
	ds_write_b64 v14, v[2:3] offset:1024
	ds_write_b64 v35, v[0:1] offset:1024
	;; [unrolled: 1-line block ×6, first 2 shown]
	s_waitcnt lgkmcnt(0)
	s_barrier
	ds_read_b64 v[36:37], v17 offset:1024
	ds_read_b64 v[38:39], v18 offset:8192
	s_add_i32 s5, s4, -1
	s_cmp_eq_u32 s5, 0
	s_cselect_b64 s[0:1], -1, 0
	s_waitcnt lgkmcnt(1)
	v_lshrrev_b64 v[40:41], s40, v[36:37]
	v_and_b32_e32 v14, s16, v40
	s_cmp_eq_u32 s5, 1
	s_waitcnt lgkmcnt(0)
	v_lshrrev_b64 v[42:43], s40, v[38:39]
	v_cndmask_b32_e64 v32, v32, v14, s[0:1]
	s_cselect_b64 s[0:1], -1, 0
	s_cmp_eq_u32 s5, 2
	v_and_b32_e32 v35, s16, v42
	v_lshlrev_b32_e32 v40, 2, v14
	v_cndmask_b32_e64 v44, v31, v14, s[0:1]
	s_cselect_b64 s[0:1], -1, 0
	s_cmp_eq_u32 s5, 3
	v_lshlrev_b32_e32 v31, 2, v35
	v_cndmask_b32_e64 v45, v30, v14, s[0:1]
	ds_read_b32 v30, v40
	ds_read_b32 v40, v31
	s_cselect_b64 s[0:1], -1, 0
	s_cmp_eq_u32 s5, 4
	v_cndmask_b32_e64 v29, v29, v14, s[0:1]
	s_cselect_b64 s[0:1], -1, 0
	s_cmp_eq_u32 s5, 5
	v_cndmask_b32_e64 v27, v27, v14, s[0:1]
	s_cselect_b64 s[0:1], -1, 0
	s_cmp_eq_u32 s4, 5
	v_cndmask_b32_e64 v14, v24, v14, s[0:1]
	s_cselect_b64 s[0:1], -1, 0
	s_cmp_eq_u32 s4, 4
	v_cndmask_b32_e64 v24, v14, v35, s[0:1]
	s_waitcnt lgkmcnt(1)
	v_add_u32_e32 v14, v34, v30
	s_cselect_b64 s[0:1], -1, 0
	s_cmp_eq_u32 s4, 3
	v_cndmask_b32_e64 v27, v27, v35, s[0:1]
	v_lshlrev_b64 v[30:31], 3, v[14:15]
	s_cselect_b64 s[0:1], -1, 0
	s_waitcnt lgkmcnt(0)
	v_add3_u32 v14, v34, v40, s2
	v_cndmask_b32_e64 v29, v29, v35, s[0:1]
	v_add_co_u32_e64 v40, s[0:1], s26, v30
	s_cmp_eq_u32 s4, 2
	v_addc_co_u32_e64 v41, s[0:1], v33, v31, s[0:1]
	v_xor_b32_e32 v37, 0x80000000, v37
	v_lshlrev_b64 v[42:43], 3, v[14:15]
	s_cselect_b64 s[0:1], -1, 0
	v_cndmask_b32_e64 v30, v45, v35, s[0:1]
	global_store_dwordx2 v[40:41], v[36:37], off
	v_add_co_u32_e64 v36, s[0:1], s26, v42
	s_cmp_eq_u32 s4, 1
	v_addc_co_u32_e64 v37, s[0:1], v33, v43, s[0:1]
	s_cselect_b64 s[0:1], -1, 0
	s_cmp_eq_u32 s4, 0
	v_cndmask_b32_e64 v31, v44, v35, s[0:1]
	s_cselect_b64 s[0:1], -1, 0
	s_addk_i32 s3, 0xf800
	s_add_i32 s4, s4, 2
	v_xor_b32_e32 v39, 0x80000000, v39
	v_add_u32_e32 v34, 0x800, v34
	v_cndmask_b32_e64 v32, v32, v35, s[0:1]
	s_cmpk_lg_i32 s3, 0xe800
	global_store_dwordx2 v[36:37], v[38:39], off
	s_barrier
	s_cbranch_scc1 .LBB1163_101
; %bb.102:
	s_add_u32 s0, s28, s12
	s_addc_u32 s1, s29, s13
	v_mov_b32_e32 v0, s1
	v_add_co_u32_e64 v1, s[0:1], s0, v9
	v_addc_co_u32_e64 v0, s[0:1], 0, v0, s[0:1]
	v_add_co_u32_e64 v14, s[0:1], v1, v20
	v_addc_co_u32_e64 v15, s[0:1], 0, v0, s[0:1]
	global_load_dwordx2 v[0:1], v[14:15], off
	global_load_dwordx2 v[2:3], v[14:15], off offset:512
	global_load_dwordx2 v[4:5], v[14:15], off offset:1024
	;; [unrolled: 1-line block ×5, first 2 shown]
	s_mov_b32 s2, 0
	s_mov_b32 s3, 1
	s_movk_i32 s4, 0x400
	v_mov_b32_e32 v15, 0
	v_mov_b32_e32 v9, s31
	v_mov_b32_e32 v20, v8
	s_waitcnt vmcnt(0)
.LBB1163_103:                           ; =>This Inner Loop Header: Depth=1
	s_add_i32 s5, s3, -1
	v_add_u32_e32 v14, s2, v16
	s_cmp_eq_u32 s5, 1
	v_add_u32_e32 v33, s2, v22
	v_add_u32_e32 v34, s2, v25
	;; [unrolled: 1-line block ×5, first 2 shown]
	v_min_u32_e32 v14, 0x800, v14
	s_cselect_b64 s[0:1], -1, 0
	s_cmp_eq_u32 s5, 2
	v_min_u32_e32 v33, 0x800, v33
	v_min_u32_e32 v34, 0x800, v34
	;; [unrolled: 1-line block ×5, first 2 shown]
	v_lshlrev_b32_e32 v14, 3, v14
	v_cndmask_b32_e64 v38, v32, v31, s[0:1]
	s_cselect_b64 s[0:1], -1, 0
	s_cmp_eq_u32 s5, 3
	v_lshlrev_b32_e32 v33, 3, v33
	v_lshlrev_b32_e32 v34, 3, v34
	;; [unrolled: 1-line block ×5, first 2 shown]
	ds_write_b64 v14, v[0:1] offset:1024
	ds_write_b64 v33, v[2:3] offset:1024
	;; [unrolled: 1-line block ×6, first 2 shown]
	v_cndmask_b32_e64 v14, v38, v30, s[0:1]
	s_cselect_b64 s[0:1], -1, 0
	s_cmp_eq_u32 s5, 4
	v_cndmask_b32_e64 v14, v14, v29, s[0:1]
	s_cselect_b64 s[0:1], -1, 0
	s_cmp_eq_u32 s5, 5
	;; [unrolled: 3-line block ×5, first 2 shown]
	v_lshlrev_b32_e32 v14, 2, v14
	v_cndmask_b32_e64 v33, v33, v30, s[0:1]
	s_cselect_b64 s[0:1], -1, 0
	s_cmp_eq_u32 s3, 4
	s_waitcnt lgkmcnt(0)
	s_barrier
	ds_read_b64 v[34:35], v17 offset:1024
	ds_read_b32 v14, v14
	v_cndmask_b32_e64 v33, v33, v29, s[0:1]
	s_cselect_b64 s[0:1], -1, 0
	s_cmp_eq_u32 s3, 5
	v_cndmask_b32_e64 v33, v33, v27, s[0:1]
	s_cselect_b64 s[0:1], -1, 0
	v_cndmask_b32_e64 v33, v33, v24, s[0:1]
	v_lshlrev_b32_e32 v33, 2, v33
	ds_read_b32 v33, v33
	ds_read_b64 v[36:37], v18 offset:8192
	s_waitcnt lgkmcnt(2)
	v_add_u32_e32 v14, v20, v14
	v_lshlrev_b64 v[38:39], 3, v[14:15]
	v_add_co_u32_e64 v38, s[0:1], s30, v38
	v_addc_co_u32_e64 v39, s[0:1], v9, v39, s[0:1]
	s_waitcnt lgkmcnt(1)
	v_add3_u32 v14, v20, v33, s4
	global_store_dwordx2 v[38:39], v[34:35], off
	v_lshlrev_b64 v[34:35], 3, v[14:15]
	s_addk_i32 s2, 0xf800
	s_add_i32 s3, s3, 2
	v_add_co_u32_e64 v34, s[0:1], s30, v34
	s_cmpk_lg_i32 s2, 0xe800
	v_add_u32_e32 v20, 0x800, v20
	v_addc_co_u32_e64 v35, s[0:1], v9, v35, s[0:1]
	s_waitcnt lgkmcnt(0)
	global_store_dwordx2 v[34:35], v[36:37], off
	s_barrier
	s_cbranch_scc1 .LBB1163_103
; %bb.104:
	s_add_i32 s7, s7, -1
	s_cmp_eq_u32 s7, s6
	s_cselect_b64 s[0:1], -1, 0
	s_and_b64 s[2:3], vcc, s[0:1]
                                        ; implicit-def: $vgpr2
	s_and_saveexec_b64 s[0:1], s[2:3]
; %bb.105:
	v_add_u32_e32 v2, v23, v26
	s_or_b64 s[10:11], s[10:11], exec
; %bb.106:
	s_or_b64 exec, exec, s[0:1]
.LBB1163_107:
	s_and_saveexec_b64 s[0:1], s[10:11]
	s_cbranch_execnz .LBB1163_109
; %bb.108:
	s_endpgm
.LBB1163_109:
	v_lshlrev_b32_e32 v3, 2, v8
	ds_read_b32 v3, v3
	v_mov_b32_e32 v9, 0
	v_lshlrev_b64 v[0:1], 2, v[8:9]
	v_mov_b32_e32 v4, s39
	v_add_co_u32_e32 v0, vcc, s38, v0
	v_addc_co_u32_e32 v1, vcc, v4, v1, vcc
	s_waitcnt lgkmcnt(0)
	v_add_u32_e32 v2, v3, v2
	global_store_dword v[0:1], v2, off
	s_endpgm
.LBB1163_110:
	global_load_dwordx2 v[10:11], v[22:23], off
	s_or_b64 exec, exec, s[14:15]
                                        ; implicit-def: $vgpr12_vgpr13
	s_and_saveexec_b64 s[14:15], s[0:1]
	s_cbranch_execz .LBB1163_54
.LBB1163_111:
	global_load_dwordx2 v[12:13], v[22:23], off offset:512
	s_or_b64 exec, exec, s[14:15]
                                        ; implicit-def: $vgpr14_vgpr15
	s_and_saveexec_b64 s[0:1], s[2:3]
	s_cbranch_execz .LBB1163_55
.LBB1163_112:
	global_load_dwordx2 v[14:15], v[22:23], off offset:1024
	s_or_b64 exec, exec, s[0:1]
                                        ; implicit-def: $vgpr16_vgpr17
	s_and_saveexec_b64 s[0:1], s[20:21]
	s_cbranch_execz .LBB1163_56
.LBB1163_113:
	global_load_dwordx2 v[16:17], v[22:23], off offset:1536
	s_or_b64 exec, exec, s[0:1]
                                        ; implicit-def: $vgpr18_vgpr19
	s_and_saveexec_b64 s[0:1], s[8:9]
	s_cbranch_execz .LBB1163_57
.LBB1163_114:
	global_load_dwordx2 v[18:19], v[22:23], off offset:2048
	s_or_b64 exec, exec, s[0:1]
                                        ; implicit-def: $vgpr20_vgpr21
	s_and_saveexec_b64 s[0:1], s[10:11]
	s_cbranch_execnz .LBB1163_58
	s_branch .LBB1163_59
	.section	.rodata,"a",@progbits
	.p2align	6, 0x0
	.amdhsa_kernel _ZN7rocprim17ROCPRIM_400000_NS6detail17trampoline_kernelINS0_14default_configENS1_35radix_sort_onesweep_config_selectorIllEEZZNS1_29radix_sort_onesweep_iterationIS3_Lb0EPlS7_N6thrust23THRUST_200600_302600_NS10device_ptrIlEESB_jNS0_19identity_decomposerENS1_16block_id_wrapperIjLb0EEEEE10hipError_tT1_PNSt15iterator_traitsISG_E10value_typeET2_T3_PNSH_ISM_E10value_typeET4_T5_PSR_SS_PNS1_23onesweep_lookback_stateEbbT6_jjT7_P12ihipStream_tbENKUlT_T0_SG_SL_E_clIS7_S7_SB_SB_EEDaSZ_S10_SG_SL_EUlSZ_E_NS1_11comp_targetILNS1_3genE4ELNS1_11target_archE910ELNS1_3gpuE8ELNS1_3repE0EEENS1_47radix_sort_onesweep_sort_config_static_selectorELNS0_4arch9wavefront6targetE1EEEvSG_
		.amdhsa_group_segment_fixed_size 20552
		.amdhsa_private_segment_fixed_size 0
		.amdhsa_kernarg_size 344
		.amdhsa_user_sgpr_count 6
		.amdhsa_user_sgpr_private_segment_buffer 1
		.amdhsa_user_sgpr_dispatch_ptr 0
		.amdhsa_user_sgpr_queue_ptr 0
		.amdhsa_user_sgpr_kernarg_segment_ptr 1
		.amdhsa_user_sgpr_dispatch_id 0
		.amdhsa_user_sgpr_flat_scratch_init 0
		.amdhsa_user_sgpr_kernarg_preload_length 0
		.amdhsa_user_sgpr_kernarg_preload_offset 0
		.amdhsa_user_sgpr_private_segment_size 0
		.amdhsa_uses_dynamic_stack 0
		.amdhsa_system_sgpr_private_segment_wavefront_offset 0
		.amdhsa_system_sgpr_workgroup_id_x 1
		.amdhsa_system_sgpr_workgroup_id_y 0
		.amdhsa_system_sgpr_workgroup_id_z 0
		.amdhsa_system_sgpr_workgroup_info 0
		.amdhsa_system_vgpr_workitem_id 2
		.amdhsa_next_free_vgpr 46
		.amdhsa_next_free_sgpr 50
		.amdhsa_accum_offset 48
		.amdhsa_reserve_vcc 1
		.amdhsa_reserve_flat_scratch 0
		.amdhsa_float_round_mode_32 0
		.amdhsa_float_round_mode_16_64 0
		.amdhsa_float_denorm_mode_32 3
		.amdhsa_float_denorm_mode_16_64 3
		.amdhsa_dx10_clamp 1
		.amdhsa_ieee_mode 1
		.amdhsa_fp16_overflow 0
		.amdhsa_tg_split 0
		.amdhsa_exception_fp_ieee_invalid_op 0
		.amdhsa_exception_fp_denorm_src 0
		.amdhsa_exception_fp_ieee_div_zero 0
		.amdhsa_exception_fp_ieee_overflow 0
		.amdhsa_exception_fp_ieee_underflow 0
		.amdhsa_exception_fp_ieee_inexact 0
		.amdhsa_exception_int_div_zero 0
	.end_amdhsa_kernel
	.section	.text._ZN7rocprim17ROCPRIM_400000_NS6detail17trampoline_kernelINS0_14default_configENS1_35radix_sort_onesweep_config_selectorIllEEZZNS1_29radix_sort_onesweep_iterationIS3_Lb0EPlS7_N6thrust23THRUST_200600_302600_NS10device_ptrIlEESB_jNS0_19identity_decomposerENS1_16block_id_wrapperIjLb0EEEEE10hipError_tT1_PNSt15iterator_traitsISG_E10value_typeET2_T3_PNSH_ISM_E10value_typeET4_T5_PSR_SS_PNS1_23onesweep_lookback_stateEbbT6_jjT7_P12ihipStream_tbENKUlT_T0_SG_SL_E_clIS7_S7_SB_SB_EEDaSZ_S10_SG_SL_EUlSZ_E_NS1_11comp_targetILNS1_3genE4ELNS1_11target_archE910ELNS1_3gpuE8ELNS1_3repE0EEENS1_47radix_sort_onesweep_sort_config_static_selectorELNS0_4arch9wavefront6targetE1EEEvSG_,"axG",@progbits,_ZN7rocprim17ROCPRIM_400000_NS6detail17trampoline_kernelINS0_14default_configENS1_35radix_sort_onesweep_config_selectorIllEEZZNS1_29radix_sort_onesweep_iterationIS3_Lb0EPlS7_N6thrust23THRUST_200600_302600_NS10device_ptrIlEESB_jNS0_19identity_decomposerENS1_16block_id_wrapperIjLb0EEEEE10hipError_tT1_PNSt15iterator_traitsISG_E10value_typeET2_T3_PNSH_ISM_E10value_typeET4_T5_PSR_SS_PNS1_23onesweep_lookback_stateEbbT6_jjT7_P12ihipStream_tbENKUlT_T0_SG_SL_E_clIS7_S7_SB_SB_EEDaSZ_S10_SG_SL_EUlSZ_E_NS1_11comp_targetILNS1_3genE4ELNS1_11target_archE910ELNS1_3gpuE8ELNS1_3repE0EEENS1_47radix_sort_onesweep_sort_config_static_selectorELNS0_4arch9wavefront6targetE1EEEvSG_,comdat
.Lfunc_end1163:
	.size	_ZN7rocprim17ROCPRIM_400000_NS6detail17trampoline_kernelINS0_14default_configENS1_35radix_sort_onesweep_config_selectorIllEEZZNS1_29radix_sort_onesweep_iterationIS3_Lb0EPlS7_N6thrust23THRUST_200600_302600_NS10device_ptrIlEESB_jNS0_19identity_decomposerENS1_16block_id_wrapperIjLb0EEEEE10hipError_tT1_PNSt15iterator_traitsISG_E10value_typeET2_T3_PNSH_ISM_E10value_typeET4_T5_PSR_SS_PNS1_23onesweep_lookback_stateEbbT6_jjT7_P12ihipStream_tbENKUlT_T0_SG_SL_E_clIS7_S7_SB_SB_EEDaSZ_S10_SG_SL_EUlSZ_E_NS1_11comp_targetILNS1_3genE4ELNS1_11target_archE910ELNS1_3gpuE8ELNS1_3repE0EEENS1_47radix_sort_onesweep_sort_config_static_selectorELNS0_4arch9wavefront6targetE1EEEvSG_, .Lfunc_end1163-_ZN7rocprim17ROCPRIM_400000_NS6detail17trampoline_kernelINS0_14default_configENS1_35radix_sort_onesweep_config_selectorIllEEZZNS1_29radix_sort_onesweep_iterationIS3_Lb0EPlS7_N6thrust23THRUST_200600_302600_NS10device_ptrIlEESB_jNS0_19identity_decomposerENS1_16block_id_wrapperIjLb0EEEEE10hipError_tT1_PNSt15iterator_traitsISG_E10value_typeET2_T3_PNSH_ISM_E10value_typeET4_T5_PSR_SS_PNS1_23onesweep_lookback_stateEbbT6_jjT7_P12ihipStream_tbENKUlT_T0_SG_SL_E_clIS7_S7_SB_SB_EEDaSZ_S10_SG_SL_EUlSZ_E_NS1_11comp_targetILNS1_3genE4ELNS1_11target_archE910ELNS1_3gpuE8ELNS1_3repE0EEENS1_47radix_sort_onesweep_sort_config_static_selectorELNS0_4arch9wavefront6targetE1EEEvSG_
                                        ; -- End function
	.section	.AMDGPU.csdata,"",@progbits
; Kernel info:
; codeLenInByte = 10600
; NumSgprs: 54
; NumVgprs: 46
; NumAgprs: 0
; TotalNumVgprs: 46
; ScratchSize: 0
; MemoryBound: 0
; FloatMode: 240
; IeeeMode: 1
; LDSByteSize: 20552 bytes/workgroup (compile time only)
; SGPRBlocks: 6
; VGPRBlocks: 5
; NumSGPRsForWavesPerEU: 54
; NumVGPRsForWavesPerEU: 46
; AccumOffset: 48
; Occupancy: 8
; WaveLimiterHint : 1
; COMPUTE_PGM_RSRC2:SCRATCH_EN: 0
; COMPUTE_PGM_RSRC2:USER_SGPR: 6
; COMPUTE_PGM_RSRC2:TRAP_HANDLER: 0
; COMPUTE_PGM_RSRC2:TGID_X_EN: 1
; COMPUTE_PGM_RSRC2:TGID_Y_EN: 0
; COMPUTE_PGM_RSRC2:TGID_Z_EN: 0
; COMPUTE_PGM_RSRC2:TIDIG_COMP_CNT: 2
; COMPUTE_PGM_RSRC3_GFX90A:ACCUM_OFFSET: 11
; COMPUTE_PGM_RSRC3_GFX90A:TG_SPLIT: 0
	.section	.text._ZN7rocprim17ROCPRIM_400000_NS6detail17trampoline_kernelINS0_14default_configENS1_35radix_sort_onesweep_config_selectorIllEEZZNS1_29radix_sort_onesweep_iterationIS3_Lb0EPlS7_N6thrust23THRUST_200600_302600_NS10device_ptrIlEESB_jNS0_19identity_decomposerENS1_16block_id_wrapperIjLb0EEEEE10hipError_tT1_PNSt15iterator_traitsISG_E10value_typeET2_T3_PNSH_ISM_E10value_typeET4_T5_PSR_SS_PNS1_23onesweep_lookback_stateEbbT6_jjT7_P12ihipStream_tbENKUlT_T0_SG_SL_E_clIS7_S7_SB_SB_EEDaSZ_S10_SG_SL_EUlSZ_E_NS1_11comp_targetILNS1_3genE3ELNS1_11target_archE908ELNS1_3gpuE7ELNS1_3repE0EEENS1_47radix_sort_onesweep_sort_config_static_selectorELNS0_4arch9wavefront6targetE1EEEvSG_,"axG",@progbits,_ZN7rocprim17ROCPRIM_400000_NS6detail17trampoline_kernelINS0_14default_configENS1_35radix_sort_onesweep_config_selectorIllEEZZNS1_29radix_sort_onesweep_iterationIS3_Lb0EPlS7_N6thrust23THRUST_200600_302600_NS10device_ptrIlEESB_jNS0_19identity_decomposerENS1_16block_id_wrapperIjLb0EEEEE10hipError_tT1_PNSt15iterator_traitsISG_E10value_typeET2_T3_PNSH_ISM_E10value_typeET4_T5_PSR_SS_PNS1_23onesweep_lookback_stateEbbT6_jjT7_P12ihipStream_tbENKUlT_T0_SG_SL_E_clIS7_S7_SB_SB_EEDaSZ_S10_SG_SL_EUlSZ_E_NS1_11comp_targetILNS1_3genE3ELNS1_11target_archE908ELNS1_3gpuE7ELNS1_3repE0EEENS1_47radix_sort_onesweep_sort_config_static_selectorELNS0_4arch9wavefront6targetE1EEEvSG_,comdat
	.protected	_ZN7rocprim17ROCPRIM_400000_NS6detail17trampoline_kernelINS0_14default_configENS1_35radix_sort_onesweep_config_selectorIllEEZZNS1_29radix_sort_onesweep_iterationIS3_Lb0EPlS7_N6thrust23THRUST_200600_302600_NS10device_ptrIlEESB_jNS0_19identity_decomposerENS1_16block_id_wrapperIjLb0EEEEE10hipError_tT1_PNSt15iterator_traitsISG_E10value_typeET2_T3_PNSH_ISM_E10value_typeET4_T5_PSR_SS_PNS1_23onesweep_lookback_stateEbbT6_jjT7_P12ihipStream_tbENKUlT_T0_SG_SL_E_clIS7_S7_SB_SB_EEDaSZ_S10_SG_SL_EUlSZ_E_NS1_11comp_targetILNS1_3genE3ELNS1_11target_archE908ELNS1_3gpuE7ELNS1_3repE0EEENS1_47radix_sort_onesweep_sort_config_static_selectorELNS0_4arch9wavefront6targetE1EEEvSG_ ; -- Begin function _ZN7rocprim17ROCPRIM_400000_NS6detail17trampoline_kernelINS0_14default_configENS1_35radix_sort_onesweep_config_selectorIllEEZZNS1_29radix_sort_onesweep_iterationIS3_Lb0EPlS7_N6thrust23THRUST_200600_302600_NS10device_ptrIlEESB_jNS0_19identity_decomposerENS1_16block_id_wrapperIjLb0EEEEE10hipError_tT1_PNSt15iterator_traitsISG_E10value_typeET2_T3_PNSH_ISM_E10value_typeET4_T5_PSR_SS_PNS1_23onesweep_lookback_stateEbbT6_jjT7_P12ihipStream_tbENKUlT_T0_SG_SL_E_clIS7_S7_SB_SB_EEDaSZ_S10_SG_SL_EUlSZ_E_NS1_11comp_targetILNS1_3genE3ELNS1_11target_archE908ELNS1_3gpuE7ELNS1_3repE0EEENS1_47radix_sort_onesweep_sort_config_static_selectorELNS0_4arch9wavefront6targetE1EEEvSG_
	.globl	_ZN7rocprim17ROCPRIM_400000_NS6detail17trampoline_kernelINS0_14default_configENS1_35radix_sort_onesweep_config_selectorIllEEZZNS1_29radix_sort_onesweep_iterationIS3_Lb0EPlS7_N6thrust23THRUST_200600_302600_NS10device_ptrIlEESB_jNS0_19identity_decomposerENS1_16block_id_wrapperIjLb0EEEEE10hipError_tT1_PNSt15iterator_traitsISG_E10value_typeET2_T3_PNSH_ISM_E10value_typeET4_T5_PSR_SS_PNS1_23onesweep_lookback_stateEbbT6_jjT7_P12ihipStream_tbENKUlT_T0_SG_SL_E_clIS7_S7_SB_SB_EEDaSZ_S10_SG_SL_EUlSZ_E_NS1_11comp_targetILNS1_3genE3ELNS1_11target_archE908ELNS1_3gpuE7ELNS1_3repE0EEENS1_47radix_sort_onesweep_sort_config_static_selectorELNS0_4arch9wavefront6targetE1EEEvSG_
	.p2align	8
	.type	_ZN7rocprim17ROCPRIM_400000_NS6detail17trampoline_kernelINS0_14default_configENS1_35radix_sort_onesweep_config_selectorIllEEZZNS1_29radix_sort_onesweep_iterationIS3_Lb0EPlS7_N6thrust23THRUST_200600_302600_NS10device_ptrIlEESB_jNS0_19identity_decomposerENS1_16block_id_wrapperIjLb0EEEEE10hipError_tT1_PNSt15iterator_traitsISG_E10value_typeET2_T3_PNSH_ISM_E10value_typeET4_T5_PSR_SS_PNS1_23onesweep_lookback_stateEbbT6_jjT7_P12ihipStream_tbENKUlT_T0_SG_SL_E_clIS7_S7_SB_SB_EEDaSZ_S10_SG_SL_EUlSZ_E_NS1_11comp_targetILNS1_3genE3ELNS1_11target_archE908ELNS1_3gpuE7ELNS1_3repE0EEENS1_47radix_sort_onesweep_sort_config_static_selectorELNS0_4arch9wavefront6targetE1EEEvSG_,@function
_ZN7rocprim17ROCPRIM_400000_NS6detail17trampoline_kernelINS0_14default_configENS1_35radix_sort_onesweep_config_selectorIllEEZZNS1_29radix_sort_onesweep_iterationIS3_Lb0EPlS7_N6thrust23THRUST_200600_302600_NS10device_ptrIlEESB_jNS0_19identity_decomposerENS1_16block_id_wrapperIjLb0EEEEE10hipError_tT1_PNSt15iterator_traitsISG_E10value_typeET2_T3_PNSH_ISM_E10value_typeET4_T5_PSR_SS_PNS1_23onesweep_lookback_stateEbbT6_jjT7_P12ihipStream_tbENKUlT_T0_SG_SL_E_clIS7_S7_SB_SB_EEDaSZ_S10_SG_SL_EUlSZ_E_NS1_11comp_targetILNS1_3genE3ELNS1_11target_archE908ELNS1_3gpuE7ELNS1_3repE0EEENS1_47radix_sort_onesweep_sort_config_static_selectorELNS0_4arch9wavefront6targetE1EEEvSG_: ; @_ZN7rocprim17ROCPRIM_400000_NS6detail17trampoline_kernelINS0_14default_configENS1_35radix_sort_onesweep_config_selectorIllEEZZNS1_29radix_sort_onesweep_iterationIS3_Lb0EPlS7_N6thrust23THRUST_200600_302600_NS10device_ptrIlEESB_jNS0_19identity_decomposerENS1_16block_id_wrapperIjLb0EEEEE10hipError_tT1_PNSt15iterator_traitsISG_E10value_typeET2_T3_PNSH_ISM_E10value_typeET4_T5_PSR_SS_PNS1_23onesweep_lookback_stateEbbT6_jjT7_P12ihipStream_tbENKUlT_T0_SG_SL_E_clIS7_S7_SB_SB_EEDaSZ_S10_SG_SL_EUlSZ_E_NS1_11comp_targetILNS1_3genE3ELNS1_11target_archE908ELNS1_3gpuE7ELNS1_3repE0EEENS1_47radix_sort_onesweep_sort_config_static_selectorELNS0_4arch9wavefront6targetE1EEEvSG_
; %bb.0:
	.section	.rodata,"a",@progbits
	.p2align	6, 0x0
	.amdhsa_kernel _ZN7rocprim17ROCPRIM_400000_NS6detail17trampoline_kernelINS0_14default_configENS1_35radix_sort_onesweep_config_selectorIllEEZZNS1_29radix_sort_onesweep_iterationIS3_Lb0EPlS7_N6thrust23THRUST_200600_302600_NS10device_ptrIlEESB_jNS0_19identity_decomposerENS1_16block_id_wrapperIjLb0EEEEE10hipError_tT1_PNSt15iterator_traitsISG_E10value_typeET2_T3_PNSH_ISM_E10value_typeET4_T5_PSR_SS_PNS1_23onesweep_lookback_stateEbbT6_jjT7_P12ihipStream_tbENKUlT_T0_SG_SL_E_clIS7_S7_SB_SB_EEDaSZ_S10_SG_SL_EUlSZ_E_NS1_11comp_targetILNS1_3genE3ELNS1_11target_archE908ELNS1_3gpuE7ELNS1_3repE0EEENS1_47radix_sort_onesweep_sort_config_static_selectorELNS0_4arch9wavefront6targetE1EEEvSG_
		.amdhsa_group_segment_fixed_size 0
		.amdhsa_private_segment_fixed_size 0
		.amdhsa_kernarg_size 88
		.amdhsa_user_sgpr_count 6
		.amdhsa_user_sgpr_private_segment_buffer 1
		.amdhsa_user_sgpr_dispatch_ptr 0
		.amdhsa_user_sgpr_queue_ptr 0
		.amdhsa_user_sgpr_kernarg_segment_ptr 1
		.amdhsa_user_sgpr_dispatch_id 0
		.amdhsa_user_sgpr_flat_scratch_init 0
		.amdhsa_user_sgpr_kernarg_preload_length 0
		.amdhsa_user_sgpr_kernarg_preload_offset 0
		.amdhsa_user_sgpr_private_segment_size 0
		.amdhsa_uses_dynamic_stack 0
		.amdhsa_system_sgpr_private_segment_wavefront_offset 0
		.amdhsa_system_sgpr_workgroup_id_x 1
		.amdhsa_system_sgpr_workgroup_id_y 0
		.amdhsa_system_sgpr_workgroup_id_z 0
		.amdhsa_system_sgpr_workgroup_info 0
		.amdhsa_system_vgpr_workitem_id 0
		.amdhsa_next_free_vgpr 1
		.amdhsa_next_free_sgpr 0
		.amdhsa_accum_offset 4
		.amdhsa_reserve_vcc 0
		.amdhsa_reserve_flat_scratch 0
		.amdhsa_float_round_mode_32 0
		.amdhsa_float_round_mode_16_64 0
		.amdhsa_float_denorm_mode_32 3
		.amdhsa_float_denorm_mode_16_64 3
		.amdhsa_dx10_clamp 1
		.amdhsa_ieee_mode 1
		.amdhsa_fp16_overflow 0
		.amdhsa_tg_split 0
		.amdhsa_exception_fp_ieee_invalid_op 0
		.amdhsa_exception_fp_denorm_src 0
		.amdhsa_exception_fp_ieee_div_zero 0
		.amdhsa_exception_fp_ieee_overflow 0
		.amdhsa_exception_fp_ieee_underflow 0
		.amdhsa_exception_fp_ieee_inexact 0
		.amdhsa_exception_int_div_zero 0
	.end_amdhsa_kernel
	.section	.text._ZN7rocprim17ROCPRIM_400000_NS6detail17trampoline_kernelINS0_14default_configENS1_35radix_sort_onesweep_config_selectorIllEEZZNS1_29radix_sort_onesweep_iterationIS3_Lb0EPlS7_N6thrust23THRUST_200600_302600_NS10device_ptrIlEESB_jNS0_19identity_decomposerENS1_16block_id_wrapperIjLb0EEEEE10hipError_tT1_PNSt15iterator_traitsISG_E10value_typeET2_T3_PNSH_ISM_E10value_typeET4_T5_PSR_SS_PNS1_23onesweep_lookback_stateEbbT6_jjT7_P12ihipStream_tbENKUlT_T0_SG_SL_E_clIS7_S7_SB_SB_EEDaSZ_S10_SG_SL_EUlSZ_E_NS1_11comp_targetILNS1_3genE3ELNS1_11target_archE908ELNS1_3gpuE7ELNS1_3repE0EEENS1_47radix_sort_onesweep_sort_config_static_selectorELNS0_4arch9wavefront6targetE1EEEvSG_,"axG",@progbits,_ZN7rocprim17ROCPRIM_400000_NS6detail17trampoline_kernelINS0_14default_configENS1_35radix_sort_onesweep_config_selectorIllEEZZNS1_29radix_sort_onesweep_iterationIS3_Lb0EPlS7_N6thrust23THRUST_200600_302600_NS10device_ptrIlEESB_jNS0_19identity_decomposerENS1_16block_id_wrapperIjLb0EEEEE10hipError_tT1_PNSt15iterator_traitsISG_E10value_typeET2_T3_PNSH_ISM_E10value_typeET4_T5_PSR_SS_PNS1_23onesweep_lookback_stateEbbT6_jjT7_P12ihipStream_tbENKUlT_T0_SG_SL_E_clIS7_S7_SB_SB_EEDaSZ_S10_SG_SL_EUlSZ_E_NS1_11comp_targetILNS1_3genE3ELNS1_11target_archE908ELNS1_3gpuE7ELNS1_3repE0EEENS1_47radix_sort_onesweep_sort_config_static_selectorELNS0_4arch9wavefront6targetE1EEEvSG_,comdat
.Lfunc_end1164:
	.size	_ZN7rocprim17ROCPRIM_400000_NS6detail17trampoline_kernelINS0_14default_configENS1_35radix_sort_onesweep_config_selectorIllEEZZNS1_29radix_sort_onesweep_iterationIS3_Lb0EPlS7_N6thrust23THRUST_200600_302600_NS10device_ptrIlEESB_jNS0_19identity_decomposerENS1_16block_id_wrapperIjLb0EEEEE10hipError_tT1_PNSt15iterator_traitsISG_E10value_typeET2_T3_PNSH_ISM_E10value_typeET4_T5_PSR_SS_PNS1_23onesweep_lookback_stateEbbT6_jjT7_P12ihipStream_tbENKUlT_T0_SG_SL_E_clIS7_S7_SB_SB_EEDaSZ_S10_SG_SL_EUlSZ_E_NS1_11comp_targetILNS1_3genE3ELNS1_11target_archE908ELNS1_3gpuE7ELNS1_3repE0EEENS1_47radix_sort_onesweep_sort_config_static_selectorELNS0_4arch9wavefront6targetE1EEEvSG_, .Lfunc_end1164-_ZN7rocprim17ROCPRIM_400000_NS6detail17trampoline_kernelINS0_14default_configENS1_35radix_sort_onesweep_config_selectorIllEEZZNS1_29radix_sort_onesweep_iterationIS3_Lb0EPlS7_N6thrust23THRUST_200600_302600_NS10device_ptrIlEESB_jNS0_19identity_decomposerENS1_16block_id_wrapperIjLb0EEEEE10hipError_tT1_PNSt15iterator_traitsISG_E10value_typeET2_T3_PNSH_ISM_E10value_typeET4_T5_PSR_SS_PNS1_23onesweep_lookback_stateEbbT6_jjT7_P12ihipStream_tbENKUlT_T0_SG_SL_E_clIS7_S7_SB_SB_EEDaSZ_S10_SG_SL_EUlSZ_E_NS1_11comp_targetILNS1_3genE3ELNS1_11target_archE908ELNS1_3gpuE7ELNS1_3repE0EEENS1_47radix_sort_onesweep_sort_config_static_selectorELNS0_4arch9wavefront6targetE1EEEvSG_
                                        ; -- End function
	.section	.AMDGPU.csdata,"",@progbits
; Kernel info:
; codeLenInByte = 0
; NumSgprs: 4
; NumVgprs: 0
; NumAgprs: 0
; TotalNumVgprs: 0
; ScratchSize: 0
; MemoryBound: 0
; FloatMode: 240
; IeeeMode: 1
; LDSByteSize: 0 bytes/workgroup (compile time only)
; SGPRBlocks: 0
; VGPRBlocks: 0
; NumSGPRsForWavesPerEU: 4
; NumVGPRsForWavesPerEU: 1
; AccumOffset: 4
; Occupancy: 8
; WaveLimiterHint : 0
; COMPUTE_PGM_RSRC2:SCRATCH_EN: 0
; COMPUTE_PGM_RSRC2:USER_SGPR: 6
; COMPUTE_PGM_RSRC2:TRAP_HANDLER: 0
; COMPUTE_PGM_RSRC2:TGID_X_EN: 1
; COMPUTE_PGM_RSRC2:TGID_Y_EN: 0
; COMPUTE_PGM_RSRC2:TGID_Z_EN: 0
; COMPUTE_PGM_RSRC2:TIDIG_COMP_CNT: 0
; COMPUTE_PGM_RSRC3_GFX90A:ACCUM_OFFSET: 0
; COMPUTE_PGM_RSRC3_GFX90A:TG_SPLIT: 0
	.section	.text._ZN7rocprim17ROCPRIM_400000_NS6detail17trampoline_kernelINS0_14default_configENS1_35radix_sort_onesweep_config_selectorIllEEZZNS1_29radix_sort_onesweep_iterationIS3_Lb0EPlS7_N6thrust23THRUST_200600_302600_NS10device_ptrIlEESB_jNS0_19identity_decomposerENS1_16block_id_wrapperIjLb0EEEEE10hipError_tT1_PNSt15iterator_traitsISG_E10value_typeET2_T3_PNSH_ISM_E10value_typeET4_T5_PSR_SS_PNS1_23onesweep_lookback_stateEbbT6_jjT7_P12ihipStream_tbENKUlT_T0_SG_SL_E_clIS7_S7_SB_SB_EEDaSZ_S10_SG_SL_EUlSZ_E_NS1_11comp_targetILNS1_3genE10ELNS1_11target_archE1201ELNS1_3gpuE5ELNS1_3repE0EEENS1_47radix_sort_onesweep_sort_config_static_selectorELNS0_4arch9wavefront6targetE1EEEvSG_,"axG",@progbits,_ZN7rocprim17ROCPRIM_400000_NS6detail17trampoline_kernelINS0_14default_configENS1_35radix_sort_onesweep_config_selectorIllEEZZNS1_29radix_sort_onesweep_iterationIS3_Lb0EPlS7_N6thrust23THRUST_200600_302600_NS10device_ptrIlEESB_jNS0_19identity_decomposerENS1_16block_id_wrapperIjLb0EEEEE10hipError_tT1_PNSt15iterator_traitsISG_E10value_typeET2_T3_PNSH_ISM_E10value_typeET4_T5_PSR_SS_PNS1_23onesweep_lookback_stateEbbT6_jjT7_P12ihipStream_tbENKUlT_T0_SG_SL_E_clIS7_S7_SB_SB_EEDaSZ_S10_SG_SL_EUlSZ_E_NS1_11comp_targetILNS1_3genE10ELNS1_11target_archE1201ELNS1_3gpuE5ELNS1_3repE0EEENS1_47radix_sort_onesweep_sort_config_static_selectorELNS0_4arch9wavefront6targetE1EEEvSG_,comdat
	.protected	_ZN7rocprim17ROCPRIM_400000_NS6detail17trampoline_kernelINS0_14default_configENS1_35radix_sort_onesweep_config_selectorIllEEZZNS1_29radix_sort_onesweep_iterationIS3_Lb0EPlS7_N6thrust23THRUST_200600_302600_NS10device_ptrIlEESB_jNS0_19identity_decomposerENS1_16block_id_wrapperIjLb0EEEEE10hipError_tT1_PNSt15iterator_traitsISG_E10value_typeET2_T3_PNSH_ISM_E10value_typeET4_T5_PSR_SS_PNS1_23onesweep_lookback_stateEbbT6_jjT7_P12ihipStream_tbENKUlT_T0_SG_SL_E_clIS7_S7_SB_SB_EEDaSZ_S10_SG_SL_EUlSZ_E_NS1_11comp_targetILNS1_3genE10ELNS1_11target_archE1201ELNS1_3gpuE5ELNS1_3repE0EEENS1_47radix_sort_onesweep_sort_config_static_selectorELNS0_4arch9wavefront6targetE1EEEvSG_ ; -- Begin function _ZN7rocprim17ROCPRIM_400000_NS6detail17trampoline_kernelINS0_14default_configENS1_35radix_sort_onesweep_config_selectorIllEEZZNS1_29radix_sort_onesweep_iterationIS3_Lb0EPlS7_N6thrust23THRUST_200600_302600_NS10device_ptrIlEESB_jNS0_19identity_decomposerENS1_16block_id_wrapperIjLb0EEEEE10hipError_tT1_PNSt15iterator_traitsISG_E10value_typeET2_T3_PNSH_ISM_E10value_typeET4_T5_PSR_SS_PNS1_23onesweep_lookback_stateEbbT6_jjT7_P12ihipStream_tbENKUlT_T0_SG_SL_E_clIS7_S7_SB_SB_EEDaSZ_S10_SG_SL_EUlSZ_E_NS1_11comp_targetILNS1_3genE10ELNS1_11target_archE1201ELNS1_3gpuE5ELNS1_3repE0EEENS1_47radix_sort_onesweep_sort_config_static_selectorELNS0_4arch9wavefront6targetE1EEEvSG_
	.globl	_ZN7rocprim17ROCPRIM_400000_NS6detail17trampoline_kernelINS0_14default_configENS1_35radix_sort_onesweep_config_selectorIllEEZZNS1_29radix_sort_onesweep_iterationIS3_Lb0EPlS7_N6thrust23THRUST_200600_302600_NS10device_ptrIlEESB_jNS0_19identity_decomposerENS1_16block_id_wrapperIjLb0EEEEE10hipError_tT1_PNSt15iterator_traitsISG_E10value_typeET2_T3_PNSH_ISM_E10value_typeET4_T5_PSR_SS_PNS1_23onesweep_lookback_stateEbbT6_jjT7_P12ihipStream_tbENKUlT_T0_SG_SL_E_clIS7_S7_SB_SB_EEDaSZ_S10_SG_SL_EUlSZ_E_NS1_11comp_targetILNS1_3genE10ELNS1_11target_archE1201ELNS1_3gpuE5ELNS1_3repE0EEENS1_47radix_sort_onesweep_sort_config_static_selectorELNS0_4arch9wavefront6targetE1EEEvSG_
	.p2align	8
	.type	_ZN7rocprim17ROCPRIM_400000_NS6detail17trampoline_kernelINS0_14default_configENS1_35radix_sort_onesweep_config_selectorIllEEZZNS1_29radix_sort_onesweep_iterationIS3_Lb0EPlS7_N6thrust23THRUST_200600_302600_NS10device_ptrIlEESB_jNS0_19identity_decomposerENS1_16block_id_wrapperIjLb0EEEEE10hipError_tT1_PNSt15iterator_traitsISG_E10value_typeET2_T3_PNSH_ISM_E10value_typeET4_T5_PSR_SS_PNS1_23onesweep_lookback_stateEbbT6_jjT7_P12ihipStream_tbENKUlT_T0_SG_SL_E_clIS7_S7_SB_SB_EEDaSZ_S10_SG_SL_EUlSZ_E_NS1_11comp_targetILNS1_3genE10ELNS1_11target_archE1201ELNS1_3gpuE5ELNS1_3repE0EEENS1_47radix_sort_onesweep_sort_config_static_selectorELNS0_4arch9wavefront6targetE1EEEvSG_,@function
_ZN7rocprim17ROCPRIM_400000_NS6detail17trampoline_kernelINS0_14default_configENS1_35radix_sort_onesweep_config_selectorIllEEZZNS1_29radix_sort_onesweep_iterationIS3_Lb0EPlS7_N6thrust23THRUST_200600_302600_NS10device_ptrIlEESB_jNS0_19identity_decomposerENS1_16block_id_wrapperIjLb0EEEEE10hipError_tT1_PNSt15iterator_traitsISG_E10value_typeET2_T3_PNSH_ISM_E10value_typeET4_T5_PSR_SS_PNS1_23onesweep_lookback_stateEbbT6_jjT7_P12ihipStream_tbENKUlT_T0_SG_SL_E_clIS7_S7_SB_SB_EEDaSZ_S10_SG_SL_EUlSZ_E_NS1_11comp_targetILNS1_3genE10ELNS1_11target_archE1201ELNS1_3gpuE5ELNS1_3repE0EEENS1_47radix_sort_onesweep_sort_config_static_selectorELNS0_4arch9wavefront6targetE1EEEvSG_: ; @_ZN7rocprim17ROCPRIM_400000_NS6detail17trampoline_kernelINS0_14default_configENS1_35radix_sort_onesweep_config_selectorIllEEZZNS1_29radix_sort_onesweep_iterationIS3_Lb0EPlS7_N6thrust23THRUST_200600_302600_NS10device_ptrIlEESB_jNS0_19identity_decomposerENS1_16block_id_wrapperIjLb0EEEEE10hipError_tT1_PNSt15iterator_traitsISG_E10value_typeET2_T3_PNSH_ISM_E10value_typeET4_T5_PSR_SS_PNS1_23onesweep_lookback_stateEbbT6_jjT7_P12ihipStream_tbENKUlT_T0_SG_SL_E_clIS7_S7_SB_SB_EEDaSZ_S10_SG_SL_EUlSZ_E_NS1_11comp_targetILNS1_3genE10ELNS1_11target_archE1201ELNS1_3gpuE5ELNS1_3repE0EEENS1_47radix_sort_onesweep_sort_config_static_selectorELNS0_4arch9wavefront6targetE1EEEvSG_
; %bb.0:
	.section	.rodata,"a",@progbits
	.p2align	6, 0x0
	.amdhsa_kernel _ZN7rocprim17ROCPRIM_400000_NS6detail17trampoline_kernelINS0_14default_configENS1_35radix_sort_onesweep_config_selectorIllEEZZNS1_29radix_sort_onesweep_iterationIS3_Lb0EPlS7_N6thrust23THRUST_200600_302600_NS10device_ptrIlEESB_jNS0_19identity_decomposerENS1_16block_id_wrapperIjLb0EEEEE10hipError_tT1_PNSt15iterator_traitsISG_E10value_typeET2_T3_PNSH_ISM_E10value_typeET4_T5_PSR_SS_PNS1_23onesweep_lookback_stateEbbT6_jjT7_P12ihipStream_tbENKUlT_T0_SG_SL_E_clIS7_S7_SB_SB_EEDaSZ_S10_SG_SL_EUlSZ_E_NS1_11comp_targetILNS1_3genE10ELNS1_11target_archE1201ELNS1_3gpuE5ELNS1_3repE0EEENS1_47radix_sort_onesweep_sort_config_static_selectorELNS0_4arch9wavefront6targetE1EEEvSG_
		.amdhsa_group_segment_fixed_size 0
		.amdhsa_private_segment_fixed_size 0
		.amdhsa_kernarg_size 88
		.amdhsa_user_sgpr_count 6
		.amdhsa_user_sgpr_private_segment_buffer 1
		.amdhsa_user_sgpr_dispatch_ptr 0
		.amdhsa_user_sgpr_queue_ptr 0
		.amdhsa_user_sgpr_kernarg_segment_ptr 1
		.amdhsa_user_sgpr_dispatch_id 0
		.amdhsa_user_sgpr_flat_scratch_init 0
		.amdhsa_user_sgpr_kernarg_preload_length 0
		.amdhsa_user_sgpr_kernarg_preload_offset 0
		.amdhsa_user_sgpr_private_segment_size 0
		.amdhsa_uses_dynamic_stack 0
		.amdhsa_system_sgpr_private_segment_wavefront_offset 0
		.amdhsa_system_sgpr_workgroup_id_x 1
		.amdhsa_system_sgpr_workgroup_id_y 0
		.amdhsa_system_sgpr_workgroup_id_z 0
		.amdhsa_system_sgpr_workgroup_info 0
		.amdhsa_system_vgpr_workitem_id 0
		.amdhsa_next_free_vgpr 1
		.amdhsa_next_free_sgpr 0
		.amdhsa_accum_offset 4
		.amdhsa_reserve_vcc 0
		.amdhsa_reserve_flat_scratch 0
		.amdhsa_float_round_mode_32 0
		.amdhsa_float_round_mode_16_64 0
		.amdhsa_float_denorm_mode_32 3
		.amdhsa_float_denorm_mode_16_64 3
		.amdhsa_dx10_clamp 1
		.amdhsa_ieee_mode 1
		.amdhsa_fp16_overflow 0
		.amdhsa_tg_split 0
		.amdhsa_exception_fp_ieee_invalid_op 0
		.amdhsa_exception_fp_denorm_src 0
		.amdhsa_exception_fp_ieee_div_zero 0
		.amdhsa_exception_fp_ieee_overflow 0
		.amdhsa_exception_fp_ieee_underflow 0
		.amdhsa_exception_fp_ieee_inexact 0
		.amdhsa_exception_int_div_zero 0
	.end_amdhsa_kernel
	.section	.text._ZN7rocprim17ROCPRIM_400000_NS6detail17trampoline_kernelINS0_14default_configENS1_35radix_sort_onesweep_config_selectorIllEEZZNS1_29radix_sort_onesweep_iterationIS3_Lb0EPlS7_N6thrust23THRUST_200600_302600_NS10device_ptrIlEESB_jNS0_19identity_decomposerENS1_16block_id_wrapperIjLb0EEEEE10hipError_tT1_PNSt15iterator_traitsISG_E10value_typeET2_T3_PNSH_ISM_E10value_typeET4_T5_PSR_SS_PNS1_23onesweep_lookback_stateEbbT6_jjT7_P12ihipStream_tbENKUlT_T0_SG_SL_E_clIS7_S7_SB_SB_EEDaSZ_S10_SG_SL_EUlSZ_E_NS1_11comp_targetILNS1_3genE10ELNS1_11target_archE1201ELNS1_3gpuE5ELNS1_3repE0EEENS1_47radix_sort_onesweep_sort_config_static_selectorELNS0_4arch9wavefront6targetE1EEEvSG_,"axG",@progbits,_ZN7rocprim17ROCPRIM_400000_NS6detail17trampoline_kernelINS0_14default_configENS1_35radix_sort_onesweep_config_selectorIllEEZZNS1_29radix_sort_onesweep_iterationIS3_Lb0EPlS7_N6thrust23THRUST_200600_302600_NS10device_ptrIlEESB_jNS0_19identity_decomposerENS1_16block_id_wrapperIjLb0EEEEE10hipError_tT1_PNSt15iterator_traitsISG_E10value_typeET2_T3_PNSH_ISM_E10value_typeET4_T5_PSR_SS_PNS1_23onesweep_lookback_stateEbbT6_jjT7_P12ihipStream_tbENKUlT_T0_SG_SL_E_clIS7_S7_SB_SB_EEDaSZ_S10_SG_SL_EUlSZ_E_NS1_11comp_targetILNS1_3genE10ELNS1_11target_archE1201ELNS1_3gpuE5ELNS1_3repE0EEENS1_47radix_sort_onesweep_sort_config_static_selectorELNS0_4arch9wavefront6targetE1EEEvSG_,comdat
.Lfunc_end1165:
	.size	_ZN7rocprim17ROCPRIM_400000_NS6detail17trampoline_kernelINS0_14default_configENS1_35radix_sort_onesweep_config_selectorIllEEZZNS1_29radix_sort_onesweep_iterationIS3_Lb0EPlS7_N6thrust23THRUST_200600_302600_NS10device_ptrIlEESB_jNS0_19identity_decomposerENS1_16block_id_wrapperIjLb0EEEEE10hipError_tT1_PNSt15iterator_traitsISG_E10value_typeET2_T3_PNSH_ISM_E10value_typeET4_T5_PSR_SS_PNS1_23onesweep_lookback_stateEbbT6_jjT7_P12ihipStream_tbENKUlT_T0_SG_SL_E_clIS7_S7_SB_SB_EEDaSZ_S10_SG_SL_EUlSZ_E_NS1_11comp_targetILNS1_3genE10ELNS1_11target_archE1201ELNS1_3gpuE5ELNS1_3repE0EEENS1_47radix_sort_onesweep_sort_config_static_selectorELNS0_4arch9wavefront6targetE1EEEvSG_, .Lfunc_end1165-_ZN7rocprim17ROCPRIM_400000_NS6detail17trampoline_kernelINS0_14default_configENS1_35radix_sort_onesweep_config_selectorIllEEZZNS1_29radix_sort_onesweep_iterationIS3_Lb0EPlS7_N6thrust23THRUST_200600_302600_NS10device_ptrIlEESB_jNS0_19identity_decomposerENS1_16block_id_wrapperIjLb0EEEEE10hipError_tT1_PNSt15iterator_traitsISG_E10value_typeET2_T3_PNSH_ISM_E10value_typeET4_T5_PSR_SS_PNS1_23onesweep_lookback_stateEbbT6_jjT7_P12ihipStream_tbENKUlT_T0_SG_SL_E_clIS7_S7_SB_SB_EEDaSZ_S10_SG_SL_EUlSZ_E_NS1_11comp_targetILNS1_3genE10ELNS1_11target_archE1201ELNS1_3gpuE5ELNS1_3repE0EEENS1_47radix_sort_onesweep_sort_config_static_selectorELNS0_4arch9wavefront6targetE1EEEvSG_
                                        ; -- End function
	.section	.AMDGPU.csdata,"",@progbits
; Kernel info:
; codeLenInByte = 0
; NumSgprs: 4
; NumVgprs: 0
; NumAgprs: 0
; TotalNumVgprs: 0
; ScratchSize: 0
; MemoryBound: 0
; FloatMode: 240
; IeeeMode: 1
; LDSByteSize: 0 bytes/workgroup (compile time only)
; SGPRBlocks: 0
; VGPRBlocks: 0
; NumSGPRsForWavesPerEU: 4
; NumVGPRsForWavesPerEU: 1
; AccumOffset: 4
; Occupancy: 8
; WaveLimiterHint : 0
; COMPUTE_PGM_RSRC2:SCRATCH_EN: 0
; COMPUTE_PGM_RSRC2:USER_SGPR: 6
; COMPUTE_PGM_RSRC2:TRAP_HANDLER: 0
; COMPUTE_PGM_RSRC2:TGID_X_EN: 1
; COMPUTE_PGM_RSRC2:TGID_Y_EN: 0
; COMPUTE_PGM_RSRC2:TGID_Z_EN: 0
; COMPUTE_PGM_RSRC2:TIDIG_COMP_CNT: 0
; COMPUTE_PGM_RSRC3_GFX90A:ACCUM_OFFSET: 0
; COMPUTE_PGM_RSRC3_GFX90A:TG_SPLIT: 0
	.section	.text._ZN7rocprim17ROCPRIM_400000_NS6detail17trampoline_kernelINS0_14default_configENS1_35radix_sort_onesweep_config_selectorIllEEZZNS1_29radix_sort_onesweep_iterationIS3_Lb0EPlS7_N6thrust23THRUST_200600_302600_NS10device_ptrIlEESB_jNS0_19identity_decomposerENS1_16block_id_wrapperIjLb0EEEEE10hipError_tT1_PNSt15iterator_traitsISG_E10value_typeET2_T3_PNSH_ISM_E10value_typeET4_T5_PSR_SS_PNS1_23onesweep_lookback_stateEbbT6_jjT7_P12ihipStream_tbENKUlT_T0_SG_SL_E_clIS7_S7_SB_SB_EEDaSZ_S10_SG_SL_EUlSZ_E_NS1_11comp_targetILNS1_3genE9ELNS1_11target_archE1100ELNS1_3gpuE3ELNS1_3repE0EEENS1_47radix_sort_onesweep_sort_config_static_selectorELNS0_4arch9wavefront6targetE1EEEvSG_,"axG",@progbits,_ZN7rocprim17ROCPRIM_400000_NS6detail17trampoline_kernelINS0_14default_configENS1_35radix_sort_onesweep_config_selectorIllEEZZNS1_29radix_sort_onesweep_iterationIS3_Lb0EPlS7_N6thrust23THRUST_200600_302600_NS10device_ptrIlEESB_jNS0_19identity_decomposerENS1_16block_id_wrapperIjLb0EEEEE10hipError_tT1_PNSt15iterator_traitsISG_E10value_typeET2_T3_PNSH_ISM_E10value_typeET4_T5_PSR_SS_PNS1_23onesweep_lookback_stateEbbT6_jjT7_P12ihipStream_tbENKUlT_T0_SG_SL_E_clIS7_S7_SB_SB_EEDaSZ_S10_SG_SL_EUlSZ_E_NS1_11comp_targetILNS1_3genE9ELNS1_11target_archE1100ELNS1_3gpuE3ELNS1_3repE0EEENS1_47radix_sort_onesweep_sort_config_static_selectorELNS0_4arch9wavefront6targetE1EEEvSG_,comdat
	.protected	_ZN7rocprim17ROCPRIM_400000_NS6detail17trampoline_kernelINS0_14default_configENS1_35radix_sort_onesweep_config_selectorIllEEZZNS1_29radix_sort_onesweep_iterationIS3_Lb0EPlS7_N6thrust23THRUST_200600_302600_NS10device_ptrIlEESB_jNS0_19identity_decomposerENS1_16block_id_wrapperIjLb0EEEEE10hipError_tT1_PNSt15iterator_traitsISG_E10value_typeET2_T3_PNSH_ISM_E10value_typeET4_T5_PSR_SS_PNS1_23onesweep_lookback_stateEbbT6_jjT7_P12ihipStream_tbENKUlT_T0_SG_SL_E_clIS7_S7_SB_SB_EEDaSZ_S10_SG_SL_EUlSZ_E_NS1_11comp_targetILNS1_3genE9ELNS1_11target_archE1100ELNS1_3gpuE3ELNS1_3repE0EEENS1_47radix_sort_onesweep_sort_config_static_selectorELNS0_4arch9wavefront6targetE1EEEvSG_ ; -- Begin function _ZN7rocprim17ROCPRIM_400000_NS6detail17trampoline_kernelINS0_14default_configENS1_35radix_sort_onesweep_config_selectorIllEEZZNS1_29radix_sort_onesweep_iterationIS3_Lb0EPlS7_N6thrust23THRUST_200600_302600_NS10device_ptrIlEESB_jNS0_19identity_decomposerENS1_16block_id_wrapperIjLb0EEEEE10hipError_tT1_PNSt15iterator_traitsISG_E10value_typeET2_T3_PNSH_ISM_E10value_typeET4_T5_PSR_SS_PNS1_23onesweep_lookback_stateEbbT6_jjT7_P12ihipStream_tbENKUlT_T0_SG_SL_E_clIS7_S7_SB_SB_EEDaSZ_S10_SG_SL_EUlSZ_E_NS1_11comp_targetILNS1_3genE9ELNS1_11target_archE1100ELNS1_3gpuE3ELNS1_3repE0EEENS1_47radix_sort_onesweep_sort_config_static_selectorELNS0_4arch9wavefront6targetE1EEEvSG_
	.globl	_ZN7rocprim17ROCPRIM_400000_NS6detail17trampoline_kernelINS0_14default_configENS1_35radix_sort_onesweep_config_selectorIllEEZZNS1_29radix_sort_onesweep_iterationIS3_Lb0EPlS7_N6thrust23THRUST_200600_302600_NS10device_ptrIlEESB_jNS0_19identity_decomposerENS1_16block_id_wrapperIjLb0EEEEE10hipError_tT1_PNSt15iterator_traitsISG_E10value_typeET2_T3_PNSH_ISM_E10value_typeET4_T5_PSR_SS_PNS1_23onesweep_lookback_stateEbbT6_jjT7_P12ihipStream_tbENKUlT_T0_SG_SL_E_clIS7_S7_SB_SB_EEDaSZ_S10_SG_SL_EUlSZ_E_NS1_11comp_targetILNS1_3genE9ELNS1_11target_archE1100ELNS1_3gpuE3ELNS1_3repE0EEENS1_47radix_sort_onesweep_sort_config_static_selectorELNS0_4arch9wavefront6targetE1EEEvSG_
	.p2align	8
	.type	_ZN7rocprim17ROCPRIM_400000_NS6detail17trampoline_kernelINS0_14default_configENS1_35radix_sort_onesweep_config_selectorIllEEZZNS1_29radix_sort_onesweep_iterationIS3_Lb0EPlS7_N6thrust23THRUST_200600_302600_NS10device_ptrIlEESB_jNS0_19identity_decomposerENS1_16block_id_wrapperIjLb0EEEEE10hipError_tT1_PNSt15iterator_traitsISG_E10value_typeET2_T3_PNSH_ISM_E10value_typeET4_T5_PSR_SS_PNS1_23onesweep_lookback_stateEbbT6_jjT7_P12ihipStream_tbENKUlT_T0_SG_SL_E_clIS7_S7_SB_SB_EEDaSZ_S10_SG_SL_EUlSZ_E_NS1_11comp_targetILNS1_3genE9ELNS1_11target_archE1100ELNS1_3gpuE3ELNS1_3repE0EEENS1_47radix_sort_onesweep_sort_config_static_selectorELNS0_4arch9wavefront6targetE1EEEvSG_,@function
_ZN7rocprim17ROCPRIM_400000_NS6detail17trampoline_kernelINS0_14default_configENS1_35radix_sort_onesweep_config_selectorIllEEZZNS1_29radix_sort_onesweep_iterationIS3_Lb0EPlS7_N6thrust23THRUST_200600_302600_NS10device_ptrIlEESB_jNS0_19identity_decomposerENS1_16block_id_wrapperIjLb0EEEEE10hipError_tT1_PNSt15iterator_traitsISG_E10value_typeET2_T3_PNSH_ISM_E10value_typeET4_T5_PSR_SS_PNS1_23onesweep_lookback_stateEbbT6_jjT7_P12ihipStream_tbENKUlT_T0_SG_SL_E_clIS7_S7_SB_SB_EEDaSZ_S10_SG_SL_EUlSZ_E_NS1_11comp_targetILNS1_3genE9ELNS1_11target_archE1100ELNS1_3gpuE3ELNS1_3repE0EEENS1_47radix_sort_onesweep_sort_config_static_selectorELNS0_4arch9wavefront6targetE1EEEvSG_: ; @_ZN7rocprim17ROCPRIM_400000_NS6detail17trampoline_kernelINS0_14default_configENS1_35radix_sort_onesweep_config_selectorIllEEZZNS1_29radix_sort_onesweep_iterationIS3_Lb0EPlS7_N6thrust23THRUST_200600_302600_NS10device_ptrIlEESB_jNS0_19identity_decomposerENS1_16block_id_wrapperIjLb0EEEEE10hipError_tT1_PNSt15iterator_traitsISG_E10value_typeET2_T3_PNSH_ISM_E10value_typeET4_T5_PSR_SS_PNS1_23onesweep_lookback_stateEbbT6_jjT7_P12ihipStream_tbENKUlT_T0_SG_SL_E_clIS7_S7_SB_SB_EEDaSZ_S10_SG_SL_EUlSZ_E_NS1_11comp_targetILNS1_3genE9ELNS1_11target_archE1100ELNS1_3gpuE3ELNS1_3repE0EEENS1_47radix_sort_onesweep_sort_config_static_selectorELNS0_4arch9wavefront6targetE1EEEvSG_
; %bb.0:
	.section	.rodata,"a",@progbits
	.p2align	6, 0x0
	.amdhsa_kernel _ZN7rocprim17ROCPRIM_400000_NS6detail17trampoline_kernelINS0_14default_configENS1_35radix_sort_onesweep_config_selectorIllEEZZNS1_29radix_sort_onesweep_iterationIS3_Lb0EPlS7_N6thrust23THRUST_200600_302600_NS10device_ptrIlEESB_jNS0_19identity_decomposerENS1_16block_id_wrapperIjLb0EEEEE10hipError_tT1_PNSt15iterator_traitsISG_E10value_typeET2_T3_PNSH_ISM_E10value_typeET4_T5_PSR_SS_PNS1_23onesweep_lookback_stateEbbT6_jjT7_P12ihipStream_tbENKUlT_T0_SG_SL_E_clIS7_S7_SB_SB_EEDaSZ_S10_SG_SL_EUlSZ_E_NS1_11comp_targetILNS1_3genE9ELNS1_11target_archE1100ELNS1_3gpuE3ELNS1_3repE0EEENS1_47radix_sort_onesweep_sort_config_static_selectorELNS0_4arch9wavefront6targetE1EEEvSG_
		.amdhsa_group_segment_fixed_size 0
		.amdhsa_private_segment_fixed_size 0
		.amdhsa_kernarg_size 88
		.amdhsa_user_sgpr_count 6
		.amdhsa_user_sgpr_private_segment_buffer 1
		.amdhsa_user_sgpr_dispatch_ptr 0
		.amdhsa_user_sgpr_queue_ptr 0
		.amdhsa_user_sgpr_kernarg_segment_ptr 1
		.amdhsa_user_sgpr_dispatch_id 0
		.amdhsa_user_sgpr_flat_scratch_init 0
		.amdhsa_user_sgpr_kernarg_preload_length 0
		.amdhsa_user_sgpr_kernarg_preload_offset 0
		.amdhsa_user_sgpr_private_segment_size 0
		.amdhsa_uses_dynamic_stack 0
		.amdhsa_system_sgpr_private_segment_wavefront_offset 0
		.amdhsa_system_sgpr_workgroup_id_x 1
		.amdhsa_system_sgpr_workgroup_id_y 0
		.amdhsa_system_sgpr_workgroup_id_z 0
		.amdhsa_system_sgpr_workgroup_info 0
		.amdhsa_system_vgpr_workitem_id 0
		.amdhsa_next_free_vgpr 1
		.amdhsa_next_free_sgpr 0
		.amdhsa_accum_offset 4
		.amdhsa_reserve_vcc 0
		.amdhsa_reserve_flat_scratch 0
		.amdhsa_float_round_mode_32 0
		.amdhsa_float_round_mode_16_64 0
		.amdhsa_float_denorm_mode_32 3
		.amdhsa_float_denorm_mode_16_64 3
		.amdhsa_dx10_clamp 1
		.amdhsa_ieee_mode 1
		.amdhsa_fp16_overflow 0
		.amdhsa_tg_split 0
		.amdhsa_exception_fp_ieee_invalid_op 0
		.amdhsa_exception_fp_denorm_src 0
		.amdhsa_exception_fp_ieee_div_zero 0
		.amdhsa_exception_fp_ieee_overflow 0
		.amdhsa_exception_fp_ieee_underflow 0
		.amdhsa_exception_fp_ieee_inexact 0
		.amdhsa_exception_int_div_zero 0
	.end_amdhsa_kernel
	.section	.text._ZN7rocprim17ROCPRIM_400000_NS6detail17trampoline_kernelINS0_14default_configENS1_35radix_sort_onesweep_config_selectorIllEEZZNS1_29radix_sort_onesweep_iterationIS3_Lb0EPlS7_N6thrust23THRUST_200600_302600_NS10device_ptrIlEESB_jNS0_19identity_decomposerENS1_16block_id_wrapperIjLb0EEEEE10hipError_tT1_PNSt15iterator_traitsISG_E10value_typeET2_T3_PNSH_ISM_E10value_typeET4_T5_PSR_SS_PNS1_23onesweep_lookback_stateEbbT6_jjT7_P12ihipStream_tbENKUlT_T0_SG_SL_E_clIS7_S7_SB_SB_EEDaSZ_S10_SG_SL_EUlSZ_E_NS1_11comp_targetILNS1_3genE9ELNS1_11target_archE1100ELNS1_3gpuE3ELNS1_3repE0EEENS1_47radix_sort_onesweep_sort_config_static_selectorELNS0_4arch9wavefront6targetE1EEEvSG_,"axG",@progbits,_ZN7rocprim17ROCPRIM_400000_NS6detail17trampoline_kernelINS0_14default_configENS1_35radix_sort_onesweep_config_selectorIllEEZZNS1_29radix_sort_onesweep_iterationIS3_Lb0EPlS7_N6thrust23THRUST_200600_302600_NS10device_ptrIlEESB_jNS0_19identity_decomposerENS1_16block_id_wrapperIjLb0EEEEE10hipError_tT1_PNSt15iterator_traitsISG_E10value_typeET2_T3_PNSH_ISM_E10value_typeET4_T5_PSR_SS_PNS1_23onesweep_lookback_stateEbbT6_jjT7_P12ihipStream_tbENKUlT_T0_SG_SL_E_clIS7_S7_SB_SB_EEDaSZ_S10_SG_SL_EUlSZ_E_NS1_11comp_targetILNS1_3genE9ELNS1_11target_archE1100ELNS1_3gpuE3ELNS1_3repE0EEENS1_47radix_sort_onesweep_sort_config_static_selectorELNS0_4arch9wavefront6targetE1EEEvSG_,comdat
.Lfunc_end1166:
	.size	_ZN7rocprim17ROCPRIM_400000_NS6detail17trampoline_kernelINS0_14default_configENS1_35radix_sort_onesweep_config_selectorIllEEZZNS1_29radix_sort_onesweep_iterationIS3_Lb0EPlS7_N6thrust23THRUST_200600_302600_NS10device_ptrIlEESB_jNS0_19identity_decomposerENS1_16block_id_wrapperIjLb0EEEEE10hipError_tT1_PNSt15iterator_traitsISG_E10value_typeET2_T3_PNSH_ISM_E10value_typeET4_T5_PSR_SS_PNS1_23onesweep_lookback_stateEbbT6_jjT7_P12ihipStream_tbENKUlT_T0_SG_SL_E_clIS7_S7_SB_SB_EEDaSZ_S10_SG_SL_EUlSZ_E_NS1_11comp_targetILNS1_3genE9ELNS1_11target_archE1100ELNS1_3gpuE3ELNS1_3repE0EEENS1_47radix_sort_onesweep_sort_config_static_selectorELNS0_4arch9wavefront6targetE1EEEvSG_, .Lfunc_end1166-_ZN7rocprim17ROCPRIM_400000_NS6detail17trampoline_kernelINS0_14default_configENS1_35radix_sort_onesweep_config_selectorIllEEZZNS1_29radix_sort_onesweep_iterationIS3_Lb0EPlS7_N6thrust23THRUST_200600_302600_NS10device_ptrIlEESB_jNS0_19identity_decomposerENS1_16block_id_wrapperIjLb0EEEEE10hipError_tT1_PNSt15iterator_traitsISG_E10value_typeET2_T3_PNSH_ISM_E10value_typeET4_T5_PSR_SS_PNS1_23onesweep_lookback_stateEbbT6_jjT7_P12ihipStream_tbENKUlT_T0_SG_SL_E_clIS7_S7_SB_SB_EEDaSZ_S10_SG_SL_EUlSZ_E_NS1_11comp_targetILNS1_3genE9ELNS1_11target_archE1100ELNS1_3gpuE3ELNS1_3repE0EEENS1_47radix_sort_onesweep_sort_config_static_selectorELNS0_4arch9wavefront6targetE1EEEvSG_
                                        ; -- End function
	.section	.AMDGPU.csdata,"",@progbits
; Kernel info:
; codeLenInByte = 0
; NumSgprs: 4
; NumVgprs: 0
; NumAgprs: 0
; TotalNumVgprs: 0
; ScratchSize: 0
; MemoryBound: 0
; FloatMode: 240
; IeeeMode: 1
; LDSByteSize: 0 bytes/workgroup (compile time only)
; SGPRBlocks: 0
; VGPRBlocks: 0
; NumSGPRsForWavesPerEU: 4
; NumVGPRsForWavesPerEU: 1
; AccumOffset: 4
; Occupancy: 8
; WaveLimiterHint : 0
; COMPUTE_PGM_RSRC2:SCRATCH_EN: 0
; COMPUTE_PGM_RSRC2:USER_SGPR: 6
; COMPUTE_PGM_RSRC2:TRAP_HANDLER: 0
; COMPUTE_PGM_RSRC2:TGID_X_EN: 1
; COMPUTE_PGM_RSRC2:TGID_Y_EN: 0
; COMPUTE_PGM_RSRC2:TGID_Z_EN: 0
; COMPUTE_PGM_RSRC2:TIDIG_COMP_CNT: 0
; COMPUTE_PGM_RSRC3_GFX90A:ACCUM_OFFSET: 0
; COMPUTE_PGM_RSRC3_GFX90A:TG_SPLIT: 0
	.section	.text._ZN7rocprim17ROCPRIM_400000_NS6detail17trampoline_kernelINS0_14default_configENS1_35radix_sort_onesweep_config_selectorIllEEZZNS1_29radix_sort_onesweep_iterationIS3_Lb0EPlS7_N6thrust23THRUST_200600_302600_NS10device_ptrIlEESB_jNS0_19identity_decomposerENS1_16block_id_wrapperIjLb0EEEEE10hipError_tT1_PNSt15iterator_traitsISG_E10value_typeET2_T3_PNSH_ISM_E10value_typeET4_T5_PSR_SS_PNS1_23onesweep_lookback_stateEbbT6_jjT7_P12ihipStream_tbENKUlT_T0_SG_SL_E_clIS7_S7_SB_SB_EEDaSZ_S10_SG_SL_EUlSZ_E_NS1_11comp_targetILNS1_3genE8ELNS1_11target_archE1030ELNS1_3gpuE2ELNS1_3repE0EEENS1_47radix_sort_onesweep_sort_config_static_selectorELNS0_4arch9wavefront6targetE1EEEvSG_,"axG",@progbits,_ZN7rocprim17ROCPRIM_400000_NS6detail17trampoline_kernelINS0_14default_configENS1_35radix_sort_onesweep_config_selectorIllEEZZNS1_29radix_sort_onesweep_iterationIS3_Lb0EPlS7_N6thrust23THRUST_200600_302600_NS10device_ptrIlEESB_jNS0_19identity_decomposerENS1_16block_id_wrapperIjLb0EEEEE10hipError_tT1_PNSt15iterator_traitsISG_E10value_typeET2_T3_PNSH_ISM_E10value_typeET4_T5_PSR_SS_PNS1_23onesweep_lookback_stateEbbT6_jjT7_P12ihipStream_tbENKUlT_T0_SG_SL_E_clIS7_S7_SB_SB_EEDaSZ_S10_SG_SL_EUlSZ_E_NS1_11comp_targetILNS1_3genE8ELNS1_11target_archE1030ELNS1_3gpuE2ELNS1_3repE0EEENS1_47radix_sort_onesweep_sort_config_static_selectorELNS0_4arch9wavefront6targetE1EEEvSG_,comdat
	.protected	_ZN7rocprim17ROCPRIM_400000_NS6detail17trampoline_kernelINS0_14default_configENS1_35radix_sort_onesweep_config_selectorIllEEZZNS1_29radix_sort_onesweep_iterationIS3_Lb0EPlS7_N6thrust23THRUST_200600_302600_NS10device_ptrIlEESB_jNS0_19identity_decomposerENS1_16block_id_wrapperIjLb0EEEEE10hipError_tT1_PNSt15iterator_traitsISG_E10value_typeET2_T3_PNSH_ISM_E10value_typeET4_T5_PSR_SS_PNS1_23onesweep_lookback_stateEbbT6_jjT7_P12ihipStream_tbENKUlT_T0_SG_SL_E_clIS7_S7_SB_SB_EEDaSZ_S10_SG_SL_EUlSZ_E_NS1_11comp_targetILNS1_3genE8ELNS1_11target_archE1030ELNS1_3gpuE2ELNS1_3repE0EEENS1_47radix_sort_onesweep_sort_config_static_selectorELNS0_4arch9wavefront6targetE1EEEvSG_ ; -- Begin function _ZN7rocprim17ROCPRIM_400000_NS6detail17trampoline_kernelINS0_14default_configENS1_35radix_sort_onesweep_config_selectorIllEEZZNS1_29radix_sort_onesweep_iterationIS3_Lb0EPlS7_N6thrust23THRUST_200600_302600_NS10device_ptrIlEESB_jNS0_19identity_decomposerENS1_16block_id_wrapperIjLb0EEEEE10hipError_tT1_PNSt15iterator_traitsISG_E10value_typeET2_T3_PNSH_ISM_E10value_typeET4_T5_PSR_SS_PNS1_23onesweep_lookback_stateEbbT6_jjT7_P12ihipStream_tbENKUlT_T0_SG_SL_E_clIS7_S7_SB_SB_EEDaSZ_S10_SG_SL_EUlSZ_E_NS1_11comp_targetILNS1_3genE8ELNS1_11target_archE1030ELNS1_3gpuE2ELNS1_3repE0EEENS1_47radix_sort_onesweep_sort_config_static_selectorELNS0_4arch9wavefront6targetE1EEEvSG_
	.globl	_ZN7rocprim17ROCPRIM_400000_NS6detail17trampoline_kernelINS0_14default_configENS1_35radix_sort_onesweep_config_selectorIllEEZZNS1_29radix_sort_onesweep_iterationIS3_Lb0EPlS7_N6thrust23THRUST_200600_302600_NS10device_ptrIlEESB_jNS0_19identity_decomposerENS1_16block_id_wrapperIjLb0EEEEE10hipError_tT1_PNSt15iterator_traitsISG_E10value_typeET2_T3_PNSH_ISM_E10value_typeET4_T5_PSR_SS_PNS1_23onesweep_lookback_stateEbbT6_jjT7_P12ihipStream_tbENKUlT_T0_SG_SL_E_clIS7_S7_SB_SB_EEDaSZ_S10_SG_SL_EUlSZ_E_NS1_11comp_targetILNS1_3genE8ELNS1_11target_archE1030ELNS1_3gpuE2ELNS1_3repE0EEENS1_47radix_sort_onesweep_sort_config_static_selectorELNS0_4arch9wavefront6targetE1EEEvSG_
	.p2align	8
	.type	_ZN7rocprim17ROCPRIM_400000_NS6detail17trampoline_kernelINS0_14default_configENS1_35radix_sort_onesweep_config_selectorIllEEZZNS1_29radix_sort_onesweep_iterationIS3_Lb0EPlS7_N6thrust23THRUST_200600_302600_NS10device_ptrIlEESB_jNS0_19identity_decomposerENS1_16block_id_wrapperIjLb0EEEEE10hipError_tT1_PNSt15iterator_traitsISG_E10value_typeET2_T3_PNSH_ISM_E10value_typeET4_T5_PSR_SS_PNS1_23onesweep_lookback_stateEbbT6_jjT7_P12ihipStream_tbENKUlT_T0_SG_SL_E_clIS7_S7_SB_SB_EEDaSZ_S10_SG_SL_EUlSZ_E_NS1_11comp_targetILNS1_3genE8ELNS1_11target_archE1030ELNS1_3gpuE2ELNS1_3repE0EEENS1_47radix_sort_onesweep_sort_config_static_selectorELNS0_4arch9wavefront6targetE1EEEvSG_,@function
_ZN7rocprim17ROCPRIM_400000_NS6detail17trampoline_kernelINS0_14default_configENS1_35radix_sort_onesweep_config_selectorIllEEZZNS1_29radix_sort_onesweep_iterationIS3_Lb0EPlS7_N6thrust23THRUST_200600_302600_NS10device_ptrIlEESB_jNS0_19identity_decomposerENS1_16block_id_wrapperIjLb0EEEEE10hipError_tT1_PNSt15iterator_traitsISG_E10value_typeET2_T3_PNSH_ISM_E10value_typeET4_T5_PSR_SS_PNS1_23onesweep_lookback_stateEbbT6_jjT7_P12ihipStream_tbENKUlT_T0_SG_SL_E_clIS7_S7_SB_SB_EEDaSZ_S10_SG_SL_EUlSZ_E_NS1_11comp_targetILNS1_3genE8ELNS1_11target_archE1030ELNS1_3gpuE2ELNS1_3repE0EEENS1_47radix_sort_onesweep_sort_config_static_selectorELNS0_4arch9wavefront6targetE1EEEvSG_: ; @_ZN7rocprim17ROCPRIM_400000_NS6detail17trampoline_kernelINS0_14default_configENS1_35radix_sort_onesweep_config_selectorIllEEZZNS1_29radix_sort_onesweep_iterationIS3_Lb0EPlS7_N6thrust23THRUST_200600_302600_NS10device_ptrIlEESB_jNS0_19identity_decomposerENS1_16block_id_wrapperIjLb0EEEEE10hipError_tT1_PNSt15iterator_traitsISG_E10value_typeET2_T3_PNSH_ISM_E10value_typeET4_T5_PSR_SS_PNS1_23onesweep_lookback_stateEbbT6_jjT7_P12ihipStream_tbENKUlT_T0_SG_SL_E_clIS7_S7_SB_SB_EEDaSZ_S10_SG_SL_EUlSZ_E_NS1_11comp_targetILNS1_3genE8ELNS1_11target_archE1030ELNS1_3gpuE2ELNS1_3repE0EEENS1_47radix_sort_onesweep_sort_config_static_selectorELNS0_4arch9wavefront6targetE1EEEvSG_
; %bb.0:
	.section	.rodata,"a",@progbits
	.p2align	6, 0x0
	.amdhsa_kernel _ZN7rocprim17ROCPRIM_400000_NS6detail17trampoline_kernelINS0_14default_configENS1_35radix_sort_onesweep_config_selectorIllEEZZNS1_29radix_sort_onesweep_iterationIS3_Lb0EPlS7_N6thrust23THRUST_200600_302600_NS10device_ptrIlEESB_jNS0_19identity_decomposerENS1_16block_id_wrapperIjLb0EEEEE10hipError_tT1_PNSt15iterator_traitsISG_E10value_typeET2_T3_PNSH_ISM_E10value_typeET4_T5_PSR_SS_PNS1_23onesweep_lookback_stateEbbT6_jjT7_P12ihipStream_tbENKUlT_T0_SG_SL_E_clIS7_S7_SB_SB_EEDaSZ_S10_SG_SL_EUlSZ_E_NS1_11comp_targetILNS1_3genE8ELNS1_11target_archE1030ELNS1_3gpuE2ELNS1_3repE0EEENS1_47radix_sort_onesweep_sort_config_static_selectorELNS0_4arch9wavefront6targetE1EEEvSG_
		.amdhsa_group_segment_fixed_size 0
		.amdhsa_private_segment_fixed_size 0
		.amdhsa_kernarg_size 88
		.amdhsa_user_sgpr_count 6
		.amdhsa_user_sgpr_private_segment_buffer 1
		.amdhsa_user_sgpr_dispatch_ptr 0
		.amdhsa_user_sgpr_queue_ptr 0
		.amdhsa_user_sgpr_kernarg_segment_ptr 1
		.amdhsa_user_sgpr_dispatch_id 0
		.amdhsa_user_sgpr_flat_scratch_init 0
		.amdhsa_user_sgpr_kernarg_preload_length 0
		.amdhsa_user_sgpr_kernarg_preload_offset 0
		.amdhsa_user_sgpr_private_segment_size 0
		.amdhsa_uses_dynamic_stack 0
		.amdhsa_system_sgpr_private_segment_wavefront_offset 0
		.amdhsa_system_sgpr_workgroup_id_x 1
		.amdhsa_system_sgpr_workgroup_id_y 0
		.amdhsa_system_sgpr_workgroup_id_z 0
		.amdhsa_system_sgpr_workgroup_info 0
		.amdhsa_system_vgpr_workitem_id 0
		.amdhsa_next_free_vgpr 1
		.amdhsa_next_free_sgpr 0
		.amdhsa_accum_offset 4
		.amdhsa_reserve_vcc 0
		.amdhsa_reserve_flat_scratch 0
		.amdhsa_float_round_mode_32 0
		.amdhsa_float_round_mode_16_64 0
		.amdhsa_float_denorm_mode_32 3
		.amdhsa_float_denorm_mode_16_64 3
		.amdhsa_dx10_clamp 1
		.amdhsa_ieee_mode 1
		.amdhsa_fp16_overflow 0
		.amdhsa_tg_split 0
		.amdhsa_exception_fp_ieee_invalid_op 0
		.amdhsa_exception_fp_denorm_src 0
		.amdhsa_exception_fp_ieee_div_zero 0
		.amdhsa_exception_fp_ieee_overflow 0
		.amdhsa_exception_fp_ieee_underflow 0
		.amdhsa_exception_fp_ieee_inexact 0
		.amdhsa_exception_int_div_zero 0
	.end_amdhsa_kernel
	.section	.text._ZN7rocprim17ROCPRIM_400000_NS6detail17trampoline_kernelINS0_14default_configENS1_35radix_sort_onesweep_config_selectorIllEEZZNS1_29radix_sort_onesweep_iterationIS3_Lb0EPlS7_N6thrust23THRUST_200600_302600_NS10device_ptrIlEESB_jNS0_19identity_decomposerENS1_16block_id_wrapperIjLb0EEEEE10hipError_tT1_PNSt15iterator_traitsISG_E10value_typeET2_T3_PNSH_ISM_E10value_typeET4_T5_PSR_SS_PNS1_23onesweep_lookback_stateEbbT6_jjT7_P12ihipStream_tbENKUlT_T0_SG_SL_E_clIS7_S7_SB_SB_EEDaSZ_S10_SG_SL_EUlSZ_E_NS1_11comp_targetILNS1_3genE8ELNS1_11target_archE1030ELNS1_3gpuE2ELNS1_3repE0EEENS1_47radix_sort_onesweep_sort_config_static_selectorELNS0_4arch9wavefront6targetE1EEEvSG_,"axG",@progbits,_ZN7rocprim17ROCPRIM_400000_NS6detail17trampoline_kernelINS0_14default_configENS1_35radix_sort_onesweep_config_selectorIllEEZZNS1_29radix_sort_onesweep_iterationIS3_Lb0EPlS7_N6thrust23THRUST_200600_302600_NS10device_ptrIlEESB_jNS0_19identity_decomposerENS1_16block_id_wrapperIjLb0EEEEE10hipError_tT1_PNSt15iterator_traitsISG_E10value_typeET2_T3_PNSH_ISM_E10value_typeET4_T5_PSR_SS_PNS1_23onesweep_lookback_stateEbbT6_jjT7_P12ihipStream_tbENKUlT_T0_SG_SL_E_clIS7_S7_SB_SB_EEDaSZ_S10_SG_SL_EUlSZ_E_NS1_11comp_targetILNS1_3genE8ELNS1_11target_archE1030ELNS1_3gpuE2ELNS1_3repE0EEENS1_47radix_sort_onesweep_sort_config_static_selectorELNS0_4arch9wavefront6targetE1EEEvSG_,comdat
.Lfunc_end1167:
	.size	_ZN7rocprim17ROCPRIM_400000_NS6detail17trampoline_kernelINS0_14default_configENS1_35radix_sort_onesweep_config_selectorIllEEZZNS1_29radix_sort_onesweep_iterationIS3_Lb0EPlS7_N6thrust23THRUST_200600_302600_NS10device_ptrIlEESB_jNS0_19identity_decomposerENS1_16block_id_wrapperIjLb0EEEEE10hipError_tT1_PNSt15iterator_traitsISG_E10value_typeET2_T3_PNSH_ISM_E10value_typeET4_T5_PSR_SS_PNS1_23onesweep_lookback_stateEbbT6_jjT7_P12ihipStream_tbENKUlT_T0_SG_SL_E_clIS7_S7_SB_SB_EEDaSZ_S10_SG_SL_EUlSZ_E_NS1_11comp_targetILNS1_3genE8ELNS1_11target_archE1030ELNS1_3gpuE2ELNS1_3repE0EEENS1_47radix_sort_onesweep_sort_config_static_selectorELNS0_4arch9wavefront6targetE1EEEvSG_, .Lfunc_end1167-_ZN7rocprim17ROCPRIM_400000_NS6detail17trampoline_kernelINS0_14default_configENS1_35radix_sort_onesweep_config_selectorIllEEZZNS1_29radix_sort_onesweep_iterationIS3_Lb0EPlS7_N6thrust23THRUST_200600_302600_NS10device_ptrIlEESB_jNS0_19identity_decomposerENS1_16block_id_wrapperIjLb0EEEEE10hipError_tT1_PNSt15iterator_traitsISG_E10value_typeET2_T3_PNSH_ISM_E10value_typeET4_T5_PSR_SS_PNS1_23onesweep_lookback_stateEbbT6_jjT7_P12ihipStream_tbENKUlT_T0_SG_SL_E_clIS7_S7_SB_SB_EEDaSZ_S10_SG_SL_EUlSZ_E_NS1_11comp_targetILNS1_3genE8ELNS1_11target_archE1030ELNS1_3gpuE2ELNS1_3repE0EEENS1_47radix_sort_onesweep_sort_config_static_selectorELNS0_4arch9wavefront6targetE1EEEvSG_
                                        ; -- End function
	.section	.AMDGPU.csdata,"",@progbits
; Kernel info:
; codeLenInByte = 0
; NumSgprs: 4
; NumVgprs: 0
; NumAgprs: 0
; TotalNumVgprs: 0
; ScratchSize: 0
; MemoryBound: 0
; FloatMode: 240
; IeeeMode: 1
; LDSByteSize: 0 bytes/workgroup (compile time only)
; SGPRBlocks: 0
; VGPRBlocks: 0
; NumSGPRsForWavesPerEU: 4
; NumVGPRsForWavesPerEU: 1
; AccumOffset: 4
; Occupancy: 8
; WaveLimiterHint : 0
; COMPUTE_PGM_RSRC2:SCRATCH_EN: 0
; COMPUTE_PGM_RSRC2:USER_SGPR: 6
; COMPUTE_PGM_RSRC2:TRAP_HANDLER: 0
; COMPUTE_PGM_RSRC2:TGID_X_EN: 1
; COMPUTE_PGM_RSRC2:TGID_Y_EN: 0
; COMPUTE_PGM_RSRC2:TGID_Z_EN: 0
; COMPUTE_PGM_RSRC2:TIDIG_COMP_CNT: 0
; COMPUTE_PGM_RSRC3_GFX90A:ACCUM_OFFSET: 0
; COMPUTE_PGM_RSRC3_GFX90A:TG_SPLIT: 0
	.section	.text._ZN7rocprim17ROCPRIM_400000_NS6detail17trampoline_kernelINS0_14default_configENS1_35radix_sort_onesweep_config_selectorIllEEZZNS1_29radix_sort_onesweep_iterationIS3_Lb0EPlS7_N6thrust23THRUST_200600_302600_NS10device_ptrIlEESB_jNS0_19identity_decomposerENS1_16block_id_wrapperIjLb0EEEEE10hipError_tT1_PNSt15iterator_traitsISG_E10value_typeET2_T3_PNSH_ISM_E10value_typeET4_T5_PSR_SS_PNS1_23onesweep_lookback_stateEbbT6_jjT7_P12ihipStream_tbENKUlT_T0_SG_SL_E_clIS7_S7_SB_S7_EEDaSZ_S10_SG_SL_EUlSZ_E_NS1_11comp_targetILNS1_3genE0ELNS1_11target_archE4294967295ELNS1_3gpuE0ELNS1_3repE0EEENS1_47radix_sort_onesweep_sort_config_static_selectorELNS0_4arch9wavefront6targetE1EEEvSG_,"axG",@progbits,_ZN7rocprim17ROCPRIM_400000_NS6detail17trampoline_kernelINS0_14default_configENS1_35radix_sort_onesweep_config_selectorIllEEZZNS1_29radix_sort_onesweep_iterationIS3_Lb0EPlS7_N6thrust23THRUST_200600_302600_NS10device_ptrIlEESB_jNS0_19identity_decomposerENS1_16block_id_wrapperIjLb0EEEEE10hipError_tT1_PNSt15iterator_traitsISG_E10value_typeET2_T3_PNSH_ISM_E10value_typeET4_T5_PSR_SS_PNS1_23onesweep_lookback_stateEbbT6_jjT7_P12ihipStream_tbENKUlT_T0_SG_SL_E_clIS7_S7_SB_S7_EEDaSZ_S10_SG_SL_EUlSZ_E_NS1_11comp_targetILNS1_3genE0ELNS1_11target_archE4294967295ELNS1_3gpuE0ELNS1_3repE0EEENS1_47radix_sort_onesweep_sort_config_static_selectorELNS0_4arch9wavefront6targetE1EEEvSG_,comdat
	.protected	_ZN7rocprim17ROCPRIM_400000_NS6detail17trampoline_kernelINS0_14default_configENS1_35radix_sort_onesweep_config_selectorIllEEZZNS1_29radix_sort_onesweep_iterationIS3_Lb0EPlS7_N6thrust23THRUST_200600_302600_NS10device_ptrIlEESB_jNS0_19identity_decomposerENS1_16block_id_wrapperIjLb0EEEEE10hipError_tT1_PNSt15iterator_traitsISG_E10value_typeET2_T3_PNSH_ISM_E10value_typeET4_T5_PSR_SS_PNS1_23onesweep_lookback_stateEbbT6_jjT7_P12ihipStream_tbENKUlT_T0_SG_SL_E_clIS7_S7_SB_S7_EEDaSZ_S10_SG_SL_EUlSZ_E_NS1_11comp_targetILNS1_3genE0ELNS1_11target_archE4294967295ELNS1_3gpuE0ELNS1_3repE0EEENS1_47radix_sort_onesweep_sort_config_static_selectorELNS0_4arch9wavefront6targetE1EEEvSG_ ; -- Begin function _ZN7rocprim17ROCPRIM_400000_NS6detail17trampoline_kernelINS0_14default_configENS1_35radix_sort_onesweep_config_selectorIllEEZZNS1_29radix_sort_onesweep_iterationIS3_Lb0EPlS7_N6thrust23THRUST_200600_302600_NS10device_ptrIlEESB_jNS0_19identity_decomposerENS1_16block_id_wrapperIjLb0EEEEE10hipError_tT1_PNSt15iterator_traitsISG_E10value_typeET2_T3_PNSH_ISM_E10value_typeET4_T5_PSR_SS_PNS1_23onesweep_lookback_stateEbbT6_jjT7_P12ihipStream_tbENKUlT_T0_SG_SL_E_clIS7_S7_SB_S7_EEDaSZ_S10_SG_SL_EUlSZ_E_NS1_11comp_targetILNS1_3genE0ELNS1_11target_archE4294967295ELNS1_3gpuE0ELNS1_3repE0EEENS1_47radix_sort_onesweep_sort_config_static_selectorELNS0_4arch9wavefront6targetE1EEEvSG_
	.globl	_ZN7rocprim17ROCPRIM_400000_NS6detail17trampoline_kernelINS0_14default_configENS1_35radix_sort_onesweep_config_selectorIllEEZZNS1_29radix_sort_onesweep_iterationIS3_Lb0EPlS7_N6thrust23THRUST_200600_302600_NS10device_ptrIlEESB_jNS0_19identity_decomposerENS1_16block_id_wrapperIjLb0EEEEE10hipError_tT1_PNSt15iterator_traitsISG_E10value_typeET2_T3_PNSH_ISM_E10value_typeET4_T5_PSR_SS_PNS1_23onesweep_lookback_stateEbbT6_jjT7_P12ihipStream_tbENKUlT_T0_SG_SL_E_clIS7_S7_SB_S7_EEDaSZ_S10_SG_SL_EUlSZ_E_NS1_11comp_targetILNS1_3genE0ELNS1_11target_archE4294967295ELNS1_3gpuE0ELNS1_3repE0EEENS1_47radix_sort_onesweep_sort_config_static_selectorELNS0_4arch9wavefront6targetE1EEEvSG_
	.p2align	8
	.type	_ZN7rocprim17ROCPRIM_400000_NS6detail17trampoline_kernelINS0_14default_configENS1_35radix_sort_onesweep_config_selectorIllEEZZNS1_29radix_sort_onesweep_iterationIS3_Lb0EPlS7_N6thrust23THRUST_200600_302600_NS10device_ptrIlEESB_jNS0_19identity_decomposerENS1_16block_id_wrapperIjLb0EEEEE10hipError_tT1_PNSt15iterator_traitsISG_E10value_typeET2_T3_PNSH_ISM_E10value_typeET4_T5_PSR_SS_PNS1_23onesweep_lookback_stateEbbT6_jjT7_P12ihipStream_tbENKUlT_T0_SG_SL_E_clIS7_S7_SB_S7_EEDaSZ_S10_SG_SL_EUlSZ_E_NS1_11comp_targetILNS1_3genE0ELNS1_11target_archE4294967295ELNS1_3gpuE0ELNS1_3repE0EEENS1_47radix_sort_onesweep_sort_config_static_selectorELNS0_4arch9wavefront6targetE1EEEvSG_,@function
_ZN7rocprim17ROCPRIM_400000_NS6detail17trampoline_kernelINS0_14default_configENS1_35radix_sort_onesweep_config_selectorIllEEZZNS1_29radix_sort_onesweep_iterationIS3_Lb0EPlS7_N6thrust23THRUST_200600_302600_NS10device_ptrIlEESB_jNS0_19identity_decomposerENS1_16block_id_wrapperIjLb0EEEEE10hipError_tT1_PNSt15iterator_traitsISG_E10value_typeET2_T3_PNSH_ISM_E10value_typeET4_T5_PSR_SS_PNS1_23onesweep_lookback_stateEbbT6_jjT7_P12ihipStream_tbENKUlT_T0_SG_SL_E_clIS7_S7_SB_S7_EEDaSZ_S10_SG_SL_EUlSZ_E_NS1_11comp_targetILNS1_3genE0ELNS1_11target_archE4294967295ELNS1_3gpuE0ELNS1_3repE0EEENS1_47radix_sort_onesweep_sort_config_static_selectorELNS0_4arch9wavefront6targetE1EEEvSG_: ; @_ZN7rocprim17ROCPRIM_400000_NS6detail17trampoline_kernelINS0_14default_configENS1_35radix_sort_onesweep_config_selectorIllEEZZNS1_29radix_sort_onesweep_iterationIS3_Lb0EPlS7_N6thrust23THRUST_200600_302600_NS10device_ptrIlEESB_jNS0_19identity_decomposerENS1_16block_id_wrapperIjLb0EEEEE10hipError_tT1_PNSt15iterator_traitsISG_E10value_typeET2_T3_PNSH_ISM_E10value_typeET4_T5_PSR_SS_PNS1_23onesweep_lookback_stateEbbT6_jjT7_P12ihipStream_tbENKUlT_T0_SG_SL_E_clIS7_S7_SB_S7_EEDaSZ_S10_SG_SL_EUlSZ_E_NS1_11comp_targetILNS1_3genE0ELNS1_11target_archE4294967295ELNS1_3gpuE0ELNS1_3repE0EEENS1_47radix_sort_onesweep_sort_config_static_selectorELNS0_4arch9wavefront6targetE1EEEvSG_
; %bb.0:
	.section	.rodata,"a",@progbits
	.p2align	6, 0x0
	.amdhsa_kernel _ZN7rocprim17ROCPRIM_400000_NS6detail17trampoline_kernelINS0_14default_configENS1_35radix_sort_onesweep_config_selectorIllEEZZNS1_29radix_sort_onesweep_iterationIS3_Lb0EPlS7_N6thrust23THRUST_200600_302600_NS10device_ptrIlEESB_jNS0_19identity_decomposerENS1_16block_id_wrapperIjLb0EEEEE10hipError_tT1_PNSt15iterator_traitsISG_E10value_typeET2_T3_PNSH_ISM_E10value_typeET4_T5_PSR_SS_PNS1_23onesweep_lookback_stateEbbT6_jjT7_P12ihipStream_tbENKUlT_T0_SG_SL_E_clIS7_S7_SB_S7_EEDaSZ_S10_SG_SL_EUlSZ_E_NS1_11comp_targetILNS1_3genE0ELNS1_11target_archE4294967295ELNS1_3gpuE0ELNS1_3repE0EEENS1_47radix_sort_onesweep_sort_config_static_selectorELNS0_4arch9wavefront6targetE1EEEvSG_
		.amdhsa_group_segment_fixed_size 0
		.amdhsa_private_segment_fixed_size 0
		.amdhsa_kernarg_size 88
		.amdhsa_user_sgpr_count 6
		.amdhsa_user_sgpr_private_segment_buffer 1
		.amdhsa_user_sgpr_dispatch_ptr 0
		.amdhsa_user_sgpr_queue_ptr 0
		.amdhsa_user_sgpr_kernarg_segment_ptr 1
		.amdhsa_user_sgpr_dispatch_id 0
		.amdhsa_user_sgpr_flat_scratch_init 0
		.amdhsa_user_sgpr_kernarg_preload_length 0
		.amdhsa_user_sgpr_kernarg_preload_offset 0
		.amdhsa_user_sgpr_private_segment_size 0
		.amdhsa_uses_dynamic_stack 0
		.amdhsa_system_sgpr_private_segment_wavefront_offset 0
		.amdhsa_system_sgpr_workgroup_id_x 1
		.amdhsa_system_sgpr_workgroup_id_y 0
		.amdhsa_system_sgpr_workgroup_id_z 0
		.amdhsa_system_sgpr_workgroup_info 0
		.amdhsa_system_vgpr_workitem_id 0
		.amdhsa_next_free_vgpr 1
		.amdhsa_next_free_sgpr 0
		.amdhsa_accum_offset 4
		.amdhsa_reserve_vcc 0
		.amdhsa_reserve_flat_scratch 0
		.amdhsa_float_round_mode_32 0
		.amdhsa_float_round_mode_16_64 0
		.amdhsa_float_denorm_mode_32 3
		.amdhsa_float_denorm_mode_16_64 3
		.amdhsa_dx10_clamp 1
		.amdhsa_ieee_mode 1
		.amdhsa_fp16_overflow 0
		.amdhsa_tg_split 0
		.amdhsa_exception_fp_ieee_invalid_op 0
		.amdhsa_exception_fp_denorm_src 0
		.amdhsa_exception_fp_ieee_div_zero 0
		.amdhsa_exception_fp_ieee_overflow 0
		.amdhsa_exception_fp_ieee_underflow 0
		.amdhsa_exception_fp_ieee_inexact 0
		.amdhsa_exception_int_div_zero 0
	.end_amdhsa_kernel
	.section	.text._ZN7rocprim17ROCPRIM_400000_NS6detail17trampoline_kernelINS0_14default_configENS1_35radix_sort_onesweep_config_selectorIllEEZZNS1_29radix_sort_onesweep_iterationIS3_Lb0EPlS7_N6thrust23THRUST_200600_302600_NS10device_ptrIlEESB_jNS0_19identity_decomposerENS1_16block_id_wrapperIjLb0EEEEE10hipError_tT1_PNSt15iterator_traitsISG_E10value_typeET2_T3_PNSH_ISM_E10value_typeET4_T5_PSR_SS_PNS1_23onesweep_lookback_stateEbbT6_jjT7_P12ihipStream_tbENKUlT_T0_SG_SL_E_clIS7_S7_SB_S7_EEDaSZ_S10_SG_SL_EUlSZ_E_NS1_11comp_targetILNS1_3genE0ELNS1_11target_archE4294967295ELNS1_3gpuE0ELNS1_3repE0EEENS1_47radix_sort_onesweep_sort_config_static_selectorELNS0_4arch9wavefront6targetE1EEEvSG_,"axG",@progbits,_ZN7rocprim17ROCPRIM_400000_NS6detail17trampoline_kernelINS0_14default_configENS1_35radix_sort_onesweep_config_selectorIllEEZZNS1_29radix_sort_onesweep_iterationIS3_Lb0EPlS7_N6thrust23THRUST_200600_302600_NS10device_ptrIlEESB_jNS0_19identity_decomposerENS1_16block_id_wrapperIjLb0EEEEE10hipError_tT1_PNSt15iterator_traitsISG_E10value_typeET2_T3_PNSH_ISM_E10value_typeET4_T5_PSR_SS_PNS1_23onesweep_lookback_stateEbbT6_jjT7_P12ihipStream_tbENKUlT_T0_SG_SL_E_clIS7_S7_SB_S7_EEDaSZ_S10_SG_SL_EUlSZ_E_NS1_11comp_targetILNS1_3genE0ELNS1_11target_archE4294967295ELNS1_3gpuE0ELNS1_3repE0EEENS1_47radix_sort_onesweep_sort_config_static_selectorELNS0_4arch9wavefront6targetE1EEEvSG_,comdat
.Lfunc_end1168:
	.size	_ZN7rocprim17ROCPRIM_400000_NS6detail17trampoline_kernelINS0_14default_configENS1_35radix_sort_onesweep_config_selectorIllEEZZNS1_29radix_sort_onesweep_iterationIS3_Lb0EPlS7_N6thrust23THRUST_200600_302600_NS10device_ptrIlEESB_jNS0_19identity_decomposerENS1_16block_id_wrapperIjLb0EEEEE10hipError_tT1_PNSt15iterator_traitsISG_E10value_typeET2_T3_PNSH_ISM_E10value_typeET4_T5_PSR_SS_PNS1_23onesweep_lookback_stateEbbT6_jjT7_P12ihipStream_tbENKUlT_T0_SG_SL_E_clIS7_S7_SB_S7_EEDaSZ_S10_SG_SL_EUlSZ_E_NS1_11comp_targetILNS1_3genE0ELNS1_11target_archE4294967295ELNS1_3gpuE0ELNS1_3repE0EEENS1_47radix_sort_onesweep_sort_config_static_selectorELNS0_4arch9wavefront6targetE1EEEvSG_, .Lfunc_end1168-_ZN7rocprim17ROCPRIM_400000_NS6detail17trampoline_kernelINS0_14default_configENS1_35radix_sort_onesweep_config_selectorIllEEZZNS1_29radix_sort_onesweep_iterationIS3_Lb0EPlS7_N6thrust23THRUST_200600_302600_NS10device_ptrIlEESB_jNS0_19identity_decomposerENS1_16block_id_wrapperIjLb0EEEEE10hipError_tT1_PNSt15iterator_traitsISG_E10value_typeET2_T3_PNSH_ISM_E10value_typeET4_T5_PSR_SS_PNS1_23onesweep_lookback_stateEbbT6_jjT7_P12ihipStream_tbENKUlT_T0_SG_SL_E_clIS7_S7_SB_S7_EEDaSZ_S10_SG_SL_EUlSZ_E_NS1_11comp_targetILNS1_3genE0ELNS1_11target_archE4294967295ELNS1_3gpuE0ELNS1_3repE0EEENS1_47radix_sort_onesweep_sort_config_static_selectorELNS0_4arch9wavefront6targetE1EEEvSG_
                                        ; -- End function
	.section	.AMDGPU.csdata,"",@progbits
; Kernel info:
; codeLenInByte = 0
; NumSgprs: 4
; NumVgprs: 0
; NumAgprs: 0
; TotalNumVgprs: 0
; ScratchSize: 0
; MemoryBound: 0
; FloatMode: 240
; IeeeMode: 1
; LDSByteSize: 0 bytes/workgroup (compile time only)
; SGPRBlocks: 0
; VGPRBlocks: 0
; NumSGPRsForWavesPerEU: 4
; NumVGPRsForWavesPerEU: 1
; AccumOffset: 4
; Occupancy: 8
; WaveLimiterHint : 0
; COMPUTE_PGM_RSRC2:SCRATCH_EN: 0
; COMPUTE_PGM_RSRC2:USER_SGPR: 6
; COMPUTE_PGM_RSRC2:TRAP_HANDLER: 0
; COMPUTE_PGM_RSRC2:TGID_X_EN: 1
; COMPUTE_PGM_RSRC2:TGID_Y_EN: 0
; COMPUTE_PGM_RSRC2:TGID_Z_EN: 0
; COMPUTE_PGM_RSRC2:TIDIG_COMP_CNT: 0
; COMPUTE_PGM_RSRC3_GFX90A:ACCUM_OFFSET: 0
; COMPUTE_PGM_RSRC3_GFX90A:TG_SPLIT: 0
	.section	.text._ZN7rocprim17ROCPRIM_400000_NS6detail17trampoline_kernelINS0_14default_configENS1_35radix_sort_onesweep_config_selectorIllEEZZNS1_29radix_sort_onesweep_iterationIS3_Lb0EPlS7_N6thrust23THRUST_200600_302600_NS10device_ptrIlEESB_jNS0_19identity_decomposerENS1_16block_id_wrapperIjLb0EEEEE10hipError_tT1_PNSt15iterator_traitsISG_E10value_typeET2_T3_PNSH_ISM_E10value_typeET4_T5_PSR_SS_PNS1_23onesweep_lookback_stateEbbT6_jjT7_P12ihipStream_tbENKUlT_T0_SG_SL_E_clIS7_S7_SB_S7_EEDaSZ_S10_SG_SL_EUlSZ_E_NS1_11comp_targetILNS1_3genE6ELNS1_11target_archE950ELNS1_3gpuE13ELNS1_3repE0EEENS1_47radix_sort_onesweep_sort_config_static_selectorELNS0_4arch9wavefront6targetE1EEEvSG_,"axG",@progbits,_ZN7rocprim17ROCPRIM_400000_NS6detail17trampoline_kernelINS0_14default_configENS1_35radix_sort_onesweep_config_selectorIllEEZZNS1_29radix_sort_onesweep_iterationIS3_Lb0EPlS7_N6thrust23THRUST_200600_302600_NS10device_ptrIlEESB_jNS0_19identity_decomposerENS1_16block_id_wrapperIjLb0EEEEE10hipError_tT1_PNSt15iterator_traitsISG_E10value_typeET2_T3_PNSH_ISM_E10value_typeET4_T5_PSR_SS_PNS1_23onesweep_lookback_stateEbbT6_jjT7_P12ihipStream_tbENKUlT_T0_SG_SL_E_clIS7_S7_SB_S7_EEDaSZ_S10_SG_SL_EUlSZ_E_NS1_11comp_targetILNS1_3genE6ELNS1_11target_archE950ELNS1_3gpuE13ELNS1_3repE0EEENS1_47radix_sort_onesweep_sort_config_static_selectorELNS0_4arch9wavefront6targetE1EEEvSG_,comdat
	.protected	_ZN7rocprim17ROCPRIM_400000_NS6detail17trampoline_kernelINS0_14default_configENS1_35radix_sort_onesweep_config_selectorIllEEZZNS1_29radix_sort_onesweep_iterationIS3_Lb0EPlS7_N6thrust23THRUST_200600_302600_NS10device_ptrIlEESB_jNS0_19identity_decomposerENS1_16block_id_wrapperIjLb0EEEEE10hipError_tT1_PNSt15iterator_traitsISG_E10value_typeET2_T3_PNSH_ISM_E10value_typeET4_T5_PSR_SS_PNS1_23onesweep_lookback_stateEbbT6_jjT7_P12ihipStream_tbENKUlT_T0_SG_SL_E_clIS7_S7_SB_S7_EEDaSZ_S10_SG_SL_EUlSZ_E_NS1_11comp_targetILNS1_3genE6ELNS1_11target_archE950ELNS1_3gpuE13ELNS1_3repE0EEENS1_47radix_sort_onesweep_sort_config_static_selectorELNS0_4arch9wavefront6targetE1EEEvSG_ ; -- Begin function _ZN7rocprim17ROCPRIM_400000_NS6detail17trampoline_kernelINS0_14default_configENS1_35radix_sort_onesweep_config_selectorIllEEZZNS1_29radix_sort_onesweep_iterationIS3_Lb0EPlS7_N6thrust23THRUST_200600_302600_NS10device_ptrIlEESB_jNS0_19identity_decomposerENS1_16block_id_wrapperIjLb0EEEEE10hipError_tT1_PNSt15iterator_traitsISG_E10value_typeET2_T3_PNSH_ISM_E10value_typeET4_T5_PSR_SS_PNS1_23onesweep_lookback_stateEbbT6_jjT7_P12ihipStream_tbENKUlT_T0_SG_SL_E_clIS7_S7_SB_S7_EEDaSZ_S10_SG_SL_EUlSZ_E_NS1_11comp_targetILNS1_3genE6ELNS1_11target_archE950ELNS1_3gpuE13ELNS1_3repE0EEENS1_47radix_sort_onesweep_sort_config_static_selectorELNS0_4arch9wavefront6targetE1EEEvSG_
	.globl	_ZN7rocprim17ROCPRIM_400000_NS6detail17trampoline_kernelINS0_14default_configENS1_35radix_sort_onesweep_config_selectorIllEEZZNS1_29radix_sort_onesweep_iterationIS3_Lb0EPlS7_N6thrust23THRUST_200600_302600_NS10device_ptrIlEESB_jNS0_19identity_decomposerENS1_16block_id_wrapperIjLb0EEEEE10hipError_tT1_PNSt15iterator_traitsISG_E10value_typeET2_T3_PNSH_ISM_E10value_typeET4_T5_PSR_SS_PNS1_23onesweep_lookback_stateEbbT6_jjT7_P12ihipStream_tbENKUlT_T0_SG_SL_E_clIS7_S7_SB_S7_EEDaSZ_S10_SG_SL_EUlSZ_E_NS1_11comp_targetILNS1_3genE6ELNS1_11target_archE950ELNS1_3gpuE13ELNS1_3repE0EEENS1_47radix_sort_onesweep_sort_config_static_selectorELNS0_4arch9wavefront6targetE1EEEvSG_
	.p2align	8
	.type	_ZN7rocprim17ROCPRIM_400000_NS6detail17trampoline_kernelINS0_14default_configENS1_35radix_sort_onesweep_config_selectorIllEEZZNS1_29radix_sort_onesweep_iterationIS3_Lb0EPlS7_N6thrust23THRUST_200600_302600_NS10device_ptrIlEESB_jNS0_19identity_decomposerENS1_16block_id_wrapperIjLb0EEEEE10hipError_tT1_PNSt15iterator_traitsISG_E10value_typeET2_T3_PNSH_ISM_E10value_typeET4_T5_PSR_SS_PNS1_23onesweep_lookback_stateEbbT6_jjT7_P12ihipStream_tbENKUlT_T0_SG_SL_E_clIS7_S7_SB_S7_EEDaSZ_S10_SG_SL_EUlSZ_E_NS1_11comp_targetILNS1_3genE6ELNS1_11target_archE950ELNS1_3gpuE13ELNS1_3repE0EEENS1_47radix_sort_onesweep_sort_config_static_selectorELNS0_4arch9wavefront6targetE1EEEvSG_,@function
_ZN7rocprim17ROCPRIM_400000_NS6detail17trampoline_kernelINS0_14default_configENS1_35radix_sort_onesweep_config_selectorIllEEZZNS1_29radix_sort_onesweep_iterationIS3_Lb0EPlS7_N6thrust23THRUST_200600_302600_NS10device_ptrIlEESB_jNS0_19identity_decomposerENS1_16block_id_wrapperIjLb0EEEEE10hipError_tT1_PNSt15iterator_traitsISG_E10value_typeET2_T3_PNSH_ISM_E10value_typeET4_T5_PSR_SS_PNS1_23onesweep_lookback_stateEbbT6_jjT7_P12ihipStream_tbENKUlT_T0_SG_SL_E_clIS7_S7_SB_S7_EEDaSZ_S10_SG_SL_EUlSZ_E_NS1_11comp_targetILNS1_3genE6ELNS1_11target_archE950ELNS1_3gpuE13ELNS1_3repE0EEENS1_47radix_sort_onesweep_sort_config_static_selectorELNS0_4arch9wavefront6targetE1EEEvSG_: ; @_ZN7rocprim17ROCPRIM_400000_NS6detail17trampoline_kernelINS0_14default_configENS1_35radix_sort_onesweep_config_selectorIllEEZZNS1_29radix_sort_onesweep_iterationIS3_Lb0EPlS7_N6thrust23THRUST_200600_302600_NS10device_ptrIlEESB_jNS0_19identity_decomposerENS1_16block_id_wrapperIjLb0EEEEE10hipError_tT1_PNSt15iterator_traitsISG_E10value_typeET2_T3_PNSH_ISM_E10value_typeET4_T5_PSR_SS_PNS1_23onesweep_lookback_stateEbbT6_jjT7_P12ihipStream_tbENKUlT_T0_SG_SL_E_clIS7_S7_SB_S7_EEDaSZ_S10_SG_SL_EUlSZ_E_NS1_11comp_targetILNS1_3genE6ELNS1_11target_archE950ELNS1_3gpuE13ELNS1_3repE0EEENS1_47radix_sort_onesweep_sort_config_static_selectorELNS0_4arch9wavefront6targetE1EEEvSG_
; %bb.0:
	.section	.rodata,"a",@progbits
	.p2align	6, 0x0
	.amdhsa_kernel _ZN7rocprim17ROCPRIM_400000_NS6detail17trampoline_kernelINS0_14default_configENS1_35radix_sort_onesweep_config_selectorIllEEZZNS1_29radix_sort_onesweep_iterationIS3_Lb0EPlS7_N6thrust23THRUST_200600_302600_NS10device_ptrIlEESB_jNS0_19identity_decomposerENS1_16block_id_wrapperIjLb0EEEEE10hipError_tT1_PNSt15iterator_traitsISG_E10value_typeET2_T3_PNSH_ISM_E10value_typeET4_T5_PSR_SS_PNS1_23onesweep_lookback_stateEbbT6_jjT7_P12ihipStream_tbENKUlT_T0_SG_SL_E_clIS7_S7_SB_S7_EEDaSZ_S10_SG_SL_EUlSZ_E_NS1_11comp_targetILNS1_3genE6ELNS1_11target_archE950ELNS1_3gpuE13ELNS1_3repE0EEENS1_47radix_sort_onesweep_sort_config_static_selectorELNS0_4arch9wavefront6targetE1EEEvSG_
		.amdhsa_group_segment_fixed_size 0
		.amdhsa_private_segment_fixed_size 0
		.amdhsa_kernarg_size 88
		.amdhsa_user_sgpr_count 6
		.amdhsa_user_sgpr_private_segment_buffer 1
		.amdhsa_user_sgpr_dispatch_ptr 0
		.amdhsa_user_sgpr_queue_ptr 0
		.amdhsa_user_sgpr_kernarg_segment_ptr 1
		.amdhsa_user_sgpr_dispatch_id 0
		.amdhsa_user_sgpr_flat_scratch_init 0
		.amdhsa_user_sgpr_kernarg_preload_length 0
		.amdhsa_user_sgpr_kernarg_preload_offset 0
		.amdhsa_user_sgpr_private_segment_size 0
		.amdhsa_uses_dynamic_stack 0
		.amdhsa_system_sgpr_private_segment_wavefront_offset 0
		.amdhsa_system_sgpr_workgroup_id_x 1
		.amdhsa_system_sgpr_workgroup_id_y 0
		.amdhsa_system_sgpr_workgroup_id_z 0
		.amdhsa_system_sgpr_workgroup_info 0
		.amdhsa_system_vgpr_workitem_id 0
		.amdhsa_next_free_vgpr 1
		.amdhsa_next_free_sgpr 0
		.amdhsa_accum_offset 4
		.amdhsa_reserve_vcc 0
		.amdhsa_reserve_flat_scratch 0
		.amdhsa_float_round_mode_32 0
		.amdhsa_float_round_mode_16_64 0
		.amdhsa_float_denorm_mode_32 3
		.amdhsa_float_denorm_mode_16_64 3
		.amdhsa_dx10_clamp 1
		.amdhsa_ieee_mode 1
		.amdhsa_fp16_overflow 0
		.amdhsa_tg_split 0
		.amdhsa_exception_fp_ieee_invalid_op 0
		.amdhsa_exception_fp_denorm_src 0
		.amdhsa_exception_fp_ieee_div_zero 0
		.amdhsa_exception_fp_ieee_overflow 0
		.amdhsa_exception_fp_ieee_underflow 0
		.amdhsa_exception_fp_ieee_inexact 0
		.amdhsa_exception_int_div_zero 0
	.end_amdhsa_kernel
	.section	.text._ZN7rocprim17ROCPRIM_400000_NS6detail17trampoline_kernelINS0_14default_configENS1_35radix_sort_onesweep_config_selectorIllEEZZNS1_29radix_sort_onesweep_iterationIS3_Lb0EPlS7_N6thrust23THRUST_200600_302600_NS10device_ptrIlEESB_jNS0_19identity_decomposerENS1_16block_id_wrapperIjLb0EEEEE10hipError_tT1_PNSt15iterator_traitsISG_E10value_typeET2_T3_PNSH_ISM_E10value_typeET4_T5_PSR_SS_PNS1_23onesweep_lookback_stateEbbT6_jjT7_P12ihipStream_tbENKUlT_T0_SG_SL_E_clIS7_S7_SB_S7_EEDaSZ_S10_SG_SL_EUlSZ_E_NS1_11comp_targetILNS1_3genE6ELNS1_11target_archE950ELNS1_3gpuE13ELNS1_3repE0EEENS1_47radix_sort_onesweep_sort_config_static_selectorELNS0_4arch9wavefront6targetE1EEEvSG_,"axG",@progbits,_ZN7rocprim17ROCPRIM_400000_NS6detail17trampoline_kernelINS0_14default_configENS1_35radix_sort_onesweep_config_selectorIllEEZZNS1_29radix_sort_onesweep_iterationIS3_Lb0EPlS7_N6thrust23THRUST_200600_302600_NS10device_ptrIlEESB_jNS0_19identity_decomposerENS1_16block_id_wrapperIjLb0EEEEE10hipError_tT1_PNSt15iterator_traitsISG_E10value_typeET2_T3_PNSH_ISM_E10value_typeET4_T5_PSR_SS_PNS1_23onesweep_lookback_stateEbbT6_jjT7_P12ihipStream_tbENKUlT_T0_SG_SL_E_clIS7_S7_SB_S7_EEDaSZ_S10_SG_SL_EUlSZ_E_NS1_11comp_targetILNS1_3genE6ELNS1_11target_archE950ELNS1_3gpuE13ELNS1_3repE0EEENS1_47radix_sort_onesweep_sort_config_static_selectorELNS0_4arch9wavefront6targetE1EEEvSG_,comdat
.Lfunc_end1169:
	.size	_ZN7rocprim17ROCPRIM_400000_NS6detail17trampoline_kernelINS0_14default_configENS1_35radix_sort_onesweep_config_selectorIllEEZZNS1_29radix_sort_onesweep_iterationIS3_Lb0EPlS7_N6thrust23THRUST_200600_302600_NS10device_ptrIlEESB_jNS0_19identity_decomposerENS1_16block_id_wrapperIjLb0EEEEE10hipError_tT1_PNSt15iterator_traitsISG_E10value_typeET2_T3_PNSH_ISM_E10value_typeET4_T5_PSR_SS_PNS1_23onesweep_lookback_stateEbbT6_jjT7_P12ihipStream_tbENKUlT_T0_SG_SL_E_clIS7_S7_SB_S7_EEDaSZ_S10_SG_SL_EUlSZ_E_NS1_11comp_targetILNS1_3genE6ELNS1_11target_archE950ELNS1_3gpuE13ELNS1_3repE0EEENS1_47radix_sort_onesweep_sort_config_static_selectorELNS0_4arch9wavefront6targetE1EEEvSG_, .Lfunc_end1169-_ZN7rocprim17ROCPRIM_400000_NS6detail17trampoline_kernelINS0_14default_configENS1_35radix_sort_onesweep_config_selectorIllEEZZNS1_29radix_sort_onesweep_iterationIS3_Lb0EPlS7_N6thrust23THRUST_200600_302600_NS10device_ptrIlEESB_jNS0_19identity_decomposerENS1_16block_id_wrapperIjLb0EEEEE10hipError_tT1_PNSt15iterator_traitsISG_E10value_typeET2_T3_PNSH_ISM_E10value_typeET4_T5_PSR_SS_PNS1_23onesweep_lookback_stateEbbT6_jjT7_P12ihipStream_tbENKUlT_T0_SG_SL_E_clIS7_S7_SB_S7_EEDaSZ_S10_SG_SL_EUlSZ_E_NS1_11comp_targetILNS1_3genE6ELNS1_11target_archE950ELNS1_3gpuE13ELNS1_3repE0EEENS1_47radix_sort_onesweep_sort_config_static_selectorELNS0_4arch9wavefront6targetE1EEEvSG_
                                        ; -- End function
	.section	.AMDGPU.csdata,"",@progbits
; Kernel info:
; codeLenInByte = 0
; NumSgprs: 4
; NumVgprs: 0
; NumAgprs: 0
; TotalNumVgprs: 0
; ScratchSize: 0
; MemoryBound: 0
; FloatMode: 240
; IeeeMode: 1
; LDSByteSize: 0 bytes/workgroup (compile time only)
; SGPRBlocks: 0
; VGPRBlocks: 0
; NumSGPRsForWavesPerEU: 4
; NumVGPRsForWavesPerEU: 1
; AccumOffset: 4
; Occupancy: 8
; WaveLimiterHint : 0
; COMPUTE_PGM_RSRC2:SCRATCH_EN: 0
; COMPUTE_PGM_RSRC2:USER_SGPR: 6
; COMPUTE_PGM_RSRC2:TRAP_HANDLER: 0
; COMPUTE_PGM_RSRC2:TGID_X_EN: 1
; COMPUTE_PGM_RSRC2:TGID_Y_EN: 0
; COMPUTE_PGM_RSRC2:TGID_Z_EN: 0
; COMPUTE_PGM_RSRC2:TIDIG_COMP_CNT: 0
; COMPUTE_PGM_RSRC3_GFX90A:ACCUM_OFFSET: 0
; COMPUTE_PGM_RSRC3_GFX90A:TG_SPLIT: 0
	.section	.text._ZN7rocprim17ROCPRIM_400000_NS6detail17trampoline_kernelINS0_14default_configENS1_35radix_sort_onesweep_config_selectorIllEEZZNS1_29radix_sort_onesweep_iterationIS3_Lb0EPlS7_N6thrust23THRUST_200600_302600_NS10device_ptrIlEESB_jNS0_19identity_decomposerENS1_16block_id_wrapperIjLb0EEEEE10hipError_tT1_PNSt15iterator_traitsISG_E10value_typeET2_T3_PNSH_ISM_E10value_typeET4_T5_PSR_SS_PNS1_23onesweep_lookback_stateEbbT6_jjT7_P12ihipStream_tbENKUlT_T0_SG_SL_E_clIS7_S7_SB_S7_EEDaSZ_S10_SG_SL_EUlSZ_E_NS1_11comp_targetILNS1_3genE5ELNS1_11target_archE942ELNS1_3gpuE9ELNS1_3repE0EEENS1_47radix_sort_onesweep_sort_config_static_selectorELNS0_4arch9wavefront6targetE1EEEvSG_,"axG",@progbits,_ZN7rocprim17ROCPRIM_400000_NS6detail17trampoline_kernelINS0_14default_configENS1_35radix_sort_onesweep_config_selectorIllEEZZNS1_29radix_sort_onesweep_iterationIS3_Lb0EPlS7_N6thrust23THRUST_200600_302600_NS10device_ptrIlEESB_jNS0_19identity_decomposerENS1_16block_id_wrapperIjLb0EEEEE10hipError_tT1_PNSt15iterator_traitsISG_E10value_typeET2_T3_PNSH_ISM_E10value_typeET4_T5_PSR_SS_PNS1_23onesweep_lookback_stateEbbT6_jjT7_P12ihipStream_tbENKUlT_T0_SG_SL_E_clIS7_S7_SB_S7_EEDaSZ_S10_SG_SL_EUlSZ_E_NS1_11comp_targetILNS1_3genE5ELNS1_11target_archE942ELNS1_3gpuE9ELNS1_3repE0EEENS1_47radix_sort_onesweep_sort_config_static_selectorELNS0_4arch9wavefront6targetE1EEEvSG_,comdat
	.protected	_ZN7rocprim17ROCPRIM_400000_NS6detail17trampoline_kernelINS0_14default_configENS1_35radix_sort_onesweep_config_selectorIllEEZZNS1_29radix_sort_onesweep_iterationIS3_Lb0EPlS7_N6thrust23THRUST_200600_302600_NS10device_ptrIlEESB_jNS0_19identity_decomposerENS1_16block_id_wrapperIjLb0EEEEE10hipError_tT1_PNSt15iterator_traitsISG_E10value_typeET2_T3_PNSH_ISM_E10value_typeET4_T5_PSR_SS_PNS1_23onesweep_lookback_stateEbbT6_jjT7_P12ihipStream_tbENKUlT_T0_SG_SL_E_clIS7_S7_SB_S7_EEDaSZ_S10_SG_SL_EUlSZ_E_NS1_11comp_targetILNS1_3genE5ELNS1_11target_archE942ELNS1_3gpuE9ELNS1_3repE0EEENS1_47radix_sort_onesweep_sort_config_static_selectorELNS0_4arch9wavefront6targetE1EEEvSG_ ; -- Begin function _ZN7rocprim17ROCPRIM_400000_NS6detail17trampoline_kernelINS0_14default_configENS1_35radix_sort_onesweep_config_selectorIllEEZZNS1_29radix_sort_onesweep_iterationIS3_Lb0EPlS7_N6thrust23THRUST_200600_302600_NS10device_ptrIlEESB_jNS0_19identity_decomposerENS1_16block_id_wrapperIjLb0EEEEE10hipError_tT1_PNSt15iterator_traitsISG_E10value_typeET2_T3_PNSH_ISM_E10value_typeET4_T5_PSR_SS_PNS1_23onesweep_lookback_stateEbbT6_jjT7_P12ihipStream_tbENKUlT_T0_SG_SL_E_clIS7_S7_SB_S7_EEDaSZ_S10_SG_SL_EUlSZ_E_NS1_11comp_targetILNS1_3genE5ELNS1_11target_archE942ELNS1_3gpuE9ELNS1_3repE0EEENS1_47radix_sort_onesweep_sort_config_static_selectorELNS0_4arch9wavefront6targetE1EEEvSG_
	.globl	_ZN7rocprim17ROCPRIM_400000_NS6detail17trampoline_kernelINS0_14default_configENS1_35radix_sort_onesweep_config_selectorIllEEZZNS1_29radix_sort_onesweep_iterationIS3_Lb0EPlS7_N6thrust23THRUST_200600_302600_NS10device_ptrIlEESB_jNS0_19identity_decomposerENS1_16block_id_wrapperIjLb0EEEEE10hipError_tT1_PNSt15iterator_traitsISG_E10value_typeET2_T3_PNSH_ISM_E10value_typeET4_T5_PSR_SS_PNS1_23onesweep_lookback_stateEbbT6_jjT7_P12ihipStream_tbENKUlT_T0_SG_SL_E_clIS7_S7_SB_S7_EEDaSZ_S10_SG_SL_EUlSZ_E_NS1_11comp_targetILNS1_3genE5ELNS1_11target_archE942ELNS1_3gpuE9ELNS1_3repE0EEENS1_47radix_sort_onesweep_sort_config_static_selectorELNS0_4arch9wavefront6targetE1EEEvSG_
	.p2align	8
	.type	_ZN7rocprim17ROCPRIM_400000_NS6detail17trampoline_kernelINS0_14default_configENS1_35radix_sort_onesweep_config_selectorIllEEZZNS1_29radix_sort_onesweep_iterationIS3_Lb0EPlS7_N6thrust23THRUST_200600_302600_NS10device_ptrIlEESB_jNS0_19identity_decomposerENS1_16block_id_wrapperIjLb0EEEEE10hipError_tT1_PNSt15iterator_traitsISG_E10value_typeET2_T3_PNSH_ISM_E10value_typeET4_T5_PSR_SS_PNS1_23onesweep_lookback_stateEbbT6_jjT7_P12ihipStream_tbENKUlT_T0_SG_SL_E_clIS7_S7_SB_S7_EEDaSZ_S10_SG_SL_EUlSZ_E_NS1_11comp_targetILNS1_3genE5ELNS1_11target_archE942ELNS1_3gpuE9ELNS1_3repE0EEENS1_47radix_sort_onesweep_sort_config_static_selectorELNS0_4arch9wavefront6targetE1EEEvSG_,@function
_ZN7rocprim17ROCPRIM_400000_NS6detail17trampoline_kernelINS0_14default_configENS1_35radix_sort_onesweep_config_selectorIllEEZZNS1_29radix_sort_onesweep_iterationIS3_Lb0EPlS7_N6thrust23THRUST_200600_302600_NS10device_ptrIlEESB_jNS0_19identity_decomposerENS1_16block_id_wrapperIjLb0EEEEE10hipError_tT1_PNSt15iterator_traitsISG_E10value_typeET2_T3_PNSH_ISM_E10value_typeET4_T5_PSR_SS_PNS1_23onesweep_lookback_stateEbbT6_jjT7_P12ihipStream_tbENKUlT_T0_SG_SL_E_clIS7_S7_SB_S7_EEDaSZ_S10_SG_SL_EUlSZ_E_NS1_11comp_targetILNS1_3genE5ELNS1_11target_archE942ELNS1_3gpuE9ELNS1_3repE0EEENS1_47radix_sort_onesweep_sort_config_static_selectorELNS0_4arch9wavefront6targetE1EEEvSG_: ; @_ZN7rocprim17ROCPRIM_400000_NS6detail17trampoline_kernelINS0_14default_configENS1_35radix_sort_onesweep_config_selectorIllEEZZNS1_29radix_sort_onesweep_iterationIS3_Lb0EPlS7_N6thrust23THRUST_200600_302600_NS10device_ptrIlEESB_jNS0_19identity_decomposerENS1_16block_id_wrapperIjLb0EEEEE10hipError_tT1_PNSt15iterator_traitsISG_E10value_typeET2_T3_PNSH_ISM_E10value_typeET4_T5_PSR_SS_PNS1_23onesweep_lookback_stateEbbT6_jjT7_P12ihipStream_tbENKUlT_T0_SG_SL_E_clIS7_S7_SB_S7_EEDaSZ_S10_SG_SL_EUlSZ_E_NS1_11comp_targetILNS1_3genE5ELNS1_11target_archE942ELNS1_3gpuE9ELNS1_3repE0EEENS1_47radix_sort_onesweep_sort_config_static_selectorELNS0_4arch9wavefront6targetE1EEEvSG_
; %bb.0:
	.section	.rodata,"a",@progbits
	.p2align	6, 0x0
	.amdhsa_kernel _ZN7rocprim17ROCPRIM_400000_NS6detail17trampoline_kernelINS0_14default_configENS1_35radix_sort_onesweep_config_selectorIllEEZZNS1_29radix_sort_onesweep_iterationIS3_Lb0EPlS7_N6thrust23THRUST_200600_302600_NS10device_ptrIlEESB_jNS0_19identity_decomposerENS1_16block_id_wrapperIjLb0EEEEE10hipError_tT1_PNSt15iterator_traitsISG_E10value_typeET2_T3_PNSH_ISM_E10value_typeET4_T5_PSR_SS_PNS1_23onesweep_lookback_stateEbbT6_jjT7_P12ihipStream_tbENKUlT_T0_SG_SL_E_clIS7_S7_SB_S7_EEDaSZ_S10_SG_SL_EUlSZ_E_NS1_11comp_targetILNS1_3genE5ELNS1_11target_archE942ELNS1_3gpuE9ELNS1_3repE0EEENS1_47radix_sort_onesweep_sort_config_static_selectorELNS0_4arch9wavefront6targetE1EEEvSG_
		.amdhsa_group_segment_fixed_size 0
		.amdhsa_private_segment_fixed_size 0
		.amdhsa_kernarg_size 88
		.amdhsa_user_sgpr_count 6
		.amdhsa_user_sgpr_private_segment_buffer 1
		.amdhsa_user_sgpr_dispatch_ptr 0
		.amdhsa_user_sgpr_queue_ptr 0
		.amdhsa_user_sgpr_kernarg_segment_ptr 1
		.amdhsa_user_sgpr_dispatch_id 0
		.amdhsa_user_sgpr_flat_scratch_init 0
		.amdhsa_user_sgpr_kernarg_preload_length 0
		.amdhsa_user_sgpr_kernarg_preload_offset 0
		.amdhsa_user_sgpr_private_segment_size 0
		.amdhsa_uses_dynamic_stack 0
		.amdhsa_system_sgpr_private_segment_wavefront_offset 0
		.amdhsa_system_sgpr_workgroup_id_x 1
		.amdhsa_system_sgpr_workgroup_id_y 0
		.amdhsa_system_sgpr_workgroup_id_z 0
		.amdhsa_system_sgpr_workgroup_info 0
		.amdhsa_system_vgpr_workitem_id 0
		.amdhsa_next_free_vgpr 1
		.amdhsa_next_free_sgpr 0
		.amdhsa_accum_offset 4
		.amdhsa_reserve_vcc 0
		.amdhsa_reserve_flat_scratch 0
		.amdhsa_float_round_mode_32 0
		.amdhsa_float_round_mode_16_64 0
		.amdhsa_float_denorm_mode_32 3
		.amdhsa_float_denorm_mode_16_64 3
		.amdhsa_dx10_clamp 1
		.amdhsa_ieee_mode 1
		.amdhsa_fp16_overflow 0
		.amdhsa_tg_split 0
		.amdhsa_exception_fp_ieee_invalid_op 0
		.amdhsa_exception_fp_denorm_src 0
		.amdhsa_exception_fp_ieee_div_zero 0
		.amdhsa_exception_fp_ieee_overflow 0
		.amdhsa_exception_fp_ieee_underflow 0
		.amdhsa_exception_fp_ieee_inexact 0
		.amdhsa_exception_int_div_zero 0
	.end_amdhsa_kernel
	.section	.text._ZN7rocprim17ROCPRIM_400000_NS6detail17trampoline_kernelINS0_14default_configENS1_35radix_sort_onesweep_config_selectorIllEEZZNS1_29radix_sort_onesweep_iterationIS3_Lb0EPlS7_N6thrust23THRUST_200600_302600_NS10device_ptrIlEESB_jNS0_19identity_decomposerENS1_16block_id_wrapperIjLb0EEEEE10hipError_tT1_PNSt15iterator_traitsISG_E10value_typeET2_T3_PNSH_ISM_E10value_typeET4_T5_PSR_SS_PNS1_23onesweep_lookback_stateEbbT6_jjT7_P12ihipStream_tbENKUlT_T0_SG_SL_E_clIS7_S7_SB_S7_EEDaSZ_S10_SG_SL_EUlSZ_E_NS1_11comp_targetILNS1_3genE5ELNS1_11target_archE942ELNS1_3gpuE9ELNS1_3repE0EEENS1_47radix_sort_onesweep_sort_config_static_selectorELNS0_4arch9wavefront6targetE1EEEvSG_,"axG",@progbits,_ZN7rocprim17ROCPRIM_400000_NS6detail17trampoline_kernelINS0_14default_configENS1_35radix_sort_onesweep_config_selectorIllEEZZNS1_29radix_sort_onesweep_iterationIS3_Lb0EPlS7_N6thrust23THRUST_200600_302600_NS10device_ptrIlEESB_jNS0_19identity_decomposerENS1_16block_id_wrapperIjLb0EEEEE10hipError_tT1_PNSt15iterator_traitsISG_E10value_typeET2_T3_PNSH_ISM_E10value_typeET4_T5_PSR_SS_PNS1_23onesweep_lookback_stateEbbT6_jjT7_P12ihipStream_tbENKUlT_T0_SG_SL_E_clIS7_S7_SB_S7_EEDaSZ_S10_SG_SL_EUlSZ_E_NS1_11comp_targetILNS1_3genE5ELNS1_11target_archE942ELNS1_3gpuE9ELNS1_3repE0EEENS1_47radix_sort_onesweep_sort_config_static_selectorELNS0_4arch9wavefront6targetE1EEEvSG_,comdat
.Lfunc_end1170:
	.size	_ZN7rocprim17ROCPRIM_400000_NS6detail17trampoline_kernelINS0_14default_configENS1_35radix_sort_onesweep_config_selectorIllEEZZNS1_29radix_sort_onesweep_iterationIS3_Lb0EPlS7_N6thrust23THRUST_200600_302600_NS10device_ptrIlEESB_jNS0_19identity_decomposerENS1_16block_id_wrapperIjLb0EEEEE10hipError_tT1_PNSt15iterator_traitsISG_E10value_typeET2_T3_PNSH_ISM_E10value_typeET4_T5_PSR_SS_PNS1_23onesweep_lookback_stateEbbT6_jjT7_P12ihipStream_tbENKUlT_T0_SG_SL_E_clIS7_S7_SB_S7_EEDaSZ_S10_SG_SL_EUlSZ_E_NS1_11comp_targetILNS1_3genE5ELNS1_11target_archE942ELNS1_3gpuE9ELNS1_3repE0EEENS1_47radix_sort_onesweep_sort_config_static_selectorELNS0_4arch9wavefront6targetE1EEEvSG_, .Lfunc_end1170-_ZN7rocprim17ROCPRIM_400000_NS6detail17trampoline_kernelINS0_14default_configENS1_35radix_sort_onesweep_config_selectorIllEEZZNS1_29radix_sort_onesweep_iterationIS3_Lb0EPlS7_N6thrust23THRUST_200600_302600_NS10device_ptrIlEESB_jNS0_19identity_decomposerENS1_16block_id_wrapperIjLb0EEEEE10hipError_tT1_PNSt15iterator_traitsISG_E10value_typeET2_T3_PNSH_ISM_E10value_typeET4_T5_PSR_SS_PNS1_23onesweep_lookback_stateEbbT6_jjT7_P12ihipStream_tbENKUlT_T0_SG_SL_E_clIS7_S7_SB_S7_EEDaSZ_S10_SG_SL_EUlSZ_E_NS1_11comp_targetILNS1_3genE5ELNS1_11target_archE942ELNS1_3gpuE9ELNS1_3repE0EEENS1_47radix_sort_onesweep_sort_config_static_selectorELNS0_4arch9wavefront6targetE1EEEvSG_
                                        ; -- End function
	.section	.AMDGPU.csdata,"",@progbits
; Kernel info:
; codeLenInByte = 0
; NumSgprs: 4
; NumVgprs: 0
; NumAgprs: 0
; TotalNumVgprs: 0
; ScratchSize: 0
; MemoryBound: 0
; FloatMode: 240
; IeeeMode: 1
; LDSByteSize: 0 bytes/workgroup (compile time only)
; SGPRBlocks: 0
; VGPRBlocks: 0
; NumSGPRsForWavesPerEU: 4
; NumVGPRsForWavesPerEU: 1
; AccumOffset: 4
; Occupancy: 8
; WaveLimiterHint : 0
; COMPUTE_PGM_RSRC2:SCRATCH_EN: 0
; COMPUTE_PGM_RSRC2:USER_SGPR: 6
; COMPUTE_PGM_RSRC2:TRAP_HANDLER: 0
; COMPUTE_PGM_RSRC2:TGID_X_EN: 1
; COMPUTE_PGM_RSRC2:TGID_Y_EN: 0
; COMPUTE_PGM_RSRC2:TGID_Z_EN: 0
; COMPUTE_PGM_RSRC2:TIDIG_COMP_CNT: 0
; COMPUTE_PGM_RSRC3_GFX90A:ACCUM_OFFSET: 0
; COMPUTE_PGM_RSRC3_GFX90A:TG_SPLIT: 0
	.section	.text._ZN7rocprim17ROCPRIM_400000_NS6detail17trampoline_kernelINS0_14default_configENS1_35radix_sort_onesweep_config_selectorIllEEZZNS1_29radix_sort_onesweep_iterationIS3_Lb0EPlS7_N6thrust23THRUST_200600_302600_NS10device_ptrIlEESB_jNS0_19identity_decomposerENS1_16block_id_wrapperIjLb0EEEEE10hipError_tT1_PNSt15iterator_traitsISG_E10value_typeET2_T3_PNSH_ISM_E10value_typeET4_T5_PSR_SS_PNS1_23onesweep_lookback_stateEbbT6_jjT7_P12ihipStream_tbENKUlT_T0_SG_SL_E_clIS7_S7_SB_S7_EEDaSZ_S10_SG_SL_EUlSZ_E_NS1_11comp_targetILNS1_3genE2ELNS1_11target_archE906ELNS1_3gpuE6ELNS1_3repE0EEENS1_47radix_sort_onesweep_sort_config_static_selectorELNS0_4arch9wavefront6targetE1EEEvSG_,"axG",@progbits,_ZN7rocprim17ROCPRIM_400000_NS6detail17trampoline_kernelINS0_14default_configENS1_35radix_sort_onesweep_config_selectorIllEEZZNS1_29radix_sort_onesweep_iterationIS3_Lb0EPlS7_N6thrust23THRUST_200600_302600_NS10device_ptrIlEESB_jNS0_19identity_decomposerENS1_16block_id_wrapperIjLb0EEEEE10hipError_tT1_PNSt15iterator_traitsISG_E10value_typeET2_T3_PNSH_ISM_E10value_typeET4_T5_PSR_SS_PNS1_23onesweep_lookback_stateEbbT6_jjT7_P12ihipStream_tbENKUlT_T0_SG_SL_E_clIS7_S7_SB_S7_EEDaSZ_S10_SG_SL_EUlSZ_E_NS1_11comp_targetILNS1_3genE2ELNS1_11target_archE906ELNS1_3gpuE6ELNS1_3repE0EEENS1_47radix_sort_onesweep_sort_config_static_selectorELNS0_4arch9wavefront6targetE1EEEvSG_,comdat
	.protected	_ZN7rocprim17ROCPRIM_400000_NS6detail17trampoline_kernelINS0_14default_configENS1_35radix_sort_onesweep_config_selectorIllEEZZNS1_29radix_sort_onesweep_iterationIS3_Lb0EPlS7_N6thrust23THRUST_200600_302600_NS10device_ptrIlEESB_jNS0_19identity_decomposerENS1_16block_id_wrapperIjLb0EEEEE10hipError_tT1_PNSt15iterator_traitsISG_E10value_typeET2_T3_PNSH_ISM_E10value_typeET4_T5_PSR_SS_PNS1_23onesweep_lookback_stateEbbT6_jjT7_P12ihipStream_tbENKUlT_T0_SG_SL_E_clIS7_S7_SB_S7_EEDaSZ_S10_SG_SL_EUlSZ_E_NS1_11comp_targetILNS1_3genE2ELNS1_11target_archE906ELNS1_3gpuE6ELNS1_3repE0EEENS1_47radix_sort_onesweep_sort_config_static_selectorELNS0_4arch9wavefront6targetE1EEEvSG_ ; -- Begin function _ZN7rocprim17ROCPRIM_400000_NS6detail17trampoline_kernelINS0_14default_configENS1_35radix_sort_onesweep_config_selectorIllEEZZNS1_29radix_sort_onesweep_iterationIS3_Lb0EPlS7_N6thrust23THRUST_200600_302600_NS10device_ptrIlEESB_jNS0_19identity_decomposerENS1_16block_id_wrapperIjLb0EEEEE10hipError_tT1_PNSt15iterator_traitsISG_E10value_typeET2_T3_PNSH_ISM_E10value_typeET4_T5_PSR_SS_PNS1_23onesweep_lookback_stateEbbT6_jjT7_P12ihipStream_tbENKUlT_T0_SG_SL_E_clIS7_S7_SB_S7_EEDaSZ_S10_SG_SL_EUlSZ_E_NS1_11comp_targetILNS1_3genE2ELNS1_11target_archE906ELNS1_3gpuE6ELNS1_3repE0EEENS1_47radix_sort_onesweep_sort_config_static_selectorELNS0_4arch9wavefront6targetE1EEEvSG_
	.globl	_ZN7rocprim17ROCPRIM_400000_NS6detail17trampoline_kernelINS0_14default_configENS1_35radix_sort_onesweep_config_selectorIllEEZZNS1_29radix_sort_onesweep_iterationIS3_Lb0EPlS7_N6thrust23THRUST_200600_302600_NS10device_ptrIlEESB_jNS0_19identity_decomposerENS1_16block_id_wrapperIjLb0EEEEE10hipError_tT1_PNSt15iterator_traitsISG_E10value_typeET2_T3_PNSH_ISM_E10value_typeET4_T5_PSR_SS_PNS1_23onesweep_lookback_stateEbbT6_jjT7_P12ihipStream_tbENKUlT_T0_SG_SL_E_clIS7_S7_SB_S7_EEDaSZ_S10_SG_SL_EUlSZ_E_NS1_11comp_targetILNS1_3genE2ELNS1_11target_archE906ELNS1_3gpuE6ELNS1_3repE0EEENS1_47radix_sort_onesweep_sort_config_static_selectorELNS0_4arch9wavefront6targetE1EEEvSG_
	.p2align	8
	.type	_ZN7rocprim17ROCPRIM_400000_NS6detail17trampoline_kernelINS0_14default_configENS1_35radix_sort_onesweep_config_selectorIllEEZZNS1_29radix_sort_onesweep_iterationIS3_Lb0EPlS7_N6thrust23THRUST_200600_302600_NS10device_ptrIlEESB_jNS0_19identity_decomposerENS1_16block_id_wrapperIjLb0EEEEE10hipError_tT1_PNSt15iterator_traitsISG_E10value_typeET2_T3_PNSH_ISM_E10value_typeET4_T5_PSR_SS_PNS1_23onesweep_lookback_stateEbbT6_jjT7_P12ihipStream_tbENKUlT_T0_SG_SL_E_clIS7_S7_SB_S7_EEDaSZ_S10_SG_SL_EUlSZ_E_NS1_11comp_targetILNS1_3genE2ELNS1_11target_archE906ELNS1_3gpuE6ELNS1_3repE0EEENS1_47radix_sort_onesweep_sort_config_static_selectorELNS0_4arch9wavefront6targetE1EEEvSG_,@function
_ZN7rocprim17ROCPRIM_400000_NS6detail17trampoline_kernelINS0_14default_configENS1_35radix_sort_onesweep_config_selectorIllEEZZNS1_29radix_sort_onesweep_iterationIS3_Lb0EPlS7_N6thrust23THRUST_200600_302600_NS10device_ptrIlEESB_jNS0_19identity_decomposerENS1_16block_id_wrapperIjLb0EEEEE10hipError_tT1_PNSt15iterator_traitsISG_E10value_typeET2_T3_PNSH_ISM_E10value_typeET4_T5_PSR_SS_PNS1_23onesweep_lookback_stateEbbT6_jjT7_P12ihipStream_tbENKUlT_T0_SG_SL_E_clIS7_S7_SB_S7_EEDaSZ_S10_SG_SL_EUlSZ_E_NS1_11comp_targetILNS1_3genE2ELNS1_11target_archE906ELNS1_3gpuE6ELNS1_3repE0EEENS1_47radix_sort_onesweep_sort_config_static_selectorELNS0_4arch9wavefront6targetE1EEEvSG_: ; @_ZN7rocprim17ROCPRIM_400000_NS6detail17trampoline_kernelINS0_14default_configENS1_35radix_sort_onesweep_config_selectorIllEEZZNS1_29radix_sort_onesweep_iterationIS3_Lb0EPlS7_N6thrust23THRUST_200600_302600_NS10device_ptrIlEESB_jNS0_19identity_decomposerENS1_16block_id_wrapperIjLb0EEEEE10hipError_tT1_PNSt15iterator_traitsISG_E10value_typeET2_T3_PNSH_ISM_E10value_typeET4_T5_PSR_SS_PNS1_23onesweep_lookback_stateEbbT6_jjT7_P12ihipStream_tbENKUlT_T0_SG_SL_E_clIS7_S7_SB_S7_EEDaSZ_S10_SG_SL_EUlSZ_E_NS1_11comp_targetILNS1_3genE2ELNS1_11target_archE906ELNS1_3gpuE6ELNS1_3repE0EEENS1_47radix_sort_onesweep_sort_config_static_selectorELNS0_4arch9wavefront6targetE1EEEvSG_
; %bb.0:
	.section	.rodata,"a",@progbits
	.p2align	6, 0x0
	.amdhsa_kernel _ZN7rocprim17ROCPRIM_400000_NS6detail17trampoline_kernelINS0_14default_configENS1_35radix_sort_onesweep_config_selectorIllEEZZNS1_29radix_sort_onesweep_iterationIS3_Lb0EPlS7_N6thrust23THRUST_200600_302600_NS10device_ptrIlEESB_jNS0_19identity_decomposerENS1_16block_id_wrapperIjLb0EEEEE10hipError_tT1_PNSt15iterator_traitsISG_E10value_typeET2_T3_PNSH_ISM_E10value_typeET4_T5_PSR_SS_PNS1_23onesweep_lookback_stateEbbT6_jjT7_P12ihipStream_tbENKUlT_T0_SG_SL_E_clIS7_S7_SB_S7_EEDaSZ_S10_SG_SL_EUlSZ_E_NS1_11comp_targetILNS1_3genE2ELNS1_11target_archE906ELNS1_3gpuE6ELNS1_3repE0EEENS1_47radix_sort_onesweep_sort_config_static_selectorELNS0_4arch9wavefront6targetE1EEEvSG_
		.amdhsa_group_segment_fixed_size 0
		.amdhsa_private_segment_fixed_size 0
		.amdhsa_kernarg_size 88
		.amdhsa_user_sgpr_count 6
		.amdhsa_user_sgpr_private_segment_buffer 1
		.amdhsa_user_sgpr_dispatch_ptr 0
		.amdhsa_user_sgpr_queue_ptr 0
		.amdhsa_user_sgpr_kernarg_segment_ptr 1
		.amdhsa_user_sgpr_dispatch_id 0
		.amdhsa_user_sgpr_flat_scratch_init 0
		.amdhsa_user_sgpr_kernarg_preload_length 0
		.amdhsa_user_sgpr_kernarg_preload_offset 0
		.amdhsa_user_sgpr_private_segment_size 0
		.amdhsa_uses_dynamic_stack 0
		.amdhsa_system_sgpr_private_segment_wavefront_offset 0
		.amdhsa_system_sgpr_workgroup_id_x 1
		.amdhsa_system_sgpr_workgroup_id_y 0
		.amdhsa_system_sgpr_workgroup_id_z 0
		.amdhsa_system_sgpr_workgroup_info 0
		.amdhsa_system_vgpr_workitem_id 0
		.amdhsa_next_free_vgpr 1
		.amdhsa_next_free_sgpr 0
		.amdhsa_accum_offset 4
		.amdhsa_reserve_vcc 0
		.amdhsa_reserve_flat_scratch 0
		.amdhsa_float_round_mode_32 0
		.amdhsa_float_round_mode_16_64 0
		.amdhsa_float_denorm_mode_32 3
		.amdhsa_float_denorm_mode_16_64 3
		.amdhsa_dx10_clamp 1
		.amdhsa_ieee_mode 1
		.amdhsa_fp16_overflow 0
		.amdhsa_tg_split 0
		.amdhsa_exception_fp_ieee_invalid_op 0
		.amdhsa_exception_fp_denorm_src 0
		.amdhsa_exception_fp_ieee_div_zero 0
		.amdhsa_exception_fp_ieee_overflow 0
		.amdhsa_exception_fp_ieee_underflow 0
		.amdhsa_exception_fp_ieee_inexact 0
		.amdhsa_exception_int_div_zero 0
	.end_amdhsa_kernel
	.section	.text._ZN7rocprim17ROCPRIM_400000_NS6detail17trampoline_kernelINS0_14default_configENS1_35radix_sort_onesweep_config_selectorIllEEZZNS1_29radix_sort_onesweep_iterationIS3_Lb0EPlS7_N6thrust23THRUST_200600_302600_NS10device_ptrIlEESB_jNS0_19identity_decomposerENS1_16block_id_wrapperIjLb0EEEEE10hipError_tT1_PNSt15iterator_traitsISG_E10value_typeET2_T3_PNSH_ISM_E10value_typeET4_T5_PSR_SS_PNS1_23onesweep_lookback_stateEbbT6_jjT7_P12ihipStream_tbENKUlT_T0_SG_SL_E_clIS7_S7_SB_S7_EEDaSZ_S10_SG_SL_EUlSZ_E_NS1_11comp_targetILNS1_3genE2ELNS1_11target_archE906ELNS1_3gpuE6ELNS1_3repE0EEENS1_47radix_sort_onesweep_sort_config_static_selectorELNS0_4arch9wavefront6targetE1EEEvSG_,"axG",@progbits,_ZN7rocprim17ROCPRIM_400000_NS6detail17trampoline_kernelINS0_14default_configENS1_35radix_sort_onesweep_config_selectorIllEEZZNS1_29radix_sort_onesweep_iterationIS3_Lb0EPlS7_N6thrust23THRUST_200600_302600_NS10device_ptrIlEESB_jNS0_19identity_decomposerENS1_16block_id_wrapperIjLb0EEEEE10hipError_tT1_PNSt15iterator_traitsISG_E10value_typeET2_T3_PNSH_ISM_E10value_typeET4_T5_PSR_SS_PNS1_23onesweep_lookback_stateEbbT6_jjT7_P12ihipStream_tbENKUlT_T0_SG_SL_E_clIS7_S7_SB_S7_EEDaSZ_S10_SG_SL_EUlSZ_E_NS1_11comp_targetILNS1_3genE2ELNS1_11target_archE906ELNS1_3gpuE6ELNS1_3repE0EEENS1_47radix_sort_onesweep_sort_config_static_selectorELNS0_4arch9wavefront6targetE1EEEvSG_,comdat
.Lfunc_end1171:
	.size	_ZN7rocprim17ROCPRIM_400000_NS6detail17trampoline_kernelINS0_14default_configENS1_35radix_sort_onesweep_config_selectorIllEEZZNS1_29radix_sort_onesweep_iterationIS3_Lb0EPlS7_N6thrust23THRUST_200600_302600_NS10device_ptrIlEESB_jNS0_19identity_decomposerENS1_16block_id_wrapperIjLb0EEEEE10hipError_tT1_PNSt15iterator_traitsISG_E10value_typeET2_T3_PNSH_ISM_E10value_typeET4_T5_PSR_SS_PNS1_23onesweep_lookback_stateEbbT6_jjT7_P12ihipStream_tbENKUlT_T0_SG_SL_E_clIS7_S7_SB_S7_EEDaSZ_S10_SG_SL_EUlSZ_E_NS1_11comp_targetILNS1_3genE2ELNS1_11target_archE906ELNS1_3gpuE6ELNS1_3repE0EEENS1_47radix_sort_onesweep_sort_config_static_selectorELNS0_4arch9wavefront6targetE1EEEvSG_, .Lfunc_end1171-_ZN7rocprim17ROCPRIM_400000_NS6detail17trampoline_kernelINS0_14default_configENS1_35radix_sort_onesweep_config_selectorIllEEZZNS1_29radix_sort_onesweep_iterationIS3_Lb0EPlS7_N6thrust23THRUST_200600_302600_NS10device_ptrIlEESB_jNS0_19identity_decomposerENS1_16block_id_wrapperIjLb0EEEEE10hipError_tT1_PNSt15iterator_traitsISG_E10value_typeET2_T3_PNSH_ISM_E10value_typeET4_T5_PSR_SS_PNS1_23onesweep_lookback_stateEbbT6_jjT7_P12ihipStream_tbENKUlT_T0_SG_SL_E_clIS7_S7_SB_S7_EEDaSZ_S10_SG_SL_EUlSZ_E_NS1_11comp_targetILNS1_3genE2ELNS1_11target_archE906ELNS1_3gpuE6ELNS1_3repE0EEENS1_47radix_sort_onesweep_sort_config_static_selectorELNS0_4arch9wavefront6targetE1EEEvSG_
                                        ; -- End function
	.section	.AMDGPU.csdata,"",@progbits
; Kernel info:
; codeLenInByte = 0
; NumSgprs: 4
; NumVgprs: 0
; NumAgprs: 0
; TotalNumVgprs: 0
; ScratchSize: 0
; MemoryBound: 0
; FloatMode: 240
; IeeeMode: 1
; LDSByteSize: 0 bytes/workgroup (compile time only)
; SGPRBlocks: 0
; VGPRBlocks: 0
; NumSGPRsForWavesPerEU: 4
; NumVGPRsForWavesPerEU: 1
; AccumOffset: 4
; Occupancy: 8
; WaveLimiterHint : 0
; COMPUTE_PGM_RSRC2:SCRATCH_EN: 0
; COMPUTE_PGM_RSRC2:USER_SGPR: 6
; COMPUTE_PGM_RSRC2:TRAP_HANDLER: 0
; COMPUTE_PGM_RSRC2:TGID_X_EN: 1
; COMPUTE_PGM_RSRC2:TGID_Y_EN: 0
; COMPUTE_PGM_RSRC2:TGID_Z_EN: 0
; COMPUTE_PGM_RSRC2:TIDIG_COMP_CNT: 0
; COMPUTE_PGM_RSRC3_GFX90A:ACCUM_OFFSET: 0
; COMPUTE_PGM_RSRC3_GFX90A:TG_SPLIT: 0
	.section	.text._ZN7rocprim17ROCPRIM_400000_NS6detail17trampoline_kernelINS0_14default_configENS1_35radix_sort_onesweep_config_selectorIllEEZZNS1_29radix_sort_onesweep_iterationIS3_Lb0EPlS7_N6thrust23THRUST_200600_302600_NS10device_ptrIlEESB_jNS0_19identity_decomposerENS1_16block_id_wrapperIjLb0EEEEE10hipError_tT1_PNSt15iterator_traitsISG_E10value_typeET2_T3_PNSH_ISM_E10value_typeET4_T5_PSR_SS_PNS1_23onesweep_lookback_stateEbbT6_jjT7_P12ihipStream_tbENKUlT_T0_SG_SL_E_clIS7_S7_SB_S7_EEDaSZ_S10_SG_SL_EUlSZ_E_NS1_11comp_targetILNS1_3genE4ELNS1_11target_archE910ELNS1_3gpuE8ELNS1_3repE0EEENS1_47radix_sort_onesweep_sort_config_static_selectorELNS0_4arch9wavefront6targetE1EEEvSG_,"axG",@progbits,_ZN7rocprim17ROCPRIM_400000_NS6detail17trampoline_kernelINS0_14default_configENS1_35radix_sort_onesweep_config_selectorIllEEZZNS1_29radix_sort_onesweep_iterationIS3_Lb0EPlS7_N6thrust23THRUST_200600_302600_NS10device_ptrIlEESB_jNS0_19identity_decomposerENS1_16block_id_wrapperIjLb0EEEEE10hipError_tT1_PNSt15iterator_traitsISG_E10value_typeET2_T3_PNSH_ISM_E10value_typeET4_T5_PSR_SS_PNS1_23onesweep_lookback_stateEbbT6_jjT7_P12ihipStream_tbENKUlT_T0_SG_SL_E_clIS7_S7_SB_S7_EEDaSZ_S10_SG_SL_EUlSZ_E_NS1_11comp_targetILNS1_3genE4ELNS1_11target_archE910ELNS1_3gpuE8ELNS1_3repE0EEENS1_47radix_sort_onesweep_sort_config_static_selectorELNS0_4arch9wavefront6targetE1EEEvSG_,comdat
	.protected	_ZN7rocprim17ROCPRIM_400000_NS6detail17trampoline_kernelINS0_14default_configENS1_35radix_sort_onesweep_config_selectorIllEEZZNS1_29radix_sort_onesweep_iterationIS3_Lb0EPlS7_N6thrust23THRUST_200600_302600_NS10device_ptrIlEESB_jNS0_19identity_decomposerENS1_16block_id_wrapperIjLb0EEEEE10hipError_tT1_PNSt15iterator_traitsISG_E10value_typeET2_T3_PNSH_ISM_E10value_typeET4_T5_PSR_SS_PNS1_23onesweep_lookback_stateEbbT6_jjT7_P12ihipStream_tbENKUlT_T0_SG_SL_E_clIS7_S7_SB_S7_EEDaSZ_S10_SG_SL_EUlSZ_E_NS1_11comp_targetILNS1_3genE4ELNS1_11target_archE910ELNS1_3gpuE8ELNS1_3repE0EEENS1_47radix_sort_onesweep_sort_config_static_selectorELNS0_4arch9wavefront6targetE1EEEvSG_ ; -- Begin function _ZN7rocprim17ROCPRIM_400000_NS6detail17trampoline_kernelINS0_14default_configENS1_35radix_sort_onesweep_config_selectorIllEEZZNS1_29radix_sort_onesweep_iterationIS3_Lb0EPlS7_N6thrust23THRUST_200600_302600_NS10device_ptrIlEESB_jNS0_19identity_decomposerENS1_16block_id_wrapperIjLb0EEEEE10hipError_tT1_PNSt15iterator_traitsISG_E10value_typeET2_T3_PNSH_ISM_E10value_typeET4_T5_PSR_SS_PNS1_23onesweep_lookback_stateEbbT6_jjT7_P12ihipStream_tbENKUlT_T0_SG_SL_E_clIS7_S7_SB_S7_EEDaSZ_S10_SG_SL_EUlSZ_E_NS1_11comp_targetILNS1_3genE4ELNS1_11target_archE910ELNS1_3gpuE8ELNS1_3repE0EEENS1_47radix_sort_onesweep_sort_config_static_selectorELNS0_4arch9wavefront6targetE1EEEvSG_
	.globl	_ZN7rocprim17ROCPRIM_400000_NS6detail17trampoline_kernelINS0_14default_configENS1_35radix_sort_onesweep_config_selectorIllEEZZNS1_29radix_sort_onesweep_iterationIS3_Lb0EPlS7_N6thrust23THRUST_200600_302600_NS10device_ptrIlEESB_jNS0_19identity_decomposerENS1_16block_id_wrapperIjLb0EEEEE10hipError_tT1_PNSt15iterator_traitsISG_E10value_typeET2_T3_PNSH_ISM_E10value_typeET4_T5_PSR_SS_PNS1_23onesweep_lookback_stateEbbT6_jjT7_P12ihipStream_tbENKUlT_T0_SG_SL_E_clIS7_S7_SB_S7_EEDaSZ_S10_SG_SL_EUlSZ_E_NS1_11comp_targetILNS1_3genE4ELNS1_11target_archE910ELNS1_3gpuE8ELNS1_3repE0EEENS1_47radix_sort_onesweep_sort_config_static_selectorELNS0_4arch9wavefront6targetE1EEEvSG_
	.p2align	8
	.type	_ZN7rocprim17ROCPRIM_400000_NS6detail17trampoline_kernelINS0_14default_configENS1_35radix_sort_onesweep_config_selectorIllEEZZNS1_29radix_sort_onesweep_iterationIS3_Lb0EPlS7_N6thrust23THRUST_200600_302600_NS10device_ptrIlEESB_jNS0_19identity_decomposerENS1_16block_id_wrapperIjLb0EEEEE10hipError_tT1_PNSt15iterator_traitsISG_E10value_typeET2_T3_PNSH_ISM_E10value_typeET4_T5_PSR_SS_PNS1_23onesweep_lookback_stateEbbT6_jjT7_P12ihipStream_tbENKUlT_T0_SG_SL_E_clIS7_S7_SB_S7_EEDaSZ_S10_SG_SL_EUlSZ_E_NS1_11comp_targetILNS1_3genE4ELNS1_11target_archE910ELNS1_3gpuE8ELNS1_3repE0EEENS1_47radix_sort_onesweep_sort_config_static_selectorELNS0_4arch9wavefront6targetE1EEEvSG_,@function
_ZN7rocprim17ROCPRIM_400000_NS6detail17trampoline_kernelINS0_14default_configENS1_35radix_sort_onesweep_config_selectorIllEEZZNS1_29radix_sort_onesweep_iterationIS3_Lb0EPlS7_N6thrust23THRUST_200600_302600_NS10device_ptrIlEESB_jNS0_19identity_decomposerENS1_16block_id_wrapperIjLb0EEEEE10hipError_tT1_PNSt15iterator_traitsISG_E10value_typeET2_T3_PNSH_ISM_E10value_typeET4_T5_PSR_SS_PNS1_23onesweep_lookback_stateEbbT6_jjT7_P12ihipStream_tbENKUlT_T0_SG_SL_E_clIS7_S7_SB_S7_EEDaSZ_S10_SG_SL_EUlSZ_E_NS1_11comp_targetILNS1_3genE4ELNS1_11target_archE910ELNS1_3gpuE8ELNS1_3repE0EEENS1_47radix_sort_onesweep_sort_config_static_selectorELNS0_4arch9wavefront6targetE1EEEvSG_: ; @_ZN7rocprim17ROCPRIM_400000_NS6detail17trampoline_kernelINS0_14default_configENS1_35radix_sort_onesweep_config_selectorIllEEZZNS1_29radix_sort_onesweep_iterationIS3_Lb0EPlS7_N6thrust23THRUST_200600_302600_NS10device_ptrIlEESB_jNS0_19identity_decomposerENS1_16block_id_wrapperIjLb0EEEEE10hipError_tT1_PNSt15iterator_traitsISG_E10value_typeET2_T3_PNSH_ISM_E10value_typeET4_T5_PSR_SS_PNS1_23onesweep_lookback_stateEbbT6_jjT7_P12ihipStream_tbENKUlT_T0_SG_SL_E_clIS7_S7_SB_S7_EEDaSZ_S10_SG_SL_EUlSZ_E_NS1_11comp_targetILNS1_3genE4ELNS1_11target_archE910ELNS1_3gpuE8ELNS1_3repE0EEENS1_47radix_sort_onesweep_sort_config_static_selectorELNS0_4arch9wavefront6targetE1EEEvSG_
; %bb.0:
	s_load_dwordx4 s[40:43], s[4:5], 0x44
	s_load_dwordx8 s[24:31], s[4:5], 0x0
	s_load_dwordx4 s[36:39], s[4:5], 0x28
	s_load_dwordx2 s[34:35], s[4:5], 0x38
	s_mul_i32 s44, s6, 0x1800
	s_waitcnt lgkmcnt(0)
	s_cmp_ge_u32 s6, s42
	v_mbcnt_lo_u32_b32 v1, -1, 0
	s_cbranch_scc0 .LBB1172_51
; %bb.1:
	s_load_dword s7, s[4:5], 0x20
	s_mul_i32 s0, s42, 0xffffe800
	s_mov_b32 s45, 0
	s_lshl_b64 s[42:43], s[44:45], 3
	v_mbcnt_hi_u32_b32 v6, -1, v1
	s_waitcnt lgkmcnt(0)
	s_add_i32 s7, s7, s0
	v_and_b32_e32 v8, 0x3ff, v0
	s_add_u32 s0, s24, s42
	v_and_b32_e32 v4, 63, v6
	s_addc_u32 s1, s25, s43
	v_and_b32_e32 v2, 0x3c0, v8
	v_lshlrev_b32_e32 v9, 3, v4
	v_mul_u32_u24_e32 v5, 6, v2
	v_mov_b32_e32 v2, s1
	v_add_co_u32_e32 v3, vcc, s0, v9
	v_addc_co_u32_e32 v7, vcc, 0, v2, vcc
	v_lshlrev_b32_e32 v24, 3, v5
	s_mov_b32 s2, -1
	v_add_co_u32_e32 v2, vcc, v3, v24
	s_brev_b32 s3, -2
	v_addc_co_u32_e32 v3, vcc, 0, v7, vcc
	v_or_b32_e32 v4, v4, v5
	v_cmp_gt_u32_e32 vcc, s7, v4
	v_pk_mov_b32 v[10:11], s[2:3], s[2:3] op_sel:[0,1]
	s_and_saveexec_b64 s[0:1], vcc
	s_cbranch_execz .LBB1172_3
; %bb.2:
	global_load_dwordx2 v[10:11], v[2:3], off
.LBB1172_3:
	s_or_b64 exec, exec, s[0:1]
	v_or_b32_e32 v5, 64, v4
	v_cmp_gt_u32_e64 s[0:1], s7, v5
	v_pk_mov_b32 v[12:13], s[2:3], s[2:3] op_sel:[0,1]
	s_and_saveexec_b64 s[2:3], s[0:1]
	s_cbranch_execz .LBB1172_5
; %bb.4:
	global_load_dwordx2 v[12:13], v[2:3], off offset:512
.LBB1172_5:
	s_or_b64 exec, exec, s[2:3]
	s_mov_b32 s8, -1
	v_add_u32_e32 v5, 0x80, v4
	s_brev_b32 s9, -2
	v_cmp_gt_u32_e64 s[2:3], s7, v5
	v_pk_mov_b32 v[14:15], s[8:9], s[8:9] op_sel:[0,1]
	s_and_saveexec_b64 s[10:11], s[2:3]
	s_cbranch_execz .LBB1172_7
; %bb.6:
	global_load_dwordx2 v[14:15], v[2:3], off offset:1024
.LBB1172_7:
	s_or_b64 exec, exec, s[10:11]
	v_add_u32_e32 v5, 0xc0, v4
	v_cmp_gt_u32_e64 s[20:21], s7, v5
	v_pk_mov_b32 v[16:17], s[8:9], s[8:9] op_sel:[0,1]
	s_and_saveexec_b64 s[8:9], s[20:21]
	s_cbranch_execz .LBB1172_9
; %bb.8:
	global_load_dwordx2 v[16:17], v[2:3], off offset:1536
.LBB1172_9:
	s_or_b64 exec, exec, s[8:9]
	s_mov_b32 s12, -1
	v_add_u32_e32 v5, 0x100, v4
	s_brev_b32 s13, -2
	v_cmp_gt_u32_e64 s[8:9], s7, v5
	v_pk_mov_b32 v[18:19], s[12:13], s[12:13] op_sel:[0,1]
	s_and_saveexec_b64 s[10:11], s[8:9]
	s_cbranch_execz .LBB1172_11
; %bb.10:
	global_load_dwordx2 v[18:19], v[2:3], off offset:2048
.LBB1172_11:
	s_or_b64 exec, exec, s[10:11]
	v_add_u32_e32 v4, 0x140, v4
	v_cmp_gt_u32_e64 s[10:11], s7, v4
	v_pk_mov_b32 v[20:21], s[12:13], s[12:13] op_sel:[0,1]
	s_and_saveexec_b64 s[12:13], s[10:11]
	s_cbranch_execz .LBB1172_13
; %bb.12:
	global_load_dwordx2 v[20:21], v[2:3], off offset:2560
.LBB1172_13:
	s_or_b64 exec, exec, s[12:13]
	s_load_dword s12, s[4:5], 0x64
	s_load_dword s33, s[4:5], 0x58
	s_add_u32 s13, s4, 0x58
	s_addc_u32 s14, s5, 0
	v_mov_b32_e32 v2, 0
	s_waitcnt lgkmcnt(0)
	s_lshr_b32 s15, s12, 16
	s_cmp_lt_u32 s6, s33
	s_cselect_b32 s12, 12, 18
	s_add_u32 s12, s13, s12
	s_addc_u32 s13, s14, 0
	global_load_ushort v22, v2, s[12:13]
	s_waitcnt vmcnt(1)
	v_xor_b32_e32 v11, 0x80000000, v11
	v_mul_u32_u24_e32 v4, 5, v8
	s_lshl_b32 s12, -1, s41
	v_lshlrev_b32_e32 v7, 2, v4
	v_lshrrev_b64 v[4:5], s40, v[10:11]
	s_not_b32 s45, s12
	v_and_b32_e32 v4, s45, v4
	v_and_b32_e32 v25, 1, v4
	v_bfe_u32 v3, v0, 10, 10
	v_bfe_u32 v23, v0, 20, 10
	v_add_co_u32_e64 v26, s[12:13], -1, v25
	v_mad_u32_u24 v5, v23, s15, v3
	v_lshlrev_b32_e32 v3, 30, v4
	v_addc_co_u32_e64 v27, s[12:13], 0, -1, s[12:13]
	v_cmp_ne_u32_e64 s[12:13], 0, v25
	v_cmp_gt_i64_e64 s[14:15], 0, v[2:3]
	v_not_b32_e32 v25, v3
	v_lshlrev_b32_e32 v3, 29, v4
	v_xor_b32_e32 v27, s13, v27
	v_xor_b32_e32 v26, s12, v26
	v_ashrrev_i32_e32 v25, 31, v25
	v_cmp_gt_i64_e64 s[12:13], 0, v[2:3]
	v_not_b32_e32 v28, v3
	v_lshlrev_b32_e32 v3, 28, v4
	v_and_b32_e32 v27, exec_hi, v27
	v_and_b32_e32 v26, exec_lo, v26
	v_xor_b32_e32 v29, s15, v25
	v_xor_b32_e32 v25, s14, v25
	v_ashrrev_i32_e32 v28, 31, v28
	v_cmp_gt_i64_e64 s[14:15], 0, v[2:3]
	v_not_b32_e32 v30, v3
	v_lshlrev_b32_e32 v3, 27, v4
	v_and_b32_e32 v27, v27, v29
	v_and_b32_e32 v25, v26, v25
	v_xor_b32_e32 v26, s13, v28
	v_xor_b32_e32 v28, s12, v28
	v_ashrrev_i32_e32 v29, 31, v30
	v_cmp_gt_i64_e64 s[12:13], 0, v[2:3]
	v_not_b32_e32 v30, v3
	v_lshlrev_b32_e32 v3, 26, v4
	v_and_b32_e32 v26, v27, v26
	v_and_b32_e32 v25, v25, v28
	;; [unrolled: 8-line block ×3, first 2 shown]
	v_xor_b32_e32 v27, s13, v29
	v_xor_b32_e32 v28, s12, v29
	v_ashrrev_i32_e32 v29, 31, v30
	v_not_b32_e32 v30, v3
	v_lshl_add_u32 v23, v4, 4, v4
	v_cmp_gt_i64_e64 s[12:13], 0, v[2:3]
	v_lshlrev_b32_e32 v3, 24, v4
	v_and_b32_e32 v4, v26, v27
	v_and_b32_e32 v25, v25, v28
	v_xor_b32_e32 v26, s15, v29
	v_ashrrev_i32_e32 v28, 31, v30
	v_xor_b32_e32 v27, s14, v29
	v_cmp_gt_i64_e64 s[14:15], 0, v[2:3]
	v_not_b32_e32 v3, v3
	v_and_b32_e32 v4, v4, v26
	v_xor_b32_e32 v26, s13, v28
	v_and_b32_e32 v25, v25, v27
	v_xor_b32_e32 v27, s12, v28
	v_and_b32_e32 v26, v4, v26
	v_ashrrev_i32_e32 v3, 31, v3
	v_and_b32_e32 v25, v25, v27
	ds_write2_b32 v7, v2, v2 offset0:16 offset1:17
	ds_write2_b32 v7, v2, v2 offset0:18 offset1:19
	ds_write_b32 v7, v2 offset:80
	s_waitcnt lgkmcnt(0)
	s_barrier
	s_waitcnt lgkmcnt(0)
	; wave barrier
	s_waitcnt vmcnt(0)
	v_mad_u64_u32 v[4:5], s[12:13], v5, v22, v[8:9]
	v_lshrrev_b32_e32 v34, 6, v4
	v_xor_b32_e32 v4, s15, v3
	v_xor_b32_e32 v3, s14, v3
	v_and_b32_e32 v5, v26, v4
	v_and_b32_e32 v4, v25, v3
	v_mbcnt_lo_u32_b32 v3, v4, 0
	v_mbcnt_hi_u32_b32 v22, v5, v3
	v_cmp_eq_u32_e64 s[12:13], 0, v22
	v_cmp_ne_u64_e64 s[14:15], 0, v[4:5]
	v_add_lshl_u32 v27, v34, v23, 2
	s_and_b64 s[14:15], s[14:15], s[12:13]
	s_and_saveexec_b64 s[12:13], s[14:15]
	s_cbranch_execz .LBB1172_15
; %bb.14:
	v_bcnt_u32_b32 v3, v4, 0
	v_bcnt_u32_b32 v3, v5, v3
	ds_write_b32 v27, v3 offset:64
.LBB1172_15:
	s_or_b64 exec, exec, s[12:13]
	v_xor_b32_e32 v13, 0x80000000, v13
	v_lshrrev_b64 v[4:5], s40, v[12:13]
	v_and_b32_e32 v4, s45, v4
	v_lshl_add_u32 v3, v4, 4, v4
	v_add_lshl_u32 v28, v34, v3, 2
	v_and_b32_e32 v3, 1, v4
	v_add_co_u32_e64 v5, s[12:13], -1, v3
	v_addc_co_u32_e64 v25, s[12:13], 0, -1, s[12:13]
	v_cmp_ne_u32_e64 s[12:13], 0, v3
	v_xor_b32_e32 v3, s13, v25
	v_and_b32_e32 v25, exec_hi, v3
	v_lshlrev_b32_e32 v3, 30, v4
	v_xor_b32_e32 v5, s12, v5
	v_cmp_gt_i64_e64 s[12:13], 0, v[2:3]
	v_not_b32_e32 v3, v3
	v_ashrrev_i32_e32 v3, 31, v3
	v_and_b32_e32 v5, exec_lo, v5
	v_xor_b32_e32 v26, s13, v3
	v_xor_b32_e32 v3, s12, v3
	v_and_b32_e32 v5, v5, v3
	v_lshlrev_b32_e32 v3, 29, v4
	v_cmp_gt_i64_e64 s[12:13], 0, v[2:3]
	v_not_b32_e32 v3, v3
	v_ashrrev_i32_e32 v3, 31, v3
	v_and_b32_e32 v25, v25, v26
	v_xor_b32_e32 v26, s13, v3
	v_xor_b32_e32 v3, s12, v3
	v_and_b32_e32 v5, v5, v3
	v_lshlrev_b32_e32 v3, 28, v4
	v_cmp_gt_i64_e64 s[12:13], 0, v[2:3]
	v_not_b32_e32 v3, v3
	v_ashrrev_i32_e32 v3, 31, v3
	v_and_b32_e32 v25, v25, v26
	;; [unrolled: 8-line block ×5, first 2 shown]
	v_xor_b32_e32 v26, s13, v3
	v_xor_b32_e32 v3, s12, v3
	v_and_b32_e32 v5, v5, v3
	v_lshlrev_b32_e32 v3, 24, v4
	v_cmp_gt_i64_e64 s[12:13], 0, v[2:3]
	v_not_b32_e32 v2, v3
	v_ashrrev_i32_e32 v2, 31, v2
	v_xor_b32_e32 v3, s13, v2
	v_xor_b32_e32 v2, s12, v2
	; wave barrier
	ds_read_b32 v23, v28 offset:64
	v_and_b32_e32 v25, v25, v26
	v_and_b32_e32 v2, v5, v2
	;; [unrolled: 1-line block ×3, first 2 shown]
	v_mbcnt_lo_u32_b32 v4, v2, 0
	v_mbcnt_hi_u32_b32 v25, v3, v4
	v_cmp_eq_u32_e64 s[12:13], 0, v25
	v_cmp_ne_u64_e64 s[14:15], 0, v[2:3]
	s_and_b64 s[14:15], s[14:15], s[12:13]
	; wave barrier
	s_and_saveexec_b64 s[12:13], s[14:15]
	s_cbranch_execz .LBB1172_17
; %bb.16:
	v_bcnt_u32_b32 v2, v2, 0
	v_bcnt_u32_b32 v2, v3, v2
	s_waitcnt lgkmcnt(0)
	v_add_u32_e32 v2, v23, v2
	ds_write_b32 v28, v2 offset:64
.LBB1172_17:
	s_or_b64 exec, exec, s[12:13]
	v_xor_b32_e32 v15, 0x80000000, v15
	v_lshrrev_b64 v[2:3], s40, v[14:15]
	v_and_b32_e32 v4, s45, v2
	v_and_b32_e32 v3, 1, v4
	v_add_co_u32_e64 v5, s[12:13], -1, v3
	v_addc_co_u32_e64 v29, s[12:13], 0, -1, s[12:13]
	v_cmp_ne_u32_e64 s[12:13], 0, v3
	v_lshl_add_u32 v2, v4, 4, v4
	v_xor_b32_e32 v3, s13, v29
	v_add_lshl_u32 v31, v34, v2, 2
	v_mov_b32_e32 v2, 0
	v_and_b32_e32 v29, exec_hi, v3
	v_lshlrev_b32_e32 v3, 30, v4
	v_xor_b32_e32 v5, s12, v5
	v_cmp_gt_i64_e64 s[12:13], 0, v[2:3]
	v_not_b32_e32 v3, v3
	v_ashrrev_i32_e32 v3, 31, v3
	v_and_b32_e32 v5, exec_lo, v5
	v_xor_b32_e32 v30, s13, v3
	v_xor_b32_e32 v3, s12, v3
	v_and_b32_e32 v5, v5, v3
	v_lshlrev_b32_e32 v3, 29, v4
	v_cmp_gt_i64_e64 s[12:13], 0, v[2:3]
	v_not_b32_e32 v3, v3
	v_ashrrev_i32_e32 v3, 31, v3
	v_and_b32_e32 v29, v29, v30
	v_xor_b32_e32 v30, s13, v3
	v_xor_b32_e32 v3, s12, v3
	v_and_b32_e32 v5, v5, v3
	v_lshlrev_b32_e32 v3, 28, v4
	v_cmp_gt_i64_e64 s[12:13], 0, v[2:3]
	v_not_b32_e32 v3, v3
	v_ashrrev_i32_e32 v3, 31, v3
	v_and_b32_e32 v29, v29, v30
	;; [unrolled: 8-line block ×5, first 2 shown]
	v_xor_b32_e32 v30, s13, v3
	v_xor_b32_e32 v3, s12, v3
	v_and_b32_e32 v29, v29, v30
	v_and_b32_e32 v30, v5, v3
	v_lshlrev_b32_e32 v3, 24, v4
	v_cmp_gt_i64_e64 s[12:13], 0, v[2:3]
	v_not_b32_e32 v3, v3
	v_ashrrev_i32_e32 v3, 31, v3
	v_xor_b32_e32 v4, s13, v3
	v_xor_b32_e32 v3, s12, v3
	; wave barrier
	ds_read_b32 v26, v31 offset:64
	v_and_b32_e32 v5, v29, v4
	v_and_b32_e32 v4, v30, v3
	v_mbcnt_lo_u32_b32 v3, v4, 0
	v_mbcnt_hi_u32_b32 v29, v5, v3
	v_cmp_eq_u32_e64 s[12:13], 0, v29
	v_cmp_ne_u64_e64 s[14:15], 0, v[4:5]
	s_and_b64 s[14:15], s[14:15], s[12:13]
	; wave barrier
	s_and_saveexec_b64 s[12:13], s[14:15]
	s_cbranch_execz .LBB1172_19
; %bb.18:
	v_bcnt_u32_b32 v3, v4, 0
	v_bcnt_u32_b32 v3, v5, v3
	s_waitcnt lgkmcnt(0)
	v_add_u32_e32 v3, v26, v3
	ds_write_b32 v31, v3 offset:64
.LBB1172_19:
	s_or_b64 exec, exec, s[12:13]
	v_xor_b32_e32 v17, 0x80000000, v17
	v_lshrrev_b64 v[4:5], s40, v[16:17]
	v_and_b32_e32 v4, s45, v4
	v_lshl_add_u32 v3, v4, 4, v4
	v_add_lshl_u32 v35, v34, v3, 2
	v_and_b32_e32 v3, 1, v4
	v_add_co_u32_e64 v5, s[12:13], -1, v3
	v_addc_co_u32_e64 v32, s[12:13], 0, -1, s[12:13]
	v_cmp_ne_u32_e64 s[12:13], 0, v3
	v_xor_b32_e32 v3, s13, v32
	v_and_b32_e32 v32, exec_hi, v3
	v_lshlrev_b32_e32 v3, 30, v4
	v_xor_b32_e32 v5, s12, v5
	v_cmp_gt_i64_e64 s[12:13], 0, v[2:3]
	v_not_b32_e32 v3, v3
	v_ashrrev_i32_e32 v3, 31, v3
	v_and_b32_e32 v5, exec_lo, v5
	v_xor_b32_e32 v33, s13, v3
	v_xor_b32_e32 v3, s12, v3
	v_and_b32_e32 v5, v5, v3
	v_lshlrev_b32_e32 v3, 29, v4
	v_cmp_gt_i64_e64 s[12:13], 0, v[2:3]
	v_not_b32_e32 v3, v3
	v_ashrrev_i32_e32 v3, 31, v3
	v_and_b32_e32 v32, v32, v33
	v_xor_b32_e32 v33, s13, v3
	v_xor_b32_e32 v3, s12, v3
	v_and_b32_e32 v5, v5, v3
	v_lshlrev_b32_e32 v3, 28, v4
	v_cmp_gt_i64_e64 s[12:13], 0, v[2:3]
	v_not_b32_e32 v3, v3
	v_ashrrev_i32_e32 v3, 31, v3
	v_and_b32_e32 v32, v32, v33
	;; [unrolled: 8-line block ×5, first 2 shown]
	v_xor_b32_e32 v33, s13, v3
	v_xor_b32_e32 v3, s12, v3
	v_and_b32_e32 v5, v5, v3
	v_lshlrev_b32_e32 v3, 24, v4
	v_cmp_gt_i64_e64 s[12:13], 0, v[2:3]
	v_not_b32_e32 v2, v3
	v_ashrrev_i32_e32 v2, 31, v2
	v_xor_b32_e32 v3, s13, v2
	v_xor_b32_e32 v2, s12, v2
	; wave barrier
	ds_read_b32 v30, v35 offset:64
	v_and_b32_e32 v32, v32, v33
	v_and_b32_e32 v2, v5, v2
	;; [unrolled: 1-line block ×3, first 2 shown]
	v_mbcnt_lo_u32_b32 v4, v2, 0
	v_mbcnt_hi_u32_b32 v32, v3, v4
	v_cmp_eq_u32_e64 s[12:13], 0, v32
	v_cmp_ne_u64_e64 s[14:15], 0, v[2:3]
	s_and_b64 s[14:15], s[14:15], s[12:13]
	; wave barrier
	s_and_saveexec_b64 s[12:13], s[14:15]
	s_cbranch_execz .LBB1172_21
; %bb.20:
	v_bcnt_u32_b32 v2, v2, 0
	v_bcnt_u32_b32 v2, v3, v2
	s_waitcnt lgkmcnt(0)
	v_add_u32_e32 v2, v30, v2
	ds_write_b32 v35, v2 offset:64
.LBB1172_21:
	s_or_b64 exec, exec, s[12:13]
	v_xor_b32_e32 v19, 0x80000000, v19
	v_lshrrev_b64 v[2:3], s40, v[18:19]
	v_and_b32_e32 v4, s45, v2
	v_and_b32_e32 v3, 1, v4
	v_add_co_u32_e64 v5, s[12:13], -1, v3
	v_addc_co_u32_e64 v36, s[12:13], 0, -1, s[12:13]
	v_cmp_ne_u32_e64 s[12:13], 0, v3
	v_lshl_add_u32 v2, v4, 4, v4
	v_xor_b32_e32 v3, s13, v36
	v_add_lshl_u32 v38, v34, v2, 2
	v_mov_b32_e32 v2, 0
	v_and_b32_e32 v36, exec_hi, v3
	v_lshlrev_b32_e32 v3, 30, v4
	v_xor_b32_e32 v5, s12, v5
	v_cmp_gt_i64_e64 s[12:13], 0, v[2:3]
	v_not_b32_e32 v3, v3
	v_ashrrev_i32_e32 v3, 31, v3
	v_and_b32_e32 v5, exec_lo, v5
	v_xor_b32_e32 v37, s13, v3
	v_xor_b32_e32 v3, s12, v3
	v_and_b32_e32 v5, v5, v3
	v_lshlrev_b32_e32 v3, 29, v4
	v_cmp_gt_i64_e64 s[12:13], 0, v[2:3]
	v_not_b32_e32 v3, v3
	v_ashrrev_i32_e32 v3, 31, v3
	v_and_b32_e32 v36, v36, v37
	v_xor_b32_e32 v37, s13, v3
	v_xor_b32_e32 v3, s12, v3
	v_and_b32_e32 v5, v5, v3
	v_lshlrev_b32_e32 v3, 28, v4
	v_cmp_gt_i64_e64 s[12:13], 0, v[2:3]
	v_not_b32_e32 v3, v3
	v_ashrrev_i32_e32 v3, 31, v3
	v_and_b32_e32 v36, v36, v37
	;; [unrolled: 8-line block ×5, first 2 shown]
	v_xor_b32_e32 v37, s13, v3
	v_xor_b32_e32 v3, s12, v3
	v_and_b32_e32 v36, v36, v37
	v_and_b32_e32 v37, v5, v3
	v_lshlrev_b32_e32 v3, 24, v4
	v_cmp_gt_i64_e64 s[12:13], 0, v[2:3]
	v_not_b32_e32 v3, v3
	v_ashrrev_i32_e32 v3, 31, v3
	v_xor_b32_e32 v4, s13, v3
	v_xor_b32_e32 v3, s12, v3
	; wave barrier
	ds_read_b32 v33, v38 offset:64
	v_and_b32_e32 v5, v36, v4
	v_and_b32_e32 v4, v37, v3
	v_mbcnt_lo_u32_b32 v3, v4, 0
	v_mbcnt_hi_u32_b32 v36, v5, v3
	v_cmp_eq_u32_e64 s[12:13], 0, v36
	v_cmp_ne_u64_e64 s[14:15], 0, v[4:5]
	s_and_b64 s[14:15], s[14:15], s[12:13]
	; wave barrier
	s_and_saveexec_b64 s[12:13], s[14:15]
	s_cbranch_execz .LBB1172_23
; %bb.22:
	v_bcnt_u32_b32 v3, v4, 0
	v_bcnt_u32_b32 v3, v5, v3
	s_waitcnt lgkmcnt(0)
	v_add_u32_e32 v3, v33, v3
	ds_write_b32 v38, v3 offset:64
.LBB1172_23:
	s_or_b64 exec, exec, s[12:13]
	v_xor_b32_e32 v21, 0x80000000, v21
	v_lshrrev_b64 v[4:5], s40, v[20:21]
	v_and_b32_e32 v4, s45, v4
	v_lshl_add_u32 v3, v4, 4, v4
	v_add_lshl_u32 v41, v34, v3, 2
	v_and_b32_e32 v3, 1, v4
	v_add_co_u32_e64 v5, s[12:13], -1, v3
	v_addc_co_u32_e64 v34, s[12:13], 0, -1, s[12:13]
	v_cmp_ne_u32_e64 s[12:13], 0, v3
	v_xor_b32_e32 v3, s13, v34
	v_and_b32_e32 v34, exec_hi, v3
	v_lshlrev_b32_e32 v3, 30, v4
	v_xor_b32_e32 v5, s12, v5
	v_cmp_gt_i64_e64 s[12:13], 0, v[2:3]
	v_not_b32_e32 v3, v3
	v_ashrrev_i32_e32 v3, 31, v3
	v_and_b32_e32 v5, exec_lo, v5
	v_xor_b32_e32 v39, s13, v3
	v_xor_b32_e32 v3, s12, v3
	v_and_b32_e32 v5, v5, v3
	v_lshlrev_b32_e32 v3, 29, v4
	v_cmp_gt_i64_e64 s[12:13], 0, v[2:3]
	v_not_b32_e32 v3, v3
	v_ashrrev_i32_e32 v3, 31, v3
	v_and_b32_e32 v34, v34, v39
	v_xor_b32_e32 v39, s13, v3
	v_xor_b32_e32 v3, s12, v3
	v_and_b32_e32 v5, v5, v3
	v_lshlrev_b32_e32 v3, 28, v4
	v_cmp_gt_i64_e64 s[12:13], 0, v[2:3]
	v_not_b32_e32 v3, v3
	v_ashrrev_i32_e32 v3, 31, v3
	v_and_b32_e32 v34, v34, v39
	;; [unrolled: 8-line block ×5, first 2 shown]
	v_xor_b32_e32 v39, s13, v3
	v_xor_b32_e32 v3, s12, v3
	v_and_b32_e32 v5, v5, v3
	v_lshlrev_b32_e32 v3, 24, v4
	v_cmp_gt_i64_e64 s[12:13], 0, v[2:3]
	v_not_b32_e32 v2, v3
	v_ashrrev_i32_e32 v2, 31, v2
	v_xor_b32_e32 v3, s13, v2
	v_xor_b32_e32 v2, s12, v2
	; wave barrier
	ds_read_b32 v37, v41 offset:64
	v_and_b32_e32 v34, v34, v39
	v_and_b32_e32 v2, v5, v2
	;; [unrolled: 1-line block ×3, first 2 shown]
	v_mbcnt_lo_u32_b32 v4, v2, 0
	v_mbcnt_hi_u32_b32 v39, v3, v4
	v_cmp_eq_u32_e64 s[12:13], 0, v39
	v_cmp_ne_u64_e64 s[14:15], 0, v[2:3]
	v_add_u32_e32 v40, 64, v7
	s_and_b64 s[14:15], s[14:15], s[12:13]
	; wave barrier
	s_and_saveexec_b64 s[12:13], s[14:15]
	s_cbranch_execz .LBB1172_25
; %bb.24:
	v_bcnt_u32_b32 v2, v2, 0
	v_bcnt_u32_b32 v2, v3, v2
	s_waitcnt lgkmcnt(0)
	v_add_u32_e32 v2, v37, v2
	ds_write_b32 v41, v2 offset:64
.LBB1172_25:
	s_or_b64 exec, exec, s[12:13]
	; wave barrier
	s_waitcnt lgkmcnt(0)
	s_barrier
	ds_read2_b32 v[4:5], v7 offset0:16 offset1:17
	ds_read2_b32 v[2:3], v40 offset0:2 offset1:3
	ds_read_b32 v34, v40 offset:16
	v_cmp_lt_u32_e64 s[22:23], 31, v6
	s_waitcnt lgkmcnt(1)
	v_add3_u32 v42, v5, v4, v2
	s_waitcnt lgkmcnt(0)
	v_add3_u32 v34, v42, v3, v34
	v_and_b32_e32 v42, 15, v6
	v_cmp_eq_u32_e64 s[12:13], 0, v42
	v_mov_b32_dpp v43, v34 row_shr:1 row_mask:0xf bank_mask:0xf
	v_cndmask_b32_e64 v43, v43, 0, s[12:13]
	v_add_u32_e32 v34, v43, v34
	v_cmp_lt_u32_e64 s[14:15], 1, v42
	v_cmp_lt_u32_e64 s[16:17], 3, v42
	v_mov_b32_dpp v43, v34 row_shr:2 row_mask:0xf bank_mask:0xf
	v_cndmask_b32_e64 v43, 0, v43, s[14:15]
	v_add_u32_e32 v34, v34, v43
	v_cmp_lt_u32_e64 s[18:19], 7, v42
	s_nop 0
	v_mov_b32_dpp v43, v34 row_shr:4 row_mask:0xf bank_mask:0xf
	v_cndmask_b32_e64 v43, 0, v43, s[16:17]
	v_add_u32_e32 v34, v34, v43
	s_nop 1
	v_mov_b32_dpp v43, v34 row_shr:8 row_mask:0xf bank_mask:0xf
	v_cndmask_b32_e64 v42, 0, v43, s[18:19]
	v_add_u32_e32 v34, v34, v42
	v_bfe_i32 v43, v6, 4, 1
	s_nop 0
	v_mov_b32_dpp v42, v34 row_bcast:15 row_mask:0xf bank_mask:0xf
	v_and_b32_e32 v42, v43, v42
	v_add_u32_e32 v34, v34, v42
	v_lshrrev_b32_e32 v43, 6, v8
	s_nop 0
	v_mov_b32_dpp v42, v34 row_bcast:31 row_mask:0xf bank_mask:0xf
	v_cndmask_b32_e64 v42, 0, v42, s[22:23]
	v_add_u32_e32 v42, v34, v42
	v_and_b32_e32 v34, 63, v8
	v_cmp_eq_u32_e64 s[22:23], 63, v34
	s_and_saveexec_b64 s[46:47], s[22:23]
	s_cbranch_execz .LBB1172_27
; %bb.26:
	v_lshlrev_b32_e32 v34, 2, v43
	ds_write_b32 v34, v42
.LBB1172_27:
	s_or_b64 exec, exec, s[46:47]
	v_cmp_gt_u32_e64 s[22:23], 16, v8
	v_lshlrev_b32_e32 v34, 2, v8
	s_waitcnt lgkmcnt(0)
	s_barrier
	s_and_saveexec_b64 s[46:47], s[22:23]
	s_cbranch_execz .LBB1172_29
; %bb.28:
	ds_read_b32 v44, v34
	s_waitcnt lgkmcnt(0)
	s_nop 0
	v_mov_b32_dpp v45, v44 row_shr:1 row_mask:0xf bank_mask:0xf
	v_cndmask_b32_e64 v45, v45, 0, s[12:13]
	v_add_u32_e32 v44, v45, v44
	s_nop 1
	v_mov_b32_dpp v45, v44 row_shr:2 row_mask:0xf bank_mask:0xf
	v_cndmask_b32_e64 v45, 0, v45, s[14:15]
	v_add_u32_e32 v44, v44, v45
	s_nop 1
	v_mov_b32_dpp v45, v44 row_shr:4 row_mask:0xf bank_mask:0xf
	v_cndmask_b32_e64 v45, 0, v45, s[16:17]
	v_add_u32_e32 v44, v44, v45
	s_nop 1
	v_mov_b32_dpp v45, v44 row_shr:8 row_mask:0xf bank_mask:0xf
	v_cndmask_b32_e64 v45, 0, v45, s[18:19]
	v_add_u32_e32 v44, v44, v45
	ds_write_b32 v34, v44
.LBB1172_29:
	s_or_b64 exec, exec, s[46:47]
	v_cmp_lt_u32_e64 s[12:13], 63, v8
	v_mov_b32_e32 v44, 0
	s_waitcnt lgkmcnt(0)
	s_barrier
	s_and_saveexec_b64 s[14:15], s[12:13]
	s_cbranch_execz .LBB1172_31
; %bb.30:
	v_lshl_add_u32 v43, v43, 2, -4
	ds_read_b32 v44, v43
.LBB1172_31:
	s_or_b64 exec, exec, s[14:15]
	v_add_u32_e32 v43, -1, v6
	v_and_b32_e32 v45, 64, v6
	v_cmp_lt_i32_e64 s[12:13], v43, v45
	v_cndmask_b32_e64 v43, v43, v6, s[12:13]
	s_waitcnt lgkmcnt(0)
	v_add_u32_e32 v42, v44, v42
	v_lshlrev_b32_e32 v43, 2, v43
	ds_bpermute_b32 v42, v43, v42
	v_cmp_eq_u32_e64 s[12:13], 0, v6
	s_waitcnt lgkmcnt(0)
	v_cndmask_b32_e64 v6, v42, v44, s[12:13]
	v_cmp_ne_u32_e64 s[12:13], 0, v8
	v_cndmask_b32_e64 v6, 0, v6, s[12:13]
	v_add_u32_e32 v4, v6, v4
	v_add_u32_e32 v5, v4, v5
	;; [unrolled: 1-line block ×4, first 2 shown]
	ds_write2_b32 v7, v6, v4 offset0:16 offset1:17
	ds_write2_b32 v40, v5, v2 offset0:2 offset1:3
	ds_write_b32 v40, v3 offset:16
	s_waitcnt lgkmcnt(0)
	s_barrier
	ds_read_b32 v44, v27 offset:64
	ds_read_b32 v40, v28 offset:64
	;; [unrolled: 1-line block ×6, first 2 shown]
	s_movk_i32 s12, 0x100
	v_cmp_gt_u32_e64 s[12:13], s12, v8
                                        ; implicit-def: $vgpr27
                                        ; implicit-def: $vgpr28
	s_and_saveexec_b64 s[16:17], s[12:13]
	s_cbranch_execz .LBB1172_35
; %bb.32:
	v_mul_u32_u24_e32 v2, 17, v8
	v_lshlrev_b32_e32 v3, 2, v2
	ds_read_b32 v27, v3 offset:64
	s_movk_i32 s14, 0xff
	v_cmp_ne_u32_e64 s[14:15], s14, v8
	v_mov_b32_e32 v2, 0x1800
	s_and_saveexec_b64 s[18:19], s[14:15]
	s_cbranch_execz .LBB1172_34
; %bb.33:
	ds_read_b32 v2, v3 offset:132
.LBB1172_34:
	s_or_b64 exec, exec, s[18:19]
	s_waitcnt lgkmcnt(0)
	v_sub_u32_e32 v28, v2, v27
.LBB1172_35:
	s_or_b64 exec, exec, s[16:17]
	s_waitcnt lgkmcnt(0)
	s_barrier
	s_and_saveexec_b64 s[16:17], s[12:13]
	s_cbranch_execz .LBB1172_45
; %bb.36:
	v_lshl_or_b32 v2, s6, 8, v8
	v_mov_b32_e32 v3, 0
	v_lshlrev_b64 v[4:5], 2, v[2:3]
	v_mov_b32_e32 v31, s35
	v_add_co_u32_e64 v4, s[14:15], s34, v4
	v_addc_co_u32_e64 v5, s[14:15], v31, v5, s[14:15]
	v_or_b32_e32 v2, 2.0, v28
	s_mov_b64 s[18:19], 0
	s_brev_b32 s48, 1
	s_mov_b32 s49, s6
	v_mov_b32_e32 v35, 0
	global_store_dword v[4:5], v2, off
                                        ; implicit-def: $sgpr14_sgpr15
	s_branch .LBB1172_38
.LBB1172_37:                            ;   in Loop: Header=BB1172_38 Depth=1
	s_or_b64 exec, exec, s[22:23]
	v_and_b32_e32 v6, 0x3fffffff, v45
	v_add_u32_e32 v35, v6, v35
	v_cmp_eq_u32_e64 s[14:15], s48, v2
	s_and_b64 s[22:23], exec, s[14:15]
	s_or_b64 s[18:19], s[22:23], s[18:19]
	s_andn2_b64 exec, exec, s[18:19]
	s_cbranch_execz .LBB1172_44
.LBB1172_38:                            ; =>This Loop Header: Depth=1
                                        ;     Child Loop BB1172_41 Depth 2
	s_or_b64 s[14:15], s[14:15], exec
	s_cmp_eq_u32 s49, 0
	s_cbranch_scc1 .LBB1172_43
; %bb.39:                               ;   in Loop: Header=BB1172_38 Depth=1
	s_add_i32 s49, s49, -1
	v_lshl_or_b32 v2, s49, 8, v8
	v_lshlrev_b64 v[6:7], 2, v[2:3]
	v_add_co_u32_e64 v6, s[14:15], s34, v6
	v_addc_co_u32_e64 v7, s[14:15], v31, v7, s[14:15]
	global_load_dword v45, v[6:7], off glc
	s_waitcnt vmcnt(0)
	v_and_b32_e32 v2, -2.0, v45
	v_cmp_eq_u32_e64 s[14:15], 0, v2
	s_and_saveexec_b64 s[22:23], s[14:15]
	s_cbranch_execz .LBB1172_37
; %bb.40:                               ;   in Loop: Header=BB1172_38 Depth=1
	s_mov_b64 s[46:47], 0
.LBB1172_41:                            ;   Parent Loop BB1172_38 Depth=1
                                        ; =>  This Inner Loop Header: Depth=2
	global_load_dword v45, v[6:7], off glc
	s_waitcnt vmcnt(0)
	v_and_b32_e32 v2, -2.0, v45
	v_cmp_ne_u32_e64 s[14:15], 0, v2
	s_or_b64 s[46:47], s[14:15], s[46:47]
	s_andn2_b64 exec, exec, s[46:47]
	s_cbranch_execnz .LBB1172_41
; %bb.42:                               ;   in Loop: Header=BB1172_38 Depth=1
	s_or_b64 exec, exec, s[46:47]
	s_branch .LBB1172_37
.LBB1172_43:                            ;   in Loop: Header=BB1172_38 Depth=1
                                        ; implicit-def: $sgpr49
	s_and_b64 s[22:23], exec, s[14:15]
	s_or_b64 s[18:19], s[22:23], s[18:19]
	s_andn2_b64 exec, exec, s[18:19]
	s_cbranch_execnz .LBB1172_38
.LBB1172_44:
	s_or_b64 exec, exec, s[18:19]
	v_add_u32_e32 v2, v35, v28
	v_or_b32_e32 v2, 0x80000000, v2
	global_store_dword v[4:5], v2, off
	global_load_dword v2, v34, s[36:37]
	v_sub_u32_e32 v3, v35, v27
	s_waitcnt vmcnt(0)
	v_add_u32_e32 v2, v3, v2
	ds_write_b32 v34, v2
.LBB1172_45:
	s_or_b64 exec, exec, s[16:17]
	v_lshlrev_b32_e32 v34, 3, v8
	v_add_u32_e32 v31, v44, v22
	s_movk_i32 s18, 0x400
	v_add_u32_e32 v35, 0x400, v34
	v_add3_u32 v37, v39, v41, v37
	v_add3_u32 v33, v36, v38, v33
	;; [unrolled: 1-line block ×5, first 2 shown]
	s_mov_b32 s19, 0
	v_mov_b32_e32 v23, 0
	v_mov_b32_e32 v29, v8
	s_mov_b32 s22, 0
                                        ; implicit-def: $vgpr2_vgpr3_vgpr4_vgpr5_vgpr6_vgpr7
	s_branch .LBB1172_47
.LBB1172_46:                            ;   in Loop: Header=BB1172_47 Depth=1
	s_or_b64 exec, exec, s[16:17]
	s_addk_i32 s22, 0xf800
	s_add_i32 s19, s19, 2
	s_cmpk_eq_i32 s22, 0xe800
	v_add_u32_e32 v29, 0x800, v29
	s_barrier
	s_cbranch_scc1 .LBB1172_52
.LBB1172_47:                            ; =>This Inner Loop Header: Depth=1
	v_add_u32_e32 v22, s22, v31
	v_min_u32_e32 v22, 0x800, v22
	v_lshlrev_b32_e32 v22, 3, v22
	ds_write_b64 v22, v[10:11] offset:1024
	v_add_u32_e32 v22, s22, v25
	v_min_u32_e32 v22, 0x800, v22
	v_lshlrev_b32_e32 v22, 3, v22
	ds_write_b64 v22, v[12:13] offset:1024
	;; [unrolled: 4-line block ×5, first 2 shown]
	v_add_u32_e32 v22, s22, v37
	v_min_u32_e32 v22, 0x800, v22
	v_lshlrev_b32_e32 v22, 3, v22
	v_cmp_gt_u32_e64 s[14:15], s7, v29
	ds_write_b64 v22, v[20:21] offset:1024
	s_waitcnt lgkmcnt(0)
	s_barrier
	s_and_saveexec_b64 s[16:17], s[14:15]
	s_cbranch_execz .LBB1172_49
; %bb.48:                               ;   in Loop: Header=BB1172_47 Depth=1
	ds_read_b64 v[38:39], v34 offset:1024
	s_cmp_eq_u32 s19, 5
	s_cselect_b64 s[14:15], -1, 0
	v_mov_b32_e32 v32, s27
	s_cmp_eq_u32 s19, 4
	s_waitcnt lgkmcnt(0)
	v_lshrrev_b64 v[40:41], s40, v[38:39]
	v_and_b32_e32 v36, s45, v40
	v_lshlrev_b32_e32 v22, 2, v36
	ds_read_b32 v22, v22
	v_cndmask_b32_e64 v7, v7, v36, s[14:15]
	v_xor_b32_e32 v39, 0x80000000, v39
	s_waitcnt lgkmcnt(0)
	v_add_u32_e32 v22, v29, v22
	v_lshlrev_b64 v[40:41], 3, v[22:23]
	v_add_co_u32_e64 v40, s[14:15], s26, v40
	v_addc_co_u32_e64 v41, s[14:15], v32, v41, s[14:15]
	s_cselect_b64 s[14:15], -1, 0
	s_cmp_eq_u32 s19, 3
	v_cndmask_b32_e64 v6, v6, v36, s[14:15]
	s_cselect_b64 s[14:15], -1, 0
	s_cmp_eq_u32 s19, 2
	v_cndmask_b32_e64 v5, v5, v36, s[14:15]
	s_cselect_b64 s[14:15], -1, 0
	s_cmp_eq_u32 s19, 1
	v_cndmask_b32_e64 v4, v4, v36, s[14:15]
	s_cselect_b64 s[14:15], -1, 0
	s_cmp_eq_u32 s19, 0
	v_cndmask_b32_e64 v3, v3, v36, s[14:15]
	s_cselect_b64 s[14:15], -1, 0
	v_cndmask_b32_e64 v2, v2, v36, s[14:15]
	global_store_dwordx2 v[40:41], v[38:39], off
.LBB1172_49:                            ;   in Loop: Header=BB1172_47 Depth=1
	s_or_b64 exec, exec, s[16:17]
	v_add_u32_e32 v22, 0x400, v29
	v_cmp_gt_u32_e64 s[14:15], s7, v22
	s_and_saveexec_b64 s[16:17], s[14:15]
	s_cbranch_execz .LBB1172_46
; %bb.50:                               ;   in Loop: Header=BB1172_47 Depth=1
	ds_read_b64 v[38:39], v35 offset:8192
	v_mov_b32_e32 v36, s27
	s_add_i32 s23, s19, 1
	s_cmp_eq_u32 s23, 5
	s_waitcnt lgkmcnt(0)
	v_lshrrev_b64 v[40:41], s40, v[38:39]
	v_and_b32_e32 v32, s45, v40
	v_lshlrev_b32_e32 v22, 2, v32
	ds_read_b32 v22, v22
	v_xor_b32_e32 v39, 0x80000000, v39
	s_waitcnt lgkmcnt(0)
	v_add3_u32 v22, v29, v22, s18
	v_lshlrev_b64 v[40:41], 3, v[22:23]
	v_add_co_u32_e64 v40, s[14:15], s26, v40
	v_addc_co_u32_e64 v41, s[14:15], v36, v41, s[14:15]
	s_cselect_b64 s[14:15], -1, 0
	s_cmp_eq_u32 s23, 4
	v_cndmask_b32_e64 v7, v7, v32, s[14:15]
	s_cselect_b64 s[14:15], -1, 0
	s_cmp_eq_u32 s23, 3
	v_cndmask_b32_e64 v6, v6, v32, s[14:15]
	;; [unrolled: 3-line block ×5, first 2 shown]
	s_cselect_b64 s[14:15], -1, 0
	v_cndmask_b32_e64 v2, v2, v32, s[14:15]
	global_store_dwordx2 v[40:41], v[38:39], off
	s_branch .LBB1172_46
.LBB1172_51:
	s_mov_b64 s[10:11], 0
                                        ; implicit-def: $vgpr2
                                        ; implicit-def: $vgpr8
	s_cbranch_execnz .LBB1172_68
	s_branch .LBB1172_107
.LBB1172_52:
	s_add_u32 s14, s28, s42
	s_addc_u32 s15, s29, s43
	v_mov_b32_e32 v10, s15
	v_add_co_u32_e64 v9, s[14:15], s14, v9
	v_addc_co_u32_e64 v10, s[14:15], 0, v10, s[14:15]
	v_add_co_u32_e64 v22, s[14:15], v9, v24
	v_addc_co_u32_e64 v23, s[14:15], 0, v10, s[14:15]
                                        ; implicit-def: $vgpr10_vgpr11
	s_and_saveexec_b64 s[14:15], vcc
	s_cbranch_execnz .LBB1172_110
; %bb.53:
	s_or_b64 exec, exec, s[14:15]
                                        ; implicit-def: $vgpr12_vgpr13
	s_and_saveexec_b64 s[14:15], s[0:1]
	s_cbranch_execnz .LBB1172_111
.LBB1172_54:
	s_or_b64 exec, exec, s[14:15]
                                        ; implicit-def: $vgpr14_vgpr15
	s_and_saveexec_b64 s[0:1], s[2:3]
	s_cbranch_execnz .LBB1172_112
.LBB1172_55:
	s_or_b64 exec, exec, s[0:1]
                                        ; implicit-def: $vgpr16_vgpr17
	s_and_saveexec_b64 s[0:1], s[20:21]
	s_cbranch_execnz .LBB1172_113
.LBB1172_56:
	s_or_b64 exec, exec, s[0:1]
                                        ; implicit-def: $vgpr18_vgpr19
	s_and_saveexec_b64 s[0:1], s[8:9]
	s_cbranch_execnz .LBB1172_114
.LBB1172_57:
	s_or_b64 exec, exec, s[0:1]
                                        ; implicit-def: $vgpr20_vgpr21
	s_and_saveexec_b64 s[0:1], s[10:11]
	s_cbranch_execz .LBB1172_59
.LBB1172_58:
	global_load_dwordx2 v[20:21], v[22:23], off offset:2560
.LBB1172_59:
	s_or_b64 exec, exec, s[0:1]
	s_mov_b32 s2, 0
	v_mov_b32_e32 v23, 0
	s_movk_i32 s3, 0x400
	s_mov_b32 s8, 0
	v_mov_b32_e32 v9, v8
	s_waitcnt vmcnt(0)
	s_branch .LBB1172_61
.LBB1172_60:                            ;   in Loop: Header=BB1172_61 Depth=1
	s_or_b64 exec, exec, s[0:1]
	s_addk_i32 s8, 0xf800
	s_add_i32 s2, s2, 2
	s_cmpk_eq_i32 s8, 0xe800
	v_add_u32_e32 v9, 0x800, v9
	s_barrier
	s_cbranch_scc1 .LBB1172_65
.LBB1172_61:                            ; =>This Inner Loop Header: Depth=1
	v_add_u32_e32 v22, s8, v31
	v_min_u32_e32 v22, 0x800, v22
	v_lshlrev_b32_e32 v22, 3, v22
	ds_write_b64 v22, v[10:11] offset:1024
	v_add_u32_e32 v22, s8, v25
	v_min_u32_e32 v22, 0x800, v22
	v_lshlrev_b32_e32 v22, 3, v22
	ds_write_b64 v22, v[12:13] offset:1024
	;; [unrolled: 4-line block ×5, first 2 shown]
	v_add_u32_e32 v22, s8, v37
	v_min_u32_e32 v22, 0x800, v22
	v_lshlrev_b32_e32 v22, 3, v22
	v_cmp_gt_u32_e32 vcc, s7, v9
	ds_write_b64 v22, v[20:21] offset:1024
	s_waitcnt lgkmcnt(0)
	s_barrier
	s_and_saveexec_b64 s[0:1], vcc
	s_cbranch_execz .LBB1172_63
; %bb.62:                               ;   in Loop: Header=BB1172_61 Depth=1
	s_cmp_eq_u32 s2, 1
	s_cselect_b64 vcc, -1, 0
	s_cmp_eq_u32 s2, 2
	v_cndmask_b32_e32 v22, v2, v3, vcc
	s_cselect_b64 vcc, -1, 0
	s_cmp_eq_u32 s2, 3
	v_cndmask_b32_e32 v22, v22, v4, vcc
	;; [unrolled: 3-line block ×4, first 2 shown]
	s_cselect_b64 vcc, -1, 0
	v_cndmask_b32_e32 v22, v22, v7, vcc
	v_lshlrev_b32_e32 v22, 2, v22
	ds_read_b32 v22, v22
	ds_read_b64 v[38:39], v34 offset:1024
	s_waitcnt lgkmcnt(1)
	v_add_u32_e32 v22, v9, v22
	v_lshlrev_b64 v[40:41], 3, v[22:23]
	v_mov_b32_e32 v22, s31
	v_add_co_u32_e32 v40, vcc, s30, v40
	v_addc_co_u32_e32 v41, vcc, v22, v41, vcc
	s_waitcnt lgkmcnt(0)
	global_store_dwordx2 v[40:41], v[38:39], off
.LBB1172_63:                            ;   in Loop: Header=BB1172_61 Depth=1
	s_or_b64 exec, exec, s[0:1]
	v_add_u32_e32 v22, 0x400, v9
	v_cmp_gt_u32_e32 vcc, s7, v22
	s_and_saveexec_b64 s[0:1], vcc
	s_cbranch_execz .LBB1172_60
; %bb.64:                               ;   in Loop: Header=BB1172_61 Depth=1
	s_add_i32 s9, s2, 1
	s_cmp_eq_u32 s9, 1
	s_cselect_b64 vcc, -1, 0
	s_cmp_eq_u32 s9, 2
	v_cndmask_b32_e32 v22, v2, v3, vcc
	s_cselect_b64 vcc, -1, 0
	s_cmp_eq_u32 s9, 3
	v_cndmask_b32_e32 v22, v22, v4, vcc
	;; [unrolled: 3-line block ×4, first 2 shown]
	s_cselect_b64 vcc, -1, 0
	v_cndmask_b32_e32 v22, v22, v7, vcc
	v_lshlrev_b32_e32 v22, 2, v22
	ds_read_b32 v22, v22
	ds_read_b64 v[38:39], v35 offset:8192
	s_waitcnt lgkmcnt(1)
	v_add3_u32 v22, v9, v22, s3
	v_lshlrev_b64 v[40:41], 3, v[22:23]
	v_mov_b32_e32 v22, s31
	v_add_co_u32_e32 v40, vcc, s30, v40
	v_addc_co_u32_e32 v41, vcc, v22, v41, vcc
	s_waitcnt lgkmcnt(0)
	global_store_dwordx2 v[40:41], v[38:39], off
	s_branch .LBB1172_60
.LBB1172_65:
	s_add_i32 s33, s33, -1
	s_cmp_eq_u32 s33, s6
	s_cselect_b64 s[0:1], -1, 0
	s_and_b64 s[2:3], s[12:13], s[0:1]
	s_mov_b64 s[0:1], 0
	s_mov_b64 s[10:11], 0
                                        ; implicit-def: $vgpr2
	s_and_saveexec_b64 s[8:9], s[2:3]
	s_xor_b64 s[2:3], exec, s[8:9]
; %bb.66:
	s_mov_b64 s[10:11], exec
	v_add_u32_e32 v2, v27, v28
; %bb.67:
	s_or_b64 exec, exec, s[2:3]
	s_and_b64 vcc, exec, s[0:1]
	s_cbranch_vccz .LBB1172_107
.LBB1172_68:
	s_mov_b32 s45, 0
	v_mbcnt_hi_u32_b32 v18, -1, v1
	s_lshl_b64 s[12:13], s[44:45], 3
	v_and_b32_e32 v1, 63, v18
	s_add_u32 s0, s24, s12
	v_lshlrev_b32_e32 v9, 3, v1
	v_add_co_u32_e32 v3, vcc, s0, v9
	s_load_dword s7, s[4:5], 0x58
	s_load_dword s0, s[4:5], 0x64
	v_and_b32_e32 v8, 0x3ff, v0
	s_addc_u32 s1, s25, s13
	v_and_b32_e32 v2, 0x3c0, v8
	v_mul_u32_u24_e32 v2, 6, v2
	v_mov_b32_e32 v1, s1
	v_addc_co_u32_e32 v1, vcc, 0, v1, vcc
	v_lshlrev_b32_e32 v20, 3, v2
	s_add_u32 s1, s4, 0x58
	v_add_co_u32_e32 v16, vcc, v3, v20
	s_addc_u32 s2, s5, 0
	s_waitcnt lgkmcnt(0)
	s_lshr_b32 s3, s0, 16
	v_addc_co_u32_e32 v17, vcc, 0, v1, vcc
	s_cmp_lt_u32 s6, s7
	global_load_dwordx2 v[2:3], v[16:17], off
	s_cselect_b32 s0, 12, 18
	s_add_u32 s0, s1, s0
	v_mov_b32_e32 v14, 0
	s_addc_u32 s1, s2, 0
	global_load_ushort v15, v14, s[0:1]
	v_mul_u32_u24_e32 v4, 5, v8
	v_lshlrev_b32_e32 v19, 2, v4
	v_bfe_u32 v1, v0, 10, 10
	v_bfe_u32 v0, v0, 20, 10
	ds_write2_b32 v19, v14, v14 offset0:16 offset1:17
	ds_write2_b32 v19, v14, v14 offset0:18 offset1:19
	ds_write_b32 v19, v14 offset:80
	v_mad_u32_u24 v21, v0, s3, v1
	global_load_dwordx2 v[0:1], v[16:17], off offset:512
	global_load_dwordx2 v[4:5], v[16:17], off offset:1024
	;; [unrolled: 1-line block ×5, first 2 shown]
	s_lshl_b32 s0, -1, s41
	s_not_b32 s16, s0
	s_waitcnt lgkmcnt(0)
	s_barrier
	s_waitcnt lgkmcnt(0)
	; wave barrier
	s_waitcnt vmcnt(6)
	v_xor_b32_e32 v3, 0x80000000, v3
	v_lshrrev_b64 v[16:17], s40, v[2:3]
	v_and_b32_e32 v22, s16, v16
	s_waitcnt vmcnt(5)
	v_mad_u64_u32 v[16:17], s[0:1], v21, v15, v[8:9]
	v_and_b32_e32 v21, 1, v22
	v_lshrrev_b32_e32 v29, 6, v16
	v_add_co_u32_e32 v16, vcc, -1, v21
	v_lshlrev_b32_e32 v15, 30, v22
	v_addc_co_u32_e64 v24, s[0:1], 0, -1, vcc
	v_lshl_add_u32 v17, v22, 4, v22
	v_cmp_ne_u32_e32 vcc, 0, v21
	v_cmp_gt_i64_e64 s[0:1], 0, v[14:15]
	v_not_b32_e32 v21, v15
	v_lshlrev_b32_e32 v15, 29, v22
	v_add_lshl_u32 v23, v29, v17, 2
	v_xor_b32_e32 v17, vcc_hi, v24
	v_xor_b32_e32 v16, vcc_lo, v16
	v_ashrrev_i32_e32 v21, 31, v21
	v_cmp_gt_i64_e32 vcc, 0, v[14:15]
	v_not_b32_e32 v24, v15
	v_lshlrev_b32_e32 v15, 28, v22
	v_and_b32_e32 v17, exec_hi, v17
	v_and_b32_e32 v16, exec_lo, v16
	v_xor_b32_e32 v25, s1, v21
	v_xor_b32_e32 v21, s0, v21
	v_ashrrev_i32_e32 v24, 31, v24
	v_cmp_gt_i64_e64 s[0:1], 0, v[14:15]
	v_not_b32_e32 v26, v15
	v_lshlrev_b32_e32 v15, 27, v22
	v_and_b32_e32 v17, v17, v25
	v_and_b32_e32 v16, v16, v21
	v_xor_b32_e32 v21, vcc_hi, v24
	v_xor_b32_e32 v24, vcc_lo, v24
	v_ashrrev_i32_e32 v25, 31, v26
	v_cmp_gt_i64_e32 vcc, 0, v[14:15]
	v_not_b32_e32 v15, v15
	v_and_b32_e32 v17, v17, v21
	v_and_b32_e32 v16, v16, v24
	v_xor_b32_e32 v21, s1, v25
	v_xor_b32_e32 v24, s0, v25
	v_ashrrev_i32_e32 v15, 31, v15
	v_and_b32_e32 v17, v17, v21
	v_and_b32_e32 v16, v16, v24
	v_xor_b32_e32 v21, vcc_hi, v15
	v_xor_b32_e32 v15, vcc_lo, v15
	v_and_b32_e32 v16, v16, v15
	v_lshlrev_b32_e32 v15, 26, v22
	v_cmp_gt_i64_e32 vcc, 0, v[14:15]
	v_not_b32_e32 v15, v15
	v_ashrrev_i32_e32 v15, 31, v15
	v_and_b32_e32 v17, v17, v21
	v_xor_b32_e32 v21, vcc_hi, v15
	v_xor_b32_e32 v15, vcc_lo, v15
	v_and_b32_e32 v16, v16, v15
	v_lshlrev_b32_e32 v15, 25, v22
	v_cmp_gt_i64_e32 vcc, 0, v[14:15]
	v_not_b32_e32 v15, v15
	v_ashrrev_i32_e32 v15, 31, v15
	;; [unrolled: 8-line block ×3, first 2 shown]
	v_and_b32_e32 v17, v17, v21
	v_xor_b32_e32 v21, vcc_hi, v15
	v_xor_b32_e32 v15, vcc_lo, v15
	v_and_b32_e32 v16, v16, v15
	v_and_b32_e32 v17, v17, v21
	v_mbcnt_lo_u32_b32 v15, v16, 0
	v_mbcnt_hi_u32_b32 v21, v17, v15
	v_cmp_eq_u32_e32 vcc, 0, v21
	v_cmp_ne_u64_e64 s[0:1], 0, v[16:17]
	s_and_b64 s[2:3], s[0:1], vcc
	s_and_saveexec_b64 s[0:1], s[2:3]
	s_cbranch_execz .LBB1172_70
; %bb.69:
	v_bcnt_u32_b32 v15, v16, 0
	v_bcnt_u32_b32 v15, v17, v15
	ds_write_b32 v23, v15 offset:64
.LBB1172_70:
	s_or_b64 exec, exec, s[0:1]
	s_waitcnt vmcnt(4)
	v_xor_b32_e32 v1, 0x80000000, v1
	v_lshrrev_b64 v[16:17], s40, v[0:1]
	v_and_b32_e32 v16, s16, v16
	v_lshl_add_u32 v15, v16, 4, v16
	v_add_lshl_u32 v26, v29, v15, 2
	v_and_b32_e32 v15, 1, v16
	v_add_co_u32_e32 v17, vcc, -1, v15
	v_addc_co_u32_e64 v24, s[0:1], 0, -1, vcc
	v_cmp_ne_u32_e32 vcc, 0, v15
	v_xor_b32_e32 v15, vcc_hi, v24
	v_and_b32_e32 v24, exec_hi, v15
	v_lshlrev_b32_e32 v15, 30, v16
	v_xor_b32_e32 v17, vcc_lo, v17
	v_cmp_gt_i64_e32 vcc, 0, v[14:15]
	v_not_b32_e32 v15, v15
	v_ashrrev_i32_e32 v15, 31, v15
	v_and_b32_e32 v17, exec_lo, v17
	v_xor_b32_e32 v25, vcc_hi, v15
	v_xor_b32_e32 v15, vcc_lo, v15
	v_and_b32_e32 v17, v17, v15
	v_lshlrev_b32_e32 v15, 29, v16
	v_cmp_gt_i64_e32 vcc, 0, v[14:15]
	v_not_b32_e32 v15, v15
	v_ashrrev_i32_e32 v15, 31, v15
	v_and_b32_e32 v24, v24, v25
	v_xor_b32_e32 v25, vcc_hi, v15
	v_xor_b32_e32 v15, vcc_lo, v15
	v_and_b32_e32 v17, v17, v15
	v_lshlrev_b32_e32 v15, 28, v16
	v_cmp_gt_i64_e32 vcc, 0, v[14:15]
	v_not_b32_e32 v15, v15
	v_ashrrev_i32_e32 v15, 31, v15
	v_and_b32_e32 v24, v24, v25
	;; [unrolled: 8-line block ×5, first 2 shown]
	v_xor_b32_e32 v25, vcc_hi, v15
	v_xor_b32_e32 v15, vcc_lo, v15
	v_and_b32_e32 v17, v17, v15
	v_lshlrev_b32_e32 v15, 24, v16
	v_cmp_gt_i64_e32 vcc, 0, v[14:15]
	v_not_b32_e32 v14, v15
	v_ashrrev_i32_e32 v14, 31, v14
	v_xor_b32_e32 v15, vcc_hi, v14
	v_xor_b32_e32 v14, vcc_lo, v14
	; wave barrier
	ds_read_b32 v22, v26 offset:64
	v_and_b32_e32 v24, v24, v25
	v_and_b32_e32 v14, v17, v14
	;; [unrolled: 1-line block ×3, first 2 shown]
	v_mbcnt_lo_u32_b32 v16, v14, 0
	v_mbcnt_hi_u32_b32 v24, v15, v16
	v_cmp_eq_u32_e32 vcc, 0, v24
	v_cmp_ne_u64_e64 s[0:1], 0, v[14:15]
	s_and_b64 s[2:3], s[0:1], vcc
	; wave barrier
	s_and_saveexec_b64 s[0:1], s[2:3]
	s_cbranch_execz .LBB1172_72
; %bb.71:
	v_bcnt_u32_b32 v14, v14, 0
	v_bcnt_u32_b32 v14, v15, v14
	s_waitcnt lgkmcnt(0)
	v_add_u32_e32 v14, v22, v14
	ds_write_b32 v26, v14 offset:64
.LBB1172_72:
	s_or_b64 exec, exec, s[0:1]
	s_waitcnt vmcnt(3)
	v_xor_b32_e32 v5, 0x80000000, v5
	v_lshrrev_b64 v[14:15], s40, v[4:5]
	v_and_b32_e32 v16, s16, v14
	v_and_b32_e32 v15, 1, v16
	v_add_co_u32_e32 v17, vcc, -1, v15
	v_addc_co_u32_e64 v27, s[0:1], 0, -1, vcc
	v_cmp_ne_u32_e32 vcc, 0, v15
	v_lshl_add_u32 v14, v16, 4, v16
	v_xor_b32_e32 v15, vcc_hi, v27
	v_add_lshl_u32 v30, v29, v14, 2
	v_mov_b32_e32 v14, 0
	v_and_b32_e32 v27, exec_hi, v15
	v_lshlrev_b32_e32 v15, 30, v16
	v_xor_b32_e32 v17, vcc_lo, v17
	v_cmp_gt_i64_e32 vcc, 0, v[14:15]
	v_not_b32_e32 v15, v15
	v_ashrrev_i32_e32 v15, 31, v15
	v_and_b32_e32 v17, exec_lo, v17
	v_xor_b32_e32 v28, vcc_hi, v15
	v_xor_b32_e32 v15, vcc_lo, v15
	v_and_b32_e32 v17, v17, v15
	v_lshlrev_b32_e32 v15, 29, v16
	v_cmp_gt_i64_e32 vcc, 0, v[14:15]
	v_not_b32_e32 v15, v15
	v_ashrrev_i32_e32 v15, 31, v15
	v_and_b32_e32 v27, v27, v28
	v_xor_b32_e32 v28, vcc_hi, v15
	v_xor_b32_e32 v15, vcc_lo, v15
	v_and_b32_e32 v17, v17, v15
	v_lshlrev_b32_e32 v15, 28, v16
	v_cmp_gt_i64_e32 vcc, 0, v[14:15]
	v_not_b32_e32 v15, v15
	v_ashrrev_i32_e32 v15, 31, v15
	v_and_b32_e32 v27, v27, v28
	;; [unrolled: 8-line block ×5, first 2 shown]
	v_xor_b32_e32 v28, vcc_hi, v15
	v_xor_b32_e32 v15, vcc_lo, v15
	v_and_b32_e32 v27, v27, v28
	v_and_b32_e32 v28, v17, v15
	v_lshlrev_b32_e32 v15, 24, v16
	v_cmp_gt_i64_e32 vcc, 0, v[14:15]
	v_not_b32_e32 v15, v15
	v_ashrrev_i32_e32 v15, 31, v15
	v_xor_b32_e32 v16, vcc_hi, v15
	v_xor_b32_e32 v15, vcc_lo, v15
	; wave barrier
	ds_read_b32 v25, v30 offset:64
	v_and_b32_e32 v17, v27, v16
	v_and_b32_e32 v16, v28, v15
	v_mbcnt_lo_u32_b32 v15, v16, 0
	v_mbcnt_hi_u32_b32 v27, v17, v15
	v_cmp_eq_u32_e32 vcc, 0, v27
	v_cmp_ne_u64_e64 s[0:1], 0, v[16:17]
	s_and_b64 s[2:3], s[0:1], vcc
	; wave barrier
	s_and_saveexec_b64 s[0:1], s[2:3]
	s_cbranch_execz .LBB1172_74
; %bb.73:
	v_bcnt_u32_b32 v15, v16, 0
	v_bcnt_u32_b32 v15, v17, v15
	s_waitcnt lgkmcnt(0)
	v_add_u32_e32 v15, v25, v15
	ds_write_b32 v30, v15 offset:64
.LBB1172_74:
	s_or_b64 exec, exec, s[0:1]
	s_waitcnt vmcnt(2)
	v_xor_b32_e32 v7, 0x80000000, v7
	v_lshrrev_b64 v[16:17], s40, v[6:7]
	v_and_b32_e32 v16, s16, v16
	v_lshl_add_u32 v15, v16, 4, v16
	v_add_lshl_u32 v33, v29, v15, 2
	v_and_b32_e32 v15, 1, v16
	v_add_co_u32_e32 v17, vcc, -1, v15
	v_addc_co_u32_e64 v31, s[0:1], 0, -1, vcc
	v_cmp_ne_u32_e32 vcc, 0, v15
	v_xor_b32_e32 v15, vcc_hi, v31
	v_and_b32_e32 v31, exec_hi, v15
	v_lshlrev_b32_e32 v15, 30, v16
	v_xor_b32_e32 v17, vcc_lo, v17
	v_cmp_gt_i64_e32 vcc, 0, v[14:15]
	v_not_b32_e32 v15, v15
	v_ashrrev_i32_e32 v15, 31, v15
	v_and_b32_e32 v17, exec_lo, v17
	v_xor_b32_e32 v32, vcc_hi, v15
	v_xor_b32_e32 v15, vcc_lo, v15
	v_and_b32_e32 v17, v17, v15
	v_lshlrev_b32_e32 v15, 29, v16
	v_cmp_gt_i64_e32 vcc, 0, v[14:15]
	v_not_b32_e32 v15, v15
	v_ashrrev_i32_e32 v15, 31, v15
	v_and_b32_e32 v31, v31, v32
	v_xor_b32_e32 v32, vcc_hi, v15
	v_xor_b32_e32 v15, vcc_lo, v15
	v_and_b32_e32 v17, v17, v15
	v_lshlrev_b32_e32 v15, 28, v16
	v_cmp_gt_i64_e32 vcc, 0, v[14:15]
	v_not_b32_e32 v15, v15
	v_ashrrev_i32_e32 v15, 31, v15
	v_and_b32_e32 v31, v31, v32
	v_xor_b32_e32 v32, vcc_hi, v15
	v_xor_b32_e32 v15, vcc_lo, v15
	v_and_b32_e32 v17, v17, v15
	v_lshlrev_b32_e32 v15, 27, v16
	v_cmp_gt_i64_e32 vcc, 0, v[14:15]
	v_not_b32_e32 v15, v15
	v_ashrrev_i32_e32 v15, 31, v15
	v_and_b32_e32 v31, v31, v32
	v_xor_b32_e32 v32, vcc_hi, v15
	v_xor_b32_e32 v15, vcc_lo, v15
	v_and_b32_e32 v17, v17, v15
	v_lshlrev_b32_e32 v15, 26, v16
	v_cmp_gt_i64_e32 vcc, 0, v[14:15]
	v_not_b32_e32 v15, v15
	v_ashrrev_i32_e32 v15, 31, v15
	v_and_b32_e32 v31, v31, v32
	v_xor_b32_e32 v32, vcc_hi, v15
	v_xor_b32_e32 v15, vcc_lo, v15
	v_and_b32_e32 v17, v17, v15
	v_lshlrev_b32_e32 v15, 25, v16
	v_cmp_gt_i64_e32 vcc, 0, v[14:15]
	v_not_b32_e32 v15, v15
	v_ashrrev_i32_e32 v15, 31, v15
	v_and_b32_e32 v31, v31, v32
	v_xor_b32_e32 v32, vcc_hi, v15
	v_xor_b32_e32 v15, vcc_lo, v15
	v_and_b32_e32 v17, v17, v15
	v_lshlrev_b32_e32 v15, 24, v16
	v_cmp_gt_i64_e32 vcc, 0, v[14:15]
	v_not_b32_e32 v14, v15
	v_ashrrev_i32_e32 v14, 31, v14
	v_xor_b32_e32 v15, vcc_hi, v14
	v_xor_b32_e32 v14, vcc_lo, v14
	; wave barrier
	ds_read_b32 v28, v33 offset:64
	v_and_b32_e32 v31, v31, v32
	v_and_b32_e32 v14, v17, v14
	;; [unrolled: 1-line block ×3, first 2 shown]
	v_mbcnt_lo_u32_b32 v16, v14, 0
	v_mbcnt_hi_u32_b32 v31, v15, v16
	v_cmp_eq_u32_e32 vcc, 0, v31
	v_cmp_ne_u64_e64 s[0:1], 0, v[14:15]
	s_and_b64 s[2:3], s[0:1], vcc
	; wave barrier
	s_and_saveexec_b64 s[0:1], s[2:3]
	s_cbranch_execz .LBB1172_76
; %bb.75:
	v_bcnt_u32_b32 v14, v14, 0
	v_bcnt_u32_b32 v14, v15, v14
	s_waitcnt lgkmcnt(0)
	v_add_u32_e32 v14, v28, v14
	ds_write_b32 v33, v14 offset:64
.LBB1172_76:
	s_or_b64 exec, exec, s[0:1]
	s_waitcnt vmcnt(1)
	v_xor_b32_e32 v11, 0x80000000, v11
	v_lshrrev_b64 v[14:15], s40, v[10:11]
	v_and_b32_e32 v16, s16, v14
	v_and_b32_e32 v15, 1, v16
	v_add_co_u32_e32 v17, vcc, -1, v15
	v_addc_co_u32_e64 v34, s[0:1], 0, -1, vcc
	v_cmp_ne_u32_e32 vcc, 0, v15
	v_lshl_add_u32 v14, v16, 4, v16
	v_xor_b32_e32 v15, vcc_hi, v34
	v_add_lshl_u32 v35, v29, v14, 2
	v_mov_b32_e32 v14, 0
	v_and_b32_e32 v34, exec_hi, v15
	v_lshlrev_b32_e32 v15, 30, v16
	v_xor_b32_e32 v17, vcc_lo, v17
	v_cmp_gt_i64_e32 vcc, 0, v[14:15]
	v_not_b32_e32 v15, v15
	v_ashrrev_i32_e32 v15, 31, v15
	v_and_b32_e32 v17, exec_lo, v17
	v_xor_b32_e32 v36, vcc_hi, v15
	v_xor_b32_e32 v15, vcc_lo, v15
	v_and_b32_e32 v17, v17, v15
	v_lshlrev_b32_e32 v15, 29, v16
	v_cmp_gt_i64_e32 vcc, 0, v[14:15]
	v_not_b32_e32 v15, v15
	v_ashrrev_i32_e32 v15, 31, v15
	v_and_b32_e32 v34, v34, v36
	v_xor_b32_e32 v36, vcc_hi, v15
	v_xor_b32_e32 v15, vcc_lo, v15
	v_and_b32_e32 v17, v17, v15
	v_lshlrev_b32_e32 v15, 28, v16
	v_cmp_gt_i64_e32 vcc, 0, v[14:15]
	v_not_b32_e32 v15, v15
	v_ashrrev_i32_e32 v15, 31, v15
	v_and_b32_e32 v34, v34, v36
	v_xor_b32_e32 v36, vcc_hi, v15
	v_xor_b32_e32 v15, vcc_lo, v15
	v_and_b32_e32 v17, v17, v15
	v_lshlrev_b32_e32 v15, 27, v16
	v_cmp_gt_i64_e32 vcc, 0, v[14:15]
	v_not_b32_e32 v15, v15
	v_ashrrev_i32_e32 v15, 31, v15
	v_and_b32_e32 v34, v34, v36
	v_xor_b32_e32 v36, vcc_hi, v15
	v_xor_b32_e32 v15, vcc_lo, v15
	v_and_b32_e32 v17, v17, v15
	v_lshlrev_b32_e32 v15, 26, v16
	v_cmp_gt_i64_e32 vcc, 0, v[14:15]
	v_not_b32_e32 v15, v15
	v_ashrrev_i32_e32 v15, 31, v15
	v_and_b32_e32 v34, v34, v36
	v_xor_b32_e32 v36, vcc_hi, v15
	v_xor_b32_e32 v15, vcc_lo, v15
	v_and_b32_e32 v17, v17, v15
	v_lshlrev_b32_e32 v15, 25, v16
	v_cmp_gt_i64_e32 vcc, 0, v[14:15]
	v_not_b32_e32 v15, v15
	v_ashrrev_i32_e32 v15, 31, v15
	v_and_b32_e32 v34, v34, v36
	v_xor_b32_e32 v36, vcc_hi, v15
	v_xor_b32_e32 v15, vcc_lo, v15
	v_and_b32_e32 v34, v34, v36
	v_and_b32_e32 v36, v17, v15
	v_lshlrev_b32_e32 v15, 24, v16
	v_cmp_gt_i64_e32 vcc, 0, v[14:15]
	v_not_b32_e32 v15, v15
	v_ashrrev_i32_e32 v15, 31, v15
	v_xor_b32_e32 v16, vcc_hi, v15
	v_xor_b32_e32 v15, vcc_lo, v15
	; wave barrier
	ds_read_b32 v32, v35 offset:64
	v_and_b32_e32 v17, v34, v16
	v_and_b32_e32 v16, v36, v15
	v_mbcnt_lo_u32_b32 v15, v16, 0
	v_mbcnt_hi_u32_b32 v34, v17, v15
	v_cmp_eq_u32_e32 vcc, 0, v34
	v_cmp_ne_u64_e64 s[0:1], 0, v[16:17]
	s_and_b64 s[2:3], s[0:1], vcc
	; wave barrier
	s_and_saveexec_b64 s[0:1], s[2:3]
	s_cbranch_execz .LBB1172_78
; %bb.77:
	v_bcnt_u32_b32 v15, v16, 0
	v_bcnt_u32_b32 v15, v17, v15
	s_waitcnt lgkmcnt(0)
	v_add_u32_e32 v15, v32, v15
	ds_write_b32 v35, v15 offset:64
.LBB1172_78:
	s_or_b64 exec, exec, s[0:1]
	s_waitcnt vmcnt(0)
	v_xor_b32_e32 v13, 0x80000000, v13
	v_lshrrev_b64 v[16:17], s40, v[12:13]
	v_and_b32_e32 v16, s16, v16
	v_lshl_add_u32 v15, v16, 4, v16
	v_add_lshl_u32 v39, v29, v15, 2
	v_and_b32_e32 v15, 1, v16
	v_add_co_u32_e32 v17, vcc, -1, v15
	v_addc_co_u32_e64 v36, s[0:1], 0, -1, vcc
	v_cmp_ne_u32_e32 vcc, 0, v15
	v_xor_b32_e32 v15, vcc_hi, v36
	v_and_b32_e32 v36, exec_hi, v15
	v_lshlrev_b32_e32 v15, 30, v16
	v_xor_b32_e32 v17, vcc_lo, v17
	v_cmp_gt_i64_e32 vcc, 0, v[14:15]
	v_not_b32_e32 v15, v15
	v_ashrrev_i32_e32 v15, 31, v15
	v_and_b32_e32 v17, exec_lo, v17
	v_xor_b32_e32 v37, vcc_hi, v15
	v_xor_b32_e32 v15, vcc_lo, v15
	v_and_b32_e32 v17, v17, v15
	v_lshlrev_b32_e32 v15, 29, v16
	v_cmp_gt_i64_e32 vcc, 0, v[14:15]
	v_not_b32_e32 v15, v15
	v_ashrrev_i32_e32 v15, 31, v15
	v_and_b32_e32 v36, v36, v37
	v_xor_b32_e32 v37, vcc_hi, v15
	v_xor_b32_e32 v15, vcc_lo, v15
	v_and_b32_e32 v17, v17, v15
	v_lshlrev_b32_e32 v15, 28, v16
	v_cmp_gt_i64_e32 vcc, 0, v[14:15]
	v_not_b32_e32 v15, v15
	v_ashrrev_i32_e32 v15, 31, v15
	v_and_b32_e32 v36, v36, v37
	;; [unrolled: 8-line block ×5, first 2 shown]
	v_xor_b32_e32 v37, vcc_hi, v15
	v_xor_b32_e32 v15, vcc_lo, v15
	v_and_b32_e32 v17, v17, v15
	v_lshlrev_b32_e32 v15, 24, v16
	v_cmp_gt_i64_e32 vcc, 0, v[14:15]
	v_not_b32_e32 v14, v15
	v_ashrrev_i32_e32 v14, 31, v14
	v_xor_b32_e32 v15, vcc_hi, v14
	v_xor_b32_e32 v14, vcc_lo, v14
	; wave barrier
	ds_read_b32 v29, v39 offset:64
	v_and_b32_e32 v36, v36, v37
	v_and_b32_e32 v14, v17, v14
	;; [unrolled: 1-line block ×3, first 2 shown]
	v_mbcnt_lo_u32_b32 v16, v14, 0
	v_mbcnt_hi_u32_b32 v36, v15, v16
	v_cmp_eq_u32_e32 vcc, 0, v36
	v_cmp_ne_u64_e64 s[0:1], 0, v[14:15]
	v_add_u32_e32 v38, 64, v19
	s_and_b64 s[2:3], s[0:1], vcc
	; wave barrier
	s_and_saveexec_b64 s[0:1], s[2:3]
	s_cbranch_execz .LBB1172_80
; %bb.79:
	v_bcnt_u32_b32 v14, v14, 0
	v_bcnt_u32_b32 v14, v15, v14
	s_waitcnt lgkmcnt(0)
	v_add_u32_e32 v14, v29, v14
	ds_write_b32 v39, v14 offset:64
.LBB1172_80:
	s_or_b64 exec, exec, s[0:1]
	; wave barrier
	s_waitcnt lgkmcnt(0)
	s_barrier
	ds_read2_b32 v[16:17], v19 offset0:16 offset1:17
	ds_read2_b32 v[14:15], v38 offset0:2 offset1:3
	ds_read_b32 v37, v38 offset:16
	v_cmp_lt_u32_e64 s[8:9], 31, v18
	s_waitcnt lgkmcnt(1)
	v_add3_u32 v40, v17, v16, v14
	s_waitcnt lgkmcnt(0)
	v_add3_u32 v37, v40, v15, v37
	v_and_b32_e32 v40, 15, v18
	v_cmp_eq_u32_e32 vcc, 0, v40
	v_mov_b32_dpp v41, v37 row_shr:1 row_mask:0xf bank_mask:0xf
	v_cndmask_b32_e64 v41, v41, 0, vcc
	v_add_u32_e32 v37, v41, v37
	v_cmp_lt_u32_e64 s[0:1], 1, v40
	v_cmp_lt_u32_e64 s[2:3], 3, v40
	v_mov_b32_dpp v41, v37 row_shr:2 row_mask:0xf bank_mask:0xf
	v_cndmask_b32_e64 v41, 0, v41, s[0:1]
	v_add_u32_e32 v37, v37, v41
	v_cmp_lt_u32_e64 s[4:5], 7, v40
	s_nop 0
	v_mov_b32_dpp v41, v37 row_shr:4 row_mask:0xf bank_mask:0xf
	v_cndmask_b32_e64 v41, 0, v41, s[2:3]
	v_add_u32_e32 v37, v37, v41
	s_nop 1
	v_mov_b32_dpp v41, v37 row_shr:8 row_mask:0xf bank_mask:0xf
	v_cndmask_b32_e64 v40, 0, v41, s[4:5]
	v_add_u32_e32 v37, v37, v40
	v_bfe_i32 v41, v18, 4, 1
	s_nop 0
	v_mov_b32_dpp v40, v37 row_bcast:15 row_mask:0xf bank_mask:0xf
	v_and_b32_e32 v40, v41, v40
	v_add_u32_e32 v37, v37, v40
	v_lshrrev_b32_e32 v41, 6, v8
	s_nop 0
	v_mov_b32_dpp v40, v37 row_bcast:31 row_mask:0xf bank_mask:0xf
	v_cndmask_b32_e64 v40, 0, v40, s[8:9]
	v_add_u32_e32 v40, v37, v40
	v_and_b32_e32 v37, 63, v8
	v_cmp_eq_u32_e64 s[8:9], 63, v37
	s_and_saveexec_b64 s[14:15], s[8:9]
	s_cbranch_execz .LBB1172_82
; %bb.81:
	v_lshlrev_b32_e32 v37, 2, v41
	ds_write_b32 v37, v40
.LBB1172_82:
	s_or_b64 exec, exec, s[14:15]
	v_cmp_gt_u32_e64 s[8:9], 16, v8
	v_lshlrev_b32_e32 v37, 2, v8
	s_waitcnt lgkmcnt(0)
	s_barrier
	s_and_saveexec_b64 s[14:15], s[8:9]
	s_cbranch_execz .LBB1172_84
; %bb.83:
	ds_read_b32 v42, v37
	s_waitcnt lgkmcnt(0)
	s_nop 0
	v_mov_b32_dpp v43, v42 row_shr:1 row_mask:0xf bank_mask:0xf
	v_cndmask_b32_e64 v43, v43, 0, vcc
	v_add_u32_e32 v42, v43, v42
	s_nop 1
	v_mov_b32_dpp v43, v42 row_shr:2 row_mask:0xf bank_mask:0xf
	v_cndmask_b32_e64 v43, 0, v43, s[0:1]
	v_add_u32_e32 v42, v42, v43
	s_nop 1
	v_mov_b32_dpp v43, v42 row_shr:4 row_mask:0xf bank_mask:0xf
	v_cndmask_b32_e64 v43, 0, v43, s[2:3]
	;; [unrolled: 4-line block ×3, first 2 shown]
	v_add_u32_e32 v42, v42, v43
	ds_write_b32 v37, v42
.LBB1172_84:
	s_or_b64 exec, exec, s[14:15]
	v_cmp_lt_u32_e32 vcc, 63, v8
	v_mov_b32_e32 v42, 0
	s_waitcnt lgkmcnt(0)
	s_barrier
	s_and_saveexec_b64 s[0:1], vcc
	s_cbranch_execz .LBB1172_86
; %bb.85:
	v_lshl_add_u32 v41, v41, 2, -4
	ds_read_b32 v42, v41
.LBB1172_86:
	s_or_b64 exec, exec, s[0:1]
	v_add_u32_e32 v41, -1, v18
	v_and_b32_e32 v43, 64, v18
	v_cmp_lt_i32_e32 vcc, v41, v43
	v_cndmask_b32_e32 v41, v41, v18, vcc
	s_waitcnt lgkmcnt(0)
	v_add_u32_e32 v40, v42, v40
	v_lshlrev_b32_e32 v41, 2, v41
	ds_bpermute_b32 v40, v41, v40
	v_cmp_eq_u32_e32 vcc, 0, v18
	s_movk_i32 s0, 0x100
	s_waitcnt lgkmcnt(0)
	v_cndmask_b32_e32 v18, v40, v42, vcc
	v_cmp_ne_u32_e32 vcc, 0, v8
	v_cndmask_b32_e32 v18, 0, v18, vcc
	v_add_u32_e32 v16, v18, v16
	v_add_u32_e32 v17, v16, v17
	;; [unrolled: 1-line block ×4, first 2 shown]
	ds_write2_b32 v19, v18, v16 offset0:16 offset1:17
	ds_write2_b32 v38, v17, v14 offset0:2 offset1:3
	ds_write_b32 v38, v15 offset:16
	s_waitcnt lgkmcnt(0)
	s_barrier
	ds_read_b32 v40, v23 offset:64
	ds_read_b32 v38, v26 offset:64
	;; [unrolled: 1-line block ×6, first 2 shown]
	v_cmp_gt_u32_e32 vcc, s0, v8
                                        ; implicit-def: $vgpr23
                                        ; implicit-def: $vgpr26
	s_and_saveexec_b64 s[2:3], vcc
	s_cbranch_execz .LBB1172_90
; %bb.87:
	v_mul_u32_u24_e32 v14, 17, v8
	v_lshlrev_b32_e32 v15, 2, v14
	ds_read_b32 v23, v15 offset:64
	s_movk_i32 s0, 0xff
	v_cmp_ne_u32_e64 s[0:1], s0, v8
	v_mov_b32_e32 v14, 0x1800
	s_and_saveexec_b64 s[4:5], s[0:1]
	s_cbranch_execz .LBB1172_89
; %bb.88:
	ds_read_b32 v14, v15 offset:132
.LBB1172_89:
	s_or_b64 exec, exec, s[4:5]
	s_waitcnt lgkmcnt(0)
	v_sub_u32_e32 v26, v14, v23
.LBB1172_90:
	s_or_b64 exec, exec, s[2:3]
	s_waitcnt lgkmcnt(0)
	s_barrier
	s_and_saveexec_b64 s[2:3], vcc
	s_cbranch_execz .LBB1172_100
; %bb.91:
	v_lshl_or_b32 v14, s6, 8, v8
	v_mov_b32_e32 v15, 0
	v_lshlrev_b64 v[16:17], 2, v[14:15]
	v_mov_b32_e32 v41, s35
	v_add_co_u32_e64 v16, s[0:1], s34, v16
	v_addc_co_u32_e64 v17, s[0:1], v41, v17, s[0:1]
	v_or_b32_e32 v14, 2.0, v26
	s_mov_b64 s[4:5], 0
	s_brev_b32 s17, 1
	s_mov_b32 s18, s6
	v_mov_b32_e32 v42, 0
	global_store_dword v[16:17], v14, off
                                        ; implicit-def: $sgpr0_sgpr1
	s_branch .LBB1172_94
.LBB1172_92:                            ;   in Loop: Header=BB1172_94 Depth=1
	s_or_b64 exec, exec, s[14:15]
.LBB1172_93:                            ;   in Loop: Header=BB1172_94 Depth=1
	s_or_b64 exec, exec, s[8:9]
	v_and_b32_e32 v18, 0x3fffffff, v43
	v_add_u32_e32 v42, v18, v42
	v_cmp_eq_u32_e64 s[0:1], s17, v14
	s_and_b64 s[8:9], exec, s[0:1]
	s_or_b64 s[4:5], s[8:9], s[4:5]
	s_andn2_b64 exec, exec, s[4:5]
	s_cbranch_execz .LBB1172_99
.LBB1172_94:                            ; =>This Loop Header: Depth=1
                                        ;     Child Loop BB1172_97 Depth 2
	s_or_b64 s[0:1], s[0:1], exec
	s_cmp_eq_u32 s18, 0
	s_cbranch_scc1 .LBB1172_98
; %bb.95:                               ;   in Loop: Header=BB1172_94 Depth=1
	s_add_i32 s18, s18, -1
	v_lshl_or_b32 v14, s18, 8, v8
	v_lshlrev_b64 v[18:19], 2, v[14:15]
	v_add_co_u32_e64 v18, s[0:1], s34, v18
	v_addc_co_u32_e64 v19, s[0:1], v41, v19, s[0:1]
	global_load_dword v43, v[18:19], off glc
	s_waitcnt vmcnt(0)
	v_and_b32_e32 v14, -2.0, v43
	v_cmp_eq_u32_e64 s[0:1], 0, v14
	s_and_saveexec_b64 s[8:9], s[0:1]
	s_cbranch_execz .LBB1172_93
; %bb.96:                               ;   in Loop: Header=BB1172_94 Depth=1
	s_mov_b64 s[14:15], 0
.LBB1172_97:                            ;   Parent Loop BB1172_94 Depth=1
                                        ; =>  This Inner Loop Header: Depth=2
	global_load_dword v43, v[18:19], off glc
	s_waitcnt vmcnt(0)
	v_and_b32_e32 v14, -2.0, v43
	v_cmp_ne_u32_e64 s[0:1], 0, v14
	s_or_b64 s[14:15], s[0:1], s[14:15]
	s_andn2_b64 exec, exec, s[14:15]
	s_cbranch_execnz .LBB1172_97
	s_branch .LBB1172_92
.LBB1172_98:                            ;   in Loop: Header=BB1172_94 Depth=1
                                        ; implicit-def: $sgpr18
	s_and_b64 s[8:9], exec, s[0:1]
	s_or_b64 s[4:5], s[8:9], s[4:5]
	s_andn2_b64 exec, exec, s[4:5]
	s_cbranch_execnz .LBB1172_94
.LBB1172_99:
	s_or_b64 exec, exec, s[4:5]
	v_add_u32_e32 v14, v42, v26
	v_or_b32_e32 v14, 0x80000000, v14
	global_store_dword v[16:17], v14, off
	global_load_dword v14, v37, s[36:37]
	v_sub_u32_e32 v15, v42, v23
	s_waitcnt vmcnt(0)
	v_add_u32_e32 v14, v15, v14
	ds_write_b32 v37, v14
.LBB1172_100:
	s_or_b64 exec, exec, s[2:3]
	v_lshlrev_b32_e32 v17, 3, v8
	v_add_u32_e32 v16, v40, v21
	s_movk_i32 s2, 0x400
	v_add_u32_e32 v18, 0x400, v17
	v_add3_u32 v19, v36, v39, v29
	v_add3_u32 v21, v34, v35, v32
	;; [unrolled: 1-line block ×5, first 2 shown]
	s_mov_b32 s3, 0
	s_mov_b32 s4, 1
	v_mov_b32_e32 v33, s27
	v_mov_b32_e32 v15, 0
	;; [unrolled: 1-line block ×3, first 2 shown]
                                        ; implicit-def: $vgpr32
                                        ; implicit-def: $vgpr31
                                        ; implicit-def: $vgpr30
                                        ; implicit-def: $vgpr29
                                        ; implicit-def: $vgpr27
                                        ; implicit-def: $vgpr24
.LBB1172_101:                           ; =>This Inner Loop Header: Depth=1
	v_add_u32_e32 v14, s3, v16
	v_add_u32_e32 v36, s3, v25
	;; [unrolled: 1-line block ×6, first 2 shown]
	v_min_u32_e32 v14, 0x800, v14
	v_min_u32_e32 v36, 0x800, v36
	;; [unrolled: 1-line block ×6, first 2 shown]
	v_lshlrev_b32_e32 v14, 3, v14
	v_lshlrev_b32_e32 v36, 3, v36
	;; [unrolled: 1-line block ×6, first 2 shown]
	ds_write_b64 v14, v[2:3] offset:1024
	ds_write_b64 v35, v[0:1] offset:1024
	;; [unrolled: 1-line block ×6, first 2 shown]
	s_waitcnt lgkmcnt(0)
	s_barrier
	ds_read_b64 v[36:37], v17 offset:1024
	ds_read_b64 v[38:39], v18 offset:8192
	s_add_i32 s5, s4, -1
	s_cmp_eq_u32 s5, 0
	s_cselect_b64 s[0:1], -1, 0
	s_waitcnt lgkmcnt(1)
	v_lshrrev_b64 v[40:41], s40, v[36:37]
	v_and_b32_e32 v14, s16, v40
	s_cmp_eq_u32 s5, 1
	s_waitcnt lgkmcnt(0)
	v_lshrrev_b64 v[42:43], s40, v[38:39]
	v_cndmask_b32_e64 v32, v32, v14, s[0:1]
	s_cselect_b64 s[0:1], -1, 0
	s_cmp_eq_u32 s5, 2
	v_and_b32_e32 v35, s16, v42
	v_lshlrev_b32_e32 v40, 2, v14
	v_cndmask_b32_e64 v44, v31, v14, s[0:1]
	s_cselect_b64 s[0:1], -1, 0
	s_cmp_eq_u32 s5, 3
	v_lshlrev_b32_e32 v31, 2, v35
	v_cndmask_b32_e64 v45, v30, v14, s[0:1]
	ds_read_b32 v30, v40
	ds_read_b32 v40, v31
	s_cselect_b64 s[0:1], -1, 0
	s_cmp_eq_u32 s5, 4
	v_cndmask_b32_e64 v29, v29, v14, s[0:1]
	s_cselect_b64 s[0:1], -1, 0
	s_cmp_eq_u32 s5, 5
	v_cndmask_b32_e64 v27, v27, v14, s[0:1]
	;; [unrolled: 3-line block ×4, first 2 shown]
	s_waitcnt lgkmcnt(1)
	v_add_u32_e32 v14, v34, v30
	s_cselect_b64 s[0:1], -1, 0
	s_cmp_eq_u32 s4, 3
	v_cndmask_b32_e64 v27, v27, v35, s[0:1]
	v_lshlrev_b64 v[30:31], 3, v[14:15]
	s_cselect_b64 s[0:1], -1, 0
	s_waitcnt lgkmcnt(0)
	v_add3_u32 v14, v34, v40, s2
	v_cndmask_b32_e64 v29, v29, v35, s[0:1]
	v_add_co_u32_e64 v40, s[0:1], s26, v30
	s_cmp_eq_u32 s4, 2
	v_addc_co_u32_e64 v41, s[0:1], v33, v31, s[0:1]
	v_xor_b32_e32 v37, 0x80000000, v37
	v_lshlrev_b64 v[42:43], 3, v[14:15]
	s_cselect_b64 s[0:1], -1, 0
	v_cndmask_b32_e64 v30, v45, v35, s[0:1]
	global_store_dwordx2 v[40:41], v[36:37], off
	v_add_co_u32_e64 v36, s[0:1], s26, v42
	s_cmp_eq_u32 s4, 1
	v_addc_co_u32_e64 v37, s[0:1], v33, v43, s[0:1]
	s_cselect_b64 s[0:1], -1, 0
	s_cmp_eq_u32 s4, 0
	v_cndmask_b32_e64 v31, v44, v35, s[0:1]
	s_cselect_b64 s[0:1], -1, 0
	s_addk_i32 s3, 0xf800
	s_add_i32 s4, s4, 2
	v_xor_b32_e32 v39, 0x80000000, v39
	v_add_u32_e32 v34, 0x800, v34
	v_cndmask_b32_e64 v32, v32, v35, s[0:1]
	s_cmpk_lg_i32 s3, 0xe800
	global_store_dwordx2 v[36:37], v[38:39], off
	s_barrier
	s_cbranch_scc1 .LBB1172_101
; %bb.102:
	s_add_u32 s0, s28, s12
	s_addc_u32 s1, s29, s13
	v_mov_b32_e32 v0, s1
	v_add_co_u32_e64 v1, s[0:1], s0, v9
	v_addc_co_u32_e64 v0, s[0:1], 0, v0, s[0:1]
	v_add_co_u32_e64 v14, s[0:1], v1, v20
	v_addc_co_u32_e64 v15, s[0:1], 0, v0, s[0:1]
	global_load_dwordx2 v[0:1], v[14:15], off
	global_load_dwordx2 v[2:3], v[14:15], off offset:512
	global_load_dwordx2 v[4:5], v[14:15], off offset:1024
	;; [unrolled: 1-line block ×5, first 2 shown]
	s_mov_b32 s2, 0
	s_mov_b32 s3, 1
	s_movk_i32 s4, 0x400
	v_mov_b32_e32 v15, 0
	v_mov_b32_e32 v9, s31
	;; [unrolled: 1-line block ×3, first 2 shown]
	s_waitcnt vmcnt(0)
.LBB1172_103:                           ; =>This Inner Loop Header: Depth=1
	s_add_i32 s5, s3, -1
	v_add_u32_e32 v14, s2, v16
	s_cmp_eq_u32 s5, 1
	v_add_u32_e32 v33, s2, v22
	v_add_u32_e32 v34, s2, v25
	;; [unrolled: 1-line block ×5, first 2 shown]
	v_min_u32_e32 v14, 0x800, v14
	s_cselect_b64 s[0:1], -1, 0
	s_cmp_eq_u32 s5, 2
	v_min_u32_e32 v33, 0x800, v33
	v_min_u32_e32 v34, 0x800, v34
	;; [unrolled: 1-line block ×5, first 2 shown]
	v_lshlrev_b32_e32 v14, 3, v14
	v_cndmask_b32_e64 v38, v32, v31, s[0:1]
	s_cselect_b64 s[0:1], -1, 0
	s_cmp_eq_u32 s5, 3
	v_lshlrev_b32_e32 v33, 3, v33
	v_lshlrev_b32_e32 v34, 3, v34
	;; [unrolled: 1-line block ×5, first 2 shown]
	ds_write_b64 v14, v[0:1] offset:1024
	ds_write_b64 v33, v[2:3] offset:1024
	;; [unrolled: 1-line block ×6, first 2 shown]
	v_cndmask_b32_e64 v14, v38, v30, s[0:1]
	s_cselect_b64 s[0:1], -1, 0
	s_cmp_eq_u32 s5, 4
	v_cndmask_b32_e64 v14, v14, v29, s[0:1]
	s_cselect_b64 s[0:1], -1, 0
	s_cmp_eq_u32 s5, 5
	v_cndmask_b32_e64 v14, v14, v27, s[0:1]
	s_cselect_b64 s[0:1], -1, 0
	s_cmp_eq_u32 s3, 1
	v_cndmask_b32_e64 v14, v14, v24, s[0:1]
	s_cselect_b64 s[0:1], -1, 0
	s_cmp_eq_u32 s3, 2
	v_cndmask_b32_e64 v33, v32, v31, s[0:1]
	s_cselect_b64 s[0:1], -1, 0
	s_cmp_eq_u32 s3, 3
	v_lshlrev_b32_e32 v14, 2, v14
	v_cndmask_b32_e64 v33, v33, v30, s[0:1]
	s_cselect_b64 s[0:1], -1, 0
	s_cmp_eq_u32 s3, 4
	s_waitcnt lgkmcnt(0)
	s_barrier
	ds_read_b64 v[34:35], v17 offset:1024
	ds_read_b32 v14, v14
	v_cndmask_b32_e64 v33, v33, v29, s[0:1]
	s_cselect_b64 s[0:1], -1, 0
	s_cmp_eq_u32 s3, 5
	v_cndmask_b32_e64 v33, v33, v27, s[0:1]
	s_cselect_b64 s[0:1], -1, 0
	v_cndmask_b32_e64 v33, v33, v24, s[0:1]
	v_lshlrev_b32_e32 v33, 2, v33
	ds_read_b32 v33, v33
	ds_read_b64 v[36:37], v18 offset:8192
	s_waitcnt lgkmcnt(2)
	v_add_u32_e32 v14, v20, v14
	v_lshlrev_b64 v[38:39], 3, v[14:15]
	v_add_co_u32_e64 v38, s[0:1], s30, v38
	v_addc_co_u32_e64 v39, s[0:1], v9, v39, s[0:1]
	s_waitcnt lgkmcnt(1)
	v_add3_u32 v14, v20, v33, s4
	global_store_dwordx2 v[38:39], v[34:35], off
	v_lshlrev_b64 v[34:35], 3, v[14:15]
	s_addk_i32 s2, 0xf800
	s_add_i32 s3, s3, 2
	v_add_co_u32_e64 v34, s[0:1], s30, v34
	s_cmpk_lg_i32 s2, 0xe800
	v_add_u32_e32 v20, 0x800, v20
	v_addc_co_u32_e64 v35, s[0:1], v9, v35, s[0:1]
	s_waitcnt lgkmcnt(0)
	global_store_dwordx2 v[34:35], v[36:37], off
	s_barrier
	s_cbranch_scc1 .LBB1172_103
; %bb.104:
	s_add_i32 s7, s7, -1
	s_cmp_eq_u32 s7, s6
	s_cselect_b64 s[0:1], -1, 0
	s_and_b64 s[2:3], vcc, s[0:1]
                                        ; implicit-def: $vgpr2
	s_and_saveexec_b64 s[0:1], s[2:3]
; %bb.105:
	v_add_u32_e32 v2, v23, v26
	s_or_b64 s[10:11], s[10:11], exec
; %bb.106:
	s_or_b64 exec, exec, s[0:1]
.LBB1172_107:
	s_and_saveexec_b64 s[0:1], s[10:11]
	s_cbranch_execnz .LBB1172_109
; %bb.108:
	s_endpgm
.LBB1172_109:
	v_lshlrev_b32_e32 v3, 2, v8
	ds_read_b32 v3, v3
	v_mov_b32_e32 v9, 0
	v_lshlrev_b64 v[0:1], 2, v[8:9]
	v_mov_b32_e32 v4, s39
	v_add_co_u32_e32 v0, vcc, s38, v0
	v_addc_co_u32_e32 v1, vcc, v4, v1, vcc
	s_waitcnt lgkmcnt(0)
	v_add_u32_e32 v2, v3, v2
	global_store_dword v[0:1], v2, off
	s_endpgm
.LBB1172_110:
	global_load_dwordx2 v[10:11], v[22:23], off
	s_or_b64 exec, exec, s[14:15]
                                        ; implicit-def: $vgpr12_vgpr13
	s_and_saveexec_b64 s[14:15], s[0:1]
	s_cbranch_execz .LBB1172_54
.LBB1172_111:
	global_load_dwordx2 v[12:13], v[22:23], off offset:512
	s_or_b64 exec, exec, s[14:15]
                                        ; implicit-def: $vgpr14_vgpr15
	s_and_saveexec_b64 s[0:1], s[2:3]
	s_cbranch_execz .LBB1172_55
.LBB1172_112:
	global_load_dwordx2 v[14:15], v[22:23], off offset:1024
	s_or_b64 exec, exec, s[0:1]
                                        ; implicit-def: $vgpr16_vgpr17
	s_and_saveexec_b64 s[0:1], s[20:21]
	s_cbranch_execz .LBB1172_56
.LBB1172_113:
	global_load_dwordx2 v[16:17], v[22:23], off offset:1536
	s_or_b64 exec, exec, s[0:1]
                                        ; implicit-def: $vgpr18_vgpr19
	s_and_saveexec_b64 s[0:1], s[8:9]
	s_cbranch_execz .LBB1172_57
.LBB1172_114:
	global_load_dwordx2 v[18:19], v[22:23], off offset:2048
	s_or_b64 exec, exec, s[0:1]
                                        ; implicit-def: $vgpr20_vgpr21
	s_and_saveexec_b64 s[0:1], s[10:11]
	s_cbranch_execnz .LBB1172_58
	s_branch .LBB1172_59
	.section	.rodata,"a",@progbits
	.p2align	6, 0x0
	.amdhsa_kernel _ZN7rocprim17ROCPRIM_400000_NS6detail17trampoline_kernelINS0_14default_configENS1_35radix_sort_onesweep_config_selectorIllEEZZNS1_29radix_sort_onesweep_iterationIS3_Lb0EPlS7_N6thrust23THRUST_200600_302600_NS10device_ptrIlEESB_jNS0_19identity_decomposerENS1_16block_id_wrapperIjLb0EEEEE10hipError_tT1_PNSt15iterator_traitsISG_E10value_typeET2_T3_PNSH_ISM_E10value_typeET4_T5_PSR_SS_PNS1_23onesweep_lookback_stateEbbT6_jjT7_P12ihipStream_tbENKUlT_T0_SG_SL_E_clIS7_S7_SB_S7_EEDaSZ_S10_SG_SL_EUlSZ_E_NS1_11comp_targetILNS1_3genE4ELNS1_11target_archE910ELNS1_3gpuE8ELNS1_3repE0EEENS1_47radix_sort_onesweep_sort_config_static_selectorELNS0_4arch9wavefront6targetE1EEEvSG_
		.amdhsa_group_segment_fixed_size 20552
		.amdhsa_private_segment_fixed_size 0
		.amdhsa_kernarg_size 344
		.amdhsa_user_sgpr_count 6
		.amdhsa_user_sgpr_private_segment_buffer 1
		.amdhsa_user_sgpr_dispatch_ptr 0
		.amdhsa_user_sgpr_queue_ptr 0
		.amdhsa_user_sgpr_kernarg_segment_ptr 1
		.amdhsa_user_sgpr_dispatch_id 0
		.amdhsa_user_sgpr_flat_scratch_init 0
		.amdhsa_user_sgpr_kernarg_preload_length 0
		.amdhsa_user_sgpr_kernarg_preload_offset 0
		.amdhsa_user_sgpr_private_segment_size 0
		.amdhsa_uses_dynamic_stack 0
		.amdhsa_system_sgpr_private_segment_wavefront_offset 0
		.amdhsa_system_sgpr_workgroup_id_x 1
		.amdhsa_system_sgpr_workgroup_id_y 0
		.amdhsa_system_sgpr_workgroup_id_z 0
		.amdhsa_system_sgpr_workgroup_info 0
		.amdhsa_system_vgpr_workitem_id 2
		.amdhsa_next_free_vgpr 46
		.amdhsa_next_free_sgpr 50
		.amdhsa_accum_offset 48
		.amdhsa_reserve_vcc 1
		.amdhsa_reserve_flat_scratch 0
		.amdhsa_float_round_mode_32 0
		.amdhsa_float_round_mode_16_64 0
		.amdhsa_float_denorm_mode_32 3
		.amdhsa_float_denorm_mode_16_64 3
		.amdhsa_dx10_clamp 1
		.amdhsa_ieee_mode 1
		.amdhsa_fp16_overflow 0
		.amdhsa_tg_split 0
		.amdhsa_exception_fp_ieee_invalid_op 0
		.amdhsa_exception_fp_denorm_src 0
		.amdhsa_exception_fp_ieee_div_zero 0
		.amdhsa_exception_fp_ieee_overflow 0
		.amdhsa_exception_fp_ieee_underflow 0
		.amdhsa_exception_fp_ieee_inexact 0
		.amdhsa_exception_int_div_zero 0
	.end_amdhsa_kernel
	.section	.text._ZN7rocprim17ROCPRIM_400000_NS6detail17trampoline_kernelINS0_14default_configENS1_35radix_sort_onesweep_config_selectorIllEEZZNS1_29radix_sort_onesweep_iterationIS3_Lb0EPlS7_N6thrust23THRUST_200600_302600_NS10device_ptrIlEESB_jNS0_19identity_decomposerENS1_16block_id_wrapperIjLb0EEEEE10hipError_tT1_PNSt15iterator_traitsISG_E10value_typeET2_T3_PNSH_ISM_E10value_typeET4_T5_PSR_SS_PNS1_23onesweep_lookback_stateEbbT6_jjT7_P12ihipStream_tbENKUlT_T0_SG_SL_E_clIS7_S7_SB_S7_EEDaSZ_S10_SG_SL_EUlSZ_E_NS1_11comp_targetILNS1_3genE4ELNS1_11target_archE910ELNS1_3gpuE8ELNS1_3repE0EEENS1_47radix_sort_onesweep_sort_config_static_selectorELNS0_4arch9wavefront6targetE1EEEvSG_,"axG",@progbits,_ZN7rocprim17ROCPRIM_400000_NS6detail17trampoline_kernelINS0_14default_configENS1_35radix_sort_onesweep_config_selectorIllEEZZNS1_29radix_sort_onesweep_iterationIS3_Lb0EPlS7_N6thrust23THRUST_200600_302600_NS10device_ptrIlEESB_jNS0_19identity_decomposerENS1_16block_id_wrapperIjLb0EEEEE10hipError_tT1_PNSt15iterator_traitsISG_E10value_typeET2_T3_PNSH_ISM_E10value_typeET4_T5_PSR_SS_PNS1_23onesweep_lookback_stateEbbT6_jjT7_P12ihipStream_tbENKUlT_T0_SG_SL_E_clIS7_S7_SB_S7_EEDaSZ_S10_SG_SL_EUlSZ_E_NS1_11comp_targetILNS1_3genE4ELNS1_11target_archE910ELNS1_3gpuE8ELNS1_3repE0EEENS1_47radix_sort_onesweep_sort_config_static_selectorELNS0_4arch9wavefront6targetE1EEEvSG_,comdat
.Lfunc_end1172:
	.size	_ZN7rocprim17ROCPRIM_400000_NS6detail17trampoline_kernelINS0_14default_configENS1_35radix_sort_onesweep_config_selectorIllEEZZNS1_29radix_sort_onesweep_iterationIS3_Lb0EPlS7_N6thrust23THRUST_200600_302600_NS10device_ptrIlEESB_jNS0_19identity_decomposerENS1_16block_id_wrapperIjLb0EEEEE10hipError_tT1_PNSt15iterator_traitsISG_E10value_typeET2_T3_PNSH_ISM_E10value_typeET4_T5_PSR_SS_PNS1_23onesweep_lookback_stateEbbT6_jjT7_P12ihipStream_tbENKUlT_T0_SG_SL_E_clIS7_S7_SB_S7_EEDaSZ_S10_SG_SL_EUlSZ_E_NS1_11comp_targetILNS1_3genE4ELNS1_11target_archE910ELNS1_3gpuE8ELNS1_3repE0EEENS1_47radix_sort_onesweep_sort_config_static_selectorELNS0_4arch9wavefront6targetE1EEEvSG_, .Lfunc_end1172-_ZN7rocprim17ROCPRIM_400000_NS6detail17trampoline_kernelINS0_14default_configENS1_35radix_sort_onesweep_config_selectorIllEEZZNS1_29radix_sort_onesweep_iterationIS3_Lb0EPlS7_N6thrust23THRUST_200600_302600_NS10device_ptrIlEESB_jNS0_19identity_decomposerENS1_16block_id_wrapperIjLb0EEEEE10hipError_tT1_PNSt15iterator_traitsISG_E10value_typeET2_T3_PNSH_ISM_E10value_typeET4_T5_PSR_SS_PNS1_23onesweep_lookback_stateEbbT6_jjT7_P12ihipStream_tbENKUlT_T0_SG_SL_E_clIS7_S7_SB_S7_EEDaSZ_S10_SG_SL_EUlSZ_E_NS1_11comp_targetILNS1_3genE4ELNS1_11target_archE910ELNS1_3gpuE8ELNS1_3repE0EEENS1_47radix_sort_onesweep_sort_config_static_selectorELNS0_4arch9wavefront6targetE1EEEvSG_
                                        ; -- End function
	.section	.AMDGPU.csdata,"",@progbits
; Kernel info:
; codeLenInByte = 10600
; NumSgprs: 54
; NumVgprs: 46
; NumAgprs: 0
; TotalNumVgprs: 46
; ScratchSize: 0
; MemoryBound: 0
; FloatMode: 240
; IeeeMode: 1
; LDSByteSize: 20552 bytes/workgroup (compile time only)
; SGPRBlocks: 6
; VGPRBlocks: 5
; NumSGPRsForWavesPerEU: 54
; NumVGPRsForWavesPerEU: 46
; AccumOffset: 48
; Occupancy: 8
; WaveLimiterHint : 1
; COMPUTE_PGM_RSRC2:SCRATCH_EN: 0
; COMPUTE_PGM_RSRC2:USER_SGPR: 6
; COMPUTE_PGM_RSRC2:TRAP_HANDLER: 0
; COMPUTE_PGM_RSRC2:TGID_X_EN: 1
; COMPUTE_PGM_RSRC2:TGID_Y_EN: 0
; COMPUTE_PGM_RSRC2:TGID_Z_EN: 0
; COMPUTE_PGM_RSRC2:TIDIG_COMP_CNT: 2
; COMPUTE_PGM_RSRC3_GFX90A:ACCUM_OFFSET: 11
; COMPUTE_PGM_RSRC3_GFX90A:TG_SPLIT: 0
	.section	.text._ZN7rocprim17ROCPRIM_400000_NS6detail17trampoline_kernelINS0_14default_configENS1_35radix_sort_onesweep_config_selectorIllEEZZNS1_29radix_sort_onesweep_iterationIS3_Lb0EPlS7_N6thrust23THRUST_200600_302600_NS10device_ptrIlEESB_jNS0_19identity_decomposerENS1_16block_id_wrapperIjLb0EEEEE10hipError_tT1_PNSt15iterator_traitsISG_E10value_typeET2_T3_PNSH_ISM_E10value_typeET4_T5_PSR_SS_PNS1_23onesweep_lookback_stateEbbT6_jjT7_P12ihipStream_tbENKUlT_T0_SG_SL_E_clIS7_S7_SB_S7_EEDaSZ_S10_SG_SL_EUlSZ_E_NS1_11comp_targetILNS1_3genE3ELNS1_11target_archE908ELNS1_3gpuE7ELNS1_3repE0EEENS1_47radix_sort_onesweep_sort_config_static_selectorELNS0_4arch9wavefront6targetE1EEEvSG_,"axG",@progbits,_ZN7rocprim17ROCPRIM_400000_NS6detail17trampoline_kernelINS0_14default_configENS1_35radix_sort_onesweep_config_selectorIllEEZZNS1_29radix_sort_onesweep_iterationIS3_Lb0EPlS7_N6thrust23THRUST_200600_302600_NS10device_ptrIlEESB_jNS0_19identity_decomposerENS1_16block_id_wrapperIjLb0EEEEE10hipError_tT1_PNSt15iterator_traitsISG_E10value_typeET2_T3_PNSH_ISM_E10value_typeET4_T5_PSR_SS_PNS1_23onesweep_lookback_stateEbbT6_jjT7_P12ihipStream_tbENKUlT_T0_SG_SL_E_clIS7_S7_SB_S7_EEDaSZ_S10_SG_SL_EUlSZ_E_NS1_11comp_targetILNS1_3genE3ELNS1_11target_archE908ELNS1_3gpuE7ELNS1_3repE0EEENS1_47radix_sort_onesweep_sort_config_static_selectorELNS0_4arch9wavefront6targetE1EEEvSG_,comdat
	.protected	_ZN7rocprim17ROCPRIM_400000_NS6detail17trampoline_kernelINS0_14default_configENS1_35radix_sort_onesweep_config_selectorIllEEZZNS1_29radix_sort_onesweep_iterationIS3_Lb0EPlS7_N6thrust23THRUST_200600_302600_NS10device_ptrIlEESB_jNS0_19identity_decomposerENS1_16block_id_wrapperIjLb0EEEEE10hipError_tT1_PNSt15iterator_traitsISG_E10value_typeET2_T3_PNSH_ISM_E10value_typeET4_T5_PSR_SS_PNS1_23onesweep_lookback_stateEbbT6_jjT7_P12ihipStream_tbENKUlT_T0_SG_SL_E_clIS7_S7_SB_S7_EEDaSZ_S10_SG_SL_EUlSZ_E_NS1_11comp_targetILNS1_3genE3ELNS1_11target_archE908ELNS1_3gpuE7ELNS1_3repE0EEENS1_47radix_sort_onesweep_sort_config_static_selectorELNS0_4arch9wavefront6targetE1EEEvSG_ ; -- Begin function _ZN7rocprim17ROCPRIM_400000_NS6detail17trampoline_kernelINS0_14default_configENS1_35radix_sort_onesweep_config_selectorIllEEZZNS1_29radix_sort_onesweep_iterationIS3_Lb0EPlS7_N6thrust23THRUST_200600_302600_NS10device_ptrIlEESB_jNS0_19identity_decomposerENS1_16block_id_wrapperIjLb0EEEEE10hipError_tT1_PNSt15iterator_traitsISG_E10value_typeET2_T3_PNSH_ISM_E10value_typeET4_T5_PSR_SS_PNS1_23onesweep_lookback_stateEbbT6_jjT7_P12ihipStream_tbENKUlT_T0_SG_SL_E_clIS7_S7_SB_S7_EEDaSZ_S10_SG_SL_EUlSZ_E_NS1_11comp_targetILNS1_3genE3ELNS1_11target_archE908ELNS1_3gpuE7ELNS1_3repE0EEENS1_47radix_sort_onesweep_sort_config_static_selectorELNS0_4arch9wavefront6targetE1EEEvSG_
	.globl	_ZN7rocprim17ROCPRIM_400000_NS6detail17trampoline_kernelINS0_14default_configENS1_35radix_sort_onesweep_config_selectorIllEEZZNS1_29radix_sort_onesweep_iterationIS3_Lb0EPlS7_N6thrust23THRUST_200600_302600_NS10device_ptrIlEESB_jNS0_19identity_decomposerENS1_16block_id_wrapperIjLb0EEEEE10hipError_tT1_PNSt15iterator_traitsISG_E10value_typeET2_T3_PNSH_ISM_E10value_typeET4_T5_PSR_SS_PNS1_23onesweep_lookback_stateEbbT6_jjT7_P12ihipStream_tbENKUlT_T0_SG_SL_E_clIS7_S7_SB_S7_EEDaSZ_S10_SG_SL_EUlSZ_E_NS1_11comp_targetILNS1_3genE3ELNS1_11target_archE908ELNS1_3gpuE7ELNS1_3repE0EEENS1_47radix_sort_onesweep_sort_config_static_selectorELNS0_4arch9wavefront6targetE1EEEvSG_
	.p2align	8
	.type	_ZN7rocprim17ROCPRIM_400000_NS6detail17trampoline_kernelINS0_14default_configENS1_35radix_sort_onesweep_config_selectorIllEEZZNS1_29radix_sort_onesweep_iterationIS3_Lb0EPlS7_N6thrust23THRUST_200600_302600_NS10device_ptrIlEESB_jNS0_19identity_decomposerENS1_16block_id_wrapperIjLb0EEEEE10hipError_tT1_PNSt15iterator_traitsISG_E10value_typeET2_T3_PNSH_ISM_E10value_typeET4_T5_PSR_SS_PNS1_23onesweep_lookback_stateEbbT6_jjT7_P12ihipStream_tbENKUlT_T0_SG_SL_E_clIS7_S7_SB_S7_EEDaSZ_S10_SG_SL_EUlSZ_E_NS1_11comp_targetILNS1_3genE3ELNS1_11target_archE908ELNS1_3gpuE7ELNS1_3repE0EEENS1_47radix_sort_onesweep_sort_config_static_selectorELNS0_4arch9wavefront6targetE1EEEvSG_,@function
_ZN7rocprim17ROCPRIM_400000_NS6detail17trampoline_kernelINS0_14default_configENS1_35radix_sort_onesweep_config_selectorIllEEZZNS1_29radix_sort_onesweep_iterationIS3_Lb0EPlS7_N6thrust23THRUST_200600_302600_NS10device_ptrIlEESB_jNS0_19identity_decomposerENS1_16block_id_wrapperIjLb0EEEEE10hipError_tT1_PNSt15iterator_traitsISG_E10value_typeET2_T3_PNSH_ISM_E10value_typeET4_T5_PSR_SS_PNS1_23onesweep_lookback_stateEbbT6_jjT7_P12ihipStream_tbENKUlT_T0_SG_SL_E_clIS7_S7_SB_S7_EEDaSZ_S10_SG_SL_EUlSZ_E_NS1_11comp_targetILNS1_3genE3ELNS1_11target_archE908ELNS1_3gpuE7ELNS1_3repE0EEENS1_47radix_sort_onesweep_sort_config_static_selectorELNS0_4arch9wavefront6targetE1EEEvSG_: ; @_ZN7rocprim17ROCPRIM_400000_NS6detail17trampoline_kernelINS0_14default_configENS1_35radix_sort_onesweep_config_selectorIllEEZZNS1_29radix_sort_onesweep_iterationIS3_Lb0EPlS7_N6thrust23THRUST_200600_302600_NS10device_ptrIlEESB_jNS0_19identity_decomposerENS1_16block_id_wrapperIjLb0EEEEE10hipError_tT1_PNSt15iterator_traitsISG_E10value_typeET2_T3_PNSH_ISM_E10value_typeET4_T5_PSR_SS_PNS1_23onesweep_lookback_stateEbbT6_jjT7_P12ihipStream_tbENKUlT_T0_SG_SL_E_clIS7_S7_SB_S7_EEDaSZ_S10_SG_SL_EUlSZ_E_NS1_11comp_targetILNS1_3genE3ELNS1_11target_archE908ELNS1_3gpuE7ELNS1_3repE0EEENS1_47radix_sort_onesweep_sort_config_static_selectorELNS0_4arch9wavefront6targetE1EEEvSG_
; %bb.0:
	.section	.rodata,"a",@progbits
	.p2align	6, 0x0
	.amdhsa_kernel _ZN7rocprim17ROCPRIM_400000_NS6detail17trampoline_kernelINS0_14default_configENS1_35radix_sort_onesweep_config_selectorIllEEZZNS1_29radix_sort_onesweep_iterationIS3_Lb0EPlS7_N6thrust23THRUST_200600_302600_NS10device_ptrIlEESB_jNS0_19identity_decomposerENS1_16block_id_wrapperIjLb0EEEEE10hipError_tT1_PNSt15iterator_traitsISG_E10value_typeET2_T3_PNSH_ISM_E10value_typeET4_T5_PSR_SS_PNS1_23onesweep_lookback_stateEbbT6_jjT7_P12ihipStream_tbENKUlT_T0_SG_SL_E_clIS7_S7_SB_S7_EEDaSZ_S10_SG_SL_EUlSZ_E_NS1_11comp_targetILNS1_3genE3ELNS1_11target_archE908ELNS1_3gpuE7ELNS1_3repE0EEENS1_47radix_sort_onesweep_sort_config_static_selectorELNS0_4arch9wavefront6targetE1EEEvSG_
		.amdhsa_group_segment_fixed_size 0
		.amdhsa_private_segment_fixed_size 0
		.amdhsa_kernarg_size 88
		.amdhsa_user_sgpr_count 6
		.amdhsa_user_sgpr_private_segment_buffer 1
		.amdhsa_user_sgpr_dispatch_ptr 0
		.amdhsa_user_sgpr_queue_ptr 0
		.amdhsa_user_sgpr_kernarg_segment_ptr 1
		.amdhsa_user_sgpr_dispatch_id 0
		.amdhsa_user_sgpr_flat_scratch_init 0
		.amdhsa_user_sgpr_kernarg_preload_length 0
		.amdhsa_user_sgpr_kernarg_preload_offset 0
		.amdhsa_user_sgpr_private_segment_size 0
		.amdhsa_uses_dynamic_stack 0
		.amdhsa_system_sgpr_private_segment_wavefront_offset 0
		.amdhsa_system_sgpr_workgroup_id_x 1
		.amdhsa_system_sgpr_workgroup_id_y 0
		.amdhsa_system_sgpr_workgroup_id_z 0
		.amdhsa_system_sgpr_workgroup_info 0
		.amdhsa_system_vgpr_workitem_id 0
		.amdhsa_next_free_vgpr 1
		.amdhsa_next_free_sgpr 0
		.amdhsa_accum_offset 4
		.amdhsa_reserve_vcc 0
		.amdhsa_reserve_flat_scratch 0
		.amdhsa_float_round_mode_32 0
		.amdhsa_float_round_mode_16_64 0
		.amdhsa_float_denorm_mode_32 3
		.amdhsa_float_denorm_mode_16_64 3
		.amdhsa_dx10_clamp 1
		.amdhsa_ieee_mode 1
		.amdhsa_fp16_overflow 0
		.amdhsa_tg_split 0
		.amdhsa_exception_fp_ieee_invalid_op 0
		.amdhsa_exception_fp_denorm_src 0
		.amdhsa_exception_fp_ieee_div_zero 0
		.amdhsa_exception_fp_ieee_overflow 0
		.amdhsa_exception_fp_ieee_underflow 0
		.amdhsa_exception_fp_ieee_inexact 0
		.amdhsa_exception_int_div_zero 0
	.end_amdhsa_kernel
	.section	.text._ZN7rocprim17ROCPRIM_400000_NS6detail17trampoline_kernelINS0_14default_configENS1_35radix_sort_onesweep_config_selectorIllEEZZNS1_29radix_sort_onesweep_iterationIS3_Lb0EPlS7_N6thrust23THRUST_200600_302600_NS10device_ptrIlEESB_jNS0_19identity_decomposerENS1_16block_id_wrapperIjLb0EEEEE10hipError_tT1_PNSt15iterator_traitsISG_E10value_typeET2_T3_PNSH_ISM_E10value_typeET4_T5_PSR_SS_PNS1_23onesweep_lookback_stateEbbT6_jjT7_P12ihipStream_tbENKUlT_T0_SG_SL_E_clIS7_S7_SB_S7_EEDaSZ_S10_SG_SL_EUlSZ_E_NS1_11comp_targetILNS1_3genE3ELNS1_11target_archE908ELNS1_3gpuE7ELNS1_3repE0EEENS1_47radix_sort_onesweep_sort_config_static_selectorELNS0_4arch9wavefront6targetE1EEEvSG_,"axG",@progbits,_ZN7rocprim17ROCPRIM_400000_NS6detail17trampoline_kernelINS0_14default_configENS1_35radix_sort_onesweep_config_selectorIllEEZZNS1_29radix_sort_onesweep_iterationIS3_Lb0EPlS7_N6thrust23THRUST_200600_302600_NS10device_ptrIlEESB_jNS0_19identity_decomposerENS1_16block_id_wrapperIjLb0EEEEE10hipError_tT1_PNSt15iterator_traitsISG_E10value_typeET2_T3_PNSH_ISM_E10value_typeET4_T5_PSR_SS_PNS1_23onesweep_lookback_stateEbbT6_jjT7_P12ihipStream_tbENKUlT_T0_SG_SL_E_clIS7_S7_SB_S7_EEDaSZ_S10_SG_SL_EUlSZ_E_NS1_11comp_targetILNS1_3genE3ELNS1_11target_archE908ELNS1_3gpuE7ELNS1_3repE0EEENS1_47radix_sort_onesweep_sort_config_static_selectorELNS0_4arch9wavefront6targetE1EEEvSG_,comdat
.Lfunc_end1173:
	.size	_ZN7rocprim17ROCPRIM_400000_NS6detail17trampoline_kernelINS0_14default_configENS1_35radix_sort_onesweep_config_selectorIllEEZZNS1_29radix_sort_onesweep_iterationIS3_Lb0EPlS7_N6thrust23THRUST_200600_302600_NS10device_ptrIlEESB_jNS0_19identity_decomposerENS1_16block_id_wrapperIjLb0EEEEE10hipError_tT1_PNSt15iterator_traitsISG_E10value_typeET2_T3_PNSH_ISM_E10value_typeET4_T5_PSR_SS_PNS1_23onesweep_lookback_stateEbbT6_jjT7_P12ihipStream_tbENKUlT_T0_SG_SL_E_clIS7_S7_SB_S7_EEDaSZ_S10_SG_SL_EUlSZ_E_NS1_11comp_targetILNS1_3genE3ELNS1_11target_archE908ELNS1_3gpuE7ELNS1_3repE0EEENS1_47radix_sort_onesweep_sort_config_static_selectorELNS0_4arch9wavefront6targetE1EEEvSG_, .Lfunc_end1173-_ZN7rocprim17ROCPRIM_400000_NS6detail17trampoline_kernelINS0_14default_configENS1_35radix_sort_onesweep_config_selectorIllEEZZNS1_29radix_sort_onesweep_iterationIS3_Lb0EPlS7_N6thrust23THRUST_200600_302600_NS10device_ptrIlEESB_jNS0_19identity_decomposerENS1_16block_id_wrapperIjLb0EEEEE10hipError_tT1_PNSt15iterator_traitsISG_E10value_typeET2_T3_PNSH_ISM_E10value_typeET4_T5_PSR_SS_PNS1_23onesweep_lookback_stateEbbT6_jjT7_P12ihipStream_tbENKUlT_T0_SG_SL_E_clIS7_S7_SB_S7_EEDaSZ_S10_SG_SL_EUlSZ_E_NS1_11comp_targetILNS1_3genE3ELNS1_11target_archE908ELNS1_3gpuE7ELNS1_3repE0EEENS1_47radix_sort_onesweep_sort_config_static_selectorELNS0_4arch9wavefront6targetE1EEEvSG_
                                        ; -- End function
	.section	.AMDGPU.csdata,"",@progbits
; Kernel info:
; codeLenInByte = 0
; NumSgprs: 4
; NumVgprs: 0
; NumAgprs: 0
; TotalNumVgprs: 0
; ScratchSize: 0
; MemoryBound: 0
; FloatMode: 240
; IeeeMode: 1
; LDSByteSize: 0 bytes/workgroup (compile time only)
; SGPRBlocks: 0
; VGPRBlocks: 0
; NumSGPRsForWavesPerEU: 4
; NumVGPRsForWavesPerEU: 1
; AccumOffset: 4
; Occupancy: 8
; WaveLimiterHint : 0
; COMPUTE_PGM_RSRC2:SCRATCH_EN: 0
; COMPUTE_PGM_RSRC2:USER_SGPR: 6
; COMPUTE_PGM_RSRC2:TRAP_HANDLER: 0
; COMPUTE_PGM_RSRC2:TGID_X_EN: 1
; COMPUTE_PGM_RSRC2:TGID_Y_EN: 0
; COMPUTE_PGM_RSRC2:TGID_Z_EN: 0
; COMPUTE_PGM_RSRC2:TIDIG_COMP_CNT: 0
; COMPUTE_PGM_RSRC3_GFX90A:ACCUM_OFFSET: 0
; COMPUTE_PGM_RSRC3_GFX90A:TG_SPLIT: 0
	.section	.text._ZN7rocprim17ROCPRIM_400000_NS6detail17trampoline_kernelINS0_14default_configENS1_35radix_sort_onesweep_config_selectorIllEEZZNS1_29radix_sort_onesweep_iterationIS3_Lb0EPlS7_N6thrust23THRUST_200600_302600_NS10device_ptrIlEESB_jNS0_19identity_decomposerENS1_16block_id_wrapperIjLb0EEEEE10hipError_tT1_PNSt15iterator_traitsISG_E10value_typeET2_T3_PNSH_ISM_E10value_typeET4_T5_PSR_SS_PNS1_23onesweep_lookback_stateEbbT6_jjT7_P12ihipStream_tbENKUlT_T0_SG_SL_E_clIS7_S7_SB_S7_EEDaSZ_S10_SG_SL_EUlSZ_E_NS1_11comp_targetILNS1_3genE10ELNS1_11target_archE1201ELNS1_3gpuE5ELNS1_3repE0EEENS1_47radix_sort_onesweep_sort_config_static_selectorELNS0_4arch9wavefront6targetE1EEEvSG_,"axG",@progbits,_ZN7rocprim17ROCPRIM_400000_NS6detail17trampoline_kernelINS0_14default_configENS1_35radix_sort_onesweep_config_selectorIllEEZZNS1_29radix_sort_onesweep_iterationIS3_Lb0EPlS7_N6thrust23THRUST_200600_302600_NS10device_ptrIlEESB_jNS0_19identity_decomposerENS1_16block_id_wrapperIjLb0EEEEE10hipError_tT1_PNSt15iterator_traitsISG_E10value_typeET2_T3_PNSH_ISM_E10value_typeET4_T5_PSR_SS_PNS1_23onesweep_lookback_stateEbbT6_jjT7_P12ihipStream_tbENKUlT_T0_SG_SL_E_clIS7_S7_SB_S7_EEDaSZ_S10_SG_SL_EUlSZ_E_NS1_11comp_targetILNS1_3genE10ELNS1_11target_archE1201ELNS1_3gpuE5ELNS1_3repE0EEENS1_47radix_sort_onesweep_sort_config_static_selectorELNS0_4arch9wavefront6targetE1EEEvSG_,comdat
	.protected	_ZN7rocprim17ROCPRIM_400000_NS6detail17trampoline_kernelINS0_14default_configENS1_35radix_sort_onesweep_config_selectorIllEEZZNS1_29radix_sort_onesweep_iterationIS3_Lb0EPlS7_N6thrust23THRUST_200600_302600_NS10device_ptrIlEESB_jNS0_19identity_decomposerENS1_16block_id_wrapperIjLb0EEEEE10hipError_tT1_PNSt15iterator_traitsISG_E10value_typeET2_T3_PNSH_ISM_E10value_typeET4_T5_PSR_SS_PNS1_23onesweep_lookback_stateEbbT6_jjT7_P12ihipStream_tbENKUlT_T0_SG_SL_E_clIS7_S7_SB_S7_EEDaSZ_S10_SG_SL_EUlSZ_E_NS1_11comp_targetILNS1_3genE10ELNS1_11target_archE1201ELNS1_3gpuE5ELNS1_3repE0EEENS1_47radix_sort_onesweep_sort_config_static_selectorELNS0_4arch9wavefront6targetE1EEEvSG_ ; -- Begin function _ZN7rocprim17ROCPRIM_400000_NS6detail17trampoline_kernelINS0_14default_configENS1_35radix_sort_onesweep_config_selectorIllEEZZNS1_29radix_sort_onesweep_iterationIS3_Lb0EPlS7_N6thrust23THRUST_200600_302600_NS10device_ptrIlEESB_jNS0_19identity_decomposerENS1_16block_id_wrapperIjLb0EEEEE10hipError_tT1_PNSt15iterator_traitsISG_E10value_typeET2_T3_PNSH_ISM_E10value_typeET4_T5_PSR_SS_PNS1_23onesweep_lookback_stateEbbT6_jjT7_P12ihipStream_tbENKUlT_T0_SG_SL_E_clIS7_S7_SB_S7_EEDaSZ_S10_SG_SL_EUlSZ_E_NS1_11comp_targetILNS1_3genE10ELNS1_11target_archE1201ELNS1_3gpuE5ELNS1_3repE0EEENS1_47radix_sort_onesweep_sort_config_static_selectorELNS0_4arch9wavefront6targetE1EEEvSG_
	.globl	_ZN7rocprim17ROCPRIM_400000_NS6detail17trampoline_kernelINS0_14default_configENS1_35radix_sort_onesweep_config_selectorIllEEZZNS1_29radix_sort_onesweep_iterationIS3_Lb0EPlS7_N6thrust23THRUST_200600_302600_NS10device_ptrIlEESB_jNS0_19identity_decomposerENS1_16block_id_wrapperIjLb0EEEEE10hipError_tT1_PNSt15iterator_traitsISG_E10value_typeET2_T3_PNSH_ISM_E10value_typeET4_T5_PSR_SS_PNS1_23onesweep_lookback_stateEbbT6_jjT7_P12ihipStream_tbENKUlT_T0_SG_SL_E_clIS7_S7_SB_S7_EEDaSZ_S10_SG_SL_EUlSZ_E_NS1_11comp_targetILNS1_3genE10ELNS1_11target_archE1201ELNS1_3gpuE5ELNS1_3repE0EEENS1_47radix_sort_onesweep_sort_config_static_selectorELNS0_4arch9wavefront6targetE1EEEvSG_
	.p2align	8
	.type	_ZN7rocprim17ROCPRIM_400000_NS6detail17trampoline_kernelINS0_14default_configENS1_35radix_sort_onesweep_config_selectorIllEEZZNS1_29radix_sort_onesweep_iterationIS3_Lb0EPlS7_N6thrust23THRUST_200600_302600_NS10device_ptrIlEESB_jNS0_19identity_decomposerENS1_16block_id_wrapperIjLb0EEEEE10hipError_tT1_PNSt15iterator_traitsISG_E10value_typeET2_T3_PNSH_ISM_E10value_typeET4_T5_PSR_SS_PNS1_23onesweep_lookback_stateEbbT6_jjT7_P12ihipStream_tbENKUlT_T0_SG_SL_E_clIS7_S7_SB_S7_EEDaSZ_S10_SG_SL_EUlSZ_E_NS1_11comp_targetILNS1_3genE10ELNS1_11target_archE1201ELNS1_3gpuE5ELNS1_3repE0EEENS1_47radix_sort_onesweep_sort_config_static_selectorELNS0_4arch9wavefront6targetE1EEEvSG_,@function
_ZN7rocprim17ROCPRIM_400000_NS6detail17trampoline_kernelINS0_14default_configENS1_35radix_sort_onesweep_config_selectorIllEEZZNS1_29radix_sort_onesweep_iterationIS3_Lb0EPlS7_N6thrust23THRUST_200600_302600_NS10device_ptrIlEESB_jNS0_19identity_decomposerENS1_16block_id_wrapperIjLb0EEEEE10hipError_tT1_PNSt15iterator_traitsISG_E10value_typeET2_T3_PNSH_ISM_E10value_typeET4_T5_PSR_SS_PNS1_23onesweep_lookback_stateEbbT6_jjT7_P12ihipStream_tbENKUlT_T0_SG_SL_E_clIS7_S7_SB_S7_EEDaSZ_S10_SG_SL_EUlSZ_E_NS1_11comp_targetILNS1_3genE10ELNS1_11target_archE1201ELNS1_3gpuE5ELNS1_3repE0EEENS1_47radix_sort_onesweep_sort_config_static_selectorELNS0_4arch9wavefront6targetE1EEEvSG_: ; @_ZN7rocprim17ROCPRIM_400000_NS6detail17trampoline_kernelINS0_14default_configENS1_35radix_sort_onesweep_config_selectorIllEEZZNS1_29radix_sort_onesweep_iterationIS3_Lb0EPlS7_N6thrust23THRUST_200600_302600_NS10device_ptrIlEESB_jNS0_19identity_decomposerENS1_16block_id_wrapperIjLb0EEEEE10hipError_tT1_PNSt15iterator_traitsISG_E10value_typeET2_T3_PNSH_ISM_E10value_typeET4_T5_PSR_SS_PNS1_23onesweep_lookback_stateEbbT6_jjT7_P12ihipStream_tbENKUlT_T0_SG_SL_E_clIS7_S7_SB_S7_EEDaSZ_S10_SG_SL_EUlSZ_E_NS1_11comp_targetILNS1_3genE10ELNS1_11target_archE1201ELNS1_3gpuE5ELNS1_3repE0EEENS1_47radix_sort_onesweep_sort_config_static_selectorELNS0_4arch9wavefront6targetE1EEEvSG_
; %bb.0:
	.section	.rodata,"a",@progbits
	.p2align	6, 0x0
	.amdhsa_kernel _ZN7rocprim17ROCPRIM_400000_NS6detail17trampoline_kernelINS0_14default_configENS1_35radix_sort_onesweep_config_selectorIllEEZZNS1_29radix_sort_onesweep_iterationIS3_Lb0EPlS7_N6thrust23THRUST_200600_302600_NS10device_ptrIlEESB_jNS0_19identity_decomposerENS1_16block_id_wrapperIjLb0EEEEE10hipError_tT1_PNSt15iterator_traitsISG_E10value_typeET2_T3_PNSH_ISM_E10value_typeET4_T5_PSR_SS_PNS1_23onesweep_lookback_stateEbbT6_jjT7_P12ihipStream_tbENKUlT_T0_SG_SL_E_clIS7_S7_SB_S7_EEDaSZ_S10_SG_SL_EUlSZ_E_NS1_11comp_targetILNS1_3genE10ELNS1_11target_archE1201ELNS1_3gpuE5ELNS1_3repE0EEENS1_47radix_sort_onesweep_sort_config_static_selectorELNS0_4arch9wavefront6targetE1EEEvSG_
		.amdhsa_group_segment_fixed_size 0
		.amdhsa_private_segment_fixed_size 0
		.amdhsa_kernarg_size 88
		.amdhsa_user_sgpr_count 6
		.amdhsa_user_sgpr_private_segment_buffer 1
		.amdhsa_user_sgpr_dispatch_ptr 0
		.amdhsa_user_sgpr_queue_ptr 0
		.amdhsa_user_sgpr_kernarg_segment_ptr 1
		.amdhsa_user_sgpr_dispatch_id 0
		.amdhsa_user_sgpr_flat_scratch_init 0
		.amdhsa_user_sgpr_kernarg_preload_length 0
		.amdhsa_user_sgpr_kernarg_preload_offset 0
		.amdhsa_user_sgpr_private_segment_size 0
		.amdhsa_uses_dynamic_stack 0
		.amdhsa_system_sgpr_private_segment_wavefront_offset 0
		.amdhsa_system_sgpr_workgroup_id_x 1
		.amdhsa_system_sgpr_workgroup_id_y 0
		.amdhsa_system_sgpr_workgroup_id_z 0
		.amdhsa_system_sgpr_workgroup_info 0
		.amdhsa_system_vgpr_workitem_id 0
		.amdhsa_next_free_vgpr 1
		.amdhsa_next_free_sgpr 0
		.amdhsa_accum_offset 4
		.amdhsa_reserve_vcc 0
		.amdhsa_reserve_flat_scratch 0
		.amdhsa_float_round_mode_32 0
		.amdhsa_float_round_mode_16_64 0
		.amdhsa_float_denorm_mode_32 3
		.amdhsa_float_denorm_mode_16_64 3
		.amdhsa_dx10_clamp 1
		.amdhsa_ieee_mode 1
		.amdhsa_fp16_overflow 0
		.amdhsa_tg_split 0
		.amdhsa_exception_fp_ieee_invalid_op 0
		.amdhsa_exception_fp_denorm_src 0
		.amdhsa_exception_fp_ieee_div_zero 0
		.amdhsa_exception_fp_ieee_overflow 0
		.amdhsa_exception_fp_ieee_underflow 0
		.amdhsa_exception_fp_ieee_inexact 0
		.amdhsa_exception_int_div_zero 0
	.end_amdhsa_kernel
	.section	.text._ZN7rocprim17ROCPRIM_400000_NS6detail17trampoline_kernelINS0_14default_configENS1_35radix_sort_onesweep_config_selectorIllEEZZNS1_29radix_sort_onesweep_iterationIS3_Lb0EPlS7_N6thrust23THRUST_200600_302600_NS10device_ptrIlEESB_jNS0_19identity_decomposerENS1_16block_id_wrapperIjLb0EEEEE10hipError_tT1_PNSt15iterator_traitsISG_E10value_typeET2_T3_PNSH_ISM_E10value_typeET4_T5_PSR_SS_PNS1_23onesweep_lookback_stateEbbT6_jjT7_P12ihipStream_tbENKUlT_T0_SG_SL_E_clIS7_S7_SB_S7_EEDaSZ_S10_SG_SL_EUlSZ_E_NS1_11comp_targetILNS1_3genE10ELNS1_11target_archE1201ELNS1_3gpuE5ELNS1_3repE0EEENS1_47radix_sort_onesweep_sort_config_static_selectorELNS0_4arch9wavefront6targetE1EEEvSG_,"axG",@progbits,_ZN7rocprim17ROCPRIM_400000_NS6detail17trampoline_kernelINS0_14default_configENS1_35radix_sort_onesweep_config_selectorIllEEZZNS1_29radix_sort_onesweep_iterationIS3_Lb0EPlS7_N6thrust23THRUST_200600_302600_NS10device_ptrIlEESB_jNS0_19identity_decomposerENS1_16block_id_wrapperIjLb0EEEEE10hipError_tT1_PNSt15iterator_traitsISG_E10value_typeET2_T3_PNSH_ISM_E10value_typeET4_T5_PSR_SS_PNS1_23onesweep_lookback_stateEbbT6_jjT7_P12ihipStream_tbENKUlT_T0_SG_SL_E_clIS7_S7_SB_S7_EEDaSZ_S10_SG_SL_EUlSZ_E_NS1_11comp_targetILNS1_3genE10ELNS1_11target_archE1201ELNS1_3gpuE5ELNS1_3repE0EEENS1_47radix_sort_onesweep_sort_config_static_selectorELNS0_4arch9wavefront6targetE1EEEvSG_,comdat
.Lfunc_end1174:
	.size	_ZN7rocprim17ROCPRIM_400000_NS6detail17trampoline_kernelINS0_14default_configENS1_35radix_sort_onesweep_config_selectorIllEEZZNS1_29radix_sort_onesweep_iterationIS3_Lb0EPlS7_N6thrust23THRUST_200600_302600_NS10device_ptrIlEESB_jNS0_19identity_decomposerENS1_16block_id_wrapperIjLb0EEEEE10hipError_tT1_PNSt15iterator_traitsISG_E10value_typeET2_T3_PNSH_ISM_E10value_typeET4_T5_PSR_SS_PNS1_23onesweep_lookback_stateEbbT6_jjT7_P12ihipStream_tbENKUlT_T0_SG_SL_E_clIS7_S7_SB_S7_EEDaSZ_S10_SG_SL_EUlSZ_E_NS1_11comp_targetILNS1_3genE10ELNS1_11target_archE1201ELNS1_3gpuE5ELNS1_3repE0EEENS1_47radix_sort_onesweep_sort_config_static_selectorELNS0_4arch9wavefront6targetE1EEEvSG_, .Lfunc_end1174-_ZN7rocprim17ROCPRIM_400000_NS6detail17trampoline_kernelINS0_14default_configENS1_35radix_sort_onesweep_config_selectorIllEEZZNS1_29radix_sort_onesweep_iterationIS3_Lb0EPlS7_N6thrust23THRUST_200600_302600_NS10device_ptrIlEESB_jNS0_19identity_decomposerENS1_16block_id_wrapperIjLb0EEEEE10hipError_tT1_PNSt15iterator_traitsISG_E10value_typeET2_T3_PNSH_ISM_E10value_typeET4_T5_PSR_SS_PNS1_23onesweep_lookback_stateEbbT6_jjT7_P12ihipStream_tbENKUlT_T0_SG_SL_E_clIS7_S7_SB_S7_EEDaSZ_S10_SG_SL_EUlSZ_E_NS1_11comp_targetILNS1_3genE10ELNS1_11target_archE1201ELNS1_3gpuE5ELNS1_3repE0EEENS1_47radix_sort_onesweep_sort_config_static_selectorELNS0_4arch9wavefront6targetE1EEEvSG_
                                        ; -- End function
	.section	.AMDGPU.csdata,"",@progbits
; Kernel info:
; codeLenInByte = 0
; NumSgprs: 4
; NumVgprs: 0
; NumAgprs: 0
; TotalNumVgprs: 0
; ScratchSize: 0
; MemoryBound: 0
; FloatMode: 240
; IeeeMode: 1
; LDSByteSize: 0 bytes/workgroup (compile time only)
; SGPRBlocks: 0
; VGPRBlocks: 0
; NumSGPRsForWavesPerEU: 4
; NumVGPRsForWavesPerEU: 1
; AccumOffset: 4
; Occupancy: 8
; WaveLimiterHint : 0
; COMPUTE_PGM_RSRC2:SCRATCH_EN: 0
; COMPUTE_PGM_RSRC2:USER_SGPR: 6
; COMPUTE_PGM_RSRC2:TRAP_HANDLER: 0
; COMPUTE_PGM_RSRC2:TGID_X_EN: 1
; COMPUTE_PGM_RSRC2:TGID_Y_EN: 0
; COMPUTE_PGM_RSRC2:TGID_Z_EN: 0
; COMPUTE_PGM_RSRC2:TIDIG_COMP_CNT: 0
; COMPUTE_PGM_RSRC3_GFX90A:ACCUM_OFFSET: 0
; COMPUTE_PGM_RSRC3_GFX90A:TG_SPLIT: 0
	.section	.text._ZN7rocprim17ROCPRIM_400000_NS6detail17trampoline_kernelINS0_14default_configENS1_35radix_sort_onesweep_config_selectorIllEEZZNS1_29radix_sort_onesweep_iterationIS3_Lb0EPlS7_N6thrust23THRUST_200600_302600_NS10device_ptrIlEESB_jNS0_19identity_decomposerENS1_16block_id_wrapperIjLb0EEEEE10hipError_tT1_PNSt15iterator_traitsISG_E10value_typeET2_T3_PNSH_ISM_E10value_typeET4_T5_PSR_SS_PNS1_23onesweep_lookback_stateEbbT6_jjT7_P12ihipStream_tbENKUlT_T0_SG_SL_E_clIS7_S7_SB_S7_EEDaSZ_S10_SG_SL_EUlSZ_E_NS1_11comp_targetILNS1_3genE9ELNS1_11target_archE1100ELNS1_3gpuE3ELNS1_3repE0EEENS1_47radix_sort_onesweep_sort_config_static_selectorELNS0_4arch9wavefront6targetE1EEEvSG_,"axG",@progbits,_ZN7rocprim17ROCPRIM_400000_NS6detail17trampoline_kernelINS0_14default_configENS1_35radix_sort_onesweep_config_selectorIllEEZZNS1_29radix_sort_onesweep_iterationIS3_Lb0EPlS7_N6thrust23THRUST_200600_302600_NS10device_ptrIlEESB_jNS0_19identity_decomposerENS1_16block_id_wrapperIjLb0EEEEE10hipError_tT1_PNSt15iterator_traitsISG_E10value_typeET2_T3_PNSH_ISM_E10value_typeET4_T5_PSR_SS_PNS1_23onesweep_lookback_stateEbbT6_jjT7_P12ihipStream_tbENKUlT_T0_SG_SL_E_clIS7_S7_SB_S7_EEDaSZ_S10_SG_SL_EUlSZ_E_NS1_11comp_targetILNS1_3genE9ELNS1_11target_archE1100ELNS1_3gpuE3ELNS1_3repE0EEENS1_47radix_sort_onesweep_sort_config_static_selectorELNS0_4arch9wavefront6targetE1EEEvSG_,comdat
	.protected	_ZN7rocprim17ROCPRIM_400000_NS6detail17trampoline_kernelINS0_14default_configENS1_35radix_sort_onesweep_config_selectorIllEEZZNS1_29radix_sort_onesweep_iterationIS3_Lb0EPlS7_N6thrust23THRUST_200600_302600_NS10device_ptrIlEESB_jNS0_19identity_decomposerENS1_16block_id_wrapperIjLb0EEEEE10hipError_tT1_PNSt15iterator_traitsISG_E10value_typeET2_T3_PNSH_ISM_E10value_typeET4_T5_PSR_SS_PNS1_23onesweep_lookback_stateEbbT6_jjT7_P12ihipStream_tbENKUlT_T0_SG_SL_E_clIS7_S7_SB_S7_EEDaSZ_S10_SG_SL_EUlSZ_E_NS1_11comp_targetILNS1_3genE9ELNS1_11target_archE1100ELNS1_3gpuE3ELNS1_3repE0EEENS1_47radix_sort_onesweep_sort_config_static_selectorELNS0_4arch9wavefront6targetE1EEEvSG_ ; -- Begin function _ZN7rocprim17ROCPRIM_400000_NS6detail17trampoline_kernelINS0_14default_configENS1_35radix_sort_onesweep_config_selectorIllEEZZNS1_29radix_sort_onesweep_iterationIS3_Lb0EPlS7_N6thrust23THRUST_200600_302600_NS10device_ptrIlEESB_jNS0_19identity_decomposerENS1_16block_id_wrapperIjLb0EEEEE10hipError_tT1_PNSt15iterator_traitsISG_E10value_typeET2_T3_PNSH_ISM_E10value_typeET4_T5_PSR_SS_PNS1_23onesweep_lookback_stateEbbT6_jjT7_P12ihipStream_tbENKUlT_T0_SG_SL_E_clIS7_S7_SB_S7_EEDaSZ_S10_SG_SL_EUlSZ_E_NS1_11comp_targetILNS1_3genE9ELNS1_11target_archE1100ELNS1_3gpuE3ELNS1_3repE0EEENS1_47radix_sort_onesweep_sort_config_static_selectorELNS0_4arch9wavefront6targetE1EEEvSG_
	.globl	_ZN7rocprim17ROCPRIM_400000_NS6detail17trampoline_kernelINS0_14default_configENS1_35radix_sort_onesweep_config_selectorIllEEZZNS1_29radix_sort_onesweep_iterationIS3_Lb0EPlS7_N6thrust23THRUST_200600_302600_NS10device_ptrIlEESB_jNS0_19identity_decomposerENS1_16block_id_wrapperIjLb0EEEEE10hipError_tT1_PNSt15iterator_traitsISG_E10value_typeET2_T3_PNSH_ISM_E10value_typeET4_T5_PSR_SS_PNS1_23onesweep_lookback_stateEbbT6_jjT7_P12ihipStream_tbENKUlT_T0_SG_SL_E_clIS7_S7_SB_S7_EEDaSZ_S10_SG_SL_EUlSZ_E_NS1_11comp_targetILNS1_3genE9ELNS1_11target_archE1100ELNS1_3gpuE3ELNS1_3repE0EEENS1_47radix_sort_onesweep_sort_config_static_selectorELNS0_4arch9wavefront6targetE1EEEvSG_
	.p2align	8
	.type	_ZN7rocprim17ROCPRIM_400000_NS6detail17trampoline_kernelINS0_14default_configENS1_35radix_sort_onesweep_config_selectorIllEEZZNS1_29radix_sort_onesweep_iterationIS3_Lb0EPlS7_N6thrust23THRUST_200600_302600_NS10device_ptrIlEESB_jNS0_19identity_decomposerENS1_16block_id_wrapperIjLb0EEEEE10hipError_tT1_PNSt15iterator_traitsISG_E10value_typeET2_T3_PNSH_ISM_E10value_typeET4_T5_PSR_SS_PNS1_23onesweep_lookback_stateEbbT6_jjT7_P12ihipStream_tbENKUlT_T0_SG_SL_E_clIS7_S7_SB_S7_EEDaSZ_S10_SG_SL_EUlSZ_E_NS1_11comp_targetILNS1_3genE9ELNS1_11target_archE1100ELNS1_3gpuE3ELNS1_3repE0EEENS1_47radix_sort_onesweep_sort_config_static_selectorELNS0_4arch9wavefront6targetE1EEEvSG_,@function
_ZN7rocprim17ROCPRIM_400000_NS6detail17trampoline_kernelINS0_14default_configENS1_35radix_sort_onesweep_config_selectorIllEEZZNS1_29radix_sort_onesweep_iterationIS3_Lb0EPlS7_N6thrust23THRUST_200600_302600_NS10device_ptrIlEESB_jNS0_19identity_decomposerENS1_16block_id_wrapperIjLb0EEEEE10hipError_tT1_PNSt15iterator_traitsISG_E10value_typeET2_T3_PNSH_ISM_E10value_typeET4_T5_PSR_SS_PNS1_23onesweep_lookback_stateEbbT6_jjT7_P12ihipStream_tbENKUlT_T0_SG_SL_E_clIS7_S7_SB_S7_EEDaSZ_S10_SG_SL_EUlSZ_E_NS1_11comp_targetILNS1_3genE9ELNS1_11target_archE1100ELNS1_3gpuE3ELNS1_3repE0EEENS1_47radix_sort_onesweep_sort_config_static_selectorELNS0_4arch9wavefront6targetE1EEEvSG_: ; @_ZN7rocprim17ROCPRIM_400000_NS6detail17trampoline_kernelINS0_14default_configENS1_35radix_sort_onesweep_config_selectorIllEEZZNS1_29radix_sort_onesweep_iterationIS3_Lb0EPlS7_N6thrust23THRUST_200600_302600_NS10device_ptrIlEESB_jNS0_19identity_decomposerENS1_16block_id_wrapperIjLb0EEEEE10hipError_tT1_PNSt15iterator_traitsISG_E10value_typeET2_T3_PNSH_ISM_E10value_typeET4_T5_PSR_SS_PNS1_23onesweep_lookback_stateEbbT6_jjT7_P12ihipStream_tbENKUlT_T0_SG_SL_E_clIS7_S7_SB_S7_EEDaSZ_S10_SG_SL_EUlSZ_E_NS1_11comp_targetILNS1_3genE9ELNS1_11target_archE1100ELNS1_3gpuE3ELNS1_3repE0EEENS1_47radix_sort_onesweep_sort_config_static_selectorELNS0_4arch9wavefront6targetE1EEEvSG_
; %bb.0:
	.section	.rodata,"a",@progbits
	.p2align	6, 0x0
	.amdhsa_kernel _ZN7rocprim17ROCPRIM_400000_NS6detail17trampoline_kernelINS0_14default_configENS1_35radix_sort_onesweep_config_selectorIllEEZZNS1_29radix_sort_onesweep_iterationIS3_Lb0EPlS7_N6thrust23THRUST_200600_302600_NS10device_ptrIlEESB_jNS0_19identity_decomposerENS1_16block_id_wrapperIjLb0EEEEE10hipError_tT1_PNSt15iterator_traitsISG_E10value_typeET2_T3_PNSH_ISM_E10value_typeET4_T5_PSR_SS_PNS1_23onesweep_lookback_stateEbbT6_jjT7_P12ihipStream_tbENKUlT_T0_SG_SL_E_clIS7_S7_SB_S7_EEDaSZ_S10_SG_SL_EUlSZ_E_NS1_11comp_targetILNS1_3genE9ELNS1_11target_archE1100ELNS1_3gpuE3ELNS1_3repE0EEENS1_47radix_sort_onesweep_sort_config_static_selectorELNS0_4arch9wavefront6targetE1EEEvSG_
		.amdhsa_group_segment_fixed_size 0
		.amdhsa_private_segment_fixed_size 0
		.amdhsa_kernarg_size 88
		.amdhsa_user_sgpr_count 6
		.amdhsa_user_sgpr_private_segment_buffer 1
		.amdhsa_user_sgpr_dispatch_ptr 0
		.amdhsa_user_sgpr_queue_ptr 0
		.amdhsa_user_sgpr_kernarg_segment_ptr 1
		.amdhsa_user_sgpr_dispatch_id 0
		.amdhsa_user_sgpr_flat_scratch_init 0
		.amdhsa_user_sgpr_kernarg_preload_length 0
		.amdhsa_user_sgpr_kernarg_preload_offset 0
		.amdhsa_user_sgpr_private_segment_size 0
		.amdhsa_uses_dynamic_stack 0
		.amdhsa_system_sgpr_private_segment_wavefront_offset 0
		.amdhsa_system_sgpr_workgroup_id_x 1
		.amdhsa_system_sgpr_workgroup_id_y 0
		.amdhsa_system_sgpr_workgroup_id_z 0
		.amdhsa_system_sgpr_workgroup_info 0
		.amdhsa_system_vgpr_workitem_id 0
		.amdhsa_next_free_vgpr 1
		.amdhsa_next_free_sgpr 0
		.amdhsa_accum_offset 4
		.amdhsa_reserve_vcc 0
		.amdhsa_reserve_flat_scratch 0
		.amdhsa_float_round_mode_32 0
		.amdhsa_float_round_mode_16_64 0
		.amdhsa_float_denorm_mode_32 3
		.amdhsa_float_denorm_mode_16_64 3
		.amdhsa_dx10_clamp 1
		.amdhsa_ieee_mode 1
		.amdhsa_fp16_overflow 0
		.amdhsa_tg_split 0
		.amdhsa_exception_fp_ieee_invalid_op 0
		.amdhsa_exception_fp_denorm_src 0
		.amdhsa_exception_fp_ieee_div_zero 0
		.amdhsa_exception_fp_ieee_overflow 0
		.amdhsa_exception_fp_ieee_underflow 0
		.amdhsa_exception_fp_ieee_inexact 0
		.amdhsa_exception_int_div_zero 0
	.end_amdhsa_kernel
	.section	.text._ZN7rocprim17ROCPRIM_400000_NS6detail17trampoline_kernelINS0_14default_configENS1_35radix_sort_onesweep_config_selectorIllEEZZNS1_29radix_sort_onesweep_iterationIS3_Lb0EPlS7_N6thrust23THRUST_200600_302600_NS10device_ptrIlEESB_jNS0_19identity_decomposerENS1_16block_id_wrapperIjLb0EEEEE10hipError_tT1_PNSt15iterator_traitsISG_E10value_typeET2_T3_PNSH_ISM_E10value_typeET4_T5_PSR_SS_PNS1_23onesweep_lookback_stateEbbT6_jjT7_P12ihipStream_tbENKUlT_T0_SG_SL_E_clIS7_S7_SB_S7_EEDaSZ_S10_SG_SL_EUlSZ_E_NS1_11comp_targetILNS1_3genE9ELNS1_11target_archE1100ELNS1_3gpuE3ELNS1_3repE0EEENS1_47radix_sort_onesweep_sort_config_static_selectorELNS0_4arch9wavefront6targetE1EEEvSG_,"axG",@progbits,_ZN7rocprim17ROCPRIM_400000_NS6detail17trampoline_kernelINS0_14default_configENS1_35radix_sort_onesweep_config_selectorIllEEZZNS1_29radix_sort_onesweep_iterationIS3_Lb0EPlS7_N6thrust23THRUST_200600_302600_NS10device_ptrIlEESB_jNS0_19identity_decomposerENS1_16block_id_wrapperIjLb0EEEEE10hipError_tT1_PNSt15iterator_traitsISG_E10value_typeET2_T3_PNSH_ISM_E10value_typeET4_T5_PSR_SS_PNS1_23onesweep_lookback_stateEbbT6_jjT7_P12ihipStream_tbENKUlT_T0_SG_SL_E_clIS7_S7_SB_S7_EEDaSZ_S10_SG_SL_EUlSZ_E_NS1_11comp_targetILNS1_3genE9ELNS1_11target_archE1100ELNS1_3gpuE3ELNS1_3repE0EEENS1_47radix_sort_onesweep_sort_config_static_selectorELNS0_4arch9wavefront6targetE1EEEvSG_,comdat
.Lfunc_end1175:
	.size	_ZN7rocprim17ROCPRIM_400000_NS6detail17trampoline_kernelINS0_14default_configENS1_35radix_sort_onesweep_config_selectorIllEEZZNS1_29radix_sort_onesweep_iterationIS3_Lb0EPlS7_N6thrust23THRUST_200600_302600_NS10device_ptrIlEESB_jNS0_19identity_decomposerENS1_16block_id_wrapperIjLb0EEEEE10hipError_tT1_PNSt15iterator_traitsISG_E10value_typeET2_T3_PNSH_ISM_E10value_typeET4_T5_PSR_SS_PNS1_23onesweep_lookback_stateEbbT6_jjT7_P12ihipStream_tbENKUlT_T0_SG_SL_E_clIS7_S7_SB_S7_EEDaSZ_S10_SG_SL_EUlSZ_E_NS1_11comp_targetILNS1_3genE9ELNS1_11target_archE1100ELNS1_3gpuE3ELNS1_3repE0EEENS1_47radix_sort_onesweep_sort_config_static_selectorELNS0_4arch9wavefront6targetE1EEEvSG_, .Lfunc_end1175-_ZN7rocprim17ROCPRIM_400000_NS6detail17trampoline_kernelINS0_14default_configENS1_35radix_sort_onesweep_config_selectorIllEEZZNS1_29radix_sort_onesweep_iterationIS3_Lb0EPlS7_N6thrust23THRUST_200600_302600_NS10device_ptrIlEESB_jNS0_19identity_decomposerENS1_16block_id_wrapperIjLb0EEEEE10hipError_tT1_PNSt15iterator_traitsISG_E10value_typeET2_T3_PNSH_ISM_E10value_typeET4_T5_PSR_SS_PNS1_23onesweep_lookback_stateEbbT6_jjT7_P12ihipStream_tbENKUlT_T0_SG_SL_E_clIS7_S7_SB_S7_EEDaSZ_S10_SG_SL_EUlSZ_E_NS1_11comp_targetILNS1_3genE9ELNS1_11target_archE1100ELNS1_3gpuE3ELNS1_3repE0EEENS1_47radix_sort_onesweep_sort_config_static_selectorELNS0_4arch9wavefront6targetE1EEEvSG_
                                        ; -- End function
	.section	.AMDGPU.csdata,"",@progbits
; Kernel info:
; codeLenInByte = 0
; NumSgprs: 4
; NumVgprs: 0
; NumAgprs: 0
; TotalNumVgprs: 0
; ScratchSize: 0
; MemoryBound: 0
; FloatMode: 240
; IeeeMode: 1
; LDSByteSize: 0 bytes/workgroup (compile time only)
; SGPRBlocks: 0
; VGPRBlocks: 0
; NumSGPRsForWavesPerEU: 4
; NumVGPRsForWavesPerEU: 1
; AccumOffset: 4
; Occupancy: 8
; WaveLimiterHint : 0
; COMPUTE_PGM_RSRC2:SCRATCH_EN: 0
; COMPUTE_PGM_RSRC2:USER_SGPR: 6
; COMPUTE_PGM_RSRC2:TRAP_HANDLER: 0
; COMPUTE_PGM_RSRC2:TGID_X_EN: 1
; COMPUTE_PGM_RSRC2:TGID_Y_EN: 0
; COMPUTE_PGM_RSRC2:TGID_Z_EN: 0
; COMPUTE_PGM_RSRC2:TIDIG_COMP_CNT: 0
; COMPUTE_PGM_RSRC3_GFX90A:ACCUM_OFFSET: 0
; COMPUTE_PGM_RSRC3_GFX90A:TG_SPLIT: 0
	.section	.text._ZN7rocprim17ROCPRIM_400000_NS6detail17trampoline_kernelINS0_14default_configENS1_35radix_sort_onesweep_config_selectorIllEEZZNS1_29radix_sort_onesweep_iterationIS3_Lb0EPlS7_N6thrust23THRUST_200600_302600_NS10device_ptrIlEESB_jNS0_19identity_decomposerENS1_16block_id_wrapperIjLb0EEEEE10hipError_tT1_PNSt15iterator_traitsISG_E10value_typeET2_T3_PNSH_ISM_E10value_typeET4_T5_PSR_SS_PNS1_23onesweep_lookback_stateEbbT6_jjT7_P12ihipStream_tbENKUlT_T0_SG_SL_E_clIS7_S7_SB_S7_EEDaSZ_S10_SG_SL_EUlSZ_E_NS1_11comp_targetILNS1_3genE8ELNS1_11target_archE1030ELNS1_3gpuE2ELNS1_3repE0EEENS1_47radix_sort_onesweep_sort_config_static_selectorELNS0_4arch9wavefront6targetE1EEEvSG_,"axG",@progbits,_ZN7rocprim17ROCPRIM_400000_NS6detail17trampoline_kernelINS0_14default_configENS1_35radix_sort_onesweep_config_selectorIllEEZZNS1_29radix_sort_onesweep_iterationIS3_Lb0EPlS7_N6thrust23THRUST_200600_302600_NS10device_ptrIlEESB_jNS0_19identity_decomposerENS1_16block_id_wrapperIjLb0EEEEE10hipError_tT1_PNSt15iterator_traitsISG_E10value_typeET2_T3_PNSH_ISM_E10value_typeET4_T5_PSR_SS_PNS1_23onesweep_lookback_stateEbbT6_jjT7_P12ihipStream_tbENKUlT_T0_SG_SL_E_clIS7_S7_SB_S7_EEDaSZ_S10_SG_SL_EUlSZ_E_NS1_11comp_targetILNS1_3genE8ELNS1_11target_archE1030ELNS1_3gpuE2ELNS1_3repE0EEENS1_47radix_sort_onesweep_sort_config_static_selectorELNS0_4arch9wavefront6targetE1EEEvSG_,comdat
	.protected	_ZN7rocprim17ROCPRIM_400000_NS6detail17trampoline_kernelINS0_14default_configENS1_35radix_sort_onesweep_config_selectorIllEEZZNS1_29radix_sort_onesweep_iterationIS3_Lb0EPlS7_N6thrust23THRUST_200600_302600_NS10device_ptrIlEESB_jNS0_19identity_decomposerENS1_16block_id_wrapperIjLb0EEEEE10hipError_tT1_PNSt15iterator_traitsISG_E10value_typeET2_T3_PNSH_ISM_E10value_typeET4_T5_PSR_SS_PNS1_23onesweep_lookback_stateEbbT6_jjT7_P12ihipStream_tbENKUlT_T0_SG_SL_E_clIS7_S7_SB_S7_EEDaSZ_S10_SG_SL_EUlSZ_E_NS1_11comp_targetILNS1_3genE8ELNS1_11target_archE1030ELNS1_3gpuE2ELNS1_3repE0EEENS1_47radix_sort_onesweep_sort_config_static_selectorELNS0_4arch9wavefront6targetE1EEEvSG_ ; -- Begin function _ZN7rocprim17ROCPRIM_400000_NS6detail17trampoline_kernelINS0_14default_configENS1_35radix_sort_onesweep_config_selectorIllEEZZNS1_29radix_sort_onesweep_iterationIS3_Lb0EPlS7_N6thrust23THRUST_200600_302600_NS10device_ptrIlEESB_jNS0_19identity_decomposerENS1_16block_id_wrapperIjLb0EEEEE10hipError_tT1_PNSt15iterator_traitsISG_E10value_typeET2_T3_PNSH_ISM_E10value_typeET4_T5_PSR_SS_PNS1_23onesweep_lookback_stateEbbT6_jjT7_P12ihipStream_tbENKUlT_T0_SG_SL_E_clIS7_S7_SB_S7_EEDaSZ_S10_SG_SL_EUlSZ_E_NS1_11comp_targetILNS1_3genE8ELNS1_11target_archE1030ELNS1_3gpuE2ELNS1_3repE0EEENS1_47radix_sort_onesweep_sort_config_static_selectorELNS0_4arch9wavefront6targetE1EEEvSG_
	.globl	_ZN7rocprim17ROCPRIM_400000_NS6detail17trampoline_kernelINS0_14default_configENS1_35radix_sort_onesweep_config_selectorIllEEZZNS1_29radix_sort_onesweep_iterationIS3_Lb0EPlS7_N6thrust23THRUST_200600_302600_NS10device_ptrIlEESB_jNS0_19identity_decomposerENS1_16block_id_wrapperIjLb0EEEEE10hipError_tT1_PNSt15iterator_traitsISG_E10value_typeET2_T3_PNSH_ISM_E10value_typeET4_T5_PSR_SS_PNS1_23onesweep_lookback_stateEbbT6_jjT7_P12ihipStream_tbENKUlT_T0_SG_SL_E_clIS7_S7_SB_S7_EEDaSZ_S10_SG_SL_EUlSZ_E_NS1_11comp_targetILNS1_3genE8ELNS1_11target_archE1030ELNS1_3gpuE2ELNS1_3repE0EEENS1_47radix_sort_onesweep_sort_config_static_selectorELNS0_4arch9wavefront6targetE1EEEvSG_
	.p2align	8
	.type	_ZN7rocprim17ROCPRIM_400000_NS6detail17trampoline_kernelINS0_14default_configENS1_35radix_sort_onesweep_config_selectorIllEEZZNS1_29radix_sort_onesweep_iterationIS3_Lb0EPlS7_N6thrust23THRUST_200600_302600_NS10device_ptrIlEESB_jNS0_19identity_decomposerENS1_16block_id_wrapperIjLb0EEEEE10hipError_tT1_PNSt15iterator_traitsISG_E10value_typeET2_T3_PNSH_ISM_E10value_typeET4_T5_PSR_SS_PNS1_23onesweep_lookback_stateEbbT6_jjT7_P12ihipStream_tbENKUlT_T0_SG_SL_E_clIS7_S7_SB_S7_EEDaSZ_S10_SG_SL_EUlSZ_E_NS1_11comp_targetILNS1_3genE8ELNS1_11target_archE1030ELNS1_3gpuE2ELNS1_3repE0EEENS1_47radix_sort_onesweep_sort_config_static_selectorELNS0_4arch9wavefront6targetE1EEEvSG_,@function
_ZN7rocprim17ROCPRIM_400000_NS6detail17trampoline_kernelINS0_14default_configENS1_35radix_sort_onesweep_config_selectorIllEEZZNS1_29radix_sort_onesweep_iterationIS3_Lb0EPlS7_N6thrust23THRUST_200600_302600_NS10device_ptrIlEESB_jNS0_19identity_decomposerENS1_16block_id_wrapperIjLb0EEEEE10hipError_tT1_PNSt15iterator_traitsISG_E10value_typeET2_T3_PNSH_ISM_E10value_typeET4_T5_PSR_SS_PNS1_23onesweep_lookback_stateEbbT6_jjT7_P12ihipStream_tbENKUlT_T0_SG_SL_E_clIS7_S7_SB_S7_EEDaSZ_S10_SG_SL_EUlSZ_E_NS1_11comp_targetILNS1_3genE8ELNS1_11target_archE1030ELNS1_3gpuE2ELNS1_3repE0EEENS1_47radix_sort_onesweep_sort_config_static_selectorELNS0_4arch9wavefront6targetE1EEEvSG_: ; @_ZN7rocprim17ROCPRIM_400000_NS6detail17trampoline_kernelINS0_14default_configENS1_35radix_sort_onesweep_config_selectorIllEEZZNS1_29radix_sort_onesweep_iterationIS3_Lb0EPlS7_N6thrust23THRUST_200600_302600_NS10device_ptrIlEESB_jNS0_19identity_decomposerENS1_16block_id_wrapperIjLb0EEEEE10hipError_tT1_PNSt15iterator_traitsISG_E10value_typeET2_T3_PNSH_ISM_E10value_typeET4_T5_PSR_SS_PNS1_23onesweep_lookback_stateEbbT6_jjT7_P12ihipStream_tbENKUlT_T0_SG_SL_E_clIS7_S7_SB_S7_EEDaSZ_S10_SG_SL_EUlSZ_E_NS1_11comp_targetILNS1_3genE8ELNS1_11target_archE1030ELNS1_3gpuE2ELNS1_3repE0EEENS1_47radix_sort_onesweep_sort_config_static_selectorELNS0_4arch9wavefront6targetE1EEEvSG_
; %bb.0:
	.section	.rodata,"a",@progbits
	.p2align	6, 0x0
	.amdhsa_kernel _ZN7rocprim17ROCPRIM_400000_NS6detail17trampoline_kernelINS0_14default_configENS1_35radix_sort_onesweep_config_selectorIllEEZZNS1_29radix_sort_onesweep_iterationIS3_Lb0EPlS7_N6thrust23THRUST_200600_302600_NS10device_ptrIlEESB_jNS0_19identity_decomposerENS1_16block_id_wrapperIjLb0EEEEE10hipError_tT1_PNSt15iterator_traitsISG_E10value_typeET2_T3_PNSH_ISM_E10value_typeET4_T5_PSR_SS_PNS1_23onesweep_lookback_stateEbbT6_jjT7_P12ihipStream_tbENKUlT_T0_SG_SL_E_clIS7_S7_SB_S7_EEDaSZ_S10_SG_SL_EUlSZ_E_NS1_11comp_targetILNS1_3genE8ELNS1_11target_archE1030ELNS1_3gpuE2ELNS1_3repE0EEENS1_47radix_sort_onesweep_sort_config_static_selectorELNS0_4arch9wavefront6targetE1EEEvSG_
		.amdhsa_group_segment_fixed_size 0
		.amdhsa_private_segment_fixed_size 0
		.amdhsa_kernarg_size 88
		.amdhsa_user_sgpr_count 6
		.amdhsa_user_sgpr_private_segment_buffer 1
		.amdhsa_user_sgpr_dispatch_ptr 0
		.amdhsa_user_sgpr_queue_ptr 0
		.amdhsa_user_sgpr_kernarg_segment_ptr 1
		.amdhsa_user_sgpr_dispatch_id 0
		.amdhsa_user_sgpr_flat_scratch_init 0
		.amdhsa_user_sgpr_kernarg_preload_length 0
		.amdhsa_user_sgpr_kernarg_preload_offset 0
		.amdhsa_user_sgpr_private_segment_size 0
		.amdhsa_uses_dynamic_stack 0
		.amdhsa_system_sgpr_private_segment_wavefront_offset 0
		.amdhsa_system_sgpr_workgroup_id_x 1
		.amdhsa_system_sgpr_workgroup_id_y 0
		.amdhsa_system_sgpr_workgroup_id_z 0
		.amdhsa_system_sgpr_workgroup_info 0
		.amdhsa_system_vgpr_workitem_id 0
		.amdhsa_next_free_vgpr 1
		.amdhsa_next_free_sgpr 0
		.amdhsa_accum_offset 4
		.amdhsa_reserve_vcc 0
		.amdhsa_reserve_flat_scratch 0
		.amdhsa_float_round_mode_32 0
		.amdhsa_float_round_mode_16_64 0
		.amdhsa_float_denorm_mode_32 3
		.amdhsa_float_denorm_mode_16_64 3
		.amdhsa_dx10_clamp 1
		.amdhsa_ieee_mode 1
		.amdhsa_fp16_overflow 0
		.amdhsa_tg_split 0
		.amdhsa_exception_fp_ieee_invalid_op 0
		.amdhsa_exception_fp_denorm_src 0
		.amdhsa_exception_fp_ieee_div_zero 0
		.amdhsa_exception_fp_ieee_overflow 0
		.amdhsa_exception_fp_ieee_underflow 0
		.amdhsa_exception_fp_ieee_inexact 0
		.amdhsa_exception_int_div_zero 0
	.end_amdhsa_kernel
	.section	.text._ZN7rocprim17ROCPRIM_400000_NS6detail17trampoline_kernelINS0_14default_configENS1_35radix_sort_onesweep_config_selectorIllEEZZNS1_29radix_sort_onesweep_iterationIS3_Lb0EPlS7_N6thrust23THRUST_200600_302600_NS10device_ptrIlEESB_jNS0_19identity_decomposerENS1_16block_id_wrapperIjLb0EEEEE10hipError_tT1_PNSt15iterator_traitsISG_E10value_typeET2_T3_PNSH_ISM_E10value_typeET4_T5_PSR_SS_PNS1_23onesweep_lookback_stateEbbT6_jjT7_P12ihipStream_tbENKUlT_T0_SG_SL_E_clIS7_S7_SB_S7_EEDaSZ_S10_SG_SL_EUlSZ_E_NS1_11comp_targetILNS1_3genE8ELNS1_11target_archE1030ELNS1_3gpuE2ELNS1_3repE0EEENS1_47radix_sort_onesweep_sort_config_static_selectorELNS0_4arch9wavefront6targetE1EEEvSG_,"axG",@progbits,_ZN7rocprim17ROCPRIM_400000_NS6detail17trampoline_kernelINS0_14default_configENS1_35radix_sort_onesweep_config_selectorIllEEZZNS1_29radix_sort_onesweep_iterationIS3_Lb0EPlS7_N6thrust23THRUST_200600_302600_NS10device_ptrIlEESB_jNS0_19identity_decomposerENS1_16block_id_wrapperIjLb0EEEEE10hipError_tT1_PNSt15iterator_traitsISG_E10value_typeET2_T3_PNSH_ISM_E10value_typeET4_T5_PSR_SS_PNS1_23onesweep_lookback_stateEbbT6_jjT7_P12ihipStream_tbENKUlT_T0_SG_SL_E_clIS7_S7_SB_S7_EEDaSZ_S10_SG_SL_EUlSZ_E_NS1_11comp_targetILNS1_3genE8ELNS1_11target_archE1030ELNS1_3gpuE2ELNS1_3repE0EEENS1_47radix_sort_onesweep_sort_config_static_selectorELNS0_4arch9wavefront6targetE1EEEvSG_,comdat
.Lfunc_end1176:
	.size	_ZN7rocprim17ROCPRIM_400000_NS6detail17trampoline_kernelINS0_14default_configENS1_35radix_sort_onesweep_config_selectorIllEEZZNS1_29radix_sort_onesweep_iterationIS3_Lb0EPlS7_N6thrust23THRUST_200600_302600_NS10device_ptrIlEESB_jNS0_19identity_decomposerENS1_16block_id_wrapperIjLb0EEEEE10hipError_tT1_PNSt15iterator_traitsISG_E10value_typeET2_T3_PNSH_ISM_E10value_typeET4_T5_PSR_SS_PNS1_23onesweep_lookback_stateEbbT6_jjT7_P12ihipStream_tbENKUlT_T0_SG_SL_E_clIS7_S7_SB_S7_EEDaSZ_S10_SG_SL_EUlSZ_E_NS1_11comp_targetILNS1_3genE8ELNS1_11target_archE1030ELNS1_3gpuE2ELNS1_3repE0EEENS1_47radix_sort_onesweep_sort_config_static_selectorELNS0_4arch9wavefront6targetE1EEEvSG_, .Lfunc_end1176-_ZN7rocprim17ROCPRIM_400000_NS6detail17trampoline_kernelINS0_14default_configENS1_35radix_sort_onesweep_config_selectorIllEEZZNS1_29radix_sort_onesweep_iterationIS3_Lb0EPlS7_N6thrust23THRUST_200600_302600_NS10device_ptrIlEESB_jNS0_19identity_decomposerENS1_16block_id_wrapperIjLb0EEEEE10hipError_tT1_PNSt15iterator_traitsISG_E10value_typeET2_T3_PNSH_ISM_E10value_typeET4_T5_PSR_SS_PNS1_23onesweep_lookback_stateEbbT6_jjT7_P12ihipStream_tbENKUlT_T0_SG_SL_E_clIS7_S7_SB_S7_EEDaSZ_S10_SG_SL_EUlSZ_E_NS1_11comp_targetILNS1_3genE8ELNS1_11target_archE1030ELNS1_3gpuE2ELNS1_3repE0EEENS1_47radix_sort_onesweep_sort_config_static_selectorELNS0_4arch9wavefront6targetE1EEEvSG_
                                        ; -- End function
	.section	.AMDGPU.csdata,"",@progbits
; Kernel info:
; codeLenInByte = 0
; NumSgprs: 4
; NumVgprs: 0
; NumAgprs: 0
; TotalNumVgprs: 0
; ScratchSize: 0
; MemoryBound: 0
; FloatMode: 240
; IeeeMode: 1
; LDSByteSize: 0 bytes/workgroup (compile time only)
; SGPRBlocks: 0
; VGPRBlocks: 0
; NumSGPRsForWavesPerEU: 4
; NumVGPRsForWavesPerEU: 1
; AccumOffset: 4
; Occupancy: 8
; WaveLimiterHint : 0
; COMPUTE_PGM_RSRC2:SCRATCH_EN: 0
; COMPUTE_PGM_RSRC2:USER_SGPR: 6
; COMPUTE_PGM_RSRC2:TRAP_HANDLER: 0
; COMPUTE_PGM_RSRC2:TGID_X_EN: 1
; COMPUTE_PGM_RSRC2:TGID_Y_EN: 0
; COMPUTE_PGM_RSRC2:TGID_Z_EN: 0
; COMPUTE_PGM_RSRC2:TIDIG_COMP_CNT: 0
; COMPUTE_PGM_RSRC3_GFX90A:ACCUM_OFFSET: 0
; COMPUTE_PGM_RSRC3_GFX90A:TG_SPLIT: 0
	.section	.text._ZN7rocprim17ROCPRIM_400000_NS6detail17trampoline_kernelINS0_14default_configENS1_35radix_sort_onesweep_config_selectorIllEEZZNS1_29radix_sort_onesweep_iterationIS3_Lb0EPlS7_N6thrust23THRUST_200600_302600_NS10device_ptrIlEESB_jNS0_19identity_decomposerENS1_16block_id_wrapperIjLb0EEEEE10hipError_tT1_PNSt15iterator_traitsISG_E10value_typeET2_T3_PNSH_ISM_E10value_typeET4_T5_PSR_SS_PNS1_23onesweep_lookback_stateEbbT6_jjT7_P12ihipStream_tbENKUlT_T0_SG_SL_E_clIS7_S7_S7_SB_EEDaSZ_S10_SG_SL_EUlSZ_E_NS1_11comp_targetILNS1_3genE0ELNS1_11target_archE4294967295ELNS1_3gpuE0ELNS1_3repE0EEENS1_47radix_sort_onesweep_sort_config_static_selectorELNS0_4arch9wavefront6targetE1EEEvSG_,"axG",@progbits,_ZN7rocprim17ROCPRIM_400000_NS6detail17trampoline_kernelINS0_14default_configENS1_35radix_sort_onesweep_config_selectorIllEEZZNS1_29radix_sort_onesweep_iterationIS3_Lb0EPlS7_N6thrust23THRUST_200600_302600_NS10device_ptrIlEESB_jNS0_19identity_decomposerENS1_16block_id_wrapperIjLb0EEEEE10hipError_tT1_PNSt15iterator_traitsISG_E10value_typeET2_T3_PNSH_ISM_E10value_typeET4_T5_PSR_SS_PNS1_23onesweep_lookback_stateEbbT6_jjT7_P12ihipStream_tbENKUlT_T0_SG_SL_E_clIS7_S7_S7_SB_EEDaSZ_S10_SG_SL_EUlSZ_E_NS1_11comp_targetILNS1_3genE0ELNS1_11target_archE4294967295ELNS1_3gpuE0ELNS1_3repE0EEENS1_47radix_sort_onesweep_sort_config_static_selectorELNS0_4arch9wavefront6targetE1EEEvSG_,comdat
	.protected	_ZN7rocprim17ROCPRIM_400000_NS6detail17trampoline_kernelINS0_14default_configENS1_35radix_sort_onesweep_config_selectorIllEEZZNS1_29radix_sort_onesweep_iterationIS3_Lb0EPlS7_N6thrust23THRUST_200600_302600_NS10device_ptrIlEESB_jNS0_19identity_decomposerENS1_16block_id_wrapperIjLb0EEEEE10hipError_tT1_PNSt15iterator_traitsISG_E10value_typeET2_T3_PNSH_ISM_E10value_typeET4_T5_PSR_SS_PNS1_23onesweep_lookback_stateEbbT6_jjT7_P12ihipStream_tbENKUlT_T0_SG_SL_E_clIS7_S7_S7_SB_EEDaSZ_S10_SG_SL_EUlSZ_E_NS1_11comp_targetILNS1_3genE0ELNS1_11target_archE4294967295ELNS1_3gpuE0ELNS1_3repE0EEENS1_47radix_sort_onesweep_sort_config_static_selectorELNS0_4arch9wavefront6targetE1EEEvSG_ ; -- Begin function _ZN7rocprim17ROCPRIM_400000_NS6detail17trampoline_kernelINS0_14default_configENS1_35radix_sort_onesweep_config_selectorIllEEZZNS1_29radix_sort_onesweep_iterationIS3_Lb0EPlS7_N6thrust23THRUST_200600_302600_NS10device_ptrIlEESB_jNS0_19identity_decomposerENS1_16block_id_wrapperIjLb0EEEEE10hipError_tT1_PNSt15iterator_traitsISG_E10value_typeET2_T3_PNSH_ISM_E10value_typeET4_T5_PSR_SS_PNS1_23onesweep_lookback_stateEbbT6_jjT7_P12ihipStream_tbENKUlT_T0_SG_SL_E_clIS7_S7_S7_SB_EEDaSZ_S10_SG_SL_EUlSZ_E_NS1_11comp_targetILNS1_3genE0ELNS1_11target_archE4294967295ELNS1_3gpuE0ELNS1_3repE0EEENS1_47radix_sort_onesweep_sort_config_static_selectorELNS0_4arch9wavefront6targetE1EEEvSG_
	.globl	_ZN7rocprim17ROCPRIM_400000_NS6detail17trampoline_kernelINS0_14default_configENS1_35radix_sort_onesweep_config_selectorIllEEZZNS1_29radix_sort_onesweep_iterationIS3_Lb0EPlS7_N6thrust23THRUST_200600_302600_NS10device_ptrIlEESB_jNS0_19identity_decomposerENS1_16block_id_wrapperIjLb0EEEEE10hipError_tT1_PNSt15iterator_traitsISG_E10value_typeET2_T3_PNSH_ISM_E10value_typeET4_T5_PSR_SS_PNS1_23onesweep_lookback_stateEbbT6_jjT7_P12ihipStream_tbENKUlT_T0_SG_SL_E_clIS7_S7_S7_SB_EEDaSZ_S10_SG_SL_EUlSZ_E_NS1_11comp_targetILNS1_3genE0ELNS1_11target_archE4294967295ELNS1_3gpuE0ELNS1_3repE0EEENS1_47radix_sort_onesweep_sort_config_static_selectorELNS0_4arch9wavefront6targetE1EEEvSG_
	.p2align	8
	.type	_ZN7rocprim17ROCPRIM_400000_NS6detail17trampoline_kernelINS0_14default_configENS1_35radix_sort_onesweep_config_selectorIllEEZZNS1_29radix_sort_onesweep_iterationIS3_Lb0EPlS7_N6thrust23THRUST_200600_302600_NS10device_ptrIlEESB_jNS0_19identity_decomposerENS1_16block_id_wrapperIjLb0EEEEE10hipError_tT1_PNSt15iterator_traitsISG_E10value_typeET2_T3_PNSH_ISM_E10value_typeET4_T5_PSR_SS_PNS1_23onesweep_lookback_stateEbbT6_jjT7_P12ihipStream_tbENKUlT_T0_SG_SL_E_clIS7_S7_S7_SB_EEDaSZ_S10_SG_SL_EUlSZ_E_NS1_11comp_targetILNS1_3genE0ELNS1_11target_archE4294967295ELNS1_3gpuE0ELNS1_3repE0EEENS1_47radix_sort_onesweep_sort_config_static_selectorELNS0_4arch9wavefront6targetE1EEEvSG_,@function
_ZN7rocprim17ROCPRIM_400000_NS6detail17trampoline_kernelINS0_14default_configENS1_35radix_sort_onesweep_config_selectorIllEEZZNS1_29radix_sort_onesweep_iterationIS3_Lb0EPlS7_N6thrust23THRUST_200600_302600_NS10device_ptrIlEESB_jNS0_19identity_decomposerENS1_16block_id_wrapperIjLb0EEEEE10hipError_tT1_PNSt15iterator_traitsISG_E10value_typeET2_T3_PNSH_ISM_E10value_typeET4_T5_PSR_SS_PNS1_23onesweep_lookback_stateEbbT6_jjT7_P12ihipStream_tbENKUlT_T0_SG_SL_E_clIS7_S7_S7_SB_EEDaSZ_S10_SG_SL_EUlSZ_E_NS1_11comp_targetILNS1_3genE0ELNS1_11target_archE4294967295ELNS1_3gpuE0ELNS1_3repE0EEENS1_47radix_sort_onesweep_sort_config_static_selectorELNS0_4arch9wavefront6targetE1EEEvSG_: ; @_ZN7rocprim17ROCPRIM_400000_NS6detail17trampoline_kernelINS0_14default_configENS1_35radix_sort_onesweep_config_selectorIllEEZZNS1_29radix_sort_onesweep_iterationIS3_Lb0EPlS7_N6thrust23THRUST_200600_302600_NS10device_ptrIlEESB_jNS0_19identity_decomposerENS1_16block_id_wrapperIjLb0EEEEE10hipError_tT1_PNSt15iterator_traitsISG_E10value_typeET2_T3_PNSH_ISM_E10value_typeET4_T5_PSR_SS_PNS1_23onesweep_lookback_stateEbbT6_jjT7_P12ihipStream_tbENKUlT_T0_SG_SL_E_clIS7_S7_S7_SB_EEDaSZ_S10_SG_SL_EUlSZ_E_NS1_11comp_targetILNS1_3genE0ELNS1_11target_archE4294967295ELNS1_3gpuE0ELNS1_3repE0EEENS1_47radix_sort_onesweep_sort_config_static_selectorELNS0_4arch9wavefront6targetE1EEEvSG_
; %bb.0:
	.section	.rodata,"a",@progbits
	.p2align	6, 0x0
	.amdhsa_kernel _ZN7rocprim17ROCPRIM_400000_NS6detail17trampoline_kernelINS0_14default_configENS1_35radix_sort_onesweep_config_selectorIllEEZZNS1_29radix_sort_onesweep_iterationIS3_Lb0EPlS7_N6thrust23THRUST_200600_302600_NS10device_ptrIlEESB_jNS0_19identity_decomposerENS1_16block_id_wrapperIjLb0EEEEE10hipError_tT1_PNSt15iterator_traitsISG_E10value_typeET2_T3_PNSH_ISM_E10value_typeET4_T5_PSR_SS_PNS1_23onesweep_lookback_stateEbbT6_jjT7_P12ihipStream_tbENKUlT_T0_SG_SL_E_clIS7_S7_S7_SB_EEDaSZ_S10_SG_SL_EUlSZ_E_NS1_11comp_targetILNS1_3genE0ELNS1_11target_archE4294967295ELNS1_3gpuE0ELNS1_3repE0EEENS1_47radix_sort_onesweep_sort_config_static_selectorELNS0_4arch9wavefront6targetE1EEEvSG_
		.amdhsa_group_segment_fixed_size 0
		.amdhsa_private_segment_fixed_size 0
		.amdhsa_kernarg_size 88
		.amdhsa_user_sgpr_count 6
		.amdhsa_user_sgpr_private_segment_buffer 1
		.amdhsa_user_sgpr_dispatch_ptr 0
		.amdhsa_user_sgpr_queue_ptr 0
		.amdhsa_user_sgpr_kernarg_segment_ptr 1
		.amdhsa_user_sgpr_dispatch_id 0
		.amdhsa_user_sgpr_flat_scratch_init 0
		.amdhsa_user_sgpr_kernarg_preload_length 0
		.amdhsa_user_sgpr_kernarg_preload_offset 0
		.amdhsa_user_sgpr_private_segment_size 0
		.amdhsa_uses_dynamic_stack 0
		.amdhsa_system_sgpr_private_segment_wavefront_offset 0
		.amdhsa_system_sgpr_workgroup_id_x 1
		.amdhsa_system_sgpr_workgroup_id_y 0
		.amdhsa_system_sgpr_workgroup_id_z 0
		.amdhsa_system_sgpr_workgroup_info 0
		.amdhsa_system_vgpr_workitem_id 0
		.amdhsa_next_free_vgpr 1
		.amdhsa_next_free_sgpr 0
		.amdhsa_accum_offset 4
		.amdhsa_reserve_vcc 0
		.amdhsa_reserve_flat_scratch 0
		.amdhsa_float_round_mode_32 0
		.amdhsa_float_round_mode_16_64 0
		.amdhsa_float_denorm_mode_32 3
		.amdhsa_float_denorm_mode_16_64 3
		.amdhsa_dx10_clamp 1
		.amdhsa_ieee_mode 1
		.amdhsa_fp16_overflow 0
		.amdhsa_tg_split 0
		.amdhsa_exception_fp_ieee_invalid_op 0
		.amdhsa_exception_fp_denorm_src 0
		.amdhsa_exception_fp_ieee_div_zero 0
		.amdhsa_exception_fp_ieee_overflow 0
		.amdhsa_exception_fp_ieee_underflow 0
		.amdhsa_exception_fp_ieee_inexact 0
		.amdhsa_exception_int_div_zero 0
	.end_amdhsa_kernel
	.section	.text._ZN7rocprim17ROCPRIM_400000_NS6detail17trampoline_kernelINS0_14default_configENS1_35radix_sort_onesweep_config_selectorIllEEZZNS1_29radix_sort_onesweep_iterationIS3_Lb0EPlS7_N6thrust23THRUST_200600_302600_NS10device_ptrIlEESB_jNS0_19identity_decomposerENS1_16block_id_wrapperIjLb0EEEEE10hipError_tT1_PNSt15iterator_traitsISG_E10value_typeET2_T3_PNSH_ISM_E10value_typeET4_T5_PSR_SS_PNS1_23onesweep_lookback_stateEbbT6_jjT7_P12ihipStream_tbENKUlT_T0_SG_SL_E_clIS7_S7_S7_SB_EEDaSZ_S10_SG_SL_EUlSZ_E_NS1_11comp_targetILNS1_3genE0ELNS1_11target_archE4294967295ELNS1_3gpuE0ELNS1_3repE0EEENS1_47radix_sort_onesweep_sort_config_static_selectorELNS0_4arch9wavefront6targetE1EEEvSG_,"axG",@progbits,_ZN7rocprim17ROCPRIM_400000_NS6detail17trampoline_kernelINS0_14default_configENS1_35radix_sort_onesweep_config_selectorIllEEZZNS1_29radix_sort_onesweep_iterationIS3_Lb0EPlS7_N6thrust23THRUST_200600_302600_NS10device_ptrIlEESB_jNS0_19identity_decomposerENS1_16block_id_wrapperIjLb0EEEEE10hipError_tT1_PNSt15iterator_traitsISG_E10value_typeET2_T3_PNSH_ISM_E10value_typeET4_T5_PSR_SS_PNS1_23onesweep_lookback_stateEbbT6_jjT7_P12ihipStream_tbENKUlT_T0_SG_SL_E_clIS7_S7_S7_SB_EEDaSZ_S10_SG_SL_EUlSZ_E_NS1_11comp_targetILNS1_3genE0ELNS1_11target_archE4294967295ELNS1_3gpuE0ELNS1_3repE0EEENS1_47radix_sort_onesweep_sort_config_static_selectorELNS0_4arch9wavefront6targetE1EEEvSG_,comdat
.Lfunc_end1177:
	.size	_ZN7rocprim17ROCPRIM_400000_NS6detail17trampoline_kernelINS0_14default_configENS1_35radix_sort_onesweep_config_selectorIllEEZZNS1_29radix_sort_onesweep_iterationIS3_Lb0EPlS7_N6thrust23THRUST_200600_302600_NS10device_ptrIlEESB_jNS0_19identity_decomposerENS1_16block_id_wrapperIjLb0EEEEE10hipError_tT1_PNSt15iterator_traitsISG_E10value_typeET2_T3_PNSH_ISM_E10value_typeET4_T5_PSR_SS_PNS1_23onesweep_lookback_stateEbbT6_jjT7_P12ihipStream_tbENKUlT_T0_SG_SL_E_clIS7_S7_S7_SB_EEDaSZ_S10_SG_SL_EUlSZ_E_NS1_11comp_targetILNS1_3genE0ELNS1_11target_archE4294967295ELNS1_3gpuE0ELNS1_3repE0EEENS1_47radix_sort_onesweep_sort_config_static_selectorELNS0_4arch9wavefront6targetE1EEEvSG_, .Lfunc_end1177-_ZN7rocprim17ROCPRIM_400000_NS6detail17trampoline_kernelINS0_14default_configENS1_35radix_sort_onesweep_config_selectorIllEEZZNS1_29radix_sort_onesweep_iterationIS3_Lb0EPlS7_N6thrust23THRUST_200600_302600_NS10device_ptrIlEESB_jNS0_19identity_decomposerENS1_16block_id_wrapperIjLb0EEEEE10hipError_tT1_PNSt15iterator_traitsISG_E10value_typeET2_T3_PNSH_ISM_E10value_typeET4_T5_PSR_SS_PNS1_23onesweep_lookback_stateEbbT6_jjT7_P12ihipStream_tbENKUlT_T0_SG_SL_E_clIS7_S7_S7_SB_EEDaSZ_S10_SG_SL_EUlSZ_E_NS1_11comp_targetILNS1_3genE0ELNS1_11target_archE4294967295ELNS1_3gpuE0ELNS1_3repE0EEENS1_47radix_sort_onesweep_sort_config_static_selectorELNS0_4arch9wavefront6targetE1EEEvSG_
                                        ; -- End function
	.section	.AMDGPU.csdata,"",@progbits
; Kernel info:
; codeLenInByte = 0
; NumSgprs: 4
; NumVgprs: 0
; NumAgprs: 0
; TotalNumVgprs: 0
; ScratchSize: 0
; MemoryBound: 0
; FloatMode: 240
; IeeeMode: 1
; LDSByteSize: 0 bytes/workgroup (compile time only)
; SGPRBlocks: 0
; VGPRBlocks: 0
; NumSGPRsForWavesPerEU: 4
; NumVGPRsForWavesPerEU: 1
; AccumOffset: 4
; Occupancy: 8
; WaveLimiterHint : 0
; COMPUTE_PGM_RSRC2:SCRATCH_EN: 0
; COMPUTE_PGM_RSRC2:USER_SGPR: 6
; COMPUTE_PGM_RSRC2:TRAP_HANDLER: 0
; COMPUTE_PGM_RSRC2:TGID_X_EN: 1
; COMPUTE_PGM_RSRC2:TGID_Y_EN: 0
; COMPUTE_PGM_RSRC2:TGID_Z_EN: 0
; COMPUTE_PGM_RSRC2:TIDIG_COMP_CNT: 0
; COMPUTE_PGM_RSRC3_GFX90A:ACCUM_OFFSET: 0
; COMPUTE_PGM_RSRC3_GFX90A:TG_SPLIT: 0
	.section	.text._ZN7rocprim17ROCPRIM_400000_NS6detail17trampoline_kernelINS0_14default_configENS1_35radix_sort_onesweep_config_selectorIllEEZZNS1_29radix_sort_onesweep_iterationIS3_Lb0EPlS7_N6thrust23THRUST_200600_302600_NS10device_ptrIlEESB_jNS0_19identity_decomposerENS1_16block_id_wrapperIjLb0EEEEE10hipError_tT1_PNSt15iterator_traitsISG_E10value_typeET2_T3_PNSH_ISM_E10value_typeET4_T5_PSR_SS_PNS1_23onesweep_lookback_stateEbbT6_jjT7_P12ihipStream_tbENKUlT_T0_SG_SL_E_clIS7_S7_S7_SB_EEDaSZ_S10_SG_SL_EUlSZ_E_NS1_11comp_targetILNS1_3genE6ELNS1_11target_archE950ELNS1_3gpuE13ELNS1_3repE0EEENS1_47radix_sort_onesweep_sort_config_static_selectorELNS0_4arch9wavefront6targetE1EEEvSG_,"axG",@progbits,_ZN7rocprim17ROCPRIM_400000_NS6detail17trampoline_kernelINS0_14default_configENS1_35radix_sort_onesweep_config_selectorIllEEZZNS1_29radix_sort_onesweep_iterationIS3_Lb0EPlS7_N6thrust23THRUST_200600_302600_NS10device_ptrIlEESB_jNS0_19identity_decomposerENS1_16block_id_wrapperIjLb0EEEEE10hipError_tT1_PNSt15iterator_traitsISG_E10value_typeET2_T3_PNSH_ISM_E10value_typeET4_T5_PSR_SS_PNS1_23onesweep_lookback_stateEbbT6_jjT7_P12ihipStream_tbENKUlT_T0_SG_SL_E_clIS7_S7_S7_SB_EEDaSZ_S10_SG_SL_EUlSZ_E_NS1_11comp_targetILNS1_3genE6ELNS1_11target_archE950ELNS1_3gpuE13ELNS1_3repE0EEENS1_47radix_sort_onesweep_sort_config_static_selectorELNS0_4arch9wavefront6targetE1EEEvSG_,comdat
	.protected	_ZN7rocprim17ROCPRIM_400000_NS6detail17trampoline_kernelINS0_14default_configENS1_35radix_sort_onesweep_config_selectorIllEEZZNS1_29radix_sort_onesweep_iterationIS3_Lb0EPlS7_N6thrust23THRUST_200600_302600_NS10device_ptrIlEESB_jNS0_19identity_decomposerENS1_16block_id_wrapperIjLb0EEEEE10hipError_tT1_PNSt15iterator_traitsISG_E10value_typeET2_T3_PNSH_ISM_E10value_typeET4_T5_PSR_SS_PNS1_23onesweep_lookback_stateEbbT6_jjT7_P12ihipStream_tbENKUlT_T0_SG_SL_E_clIS7_S7_S7_SB_EEDaSZ_S10_SG_SL_EUlSZ_E_NS1_11comp_targetILNS1_3genE6ELNS1_11target_archE950ELNS1_3gpuE13ELNS1_3repE0EEENS1_47radix_sort_onesweep_sort_config_static_selectorELNS0_4arch9wavefront6targetE1EEEvSG_ ; -- Begin function _ZN7rocprim17ROCPRIM_400000_NS6detail17trampoline_kernelINS0_14default_configENS1_35radix_sort_onesweep_config_selectorIllEEZZNS1_29radix_sort_onesweep_iterationIS3_Lb0EPlS7_N6thrust23THRUST_200600_302600_NS10device_ptrIlEESB_jNS0_19identity_decomposerENS1_16block_id_wrapperIjLb0EEEEE10hipError_tT1_PNSt15iterator_traitsISG_E10value_typeET2_T3_PNSH_ISM_E10value_typeET4_T5_PSR_SS_PNS1_23onesweep_lookback_stateEbbT6_jjT7_P12ihipStream_tbENKUlT_T0_SG_SL_E_clIS7_S7_S7_SB_EEDaSZ_S10_SG_SL_EUlSZ_E_NS1_11comp_targetILNS1_3genE6ELNS1_11target_archE950ELNS1_3gpuE13ELNS1_3repE0EEENS1_47radix_sort_onesweep_sort_config_static_selectorELNS0_4arch9wavefront6targetE1EEEvSG_
	.globl	_ZN7rocprim17ROCPRIM_400000_NS6detail17trampoline_kernelINS0_14default_configENS1_35radix_sort_onesweep_config_selectorIllEEZZNS1_29radix_sort_onesweep_iterationIS3_Lb0EPlS7_N6thrust23THRUST_200600_302600_NS10device_ptrIlEESB_jNS0_19identity_decomposerENS1_16block_id_wrapperIjLb0EEEEE10hipError_tT1_PNSt15iterator_traitsISG_E10value_typeET2_T3_PNSH_ISM_E10value_typeET4_T5_PSR_SS_PNS1_23onesweep_lookback_stateEbbT6_jjT7_P12ihipStream_tbENKUlT_T0_SG_SL_E_clIS7_S7_S7_SB_EEDaSZ_S10_SG_SL_EUlSZ_E_NS1_11comp_targetILNS1_3genE6ELNS1_11target_archE950ELNS1_3gpuE13ELNS1_3repE0EEENS1_47radix_sort_onesweep_sort_config_static_selectorELNS0_4arch9wavefront6targetE1EEEvSG_
	.p2align	8
	.type	_ZN7rocprim17ROCPRIM_400000_NS6detail17trampoline_kernelINS0_14default_configENS1_35radix_sort_onesweep_config_selectorIllEEZZNS1_29radix_sort_onesweep_iterationIS3_Lb0EPlS7_N6thrust23THRUST_200600_302600_NS10device_ptrIlEESB_jNS0_19identity_decomposerENS1_16block_id_wrapperIjLb0EEEEE10hipError_tT1_PNSt15iterator_traitsISG_E10value_typeET2_T3_PNSH_ISM_E10value_typeET4_T5_PSR_SS_PNS1_23onesweep_lookback_stateEbbT6_jjT7_P12ihipStream_tbENKUlT_T0_SG_SL_E_clIS7_S7_S7_SB_EEDaSZ_S10_SG_SL_EUlSZ_E_NS1_11comp_targetILNS1_3genE6ELNS1_11target_archE950ELNS1_3gpuE13ELNS1_3repE0EEENS1_47radix_sort_onesweep_sort_config_static_selectorELNS0_4arch9wavefront6targetE1EEEvSG_,@function
_ZN7rocprim17ROCPRIM_400000_NS6detail17trampoline_kernelINS0_14default_configENS1_35radix_sort_onesweep_config_selectorIllEEZZNS1_29radix_sort_onesweep_iterationIS3_Lb0EPlS7_N6thrust23THRUST_200600_302600_NS10device_ptrIlEESB_jNS0_19identity_decomposerENS1_16block_id_wrapperIjLb0EEEEE10hipError_tT1_PNSt15iterator_traitsISG_E10value_typeET2_T3_PNSH_ISM_E10value_typeET4_T5_PSR_SS_PNS1_23onesweep_lookback_stateEbbT6_jjT7_P12ihipStream_tbENKUlT_T0_SG_SL_E_clIS7_S7_S7_SB_EEDaSZ_S10_SG_SL_EUlSZ_E_NS1_11comp_targetILNS1_3genE6ELNS1_11target_archE950ELNS1_3gpuE13ELNS1_3repE0EEENS1_47radix_sort_onesweep_sort_config_static_selectorELNS0_4arch9wavefront6targetE1EEEvSG_: ; @_ZN7rocprim17ROCPRIM_400000_NS6detail17trampoline_kernelINS0_14default_configENS1_35radix_sort_onesweep_config_selectorIllEEZZNS1_29radix_sort_onesweep_iterationIS3_Lb0EPlS7_N6thrust23THRUST_200600_302600_NS10device_ptrIlEESB_jNS0_19identity_decomposerENS1_16block_id_wrapperIjLb0EEEEE10hipError_tT1_PNSt15iterator_traitsISG_E10value_typeET2_T3_PNSH_ISM_E10value_typeET4_T5_PSR_SS_PNS1_23onesweep_lookback_stateEbbT6_jjT7_P12ihipStream_tbENKUlT_T0_SG_SL_E_clIS7_S7_S7_SB_EEDaSZ_S10_SG_SL_EUlSZ_E_NS1_11comp_targetILNS1_3genE6ELNS1_11target_archE950ELNS1_3gpuE13ELNS1_3repE0EEENS1_47radix_sort_onesweep_sort_config_static_selectorELNS0_4arch9wavefront6targetE1EEEvSG_
; %bb.0:
	.section	.rodata,"a",@progbits
	.p2align	6, 0x0
	.amdhsa_kernel _ZN7rocprim17ROCPRIM_400000_NS6detail17trampoline_kernelINS0_14default_configENS1_35radix_sort_onesweep_config_selectorIllEEZZNS1_29radix_sort_onesweep_iterationIS3_Lb0EPlS7_N6thrust23THRUST_200600_302600_NS10device_ptrIlEESB_jNS0_19identity_decomposerENS1_16block_id_wrapperIjLb0EEEEE10hipError_tT1_PNSt15iterator_traitsISG_E10value_typeET2_T3_PNSH_ISM_E10value_typeET4_T5_PSR_SS_PNS1_23onesweep_lookback_stateEbbT6_jjT7_P12ihipStream_tbENKUlT_T0_SG_SL_E_clIS7_S7_S7_SB_EEDaSZ_S10_SG_SL_EUlSZ_E_NS1_11comp_targetILNS1_3genE6ELNS1_11target_archE950ELNS1_3gpuE13ELNS1_3repE0EEENS1_47radix_sort_onesweep_sort_config_static_selectorELNS0_4arch9wavefront6targetE1EEEvSG_
		.amdhsa_group_segment_fixed_size 0
		.amdhsa_private_segment_fixed_size 0
		.amdhsa_kernarg_size 88
		.amdhsa_user_sgpr_count 6
		.amdhsa_user_sgpr_private_segment_buffer 1
		.amdhsa_user_sgpr_dispatch_ptr 0
		.amdhsa_user_sgpr_queue_ptr 0
		.amdhsa_user_sgpr_kernarg_segment_ptr 1
		.amdhsa_user_sgpr_dispatch_id 0
		.amdhsa_user_sgpr_flat_scratch_init 0
		.amdhsa_user_sgpr_kernarg_preload_length 0
		.amdhsa_user_sgpr_kernarg_preload_offset 0
		.amdhsa_user_sgpr_private_segment_size 0
		.amdhsa_uses_dynamic_stack 0
		.amdhsa_system_sgpr_private_segment_wavefront_offset 0
		.amdhsa_system_sgpr_workgroup_id_x 1
		.amdhsa_system_sgpr_workgroup_id_y 0
		.amdhsa_system_sgpr_workgroup_id_z 0
		.amdhsa_system_sgpr_workgroup_info 0
		.amdhsa_system_vgpr_workitem_id 0
		.amdhsa_next_free_vgpr 1
		.amdhsa_next_free_sgpr 0
		.amdhsa_accum_offset 4
		.amdhsa_reserve_vcc 0
		.amdhsa_reserve_flat_scratch 0
		.amdhsa_float_round_mode_32 0
		.amdhsa_float_round_mode_16_64 0
		.amdhsa_float_denorm_mode_32 3
		.amdhsa_float_denorm_mode_16_64 3
		.amdhsa_dx10_clamp 1
		.amdhsa_ieee_mode 1
		.amdhsa_fp16_overflow 0
		.amdhsa_tg_split 0
		.amdhsa_exception_fp_ieee_invalid_op 0
		.amdhsa_exception_fp_denorm_src 0
		.amdhsa_exception_fp_ieee_div_zero 0
		.amdhsa_exception_fp_ieee_overflow 0
		.amdhsa_exception_fp_ieee_underflow 0
		.amdhsa_exception_fp_ieee_inexact 0
		.amdhsa_exception_int_div_zero 0
	.end_amdhsa_kernel
	.section	.text._ZN7rocprim17ROCPRIM_400000_NS6detail17trampoline_kernelINS0_14default_configENS1_35radix_sort_onesweep_config_selectorIllEEZZNS1_29radix_sort_onesweep_iterationIS3_Lb0EPlS7_N6thrust23THRUST_200600_302600_NS10device_ptrIlEESB_jNS0_19identity_decomposerENS1_16block_id_wrapperIjLb0EEEEE10hipError_tT1_PNSt15iterator_traitsISG_E10value_typeET2_T3_PNSH_ISM_E10value_typeET4_T5_PSR_SS_PNS1_23onesweep_lookback_stateEbbT6_jjT7_P12ihipStream_tbENKUlT_T0_SG_SL_E_clIS7_S7_S7_SB_EEDaSZ_S10_SG_SL_EUlSZ_E_NS1_11comp_targetILNS1_3genE6ELNS1_11target_archE950ELNS1_3gpuE13ELNS1_3repE0EEENS1_47radix_sort_onesweep_sort_config_static_selectorELNS0_4arch9wavefront6targetE1EEEvSG_,"axG",@progbits,_ZN7rocprim17ROCPRIM_400000_NS6detail17trampoline_kernelINS0_14default_configENS1_35radix_sort_onesweep_config_selectorIllEEZZNS1_29radix_sort_onesweep_iterationIS3_Lb0EPlS7_N6thrust23THRUST_200600_302600_NS10device_ptrIlEESB_jNS0_19identity_decomposerENS1_16block_id_wrapperIjLb0EEEEE10hipError_tT1_PNSt15iterator_traitsISG_E10value_typeET2_T3_PNSH_ISM_E10value_typeET4_T5_PSR_SS_PNS1_23onesweep_lookback_stateEbbT6_jjT7_P12ihipStream_tbENKUlT_T0_SG_SL_E_clIS7_S7_S7_SB_EEDaSZ_S10_SG_SL_EUlSZ_E_NS1_11comp_targetILNS1_3genE6ELNS1_11target_archE950ELNS1_3gpuE13ELNS1_3repE0EEENS1_47radix_sort_onesweep_sort_config_static_selectorELNS0_4arch9wavefront6targetE1EEEvSG_,comdat
.Lfunc_end1178:
	.size	_ZN7rocprim17ROCPRIM_400000_NS6detail17trampoline_kernelINS0_14default_configENS1_35radix_sort_onesweep_config_selectorIllEEZZNS1_29radix_sort_onesweep_iterationIS3_Lb0EPlS7_N6thrust23THRUST_200600_302600_NS10device_ptrIlEESB_jNS0_19identity_decomposerENS1_16block_id_wrapperIjLb0EEEEE10hipError_tT1_PNSt15iterator_traitsISG_E10value_typeET2_T3_PNSH_ISM_E10value_typeET4_T5_PSR_SS_PNS1_23onesweep_lookback_stateEbbT6_jjT7_P12ihipStream_tbENKUlT_T0_SG_SL_E_clIS7_S7_S7_SB_EEDaSZ_S10_SG_SL_EUlSZ_E_NS1_11comp_targetILNS1_3genE6ELNS1_11target_archE950ELNS1_3gpuE13ELNS1_3repE0EEENS1_47radix_sort_onesweep_sort_config_static_selectorELNS0_4arch9wavefront6targetE1EEEvSG_, .Lfunc_end1178-_ZN7rocprim17ROCPRIM_400000_NS6detail17trampoline_kernelINS0_14default_configENS1_35radix_sort_onesweep_config_selectorIllEEZZNS1_29radix_sort_onesweep_iterationIS3_Lb0EPlS7_N6thrust23THRUST_200600_302600_NS10device_ptrIlEESB_jNS0_19identity_decomposerENS1_16block_id_wrapperIjLb0EEEEE10hipError_tT1_PNSt15iterator_traitsISG_E10value_typeET2_T3_PNSH_ISM_E10value_typeET4_T5_PSR_SS_PNS1_23onesweep_lookback_stateEbbT6_jjT7_P12ihipStream_tbENKUlT_T0_SG_SL_E_clIS7_S7_S7_SB_EEDaSZ_S10_SG_SL_EUlSZ_E_NS1_11comp_targetILNS1_3genE6ELNS1_11target_archE950ELNS1_3gpuE13ELNS1_3repE0EEENS1_47radix_sort_onesweep_sort_config_static_selectorELNS0_4arch9wavefront6targetE1EEEvSG_
                                        ; -- End function
	.section	.AMDGPU.csdata,"",@progbits
; Kernel info:
; codeLenInByte = 0
; NumSgprs: 4
; NumVgprs: 0
; NumAgprs: 0
; TotalNumVgprs: 0
; ScratchSize: 0
; MemoryBound: 0
; FloatMode: 240
; IeeeMode: 1
; LDSByteSize: 0 bytes/workgroup (compile time only)
; SGPRBlocks: 0
; VGPRBlocks: 0
; NumSGPRsForWavesPerEU: 4
; NumVGPRsForWavesPerEU: 1
; AccumOffset: 4
; Occupancy: 8
; WaveLimiterHint : 0
; COMPUTE_PGM_RSRC2:SCRATCH_EN: 0
; COMPUTE_PGM_RSRC2:USER_SGPR: 6
; COMPUTE_PGM_RSRC2:TRAP_HANDLER: 0
; COMPUTE_PGM_RSRC2:TGID_X_EN: 1
; COMPUTE_PGM_RSRC2:TGID_Y_EN: 0
; COMPUTE_PGM_RSRC2:TGID_Z_EN: 0
; COMPUTE_PGM_RSRC2:TIDIG_COMP_CNT: 0
; COMPUTE_PGM_RSRC3_GFX90A:ACCUM_OFFSET: 0
; COMPUTE_PGM_RSRC3_GFX90A:TG_SPLIT: 0
	.section	.text._ZN7rocprim17ROCPRIM_400000_NS6detail17trampoline_kernelINS0_14default_configENS1_35radix_sort_onesweep_config_selectorIllEEZZNS1_29radix_sort_onesweep_iterationIS3_Lb0EPlS7_N6thrust23THRUST_200600_302600_NS10device_ptrIlEESB_jNS0_19identity_decomposerENS1_16block_id_wrapperIjLb0EEEEE10hipError_tT1_PNSt15iterator_traitsISG_E10value_typeET2_T3_PNSH_ISM_E10value_typeET4_T5_PSR_SS_PNS1_23onesweep_lookback_stateEbbT6_jjT7_P12ihipStream_tbENKUlT_T0_SG_SL_E_clIS7_S7_S7_SB_EEDaSZ_S10_SG_SL_EUlSZ_E_NS1_11comp_targetILNS1_3genE5ELNS1_11target_archE942ELNS1_3gpuE9ELNS1_3repE0EEENS1_47radix_sort_onesweep_sort_config_static_selectorELNS0_4arch9wavefront6targetE1EEEvSG_,"axG",@progbits,_ZN7rocprim17ROCPRIM_400000_NS6detail17trampoline_kernelINS0_14default_configENS1_35radix_sort_onesweep_config_selectorIllEEZZNS1_29radix_sort_onesweep_iterationIS3_Lb0EPlS7_N6thrust23THRUST_200600_302600_NS10device_ptrIlEESB_jNS0_19identity_decomposerENS1_16block_id_wrapperIjLb0EEEEE10hipError_tT1_PNSt15iterator_traitsISG_E10value_typeET2_T3_PNSH_ISM_E10value_typeET4_T5_PSR_SS_PNS1_23onesweep_lookback_stateEbbT6_jjT7_P12ihipStream_tbENKUlT_T0_SG_SL_E_clIS7_S7_S7_SB_EEDaSZ_S10_SG_SL_EUlSZ_E_NS1_11comp_targetILNS1_3genE5ELNS1_11target_archE942ELNS1_3gpuE9ELNS1_3repE0EEENS1_47radix_sort_onesweep_sort_config_static_selectorELNS0_4arch9wavefront6targetE1EEEvSG_,comdat
	.protected	_ZN7rocprim17ROCPRIM_400000_NS6detail17trampoline_kernelINS0_14default_configENS1_35radix_sort_onesweep_config_selectorIllEEZZNS1_29radix_sort_onesweep_iterationIS3_Lb0EPlS7_N6thrust23THRUST_200600_302600_NS10device_ptrIlEESB_jNS0_19identity_decomposerENS1_16block_id_wrapperIjLb0EEEEE10hipError_tT1_PNSt15iterator_traitsISG_E10value_typeET2_T3_PNSH_ISM_E10value_typeET4_T5_PSR_SS_PNS1_23onesweep_lookback_stateEbbT6_jjT7_P12ihipStream_tbENKUlT_T0_SG_SL_E_clIS7_S7_S7_SB_EEDaSZ_S10_SG_SL_EUlSZ_E_NS1_11comp_targetILNS1_3genE5ELNS1_11target_archE942ELNS1_3gpuE9ELNS1_3repE0EEENS1_47radix_sort_onesweep_sort_config_static_selectorELNS0_4arch9wavefront6targetE1EEEvSG_ ; -- Begin function _ZN7rocprim17ROCPRIM_400000_NS6detail17trampoline_kernelINS0_14default_configENS1_35radix_sort_onesweep_config_selectorIllEEZZNS1_29radix_sort_onesweep_iterationIS3_Lb0EPlS7_N6thrust23THRUST_200600_302600_NS10device_ptrIlEESB_jNS0_19identity_decomposerENS1_16block_id_wrapperIjLb0EEEEE10hipError_tT1_PNSt15iterator_traitsISG_E10value_typeET2_T3_PNSH_ISM_E10value_typeET4_T5_PSR_SS_PNS1_23onesweep_lookback_stateEbbT6_jjT7_P12ihipStream_tbENKUlT_T0_SG_SL_E_clIS7_S7_S7_SB_EEDaSZ_S10_SG_SL_EUlSZ_E_NS1_11comp_targetILNS1_3genE5ELNS1_11target_archE942ELNS1_3gpuE9ELNS1_3repE0EEENS1_47radix_sort_onesweep_sort_config_static_selectorELNS0_4arch9wavefront6targetE1EEEvSG_
	.globl	_ZN7rocprim17ROCPRIM_400000_NS6detail17trampoline_kernelINS0_14default_configENS1_35radix_sort_onesweep_config_selectorIllEEZZNS1_29radix_sort_onesweep_iterationIS3_Lb0EPlS7_N6thrust23THRUST_200600_302600_NS10device_ptrIlEESB_jNS0_19identity_decomposerENS1_16block_id_wrapperIjLb0EEEEE10hipError_tT1_PNSt15iterator_traitsISG_E10value_typeET2_T3_PNSH_ISM_E10value_typeET4_T5_PSR_SS_PNS1_23onesweep_lookback_stateEbbT6_jjT7_P12ihipStream_tbENKUlT_T0_SG_SL_E_clIS7_S7_S7_SB_EEDaSZ_S10_SG_SL_EUlSZ_E_NS1_11comp_targetILNS1_3genE5ELNS1_11target_archE942ELNS1_3gpuE9ELNS1_3repE0EEENS1_47radix_sort_onesweep_sort_config_static_selectorELNS0_4arch9wavefront6targetE1EEEvSG_
	.p2align	8
	.type	_ZN7rocprim17ROCPRIM_400000_NS6detail17trampoline_kernelINS0_14default_configENS1_35radix_sort_onesweep_config_selectorIllEEZZNS1_29radix_sort_onesweep_iterationIS3_Lb0EPlS7_N6thrust23THRUST_200600_302600_NS10device_ptrIlEESB_jNS0_19identity_decomposerENS1_16block_id_wrapperIjLb0EEEEE10hipError_tT1_PNSt15iterator_traitsISG_E10value_typeET2_T3_PNSH_ISM_E10value_typeET4_T5_PSR_SS_PNS1_23onesweep_lookback_stateEbbT6_jjT7_P12ihipStream_tbENKUlT_T0_SG_SL_E_clIS7_S7_S7_SB_EEDaSZ_S10_SG_SL_EUlSZ_E_NS1_11comp_targetILNS1_3genE5ELNS1_11target_archE942ELNS1_3gpuE9ELNS1_3repE0EEENS1_47radix_sort_onesweep_sort_config_static_selectorELNS0_4arch9wavefront6targetE1EEEvSG_,@function
_ZN7rocprim17ROCPRIM_400000_NS6detail17trampoline_kernelINS0_14default_configENS1_35radix_sort_onesweep_config_selectorIllEEZZNS1_29radix_sort_onesweep_iterationIS3_Lb0EPlS7_N6thrust23THRUST_200600_302600_NS10device_ptrIlEESB_jNS0_19identity_decomposerENS1_16block_id_wrapperIjLb0EEEEE10hipError_tT1_PNSt15iterator_traitsISG_E10value_typeET2_T3_PNSH_ISM_E10value_typeET4_T5_PSR_SS_PNS1_23onesweep_lookback_stateEbbT6_jjT7_P12ihipStream_tbENKUlT_T0_SG_SL_E_clIS7_S7_S7_SB_EEDaSZ_S10_SG_SL_EUlSZ_E_NS1_11comp_targetILNS1_3genE5ELNS1_11target_archE942ELNS1_3gpuE9ELNS1_3repE0EEENS1_47radix_sort_onesweep_sort_config_static_selectorELNS0_4arch9wavefront6targetE1EEEvSG_: ; @_ZN7rocprim17ROCPRIM_400000_NS6detail17trampoline_kernelINS0_14default_configENS1_35radix_sort_onesweep_config_selectorIllEEZZNS1_29radix_sort_onesweep_iterationIS3_Lb0EPlS7_N6thrust23THRUST_200600_302600_NS10device_ptrIlEESB_jNS0_19identity_decomposerENS1_16block_id_wrapperIjLb0EEEEE10hipError_tT1_PNSt15iterator_traitsISG_E10value_typeET2_T3_PNSH_ISM_E10value_typeET4_T5_PSR_SS_PNS1_23onesweep_lookback_stateEbbT6_jjT7_P12ihipStream_tbENKUlT_T0_SG_SL_E_clIS7_S7_S7_SB_EEDaSZ_S10_SG_SL_EUlSZ_E_NS1_11comp_targetILNS1_3genE5ELNS1_11target_archE942ELNS1_3gpuE9ELNS1_3repE0EEENS1_47radix_sort_onesweep_sort_config_static_selectorELNS0_4arch9wavefront6targetE1EEEvSG_
; %bb.0:
	.section	.rodata,"a",@progbits
	.p2align	6, 0x0
	.amdhsa_kernel _ZN7rocprim17ROCPRIM_400000_NS6detail17trampoline_kernelINS0_14default_configENS1_35radix_sort_onesweep_config_selectorIllEEZZNS1_29radix_sort_onesweep_iterationIS3_Lb0EPlS7_N6thrust23THRUST_200600_302600_NS10device_ptrIlEESB_jNS0_19identity_decomposerENS1_16block_id_wrapperIjLb0EEEEE10hipError_tT1_PNSt15iterator_traitsISG_E10value_typeET2_T3_PNSH_ISM_E10value_typeET4_T5_PSR_SS_PNS1_23onesweep_lookback_stateEbbT6_jjT7_P12ihipStream_tbENKUlT_T0_SG_SL_E_clIS7_S7_S7_SB_EEDaSZ_S10_SG_SL_EUlSZ_E_NS1_11comp_targetILNS1_3genE5ELNS1_11target_archE942ELNS1_3gpuE9ELNS1_3repE0EEENS1_47radix_sort_onesweep_sort_config_static_selectorELNS0_4arch9wavefront6targetE1EEEvSG_
		.amdhsa_group_segment_fixed_size 0
		.amdhsa_private_segment_fixed_size 0
		.amdhsa_kernarg_size 88
		.amdhsa_user_sgpr_count 6
		.amdhsa_user_sgpr_private_segment_buffer 1
		.amdhsa_user_sgpr_dispatch_ptr 0
		.amdhsa_user_sgpr_queue_ptr 0
		.amdhsa_user_sgpr_kernarg_segment_ptr 1
		.amdhsa_user_sgpr_dispatch_id 0
		.amdhsa_user_sgpr_flat_scratch_init 0
		.amdhsa_user_sgpr_kernarg_preload_length 0
		.amdhsa_user_sgpr_kernarg_preload_offset 0
		.amdhsa_user_sgpr_private_segment_size 0
		.amdhsa_uses_dynamic_stack 0
		.amdhsa_system_sgpr_private_segment_wavefront_offset 0
		.amdhsa_system_sgpr_workgroup_id_x 1
		.amdhsa_system_sgpr_workgroup_id_y 0
		.amdhsa_system_sgpr_workgroup_id_z 0
		.amdhsa_system_sgpr_workgroup_info 0
		.amdhsa_system_vgpr_workitem_id 0
		.amdhsa_next_free_vgpr 1
		.amdhsa_next_free_sgpr 0
		.amdhsa_accum_offset 4
		.amdhsa_reserve_vcc 0
		.amdhsa_reserve_flat_scratch 0
		.amdhsa_float_round_mode_32 0
		.amdhsa_float_round_mode_16_64 0
		.amdhsa_float_denorm_mode_32 3
		.amdhsa_float_denorm_mode_16_64 3
		.amdhsa_dx10_clamp 1
		.amdhsa_ieee_mode 1
		.amdhsa_fp16_overflow 0
		.amdhsa_tg_split 0
		.amdhsa_exception_fp_ieee_invalid_op 0
		.amdhsa_exception_fp_denorm_src 0
		.amdhsa_exception_fp_ieee_div_zero 0
		.amdhsa_exception_fp_ieee_overflow 0
		.amdhsa_exception_fp_ieee_underflow 0
		.amdhsa_exception_fp_ieee_inexact 0
		.amdhsa_exception_int_div_zero 0
	.end_amdhsa_kernel
	.section	.text._ZN7rocprim17ROCPRIM_400000_NS6detail17trampoline_kernelINS0_14default_configENS1_35radix_sort_onesweep_config_selectorIllEEZZNS1_29radix_sort_onesweep_iterationIS3_Lb0EPlS7_N6thrust23THRUST_200600_302600_NS10device_ptrIlEESB_jNS0_19identity_decomposerENS1_16block_id_wrapperIjLb0EEEEE10hipError_tT1_PNSt15iterator_traitsISG_E10value_typeET2_T3_PNSH_ISM_E10value_typeET4_T5_PSR_SS_PNS1_23onesweep_lookback_stateEbbT6_jjT7_P12ihipStream_tbENKUlT_T0_SG_SL_E_clIS7_S7_S7_SB_EEDaSZ_S10_SG_SL_EUlSZ_E_NS1_11comp_targetILNS1_3genE5ELNS1_11target_archE942ELNS1_3gpuE9ELNS1_3repE0EEENS1_47radix_sort_onesweep_sort_config_static_selectorELNS0_4arch9wavefront6targetE1EEEvSG_,"axG",@progbits,_ZN7rocprim17ROCPRIM_400000_NS6detail17trampoline_kernelINS0_14default_configENS1_35radix_sort_onesweep_config_selectorIllEEZZNS1_29radix_sort_onesweep_iterationIS3_Lb0EPlS7_N6thrust23THRUST_200600_302600_NS10device_ptrIlEESB_jNS0_19identity_decomposerENS1_16block_id_wrapperIjLb0EEEEE10hipError_tT1_PNSt15iterator_traitsISG_E10value_typeET2_T3_PNSH_ISM_E10value_typeET4_T5_PSR_SS_PNS1_23onesweep_lookback_stateEbbT6_jjT7_P12ihipStream_tbENKUlT_T0_SG_SL_E_clIS7_S7_S7_SB_EEDaSZ_S10_SG_SL_EUlSZ_E_NS1_11comp_targetILNS1_3genE5ELNS1_11target_archE942ELNS1_3gpuE9ELNS1_3repE0EEENS1_47radix_sort_onesweep_sort_config_static_selectorELNS0_4arch9wavefront6targetE1EEEvSG_,comdat
.Lfunc_end1179:
	.size	_ZN7rocprim17ROCPRIM_400000_NS6detail17trampoline_kernelINS0_14default_configENS1_35radix_sort_onesweep_config_selectorIllEEZZNS1_29radix_sort_onesweep_iterationIS3_Lb0EPlS7_N6thrust23THRUST_200600_302600_NS10device_ptrIlEESB_jNS0_19identity_decomposerENS1_16block_id_wrapperIjLb0EEEEE10hipError_tT1_PNSt15iterator_traitsISG_E10value_typeET2_T3_PNSH_ISM_E10value_typeET4_T5_PSR_SS_PNS1_23onesweep_lookback_stateEbbT6_jjT7_P12ihipStream_tbENKUlT_T0_SG_SL_E_clIS7_S7_S7_SB_EEDaSZ_S10_SG_SL_EUlSZ_E_NS1_11comp_targetILNS1_3genE5ELNS1_11target_archE942ELNS1_3gpuE9ELNS1_3repE0EEENS1_47radix_sort_onesweep_sort_config_static_selectorELNS0_4arch9wavefront6targetE1EEEvSG_, .Lfunc_end1179-_ZN7rocprim17ROCPRIM_400000_NS6detail17trampoline_kernelINS0_14default_configENS1_35radix_sort_onesweep_config_selectorIllEEZZNS1_29radix_sort_onesweep_iterationIS3_Lb0EPlS7_N6thrust23THRUST_200600_302600_NS10device_ptrIlEESB_jNS0_19identity_decomposerENS1_16block_id_wrapperIjLb0EEEEE10hipError_tT1_PNSt15iterator_traitsISG_E10value_typeET2_T3_PNSH_ISM_E10value_typeET4_T5_PSR_SS_PNS1_23onesweep_lookback_stateEbbT6_jjT7_P12ihipStream_tbENKUlT_T0_SG_SL_E_clIS7_S7_S7_SB_EEDaSZ_S10_SG_SL_EUlSZ_E_NS1_11comp_targetILNS1_3genE5ELNS1_11target_archE942ELNS1_3gpuE9ELNS1_3repE0EEENS1_47radix_sort_onesweep_sort_config_static_selectorELNS0_4arch9wavefront6targetE1EEEvSG_
                                        ; -- End function
	.section	.AMDGPU.csdata,"",@progbits
; Kernel info:
; codeLenInByte = 0
; NumSgprs: 4
; NumVgprs: 0
; NumAgprs: 0
; TotalNumVgprs: 0
; ScratchSize: 0
; MemoryBound: 0
; FloatMode: 240
; IeeeMode: 1
; LDSByteSize: 0 bytes/workgroup (compile time only)
; SGPRBlocks: 0
; VGPRBlocks: 0
; NumSGPRsForWavesPerEU: 4
; NumVGPRsForWavesPerEU: 1
; AccumOffset: 4
; Occupancy: 8
; WaveLimiterHint : 0
; COMPUTE_PGM_RSRC2:SCRATCH_EN: 0
; COMPUTE_PGM_RSRC2:USER_SGPR: 6
; COMPUTE_PGM_RSRC2:TRAP_HANDLER: 0
; COMPUTE_PGM_RSRC2:TGID_X_EN: 1
; COMPUTE_PGM_RSRC2:TGID_Y_EN: 0
; COMPUTE_PGM_RSRC2:TGID_Z_EN: 0
; COMPUTE_PGM_RSRC2:TIDIG_COMP_CNT: 0
; COMPUTE_PGM_RSRC3_GFX90A:ACCUM_OFFSET: 0
; COMPUTE_PGM_RSRC3_GFX90A:TG_SPLIT: 0
	.section	.text._ZN7rocprim17ROCPRIM_400000_NS6detail17trampoline_kernelINS0_14default_configENS1_35radix_sort_onesweep_config_selectorIllEEZZNS1_29radix_sort_onesweep_iterationIS3_Lb0EPlS7_N6thrust23THRUST_200600_302600_NS10device_ptrIlEESB_jNS0_19identity_decomposerENS1_16block_id_wrapperIjLb0EEEEE10hipError_tT1_PNSt15iterator_traitsISG_E10value_typeET2_T3_PNSH_ISM_E10value_typeET4_T5_PSR_SS_PNS1_23onesweep_lookback_stateEbbT6_jjT7_P12ihipStream_tbENKUlT_T0_SG_SL_E_clIS7_S7_S7_SB_EEDaSZ_S10_SG_SL_EUlSZ_E_NS1_11comp_targetILNS1_3genE2ELNS1_11target_archE906ELNS1_3gpuE6ELNS1_3repE0EEENS1_47radix_sort_onesweep_sort_config_static_selectorELNS0_4arch9wavefront6targetE1EEEvSG_,"axG",@progbits,_ZN7rocprim17ROCPRIM_400000_NS6detail17trampoline_kernelINS0_14default_configENS1_35radix_sort_onesweep_config_selectorIllEEZZNS1_29radix_sort_onesweep_iterationIS3_Lb0EPlS7_N6thrust23THRUST_200600_302600_NS10device_ptrIlEESB_jNS0_19identity_decomposerENS1_16block_id_wrapperIjLb0EEEEE10hipError_tT1_PNSt15iterator_traitsISG_E10value_typeET2_T3_PNSH_ISM_E10value_typeET4_T5_PSR_SS_PNS1_23onesweep_lookback_stateEbbT6_jjT7_P12ihipStream_tbENKUlT_T0_SG_SL_E_clIS7_S7_S7_SB_EEDaSZ_S10_SG_SL_EUlSZ_E_NS1_11comp_targetILNS1_3genE2ELNS1_11target_archE906ELNS1_3gpuE6ELNS1_3repE0EEENS1_47radix_sort_onesweep_sort_config_static_selectorELNS0_4arch9wavefront6targetE1EEEvSG_,comdat
	.protected	_ZN7rocprim17ROCPRIM_400000_NS6detail17trampoline_kernelINS0_14default_configENS1_35radix_sort_onesweep_config_selectorIllEEZZNS1_29radix_sort_onesweep_iterationIS3_Lb0EPlS7_N6thrust23THRUST_200600_302600_NS10device_ptrIlEESB_jNS0_19identity_decomposerENS1_16block_id_wrapperIjLb0EEEEE10hipError_tT1_PNSt15iterator_traitsISG_E10value_typeET2_T3_PNSH_ISM_E10value_typeET4_T5_PSR_SS_PNS1_23onesweep_lookback_stateEbbT6_jjT7_P12ihipStream_tbENKUlT_T0_SG_SL_E_clIS7_S7_S7_SB_EEDaSZ_S10_SG_SL_EUlSZ_E_NS1_11comp_targetILNS1_3genE2ELNS1_11target_archE906ELNS1_3gpuE6ELNS1_3repE0EEENS1_47radix_sort_onesweep_sort_config_static_selectorELNS0_4arch9wavefront6targetE1EEEvSG_ ; -- Begin function _ZN7rocprim17ROCPRIM_400000_NS6detail17trampoline_kernelINS0_14default_configENS1_35radix_sort_onesweep_config_selectorIllEEZZNS1_29radix_sort_onesweep_iterationIS3_Lb0EPlS7_N6thrust23THRUST_200600_302600_NS10device_ptrIlEESB_jNS0_19identity_decomposerENS1_16block_id_wrapperIjLb0EEEEE10hipError_tT1_PNSt15iterator_traitsISG_E10value_typeET2_T3_PNSH_ISM_E10value_typeET4_T5_PSR_SS_PNS1_23onesweep_lookback_stateEbbT6_jjT7_P12ihipStream_tbENKUlT_T0_SG_SL_E_clIS7_S7_S7_SB_EEDaSZ_S10_SG_SL_EUlSZ_E_NS1_11comp_targetILNS1_3genE2ELNS1_11target_archE906ELNS1_3gpuE6ELNS1_3repE0EEENS1_47radix_sort_onesweep_sort_config_static_selectorELNS0_4arch9wavefront6targetE1EEEvSG_
	.globl	_ZN7rocprim17ROCPRIM_400000_NS6detail17trampoline_kernelINS0_14default_configENS1_35radix_sort_onesweep_config_selectorIllEEZZNS1_29radix_sort_onesweep_iterationIS3_Lb0EPlS7_N6thrust23THRUST_200600_302600_NS10device_ptrIlEESB_jNS0_19identity_decomposerENS1_16block_id_wrapperIjLb0EEEEE10hipError_tT1_PNSt15iterator_traitsISG_E10value_typeET2_T3_PNSH_ISM_E10value_typeET4_T5_PSR_SS_PNS1_23onesweep_lookback_stateEbbT6_jjT7_P12ihipStream_tbENKUlT_T0_SG_SL_E_clIS7_S7_S7_SB_EEDaSZ_S10_SG_SL_EUlSZ_E_NS1_11comp_targetILNS1_3genE2ELNS1_11target_archE906ELNS1_3gpuE6ELNS1_3repE0EEENS1_47radix_sort_onesweep_sort_config_static_selectorELNS0_4arch9wavefront6targetE1EEEvSG_
	.p2align	8
	.type	_ZN7rocprim17ROCPRIM_400000_NS6detail17trampoline_kernelINS0_14default_configENS1_35radix_sort_onesweep_config_selectorIllEEZZNS1_29radix_sort_onesweep_iterationIS3_Lb0EPlS7_N6thrust23THRUST_200600_302600_NS10device_ptrIlEESB_jNS0_19identity_decomposerENS1_16block_id_wrapperIjLb0EEEEE10hipError_tT1_PNSt15iterator_traitsISG_E10value_typeET2_T3_PNSH_ISM_E10value_typeET4_T5_PSR_SS_PNS1_23onesweep_lookback_stateEbbT6_jjT7_P12ihipStream_tbENKUlT_T0_SG_SL_E_clIS7_S7_S7_SB_EEDaSZ_S10_SG_SL_EUlSZ_E_NS1_11comp_targetILNS1_3genE2ELNS1_11target_archE906ELNS1_3gpuE6ELNS1_3repE0EEENS1_47radix_sort_onesweep_sort_config_static_selectorELNS0_4arch9wavefront6targetE1EEEvSG_,@function
_ZN7rocprim17ROCPRIM_400000_NS6detail17trampoline_kernelINS0_14default_configENS1_35radix_sort_onesweep_config_selectorIllEEZZNS1_29radix_sort_onesweep_iterationIS3_Lb0EPlS7_N6thrust23THRUST_200600_302600_NS10device_ptrIlEESB_jNS0_19identity_decomposerENS1_16block_id_wrapperIjLb0EEEEE10hipError_tT1_PNSt15iterator_traitsISG_E10value_typeET2_T3_PNSH_ISM_E10value_typeET4_T5_PSR_SS_PNS1_23onesweep_lookback_stateEbbT6_jjT7_P12ihipStream_tbENKUlT_T0_SG_SL_E_clIS7_S7_S7_SB_EEDaSZ_S10_SG_SL_EUlSZ_E_NS1_11comp_targetILNS1_3genE2ELNS1_11target_archE906ELNS1_3gpuE6ELNS1_3repE0EEENS1_47radix_sort_onesweep_sort_config_static_selectorELNS0_4arch9wavefront6targetE1EEEvSG_: ; @_ZN7rocprim17ROCPRIM_400000_NS6detail17trampoline_kernelINS0_14default_configENS1_35radix_sort_onesweep_config_selectorIllEEZZNS1_29radix_sort_onesweep_iterationIS3_Lb0EPlS7_N6thrust23THRUST_200600_302600_NS10device_ptrIlEESB_jNS0_19identity_decomposerENS1_16block_id_wrapperIjLb0EEEEE10hipError_tT1_PNSt15iterator_traitsISG_E10value_typeET2_T3_PNSH_ISM_E10value_typeET4_T5_PSR_SS_PNS1_23onesweep_lookback_stateEbbT6_jjT7_P12ihipStream_tbENKUlT_T0_SG_SL_E_clIS7_S7_S7_SB_EEDaSZ_S10_SG_SL_EUlSZ_E_NS1_11comp_targetILNS1_3genE2ELNS1_11target_archE906ELNS1_3gpuE6ELNS1_3repE0EEENS1_47radix_sort_onesweep_sort_config_static_selectorELNS0_4arch9wavefront6targetE1EEEvSG_
; %bb.0:
	.section	.rodata,"a",@progbits
	.p2align	6, 0x0
	.amdhsa_kernel _ZN7rocprim17ROCPRIM_400000_NS6detail17trampoline_kernelINS0_14default_configENS1_35radix_sort_onesweep_config_selectorIllEEZZNS1_29radix_sort_onesweep_iterationIS3_Lb0EPlS7_N6thrust23THRUST_200600_302600_NS10device_ptrIlEESB_jNS0_19identity_decomposerENS1_16block_id_wrapperIjLb0EEEEE10hipError_tT1_PNSt15iterator_traitsISG_E10value_typeET2_T3_PNSH_ISM_E10value_typeET4_T5_PSR_SS_PNS1_23onesweep_lookback_stateEbbT6_jjT7_P12ihipStream_tbENKUlT_T0_SG_SL_E_clIS7_S7_S7_SB_EEDaSZ_S10_SG_SL_EUlSZ_E_NS1_11comp_targetILNS1_3genE2ELNS1_11target_archE906ELNS1_3gpuE6ELNS1_3repE0EEENS1_47radix_sort_onesweep_sort_config_static_selectorELNS0_4arch9wavefront6targetE1EEEvSG_
		.amdhsa_group_segment_fixed_size 0
		.amdhsa_private_segment_fixed_size 0
		.amdhsa_kernarg_size 88
		.amdhsa_user_sgpr_count 6
		.amdhsa_user_sgpr_private_segment_buffer 1
		.amdhsa_user_sgpr_dispatch_ptr 0
		.amdhsa_user_sgpr_queue_ptr 0
		.amdhsa_user_sgpr_kernarg_segment_ptr 1
		.amdhsa_user_sgpr_dispatch_id 0
		.amdhsa_user_sgpr_flat_scratch_init 0
		.amdhsa_user_sgpr_kernarg_preload_length 0
		.amdhsa_user_sgpr_kernarg_preload_offset 0
		.amdhsa_user_sgpr_private_segment_size 0
		.amdhsa_uses_dynamic_stack 0
		.amdhsa_system_sgpr_private_segment_wavefront_offset 0
		.amdhsa_system_sgpr_workgroup_id_x 1
		.amdhsa_system_sgpr_workgroup_id_y 0
		.amdhsa_system_sgpr_workgroup_id_z 0
		.amdhsa_system_sgpr_workgroup_info 0
		.amdhsa_system_vgpr_workitem_id 0
		.amdhsa_next_free_vgpr 1
		.amdhsa_next_free_sgpr 0
		.amdhsa_accum_offset 4
		.amdhsa_reserve_vcc 0
		.amdhsa_reserve_flat_scratch 0
		.amdhsa_float_round_mode_32 0
		.amdhsa_float_round_mode_16_64 0
		.amdhsa_float_denorm_mode_32 3
		.amdhsa_float_denorm_mode_16_64 3
		.amdhsa_dx10_clamp 1
		.amdhsa_ieee_mode 1
		.amdhsa_fp16_overflow 0
		.amdhsa_tg_split 0
		.amdhsa_exception_fp_ieee_invalid_op 0
		.amdhsa_exception_fp_denorm_src 0
		.amdhsa_exception_fp_ieee_div_zero 0
		.amdhsa_exception_fp_ieee_overflow 0
		.amdhsa_exception_fp_ieee_underflow 0
		.amdhsa_exception_fp_ieee_inexact 0
		.amdhsa_exception_int_div_zero 0
	.end_amdhsa_kernel
	.section	.text._ZN7rocprim17ROCPRIM_400000_NS6detail17trampoline_kernelINS0_14default_configENS1_35radix_sort_onesweep_config_selectorIllEEZZNS1_29radix_sort_onesweep_iterationIS3_Lb0EPlS7_N6thrust23THRUST_200600_302600_NS10device_ptrIlEESB_jNS0_19identity_decomposerENS1_16block_id_wrapperIjLb0EEEEE10hipError_tT1_PNSt15iterator_traitsISG_E10value_typeET2_T3_PNSH_ISM_E10value_typeET4_T5_PSR_SS_PNS1_23onesweep_lookback_stateEbbT6_jjT7_P12ihipStream_tbENKUlT_T0_SG_SL_E_clIS7_S7_S7_SB_EEDaSZ_S10_SG_SL_EUlSZ_E_NS1_11comp_targetILNS1_3genE2ELNS1_11target_archE906ELNS1_3gpuE6ELNS1_3repE0EEENS1_47radix_sort_onesweep_sort_config_static_selectorELNS0_4arch9wavefront6targetE1EEEvSG_,"axG",@progbits,_ZN7rocprim17ROCPRIM_400000_NS6detail17trampoline_kernelINS0_14default_configENS1_35radix_sort_onesweep_config_selectorIllEEZZNS1_29radix_sort_onesweep_iterationIS3_Lb0EPlS7_N6thrust23THRUST_200600_302600_NS10device_ptrIlEESB_jNS0_19identity_decomposerENS1_16block_id_wrapperIjLb0EEEEE10hipError_tT1_PNSt15iterator_traitsISG_E10value_typeET2_T3_PNSH_ISM_E10value_typeET4_T5_PSR_SS_PNS1_23onesweep_lookback_stateEbbT6_jjT7_P12ihipStream_tbENKUlT_T0_SG_SL_E_clIS7_S7_S7_SB_EEDaSZ_S10_SG_SL_EUlSZ_E_NS1_11comp_targetILNS1_3genE2ELNS1_11target_archE906ELNS1_3gpuE6ELNS1_3repE0EEENS1_47radix_sort_onesweep_sort_config_static_selectorELNS0_4arch9wavefront6targetE1EEEvSG_,comdat
.Lfunc_end1180:
	.size	_ZN7rocprim17ROCPRIM_400000_NS6detail17trampoline_kernelINS0_14default_configENS1_35radix_sort_onesweep_config_selectorIllEEZZNS1_29radix_sort_onesweep_iterationIS3_Lb0EPlS7_N6thrust23THRUST_200600_302600_NS10device_ptrIlEESB_jNS0_19identity_decomposerENS1_16block_id_wrapperIjLb0EEEEE10hipError_tT1_PNSt15iterator_traitsISG_E10value_typeET2_T3_PNSH_ISM_E10value_typeET4_T5_PSR_SS_PNS1_23onesweep_lookback_stateEbbT6_jjT7_P12ihipStream_tbENKUlT_T0_SG_SL_E_clIS7_S7_S7_SB_EEDaSZ_S10_SG_SL_EUlSZ_E_NS1_11comp_targetILNS1_3genE2ELNS1_11target_archE906ELNS1_3gpuE6ELNS1_3repE0EEENS1_47radix_sort_onesweep_sort_config_static_selectorELNS0_4arch9wavefront6targetE1EEEvSG_, .Lfunc_end1180-_ZN7rocprim17ROCPRIM_400000_NS6detail17trampoline_kernelINS0_14default_configENS1_35radix_sort_onesweep_config_selectorIllEEZZNS1_29radix_sort_onesweep_iterationIS3_Lb0EPlS7_N6thrust23THRUST_200600_302600_NS10device_ptrIlEESB_jNS0_19identity_decomposerENS1_16block_id_wrapperIjLb0EEEEE10hipError_tT1_PNSt15iterator_traitsISG_E10value_typeET2_T3_PNSH_ISM_E10value_typeET4_T5_PSR_SS_PNS1_23onesweep_lookback_stateEbbT6_jjT7_P12ihipStream_tbENKUlT_T0_SG_SL_E_clIS7_S7_S7_SB_EEDaSZ_S10_SG_SL_EUlSZ_E_NS1_11comp_targetILNS1_3genE2ELNS1_11target_archE906ELNS1_3gpuE6ELNS1_3repE0EEENS1_47radix_sort_onesweep_sort_config_static_selectorELNS0_4arch9wavefront6targetE1EEEvSG_
                                        ; -- End function
	.section	.AMDGPU.csdata,"",@progbits
; Kernel info:
; codeLenInByte = 0
; NumSgprs: 4
; NumVgprs: 0
; NumAgprs: 0
; TotalNumVgprs: 0
; ScratchSize: 0
; MemoryBound: 0
; FloatMode: 240
; IeeeMode: 1
; LDSByteSize: 0 bytes/workgroup (compile time only)
; SGPRBlocks: 0
; VGPRBlocks: 0
; NumSGPRsForWavesPerEU: 4
; NumVGPRsForWavesPerEU: 1
; AccumOffset: 4
; Occupancy: 8
; WaveLimiterHint : 0
; COMPUTE_PGM_RSRC2:SCRATCH_EN: 0
; COMPUTE_PGM_RSRC2:USER_SGPR: 6
; COMPUTE_PGM_RSRC2:TRAP_HANDLER: 0
; COMPUTE_PGM_RSRC2:TGID_X_EN: 1
; COMPUTE_PGM_RSRC2:TGID_Y_EN: 0
; COMPUTE_PGM_RSRC2:TGID_Z_EN: 0
; COMPUTE_PGM_RSRC2:TIDIG_COMP_CNT: 0
; COMPUTE_PGM_RSRC3_GFX90A:ACCUM_OFFSET: 0
; COMPUTE_PGM_RSRC3_GFX90A:TG_SPLIT: 0
	.section	.text._ZN7rocprim17ROCPRIM_400000_NS6detail17trampoline_kernelINS0_14default_configENS1_35radix_sort_onesweep_config_selectorIllEEZZNS1_29radix_sort_onesweep_iterationIS3_Lb0EPlS7_N6thrust23THRUST_200600_302600_NS10device_ptrIlEESB_jNS0_19identity_decomposerENS1_16block_id_wrapperIjLb0EEEEE10hipError_tT1_PNSt15iterator_traitsISG_E10value_typeET2_T3_PNSH_ISM_E10value_typeET4_T5_PSR_SS_PNS1_23onesweep_lookback_stateEbbT6_jjT7_P12ihipStream_tbENKUlT_T0_SG_SL_E_clIS7_S7_S7_SB_EEDaSZ_S10_SG_SL_EUlSZ_E_NS1_11comp_targetILNS1_3genE4ELNS1_11target_archE910ELNS1_3gpuE8ELNS1_3repE0EEENS1_47radix_sort_onesweep_sort_config_static_selectorELNS0_4arch9wavefront6targetE1EEEvSG_,"axG",@progbits,_ZN7rocprim17ROCPRIM_400000_NS6detail17trampoline_kernelINS0_14default_configENS1_35radix_sort_onesweep_config_selectorIllEEZZNS1_29radix_sort_onesweep_iterationIS3_Lb0EPlS7_N6thrust23THRUST_200600_302600_NS10device_ptrIlEESB_jNS0_19identity_decomposerENS1_16block_id_wrapperIjLb0EEEEE10hipError_tT1_PNSt15iterator_traitsISG_E10value_typeET2_T3_PNSH_ISM_E10value_typeET4_T5_PSR_SS_PNS1_23onesweep_lookback_stateEbbT6_jjT7_P12ihipStream_tbENKUlT_T0_SG_SL_E_clIS7_S7_S7_SB_EEDaSZ_S10_SG_SL_EUlSZ_E_NS1_11comp_targetILNS1_3genE4ELNS1_11target_archE910ELNS1_3gpuE8ELNS1_3repE0EEENS1_47radix_sort_onesweep_sort_config_static_selectorELNS0_4arch9wavefront6targetE1EEEvSG_,comdat
	.protected	_ZN7rocprim17ROCPRIM_400000_NS6detail17trampoline_kernelINS0_14default_configENS1_35radix_sort_onesweep_config_selectorIllEEZZNS1_29radix_sort_onesweep_iterationIS3_Lb0EPlS7_N6thrust23THRUST_200600_302600_NS10device_ptrIlEESB_jNS0_19identity_decomposerENS1_16block_id_wrapperIjLb0EEEEE10hipError_tT1_PNSt15iterator_traitsISG_E10value_typeET2_T3_PNSH_ISM_E10value_typeET4_T5_PSR_SS_PNS1_23onesweep_lookback_stateEbbT6_jjT7_P12ihipStream_tbENKUlT_T0_SG_SL_E_clIS7_S7_S7_SB_EEDaSZ_S10_SG_SL_EUlSZ_E_NS1_11comp_targetILNS1_3genE4ELNS1_11target_archE910ELNS1_3gpuE8ELNS1_3repE0EEENS1_47radix_sort_onesweep_sort_config_static_selectorELNS0_4arch9wavefront6targetE1EEEvSG_ ; -- Begin function _ZN7rocprim17ROCPRIM_400000_NS6detail17trampoline_kernelINS0_14default_configENS1_35radix_sort_onesweep_config_selectorIllEEZZNS1_29radix_sort_onesweep_iterationIS3_Lb0EPlS7_N6thrust23THRUST_200600_302600_NS10device_ptrIlEESB_jNS0_19identity_decomposerENS1_16block_id_wrapperIjLb0EEEEE10hipError_tT1_PNSt15iterator_traitsISG_E10value_typeET2_T3_PNSH_ISM_E10value_typeET4_T5_PSR_SS_PNS1_23onesweep_lookback_stateEbbT6_jjT7_P12ihipStream_tbENKUlT_T0_SG_SL_E_clIS7_S7_S7_SB_EEDaSZ_S10_SG_SL_EUlSZ_E_NS1_11comp_targetILNS1_3genE4ELNS1_11target_archE910ELNS1_3gpuE8ELNS1_3repE0EEENS1_47radix_sort_onesweep_sort_config_static_selectorELNS0_4arch9wavefront6targetE1EEEvSG_
	.globl	_ZN7rocprim17ROCPRIM_400000_NS6detail17trampoline_kernelINS0_14default_configENS1_35radix_sort_onesweep_config_selectorIllEEZZNS1_29radix_sort_onesweep_iterationIS3_Lb0EPlS7_N6thrust23THRUST_200600_302600_NS10device_ptrIlEESB_jNS0_19identity_decomposerENS1_16block_id_wrapperIjLb0EEEEE10hipError_tT1_PNSt15iterator_traitsISG_E10value_typeET2_T3_PNSH_ISM_E10value_typeET4_T5_PSR_SS_PNS1_23onesweep_lookback_stateEbbT6_jjT7_P12ihipStream_tbENKUlT_T0_SG_SL_E_clIS7_S7_S7_SB_EEDaSZ_S10_SG_SL_EUlSZ_E_NS1_11comp_targetILNS1_3genE4ELNS1_11target_archE910ELNS1_3gpuE8ELNS1_3repE0EEENS1_47radix_sort_onesweep_sort_config_static_selectorELNS0_4arch9wavefront6targetE1EEEvSG_
	.p2align	8
	.type	_ZN7rocprim17ROCPRIM_400000_NS6detail17trampoline_kernelINS0_14default_configENS1_35radix_sort_onesweep_config_selectorIllEEZZNS1_29radix_sort_onesweep_iterationIS3_Lb0EPlS7_N6thrust23THRUST_200600_302600_NS10device_ptrIlEESB_jNS0_19identity_decomposerENS1_16block_id_wrapperIjLb0EEEEE10hipError_tT1_PNSt15iterator_traitsISG_E10value_typeET2_T3_PNSH_ISM_E10value_typeET4_T5_PSR_SS_PNS1_23onesweep_lookback_stateEbbT6_jjT7_P12ihipStream_tbENKUlT_T0_SG_SL_E_clIS7_S7_S7_SB_EEDaSZ_S10_SG_SL_EUlSZ_E_NS1_11comp_targetILNS1_3genE4ELNS1_11target_archE910ELNS1_3gpuE8ELNS1_3repE0EEENS1_47radix_sort_onesweep_sort_config_static_selectorELNS0_4arch9wavefront6targetE1EEEvSG_,@function
_ZN7rocprim17ROCPRIM_400000_NS6detail17trampoline_kernelINS0_14default_configENS1_35radix_sort_onesweep_config_selectorIllEEZZNS1_29radix_sort_onesweep_iterationIS3_Lb0EPlS7_N6thrust23THRUST_200600_302600_NS10device_ptrIlEESB_jNS0_19identity_decomposerENS1_16block_id_wrapperIjLb0EEEEE10hipError_tT1_PNSt15iterator_traitsISG_E10value_typeET2_T3_PNSH_ISM_E10value_typeET4_T5_PSR_SS_PNS1_23onesweep_lookback_stateEbbT6_jjT7_P12ihipStream_tbENKUlT_T0_SG_SL_E_clIS7_S7_S7_SB_EEDaSZ_S10_SG_SL_EUlSZ_E_NS1_11comp_targetILNS1_3genE4ELNS1_11target_archE910ELNS1_3gpuE8ELNS1_3repE0EEENS1_47radix_sort_onesweep_sort_config_static_selectorELNS0_4arch9wavefront6targetE1EEEvSG_: ; @_ZN7rocprim17ROCPRIM_400000_NS6detail17trampoline_kernelINS0_14default_configENS1_35radix_sort_onesweep_config_selectorIllEEZZNS1_29radix_sort_onesweep_iterationIS3_Lb0EPlS7_N6thrust23THRUST_200600_302600_NS10device_ptrIlEESB_jNS0_19identity_decomposerENS1_16block_id_wrapperIjLb0EEEEE10hipError_tT1_PNSt15iterator_traitsISG_E10value_typeET2_T3_PNSH_ISM_E10value_typeET4_T5_PSR_SS_PNS1_23onesweep_lookback_stateEbbT6_jjT7_P12ihipStream_tbENKUlT_T0_SG_SL_E_clIS7_S7_S7_SB_EEDaSZ_S10_SG_SL_EUlSZ_E_NS1_11comp_targetILNS1_3genE4ELNS1_11target_archE910ELNS1_3gpuE8ELNS1_3repE0EEENS1_47radix_sort_onesweep_sort_config_static_selectorELNS0_4arch9wavefront6targetE1EEEvSG_
; %bb.0:
	s_load_dwordx4 s[40:43], s[4:5], 0x44
	s_load_dwordx8 s[24:31], s[4:5], 0x0
	s_load_dwordx4 s[36:39], s[4:5], 0x28
	s_load_dwordx2 s[34:35], s[4:5], 0x38
	s_mul_i32 s44, s6, 0x1800
	s_waitcnt lgkmcnt(0)
	s_cmp_ge_u32 s6, s42
	v_mbcnt_lo_u32_b32 v1, -1, 0
	s_cbranch_scc0 .LBB1181_51
; %bb.1:
	s_load_dword s7, s[4:5], 0x20
	s_mul_i32 s0, s42, 0xffffe800
	s_mov_b32 s45, 0
	s_lshl_b64 s[42:43], s[44:45], 3
	v_mbcnt_hi_u32_b32 v6, -1, v1
	s_waitcnt lgkmcnt(0)
	s_add_i32 s7, s7, s0
	v_and_b32_e32 v8, 0x3ff, v0
	s_add_u32 s0, s24, s42
	v_and_b32_e32 v4, 63, v6
	s_addc_u32 s1, s25, s43
	v_and_b32_e32 v2, 0x3c0, v8
	v_lshlrev_b32_e32 v9, 3, v4
	v_mul_u32_u24_e32 v5, 6, v2
	v_mov_b32_e32 v2, s1
	v_add_co_u32_e32 v3, vcc, s0, v9
	v_addc_co_u32_e32 v7, vcc, 0, v2, vcc
	v_lshlrev_b32_e32 v24, 3, v5
	s_mov_b32 s2, -1
	v_add_co_u32_e32 v2, vcc, v3, v24
	s_brev_b32 s3, -2
	v_addc_co_u32_e32 v3, vcc, 0, v7, vcc
	v_or_b32_e32 v4, v4, v5
	v_cmp_gt_u32_e32 vcc, s7, v4
	v_pk_mov_b32 v[10:11], s[2:3], s[2:3] op_sel:[0,1]
	s_and_saveexec_b64 s[0:1], vcc
	s_cbranch_execz .LBB1181_3
; %bb.2:
	global_load_dwordx2 v[10:11], v[2:3], off
.LBB1181_3:
	s_or_b64 exec, exec, s[0:1]
	v_or_b32_e32 v5, 64, v4
	v_cmp_gt_u32_e64 s[0:1], s7, v5
	v_pk_mov_b32 v[12:13], s[2:3], s[2:3] op_sel:[0,1]
	s_and_saveexec_b64 s[2:3], s[0:1]
	s_cbranch_execz .LBB1181_5
; %bb.4:
	global_load_dwordx2 v[12:13], v[2:3], off offset:512
.LBB1181_5:
	s_or_b64 exec, exec, s[2:3]
	s_mov_b32 s8, -1
	v_add_u32_e32 v5, 0x80, v4
	s_brev_b32 s9, -2
	v_cmp_gt_u32_e64 s[2:3], s7, v5
	v_pk_mov_b32 v[14:15], s[8:9], s[8:9] op_sel:[0,1]
	s_and_saveexec_b64 s[10:11], s[2:3]
	s_cbranch_execz .LBB1181_7
; %bb.6:
	global_load_dwordx2 v[14:15], v[2:3], off offset:1024
.LBB1181_7:
	s_or_b64 exec, exec, s[10:11]
	v_add_u32_e32 v5, 0xc0, v4
	v_cmp_gt_u32_e64 s[20:21], s7, v5
	v_pk_mov_b32 v[16:17], s[8:9], s[8:9] op_sel:[0,1]
	s_and_saveexec_b64 s[8:9], s[20:21]
	s_cbranch_execz .LBB1181_9
; %bb.8:
	global_load_dwordx2 v[16:17], v[2:3], off offset:1536
.LBB1181_9:
	s_or_b64 exec, exec, s[8:9]
	s_mov_b32 s12, -1
	v_add_u32_e32 v5, 0x100, v4
	s_brev_b32 s13, -2
	v_cmp_gt_u32_e64 s[8:9], s7, v5
	v_pk_mov_b32 v[18:19], s[12:13], s[12:13] op_sel:[0,1]
	s_and_saveexec_b64 s[10:11], s[8:9]
	s_cbranch_execz .LBB1181_11
; %bb.10:
	global_load_dwordx2 v[18:19], v[2:3], off offset:2048
.LBB1181_11:
	s_or_b64 exec, exec, s[10:11]
	v_add_u32_e32 v4, 0x140, v4
	v_cmp_gt_u32_e64 s[10:11], s7, v4
	v_pk_mov_b32 v[20:21], s[12:13], s[12:13] op_sel:[0,1]
	s_and_saveexec_b64 s[12:13], s[10:11]
	s_cbranch_execz .LBB1181_13
; %bb.12:
	global_load_dwordx2 v[20:21], v[2:3], off offset:2560
.LBB1181_13:
	s_or_b64 exec, exec, s[12:13]
	s_load_dword s12, s[4:5], 0x64
	s_load_dword s33, s[4:5], 0x58
	s_add_u32 s13, s4, 0x58
	s_addc_u32 s14, s5, 0
	v_mov_b32_e32 v2, 0
	s_waitcnt lgkmcnt(0)
	s_lshr_b32 s15, s12, 16
	s_cmp_lt_u32 s6, s33
	s_cselect_b32 s12, 12, 18
	s_add_u32 s12, s13, s12
	s_addc_u32 s13, s14, 0
	global_load_ushort v22, v2, s[12:13]
	s_waitcnt vmcnt(1)
	v_xor_b32_e32 v11, 0x80000000, v11
	v_mul_u32_u24_e32 v4, 5, v8
	s_lshl_b32 s12, -1, s41
	v_lshlrev_b32_e32 v7, 2, v4
	v_lshrrev_b64 v[4:5], s40, v[10:11]
	s_not_b32 s45, s12
	v_and_b32_e32 v4, s45, v4
	v_and_b32_e32 v25, 1, v4
	v_bfe_u32 v3, v0, 10, 10
	v_bfe_u32 v23, v0, 20, 10
	v_add_co_u32_e64 v26, s[12:13], -1, v25
	v_mad_u32_u24 v5, v23, s15, v3
	v_lshlrev_b32_e32 v3, 30, v4
	v_addc_co_u32_e64 v27, s[12:13], 0, -1, s[12:13]
	v_cmp_ne_u32_e64 s[12:13], 0, v25
	v_cmp_gt_i64_e64 s[14:15], 0, v[2:3]
	v_not_b32_e32 v25, v3
	v_lshlrev_b32_e32 v3, 29, v4
	v_xor_b32_e32 v27, s13, v27
	v_xor_b32_e32 v26, s12, v26
	v_ashrrev_i32_e32 v25, 31, v25
	v_cmp_gt_i64_e64 s[12:13], 0, v[2:3]
	v_not_b32_e32 v28, v3
	v_lshlrev_b32_e32 v3, 28, v4
	v_and_b32_e32 v27, exec_hi, v27
	v_and_b32_e32 v26, exec_lo, v26
	v_xor_b32_e32 v29, s15, v25
	v_xor_b32_e32 v25, s14, v25
	v_ashrrev_i32_e32 v28, 31, v28
	v_cmp_gt_i64_e64 s[14:15], 0, v[2:3]
	v_not_b32_e32 v30, v3
	v_lshlrev_b32_e32 v3, 27, v4
	v_and_b32_e32 v27, v27, v29
	v_and_b32_e32 v25, v26, v25
	v_xor_b32_e32 v26, s13, v28
	v_xor_b32_e32 v28, s12, v28
	v_ashrrev_i32_e32 v29, 31, v30
	v_cmp_gt_i64_e64 s[12:13], 0, v[2:3]
	v_not_b32_e32 v30, v3
	v_lshlrev_b32_e32 v3, 26, v4
	v_and_b32_e32 v26, v27, v26
	v_and_b32_e32 v25, v25, v28
	;; [unrolled: 8-line block ×3, first 2 shown]
	v_xor_b32_e32 v27, s13, v29
	v_xor_b32_e32 v28, s12, v29
	v_ashrrev_i32_e32 v29, 31, v30
	v_not_b32_e32 v30, v3
	v_lshl_add_u32 v23, v4, 4, v4
	v_cmp_gt_i64_e64 s[12:13], 0, v[2:3]
	v_lshlrev_b32_e32 v3, 24, v4
	v_and_b32_e32 v4, v26, v27
	v_and_b32_e32 v25, v25, v28
	v_xor_b32_e32 v26, s15, v29
	v_ashrrev_i32_e32 v28, 31, v30
	v_xor_b32_e32 v27, s14, v29
	v_cmp_gt_i64_e64 s[14:15], 0, v[2:3]
	v_not_b32_e32 v3, v3
	v_and_b32_e32 v4, v4, v26
	v_xor_b32_e32 v26, s13, v28
	v_and_b32_e32 v25, v25, v27
	v_xor_b32_e32 v27, s12, v28
	v_and_b32_e32 v26, v4, v26
	v_ashrrev_i32_e32 v3, 31, v3
	v_and_b32_e32 v25, v25, v27
	ds_write2_b32 v7, v2, v2 offset0:16 offset1:17
	ds_write2_b32 v7, v2, v2 offset0:18 offset1:19
	ds_write_b32 v7, v2 offset:80
	s_waitcnt lgkmcnt(0)
	s_barrier
	s_waitcnt lgkmcnt(0)
	; wave barrier
	s_waitcnt vmcnt(0)
	v_mad_u64_u32 v[4:5], s[12:13], v5, v22, v[8:9]
	v_lshrrev_b32_e32 v34, 6, v4
	v_xor_b32_e32 v4, s15, v3
	v_xor_b32_e32 v3, s14, v3
	v_and_b32_e32 v5, v26, v4
	v_and_b32_e32 v4, v25, v3
	v_mbcnt_lo_u32_b32 v3, v4, 0
	v_mbcnt_hi_u32_b32 v22, v5, v3
	v_cmp_eq_u32_e64 s[12:13], 0, v22
	v_cmp_ne_u64_e64 s[14:15], 0, v[4:5]
	v_add_lshl_u32 v27, v34, v23, 2
	s_and_b64 s[14:15], s[14:15], s[12:13]
	s_and_saveexec_b64 s[12:13], s[14:15]
	s_cbranch_execz .LBB1181_15
; %bb.14:
	v_bcnt_u32_b32 v3, v4, 0
	v_bcnt_u32_b32 v3, v5, v3
	ds_write_b32 v27, v3 offset:64
.LBB1181_15:
	s_or_b64 exec, exec, s[12:13]
	v_xor_b32_e32 v13, 0x80000000, v13
	v_lshrrev_b64 v[4:5], s40, v[12:13]
	v_and_b32_e32 v4, s45, v4
	v_lshl_add_u32 v3, v4, 4, v4
	v_add_lshl_u32 v28, v34, v3, 2
	v_and_b32_e32 v3, 1, v4
	v_add_co_u32_e64 v5, s[12:13], -1, v3
	v_addc_co_u32_e64 v25, s[12:13], 0, -1, s[12:13]
	v_cmp_ne_u32_e64 s[12:13], 0, v3
	v_xor_b32_e32 v3, s13, v25
	v_and_b32_e32 v25, exec_hi, v3
	v_lshlrev_b32_e32 v3, 30, v4
	v_xor_b32_e32 v5, s12, v5
	v_cmp_gt_i64_e64 s[12:13], 0, v[2:3]
	v_not_b32_e32 v3, v3
	v_ashrrev_i32_e32 v3, 31, v3
	v_and_b32_e32 v5, exec_lo, v5
	v_xor_b32_e32 v26, s13, v3
	v_xor_b32_e32 v3, s12, v3
	v_and_b32_e32 v5, v5, v3
	v_lshlrev_b32_e32 v3, 29, v4
	v_cmp_gt_i64_e64 s[12:13], 0, v[2:3]
	v_not_b32_e32 v3, v3
	v_ashrrev_i32_e32 v3, 31, v3
	v_and_b32_e32 v25, v25, v26
	v_xor_b32_e32 v26, s13, v3
	v_xor_b32_e32 v3, s12, v3
	v_and_b32_e32 v5, v5, v3
	v_lshlrev_b32_e32 v3, 28, v4
	v_cmp_gt_i64_e64 s[12:13], 0, v[2:3]
	v_not_b32_e32 v3, v3
	v_ashrrev_i32_e32 v3, 31, v3
	v_and_b32_e32 v25, v25, v26
	v_xor_b32_e32 v26, s13, v3
	v_xor_b32_e32 v3, s12, v3
	v_and_b32_e32 v5, v5, v3
	v_lshlrev_b32_e32 v3, 27, v4
	v_cmp_gt_i64_e64 s[12:13], 0, v[2:3]
	v_not_b32_e32 v3, v3
	v_ashrrev_i32_e32 v3, 31, v3
	v_and_b32_e32 v25, v25, v26
	v_xor_b32_e32 v26, s13, v3
	v_xor_b32_e32 v3, s12, v3
	v_and_b32_e32 v5, v5, v3
	v_lshlrev_b32_e32 v3, 26, v4
	v_cmp_gt_i64_e64 s[12:13], 0, v[2:3]
	v_not_b32_e32 v3, v3
	v_ashrrev_i32_e32 v3, 31, v3
	v_and_b32_e32 v25, v25, v26
	v_xor_b32_e32 v26, s13, v3
	v_xor_b32_e32 v3, s12, v3
	v_and_b32_e32 v5, v5, v3
	v_lshlrev_b32_e32 v3, 25, v4
	v_cmp_gt_i64_e64 s[12:13], 0, v[2:3]
	v_not_b32_e32 v3, v3
	v_ashrrev_i32_e32 v3, 31, v3
	v_and_b32_e32 v25, v25, v26
	v_xor_b32_e32 v26, s13, v3
	v_xor_b32_e32 v3, s12, v3
	v_and_b32_e32 v5, v5, v3
	v_lshlrev_b32_e32 v3, 24, v4
	v_cmp_gt_i64_e64 s[12:13], 0, v[2:3]
	v_not_b32_e32 v2, v3
	v_ashrrev_i32_e32 v2, 31, v2
	v_xor_b32_e32 v3, s13, v2
	v_xor_b32_e32 v2, s12, v2
	; wave barrier
	ds_read_b32 v23, v28 offset:64
	v_and_b32_e32 v25, v25, v26
	v_and_b32_e32 v2, v5, v2
	;; [unrolled: 1-line block ×3, first 2 shown]
	v_mbcnt_lo_u32_b32 v4, v2, 0
	v_mbcnt_hi_u32_b32 v25, v3, v4
	v_cmp_eq_u32_e64 s[12:13], 0, v25
	v_cmp_ne_u64_e64 s[14:15], 0, v[2:3]
	s_and_b64 s[14:15], s[14:15], s[12:13]
	; wave barrier
	s_and_saveexec_b64 s[12:13], s[14:15]
	s_cbranch_execz .LBB1181_17
; %bb.16:
	v_bcnt_u32_b32 v2, v2, 0
	v_bcnt_u32_b32 v2, v3, v2
	s_waitcnt lgkmcnt(0)
	v_add_u32_e32 v2, v23, v2
	ds_write_b32 v28, v2 offset:64
.LBB1181_17:
	s_or_b64 exec, exec, s[12:13]
	v_xor_b32_e32 v15, 0x80000000, v15
	v_lshrrev_b64 v[2:3], s40, v[14:15]
	v_and_b32_e32 v4, s45, v2
	v_and_b32_e32 v3, 1, v4
	v_add_co_u32_e64 v5, s[12:13], -1, v3
	v_addc_co_u32_e64 v29, s[12:13], 0, -1, s[12:13]
	v_cmp_ne_u32_e64 s[12:13], 0, v3
	v_lshl_add_u32 v2, v4, 4, v4
	v_xor_b32_e32 v3, s13, v29
	v_add_lshl_u32 v31, v34, v2, 2
	v_mov_b32_e32 v2, 0
	v_and_b32_e32 v29, exec_hi, v3
	v_lshlrev_b32_e32 v3, 30, v4
	v_xor_b32_e32 v5, s12, v5
	v_cmp_gt_i64_e64 s[12:13], 0, v[2:3]
	v_not_b32_e32 v3, v3
	v_ashrrev_i32_e32 v3, 31, v3
	v_and_b32_e32 v5, exec_lo, v5
	v_xor_b32_e32 v30, s13, v3
	v_xor_b32_e32 v3, s12, v3
	v_and_b32_e32 v5, v5, v3
	v_lshlrev_b32_e32 v3, 29, v4
	v_cmp_gt_i64_e64 s[12:13], 0, v[2:3]
	v_not_b32_e32 v3, v3
	v_ashrrev_i32_e32 v3, 31, v3
	v_and_b32_e32 v29, v29, v30
	v_xor_b32_e32 v30, s13, v3
	v_xor_b32_e32 v3, s12, v3
	v_and_b32_e32 v5, v5, v3
	v_lshlrev_b32_e32 v3, 28, v4
	v_cmp_gt_i64_e64 s[12:13], 0, v[2:3]
	v_not_b32_e32 v3, v3
	v_ashrrev_i32_e32 v3, 31, v3
	v_and_b32_e32 v29, v29, v30
	;; [unrolled: 8-line block ×5, first 2 shown]
	v_xor_b32_e32 v30, s13, v3
	v_xor_b32_e32 v3, s12, v3
	v_and_b32_e32 v29, v29, v30
	v_and_b32_e32 v30, v5, v3
	v_lshlrev_b32_e32 v3, 24, v4
	v_cmp_gt_i64_e64 s[12:13], 0, v[2:3]
	v_not_b32_e32 v3, v3
	v_ashrrev_i32_e32 v3, 31, v3
	v_xor_b32_e32 v4, s13, v3
	v_xor_b32_e32 v3, s12, v3
	; wave barrier
	ds_read_b32 v26, v31 offset:64
	v_and_b32_e32 v5, v29, v4
	v_and_b32_e32 v4, v30, v3
	v_mbcnt_lo_u32_b32 v3, v4, 0
	v_mbcnt_hi_u32_b32 v29, v5, v3
	v_cmp_eq_u32_e64 s[12:13], 0, v29
	v_cmp_ne_u64_e64 s[14:15], 0, v[4:5]
	s_and_b64 s[14:15], s[14:15], s[12:13]
	; wave barrier
	s_and_saveexec_b64 s[12:13], s[14:15]
	s_cbranch_execz .LBB1181_19
; %bb.18:
	v_bcnt_u32_b32 v3, v4, 0
	v_bcnt_u32_b32 v3, v5, v3
	s_waitcnt lgkmcnt(0)
	v_add_u32_e32 v3, v26, v3
	ds_write_b32 v31, v3 offset:64
.LBB1181_19:
	s_or_b64 exec, exec, s[12:13]
	v_xor_b32_e32 v17, 0x80000000, v17
	v_lshrrev_b64 v[4:5], s40, v[16:17]
	v_and_b32_e32 v4, s45, v4
	v_lshl_add_u32 v3, v4, 4, v4
	v_add_lshl_u32 v35, v34, v3, 2
	v_and_b32_e32 v3, 1, v4
	v_add_co_u32_e64 v5, s[12:13], -1, v3
	v_addc_co_u32_e64 v32, s[12:13], 0, -1, s[12:13]
	v_cmp_ne_u32_e64 s[12:13], 0, v3
	v_xor_b32_e32 v3, s13, v32
	v_and_b32_e32 v32, exec_hi, v3
	v_lshlrev_b32_e32 v3, 30, v4
	v_xor_b32_e32 v5, s12, v5
	v_cmp_gt_i64_e64 s[12:13], 0, v[2:3]
	v_not_b32_e32 v3, v3
	v_ashrrev_i32_e32 v3, 31, v3
	v_and_b32_e32 v5, exec_lo, v5
	v_xor_b32_e32 v33, s13, v3
	v_xor_b32_e32 v3, s12, v3
	v_and_b32_e32 v5, v5, v3
	v_lshlrev_b32_e32 v3, 29, v4
	v_cmp_gt_i64_e64 s[12:13], 0, v[2:3]
	v_not_b32_e32 v3, v3
	v_ashrrev_i32_e32 v3, 31, v3
	v_and_b32_e32 v32, v32, v33
	v_xor_b32_e32 v33, s13, v3
	v_xor_b32_e32 v3, s12, v3
	v_and_b32_e32 v5, v5, v3
	v_lshlrev_b32_e32 v3, 28, v4
	v_cmp_gt_i64_e64 s[12:13], 0, v[2:3]
	v_not_b32_e32 v3, v3
	v_ashrrev_i32_e32 v3, 31, v3
	v_and_b32_e32 v32, v32, v33
	;; [unrolled: 8-line block ×5, first 2 shown]
	v_xor_b32_e32 v33, s13, v3
	v_xor_b32_e32 v3, s12, v3
	v_and_b32_e32 v5, v5, v3
	v_lshlrev_b32_e32 v3, 24, v4
	v_cmp_gt_i64_e64 s[12:13], 0, v[2:3]
	v_not_b32_e32 v2, v3
	v_ashrrev_i32_e32 v2, 31, v2
	v_xor_b32_e32 v3, s13, v2
	v_xor_b32_e32 v2, s12, v2
	; wave barrier
	ds_read_b32 v30, v35 offset:64
	v_and_b32_e32 v32, v32, v33
	v_and_b32_e32 v2, v5, v2
	;; [unrolled: 1-line block ×3, first 2 shown]
	v_mbcnt_lo_u32_b32 v4, v2, 0
	v_mbcnt_hi_u32_b32 v32, v3, v4
	v_cmp_eq_u32_e64 s[12:13], 0, v32
	v_cmp_ne_u64_e64 s[14:15], 0, v[2:3]
	s_and_b64 s[14:15], s[14:15], s[12:13]
	; wave barrier
	s_and_saveexec_b64 s[12:13], s[14:15]
	s_cbranch_execz .LBB1181_21
; %bb.20:
	v_bcnt_u32_b32 v2, v2, 0
	v_bcnt_u32_b32 v2, v3, v2
	s_waitcnt lgkmcnt(0)
	v_add_u32_e32 v2, v30, v2
	ds_write_b32 v35, v2 offset:64
.LBB1181_21:
	s_or_b64 exec, exec, s[12:13]
	v_xor_b32_e32 v19, 0x80000000, v19
	v_lshrrev_b64 v[2:3], s40, v[18:19]
	v_and_b32_e32 v4, s45, v2
	v_and_b32_e32 v3, 1, v4
	v_add_co_u32_e64 v5, s[12:13], -1, v3
	v_addc_co_u32_e64 v36, s[12:13], 0, -1, s[12:13]
	v_cmp_ne_u32_e64 s[12:13], 0, v3
	v_lshl_add_u32 v2, v4, 4, v4
	v_xor_b32_e32 v3, s13, v36
	v_add_lshl_u32 v38, v34, v2, 2
	v_mov_b32_e32 v2, 0
	v_and_b32_e32 v36, exec_hi, v3
	v_lshlrev_b32_e32 v3, 30, v4
	v_xor_b32_e32 v5, s12, v5
	v_cmp_gt_i64_e64 s[12:13], 0, v[2:3]
	v_not_b32_e32 v3, v3
	v_ashrrev_i32_e32 v3, 31, v3
	v_and_b32_e32 v5, exec_lo, v5
	v_xor_b32_e32 v37, s13, v3
	v_xor_b32_e32 v3, s12, v3
	v_and_b32_e32 v5, v5, v3
	v_lshlrev_b32_e32 v3, 29, v4
	v_cmp_gt_i64_e64 s[12:13], 0, v[2:3]
	v_not_b32_e32 v3, v3
	v_ashrrev_i32_e32 v3, 31, v3
	v_and_b32_e32 v36, v36, v37
	v_xor_b32_e32 v37, s13, v3
	v_xor_b32_e32 v3, s12, v3
	v_and_b32_e32 v5, v5, v3
	v_lshlrev_b32_e32 v3, 28, v4
	v_cmp_gt_i64_e64 s[12:13], 0, v[2:3]
	v_not_b32_e32 v3, v3
	v_ashrrev_i32_e32 v3, 31, v3
	v_and_b32_e32 v36, v36, v37
	;; [unrolled: 8-line block ×5, first 2 shown]
	v_xor_b32_e32 v37, s13, v3
	v_xor_b32_e32 v3, s12, v3
	v_and_b32_e32 v36, v36, v37
	v_and_b32_e32 v37, v5, v3
	v_lshlrev_b32_e32 v3, 24, v4
	v_cmp_gt_i64_e64 s[12:13], 0, v[2:3]
	v_not_b32_e32 v3, v3
	v_ashrrev_i32_e32 v3, 31, v3
	v_xor_b32_e32 v4, s13, v3
	v_xor_b32_e32 v3, s12, v3
	; wave barrier
	ds_read_b32 v33, v38 offset:64
	v_and_b32_e32 v5, v36, v4
	v_and_b32_e32 v4, v37, v3
	v_mbcnt_lo_u32_b32 v3, v4, 0
	v_mbcnt_hi_u32_b32 v36, v5, v3
	v_cmp_eq_u32_e64 s[12:13], 0, v36
	v_cmp_ne_u64_e64 s[14:15], 0, v[4:5]
	s_and_b64 s[14:15], s[14:15], s[12:13]
	; wave barrier
	s_and_saveexec_b64 s[12:13], s[14:15]
	s_cbranch_execz .LBB1181_23
; %bb.22:
	v_bcnt_u32_b32 v3, v4, 0
	v_bcnt_u32_b32 v3, v5, v3
	s_waitcnt lgkmcnt(0)
	v_add_u32_e32 v3, v33, v3
	ds_write_b32 v38, v3 offset:64
.LBB1181_23:
	s_or_b64 exec, exec, s[12:13]
	v_xor_b32_e32 v21, 0x80000000, v21
	v_lshrrev_b64 v[4:5], s40, v[20:21]
	v_and_b32_e32 v4, s45, v4
	v_lshl_add_u32 v3, v4, 4, v4
	v_add_lshl_u32 v41, v34, v3, 2
	v_and_b32_e32 v3, 1, v4
	v_add_co_u32_e64 v5, s[12:13], -1, v3
	v_addc_co_u32_e64 v34, s[12:13], 0, -1, s[12:13]
	v_cmp_ne_u32_e64 s[12:13], 0, v3
	v_xor_b32_e32 v3, s13, v34
	v_and_b32_e32 v34, exec_hi, v3
	v_lshlrev_b32_e32 v3, 30, v4
	v_xor_b32_e32 v5, s12, v5
	v_cmp_gt_i64_e64 s[12:13], 0, v[2:3]
	v_not_b32_e32 v3, v3
	v_ashrrev_i32_e32 v3, 31, v3
	v_and_b32_e32 v5, exec_lo, v5
	v_xor_b32_e32 v39, s13, v3
	v_xor_b32_e32 v3, s12, v3
	v_and_b32_e32 v5, v5, v3
	v_lshlrev_b32_e32 v3, 29, v4
	v_cmp_gt_i64_e64 s[12:13], 0, v[2:3]
	v_not_b32_e32 v3, v3
	v_ashrrev_i32_e32 v3, 31, v3
	v_and_b32_e32 v34, v34, v39
	v_xor_b32_e32 v39, s13, v3
	v_xor_b32_e32 v3, s12, v3
	v_and_b32_e32 v5, v5, v3
	v_lshlrev_b32_e32 v3, 28, v4
	v_cmp_gt_i64_e64 s[12:13], 0, v[2:3]
	v_not_b32_e32 v3, v3
	v_ashrrev_i32_e32 v3, 31, v3
	v_and_b32_e32 v34, v34, v39
	;; [unrolled: 8-line block ×5, first 2 shown]
	v_xor_b32_e32 v39, s13, v3
	v_xor_b32_e32 v3, s12, v3
	v_and_b32_e32 v5, v5, v3
	v_lshlrev_b32_e32 v3, 24, v4
	v_cmp_gt_i64_e64 s[12:13], 0, v[2:3]
	v_not_b32_e32 v2, v3
	v_ashrrev_i32_e32 v2, 31, v2
	v_xor_b32_e32 v3, s13, v2
	v_xor_b32_e32 v2, s12, v2
	; wave barrier
	ds_read_b32 v37, v41 offset:64
	v_and_b32_e32 v34, v34, v39
	v_and_b32_e32 v2, v5, v2
	;; [unrolled: 1-line block ×3, first 2 shown]
	v_mbcnt_lo_u32_b32 v4, v2, 0
	v_mbcnt_hi_u32_b32 v39, v3, v4
	v_cmp_eq_u32_e64 s[12:13], 0, v39
	v_cmp_ne_u64_e64 s[14:15], 0, v[2:3]
	v_add_u32_e32 v40, 64, v7
	s_and_b64 s[14:15], s[14:15], s[12:13]
	; wave barrier
	s_and_saveexec_b64 s[12:13], s[14:15]
	s_cbranch_execz .LBB1181_25
; %bb.24:
	v_bcnt_u32_b32 v2, v2, 0
	v_bcnt_u32_b32 v2, v3, v2
	s_waitcnt lgkmcnt(0)
	v_add_u32_e32 v2, v37, v2
	ds_write_b32 v41, v2 offset:64
.LBB1181_25:
	s_or_b64 exec, exec, s[12:13]
	; wave barrier
	s_waitcnt lgkmcnt(0)
	s_barrier
	ds_read2_b32 v[4:5], v7 offset0:16 offset1:17
	ds_read2_b32 v[2:3], v40 offset0:2 offset1:3
	ds_read_b32 v34, v40 offset:16
	v_cmp_lt_u32_e64 s[22:23], 31, v6
	s_waitcnt lgkmcnt(1)
	v_add3_u32 v42, v5, v4, v2
	s_waitcnt lgkmcnt(0)
	v_add3_u32 v34, v42, v3, v34
	v_and_b32_e32 v42, 15, v6
	v_cmp_eq_u32_e64 s[12:13], 0, v42
	v_mov_b32_dpp v43, v34 row_shr:1 row_mask:0xf bank_mask:0xf
	v_cndmask_b32_e64 v43, v43, 0, s[12:13]
	v_add_u32_e32 v34, v43, v34
	v_cmp_lt_u32_e64 s[14:15], 1, v42
	v_cmp_lt_u32_e64 s[16:17], 3, v42
	v_mov_b32_dpp v43, v34 row_shr:2 row_mask:0xf bank_mask:0xf
	v_cndmask_b32_e64 v43, 0, v43, s[14:15]
	v_add_u32_e32 v34, v34, v43
	v_cmp_lt_u32_e64 s[18:19], 7, v42
	s_nop 0
	v_mov_b32_dpp v43, v34 row_shr:4 row_mask:0xf bank_mask:0xf
	v_cndmask_b32_e64 v43, 0, v43, s[16:17]
	v_add_u32_e32 v34, v34, v43
	s_nop 1
	v_mov_b32_dpp v43, v34 row_shr:8 row_mask:0xf bank_mask:0xf
	v_cndmask_b32_e64 v42, 0, v43, s[18:19]
	v_add_u32_e32 v34, v34, v42
	v_bfe_i32 v43, v6, 4, 1
	s_nop 0
	v_mov_b32_dpp v42, v34 row_bcast:15 row_mask:0xf bank_mask:0xf
	v_and_b32_e32 v42, v43, v42
	v_add_u32_e32 v34, v34, v42
	v_lshrrev_b32_e32 v43, 6, v8
	s_nop 0
	v_mov_b32_dpp v42, v34 row_bcast:31 row_mask:0xf bank_mask:0xf
	v_cndmask_b32_e64 v42, 0, v42, s[22:23]
	v_add_u32_e32 v42, v34, v42
	v_and_b32_e32 v34, 63, v8
	v_cmp_eq_u32_e64 s[22:23], 63, v34
	s_and_saveexec_b64 s[46:47], s[22:23]
	s_cbranch_execz .LBB1181_27
; %bb.26:
	v_lshlrev_b32_e32 v34, 2, v43
	ds_write_b32 v34, v42
.LBB1181_27:
	s_or_b64 exec, exec, s[46:47]
	v_cmp_gt_u32_e64 s[22:23], 16, v8
	v_lshlrev_b32_e32 v34, 2, v8
	s_waitcnt lgkmcnt(0)
	s_barrier
	s_and_saveexec_b64 s[46:47], s[22:23]
	s_cbranch_execz .LBB1181_29
; %bb.28:
	ds_read_b32 v44, v34
	s_waitcnt lgkmcnt(0)
	s_nop 0
	v_mov_b32_dpp v45, v44 row_shr:1 row_mask:0xf bank_mask:0xf
	v_cndmask_b32_e64 v45, v45, 0, s[12:13]
	v_add_u32_e32 v44, v45, v44
	s_nop 1
	v_mov_b32_dpp v45, v44 row_shr:2 row_mask:0xf bank_mask:0xf
	v_cndmask_b32_e64 v45, 0, v45, s[14:15]
	v_add_u32_e32 v44, v44, v45
	;; [unrolled: 4-line block ×4, first 2 shown]
	ds_write_b32 v34, v44
.LBB1181_29:
	s_or_b64 exec, exec, s[46:47]
	v_cmp_lt_u32_e64 s[12:13], 63, v8
	v_mov_b32_e32 v44, 0
	s_waitcnt lgkmcnt(0)
	s_barrier
	s_and_saveexec_b64 s[14:15], s[12:13]
	s_cbranch_execz .LBB1181_31
; %bb.30:
	v_lshl_add_u32 v43, v43, 2, -4
	ds_read_b32 v44, v43
.LBB1181_31:
	s_or_b64 exec, exec, s[14:15]
	v_add_u32_e32 v43, -1, v6
	v_and_b32_e32 v45, 64, v6
	v_cmp_lt_i32_e64 s[12:13], v43, v45
	v_cndmask_b32_e64 v43, v43, v6, s[12:13]
	s_waitcnt lgkmcnt(0)
	v_add_u32_e32 v42, v44, v42
	v_lshlrev_b32_e32 v43, 2, v43
	ds_bpermute_b32 v42, v43, v42
	v_cmp_eq_u32_e64 s[12:13], 0, v6
	s_waitcnt lgkmcnt(0)
	v_cndmask_b32_e64 v6, v42, v44, s[12:13]
	v_cmp_ne_u32_e64 s[12:13], 0, v8
	v_cndmask_b32_e64 v6, 0, v6, s[12:13]
	v_add_u32_e32 v4, v6, v4
	v_add_u32_e32 v5, v4, v5
	;; [unrolled: 1-line block ×4, first 2 shown]
	ds_write2_b32 v7, v6, v4 offset0:16 offset1:17
	ds_write2_b32 v40, v5, v2 offset0:2 offset1:3
	ds_write_b32 v40, v3 offset:16
	s_waitcnt lgkmcnt(0)
	s_barrier
	ds_read_b32 v44, v27 offset:64
	ds_read_b32 v40, v28 offset:64
	;; [unrolled: 1-line block ×6, first 2 shown]
	s_movk_i32 s12, 0x100
	v_cmp_gt_u32_e64 s[12:13], s12, v8
                                        ; implicit-def: $vgpr27
                                        ; implicit-def: $vgpr28
	s_and_saveexec_b64 s[16:17], s[12:13]
	s_cbranch_execz .LBB1181_35
; %bb.32:
	v_mul_u32_u24_e32 v2, 17, v8
	v_lshlrev_b32_e32 v3, 2, v2
	ds_read_b32 v27, v3 offset:64
	s_movk_i32 s14, 0xff
	v_cmp_ne_u32_e64 s[14:15], s14, v8
	v_mov_b32_e32 v2, 0x1800
	s_and_saveexec_b64 s[18:19], s[14:15]
	s_cbranch_execz .LBB1181_34
; %bb.33:
	ds_read_b32 v2, v3 offset:132
.LBB1181_34:
	s_or_b64 exec, exec, s[18:19]
	s_waitcnt lgkmcnt(0)
	v_sub_u32_e32 v28, v2, v27
.LBB1181_35:
	s_or_b64 exec, exec, s[16:17]
	s_waitcnt lgkmcnt(0)
	s_barrier
	s_and_saveexec_b64 s[16:17], s[12:13]
	s_cbranch_execz .LBB1181_45
; %bb.36:
	v_lshl_or_b32 v2, s6, 8, v8
	v_mov_b32_e32 v3, 0
	v_lshlrev_b64 v[4:5], 2, v[2:3]
	v_mov_b32_e32 v31, s35
	v_add_co_u32_e64 v4, s[14:15], s34, v4
	v_addc_co_u32_e64 v5, s[14:15], v31, v5, s[14:15]
	v_or_b32_e32 v2, 2.0, v28
	s_mov_b64 s[18:19], 0
	s_brev_b32 s48, 1
	s_mov_b32 s49, s6
	v_mov_b32_e32 v35, 0
	global_store_dword v[4:5], v2, off
                                        ; implicit-def: $sgpr14_sgpr15
	s_branch .LBB1181_38
.LBB1181_37:                            ;   in Loop: Header=BB1181_38 Depth=1
	s_or_b64 exec, exec, s[22:23]
	v_and_b32_e32 v6, 0x3fffffff, v45
	v_add_u32_e32 v35, v6, v35
	v_cmp_eq_u32_e64 s[14:15], s48, v2
	s_and_b64 s[22:23], exec, s[14:15]
	s_or_b64 s[18:19], s[22:23], s[18:19]
	s_andn2_b64 exec, exec, s[18:19]
	s_cbranch_execz .LBB1181_44
.LBB1181_38:                            ; =>This Loop Header: Depth=1
                                        ;     Child Loop BB1181_41 Depth 2
	s_or_b64 s[14:15], s[14:15], exec
	s_cmp_eq_u32 s49, 0
	s_cbranch_scc1 .LBB1181_43
; %bb.39:                               ;   in Loop: Header=BB1181_38 Depth=1
	s_add_i32 s49, s49, -1
	v_lshl_or_b32 v2, s49, 8, v8
	v_lshlrev_b64 v[6:7], 2, v[2:3]
	v_add_co_u32_e64 v6, s[14:15], s34, v6
	v_addc_co_u32_e64 v7, s[14:15], v31, v7, s[14:15]
	global_load_dword v45, v[6:7], off glc
	s_waitcnt vmcnt(0)
	v_and_b32_e32 v2, -2.0, v45
	v_cmp_eq_u32_e64 s[14:15], 0, v2
	s_and_saveexec_b64 s[22:23], s[14:15]
	s_cbranch_execz .LBB1181_37
; %bb.40:                               ;   in Loop: Header=BB1181_38 Depth=1
	s_mov_b64 s[46:47], 0
.LBB1181_41:                            ;   Parent Loop BB1181_38 Depth=1
                                        ; =>  This Inner Loop Header: Depth=2
	global_load_dword v45, v[6:7], off glc
	s_waitcnt vmcnt(0)
	v_and_b32_e32 v2, -2.0, v45
	v_cmp_ne_u32_e64 s[14:15], 0, v2
	s_or_b64 s[46:47], s[14:15], s[46:47]
	s_andn2_b64 exec, exec, s[46:47]
	s_cbranch_execnz .LBB1181_41
; %bb.42:                               ;   in Loop: Header=BB1181_38 Depth=1
	s_or_b64 exec, exec, s[46:47]
	s_branch .LBB1181_37
.LBB1181_43:                            ;   in Loop: Header=BB1181_38 Depth=1
                                        ; implicit-def: $sgpr49
	s_and_b64 s[22:23], exec, s[14:15]
	s_or_b64 s[18:19], s[22:23], s[18:19]
	s_andn2_b64 exec, exec, s[18:19]
	s_cbranch_execnz .LBB1181_38
.LBB1181_44:
	s_or_b64 exec, exec, s[18:19]
	v_add_u32_e32 v2, v35, v28
	v_or_b32_e32 v2, 0x80000000, v2
	global_store_dword v[4:5], v2, off
	global_load_dword v2, v34, s[36:37]
	v_sub_u32_e32 v3, v35, v27
	s_waitcnt vmcnt(0)
	v_add_u32_e32 v2, v3, v2
	ds_write_b32 v34, v2
.LBB1181_45:
	s_or_b64 exec, exec, s[16:17]
	v_lshlrev_b32_e32 v34, 3, v8
	v_add_u32_e32 v31, v44, v22
	s_movk_i32 s18, 0x400
	v_add_u32_e32 v35, 0x400, v34
	v_add3_u32 v37, v39, v41, v37
	v_add3_u32 v33, v36, v38, v33
	;; [unrolled: 1-line block ×5, first 2 shown]
	s_mov_b32 s19, 0
	v_mov_b32_e32 v23, 0
	v_mov_b32_e32 v29, v8
	s_mov_b32 s22, 0
                                        ; implicit-def: $vgpr2_vgpr3_vgpr4_vgpr5_vgpr6_vgpr7
	s_branch .LBB1181_47
.LBB1181_46:                            ;   in Loop: Header=BB1181_47 Depth=1
	s_or_b64 exec, exec, s[16:17]
	s_addk_i32 s22, 0xf800
	s_add_i32 s19, s19, 2
	s_cmpk_eq_i32 s22, 0xe800
	v_add_u32_e32 v29, 0x800, v29
	s_barrier
	s_cbranch_scc1 .LBB1181_52
.LBB1181_47:                            ; =>This Inner Loop Header: Depth=1
	v_add_u32_e32 v22, s22, v31
	v_min_u32_e32 v22, 0x800, v22
	v_lshlrev_b32_e32 v22, 3, v22
	ds_write_b64 v22, v[10:11] offset:1024
	v_add_u32_e32 v22, s22, v25
	v_min_u32_e32 v22, 0x800, v22
	v_lshlrev_b32_e32 v22, 3, v22
	ds_write_b64 v22, v[12:13] offset:1024
	;; [unrolled: 4-line block ×5, first 2 shown]
	v_add_u32_e32 v22, s22, v37
	v_min_u32_e32 v22, 0x800, v22
	v_lshlrev_b32_e32 v22, 3, v22
	v_cmp_gt_u32_e64 s[14:15], s7, v29
	ds_write_b64 v22, v[20:21] offset:1024
	s_waitcnt lgkmcnt(0)
	s_barrier
	s_and_saveexec_b64 s[16:17], s[14:15]
	s_cbranch_execz .LBB1181_49
; %bb.48:                               ;   in Loop: Header=BB1181_47 Depth=1
	ds_read_b64 v[38:39], v34 offset:1024
	s_cmp_eq_u32 s19, 5
	s_cselect_b64 s[14:15], -1, 0
	v_mov_b32_e32 v32, s27
	s_cmp_eq_u32 s19, 4
	s_waitcnt lgkmcnt(0)
	v_lshrrev_b64 v[40:41], s40, v[38:39]
	v_and_b32_e32 v36, s45, v40
	v_lshlrev_b32_e32 v22, 2, v36
	ds_read_b32 v22, v22
	v_cndmask_b32_e64 v7, v7, v36, s[14:15]
	v_xor_b32_e32 v39, 0x80000000, v39
	s_waitcnt lgkmcnt(0)
	v_add_u32_e32 v22, v29, v22
	v_lshlrev_b64 v[40:41], 3, v[22:23]
	v_add_co_u32_e64 v40, s[14:15], s26, v40
	v_addc_co_u32_e64 v41, s[14:15], v32, v41, s[14:15]
	s_cselect_b64 s[14:15], -1, 0
	s_cmp_eq_u32 s19, 3
	v_cndmask_b32_e64 v6, v6, v36, s[14:15]
	s_cselect_b64 s[14:15], -1, 0
	s_cmp_eq_u32 s19, 2
	v_cndmask_b32_e64 v5, v5, v36, s[14:15]
	;; [unrolled: 3-line block ×4, first 2 shown]
	s_cselect_b64 s[14:15], -1, 0
	v_cndmask_b32_e64 v2, v2, v36, s[14:15]
	global_store_dwordx2 v[40:41], v[38:39], off
.LBB1181_49:                            ;   in Loop: Header=BB1181_47 Depth=1
	s_or_b64 exec, exec, s[16:17]
	v_add_u32_e32 v22, 0x400, v29
	v_cmp_gt_u32_e64 s[14:15], s7, v22
	s_and_saveexec_b64 s[16:17], s[14:15]
	s_cbranch_execz .LBB1181_46
; %bb.50:                               ;   in Loop: Header=BB1181_47 Depth=1
	ds_read_b64 v[38:39], v35 offset:8192
	v_mov_b32_e32 v36, s27
	s_add_i32 s23, s19, 1
	s_cmp_eq_u32 s23, 5
	s_waitcnt lgkmcnt(0)
	v_lshrrev_b64 v[40:41], s40, v[38:39]
	v_and_b32_e32 v32, s45, v40
	v_lshlrev_b32_e32 v22, 2, v32
	ds_read_b32 v22, v22
	v_xor_b32_e32 v39, 0x80000000, v39
	s_waitcnt lgkmcnt(0)
	v_add3_u32 v22, v29, v22, s18
	v_lshlrev_b64 v[40:41], 3, v[22:23]
	v_add_co_u32_e64 v40, s[14:15], s26, v40
	v_addc_co_u32_e64 v41, s[14:15], v36, v41, s[14:15]
	s_cselect_b64 s[14:15], -1, 0
	s_cmp_eq_u32 s23, 4
	v_cndmask_b32_e64 v7, v7, v32, s[14:15]
	s_cselect_b64 s[14:15], -1, 0
	s_cmp_eq_u32 s23, 3
	v_cndmask_b32_e64 v6, v6, v32, s[14:15]
	;; [unrolled: 3-line block ×5, first 2 shown]
	s_cselect_b64 s[14:15], -1, 0
	v_cndmask_b32_e64 v2, v2, v32, s[14:15]
	global_store_dwordx2 v[40:41], v[38:39], off
	s_branch .LBB1181_46
.LBB1181_51:
	s_mov_b64 s[10:11], 0
                                        ; implicit-def: $vgpr2
                                        ; implicit-def: $vgpr8
	s_cbranch_execnz .LBB1181_68
	s_branch .LBB1181_107
.LBB1181_52:
	s_add_u32 s14, s28, s42
	s_addc_u32 s15, s29, s43
	v_mov_b32_e32 v10, s15
	v_add_co_u32_e64 v9, s[14:15], s14, v9
	v_addc_co_u32_e64 v10, s[14:15], 0, v10, s[14:15]
	v_add_co_u32_e64 v22, s[14:15], v9, v24
	v_addc_co_u32_e64 v23, s[14:15], 0, v10, s[14:15]
                                        ; implicit-def: $vgpr10_vgpr11
	s_and_saveexec_b64 s[14:15], vcc
	s_cbranch_execnz .LBB1181_110
; %bb.53:
	s_or_b64 exec, exec, s[14:15]
                                        ; implicit-def: $vgpr12_vgpr13
	s_and_saveexec_b64 s[14:15], s[0:1]
	s_cbranch_execnz .LBB1181_111
.LBB1181_54:
	s_or_b64 exec, exec, s[14:15]
                                        ; implicit-def: $vgpr14_vgpr15
	s_and_saveexec_b64 s[0:1], s[2:3]
	s_cbranch_execnz .LBB1181_112
.LBB1181_55:
	s_or_b64 exec, exec, s[0:1]
                                        ; implicit-def: $vgpr16_vgpr17
	s_and_saveexec_b64 s[0:1], s[20:21]
	s_cbranch_execnz .LBB1181_113
.LBB1181_56:
	s_or_b64 exec, exec, s[0:1]
                                        ; implicit-def: $vgpr18_vgpr19
	s_and_saveexec_b64 s[0:1], s[8:9]
	s_cbranch_execnz .LBB1181_114
.LBB1181_57:
	s_or_b64 exec, exec, s[0:1]
                                        ; implicit-def: $vgpr20_vgpr21
	s_and_saveexec_b64 s[0:1], s[10:11]
	s_cbranch_execz .LBB1181_59
.LBB1181_58:
	global_load_dwordx2 v[20:21], v[22:23], off offset:2560
.LBB1181_59:
	s_or_b64 exec, exec, s[0:1]
	s_mov_b32 s2, 0
	v_mov_b32_e32 v23, 0
	s_movk_i32 s3, 0x400
	s_mov_b32 s8, 0
	v_mov_b32_e32 v9, v8
	s_waitcnt vmcnt(0)
	s_branch .LBB1181_61
.LBB1181_60:                            ;   in Loop: Header=BB1181_61 Depth=1
	s_or_b64 exec, exec, s[0:1]
	s_addk_i32 s8, 0xf800
	s_add_i32 s2, s2, 2
	s_cmpk_eq_i32 s8, 0xe800
	v_add_u32_e32 v9, 0x800, v9
	s_barrier
	s_cbranch_scc1 .LBB1181_65
.LBB1181_61:                            ; =>This Inner Loop Header: Depth=1
	v_add_u32_e32 v22, s8, v31
	v_min_u32_e32 v22, 0x800, v22
	v_lshlrev_b32_e32 v22, 3, v22
	ds_write_b64 v22, v[10:11] offset:1024
	v_add_u32_e32 v22, s8, v25
	v_min_u32_e32 v22, 0x800, v22
	v_lshlrev_b32_e32 v22, 3, v22
	ds_write_b64 v22, v[12:13] offset:1024
	;; [unrolled: 4-line block ×5, first 2 shown]
	v_add_u32_e32 v22, s8, v37
	v_min_u32_e32 v22, 0x800, v22
	v_lshlrev_b32_e32 v22, 3, v22
	v_cmp_gt_u32_e32 vcc, s7, v9
	ds_write_b64 v22, v[20:21] offset:1024
	s_waitcnt lgkmcnt(0)
	s_barrier
	s_and_saveexec_b64 s[0:1], vcc
	s_cbranch_execz .LBB1181_63
; %bb.62:                               ;   in Loop: Header=BB1181_61 Depth=1
	s_cmp_eq_u32 s2, 1
	s_cselect_b64 vcc, -1, 0
	s_cmp_eq_u32 s2, 2
	v_cndmask_b32_e32 v22, v2, v3, vcc
	s_cselect_b64 vcc, -1, 0
	s_cmp_eq_u32 s2, 3
	v_cndmask_b32_e32 v22, v22, v4, vcc
	;; [unrolled: 3-line block ×4, first 2 shown]
	s_cselect_b64 vcc, -1, 0
	v_cndmask_b32_e32 v22, v22, v7, vcc
	v_lshlrev_b32_e32 v22, 2, v22
	ds_read_b32 v22, v22
	ds_read_b64 v[38:39], v34 offset:1024
	s_waitcnt lgkmcnt(1)
	v_add_u32_e32 v22, v9, v22
	v_lshlrev_b64 v[40:41], 3, v[22:23]
	v_mov_b32_e32 v22, s31
	v_add_co_u32_e32 v40, vcc, s30, v40
	v_addc_co_u32_e32 v41, vcc, v22, v41, vcc
	s_waitcnt lgkmcnt(0)
	global_store_dwordx2 v[40:41], v[38:39], off
.LBB1181_63:                            ;   in Loop: Header=BB1181_61 Depth=1
	s_or_b64 exec, exec, s[0:1]
	v_add_u32_e32 v22, 0x400, v9
	v_cmp_gt_u32_e32 vcc, s7, v22
	s_and_saveexec_b64 s[0:1], vcc
	s_cbranch_execz .LBB1181_60
; %bb.64:                               ;   in Loop: Header=BB1181_61 Depth=1
	s_add_i32 s9, s2, 1
	s_cmp_eq_u32 s9, 1
	s_cselect_b64 vcc, -1, 0
	s_cmp_eq_u32 s9, 2
	v_cndmask_b32_e32 v22, v2, v3, vcc
	s_cselect_b64 vcc, -1, 0
	s_cmp_eq_u32 s9, 3
	v_cndmask_b32_e32 v22, v22, v4, vcc
	;; [unrolled: 3-line block ×4, first 2 shown]
	s_cselect_b64 vcc, -1, 0
	v_cndmask_b32_e32 v22, v22, v7, vcc
	v_lshlrev_b32_e32 v22, 2, v22
	ds_read_b32 v22, v22
	ds_read_b64 v[38:39], v35 offset:8192
	s_waitcnt lgkmcnt(1)
	v_add3_u32 v22, v9, v22, s3
	v_lshlrev_b64 v[40:41], 3, v[22:23]
	v_mov_b32_e32 v22, s31
	v_add_co_u32_e32 v40, vcc, s30, v40
	v_addc_co_u32_e32 v41, vcc, v22, v41, vcc
	s_waitcnt lgkmcnt(0)
	global_store_dwordx2 v[40:41], v[38:39], off
	s_branch .LBB1181_60
.LBB1181_65:
	s_add_i32 s33, s33, -1
	s_cmp_eq_u32 s33, s6
	s_cselect_b64 s[0:1], -1, 0
	s_and_b64 s[2:3], s[12:13], s[0:1]
	s_mov_b64 s[0:1], 0
	s_mov_b64 s[10:11], 0
                                        ; implicit-def: $vgpr2
	s_and_saveexec_b64 s[8:9], s[2:3]
	s_xor_b64 s[2:3], exec, s[8:9]
; %bb.66:
	s_mov_b64 s[10:11], exec
	v_add_u32_e32 v2, v27, v28
; %bb.67:
	s_or_b64 exec, exec, s[2:3]
	s_and_b64 vcc, exec, s[0:1]
	s_cbranch_vccz .LBB1181_107
.LBB1181_68:
	s_mov_b32 s45, 0
	v_mbcnt_hi_u32_b32 v18, -1, v1
	s_lshl_b64 s[12:13], s[44:45], 3
	v_and_b32_e32 v1, 63, v18
	s_add_u32 s0, s24, s12
	v_lshlrev_b32_e32 v9, 3, v1
	v_add_co_u32_e32 v3, vcc, s0, v9
	s_load_dword s7, s[4:5], 0x58
	s_load_dword s0, s[4:5], 0x64
	v_and_b32_e32 v8, 0x3ff, v0
	s_addc_u32 s1, s25, s13
	v_and_b32_e32 v2, 0x3c0, v8
	v_mul_u32_u24_e32 v2, 6, v2
	v_mov_b32_e32 v1, s1
	v_addc_co_u32_e32 v1, vcc, 0, v1, vcc
	v_lshlrev_b32_e32 v20, 3, v2
	s_add_u32 s1, s4, 0x58
	v_add_co_u32_e32 v16, vcc, v3, v20
	s_addc_u32 s2, s5, 0
	s_waitcnt lgkmcnt(0)
	s_lshr_b32 s3, s0, 16
	v_addc_co_u32_e32 v17, vcc, 0, v1, vcc
	s_cmp_lt_u32 s6, s7
	global_load_dwordx2 v[2:3], v[16:17], off
	s_cselect_b32 s0, 12, 18
	s_add_u32 s0, s1, s0
	v_mov_b32_e32 v14, 0
	s_addc_u32 s1, s2, 0
	global_load_ushort v15, v14, s[0:1]
	v_mul_u32_u24_e32 v4, 5, v8
	v_lshlrev_b32_e32 v19, 2, v4
	v_bfe_u32 v1, v0, 10, 10
	v_bfe_u32 v0, v0, 20, 10
	ds_write2_b32 v19, v14, v14 offset0:16 offset1:17
	ds_write2_b32 v19, v14, v14 offset0:18 offset1:19
	ds_write_b32 v19, v14 offset:80
	v_mad_u32_u24 v21, v0, s3, v1
	global_load_dwordx2 v[0:1], v[16:17], off offset:512
	global_load_dwordx2 v[4:5], v[16:17], off offset:1024
	;; [unrolled: 1-line block ×5, first 2 shown]
	s_lshl_b32 s0, -1, s41
	s_not_b32 s16, s0
	s_waitcnt lgkmcnt(0)
	s_barrier
	s_waitcnt lgkmcnt(0)
	; wave barrier
	s_waitcnt vmcnt(6)
	v_xor_b32_e32 v3, 0x80000000, v3
	v_lshrrev_b64 v[16:17], s40, v[2:3]
	v_and_b32_e32 v22, s16, v16
	s_waitcnt vmcnt(5)
	v_mad_u64_u32 v[16:17], s[0:1], v21, v15, v[8:9]
	v_and_b32_e32 v21, 1, v22
	v_lshrrev_b32_e32 v29, 6, v16
	v_add_co_u32_e32 v16, vcc, -1, v21
	v_lshlrev_b32_e32 v15, 30, v22
	v_addc_co_u32_e64 v24, s[0:1], 0, -1, vcc
	v_lshl_add_u32 v17, v22, 4, v22
	v_cmp_ne_u32_e32 vcc, 0, v21
	v_cmp_gt_i64_e64 s[0:1], 0, v[14:15]
	v_not_b32_e32 v21, v15
	v_lshlrev_b32_e32 v15, 29, v22
	v_add_lshl_u32 v23, v29, v17, 2
	v_xor_b32_e32 v17, vcc_hi, v24
	v_xor_b32_e32 v16, vcc_lo, v16
	v_ashrrev_i32_e32 v21, 31, v21
	v_cmp_gt_i64_e32 vcc, 0, v[14:15]
	v_not_b32_e32 v24, v15
	v_lshlrev_b32_e32 v15, 28, v22
	v_and_b32_e32 v17, exec_hi, v17
	v_and_b32_e32 v16, exec_lo, v16
	v_xor_b32_e32 v25, s1, v21
	v_xor_b32_e32 v21, s0, v21
	v_ashrrev_i32_e32 v24, 31, v24
	v_cmp_gt_i64_e64 s[0:1], 0, v[14:15]
	v_not_b32_e32 v26, v15
	v_lshlrev_b32_e32 v15, 27, v22
	v_and_b32_e32 v17, v17, v25
	v_and_b32_e32 v16, v16, v21
	v_xor_b32_e32 v21, vcc_hi, v24
	v_xor_b32_e32 v24, vcc_lo, v24
	v_ashrrev_i32_e32 v25, 31, v26
	v_cmp_gt_i64_e32 vcc, 0, v[14:15]
	v_not_b32_e32 v15, v15
	v_and_b32_e32 v17, v17, v21
	v_and_b32_e32 v16, v16, v24
	v_xor_b32_e32 v21, s1, v25
	v_xor_b32_e32 v24, s0, v25
	v_ashrrev_i32_e32 v15, 31, v15
	v_and_b32_e32 v17, v17, v21
	v_and_b32_e32 v16, v16, v24
	v_xor_b32_e32 v21, vcc_hi, v15
	v_xor_b32_e32 v15, vcc_lo, v15
	v_and_b32_e32 v16, v16, v15
	v_lshlrev_b32_e32 v15, 26, v22
	v_cmp_gt_i64_e32 vcc, 0, v[14:15]
	v_not_b32_e32 v15, v15
	v_ashrrev_i32_e32 v15, 31, v15
	v_and_b32_e32 v17, v17, v21
	v_xor_b32_e32 v21, vcc_hi, v15
	v_xor_b32_e32 v15, vcc_lo, v15
	v_and_b32_e32 v16, v16, v15
	v_lshlrev_b32_e32 v15, 25, v22
	v_cmp_gt_i64_e32 vcc, 0, v[14:15]
	v_not_b32_e32 v15, v15
	v_ashrrev_i32_e32 v15, 31, v15
	;; [unrolled: 8-line block ×3, first 2 shown]
	v_and_b32_e32 v17, v17, v21
	v_xor_b32_e32 v21, vcc_hi, v15
	v_xor_b32_e32 v15, vcc_lo, v15
	v_and_b32_e32 v16, v16, v15
	v_and_b32_e32 v17, v17, v21
	v_mbcnt_lo_u32_b32 v15, v16, 0
	v_mbcnt_hi_u32_b32 v21, v17, v15
	v_cmp_eq_u32_e32 vcc, 0, v21
	v_cmp_ne_u64_e64 s[0:1], 0, v[16:17]
	s_and_b64 s[2:3], s[0:1], vcc
	s_and_saveexec_b64 s[0:1], s[2:3]
	s_cbranch_execz .LBB1181_70
; %bb.69:
	v_bcnt_u32_b32 v15, v16, 0
	v_bcnt_u32_b32 v15, v17, v15
	ds_write_b32 v23, v15 offset:64
.LBB1181_70:
	s_or_b64 exec, exec, s[0:1]
	s_waitcnt vmcnt(4)
	v_xor_b32_e32 v1, 0x80000000, v1
	v_lshrrev_b64 v[16:17], s40, v[0:1]
	v_and_b32_e32 v16, s16, v16
	v_lshl_add_u32 v15, v16, 4, v16
	v_add_lshl_u32 v26, v29, v15, 2
	v_and_b32_e32 v15, 1, v16
	v_add_co_u32_e32 v17, vcc, -1, v15
	v_addc_co_u32_e64 v24, s[0:1], 0, -1, vcc
	v_cmp_ne_u32_e32 vcc, 0, v15
	v_xor_b32_e32 v15, vcc_hi, v24
	v_and_b32_e32 v24, exec_hi, v15
	v_lshlrev_b32_e32 v15, 30, v16
	v_xor_b32_e32 v17, vcc_lo, v17
	v_cmp_gt_i64_e32 vcc, 0, v[14:15]
	v_not_b32_e32 v15, v15
	v_ashrrev_i32_e32 v15, 31, v15
	v_and_b32_e32 v17, exec_lo, v17
	v_xor_b32_e32 v25, vcc_hi, v15
	v_xor_b32_e32 v15, vcc_lo, v15
	v_and_b32_e32 v17, v17, v15
	v_lshlrev_b32_e32 v15, 29, v16
	v_cmp_gt_i64_e32 vcc, 0, v[14:15]
	v_not_b32_e32 v15, v15
	v_ashrrev_i32_e32 v15, 31, v15
	v_and_b32_e32 v24, v24, v25
	v_xor_b32_e32 v25, vcc_hi, v15
	v_xor_b32_e32 v15, vcc_lo, v15
	v_and_b32_e32 v17, v17, v15
	v_lshlrev_b32_e32 v15, 28, v16
	v_cmp_gt_i64_e32 vcc, 0, v[14:15]
	v_not_b32_e32 v15, v15
	v_ashrrev_i32_e32 v15, 31, v15
	v_and_b32_e32 v24, v24, v25
	;; [unrolled: 8-line block ×5, first 2 shown]
	v_xor_b32_e32 v25, vcc_hi, v15
	v_xor_b32_e32 v15, vcc_lo, v15
	v_and_b32_e32 v17, v17, v15
	v_lshlrev_b32_e32 v15, 24, v16
	v_cmp_gt_i64_e32 vcc, 0, v[14:15]
	v_not_b32_e32 v14, v15
	v_ashrrev_i32_e32 v14, 31, v14
	v_xor_b32_e32 v15, vcc_hi, v14
	v_xor_b32_e32 v14, vcc_lo, v14
	; wave barrier
	ds_read_b32 v22, v26 offset:64
	v_and_b32_e32 v24, v24, v25
	v_and_b32_e32 v14, v17, v14
	;; [unrolled: 1-line block ×3, first 2 shown]
	v_mbcnt_lo_u32_b32 v16, v14, 0
	v_mbcnt_hi_u32_b32 v24, v15, v16
	v_cmp_eq_u32_e32 vcc, 0, v24
	v_cmp_ne_u64_e64 s[0:1], 0, v[14:15]
	s_and_b64 s[2:3], s[0:1], vcc
	; wave barrier
	s_and_saveexec_b64 s[0:1], s[2:3]
	s_cbranch_execz .LBB1181_72
; %bb.71:
	v_bcnt_u32_b32 v14, v14, 0
	v_bcnt_u32_b32 v14, v15, v14
	s_waitcnt lgkmcnt(0)
	v_add_u32_e32 v14, v22, v14
	ds_write_b32 v26, v14 offset:64
.LBB1181_72:
	s_or_b64 exec, exec, s[0:1]
	s_waitcnt vmcnt(3)
	v_xor_b32_e32 v5, 0x80000000, v5
	v_lshrrev_b64 v[14:15], s40, v[4:5]
	v_and_b32_e32 v16, s16, v14
	v_and_b32_e32 v15, 1, v16
	v_add_co_u32_e32 v17, vcc, -1, v15
	v_addc_co_u32_e64 v27, s[0:1], 0, -1, vcc
	v_cmp_ne_u32_e32 vcc, 0, v15
	v_lshl_add_u32 v14, v16, 4, v16
	v_xor_b32_e32 v15, vcc_hi, v27
	v_add_lshl_u32 v30, v29, v14, 2
	v_mov_b32_e32 v14, 0
	v_and_b32_e32 v27, exec_hi, v15
	v_lshlrev_b32_e32 v15, 30, v16
	v_xor_b32_e32 v17, vcc_lo, v17
	v_cmp_gt_i64_e32 vcc, 0, v[14:15]
	v_not_b32_e32 v15, v15
	v_ashrrev_i32_e32 v15, 31, v15
	v_and_b32_e32 v17, exec_lo, v17
	v_xor_b32_e32 v28, vcc_hi, v15
	v_xor_b32_e32 v15, vcc_lo, v15
	v_and_b32_e32 v17, v17, v15
	v_lshlrev_b32_e32 v15, 29, v16
	v_cmp_gt_i64_e32 vcc, 0, v[14:15]
	v_not_b32_e32 v15, v15
	v_ashrrev_i32_e32 v15, 31, v15
	v_and_b32_e32 v27, v27, v28
	v_xor_b32_e32 v28, vcc_hi, v15
	v_xor_b32_e32 v15, vcc_lo, v15
	v_and_b32_e32 v17, v17, v15
	v_lshlrev_b32_e32 v15, 28, v16
	v_cmp_gt_i64_e32 vcc, 0, v[14:15]
	v_not_b32_e32 v15, v15
	v_ashrrev_i32_e32 v15, 31, v15
	v_and_b32_e32 v27, v27, v28
	;; [unrolled: 8-line block ×5, first 2 shown]
	v_xor_b32_e32 v28, vcc_hi, v15
	v_xor_b32_e32 v15, vcc_lo, v15
	v_and_b32_e32 v27, v27, v28
	v_and_b32_e32 v28, v17, v15
	v_lshlrev_b32_e32 v15, 24, v16
	v_cmp_gt_i64_e32 vcc, 0, v[14:15]
	v_not_b32_e32 v15, v15
	v_ashrrev_i32_e32 v15, 31, v15
	v_xor_b32_e32 v16, vcc_hi, v15
	v_xor_b32_e32 v15, vcc_lo, v15
	; wave barrier
	ds_read_b32 v25, v30 offset:64
	v_and_b32_e32 v17, v27, v16
	v_and_b32_e32 v16, v28, v15
	v_mbcnt_lo_u32_b32 v15, v16, 0
	v_mbcnt_hi_u32_b32 v27, v17, v15
	v_cmp_eq_u32_e32 vcc, 0, v27
	v_cmp_ne_u64_e64 s[0:1], 0, v[16:17]
	s_and_b64 s[2:3], s[0:1], vcc
	; wave barrier
	s_and_saveexec_b64 s[0:1], s[2:3]
	s_cbranch_execz .LBB1181_74
; %bb.73:
	v_bcnt_u32_b32 v15, v16, 0
	v_bcnt_u32_b32 v15, v17, v15
	s_waitcnt lgkmcnt(0)
	v_add_u32_e32 v15, v25, v15
	ds_write_b32 v30, v15 offset:64
.LBB1181_74:
	s_or_b64 exec, exec, s[0:1]
	s_waitcnt vmcnt(2)
	v_xor_b32_e32 v7, 0x80000000, v7
	v_lshrrev_b64 v[16:17], s40, v[6:7]
	v_and_b32_e32 v16, s16, v16
	v_lshl_add_u32 v15, v16, 4, v16
	v_add_lshl_u32 v33, v29, v15, 2
	v_and_b32_e32 v15, 1, v16
	v_add_co_u32_e32 v17, vcc, -1, v15
	v_addc_co_u32_e64 v31, s[0:1], 0, -1, vcc
	v_cmp_ne_u32_e32 vcc, 0, v15
	v_xor_b32_e32 v15, vcc_hi, v31
	v_and_b32_e32 v31, exec_hi, v15
	v_lshlrev_b32_e32 v15, 30, v16
	v_xor_b32_e32 v17, vcc_lo, v17
	v_cmp_gt_i64_e32 vcc, 0, v[14:15]
	v_not_b32_e32 v15, v15
	v_ashrrev_i32_e32 v15, 31, v15
	v_and_b32_e32 v17, exec_lo, v17
	v_xor_b32_e32 v32, vcc_hi, v15
	v_xor_b32_e32 v15, vcc_lo, v15
	v_and_b32_e32 v17, v17, v15
	v_lshlrev_b32_e32 v15, 29, v16
	v_cmp_gt_i64_e32 vcc, 0, v[14:15]
	v_not_b32_e32 v15, v15
	v_ashrrev_i32_e32 v15, 31, v15
	v_and_b32_e32 v31, v31, v32
	v_xor_b32_e32 v32, vcc_hi, v15
	v_xor_b32_e32 v15, vcc_lo, v15
	v_and_b32_e32 v17, v17, v15
	v_lshlrev_b32_e32 v15, 28, v16
	v_cmp_gt_i64_e32 vcc, 0, v[14:15]
	v_not_b32_e32 v15, v15
	v_ashrrev_i32_e32 v15, 31, v15
	v_and_b32_e32 v31, v31, v32
	;; [unrolled: 8-line block ×5, first 2 shown]
	v_xor_b32_e32 v32, vcc_hi, v15
	v_xor_b32_e32 v15, vcc_lo, v15
	v_and_b32_e32 v17, v17, v15
	v_lshlrev_b32_e32 v15, 24, v16
	v_cmp_gt_i64_e32 vcc, 0, v[14:15]
	v_not_b32_e32 v14, v15
	v_ashrrev_i32_e32 v14, 31, v14
	v_xor_b32_e32 v15, vcc_hi, v14
	v_xor_b32_e32 v14, vcc_lo, v14
	; wave barrier
	ds_read_b32 v28, v33 offset:64
	v_and_b32_e32 v31, v31, v32
	v_and_b32_e32 v14, v17, v14
	;; [unrolled: 1-line block ×3, first 2 shown]
	v_mbcnt_lo_u32_b32 v16, v14, 0
	v_mbcnt_hi_u32_b32 v31, v15, v16
	v_cmp_eq_u32_e32 vcc, 0, v31
	v_cmp_ne_u64_e64 s[0:1], 0, v[14:15]
	s_and_b64 s[2:3], s[0:1], vcc
	; wave barrier
	s_and_saveexec_b64 s[0:1], s[2:3]
	s_cbranch_execz .LBB1181_76
; %bb.75:
	v_bcnt_u32_b32 v14, v14, 0
	v_bcnt_u32_b32 v14, v15, v14
	s_waitcnt lgkmcnt(0)
	v_add_u32_e32 v14, v28, v14
	ds_write_b32 v33, v14 offset:64
.LBB1181_76:
	s_or_b64 exec, exec, s[0:1]
	s_waitcnt vmcnt(1)
	v_xor_b32_e32 v11, 0x80000000, v11
	v_lshrrev_b64 v[14:15], s40, v[10:11]
	v_and_b32_e32 v16, s16, v14
	v_and_b32_e32 v15, 1, v16
	v_add_co_u32_e32 v17, vcc, -1, v15
	v_addc_co_u32_e64 v34, s[0:1], 0, -1, vcc
	v_cmp_ne_u32_e32 vcc, 0, v15
	v_lshl_add_u32 v14, v16, 4, v16
	v_xor_b32_e32 v15, vcc_hi, v34
	v_add_lshl_u32 v35, v29, v14, 2
	v_mov_b32_e32 v14, 0
	v_and_b32_e32 v34, exec_hi, v15
	v_lshlrev_b32_e32 v15, 30, v16
	v_xor_b32_e32 v17, vcc_lo, v17
	v_cmp_gt_i64_e32 vcc, 0, v[14:15]
	v_not_b32_e32 v15, v15
	v_ashrrev_i32_e32 v15, 31, v15
	v_and_b32_e32 v17, exec_lo, v17
	v_xor_b32_e32 v36, vcc_hi, v15
	v_xor_b32_e32 v15, vcc_lo, v15
	v_and_b32_e32 v17, v17, v15
	v_lshlrev_b32_e32 v15, 29, v16
	v_cmp_gt_i64_e32 vcc, 0, v[14:15]
	v_not_b32_e32 v15, v15
	v_ashrrev_i32_e32 v15, 31, v15
	v_and_b32_e32 v34, v34, v36
	v_xor_b32_e32 v36, vcc_hi, v15
	v_xor_b32_e32 v15, vcc_lo, v15
	v_and_b32_e32 v17, v17, v15
	v_lshlrev_b32_e32 v15, 28, v16
	v_cmp_gt_i64_e32 vcc, 0, v[14:15]
	v_not_b32_e32 v15, v15
	v_ashrrev_i32_e32 v15, 31, v15
	v_and_b32_e32 v34, v34, v36
	;; [unrolled: 8-line block ×5, first 2 shown]
	v_xor_b32_e32 v36, vcc_hi, v15
	v_xor_b32_e32 v15, vcc_lo, v15
	v_and_b32_e32 v34, v34, v36
	v_and_b32_e32 v36, v17, v15
	v_lshlrev_b32_e32 v15, 24, v16
	v_cmp_gt_i64_e32 vcc, 0, v[14:15]
	v_not_b32_e32 v15, v15
	v_ashrrev_i32_e32 v15, 31, v15
	v_xor_b32_e32 v16, vcc_hi, v15
	v_xor_b32_e32 v15, vcc_lo, v15
	; wave barrier
	ds_read_b32 v32, v35 offset:64
	v_and_b32_e32 v17, v34, v16
	v_and_b32_e32 v16, v36, v15
	v_mbcnt_lo_u32_b32 v15, v16, 0
	v_mbcnt_hi_u32_b32 v34, v17, v15
	v_cmp_eq_u32_e32 vcc, 0, v34
	v_cmp_ne_u64_e64 s[0:1], 0, v[16:17]
	s_and_b64 s[2:3], s[0:1], vcc
	; wave barrier
	s_and_saveexec_b64 s[0:1], s[2:3]
	s_cbranch_execz .LBB1181_78
; %bb.77:
	v_bcnt_u32_b32 v15, v16, 0
	v_bcnt_u32_b32 v15, v17, v15
	s_waitcnt lgkmcnt(0)
	v_add_u32_e32 v15, v32, v15
	ds_write_b32 v35, v15 offset:64
.LBB1181_78:
	s_or_b64 exec, exec, s[0:1]
	s_waitcnt vmcnt(0)
	v_xor_b32_e32 v13, 0x80000000, v13
	v_lshrrev_b64 v[16:17], s40, v[12:13]
	v_and_b32_e32 v16, s16, v16
	v_lshl_add_u32 v15, v16, 4, v16
	v_add_lshl_u32 v39, v29, v15, 2
	v_and_b32_e32 v15, 1, v16
	v_add_co_u32_e32 v17, vcc, -1, v15
	v_addc_co_u32_e64 v36, s[0:1], 0, -1, vcc
	v_cmp_ne_u32_e32 vcc, 0, v15
	v_xor_b32_e32 v15, vcc_hi, v36
	v_and_b32_e32 v36, exec_hi, v15
	v_lshlrev_b32_e32 v15, 30, v16
	v_xor_b32_e32 v17, vcc_lo, v17
	v_cmp_gt_i64_e32 vcc, 0, v[14:15]
	v_not_b32_e32 v15, v15
	v_ashrrev_i32_e32 v15, 31, v15
	v_and_b32_e32 v17, exec_lo, v17
	v_xor_b32_e32 v37, vcc_hi, v15
	v_xor_b32_e32 v15, vcc_lo, v15
	v_and_b32_e32 v17, v17, v15
	v_lshlrev_b32_e32 v15, 29, v16
	v_cmp_gt_i64_e32 vcc, 0, v[14:15]
	v_not_b32_e32 v15, v15
	v_ashrrev_i32_e32 v15, 31, v15
	v_and_b32_e32 v36, v36, v37
	v_xor_b32_e32 v37, vcc_hi, v15
	v_xor_b32_e32 v15, vcc_lo, v15
	v_and_b32_e32 v17, v17, v15
	v_lshlrev_b32_e32 v15, 28, v16
	v_cmp_gt_i64_e32 vcc, 0, v[14:15]
	v_not_b32_e32 v15, v15
	v_ashrrev_i32_e32 v15, 31, v15
	v_and_b32_e32 v36, v36, v37
	;; [unrolled: 8-line block ×5, first 2 shown]
	v_xor_b32_e32 v37, vcc_hi, v15
	v_xor_b32_e32 v15, vcc_lo, v15
	v_and_b32_e32 v17, v17, v15
	v_lshlrev_b32_e32 v15, 24, v16
	v_cmp_gt_i64_e32 vcc, 0, v[14:15]
	v_not_b32_e32 v14, v15
	v_ashrrev_i32_e32 v14, 31, v14
	v_xor_b32_e32 v15, vcc_hi, v14
	v_xor_b32_e32 v14, vcc_lo, v14
	; wave barrier
	ds_read_b32 v29, v39 offset:64
	v_and_b32_e32 v36, v36, v37
	v_and_b32_e32 v14, v17, v14
	;; [unrolled: 1-line block ×3, first 2 shown]
	v_mbcnt_lo_u32_b32 v16, v14, 0
	v_mbcnt_hi_u32_b32 v36, v15, v16
	v_cmp_eq_u32_e32 vcc, 0, v36
	v_cmp_ne_u64_e64 s[0:1], 0, v[14:15]
	v_add_u32_e32 v38, 64, v19
	s_and_b64 s[2:3], s[0:1], vcc
	; wave barrier
	s_and_saveexec_b64 s[0:1], s[2:3]
	s_cbranch_execz .LBB1181_80
; %bb.79:
	v_bcnt_u32_b32 v14, v14, 0
	v_bcnt_u32_b32 v14, v15, v14
	s_waitcnt lgkmcnt(0)
	v_add_u32_e32 v14, v29, v14
	ds_write_b32 v39, v14 offset:64
.LBB1181_80:
	s_or_b64 exec, exec, s[0:1]
	; wave barrier
	s_waitcnt lgkmcnt(0)
	s_barrier
	ds_read2_b32 v[16:17], v19 offset0:16 offset1:17
	ds_read2_b32 v[14:15], v38 offset0:2 offset1:3
	ds_read_b32 v37, v38 offset:16
	v_cmp_lt_u32_e64 s[8:9], 31, v18
	s_waitcnt lgkmcnt(1)
	v_add3_u32 v40, v17, v16, v14
	s_waitcnt lgkmcnt(0)
	v_add3_u32 v37, v40, v15, v37
	v_and_b32_e32 v40, 15, v18
	v_cmp_eq_u32_e32 vcc, 0, v40
	v_mov_b32_dpp v41, v37 row_shr:1 row_mask:0xf bank_mask:0xf
	v_cndmask_b32_e64 v41, v41, 0, vcc
	v_add_u32_e32 v37, v41, v37
	v_cmp_lt_u32_e64 s[0:1], 1, v40
	v_cmp_lt_u32_e64 s[2:3], 3, v40
	v_mov_b32_dpp v41, v37 row_shr:2 row_mask:0xf bank_mask:0xf
	v_cndmask_b32_e64 v41, 0, v41, s[0:1]
	v_add_u32_e32 v37, v37, v41
	v_cmp_lt_u32_e64 s[4:5], 7, v40
	s_nop 0
	v_mov_b32_dpp v41, v37 row_shr:4 row_mask:0xf bank_mask:0xf
	v_cndmask_b32_e64 v41, 0, v41, s[2:3]
	v_add_u32_e32 v37, v37, v41
	s_nop 1
	v_mov_b32_dpp v41, v37 row_shr:8 row_mask:0xf bank_mask:0xf
	v_cndmask_b32_e64 v40, 0, v41, s[4:5]
	v_add_u32_e32 v37, v37, v40
	v_bfe_i32 v41, v18, 4, 1
	s_nop 0
	v_mov_b32_dpp v40, v37 row_bcast:15 row_mask:0xf bank_mask:0xf
	v_and_b32_e32 v40, v41, v40
	v_add_u32_e32 v37, v37, v40
	v_lshrrev_b32_e32 v41, 6, v8
	s_nop 0
	v_mov_b32_dpp v40, v37 row_bcast:31 row_mask:0xf bank_mask:0xf
	v_cndmask_b32_e64 v40, 0, v40, s[8:9]
	v_add_u32_e32 v40, v37, v40
	v_and_b32_e32 v37, 63, v8
	v_cmp_eq_u32_e64 s[8:9], 63, v37
	s_and_saveexec_b64 s[14:15], s[8:9]
	s_cbranch_execz .LBB1181_82
; %bb.81:
	v_lshlrev_b32_e32 v37, 2, v41
	ds_write_b32 v37, v40
.LBB1181_82:
	s_or_b64 exec, exec, s[14:15]
	v_cmp_gt_u32_e64 s[8:9], 16, v8
	v_lshlrev_b32_e32 v37, 2, v8
	s_waitcnt lgkmcnt(0)
	s_barrier
	s_and_saveexec_b64 s[14:15], s[8:9]
	s_cbranch_execz .LBB1181_84
; %bb.83:
	ds_read_b32 v42, v37
	s_waitcnt lgkmcnt(0)
	s_nop 0
	v_mov_b32_dpp v43, v42 row_shr:1 row_mask:0xf bank_mask:0xf
	v_cndmask_b32_e64 v43, v43, 0, vcc
	v_add_u32_e32 v42, v43, v42
	s_nop 1
	v_mov_b32_dpp v43, v42 row_shr:2 row_mask:0xf bank_mask:0xf
	v_cndmask_b32_e64 v43, 0, v43, s[0:1]
	v_add_u32_e32 v42, v42, v43
	s_nop 1
	v_mov_b32_dpp v43, v42 row_shr:4 row_mask:0xf bank_mask:0xf
	v_cndmask_b32_e64 v43, 0, v43, s[2:3]
	;; [unrolled: 4-line block ×3, first 2 shown]
	v_add_u32_e32 v42, v42, v43
	ds_write_b32 v37, v42
.LBB1181_84:
	s_or_b64 exec, exec, s[14:15]
	v_cmp_lt_u32_e32 vcc, 63, v8
	v_mov_b32_e32 v42, 0
	s_waitcnt lgkmcnt(0)
	s_barrier
	s_and_saveexec_b64 s[0:1], vcc
	s_cbranch_execz .LBB1181_86
; %bb.85:
	v_lshl_add_u32 v41, v41, 2, -4
	ds_read_b32 v42, v41
.LBB1181_86:
	s_or_b64 exec, exec, s[0:1]
	v_add_u32_e32 v41, -1, v18
	v_and_b32_e32 v43, 64, v18
	v_cmp_lt_i32_e32 vcc, v41, v43
	v_cndmask_b32_e32 v41, v41, v18, vcc
	s_waitcnt lgkmcnt(0)
	v_add_u32_e32 v40, v42, v40
	v_lshlrev_b32_e32 v41, 2, v41
	ds_bpermute_b32 v40, v41, v40
	v_cmp_eq_u32_e32 vcc, 0, v18
	s_movk_i32 s0, 0x100
	s_waitcnt lgkmcnt(0)
	v_cndmask_b32_e32 v18, v40, v42, vcc
	v_cmp_ne_u32_e32 vcc, 0, v8
	v_cndmask_b32_e32 v18, 0, v18, vcc
	v_add_u32_e32 v16, v18, v16
	v_add_u32_e32 v17, v16, v17
	v_add_u32_e32 v14, v17, v14
	v_add_u32_e32 v15, v14, v15
	ds_write2_b32 v19, v18, v16 offset0:16 offset1:17
	ds_write2_b32 v38, v17, v14 offset0:2 offset1:3
	ds_write_b32 v38, v15 offset:16
	s_waitcnt lgkmcnt(0)
	s_barrier
	ds_read_b32 v40, v23 offset:64
	ds_read_b32 v38, v26 offset:64
	;; [unrolled: 1-line block ×6, first 2 shown]
	v_cmp_gt_u32_e32 vcc, s0, v8
                                        ; implicit-def: $vgpr23
                                        ; implicit-def: $vgpr26
	s_and_saveexec_b64 s[2:3], vcc
	s_cbranch_execz .LBB1181_90
; %bb.87:
	v_mul_u32_u24_e32 v14, 17, v8
	v_lshlrev_b32_e32 v15, 2, v14
	ds_read_b32 v23, v15 offset:64
	s_movk_i32 s0, 0xff
	v_cmp_ne_u32_e64 s[0:1], s0, v8
	v_mov_b32_e32 v14, 0x1800
	s_and_saveexec_b64 s[4:5], s[0:1]
	s_cbranch_execz .LBB1181_89
; %bb.88:
	ds_read_b32 v14, v15 offset:132
.LBB1181_89:
	s_or_b64 exec, exec, s[4:5]
	s_waitcnt lgkmcnt(0)
	v_sub_u32_e32 v26, v14, v23
.LBB1181_90:
	s_or_b64 exec, exec, s[2:3]
	s_waitcnt lgkmcnt(0)
	s_barrier
	s_and_saveexec_b64 s[2:3], vcc
	s_cbranch_execz .LBB1181_100
; %bb.91:
	v_lshl_or_b32 v14, s6, 8, v8
	v_mov_b32_e32 v15, 0
	v_lshlrev_b64 v[16:17], 2, v[14:15]
	v_mov_b32_e32 v41, s35
	v_add_co_u32_e64 v16, s[0:1], s34, v16
	v_addc_co_u32_e64 v17, s[0:1], v41, v17, s[0:1]
	v_or_b32_e32 v14, 2.0, v26
	s_mov_b64 s[4:5], 0
	s_brev_b32 s17, 1
	s_mov_b32 s18, s6
	v_mov_b32_e32 v42, 0
	global_store_dword v[16:17], v14, off
                                        ; implicit-def: $sgpr0_sgpr1
	s_branch .LBB1181_94
.LBB1181_92:                            ;   in Loop: Header=BB1181_94 Depth=1
	s_or_b64 exec, exec, s[14:15]
.LBB1181_93:                            ;   in Loop: Header=BB1181_94 Depth=1
	s_or_b64 exec, exec, s[8:9]
	v_and_b32_e32 v18, 0x3fffffff, v43
	v_add_u32_e32 v42, v18, v42
	v_cmp_eq_u32_e64 s[0:1], s17, v14
	s_and_b64 s[8:9], exec, s[0:1]
	s_or_b64 s[4:5], s[8:9], s[4:5]
	s_andn2_b64 exec, exec, s[4:5]
	s_cbranch_execz .LBB1181_99
.LBB1181_94:                            ; =>This Loop Header: Depth=1
                                        ;     Child Loop BB1181_97 Depth 2
	s_or_b64 s[0:1], s[0:1], exec
	s_cmp_eq_u32 s18, 0
	s_cbranch_scc1 .LBB1181_98
; %bb.95:                               ;   in Loop: Header=BB1181_94 Depth=1
	s_add_i32 s18, s18, -1
	v_lshl_or_b32 v14, s18, 8, v8
	v_lshlrev_b64 v[18:19], 2, v[14:15]
	v_add_co_u32_e64 v18, s[0:1], s34, v18
	v_addc_co_u32_e64 v19, s[0:1], v41, v19, s[0:1]
	global_load_dword v43, v[18:19], off glc
	s_waitcnt vmcnt(0)
	v_and_b32_e32 v14, -2.0, v43
	v_cmp_eq_u32_e64 s[0:1], 0, v14
	s_and_saveexec_b64 s[8:9], s[0:1]
	s_cbranch_execz .LBB1181_93
; %bb.96:                               ;   in Loop: Header=BB1181_94 Depth=1
	s_mov_b64 s[14:15], 0
.LBB1181_97:                            ;   Parent Loop BB1181_94 Depth=1
                                        ; =>  This Inner Loop Header: Depth=2
	global_load_dword v43, v[18:19], off glc
	s_waitcnt vmcnt(0)
	v_and_b32_e32 v14, -2.0, v43
	v_cmp_ne_u32_e64 s[0:1], 0, v14
	s_or_b64 s[14:15], s[0:1], s[14:15]
	s_andn2_b64 exec, exec, s[14:15]
	s_cbranch_execnz .LBB1181_97
	s_branch .LBB1181_92
.LBB1181_98:                            ;   in Loop: Header=BB1181_94 Depth=1
                                        ; implicit-def: $sgpr18
	s_and_b64 s[8:9], exec, s[0:1]
	s_or_b64 s[4:5], s[8:9], s[4:5]
	s_andn2_b64 exec, exec, s[4:5]
	s_cbranch_execnz .LBB1181_94
.LBB1181_99:
	s_or_b64 exec, exec, s[4:5]
	v_add_u32_e32 v14, v42, v26
	v_or_b32_e32 v14, 0x80000000, v14
	global_store_dword v[16:17], v14, off
	global_load_dword v14, v37, s[36:37]
	v_sub_u32_e32 v15, v42, v23
	s_waitcnt vmcnt(0)
	v_add_u32_e32 v14, v15, v14
	ds_write_b32 v37, v14
.LBB1181_100:
	s_or_b64 exec, exec, s[2:3]
	v_lshlrev_b32_e32 v17, 3, v8
	v_add_u32_e32 v16, v40, v21
	s_movk_i32 s2, 0x400
	v_add_u32_e32 v18, 0x400, v17
	v_add3_u32 v19, v36, v39, v29
	v_add3_u32 v21, v34, v35, v32
	;; [unrolled: 1-line block ×5, first 2 shown]
	s_mov_b32 s3, 0
	s_mov_b32 s4, 1
	v_mov_b32_e32 v33, s27
	v_mov_b32_e32 v15, 0
	;; [unrolled: 1-line block ×3, first 2 shown]
                                        ; implicit-def: $vgpr32
                                        ; implicit-def: $vgpr31
                                        ; implicit-def: $vgpr30
                                        ; implicit-def: $vgpr29
                                        ; implicit-def: $vgpr27
                                        ; implicit-def: $vgpr24
.LBB1181_101:                           ; =>This Inner Loop Header: Depth=1
	v_add_u32_e32 v14, s3, v16
	v_add_u32_e32 v36, s3, v25
	;; [unrolled: 1-line block ×6, first 2 shown]
	v_min_u32_e32 v14, 0x800, v14
	v_min_u32_e32 v36, 0x800, v36
	v_min_u32_e32 v37, 0x800, v37
	v_min_u32_e32 v38, 0x800, v38
	v_min_u32_e32 v39, 0x800, v39
	v_min_u32_e32 v35, 0x800, v35
	v_lshlrev_b32_e32 v14, 3, v14
	v_lshlrev_b32_e32 v36, 3, v36
	;; [unrolled: 1-line block ×6, first 2 shown]
	ds_write_b64 v14, v[2:3] offset:1024
	ds_write_b64 v35, v[0:1] offset:1024
	;; [unrolled: 1-line block ×6, first 2 shown]
	s_waitcnt lgkmcnt(0)
	s_barrier
	ds_read_b64 v[36:37], v17 offset:1024
	ds_read_b64 v[38:39], v18 offset:8192
	s_add_i32 s5, s4, -1
	s_cmp_eq_u32 s5, 0
	s_cselect_b64 s[0:1], -1, 0
	s_waitcnt lgkmcnt(1)
	v_lshrrev_b64 v[40:41], s40, v[36:37]
	v_and_b32_e32 v14, s16, v40
	s_cmp_eq_u32 s5, 1
	s_waitcnt lgkmcnt(0)
	v_lshrrev_b64 v[42:43], s40, v[38:39]
	v_cndmask_b32_e64 v32, v32, v14, s[0:1]
	s_cselect_b64 s[0:1], -1, 0
	s_cmp_eq_u32 s5, 2
	v_and_b32_e32 v35, s16, v42
	v_lshlrev_b32_e32 v40, 2, v14
	v_cndmask_b32_e64 v44, v31, v14, s[0:1]
	s_cselect_b64 s[0:1], -1, 0
	s_cmp_eq_u32 s5, 3
	v_lshlrev_b32_e32 v31, 2, v35
	v_cndmask_b32_e64 v45, v30, v14, s[0:1]
	ds_read_b32 v30, v40
	ds_read_b32 v40, v31
	s_cselect_b64 s[0:1], -1, 0
	s_cmp_eq_u32 s5, 4
	v_cndmask_b32_e64 v29, v29, v14, s[0:1]
	s_cselect_b64 s[0:1], -1, 0
	s_cmp_eq_u32 s5, 5
	v_cndmask_b32_e64 v27, v27, v14, s[0:1]
	;; [unrolled: 3-line block ×4, first 2 shown]
	s_waitcnt lgkmcnt(1)
	v_add_u32_e32 v14, v34, v30
	s_cselect_b64 s[0:1], -1, 0
	s_cmp_eq_u32 s4, 3
	v_cndmask_b32_e64 v27, v27, v35, s[0:1]
	v_lshlrev_b64 v[30:31], 3, v[14:15]
	s_cselect_b64 s[0:1], -1, 0
	s_waitcnt lgkmcnt(0)
	v_add3_u32 v14, v34, v40, s2
	v_cndmask_b32_e64 v29, v29, v35, s[0:1]
	v_add_co_u32_e64 v40, s[0:1], s26, v30
	s_cmp_eq_u32 s4, 2
	v_addc_co_u32_e64 v41, s[0:1], v33, v31, s[0:1]
	v_xor_b32_e32 v37, 0x80000000, v37
	v_lshlrev_b64 v[42:43], 3, v[14:15]
	s_cselect_b64 s[0:1], -1, 0
	v_cndmask_b32_e64 v30, v45, v35, s[0:1]
	global_store_dwordx2 v[40:41], v[36:37], off
	v_add_co_u32_e64 v36, s[0:1], s26, v42
	s_cmp_eq_u32 s4, 1
	v_addc_co_u32_e64 v37, s[0:1], v33, v43, s[0:1]
	s_cselect_b64 s[0:1], -1, 0
	s_cmp_eq_u32 s4, 0
	v_cndmask_b32_e64 v31, v44, v35, s[0:1]
	s_cselect_b64 s[0:1], -1, 0
	s_addk_i32 s3, 0xf800
	s_add_i32 s4, s4, 2
	v_xor_b32_e32 v39, 0x80000000, v39
	v_add_u32_e32 v34, 0x800, v34
	v_cndmask_b32_e64 v32, v32, v35, s[0:1]
	s_cmpk_lg_i32 s3, 0xe800
	global_store_dwordx2 v[36:37], v[38:39], off
	s_barrier
	s_cbranch_scc1 .LBB1181_101
; %bb.102:
	s_add_u32 s0, s28, s12
	s_addc_u32 s1, s29, s13
	v_mov_b32_e32 v0, s1
	v_add_co_u32_e64 v1, s[0:1], s0, v9
	v_addc_co_u32_e64 v0, s[0:1], 0, v0, s[0:1]
	v_add_co_u32_e64 v14, s[0:1], v1, v20
	v_addc_co_u32_e64 v15, s[0:1], 0, v0, s[0:1]
	global_load_dwordx2 v[0:1], v[14:15], off
	global_load_dwordx2 v[2:3], v[14:15], off offset:512
	global_load_dwordx2 v[4:5], v[14:15], off offset:1024
	;; [unrolled: 1-line block ×5, first 2 shown]
	s_mov_b32 s2, 0
	s_mov_b32 s3, 1
	s_movk_i32 s4, 0x400
	v_mov_b32_e32 v15, 0
	v_mov_b32_e32 v9, s31
	;; [unrolled: 1-line block ×3, first 2 shown]
	s_waitcnt vmcnt(0)
.LBB1181_103:                           ; =>This Inner Loop Header: Depth=1
	s_add_i32 s5, s3, -1
	v_add_u32_e32 v14, s2, v16
	s_cmp_eq_u32 s5, 1
	v_add_u32_e32 v33, s2, v22
	v_add_u32_e32 v34, s2, v25
	;; [unrolled: 1-line block ×5, first 2 shown]
	v_min_u32_e32 v14, 0x800, v14
	s_cselect_b64 s[0:1], -1, 0
	s_cmp_eq_u32 s5, 2
	v_min_u32_e32 v33, 0x800, v33
	v_min_u32_e32 v34, 0x800, v34
	;; [unrolled: 1-line block ×5, first 2 shown]
	v_lshlrev_b32_e32 v14, 3, v14
	v_cndmask_b32_e64 v38, v32, v31, s[0:1]
	s_cselect_b64 s[0:1], -1, 0
	s_cmp_eq_u32 s5, 3
	v_lshlrev_b32_e32 v33, 3, v33
	v_lshlrev_b32_e32 v34, 3, v34
	v_lshlrev_b32_e32 v35, 3, v35
	v_lshlrev_b32_e32 v36, 3, v36
	v_lshlrev_b32_e32 v37, 3, v37
	ds_write_b64 v14, v[0:1] offset:1024
	ds_write_b64 v33, v[2:3] offset:1024
	;; [unrolled: 1-line block ×6, first 2 shown]
	v_cndmask_b32_e64 v14, v38, v30, s[0:1]
	s_cselect_b64 s[0:1], -1, 0
	s_cmp_eq_u32 s5, 4
	v_cndmask_b32_e64 v14, v14, v29, s[0:1]
	s_cselect_b64 s[0:1], -1, 0
	s_cmp_eq_u32 s5, 5
	;; [unrolled: 3-line block ×5, first 2 shown]
	v_lshlrev_b32_e32 v14, 2, v14
	v_cndmask_b32_e64 v33, v33, v30, s[0:1]
	s_cselect_b64 s[0:1], -1, 0
	s_cmp_eq_u32 s3, 4
	s_waitcnt lgkmcnt(0)
	s_barrier
	ds_read_b64 v[34:35], v17 offset:1024
	ds_read_b32 v14, v14
	v_cndmask_b32_e64 v33, v33, v29, s[0:1]
	s_cselect_b64 s[0:1], -1, 0
	s_cmp_eq_u32 s3, 5
	v_cndmask_b32_e64 v33, v33, v27, s[0:1]
	s_cselect_b64 s[0:1], -1, 0
	v_cndmask_b32_e64 v33, v33, v24, s[0:1]
	v_lshlrev_b32_e32 v33, 2, v33
	ds_read_b32 v33, v33
	ds_read_b64 v[36:37], v18 offset:8192
	s_waitcnt lgkmcnt(2)
	v_add_u32_e32 v14, v20, v14
	v_lshlrev_b64 v[38:39], 3, v[14:15]
	v_add_co_u32_e64 v38, s[0:1], s30, v38
	v_addc_co_u32_e64 v39, s[0:1], v9, v39, s[0:1]
	s_waitcnt lgkmcnt(1)
	v_add3_u32 v14, v20, v33, s4
	global_store_dwordx2 v[38:39], v[34:35], off
	v_lshlrev_b64 v[34:35], 3, v[14:15]
	s_addk_i32 s2, 0xf800
	s_add_i32 s3, s3, 2
	v_add_co_u32_e64 v34, s[0:1], s30, v34
	s_cmpk_lg_i32 s2, 0xe800
	v_add_u32_e32 v20, 0x800, v20
	v_addc_co_u32_e64 v35, s[0:1], v9, v35, s[0:1]
	s_waitcnt lgkmcnt(0)
	global_store_dwordx2 v[34:35], v[36:37], off
	s_barrier
	s_cbranch_scc1 .LBB1181_103
; %bb.104:
	s_add_i32 s7, s7, -1
	s_cmp_eq_u32 s7, s6
	s_cselect_b64 s[0:1], -1, 0
	s_and_b64 s[2:3], vcc, s[0:1]
                                        ; implicit-def: $vgpr2
	s_and_saveexec_b64 s[0:1], s[2:3]
; %bb.105:
	v_add_u32_e32 v2, v23, v26
	s_or_b64 s[10:11], s[10:11], exec
; %bb.106:
	s_or_b64 exec, exec, s[0:1]
.LBB1181_107:
	s_and_saveexec_b64 s[0:1], s[10:11]
	s_cbranch_execnz .LBB1181_109
; %bb.108:
	s_endpgm
.LBB1181_109:
	v_lshlrev_b32_e32 v3, 2, v8
	ds_read_b32 v3, v3
	v_mov_b32_e32 v9, 0
	v_lshlrev_b64 v[0:1], 2, v[8:9]
	v_mov_b32_e32 v4, s39
	v_add_co_u32_e32 v0, vcc, s38, v0
	v_addc_co_u32_e32 v1, vcc, v4, v1, vcc
	s_waitcnt lgkmcnt(0)
	v_add_u32_e32 v2, v3, v2
	global_store_dword v[0:1], v2, off
	s_endpgm
.LBB1181_110:
	global_load_dwordx2 v[10:11], v[22:23], off
	s_or_b64 exec, exec, s[14:15]
                                        ; implicit-def: $vgpr12_vgpr13
	s_and_saveexec_b64 s[14:15], s[0:1]
	s_cbranch_execz .LBB1181_54
.LBB1181_111:
	global_load_dwordx2 v[12:13], v[22:23], off offset:512
	s_or_b64 exec, exec, s[14:15]
                                        ; implicit-def: $vgpr14_vgpr15
	s_and_saveexec_b64 s[0:1], s[2:3]
	s_cbranch_execz .LBB1181_55
.LBB1181_112:
	global_load_dwordx2 v[14:15], v[22:23], off offset:1024
	s_or_b64 exec, exec, s[0:1]
                                        ; implicit-def: $vgpr16_vgpr17
	s_and_saveexec_b64 s[0:1], s[20:21]
	s_cbranch_execz .LBB1181_56
.LBB1181_113:
	global_load_dwordx2 v[16:17], v[22:23], off offset:1536
	s_or_b64 exec, exec, s[0:1]
                                        ; implicit-def: $vgpr18_vgpr19
	s_and_saveexec_b64 s[0:1], s[8:9]
	s_cbranch_execz .LBB1181_57
.LBB1181_114:
	global_load_dwordx2 v[18:19], v[22:23], off offset:2048
	s_or_b64 exec, exec, s[0:1]
                                        ; implicit-def: $vgpr20_vgpr21
	s_and_saveexec_b64 s[0:1], s[10:11]
	s_cbranch_execnz .LBB1181_58
	s_branch .LBB1181_59
	.section	.rodata,"a",@progbits
	.p2align	6, 0x0
	.amdhsa_kernel _ZN7rocprim17ROCPRIM_400000_NS6detail17trampoline_kernelINS0_14default_configENS1_35radix_sort_onesweep_config_selectorIllEEZZNS1_29radix_sort_onesweep_iterationIS3_Lb0EPlS7_N6thrust23THRUST_200600_302600_NS10device_ptrIlEESB_jNS0_19identity_decomposerENS1_16block_id_wrapperIjLb0EEEEE10hipError_tT1_PNSt15iterator_traitsISG_E10value_typeET2_T3_PNSH_ISM_E10value_typeET4_T5_PSR_SS_PNS1_23onesweep_lookback_stateEbbT6_jjT7_P12ihipStream_tbENKUlT_T0_SG_SL_E_clIS7_S7_S7_SB_EEDaSZ_S10_SG_SL_EUlSZ_E_NS1_11comp_targetILNS1_3genE4ELNS1_11target_archE910ELNS1_3gpuE8ELNS1_3repE0EEENS1_47radix_sort_onesweep_sort_config_static_selectorELNS0_4arch9wavefront6targetE1EEEvSG_
		.amdhsa_group_segment_fixed_size 20552
		.amdhsa_private_segment_fixed_size 0
		.amdhsa_kernarg_size 344
		.amdhsa_user_sgpr_count 6
		.amdhsa_user_sgpr_private_segment_buffer 1
		.amdhsa_user_sgpr_dispatch_ptr 0
		.amdhsa_user_sgpr_queue_ptr 0
		.amdhsa_user_sgpr_kernarg_segment_ptr 1
		.amdhsa_user_sgpr_dispatch_id 0
		.amdhsa_user_sgpr_flat_scratch_init 0
		.amdhsa_user_sgpr_kernarg_preload_length 0
		.amdhsa_user_sgpr_kernarg_preload_offset 0
		.amdhsa_user_sgpr_private_segment_size 0
		.amdhsa_uses_dynamic_stack 0
		.amdhsa_system_sgpr_private_segment_wavefront_offset 0
		.amdhsa_system_sgpr_workgroup_id_x 1
		.amdhsa_system_sgpr_workgroup_id_y 0
		.amdhsa_system_sgpr_workgroup_id_z 0
		.amdhsa_system_sgpr_workgroup_info 0
		.amdhsa_system_vgpr_workitem_id 2
		.amdhsa_next_free_vgpr 46
		.amdhsa_next_free_sgpr 50
		.amdhsa_accum_offset 48
		.amdhsa_reserve_vcc 1
		.amdhsa_reserve_flat_scratch 0
		.amdhsa_float_round_mode_32 0
		.amdhsa_float_round_mode_16_64 0
		.amdhsa_float_denorm_mode_32 3
		.amdhsa_float_denorm_mode_16_64 3
		.amdhsa_dx10_clamp 1
		.amdhsa_ieee_mode 1
		.amdhsa_fp16_overflow 0
		.amdhsa_tg_split 0
		.amdhsa_exception_fp_ieee_invalid_op 0
		.amdhsa_exception_fp_denorm_src 0
		.amdhsa_exception_fp_ieee_div_zero 0
		.amdhsa_exception_fp_ieee_overflow 0
		.amdhsa_exception_fp_ieee_underflow 0
		.amdhsa_exception_fp_ieee_inexact 0
		.amdhsa_exception_int_div_zero 0
	.end_amdhsa_kernel
	.section	.text._ZN7rocprim17ROCPRIM_400000_NS6detail17trampoline_kernelINS0_14default_configENS1_35radix_sort_onesweep_config_selectorIllEEZZNS1_29radix_sort_onesweep_iterationIS3_Lb0EPlS7_N6thrust23THRUST_200600_302600_NS10device_ptrIlEESB_jNS0_19identity_decomposerENS1_16block_id_wrapperIjLb0EEEEE10hipError_tT1_PNSt15iterator_traitsISG_E10value_typeET2_T3_PNSH_ISM_E10value_typeET4_T5_PSR_SS_PNS1_23onesweep_lookback_stateEbbT6_jjT7_P12ihipStream_tbENKUlT_T0_SG_SL_E_clIS7_S7_S7_SB_EEDaSZ_S10_SG_SL_EUlSZ_E_NS1_11comp_targetILNS1_3genE4ELNS1_11target_archE910ELNS1_3gpuE8ELNS1_3repE0EEENS1_47radix_sort_onesweep_sort_config_static_selectorELNS0_4arch9wavefront6targetE1EEEvSG_,"axG",@progbits,_ZN7rocprim17ROCPRIM_400000_NS6detail17trampoline_kernelINS0_14default_configENS1_35radix_sort_onesweep_config_selectorIllEEZZNS1_29radix_sort_onesweep_iterationIS3_Lb0EPlS7_N6thrust23THRUST_200600_302600_NS10device_ptrIlEESB_jNS0_19identity_decomposerENS1_16block_id_wrapperIjLb0EEEEE10hipError_tT1_PNSt15iterator_traitsISG_E10value_typeET2_T3_PNSH_ISM_E10value_typeET4_T5_PSR_SS_PNS1_23onesweep_lookback_stateEbbT6_jjT7_P12ihipStream_tbENKUlT_T0_SG_SL_E_clIS7_S7_S7_SB_EEDaSZ_S10_SG_SL_EUlSZ_E_NS1_11comp_targetILNS1_3genE4ELNS1_11target_archE910ELNS1_3gpuE8ELNS1_3repE0EEENS1_47radix_sort_onesweep_sort_config_static_selectorELNS0_4arch9wavefront6targetE1EEEvSG_,comdat
.Lfunc_end1181:
	.size	_ZN7rocprim17ROCPRIM_400000_NS6detail17trampoline_kernelINS0_14default_configENS1_35radix_sort_onesweep_config_selectorIllEEZZNS1_29radix_sort_onesweep_iterationIS3_Lb0EPlS7_N6thrust23THRUST_200600_302600_NS10device_ptrIlEESB_jNS0_19identity_decomposerENS1_16block_id_wrapperIjLb0EEEEE10hipError_tT1_PNSt15iterator_traitsISG_E10value_typeET2_T3_PNSH_ISM_E10value_typeET4_T5_PSR_SS_PNS1_23onesweep_lookback_stateEbbT6_jjT7_P12ihipStream_tbENKUlT_T0_SG_SL_E_clIS7_S7_S7_SB_EEDaSZ_S10_SG_SL_EUlSZ_E_NS1_11comp_targetILNS1_3genE4ELNS1_11target_archE910ELNS1_3gpuE8ELNS1_3repE0EEENS1_47radix_sort_onesweep_sort_config_static_selectorELNS0_4arch9wavefront6targetE1EEEvSG_, .Lfunc_end1181-_ZN7rocprim17ROCPRIM_400000_NS6detail17trampoline_kernelINS0_14default_configENS1_35radix_sort_onesweep_config_selectorIllEEZZNS1_29radix_sort_onesweep_iterationIS3_Lb0EPlS7_N6thrust23THRUST_200600_302600_NS10device_ptrIlEESB_jNS0_19identity_decomposerENS1_16block_id_wrapperIjLb0EEEEE10hipError_tT1_PNSt15iterator_traitsISG_E10value_typeET2_T3_PNSH_ISM_E10value_typeET4_T5_PSR_SS_PNS1_23onesweep_lookback_stateEbbT6_jjT7_P12ihipStream_tbENKUlT_T0_SG_SL_E_clIS7_S7_S7_SB_EEDaSZ_S10_SG_SL_EUlSZ_E_NS1_11comp_targetILNS1_3genE4ELNS1_11target_archE910ELNS1_3gpuE8ELNS1_3repE0EEENS1_47radix_sort_onesweep_sort_config_static_selectorELNS0_4arch9wavefront6targetE1EEEvSG_
                                        ; -- End function
	.section	.AMDGPU.csdata,"",@progbits
; Kernel info:
; codeLenInByte = 10600
; NumSgprs: 54
; NumVgprs: 46
; NumAgprs: 0
; TotalNumVgprs: 46
; ScratchSize: 0
; MemoryBound: 0
; FloatMode: 240
; IeeeMode: 1
; LDSByteSize: 20552 bytes/workgroup (compile time only)
; SGPRBlocks: 6
; VGPRBlocks: 5
; NumSGPRsForWavesPerEU: 54
; NumVGPRsForWavesPerEU: 46
; AccumOffset: 48
; Occupancy: 8
; WaveLimiterHint : 1
; COMPUTE_PGM_RSRC2:SCRATCH_EN: 0
; COMPUTE_PGM_RSRC2:USER_SGPR: 6
; COMPUTE_PGM_RSRC2:TRAP_HANDLER: 0
; COMPUTE_PGM_RSRC2:TGID_X_EN: 1
; COMPUTE_PGM_RSRC2:TGID_Y_EN: 0
; COMPUTE_PGM_RSRC2:TGID_Z_EN: 0
; COMPUTE_PGM_RSRC2:TIDIG_COMP_CNT: 2
; COMPUTE_PGM_RSRC3_GFX90A:ACCUM_OFFSET: 11
; COMPUTE_PGM_RSRC3_GFX90A:TG_SPLIT: 0
	.section	.text._ZN7rocprim17ROCPRIM_400000_NS6detail17trampoline_kernelINS0_14default_configENS1_35radix_sort_onesweep_config_selectorIllEEZZNS1_29radix_sort_onesweep_iterationIS3_Lb0EPlS7_N6thrust23THRUST_200600_302600_NS10device_ptrIlEESB_jNS0_19identity_decomposerENS1_16block_id_wrapperIjLb0EEEEE10hipError_tT1_PNSt15iterator_traitsISG_E10value_typeET2_T3_PNSH_ISM_E10value_typeET4_T5_PSR_SS_PNS1_23onesweep_lookback_stateEbbT6_jjT7_P12ihipStream_tbENKUlT_T0_SG_SL_E_clIS7_S7_S7_SB_EEDaSZ_S10_SG_SL_EUlSZ_E_NS1_11comp_targetILNS1_3genE3ELNS1_11target_archE908ELNS1_3gpuE7ELNS1_3repE0EEENS1_47radix_sort_onesweep_sort_config_static_selectorELNS0_4arch9wavefront6targetE1EEEvSG_,"axG",@progbits,_ZN7rocprim17ROCPRIM_400000_NS6detail17trampoline_kernelINS0_14default_configENS1_35radix_sort_onesweep_config_selectorIllEEZZNS1_29radix_sort_onesweep_iterationIS3_Lb0EPlS7_N6thrust23THRUST_200600_302600_NS10device_ptrIlEESB_jNS0_19identity_decomposerENS1_16block_id_wrapperIjLb0EEEEE10hipError_tT1_PNSt15iterator_traitsISG_E10value_typeET2_T3_PNSH_ISM_E10value_typeET4_T5_PSR_SS_PNS1_23onesweep_lookback_stateEbbT6_jjT7_P12ihipStream_tbENKUlT_T0_SG_SL_E_clIS7_S7_S7_SB_EEDaSZ_S10_SG_SL_EUlSZ_E_NS1_11comp_targetILNS1_3genE3ELNS1_11target_archE908ELNS1_3gpuE7ELNS1_3repE0EEENS1_47radix_sort_onesweep_sort_config_static_selectorELNS0_4arch9wavefront6targetE1EEEvSG_,comdat
	.protected	_ZN7rocprim17ROCPRIM_400000_NS6detail17trampoline_kernelINS0_14default_configENS1_35radix_sort_onesweep_config_selectorIllEEZZNS1_29radix_sort_onesweep_iterationIS3_Lb0EPlS7_N6thrust23THRUST_200600_302600_NS10device_ptrIlEESB_jNS0_19identity_decomposerENS1_16block_id_wrapperIjLb0EEEEE10hipError_tT1_PNSt15iterator_traitsISG_E10value_typeET2_T3_PNSH_ISM_E10value_typeET4_T5_PSR_SS_PNS1_23onesweep_lookback_stateEbbT6_jjT7_P12ihipStream_tbENKUlT_T0_SG_SL_E_clIS7_S7_S7_SB_EEDaSZ_S10_SG_SL_EUlSZ_E_NS1_11comp_targetILNS1_3genE3ELNS1_11target_archE908ELNS1_3gpuE7ELNS1_3repE0EEENS1_47radix_sort_onesweep_sort_config_static_selectorELNS0_4arch9wavefront6targetE1EEEvSG_ ; -- Begin function _ZN7rocprim17ROCPRIM_400000_NS6detail17trampoline_kernelINS0_14default_configENS1_35radix_sort_onesweep_config_selectorIllEEZZNS1_29radix_sort_onesweep_iterationIS3_Lb0EPlS7_N6thrust23THRUST_200600_302600_NS10device_ptrIlEESB_jNS0_19identity_decomposerENS1_16block_id_wrapperIjLb0EEEEE10hipError_tT1_PNSt15iterator_traitsISG_E10value_typeET2_T3_PNSH_ISM_E10value_typeET4_T5_PSR_SS_PNS1_23onesweep_lookback_stateEbbT6_jjT7_P12ihipStream_tbENKUlT_T0_SG_SL_E_clIS7_S7_S7_SB_EEDaSZ_S10_SG_SL_EUlSZ_E_NS1_11comp_targetILNS1_3genE3ELNS1_11target_archE908ELNS1_3gpuE7ELNS1_3repE0EEENS1_47radix_sort_onesweep_sort_config_static_selectorELNS0_4arch9wavefront6targetE1EEEvSG_
	.globl	_ZN7rocprim17ROCPRIM_400000_NS6detail17trampoline_kernelINS0_14default_configENS1_35radix_sort_onesweep_config_selectorIllEEZZNS1_29radix_sort_onesweep_iterationIS3_Lb0EPlS7_N6thrust23THRUST_200600_302600_NS10device_ptrIlEESB_jNS0_19identity_decomposerENS1_16block_id_wrapperIjLb0EEEEE10hipError_tT1_PNSt15iterator_traitsISG_E10value_typeET2_T3_PNSH_ISM_E10value_typeET4_T5_PSR_SS_PNS1_23onesweep_lookback_stateEbbT6_jjT7_P12ihipStream_tbENKUlT_T0_SG_SL_E_clIS7_S7_S7_SB_EEDaSZ_S10_SG_SL_EUlSZ_E_NS1_11comp_targetILNS1_3genE3ELNS1_11target_archE908ELNS1_3gpuE7ELNS1_3repE0EEENS1_47radix_sort_onesweep_sort_config_static_selectorELNS0_4arch9wavefront6targetE1EEEvSG_
	.p2align	8
	.type	_ZN7rocprim17ROCPRIM_400000_NS6detail17trampoline_kernelINS0_14default_configENS1_35radix_sort_onesweep_config_selectorIllEEZZNS1_29radix_sort_onesweep_iterationIS3_Lb0EPlS7_N6thrust23THRUST_200600_302600_NS10device_ptrIlEESB_jNS0_19identity_decomposerENS1_16block_id_wrapperIjLb0EEEEE10hipError_tT1_PNSt15iterator_traitsISG_E10value_typeET2_T3_PNSH_ISM_E10value_typeET4_T5_PSR_SS_PNS1_23onesweep_lookback_stateEbbT6_jjT7_P12ihipStream_tbENKUlT_T0_SG_SL_E_clIS7_S7_S7_SB_EEDaSZ_S10_SG_SL_EUlSZ_E_NS1_11comp_targetILNS1_3genE3ELNS1_11target_archE908ELNS1_3gpuE7ELNS1_3repE0EEENS1_47radix_sort_onesweep_sort_config_static_selectorELNS0_4arch9wavefront6targetE1EEEvSG_,@function
_ZN7rocprim17ROCPRIM_400000_NS6detail17trampoline_kernelINS0_14default_configENS1_35radix_sort_onesweep_config_selectorIllEEZZNS1_29radix_sort_onesweep_iterationIS3_Lb0EPlS7_N6thrust23THRUST_200600_302600_NS10device_ptrIlEESB_jNS0_19identity_decomposerENS1_16block_id_wrapperIjLb0EEEEE10hipError_tT1_PNSt15iterator_traitsISG_E10value_typeET2_T3_PNSH_ISM_E10value_typeET4_T5_PSR_SS_PNS1_23onesweep_lookback_stateEbbT6_jjT7_P12ihipStream_tbENKUlT_T0_SG_SL_E_clIS7_S7_S7_SB_EEDaSZ_S10_SG_SL_EUlSZ_E_NS1_11comp_targetILNS1_3genE3ELNS1_11target_archE908ELNS1_3gpuE7ELNS1_3repE0EEENS1_47radix_sort_onesweep_sort_config_static_selectorELNS0_4arch9wavefront6targetE1EEEvSG_: ; @_ZN7rocprim17ROCPRIM_400000_NS6detail17trampoline_kernelINS0_14default_configENS1_35radix_sort_onesweep_config_selectorIllEEZZNS1_29radix_sort_onesweep_iterationIS3_Lb0EPlS7_N6thrust23THRUST_200600_302600_NS10device_ptrIlEESB_jNS0_19identity_decomposerENS1_16block_id_wrapperIjLb0EEEEE10hipError_tT1_PNSt15iterator_traitsISG_E10value_typeET2_T3_PNSH_ISM_E10value_typeET4_T5_PSR_SS_PNS1_23onesweep_lookback_stateEbbT6_jjT7_P12ihipStream_tbENKUlT_T0_SG_SL_E_clIS7_S7_S7_SB_EEDaSZ_S10_SG_SL_EUlSZ_E_NS1_11comp_targetILNS1_3genE3ELNS1_11target_archE908ELNS1_3gpuE7ELNS1_3repE0EEENS1_47radix_sort_onesweep_sort_config_static_selectorELNS0_4arch9wavefront6targetE1EEEvSG_
; %bb.0:
	.section	.rodata,"a",@progbits
	.p2align	6, 0x0
	.amdhsa_kernel _ZN7rocprim17ROCPRIM_400000_NS6detail17trampoline_kernelINS0_14default_configENS1_35radix_sort_onesweep_config_selectorIllEEZZNS1_29radix_sort_onesweep_iterationIS3_Lb0EPlS7_N6thrust23THRUST_200600_302600_NS10device_ptrIlEESB_jNS0_19identity_decomposerENS1_16block_id_wrapperIjLb0EEEEE10hipError_tT1_PNSt15iterator_traitsISG_E10value_typeET2_T3_PNSH_ISM_E10value_typeET4_T5_PSR_SS_PNS1_23onesweep_lookback_stateEbbT6_jjT7_P12ihipStream_tbENKUlT_T0_SG_SL_E_clIS7_S7_S7_SB_EEDaSZ_S10_SG_SL_EUlSZ_E_NS1_11comp_targetILNS1_3genE3ELNS1_11target_archE908ELNS1_3gpuE7ELNS1_3repE0EEENS1_47radix_sort_onesweep_sort_config_static_selectorELNS0_4arch9wavefront6targetE1EEEvSG_
		.amdhsa_group_segment_fixed_size 0
		.amdhsa_private_segment_fixed_size 0
		.amdhsa_kernarg_size 88
		.amdhsa_user_sgpr_count 6
		.amdhsa_user_sgpr_private_segment_buffer 1
		.amdhsa_user_sgpr_dispatch_ptr 0
		.amdhsa_user_sgpr_queue_ptr 0
		.amdhsa_user_sgpr_kernarg_segment_ptr 1
		.amdhsa_user_sgpr_dispatch_id 0
		.amdhsa_user_sgpr_flat_scratch_init 0
		.amdhsa_user_sgpr_kernarg_preload_length 0
		.amdhsa_user_sgpr_kernarg_preload_offset 0
		.amdhsa_user_sgpr_private_segment_size 0
		.amdhsa_uses_dynamic_stack 0
		.amdhsa_system_sgpr_private_segment_wavefront_offset 0
		.amdhsa_system_sgpr_workgroup_id_x 1
		.amdhsa_system_sgpr_workgroup_id_y 0
		.amdhsa_system_sgpr_workgroup_id_z 0
		.amdhsa_system_sgpr_workgroup_info 0
		.amdhsa_system_vgpr_workitem_id 0
		.amdhsa_next_free_vgpr 1
		.amdhsa_next_free_sgpr 0
		.amdhsa_accum_offset 4
		.amdhsa_reserve_vcc 0
		.amdhsa_reserve_flat_scratch 0
		.amdhsa_float_round_mode_32 0
		.amdhsa_float_round_mode_16_64 0
		.amdhsa_float_denorm_mode_32 3
		.amdhsa_float_denorm_mode_16_64 3
		.amdhsa_dx10_clamp 1
		.amdhsa_ieee_mode 1
		.amdhsa_fp16_overflow 0
		.amdhsa_tg_split 0
		.amdhsa_exception_fp_ieee_invalid_op 0
		.amdhsa_exception_fp_denorm_src 0
		.amdhsa_exception_fp_ieee_div_zero 0
		.amdhsa_exception_fp_ieee_overflow 0
		.amdhsa_exception_fp_ieee_underflow 0
		.amdhsa_exception_fp_ieee_inexact 0
		.amdhsa_exception_int_div_zero 0
	.end_amdhsa_kernel
	.section	.text._ZN7rocprim17ROCPRIM_400000_NS6detail17trampoline_kernelINS0_14default_configENS1_35radix_sort_onesweep_config_selectorIllEEZZNS1_29radix_sort_onesweep_iterationIS3_Lb0EPlS7_N6thrust23THRUST_200600_302600_NS10device_ptrIlEESB_jNS0_19identity_decomposerENS1_16block_id_wrapperIjLb0EEEEE10hipError_tT1_PNSt15iterator_traitsISG_E10value_typeET2_T3_PNSH_ISM_E10value_typeET4_T5_PSR_SS_PNS1_23onesweep_lookback_stateEbbT6_jjT7_P12ihipStream_tbENKUlT_T0_SG_SL_E_clIS7_S7_S7_SB_EEDaSZ_S10_SG_SL_EUlSZ_E_NS1_11comp_targetILNS1_3genE3ELNS1_11target_archE908ELNS1_3gpuE7ELNS1_3repE0EEENS1_47radix_sort_onesweep_sort_config_static_selectorELNS0_4arch9wavefront6targetE1EEEvSG_,"axG",@progbits,_ZN7rocprim17ROCPRIM_400000_NS6detail17trampoline_kernelINS0_14default_configENS1_35radix_sort_onesweep_config_selectorIllEEZZNS1_29radix_sort_onesweep_iterationIS3_Lb0EPlS7_N6thrust23THRUST_200600_302600_NS10device_ptrIlEESB_jNS0_19identity_decomposerENS1_16block_id_wrapperIjLb0EEEEE10hipError_tT1_PNSt15iterator_traitsISG_E10value_typeET2_T3_PNSH_ISM_E10value_typeET4_T5_PSR_SS_PNS1_23onesweep_lookback_stateEbbT6_jjT7_P12ihipStream_tbENKUlT_T0_SG_SL_E_clIS7_S7_S7_SB_EEDaSZ_S10_SG_SL_EUlSZ_E_NS1_11comp_targetILNS1_3genE3ELNS1_11target_archE908ELNS1_3gpuE7ELNS1_3repE0EEENS1_47radix_sort_onesweep_sort_config_static_selectorELNS0_4arch9wavefront6targetE1EEEvSG_,comdat
.Lfunc_end1182:
	.size	_ZN7rocprim17ROCPRIM_400000_NS6detail17trampoline_kernelINS0_14default_configENS1_35radix_sort_onesweep_config_selectorIllEEZZNS1_29radix_sort_onesweep_iterationIS3_Lb0EPlS7_N6thrust23THRUST_200600_302600_NS10device_ptrIlEESB_jNS0_19identity_decomposerENS1_16block_id_wrapperIjLb0EEEEE10hipError_tT1_PNSt15iterator_traitsISG_E10value_typeET2_T3_PNSH_ISM_E10value_typeET4_T5_PSR_SS_PNS1_23onesweep_lookback_stateEbbT6_jjT7_P12ihipStream_tbENKUlT_T0_SG_SL_E_clIS7_S7_S7_SB_EEDaSZ_S10_SG_SL_EUlSZ_E_NS1_11comp_targetILNS1_3genE3ELNS1_11target_archE908ELNS1_3gpuE7ELNS1_3repE0EEENS1_47radix_sort_onesweep_sort_config_static_selectorELNS0_4arch9wavefront6targetE1EEEvSG_, .Lfunc_end1182-_ZN7rocprim17ROCPRIM_400000_NS6detail17trampoline_kernelINS0_14default_configENS1_35radix_sort_onesweep_config_selectorIllEEZZNS1_29radix_sort_onesweep_iterationIS3_Lb0EPlS7_N6thrust23THRUST_200600_302600_NS10device_ptrIlEESB_jNS0_19identity_decomposerENS1_16block_id_wrapperIjLb0EEEEE10hipError_tT1_PNSt15iterator_traitsISG_E10value_typeET2_T3_PNSH_ISM_E10value_typeET4_T5_PSR_SS_PNS1_23onesweep_lookback_stateEbbT6_jjT7_P12ihipStream_tbENKUlT_T0_SG_SL_E_clIS7_S7_S7_SB_EEDaSZ_S10_SG_SL_EUlSZ_E_NS1_11comp_targetILNS1_3genE3ELNS1_11target_archE908ELNS1_3gpuE7ELNS1_3repE0EEENS1_47radix_sort_onesweep_sort_config_static_selectorELNS0_4arch9wavefront6targetE1EEEvSG_
                                        ; -- End function
	.section	.AMDGPU.csdata,"",@progbits
; Kernel info:
; codeLenInByte = 0
; NumSgprs: 4
; NumVgprs: 0
; NumAgprs: 0
; TotalNumVgprs: 0
; ScratchSize: 0
; MemoryBound: 0
; FloatMode: 240
; IeeeMode: 1
; LDSByteSize: 0 bytes/workgroup (compile time only)
; SGPRBlocks: 0
; VGPRBlocks: 0
; NumSGPRsForWavesPerEU: 4
; NumVGPRsForWavesPerEU: 1
; AccumOffset: 4
; Occupancy: 8
; WaveLimiterHint : 0
; COMPUTE_PGM_RSRC2:SCRATCH_EN: 0
; COMPUTE_PGM_RSRC2:USER_SGPR: 6
; COMPUTE_PGM_RSRC2:TRAP_HANDLER: 0
; COMPUTE_PGM_RSRC2:TGID_X_EN: 1
; COMPUTE_PGM_RSRC2:TGID_Y_EN: 0
; COMPUTE_PGM_RSRC2:TGID_Z_EN: 0
; COMPUTE_PGM_RSRC2:TIDIG_COMP_CNT: 0
; COMPUTE_PGM_RSRC3_GFX90A:ACCUM_OFFSET: 0
; COMPUTE_PGM_RSRC3_GFX90A:TG_SPLIT: 0
	.section	.text._ZN7rocprim17ROCPRIM_400000_NS6detail17trampoline_kernelINS0_14default_configENS1_35radix_sort_onesweep_config_selectorIllEEZZNS1_29radix_sort_onesweep_iterationIS3_Lb0EPlS7_N6thrust23THRUST_200600_302600_NS10device_ptrIlEESB_jNS0_19identity_decomposerENS1_16block_id_wrapperIjLb0EEEEE10hipError_tT1_PNSt15iterator_traitsISG_E10value_typeET2_T3_PNSH_ISM_E10value_typeET4_T5_PSR_SS_PNS1_23onesweep_lookback_stateEbbT6_jjT7_P12ihipStream_tbENKUlT_T0_SG_SL_E_clIS7_S7_S7_SB_EEDaSZ_S10_SG_SL_EUlSZ_E_NS1_11comp_targetILNS1_3genE10ELNS1_11target_archE1201ELNS1_3gpuE5ELNS1_3repE0EEENS1_47radix_sort_onesweep_sort_config_static_selectorELNS0_4arch9wavefront6targetE1EEEvSG_,"axG",@progbits,_ZN7rocprim17ROCPRIM_400000_NS6detail17trampoline_kernelINS0_14default_configENS1_35radix_sort_onesweep_config_selectorIllEEZZNS1_29radix_sort_onesweep_iterationIS3_Lb0EPlS7_N6thrust23THRUST_200600_302600_NS10device_ptrIlEESB_jNS0_19identity_decomposerENS1_16block_id_wrapperIjLb0EEEEE10hipError_tT1_PNSt15iterator_traitsISG_E10value_typeET2_T3_PNSH_ISM_E10value_typeET4_T5_PSR_SS_PNS1_23onesweep_lookback_stateEbbT6_jjT7_P12ihipStream_tbENKUlT_T0_SG_SL_E_clIS7_S7_S7_SB_EEDaSZ_S10_SG_SL_EUlSZ_E_NS1_11comp_targetILNS1_3genE10ELNS1_11target_archE1201ELNS1_3gpuE5ELNS1_3repE0EEENS1_47radix_sort_onesweep_sort_config_static_selectorELNS0_4arch9wavefront6targetE1EEEvSG_,comdat
	.protected	_ZN7rocprim17ROCPRIM_400000_NS6detail17trampoline_kernelINS0_14default_configENS1_35radix_sort_onesweep_config_selectorIllEEZZNS1_29radix_sort_onesweep_iterationIS3_Lb0EPlS7_N6thrust23THRUST_200600_302600_NS10device_ptrIlEESB_jNS0_19identity_decomposerENS1_16block_id_wrapperIjLb0EEEEE10hipError_tT1_PNSt15iterator_traitsISG_E10value_typeET2_T3_PNSH_ISM_E10value_typeET4_T5_PSR_SS_PNS1_23onesweep_lookback_stateEbbT6_jjT7_P12ihipStream_tbENKUlT_T0_SG_SL_E_clIS7_S7_S7_SB_EEDaSZ_S10_SG_SL_EUlSZ_E_NS1_11comp_targetILNS1_3genE10ELNS1_11target_archE1201ELNS1_3gpuE5ELNS1_3repE0EEENS1_47radix_sort_onesweep_sort_config_static_selectorELNS0_4arch9wavefront6targetE1EEEvSG_ ; -- Begin function _ZN7rocprim17ROCPRIM_400000_NS6detail17trampoline_kernelINS0_14default_configENS1_35radix_sort_onesweep_config_selectorIllEEZZNS1_29radix_sort_onesweep_iterationIS3_Lb0EPlS7_N6thrust23THRUST_200600_302600_NS10device_ptrIlEESB_jNS0_19identity_decomposerENS1_16block_id_wrapperIjLb0EEEEE10hipError_tT1_PNSt15iterator_traitsISG_E10value_typeET2_T3_PNSH_ISM_E10value_typeET4_T5_PSR_SS_PNS1_23onesweep_lookback_stateEbbT6_jjT7_P12ihipStream_tbENKUlT_T0_SG_SL_E_clIS7_S7_S7_SB_EEDaSZ_S10_SG_SL_EUlSZ_E_NS1_11comp_targetILNS1_3genE10ELNS1_11target_archE1201ELNS1_3gpuE5ELNS1_3repE0EEENS1_47radix_sort_onesweep_sort_config_static_selectorELNS0_4arch9wavefront6targetE1EEEvSG_
	.globl	_ZN7rocprim17ROCPRIM_400000_NS6detail17trampoline_kernelINS0_14default_configENS1_35radix_sort_onesweep_config_selectorIllEEZZNS1_29radix_sort_onesweep_iterationIS3_Lb0EPlS7_N6thrust23THRUST_200600_302600_NS10device_ptrIlEESB_jNS0_19identity_decomposerENS1_16block_id_wrapperIjLb0EEEEE10hipError_tT1_PNSt15iterator_traitsISG_E10value_typeET2_T3_PNSH_ISM_E10value_typeET4_T5_PSR_SS_PNS1_23onesweep_lookback_stateEbbT6_jjT7_P12ihipStream_tbENKUlT_T0_SG_SL_E_clIS7_S7_S7_SB_EEDaSZ_S10_SG_SL_EUlSZ_E_NS1_11comp_targetILNS1_3genE10ELNS1_11target_archE1201ELNS1_3gpuE5ELNS1_3repE0EEENS1_47radix_sort_onesweep_sort_config_static_selectorELNS0_4arch9wavefront6targetE1EEEvSG_
	.p2align	8
	.type	_ZN7rocprim17ROCPRIM_400000_NS6detail17trampoline_kernelINS0_14default_configENS1_35radix_sort_onesweep_config_selectorIllEEZZNS1_29radix_sort_onesweep_iterationIS3_Lb0EPlS7_N6thrust23THRUST_200600_302600_NS10device_ptrIlEESB_jNS0_19identity_decomposerENS1_16block_id_wrapperIjLb0EEEEE10hipError_tT1_PNSt15iterator_traitsISG_E10value_typeET2_T3_PNSH_ISM_E10value_typeET4_T5_PSR_SS_PNS1_23onesweep_lookback_stateEbbT6_jjT7_P12ihipStream_tbENKUlT_T0_SG_SL_E_clIS7_S7_S7_SB_EEDaSZ_S10_SG_SL_EUlSZ_E_NS1_11comp_targetILNS1_3genE10ELNS1_11target_archE1201ELNS1_3gpuE5ELNS1_3repE0EEENS1_47radix_sort_onesweep_sort_config_static_selectorELNS0_4arch9wavefront6targetE1EEEvSG_,@function
_ZN7rocprim17ROCPRIM_400000_NS6detail17trampoline_kernelINS0_14default_configENS1_35radix_sort_onesweep_config_selectorIllEEZZNS1_29radix_sort_onesweep_iterationIS3_Lb0EPlS7_N6thrust23THRUST_200600_302600_NS10device_ptrIlEESB_jNS0_19identity_decomposerENS1_16block_id_wrapperIjLb0EEEEE10hipError_tT1_PNSt15iterator_traitsISG_E10value_typeET2_T3_PNSH_ISM_E10value_typeET4_T5_PSR_SS_PNS1_23onesweep_lookback_stateEbbT6_jjT7_P12ihipStream_tbENKUlT_T0_SG_SL_E_clIS7_S7_S7_SB_EEDaSZ_S10_SG_SL_EUlSZ_E_NS1_11comp_targetILNS1_3genE10ELNS1_11target_archE1201ELNS1_3gpuE5ELNS1_3repE0EEENS1_47radix_sort_onesweep_sort_config_static_selectorELNS0_4arch9wavefront6targetE1EEEvSG_: ; @_ZN7rocprim17ROCPRIM_400000_NS6detail17trampoline_kernelINS0_14default_configENS1_35radix_sort_onesweep_config_selectorIllEEZZNS1_29radix_sort_onesweep_iterationIS3_Lb0EPlS7_N6thrust23THRUST_200600_302600_NS10device_ptrIlEESB_jNS0_19identity_decomposerENS1_16block_id_wrapperIjLb0EEEEE10hipError_tT1_PNSt15iterator_traitsISG_E10value_typeET2_T3_PNSH_ISM_E10value_typeET4_T5_PSR_SS_PNS1_23onesweep_lookback_stateEbbT6_jjT7_P12ihipStream_tbENKUlT_T0_SG_SL_E_clIS7_S7_S7_SB_EEDaSZ_S10_SG_SL_EUlSZ_E_NS1_11comp_targetILNS1_3genE10ELNS1_11target_archE1201ELNS1_3gpuE5ELNS1_3repE0EEENS1_47radix_sort_onesweep_sort_config_static_selectorELNS0_4arch9wavefront6targetE1EEEvSG_
; %bb.0:
	.section	.rodata,"a",@progbits
	.p2align	6, 0x0
	.amdhsa_kernel _ZN7rocprim17ROCPRIM_400000_NS6detail17trampoline_kernelINS0_14default_configENS1_35radix_sort_onesweep_config_selectorIllEEZZNS1_29radix_sort_onesweep_iterationIS3_Lb0EPlS7_N6thrust23THRUST_200600_302600_NS10device_ptrIlEESB_jNS0_19identity_decomposerENS1_16block_id_wrapperIjLb0EEEEE10hipError_tT1_PNSt15iterator_traitsISG_E10value_typeET2_T3_PNSH_ISM_E10value_typeET4_T5_PSR_SS_PNS1_23onesweep_lookback_stateEbbT6_jjT7_P12ihipStream_tbENKUlT_T0_SG_SL_E_clIS7_S7_S7_SB_EEDaSZ_S10_SG_SL_EUlSZ_E_NS1_11comp_targetILNS1_3genE10ELNS1_11target_archE1201ELNS1_3gpuE5ELNS1_3repE0EEENS1_47radix_sort_onesweep_sort_config_static_selectorELNS0_4arch9wavefront6targetE1EEEvSG_
		.amdhsa_group_segment_fixed_size 0
		.amdhsa_private_segment_fixed_size 0
		.amdhsa_kernarg_size 88
		.amdhsa_user_sgpr_count 6
		.amdhsa_user_sgpr_private_segment_buffer 1
		.amdhsa_user_sgpr_dispatch_ptr 0
		.amdhsa_user_sgpr_queue_ptr 0
		.amdhsa_user_sgpr_kernarg_segment_ptr 1
		.amdhsa_user_sgpr_dispatch_id 0
		.amdhsa_user_sgpr_flat_scratch_init 0
		.amdhsa_user_sgpr_kernarg_preload_length 0
		.amdhsa_user_sgpr_kernarg_preload_offset 0
		.amdhsa_user_sgpr_private_segment_size 0
		.amdhsa_uses_dynamic_stack 0
		.amdhsa_system_sgpr_private_segment_wavefront_offset 0
		.amdhsa_system_sgpr_workgroup_id_x 1
		.amdhsa_system_sgpr_workgroup_id_y 0
		.amdhsa_system_sgpr_workgroup_id_z 0
		.amdhsa_system_sgpr_workgroup_info 0
		.amdhsa_system_vgpr_workitem_id 0
		.amdhsa_next_free_vgpr 1
		.amdhsa_next_free_sgpr 0
		.amdhsa_accum_offset 4
		.amdhsa_reserve_vcc 0
		.amdhsa_reserve_flat_scratch 0
		.amdhsa_float_round_mode_32 0
		.amdhsa_float_round_mode_16_64 0
		.amdhsa_float_denorm_mode_32 3
		.amdhsa_float_denorm_mode_16_64 3
		.amdhsa_dx10_clamp 1
		.amdhsa_ieee_mode 1
		.amdhsa_fp16_overflow 0
		.amdhsa_tg_split 0
		.amdhsa_exception_fp_ieee_invalid_op 0
		.amdhsa_exception_fp_denorm_src 0
		.amdhsa_exception_fp_ieee_div_zero 0
		.amdhsa_exception_fp_ieee_overflow 0
		.amdhsa_exception_fp_ieee_underflow 0
		.amdhsa_exception_fp_ieee_inexact 0
		.amdhsa_exception_int_div_zero 0
	.end_amdhsa_kernel
	.section	.text._ZN7rocprim17ROCPRIM_400000_NS6detail17trampoline_kernelINS0_14default_configENS1_35radix_sort_onesweep_config_selectorIllEEZZNS1_29radix_sort_onesweep_iterationIS3_Lb0EPlS7_N6thrust23THRUST_200600_302600_NS10device_ptrIlEESB_jNS0_19identity_decomposerENS1_16block_id_wrapperIjLb0EEEEE10hipError_tT1_PNSt15iterator_traitsISG_E10value_typeET2_T3_PNSH_ISM_E10value_typeET4_T5_PSR_SS_PNS1_23onesweep_lookback_stateEbbT6_jjT7_P12ihipStream_tbENKUlT_T0_SG_SL_E_clIS7_S7_S7_SB_EEDaSZ_S10_SG_SL_EUlSZ_E_NS1_11comp_targetILNS1_3genE10ELNS1_11target_archE1201ELNS1_3gpuE5ELNS1_3repE0EEENS1_47radix_sort_onesweep_sort_config_static_selectorELNS0_4arch9wavefront6targetE1EEEvSG_,"axG",@progbits,_ZN7rocprim17ROCPRIM_400000_NS6detail17trampoline_kernelINS0_14default_configENS1_35radix_sort_onesweep_config_selectorIllEEZZNS1_29radix_sort_onesweep_iterationIS3_Lb0EPlS7_N6thrust23THRUST_200600_302600_NS10device_ptrIlEESB_jNS0_19identity_decomposerENS1_16block_id_wrapperIjLb0EEEEE10hipError_tT1_PNSt15iterator_traitsISG_E10value_typeET2_T3_PNSH_ISM_E10value_typeET4_T5_PSR_SS_PNS1_23onesweep_lookback_stateEbbT6_jjT7_P12ihipStream_tbENKUlT_T0_SG_SL_E_clIS7_S7_S7_SB_EEDaSZ_S10_SG_SL_EUlSZ_E_NS1_11comp_targetILNS1_3genE10ELNS1_11target_archE1201ELNS1_3gpuE5ELNS1_3repE0EEENS1_47radix_sort_onesweep_sort_config_static_selectorELNS0_4arch9wavefront6targetE1EEEvSG_,comdat
.Lfunc_end1183:
	.size	_ZN7rocprim17ROCPRIM_400000_NS6detail17trampoline_kernelINS0_14default_configENS1_35radix_sort_onesweep_config_selectorIllEEZZNS1_29radix_sort_onesweep_iterationIS3_Lb0EPlS7_N6thrust23THRUST_200600_302600_NS10device_ptrIlEESB_jNS0_19identity_decomposerENS1_16block_id_wrapperIjLb0EEEEE10hipError_tT1_PNSt15iterator_traitsISG_E10value_typeET2_T3_PNSH_ISM_E10value_typeET4_T5_PSR_SS_PNS1_23onesweep_lookback_stateEbbT6_jjT7_P12ihipStream_tbENKUlT_T0_SG_SL_E_clIS7_S7_S7_SB_EEDaSZ_S10_SG_SL_EUlSZ_E_NS1_11comp_targetILNS1_3genE10ELNS1_11target_archE1201ELNS1_3gpuE5ELNS1_3repE0EEENS1_47radix_sort_onesweep_sort_config_static_selectorELNS0_4arch9wavefront6targetE1EEEvSG_, .Lfunc_end1183-_ZN7rocprim17ROCPRIM_400000_NS6detail17trampoline_kernelINS0_14default_configENS1_35radix_sort_onesweep_config_selectorIllEEZZNS1_29radix_sort_onesweep_iterationIS3_Lb0EPlS7_N6thrust23THRUST_200600_302600_NS10device_ptrIlEESB_jNS0_19identity_decomposerENS1_16block_id_wrapperIjLb0EEEEE10hipError_tT1_PNSt15iterator_traitsISG_E10value_typeET2_T3_PNSH_ISM_E10value_typeET4_T5_PSR_SS_PNS1_23onesweep_lookback_stateEbbT6_jjT7_P12ihipStream_tbENKUlT_T0_SG_SL_E_clIS7_S7_S7_SB_EEDaSZ_S10_SG_SL_EUlSZ_E_NS1_11comp_targetILNS1_3genE10ELNS1_11target_archE1201ELNS1_3gpuE5ELNS1_3repE0EEENS1_47radix_sort_onesweep_sort_config_static_selectorELNS0_4arch9wavefront6targetE1EEEvSG_
                                        ; -- End function
	.section	.AMDGPU.csdata,"",@progbits
; Kernel info:
; codeLenInByte = 0
; NumSgprs: 4
; NumVgprs: 0
; NumAgprs: 0
; TotalNumVgprs: 0
; ScratchSize: 0
; MemoryBound: 0
; FloatMode: 240
; IeeeMode: 1
; LDSByteSize: 0 bytes/workgroup (compile time only)
; SGPRBlocks: 0
; VGPRBlocks: 0
; NumSGPRsForWavesPerEU: 4
; NumVGPRsForWavesPerEU: 1
; AccumOffset: 4
; Occupancy: 8
; WaveLimiterHint : 0
; COMPUTE_PGM_RSRC2:SCRATCH_EN: 0
; COMPUTE_PGM_RSRC2:USER_SGPR: 6
; COMPUTE_PGM_RSRC2:TRAP_HANDLER: 0
; COMPUTE_PGM_RSRC2:TGID_X_EN: 1
; COMPUTE_PGM_RSRC2:TGID_Y_EN: 0
; COMPUTE_PGM_RSRC2:TGID_Z_EN: 0
; COMPUTE_PGM_RSRC2:TIDIG_COMP_CNT: 0
; COMPUTE_PGM_RSRC3_GFX90A:ACCUM_OFFSET: 0
; COMPUTE_PGM_RSRC3_GFX90A:TG_SPLIT: 0
	.section	.text._ZN7rocprim17ROCPRIM_400000_NS6detail17trampoline_kernelINS0_14default_configENS1_35radix_sort_onesweep_config_selectorIllEEZZNS1_29radix_sort_onesweep_iterationIS3_Lb0EPlS7_N6thrust23THRUST_200600_302600_NS10device_ptrIlEESB_jNS0_19identity_decomposerENS1_16block_id_wrapperIjLb0EEEEE10hipError_tT1_PNSt15iterator_traitsISG_E10value_typeET2_T3_PNSH_ISM_E10value_typeET4_T5_PSR_SS_PNS1_23onesweep_lookback_stateEbbT6_jjT7_P12ihipStream_tbENKUlT_T0_SG_SL_E_clIS7_S7_S7_SB_EEDaSZ_S10_SG_SL_EUlSZ_E_NS1_11comp_targetILNS1_3genE9ELNS1_11target_archE1100ELNS1_3gpuE3ELNS1_3repE0EEENS1_47radix_sort_onesweep_sort_config_static_selectorELNS0_4arch9wavefront6targetE1EEEvSG_,"axG",@progbits,_ZN7rocprim17ROCPRIM_400000_NS6detail17trampoline_kernelINS0_14default_configENS1_35radix_sort_onesweep_config_selectorIllEEZZNS1_29radix_sort_onesweep_iterationIS3_Lb0EPlS7_N6thrust23THRUST_200600_302600_NS10device_ptrIlEESB_jNS0_19identity_decomposerENS1_16block_id_wrapperIjLb0EEEEE10hipError_tT1_PNSt15iterator_traitsISG_E10value_typeET2_T3_PNSH_ISM_E10value_typeET4_T5_PSR_SS_PNS1_23onesweep_lookback_stateEbbT6_jjT7_P12ihipStream_tbENKUlT_T0_SG_SL_E_clIS7_S7_S7_SB_EEDaSZ_S10_SG_SL_EUlSZ_E_NS1_11comp_targetILNS1_3genE9ELNS1_11target_archE1100ELNS1_3gpuE3ELNS1_3repE0EEENS1_47radix_sort_onesweep_sort_config_static_selectorELNS0_4arch9wavefront6targetE1EEEvSG_,comdat
	.protected	_ZN7rocprim17ROCPRIM_400000_NS6detail17trampoline_kernelINS0_14default_configENS1_35radix_sort_onesweep_config_selectorIllEEZZNS1_29radix_sort_onesweep_iterationIS3_Lb0EPlS7_N6thrust23THRUST_200600_302600_NS10device_ptrIlEESB_jNS0_19identity_decomposerENS1_16block_id_wrapperIjLb0EEEEE10hipError_tT1_PNSt15iterator_traitsISG_E10value_typeET2_T3_PNSH_ISM_E10value_typeET4_T5_PSR_SS_PNS1_23onesweep_lookback_stateEbbT6_jjT7_P12ihipStream_tbENKUlT_T0_SG_SL_E_clIS7_S7_S7_SB_EEDaSZ_S10_SG_SL_EUlSZ_E_NS1_11comp_targetILNS1_3genE9ELNS1_11target_archE1100ELNS1_3gpuE3ELNS1_3repE0EEENS1_47radix_sort_onesweep_sort_config_static_selectorELNS0_4arch9wavefront6targetE1EEEvSG_ ; -- Begin function _ZN7rocprim17ROCPRIM_400000_NS6detail17trampoline_kernelINS0_14default_configENS1_35radix_sort_onesweep_config_selectorIllEEZZNS1_29radix_sort_onesweep_iterationIS3_Lb0EPlS7_N6thrust23THRUST_200600_302600_NS10device_ptrIlEESB_jNS0_19identity_decomposerENS1_16block_id_wrapperIjLb0EEEEE10hipError_tT1_PNSt15iterator_traitsISG_E10value_typeET2_T3_PNSH_ISM_E10value_typeET4_T5_PSR_SS_PNS1_23onesweep_lookback_stateEbbT6_jjT7_P12ihipStream_tbENKUlT_T0_SG_SL_E_clIS7_S7_S7_SB_EEDaSZ_S10_SG_SL_EUlSZ_E_NS1_11comp_targetILNS1_3genE9ELNS1_11target_archE1100ELNS1_3gpuE3ELNS1_3repE0EEENS1_47radix_sort_onesweep_sort_config_static_selectorELNS0_4arch9wavefront6targetE1EEEvSG_
	.globl	_ZN7rocprim17ROCPRIM_400000_NS6detail17trampoline_kernelINS0_14default_configENS1_35radix_sort_onesweep_config_selectorIllEEZZNS1_29radix_sort_onesweep_iterationIS3_Lb0EPlS7_N6thrust23THRUST_200600_302600_NS10device_ptrIlEESB_jNS0_19identity_decomposerENS1_16block_id_wrapperIjLb0EEEEE10hipError_tT1_PNSt15iterator_traitsISG_E10value_typeET2_T3_PNSH_ISM_E10value_typeET4_T5_PSR_SS_PNS1_23onesweep_lookback_stateEbbT6_jjT7_P12ihipStream_tbENKUlT_T0_SG_SL_E_clIS7_S7_S7_SB_EEDaSZ_S10_SG_SL_EUlSZ_E_NS1_11comp_targetILNS1_3genE9ELNS1_11target_archE1100ELNS1_3gpuE3ELNS1_3repE0EEENS1_47radix_sort_onesweep_sort_config_static_selectorELNS0_4arch9wavefront6targetE1EEEvSG_
	.p2align	8
	.type	_ZN7rocprim17ROCPRIM_400000_NS6detail17trampoline_kernelINS0_14default_configENS1_35radix_sort_onesweep_config_selectorIllEEZZNS1_29radix_sort_onesweep_iterationIS3_Lb0EPlS7_N6thrust23THRUST_200600_302600_NS10device_ptrIlEESB_jNS0_19identity_decomposerENS1_16block_id_wrapperIjLb0EEEEE10hipError_tT1_PNSt15iterator_traitsISG_E10value_typeET2_T3_PNSH_ISM_E10value_typeET4_T5_PSR_SS_PNS1_23onesweep_lookback_stateEbbT6_jjT7_P12ihipStream_tbENKUlT_T0_SG_SL_E_clIS7_S7_S7_SB_EEDaSZ_S10_SG_SL_EUlSZ_E_NS1_11comp_targetILNS1_3genE9ELNS1_11target_archE1100ELNS1_3gpuE3ELNS1_3repE0EEENS1_47radix_sort_onesweep_sort_config_static_selectorELNS0_4arch9wavefront6targetE1EEEvSG_,@function
_ZN7rocprim17ROCPRIM_400000_NS6detail17trampoline_kernelINS0_14default_configENS1_35radix_sort_onesweep_config_selectorIllEEZZNS1_29radix_sort_onesweep_iterationIS3_Lb0EPlS7_N6thrust23THRUST_200600_302600_NS10device_ptrIlEESB_jNS0_19identity_decomposerENS1_16block_id_wrapperIjLb0EEEEE10hipError_tT1_PNSt15iterator_traitsISG_E10value_typeET2_T3_PNSH_ISM_E10value_typeET4_T5_PSR_SS_PNS1_23onesweep_lookback_stateEbbT6_jjT7_P12ihipStream_tbENKUlT_T0_SG_SL_E_clIS7_S7_S7_SB_EEDaSZ_S10_SG_SL_EUlSZ_E_NS1_11comp_targetILNS1_3genE9ELNS1_11target_archE1100ELNS1_3gpuE3ELNS1_3repE0EEENS1_47radix_sort_onesweep_sort_config_static_selectorELNS0_4arch9wavefront6targetE1EEEvSG_: ; @_ZN7rocprim17ROCPRIM_400000_NS6detail17trampoline_kernelINS0_14default_configENS1_35radix_sort_onesweep_config_selectorIllEEZZNS1_29radix_sort_onesweep_iterationIS3_Lb0EPlS7_N6thrust23THRUST_200600_302600_NS10device_ptrIlEESB_jNS0_19identity_decomposerENS1_16block_id_wrapperIjLb0EEEEE10hipError_tT1_PNSt15iterator_traitsISG_E10value_typeET2_T3_PNSH_ISM_E10value_typeET4_T5_PSR_SS_PNS1_23onesweep_lookback_stateEbbT6_jjT7_P12ihipStream_tbENKUlT_T0_SG_SL_E_clIS7_S7_S7_SB_EEDaSZ_S10_SG_SL_EUlSZ_E_NS1_11comp_targetILNS1_3genE9ELNS1_11target_archE1100ELNS1_3gpuE3ELNS1_3repE0EEENS1_47radix_sort_onesweep_sort_config_static_selectorELNS0_4arch9wavefront6targetE1EEEvSG_
; %bb.0:
	.section	.rodata,"a",@progbits
	.p2align	6, 0x0
	.amdhsa_kernel _ZN7rocprim17ROCPRIM_400000_NS6detail17trampoline_kernelINS0_14default_configENS1_35radix_sort_onesweep_config_selectorIllEEZZNS1_29radix_sort_onesweep_iterationIS3_Lb0EPlS7_N6thrust23THRUST_200600_302600_NS10device_ptrIlEESB_jNS0_19identity_decomposerENS1_16block_id_wrapperIjLb0EEEEE10hipError_tT1_PNSt15iterator_traitsISG_E10value_typeET2_T3_PNSH_ISM_E10value_typeET4_T5_PSR_SS_PNS1_23onesweep_lookback_stateEbbT6_jjT7_P12ihipStream_tbENKUlT_T0_SG_SL_E_clIS7_S7_S7_SB_EEDaSZ_S10_SG_SL_EUlSZ_E_NS1_11comp_targetILNS1_3genE9ELNS1_11target_archE1100ELNS1_3gpuE3ELNS1_3repE0EEENS1_47radix_sort_onesweep_sort_config_static_selectorELNS0_4arch9wavefront6targetE1EEEvSG_
		.amdhsa_group_segment_fixed_size 0
		.amdhsa_private_segment_fixed_size 0
		.amdhsa_kernarg_size 88
		.amdhsa_user_sgpr_count 6
		.amdhsa_user_sgpr_private_segment_buffer 1
		.amdhsa_user_sgpr_dispatch_ptr 0
		.amdhsa_user_sgpr_queue_ptr 0
		.amdhsa_user_sgpr_kernarg_segment_ptr 1
		.amdhsa_user_sgpr_dispatch_id 0
		.amdhsa_user_sgpr_flat_scratch_init 0
		.amdhsa_user_sgpr_kernarg_preload_length 0
		.amdhsa_user_sgpr_kernarg_preload_offset 0
		.amdhsa_user_sgpr_private_segment_size 0
		.amdhsa_uses_dynamic_stack 0
		.amdhsa_system_sgpr_private_segment_wavefront_offset 0
		.amdhsa_system_sgpr_workgroup_id_x 1
		.amdhsa_system_sgpr_workgroup_id_y 0
		.amdhsa_system_sgpr_workgroup_id_z 0
		.amdhsa_system_sgpr_workgroup_info 0
		.amdhsa_system_vgpr_workitem_id 0
		.amdhsa_next_free_vgpr 1
		.amdhsa_next_free_sgpr 0
		.amdhsa_accum_offset 4
		.amdhsa_reserve_vcc 0
		.amdhsa_reserve_flat_scratch 0
		.amdhsa_float_round_mode_32 0
		.amdhsa_float_round_mode_16_64 0
		.amdhsa_float_denorm_mode_32 3
		.amdhsa_float_denorm_mode_16_64 3
		.amdhsa_dx10_clamp 1
		.amdhsa_ieee_mode 1
		.amdhsa_fp16_overflow 0
		.amdhsa_tg_split 0
		.amdhsa_exception_fp_ieee_invalid_op 0
		.amdhsa_exception_fp_denorm_src 0
		.amdhsa_exception_fp_ieee_div_zero 0
		.amdhsa_exception_fp_ieee_overflow 0
		.amdhsa_exception_fp_ieee_underflow 0
		.amdhsa_exception_fp_ieee_inexact 0
		.amdhsa_exception_int_div_zero 0
	.end_amdhsa_kernel
	.section	.text._ZN7rocprim17ROCPRIM_400000_NS6detail17trampoline_kernelINS0_14default_configENS1_35radix_sort_onesweep_config_selectorIllEEZZNS1_29radix_sort_onesweep_iterationIS3_Lb0EPlS7_N6thrust23THRUST_200600_302600_NS10device_ptrIlEESB_jNS0_19identity_decomposerENS1_16block_id_wrapperIjLb0EEEEE10hipError_tT1_PNSt15iterator_traitsISG_E10value_typeET2_T3_PNSH_ISM_E10value_typeET4_T5_PSR_SS_PNS1_23onesweep_lookback_stateEbbT6_jjT7_P12ihipStream_tbENKUlT_T0_SG_SL_E_clIS7_S7_S7_SB_EEDaSZ_S10_SG_SL_EUlSZ_E_NS1_11comp_targetILNS1_3genE9ELNS1_11target_archE1100ELNS1_3gpuE3ELNS1_3repE0EEENS1_47radix_sort_onesweep_sort_config_static_selectorELNS0_4arch9wavefront6targetE1EEEvSG_,"axG",@progbits,_ZN7rocprim17ROCPRIM_400000_NS6detail17trampoline_kernelINS0_14default_configENS1_35radix_sort_onesweep_config_selectorIllEEZZNS1_29radix_sort_onesweep_iterationIS3_Lb0EPlS7_N6thrust23THRUST_200600_302600_NS10device_ptrIlEESB_jNS0_19identity_decomposerENS1_16block_id_wrapperIjLb0EEEEE10hipError_tT1_PNSt15iterator_traitsISG_E10value_typeET2_T3_PNSH_ISM_E10value_typeET4_T5_PSR_SS_PNS1_23onesweep_lookback_stateEbbT6_jjT7_P12ihipStream_tbENKUlT_T0_SG_SL_E_clIS7_S7_S7_SB_EEDaSZ_S10_SG_SL_EUlSZ_E_NS1_11comp_targetILNS1_3genE9ELNS1_11target_archE1100ELNS1_3gpuE3ELNS1_3repE0EEENS1_47radix_sort_onesweep_sort_config_static_selectorELNS0_4arch9wavefront6targetE1EEEvSG_,comdat
.Lfunc_end1184:
	.size	_ZN7rocprim17ROCPRIM_400000_NS6detail17trampoline_kernelINS0_14default_configENS1_35radix_sort_onesweep_config_selectorIllEEZZNS1_29radix_sort_onesweep_iterationIS3_Lb0EPlS7_N6thrust23THRUST_200600_302600_NS10device_ptrIlEESB_jNS0_19identity_decomposerENS1_16block_id_wrapperIjLb0EEEEE10hipError_tT1_PNSt15iterator_traitsISG_E10value_typeET2_T3_PNSH_ISM_E10value_typeET4_T5_PSR_SS_PNS1_23onesweep_lookback_stateEbbT6_jjT7_P12ihipStream_tbENKUlT_T0_SG_SL_E_clIS7_S7_S7_SB_EEDaSZ_S10_SG_SL_EUlSZ_E_NS1_11comp_targetILNS1_3genE9ELNS1_11target_archE1100ELNS1_3gpuE3ELNS1_3repE0EEENS1_47radix_sort_onesweep_sort_config_static_selectorELNS0_4arch9wavefront6targetE1EEEvSG_, .Lfunc_end1184-_ZN7rocprim17ROCPRIM_400000_NS6detail17trampoline_kernelINS0_14default_configENS1_35radix_sort_onesweep_config_selectorIllEEZZNS1_29radix_sort_onesweep_iterationIS3_Lb0EPlS7_N6thrust23THRUST_200600_302600_NS10device_ptrIlEESB_jNS0_19identity_decomposerENS1_16block_id_wrapperIjLb0EEEEE10hipError_tT1_PNSt15iterator_traitsISG_E10value_typeET2_T3_PNSH_ISM_E10value_typeET4_T5_PSR_SS_PNS1_23onesweep_lookback_stateEbbT6_jjT7_P12ihipStream_tbENKUlT_T0_SG_SL_E_clIS7_S7_S7_SB_EEDaSZ_S10_SG_SL_EUlSZ_E_NS1_11comp_targetILNS1_3genE9ELNS1_11target_archE1100ELNS1_3gpuE3ELNS1_3repE0EEENS1_47radix_sort_onesweep_sort_config_static_selectorELNS0_4arch9wavefront6targetE1EEEvSG_
                                        ; -- End function
	.section	.AMDGPU.csdata,"",@progbits
; Kernel info:
; codeLenInByte = 0
; NumSgprs: 4
; NumVgprs: 0
; NumAgprs: 0
; TotalNumVgprs: 0
; ScratchSize: 0
; MemoryBound: 0
; FloatMode: 240
; IeeeMode: 1
; LDSByteSize: 0 bytes/workgroup (compile time only)
; SGPRBlocks: 0
; VGPRBlocks: 0
; NumSGPRsForWavesPerEU: 4
; NumVGPRsForWavesPerEU: 1
; AccumOffset: 4
; Occupancy: 8
; WaveLimiterHint : 0
; COMPUTE_PGM_RSRC2:SCRATCH_EN: 0
; COMPUTE_PGM_RSRC2:USER_SGPR: 6
; COMPUTE_PGM_RSRC2:TRAP_HANDLER: 0
; COMPUTE_PGM_RSRC2:TGID_X_EN: 1
; COMPUTE_PGM_RSRC2:TGID_Y_EN: 0
; COMPUTE_PGM_RSRC2:TGID_Z_EN: 0
; COMPUTE_PGM_RSRC2:TIDIG_COMP_CNT: 0
; COMPUTE_PGM_RSRC3_GFX90A:ACCUM_OFFSET: 0
; COMPUTE_PGM_RSRC3_GFX90A:TG_SPLIT: 0
	.section	.text._ZN7rocprim17ROCPRIM_400000_NS6detail17trampoline_kernelINS0_14default_configENS1_35radix_sort_onesweep_config_selectorIllEEZZNS1_29radix_sort_onesweep_iterationIS3_Lb0EPlS7_N6thrust23THRUST_200600_302600_NS10device_ptrIlEESB_jNS0_19identity_decomposerENS1_16block_id_wrapperIjLb0EEEEE10hipError_tT1_PNSt15iterator_traitsISG_E10value_typeET2_T3_PNSH_ISM_E10value_typeET4_T5_PSR_SS_PNS1_23onesweep_lookback_stateEbbT6_jjT7_P12ihipStream_tbENKUlT_T0_SG_SL_E_clIS7_S7_S7_SB_EEDaSZ_S10_SG_SL_EUlSZ_E_NS1_11comp_targetILNS1_3genE8ELNS1_11target_archE1030ELNS1_3gpuE2ELNS1_3repE0EEENS1_47radix_sort_onesweep_sort_config_static_selectorELNS0_4arch9wavefront6targetE1EEEvSG_,"axG",@progbits,_ZN7rocprim17ROCPRIM_400000_NS6detail17trampoline_kernelINS0_14default_configENS1_35radix_sort_onesweep_config_selectorIllEEZZNS1_29radix_sort_onesweep_iterationIS3_Lb0EPlS7_N6thrust23THRUST_200600_302600_NS10device_ptrIlEESB_jNS0_19identity_decomposerENS1_16block_id_wrapperIjLb0EEEEE10hipError_tT1_PNSt15iterator_traitsISG_E10value_typeET2_T3_PNSH_ISM_E10value_typeET4_T5_PSR_SS_PNS1_23onesweep_lookback_stateEbbT6_jjT7_P12ihipStream_tbENKUlT_T0_SG_SL_E_clIS7_S7_S7_SB_EEDaSZ_S10_SG_SL_EUlSZ_E_NS1_11comp_targetILNS1_3genE8ELNS1_11target_archE1030ELNS1_3gpuE2ELNS1_3repE0EEENS1_47radix_sort_onesweep_sort_config_static_selectorELNS0_4arch9wavefront6targetE1EEEvSG_,comdat
	.protected	_ZN7rocprim17ROCPRIM_400000_NS6detail17trampoline_kernelINS0_14default_configENS1_35radix_sort_onesweep_config_selectorIllEEZZNS1_29radix_sort_onesweep_iterationIS3_Lb0EPlS7_N6thrust23THRUST_200600_302600_NS10device_ptrIlEESB_jNS0_19identity_decomposerENS1_16block_id_wrapperIjLb0EEEEE10hipError_tT1_PNSt15iterator_traitsISG_E10value_typeET2_T3_PNSH_ISM_E10value_typeET4_T5_PSR_SS_PNS1_23onesweep_lookback_stateEbbT6_jjT7_P12ihipStream_tbENKUlT_T0_SG_SL_E_clIS7_S7_S7_SB_EEDaSZ_S10_SG_SL_EUlSZ_E_NS1_11comp_targetILNS1_3genE8ELNS1_11target_archE1030ELNS1_3gpuE2ELNS1_3repE0EEENS1_47radix_sort_onesweep_sort_config_static_selectorELNS0_4arch9wavefront6targetE1EEEvSG_ ; -- Begin function _ZN7rocprim17ROCPRIM_400000_NS6detail17trampoline_kernelINS0_14default_configENS1_35radix_sort_onesweep_config_selectorIllEEZZNS1_29radix_sort_onesweep_iterationIS3_Lb0EPlS7_N6thrust23THRUST_200600_302600_NS10device_ptrIlEESB_jNS0_19identity_decomposerENS1_16block_id_wrapperIjLb0EEEEE10hipError_tT1_PNSt15iterator_traitsISG_E10value_typeET2_T3_PNSH_ISM_E10value_typeET4_T5_PSR_SS_PNS1_23onesweep_lookback_stateEbbT6_jjT7_P12ihipStream_tbENKUlT_T0_SG_SL_E_clIS7_S7_S7_SB_EEDaSZ_S10_SG_SL_EUlSZ_E_NS1_11comp_targetILNS1_3genE8ELNS1_11target_archE1030ELNS1_3gpuE2ELNS1_3repE0EEENS1_47radix_sort_onesweep_sort_config_static_selectorELNS0_4arch9wavefront6targetE1EEEvSG_
	.globl	_ZN7rocprim17ROCPRIM_400000_NS6detail17trampoline_kernelINS0_14default_configENS1_35radix_sort_onesweep_config_selectorIllEEZZNS1_29radix_sort_onesweep_iterationIS3_Lb0EPlS7_N6thrust23THRUST_200600_302600_NS10device_ptrIlEESB_jNS0_19identity_decomposerENS1_16block_id_wrapperIjLb0EEEEE10hipError_tT1_PNSt15iterator_traitsISG_E10value_typeET2_T3_PNSH_ISM_E10value_typeET4_T5_PSR_SS_PNS1_23onesweep_lookback_stateEbbT6_jjT7_P12ihipStream_tbENKUlT_T0_SG_SL_E_clIS7_S7_S7_SB_EEDaSZ_S10_SG_SL_EUlSZ_E_NS1_11comp_targetILNS1_3genE8ELNS1_11target_archE1030ELNS1_3gpuE2ELNS1_3repE0EEENS1_47radix_sort_onesweep_sort_config_static_selectorELNS0_4arch9wavefront6targetE1EEEvSG_
	.p2align	8
	.type	_ZN7rocprim17ROCPRIM_400000_NS6detail17trampoline_kernelINS0_14default_configENS1_35radix_sort_onesweep_config_selectorIllEEZZNS1_29radix_sort_onesweep_iterationIS3_Lb0EPlS7_N6thrust23THRUST_200600_302600_NS10device_ptrIlEESB_jNS0_19identity_decomposerENS1_16block_id_wrapperIjLb0EEEEE10hipError_tT1_PNSt15iterator_traitsISG_E10value_typeET2_T3_PNSH_ISM_E10value_typeET4_T5_PSR_SS_PNS1_23onesweep_lookback_stateEbbT6_jjT7_P12ihipStream_tbENKUlT_T0_SG_SL_E_clIS7_S7_S7_SB_EEDaSZ_S10_SG_SL_EUlSZ_E_NS1_11comp_targetILNS1_3genE8ELNS1_11target_archE1030ELNS1_3gpuE2ELNS1_3repE0EEENS1_47radix_sort_onesweep_sort_config_static_selectorELNS0_4arch9wavefront6targetE1EEEvSG_,@function
_ZN7rocprim17ROCPRIM_400000_NS6detail17trampoline_kernelINS0_14default_configENS1_35radix_sort_onesweep_config_selectorIllEEZZNS1_29radix_sort_onesweep_iterationIS3_Lb0EPlS7_N6thrust23THRUST_200600_302600_NS10device_ptrIlEESB_jNS0_19identity_decomposerENS1_16block_id_wrapperIjLb0EEEEE10hipError_tT1_PNSt15iterator_traitsISG_E10value_typeET2_T3_PNSH_ISM_E10value_typeET4_T5_PSR_SS_PNS1_23onesweep_lookback_stateEbbT6_jjT7_P12ihipStream_tbENKUlT_T0_SG_SL_E_clIS7_S7_S7_SB_EEDaSZ_S10_SG_SL_EUlSZ_E_NS1_11comp_targetILNS1_3genE8ELNS1_11target_archE1030ELNS1_3gpuE2ELNS1_3repE0EEENS1_47radix_sort_onesweep_sort_config_static_selectorELNS0_4arch9wavefront6targetE1EEEvSG_: ; @_ZN7rocprim17ROCPRIM_400000_NS6detail17trampoline_kernelINS0_14default_configENS1_35radix_sort_onesweep_config_selectorIllEEZZNS1_29radix_sort_onesweep_iterationIS3_Lb0EPlS7_N6thrust23THRUST_200600_302600_NS10device_ptrIlEESB_jNS0_19identity_decomposerENS1_16block_id_wrapperIjLb0EEEEE10hipError_tT1_PNSt15iterator_traitsISG_E10value_typeET2_T3_PNSH_ISM_E10value_typeET4_T5_PSR_SS_PNS1_23onesweep_lookback_stateEbbT6_jjT7_P12ihipStream_tbENKUlT_T0_SG_SL_E_clIS7_S7_S7_SB_EEDaSZ_S10_SG_SL_EUlSZ_E_NS1_11comp_targetILNS1_3genE8ELNS1_11target_archE1030ELNS1_3gpuE2ELNS1_3repE0EEENS1_47radix_sort_onesweep_sort_config_static_selectorELNS0_4arch9wavefront6targetE1EEEvSG_
; %bb.0:
	.section	.rodata,"a",@progbits
	.p2align	6, 0x0
	.amdhsa_kernel _ZN7rocprim17ROCPRIM_400000_NS6detail17trampoline_kernelINS0_14default_configENS1_35radix_sort_onesweep_config_selectorIllEEZZNS1_29radix_sort_onesweep_iterationIS3_Lb0EPlS7_N6thrust23THRUST_200600_302600_NS10device_ptrIlEESB_jNS0_19identity_decomposerENS1_16block_id_wrapperIjLb0EEEEE10hipError_tT1_PNSt15iterator_traitsISG_E10value_typeET2_T3_PNSH_ISM_E10value_typeET4_T5_PSR_SS_PNS1_23onesweep_lookback_stateEbbT6_jjT7_P12ihipStream_tbENKUlT_T0_SG_SL_E_clIS7_S7_S7_SB_EEDaSZ_S10_SG_SL_EUlSZ_E_NS1_11comp_targetILNS1_3genE8ELNS1_11target_archE1030ELNS1_3gpuE2ELNS1_3repE0EEENS1_47radix_sort_onesweep_sort_config_static_selectorELNS0_4arch9wavefront6targetE1EEEvSG_
		.amdhsa_group_segment_fixed_size 0
		.amdhsa_private_segment_fixed_size 0
		.amdhsa_kernarg_size 88
		.amdhsa_user_sgpr_count 6
		.amdhsa_user_sgpr_private_segment_buffer 1
		.amdhsa_user_sgpr_dispatch_ptr 0
		.amdhsa_user_sgpr_queue_ptr 0
		.amdhsa_user_sgpr_kernarg_segment_ptr 1
		.amdhsa_user_sgpr_dispatch_id 0
		.amdhsa_user_sgpr_flat_scratch_init 0
		.amdhsa_user_sgpr_kernarg_preload_length 0
		.amdhsa_user_sgpr_kernarg_preload_offset 0
		.amdhsa_user_sgpr_private_segment_size 0
		.amdhsa_uses_dynamic_stack 0
		.amdhsa_system_sgpr_private_segment_wavefront_offset 0
		.amdhsa_system_sgpr_workgroup_id_x 1
		.amdhsa_system_sgpr_workgroup_id_y 0
		.amdhsa_system_sgpr_workgroup_id_z 0
		.amdhsa_system_sgpr_workgroup_info 0
		.amdhsa_system_vgpr_workitem_id 0
		.amdhsa_next_free_vgpr 1
		.amdhsa_next_free_sgpr 0
		.amdhsa_accum_offset 4
		.amdhsa_reserve_vcc 0
		.amdhsa_reserve_flat_scratch 0
		.amdhsa_float_round_mode_32 0
		.amdhsa_float_round_mode_16_64 0
		.amdhsa_float_denorm_mode_32 3
		.amdhsa_float_denorm_mode_16_64 3
		.amdhsa_dx10_clamp 1
		.amdhsa_ieee_mode 1
		.amdhsa_fp16_overflow 0
		.amdhsa_tg_split 0
		.amdhsa_exception_fp_ieee_invalid_op 0
		.amdhsa_exception_fp_denorm_src 0
		.amdhsa_exception_fp_ieee_div_zero 0
		.amdhsa_exception_fp_ieee_overflow 0
		.amdhsa_exception_fp_ieee_underflow 0
		.amdhsa_exception_fp_ieee_inexact 0
		.amdhsa_exception_int_div_zero 0
	.end_amdhsa_kernel
	.section	.text._ZN7rocprim17ROCPRIM_400000_NS6detail17trampoline_kernelINS0_14default_configENS1_35radix_sort_onesweep_config_selectorIllEEZZNS1_29radix_sort_onesweep_iterationIS3_Lb0EPlS7_N6thrust23THRUST_200600_302600_NS10device_ptrIlEESB_jNS0_19identity_decomposerENS1_16block_id_wrapperIjLb0EEEEE10hipError_tT1_PNSt15iterator_traitsISG_E10value_typeET2_T3_PNSH_ISM_E10value_typeET4_T5_PSR_SS_PNS1_23onesweep_lookback_stateEbbT6_jjT7_P12ihipStream_tbENKUlT_T0_SG_SL_E_clIS7_S7_S7_SB_EEDaSZ_S10_SG_SL_EUlSZ_E_NS1_11comp_targetILNS1_3genE8ELNS1_11target_archE1030ELNS1_3gpuE2ELNS1_3repE0EEENS1_47radix_sort_onesweep_sort_config_static_selectorELNS0_4arch9wavefront6targetE1EEEvSG_,"axG",@progbits,_ZN7rocprim17ROCPRIM_400000_NS6detail17trampoline_kernelINS0_14default_configENS1_35radix_sort_onesweep_config_selectorIllEEZZNS1_29radix_sort_onesweep_iterationIS3_Lb0EPlS7_N6thrust23THRUST_200600_302600_NS10device_ptrIlEESB_jNS0_19identity_decomposerENS1_16block_id_wrapperIjLb0EEEEE10hipError_tT1_PNSt15iterator_traitsISG_E10value_typeET2_T3_PNSH_ISM_E10value_typeET4_T5_PSR_SS_PNS1_23onesweep_lookback_stateEbbT6_jjT7_P12ihipStream_tbENKUlT_T0_SG_SL_E_clIS7_S7_S7_SB_EEDaSZ_S10_SG_SL_EUlSZ_E_NS1_11comp_targetILNS1_3genE8ELNS1_11target_archE1030ELNS1_3gpuE2ELNS1_3repE0EEENS1_47radix_sort_onesweep_sort_config_static_selectorELNS0_4arch9wavefront6targetE1EEEvSG_,comdat
.Lfunc_end1185:
	.size	_ZN7rocprim17ROCPRIM_400000_NS6detail17trampoline_kernelINS0_14default_configENS1_35radix_sort_onesweep_config_selectorIllEEZZNS1_29radix_sort_onesweep_iterationIS3_Lb0EPlS7_N6thrust23THRUST_200600_302600_NS10device_ptrIlEESB_jNS0_19identity_decomposerENS1_16block_id_wrapperIjLb0EEEEE10hipError_tT1_PNSt15iterator_traitsISG_E10value_typeET2_T3_PNSH_ISM_E10value_typeET4_T5_PSR_SS_PNS1_23onesweep_lookback_stateEbbT6_jjT7_P12ihipStream_tbENKUlT_T0_SG_SL_E_clIS7_S7_S7_SB_EEDaSZ_S10_SG_SL_EUlSZ_E_NS1_11comp_targetILNS1_3genE8ELNS1_11target_archE1030ELNS1_3gpuE2ELNS1_3repE0EEENS1_47radix_sort_onesweep_sort_config_static_selectorELNS0_4arch9wavefront6targetE1EEEvSG_, .Lfunc_end1185-_ZN7rocprim17ROCPRIM_400000_NS6detail17trampoline_kernelINS0_14default_configENS1_35radix_sort_onesweep_config_selectorIllEEZZNS1_29radix_sort_onesweep_iterationIS3_Lb0EPlS7_N6thrust23THRUST_200600_302600_NS10device_ptrIlEESB_jNS0_19identity_decomposerENS1_16block_id_wrapperIjLb0EEEEE10hipError_tT1_PNSt15iterator_traitsISG_E10value_typeET2_T3_PNSH_ISM_E10value_typeET4_T5_PSR_SS_PNS1_23onesweep_lookback_stateEbbT6_jjT7_P12ihipStream_tbENKUlT_T0_SG_SL_E_clIS7_S7_S7_SB_EEDaSZ_S10_SG_SL_EUlSZ_E_NS1_11comp_targetILNS1_3genE8ELNS1_11target_archE1030ELNS1_3gpuE2ELNS1_3repE0EEENS1_47radix_sort_onesweep_sort_config_static_selectorELNS0_4arch9wavefront6targetE1EEEvSG_
                                        ; -- End function
	.section	.AMDGPU.csdata,"",@progbits
; Kernel info:
; codeLenInByte = 0
; NumSgprs: 4
; NumVgprs: 0
; NumAgprs: 0
; TotalNumVgprs: 0
; ScratchSize: 0
; MemoryBound: 0
; FloatMode: 240
; IeeeMode: 1
; LDSByteSize: 0 bytes/workgroup (compile time only)
; SGPRBlocks: 0
; VGPRBlocks: 0
; NumSGPRsForWavesPerEU: 4
; NumVGPRsForWavesPerEU: 1
; AccumOffset: 4
; Occupancy: 8
; WaveLimiterHint : 0
; COMPUTE_PGM_RSRC2:SCRATCH_EN: 0
; COMPUTE_PGM_RSRC2:USER_SGPR: 6
; COMPUTE_PGM_RSRC2:TRAP_HANDLER: 0
; COMPUTE_PGM_RSRC2:TGID_X_EN: 1
; COMPUTE_PGM_RSRC2:TGID_Y_EN: 0
; COMPUTE_PGM_RSRC2:TGID_Z_EN: 0
; COMPUTE_PGM_RSRC2:TIDIG_COMP_CNT: 0
; COMPUTE_PGM_RSRC3_GFX90A:ACCUM_OFFSET: 0
; COMPUTE_PGM_RSRC3_GFX90A:TG_SPLIT: 0
	.section	.text._ZN7rocprim17ROCPRIM_400000_NS6detail17trampoline_kernelINS0_14default_configENS1_22reduce_config_selectorIiEEZNS1_11reduce_implILb1ES3_N6thrust23THRUST_200600_302600_NS11hip_rocprim35transform_pair_of_input_iterators_tIiPlSB_NS8_12not_equal_toIlEEEEPiiNS8_4plusIiEEEE10hipError_tPvRmT1_T2_T3_mT4_P12ihipStream_tbEUlT_E0_NS1_11comp_targetILNS1_3genE0ELNS1_11target_archE4294967295ELNS1_3gpuE0ELNS1_3repE0EEENS1_30default_config_static_selectorELNS0_4arch9wavefront6targetE1EEEvSL_,"axG",@progbits,_ZN7rocprim17ROCPRIM_400000_NS6detail17trampoline_kernelINS0_14default_configENS1_22reduce_config_selectorIiEEZNS1_11reduce_implILb1ES3_N6thrust23THRUST_200600_302600_NS11hip_rocprim35transform_pair_of_input_iterators_tIiPlSB_NS8_12not_equal_toIlEEEEPiiNS8_4plusIiEEEE10hipError_tPvRmT1_T2_T3_mT4_P12ihipStream_tbEUlT_E0_NS1_11comp_targetILNS1_3genE0ELNS1_11target_archE4294967295ELNS1_3gpuE0ELNS1_3repE0EEENS1_30default_config_static_selectorELNS0_4arch9wavefront6targetE1EEEvSL_,comdat
	.protected	_ZN7rocprim17ROCPRIM_400000_NS6detail17trampoline_kernelINS0_14default_configENS1_22reduce_config_selectorIiEEZNS1_11reduce_implILb1ES3_N6thrust23THRUST_200600_302600_NS11hip_rocprim35transform_pair_of_input_iterators_tIiPlSB_NS8_12not_equal_toIlEEEEPiiNS8_4plusIiEEEE10hipError_tPvRmT1_T2_T3_mT4_P12ihipStream_tbEUlT_E0_NS1_11comp_targetILNS1_3genE0ELNS1_11target_archE4294967295ELNS1_3gpuE0ELNS1_3repE0EEENS1_30default_config_static_selectorELNS0_4arch9wavefront6targetE1EEEvSL_ ; -- Begin function _ZN7rocprim17ROCPRIM_400000_NS6detail17trampoline_kernelINS0_14default_configENS1_22reduce_config_selectorIiEEZNS1_11reduce_implILb1ES3_N6thrust23THRUST_200600_302600_NS11hip_rocprim35transform_pair_of_input_iterators_tIiPlSB_NS8_12not_equal_toIlEEEEPiiNS8_4plusIiEEEE10hipError_tPvRmT1_T2_T3_mT4_P12ihipStream_tbEUlT_E0_NS1_11comp_targetILNS1_3genE0ELNS1_11target_archE4294967295ELNS1_3gpuE0ELNS1_3repE0EEENS1_30default_config_static_selectorELNS0_4arch9wavefront6targetE1EEEvSL_
	.globl	_ZN7rocprim17ROCPRIM_400000_NS6detail17trampoline_kernelINS0_14default_configENS1_22reduce_config_selectorIiEEZNS1_11reduce_implILb1ES3_N6thrust23THRUST_200600_302600_NS11hip_rocprim35transform_pair_of_input_iterators_tIiPlSB_NS8_12not_equal_toIlEEEEPiiNS8_4plusIiEEEE10hipError_tPvRmT1_T2_T3_mT4_P12ihipStream_tbEUlT_E0_NS1_11comp_targetILNS1_3genE0ELNS1_11target_archE4294967295ELNS1_3gpuE0ELNS1_3repE0EEENS1_30default_config_static_selectorELNS0_4arch9wavefront6targetE1EEEvSL_
	.p2align	8
	.type	_ZN7rocprim17ROCPRIM_400000_NS6detail17trampoline_kernelINS0_14default_configENS1_22reduce_config_selectorIiEEZNS1_11reduce_implILb1ES3_N6thrust23THRUST_200600_302600_NS11hip_rocprim35transform_pair_of_input_iterators_tIiPlSB_NS8_12not_equal_toIlEEEEPiiNS8_4plusIiEEEE10hipError_tPvRmT1_T2_T3_mT4_P12ihipStream_tbEUlT_E0_NS1_11comp_targetILNS1_3genE0ELNS1_11target_archE4294967295ELNS1_3gpuE0ELNS1_3repE0EEENS1_30default_config_static_selectorELNS0_4arch9wavefront6targetE1EEEvSL_,@function
_ZN7rocprim17ROCPRIM_400000_NS6detail17trampoline_kernelINS0_14default_configENS1_22reduce_config_selectorIiEEZNS1_11reduce_implILb1ES3_N6thrust23THRUST_200600_302600_NS11hip_rocprim35transform_pair_of_input_iterators_tIiPlSB_NS8_12not_equal_toIlEEEEPiiNS8_4plusIiEEEE10hipError_tPvRmT1_T2_T3_mT4_P12ihipStream_tbEUlT_E0_NS1_11comp_targetILNS1_3genE0ELNS1_11target_archE4294967295ELNS1_3gpuE0ELNS1_3repE0EEENS1_30default_config_static_selectorELNS0_4arch9wavefront6targetE1EEEvSL_: ; @_ZN7rocprim17ROCPRIM_400000_NS6detail17trampoline_kernelINS0_14default_configENS1_22reduce_config_selectorIiEEZNS1_11reduce_implILb1ES3_N6thrust23THRUST_200600_302600_NS11hip_rocprim35transform_pair_of_input_iterators_tIiPlSB_NS8_12not_equal_toIlEEEEPiiNS8_4plusIiEEEE10hipError_tPvRmT1_T2_T3_mT4_P12ihipStream_tbEUlT_E0_NS1_11comp_targetILNS1_3genE0ELNS1_11target_archE4294967295ELNS1_3gpuE0ELNS1_3repE0EEENS1_30default_config_static_selectorELNS0_4arch9wavefront6targetE1EEEvSL_
; %bb.0:
	.section	.rodata,"a",@progbits
	.p2align	6, 0x0
	.amdhsa_kernel _ZN7rocprim17ROCPRIM_400000_NS6detail17trampoline_kernelINS0_14default_configENS1_22reduce_config_selectorIiEEZNS1_11reduce_implILb1ES3_N6thrust23THRUST_200600_302600_NS11hip_rocprim35transform_pair_of_input_iterators_tIiPlSB_NS8_12not_equal_toIlEEEEPiiNS8_4plusIiEEEE10hipError_tPvRmT1_T2_T3_mT4_P12ihipStream_tbEUlT_E0_NS1_11comp_targetILNS1_3genE0ELNS1_11target_archE4294967295ELNS1_3gpuE0ELNS1_3repE0EEENS1_30default_config_static_selectorELNS0_4arch9wavefront6targetE1EEEvSL_
		.amdhsa_group_segment_fixed_size 0
		.amdhsa_private_segment_fixed_size 0
		.amdhsa_kernarg_size 72
		.amdhsa_user_sgpr_count 6
		.amdhsa_user_sgpr_private_segment_buffer 1
		.amdhsa_user_sgpr_dispatch_ptr 0
		.amdhsa_user_sgpr_queue_ptr 0
		.amdhsa_user_sgpr_kernarg_segment_ptr 1
		.amdhsa_user_sgpr_dispatch_id 0
		.amdhsa_user_sgpr_flat_scratch_init 0
		.amdhsa_user_sgpr_kernarg_preload_length 0
		.amdhsa_user_sgpr_kernarg_preload_offset 0
		.amdhsa_user_sgpr_private_segment_size 0
		.amdhsa_uses_dynamic_stack 0
		.amdhsa_system_sgpr_private_segment_wavefront_offset 0
		.amdhsa_system_sgpr_workgroup_id_x 1
		.amdhsa_system_sgpr_workgroup_id_y 0
		.amdhsa_system_sgpr_workgroup_id_z 0
		.amdhsa_system_sgpr_workgroup_info 0
		.amdhsa_system_vgpr_workitem_id 0
		.amdhsa_next_free_vgpr 1
		.amdhsa_next_free_sgpr 0
		.amdhsa_accum_offset 4
		.amdhsa_reserve_vcc 0
		.amdhsa_reserve_flat_scratch 0
		.amdhsa_float_round_mode_32 0
		.amdhsa_float_round_mode_16_64 0
		.amdhsa_float_denorm_mode_32 3
		.amdhsa_float_denorm_mode_16_64 3
		.amdhsa_dx10_clamp 1
		.amdhsa_ieee_mode 1
		.amdhsa_fp16_overflow 0
		.amdhsa_tg_split 0
		.amdhsa_exception_fp_ieee_invalid_op 0
		.amdhsa_exception_fp_denorm_src 0
		.amdhsa_exception_fp_ieee_div_zero 0
		.amdhsa_exception_fp_ieee_overflow 0
		.amdhsa_exception_fp_ieee_underflow 0
		.amdhsa_exception_fp_ieee_inexact 0
		.amdhsa_exception_int_div_zero 0
	.end_amdhsa_kernel
	.section	.text._ZN7rocprim17ROCPRIM_400000_NS6detail17trampoline_kernelINS0_14default_configENS1_22reduce_config_selectorIiEEZNS1_11reduce_implILb1ES3_N6thrust23THRUST_200600_302600_NS11hip_rocprim35transform_pair_of_input_iterators_tIiPlSB_NS8_12not_equal_toIlEEEEPiiNS8_4plusIiEEEE10hipError_tPvRmT1_T2_T3_mT4_P12ihipStream_tbEUlT_E0_NS1_11comp_targetILNS1_3genE0ELNS1_11target_archE4294967295ELNS1_3gpuE0ELNS1_3repE0EEENS1_30default_config_static_selectorELNS0_4arch9wavefront6targetE1EEEvSL_,"axG",@progbits,_ZN7rocprim17ROCPRIM_400000_NS6detail17trampoline_kernelINS0_14default_configENS1_22reduce_config_selectorIiEEZNS1_11reduce_implILb1ES3_N6thrust23THRUST_200600_302600_NS11hip_rocprim35transform_pair_of_input_iterators_tIiPlSB_NS8_12not_equal_toIlEEEEPiiNS8_4plusIiEEEE10hipError_tPvRmT1_T2_T3_mT4_P12ihipStream_tbEUlT_E0_NS1_11comp_targetILNS1_3genE0ELNS1_11target_archE4294967295ELNS1_3gpuE0ELNS1_3repE0EEENS1_30default_config_static_selectorELNS0_4arch9wavefront6targetE1EEEvSL_,comdat
.Lfunc_end1186:
	.size	_ZN7rocprim17ROCPRIM_400000_NS6detail17trampoline_kernelINS0_14default_configENS1_22reduce_config_selectorIiEEZNS1_11reduce_implILb1ES3_N6thrust23THRUST_200600_302600_NS11hip_rocprim35transform_pair_of_input_iterators_tIiPlSB_NS8_12not_equal_toIlEEEEPiiNS8_4plusIiEEEE10hipError_tPvRmT1_T2_T3_mT4_P12ihipStream_tbEUlT_E0_NS1_11comp_targetILNS1_3genE0ELNS1_11target_archE4294967295ELNS1_3gpuE0ELNS1_3repE0EEENS1_30default_config_static_selectorELNS0_4arch9wavefront6targetE1EEEvSL_, .Lfunc_end1186-_ZN7rocprim17ROCPRIM_400000_NS6detail17trampoline_kernelINS0_14default_configENS1_22reduce_config_selectorIiEEZNS1_11reduce_implILb1ES3_N6thrust23THRUST_200600_302600_NS11hip_rocprim35transform_pair_of_input_iterators_tIiPlSB_NS8_12not_equal_toIlEEEEPiiNS8_4plusIiEEEE10hipError_tPvRmT1_T2_T3_mT4_P12ihipStream_tbEUlT_E0_NS1_11comp_targetILNS1_3genE0ELNS1_11target_archE4294967295ELNS1_3gpuE0ELNS1_3repE0EEENS1_30default_config_static_selectorELNS0_4arch9wavefront6targetE1EEEvSL_
                                        ; -- End function
	.section	.AMDGPU.csdata,"",@progbits
; Kernel info:
; codeLenInByte = 0
; NumSgprs: 4
; NumVgprs: 0
; NumAgprs: 0
; TotalNumVgprs: 0
; ScratchSize: 0
; MemoryBound: 0
; FloatMode: 240
; IeeeMode: 1
; LDSByteSize: 0 bytes/workgroup (compile time only)
; SGPRBlocks: 0
; VGPRBlocks: 0
; NumSGPRsForWavesPerEU: 4
; NumVGPRsForWavesPerEU: 1
; AccumOffset: 4
; Occupancy: 8
; WaveLimiterHint : 0
; COMPUTE_PGM_RSRC2:SCRATCH_EN: 0
; COMPUTE_PGM_RSRC2:USER_SGPR: 6
; COMPUTE_PGM_RSRC2:TRAP_HANDLER: 0
; COMPUTE_PGM_RSRC2:TGID_X_EN: 1
; COMPUTE_PGM_RSRC2:TGID_Y_EN: 0
; COMPUTE_PGM_RSRC2:TGID_Z_EN: 0
; COMPUTE_PGM_RSRC2:TIDIG_COMP_CNT: 0
; COMPUTE_PGM_RSRC3_GFX90A:ACCUM_OFFSET: 0
; COMPUTE_PGM_RSRC3_GFX90A:TG_SPLIT: 0
	.section	.text._ZN7rocprim17ROCPRIM_400000_NS6detail17trampoline_kernelINS0_14default_configENS1_22reduce_config_selectorIiEEZNS1_11reduce_implILb1ES3_N6thrust23THRUST_200600_302600_NS11hip_rocprim35transform_pair_of_input_iterators_tIiPlSB_NS8_12not_equal_toIlEEEEPiiNS8_4plusIiEEEE10hipError_tPvRmT1_T2_T3_mT4_P12ihipStream_tbEUlT_E0_NS1_11comp_targetILNS1_3genE5ELNS1_11target_archE942ELNS1_3gpuE9ELNS1_3repE0EEENS1_30default_config_static_selectorELNS0_4arch9wavefront6targetE1EEEvSL_,"axG",@progbits,_ZN7rocprim17ROCPRIM_400000_NS6detail17trampoline_kernelINS0_14default_configENS1_22reduce_config_selectorIiEEZNS1_11reduce_implILb1ES3_N6thrust23THRUST_200600_302600_NS11hip_rocprim35transform_pair_of_input_iterators_tIiPlSB_NS8_12not_equal_toIlEEEEPiiNS8_4plusIiEEEE10hipError_tPvRmT1_T2_T3_mT4_P12ihipStream_tbEUlT_E0_NS1_11comp_targetILNS1_3genE5ELNS1_11target_archE942ELNS1_3gpuE9ELNS1_3repE0EEENS1_30default_config_static_selectorELNS0_4arch9wavefront6targetE1EEEvSL_,comdat
	.protected	_ZN7rocprim17ROCPRIM_400000_NS6detail17trampoline_kernelINS0_14default_configENS1_22reduce_config_selectorIiEEZNS1_11reduce_implILb1ES3_N6thrust23THRUST_200600_302600_NS11hip_rocprim35transform_pair_of_input_iterators_tIiPlSB_NS8_12not_equal_toIlEEEEPiiNS8_4plusIiEEEE10hipError_tPvRmT1_T2_T3_mT4_P12ihipStream_tbEUlT_E0_NS1_11comp_targetILNS1_3genE5ELNS1_11target_archE942ELNS1_3gpuE9ELNS1_3repE0EEENS1_30default_config_static_selectorELNS0_4arch9wavefront6targetE1EEEvSL_ ; -- Begin function _ZN7rocprim17ROCPRIM_400000_NS6detail17trampoline_kernelINS0_14default_configENS1_22reduce_config_selectorIiEEZNS1_11reduce_implILb1ES3_N6thrust23THRUST_200600_302600_NS11hip_rocprim35transform_pair_of_input_iterators_tIiPlSB_NS8_12not_equal_toIlEEEEPiiNS8_4plusIiEEEE10hipError_tPvRmT1_T2_T3_mT4_P12ihipStream_tbEUlT_E0_NS1_11comp_targetILNS1_3genE5ELNS1_11target_archE942ELNS1_3gpuE9ELNS1_3repE0EEENS1_30default_config_static_selectorELNS0_4arch9wavefront6targetE1EEEvSL_
	.globl	_ZN7rocprim17ROCPRIM_400000_NS6detail17trampoline_kernelINS0_14default_configENS1_22reduce_config_selectorIiEEZNS1_11reduce_implILb1ES3_N6thrust23THRUST_200600_302600_NS11hip_rocprim35transform_pair_of_input_iterators_tIiPlSB_NS8_12not_equal_toIlEEEEPiiNS8_4plusIiEEEE10hipError_tPvRmT1_T2_T3_mT4_P12ihipStream_tbEUlT_E0_NS1_11comp_targetILNS1_3genE5ELNS1_11target_archE942ELNS1_3gpuE9ELNS1_3repE0EEENS1_30default_config_static_selectorELNS0_4arch9wavefront6targetE1EEEvSL_
	.p2align	8
	.type	_ZN7rocprim17ROCPRIM_400000_NS6detail17trampoline_kernelINS0_14default_configENS1_22reduce_config_selectorIiEEZNS1_11reduce_implILb1ES3_N6thrust23THRUST_200600_302600_NS11hip_rocprim35transform_pair_of_input_iterators_tIiPlSB_NS8_12not_equal_toIlEEEEPiiNS8_4plusIiEEEE10hipError_tPvRmT1_T2_T3_mT4_P12ihipStream_tbEUlT_E0_NS1_11comp_targetILNS1_3genE5ELNS1_11target_archE942ELNS1_3gpuE9ELNS1_3repE0EEENS1_30default_config_static_selectorELNS0_4arch9wavefront6targetE1EEEvSL_,@function
_ZN7rocprim17ROCPRIM_400000_NS6detail17trampoline_kernelINS0_14default_configENS1_22reduce_config_selectorIiEEZNS1_11reduce_implILb1ES3_N6thrust23THRUST_200600_302600_NS11hip_rocprim35transform_pair_of_input_iterators_tIiPlSB_NS8_12not_equal_toIlEEEEPiiNS8_4plusIiEEEE10hipError_tPvRmT1_T2_T3_mT4_P12ihipStream_tbEUlT_E0_NS1_11comp_targetILNS1_3genE5ELNS1_11target_archE942ELNS1_3gpuE9ELNS1_3repE0EEENS1_30default_config_static_selectorELNS0_4arch9wavefront6targetE1EEEvSL_: ; @_ZN7rocprim17ROCPRIM_400000_NS6detail17trampoline_kernelINS0_14default_configENS1_22reduce_config_selectorIiEEZNS1_11reduce_implILb1ES3_N6thrust23THRUST_200600_302600_NS11hip_rocprim35transform_pair_of_input_iterators_tIiPlSB_NS8_12not_equal_toIlEEEEPiiNS8_4plusIiEEEE10hipError_tPvRmT1_T2_T3_mT4_P12ihipStream_tbEUlT_E0_NS1_11comp_targetILNS1_3genE5ELNS1_11target_archE942ELNS1_3gpuE9ELNS1_3repE0EEENS1_30default_config_static_selectorELNS0_4arch9wavefront6targetE1EEEvSL_
; %bb.0:
	.section	.rodata,"a",@progbits
	.p2align	6, 0x0
	.amdhsa_kernel _ZN7rocprim17ROCPRIM_400000_NS6detail17trampoline_kernelINS0_14default_configENS1_22reduce_config_selectorIiEEZNS1_11reduce_implILb1ES3_N6thrust23THRUST_200600_302600_NS11hip_rocprim35transform_pair_of_input_iterators_tIiPlSB_NS8_12not_equal_toIlEEEEPiiNS8_4plusIiEEEE10hipError_tPvRmT1_T2_T3_mT4_P12ihipStream_tbEUlT_E0_NS1_11comp_targetILNS1_3genE5ELNS1_11target_archE942ELNS1_3gpuE9ELNS1_3repE0EEENS1_30default_config_static_selectorELNS0_4arch9wavefront6targetE1EEEvSL_
		.amdhsa_group_segment_fixed_size 0
		.amdhsa_private_segment_fixed_size 0
		.amdhsa_kernarg_size 72
		.amdhsa_user_sgpr_count 6
		.amdhsa_user_sgpr_private_segment_buffer 1
		.amdhsa_user_sgpr_dispatch_ptr 0
		.amdhsa_user_sgpr_queue_ptr 0
		.amdhsa_user_sgpr_kernarg_segment_ptr 1
		.amdhsa_user_sgpr_dispatch_id 0
		.amdhsa_user_sgpr_flat_scratch_init 0
		.amdhsa_user_sgpr_kernarg_preload_length 0
		.amdhsa_user_sgpr_kernarg_preload_offset 0
		.amdhsa_user_sgpr_private_segment_size 0
		.amdhsa_uses_dynamic_stack 0
		.amdhsa_system_sgpr_private_segment_wavefront_offset 0
		.amdhsa_system_sgpr_workgroup_id_x 1
		.amdhsa_system_sgpr_workgroup_id_y 0
		.amdhsa_system_sgpr_workgroup_id_z 0
		.amdhsa_system_sgpr_workgroup_info 0
		.amdhsa_system_vgpr_workitem_id 0
		.amdhsa_next_free_vgpr 1
		.amdhsa_next_free_sgpr 0
		.amdhsa_accum_offset 4
		.amdhsa_reserve_vcc 0
		.amdhsa_reserve_flat_scratch 0
		.amdhsa_float_round_mode_32 0
		.amdhsa_float_round_mode_16_64 0
		.amdhsa_float_denorm_mode_32 3
		.amdhsa_float_denorm_mode_16_64 3
		.amdhsa_dx10_clamp 1
		.amdhsa_ieee_mode 1
		.amdhsa_fp16_overflow 0
		.amdhsa_tg_split 0
		.amdhsa_exception_fp_ieee_invalid_op 0
		.amdhsa_exception_fp_denorm_src 0
		.amdhsa_exception_fp_ieee_div_zero 0
		.amdhsa_exception_fp_ieee_overflow 0
		.amdhsa_exception_fp_ieee_underflow 0
		.amdhsa_exception_fp_ieee_inexact 0
		.amdhsa_exception_int_div_zero 0
	.end_amdhsa_kernel
	.section	.text._ZN7rocprim17ROCPRIM_400000_NS6detail17trampoline_kernelINS0_14default_configENS1_22reduce_config_selectorIiEEZNS1_11reduce_implILb1ES3_N6thrust23THRUST_200600_302600_NS11hip_rocprim35transform_pair_of_input_iterators_tIiPlSB_NS8_12not_equal_toIlEEEEPiiNS8_4plusIiEEEE10hipError_tPvRmT1_T2_T3_mT4_P12ihipStream_tbEUlT_E0_NS1_11comp_targetILNS1_3genE5ELNS1_11target_archE942ELNS1_3gpuE9ELNS1_3repE0EEENS1_30default_config_static_selectorELNS0_4arch9wavefront6targetE1EEEvSL_,"axG",@progbits,_ZN7rocprim17ROCPRIM_400000_NS6detail17trampoline_kernelINS0_14default_configENS1_22reduce_config_selectorIiEEZNS1_11reduce_implILb1ES3_N6thrust23THRUST_200600_302600_NS11hip_rocprim35transform_pair_of_input_iterators_tIiPlSB_NS8_12not_equal_toIlEEEEPiiNS8_4plusIiEEEE10hipError_tPvRmT1_T2_T3_mT4_P12ihipStream_tbEUlT_E0_NS1_11comp_targetILNS1_3genE5ELNS1_11target_archE942ELNS1_3gpuE9ELNS1_3repE0EEENS1_30default_config_static_selectorELNS0_4arch9wavefront6targetE1EEEvSL_,comdat
.Lfunc_end1187:
	.size	_ZN7rocprim17ROCPRIM_400000_NS6detail17trampoline_kernelINS0_14default_configENS1_22reduce_config_selectorIiEEZNS1_11reduce_implILb1ES3_N6thrust23THRUST_200600_302600_NS11hip_rocprim35transform_pair_of_input_iterators_tIiPlSB_NS8_12not_equal_toIlEEEEPiiNS8_4plusIiEEEE10hipError_tPvRmT1_T2_T3_mT4_P12ihipStream_tbEUlT_E0_NS1_11comp_targetILNS1_3genE5ELNS1_11target_archE942ELNS1_3gpuE9ELNS1_3repE0EEENS1_30default_config_static_selectorELNS0_4arch9wavefront6targetE1EEEvSL_, .Lfunc_end1187-_ZN7rocprim17ROCPRIM_400000_NS6detail17trampoline_kernelINS0_14default_configENS1_22reduce_config_selectorIiEEZNS1_11reduce_implILb1ES3_N6thrust23THRUST_200600_302600_NS11hip_rocprim35transform_pair_of_input_iterators_tIiPlSB_NS8_12not_equal_toIlEEEEPiiNS8_4plusIiEEEE10hipError_tPvRmT1_T2_T3_mT4_P12ihipStream_tbEUlT_E0_NS1_11comp_targetILNS1_3genE5ELNS1_11target_archE942ELNS1_3gpuE9ELNS1_3repE0EEENS1_30default_config_static_selectorELNS0_4arch9wavefront6targetE1EEEvSL_
                                        ; -- End function
	.section	.AMDGPU.csdata,"",@progbits
; Kernel info:
; codeLenInByte = 0
; NumSgprs: 4
; NumVgprs: 0
; NumAgprs: 0
; TotalNumVgprs: 0
; ScratchSize: 0
; MemoryBound: 0
; FloatMode: 240
; IeeeMode: 1
; LDSByteSize: 0 bytes/workgroup (compile time only)
; SGPRBlocks: 0
; VGPRBlocks: 0
; NumSGPRsForWavesPerEU: 4
; NumVGPRsForWavesPerEU: 1
; AccumOffset: 4
; Occupancy: 8
; WaveLimiterHint : 0
; COMPUTE_PGM_RSRC2:SCRATCH_EN: 0
; COMPUTE_PGM_RSRC2:USER_SGPR: 6
; COMPUTE_PGM_RSRC2:TRAP_HANDLER: 0
; COMPUTE_PGM_RSRC2:TGID_X_EN: 1
; COMPUTE_PGM_RSRC2:TGID_Y_EN: 0
; COMPUTE_PGM_RSRC2:TGID_Z_EN: 0
; COMPUTE_PGM_RSRC2:TIDIG_COMP_CNT: 0
; COMPUTE_PGM_RSRC3_GFX90A:ACCUM_OFFSET: 0
; COMPUTE_PGM_RSRC3_GFX90A:TG_SPLIT: 0
	.section	.text._ZN7rocprim17ROCPRIM_400000_NS6detail17trampoline_kernelINS0_14default_configENS1_22reduce_config_selectorIiEEZNS1_11reduce_implILb1ES3_N6thrust23THRUST_200600_302600_NS11hip_rocprim35transform_pair_of_input_iterators_tIiPlSB_NS8_12not_equal_toIlEEEEPiiNS8_4plusIiEEEE10hipError_tPvRmT1_T2_T3_mT4_P12ihipStream_tbEUlT_E0_NS1_11comp_targetILNS1_3genE4ELNS1_11target_archE910ELNS1_3gpuE8ELNS1_3repE0EEENS1_30default_config_static_selectorELNS0_4arch9wavefront6targetE1EEEvSL_,"axG",@progbits,_ZN7rocprim17ROCPRIM_400000_NS6detail17trampoline_kernelINS0_14default_configENS1_22reduce_config_selectorIiEEZNS1_11reduce_implILb1ES3_N6thrust23THRUST_200600_302600_NS11hip_rocprim35transform_pair_of_input_iterators_tIiPlSB_NS8_12not_equal_toIlEEEEPiiNS8_4plusIiEEEE10hipError_tPvRmT1_T2_T3_mT4_P12ihipStream_tbEUlT_E0_NS1_11comp_targetILNS1_3genE4ELNS1_11target_archE910ELNS1_3gpuE8ELNS1_3repE0EEENS1_30default_config_static_selectorELNS0_4arch9wavefront6targetE1EEEvSL_,comdat
	.protected	_ZN7rocprim17ROCPRIM_400000_NS6detail17trampoline_kernelINS0_14default_configENS1_22reduce_config_selectorIiEEZNS1_11reduce_implILb1ES3_N6thrust23THRUST_200600_302600_NS11hip_rocprim35transform_pair_of_input_iterators_tIiPlSB_NS8_12not_equal_toIlEEEEPiiNS8_4plusIiEEEE10hipError_tPvRmT1_T2_T3_mT4_P12ihipStream_tbEUlT_E0_NS1_11comp_targetILNS1_3genE4ELNS1_11target_archE910ELNS1_3gpuE8ELNS1_3repE0EEENS1_30default_config_static_selectorELNS0_4arch9wavefront6targetE1EEEvSL_ ; -- Begin function _ZN7rocprim17ROCPRIM_400000_NS6detail17trampoline_kernelINS0_14default_configENS1_22reduce_config_selectorIiEEZNS1_11reduce_implILb1ES3_N6thrust23THRUST_200600_302600_NS11hip_rocprim35transform_pair_of_input_iterators_tIiPlSB_NS8_12not_equal_toIlEEEEPiiNS8_4plusIiEEEE10hipError_tPvRmT1_T2_T3_mT4_P12ihipStream_tbEUlT_E0_NS1_11comp_targetILNS1_3genE4ELNS1_11target_archE910ELNS1_3gpuE8ELNS1_3repE0EEENS1_30default_config_static_selectorELNS0_4arch9wavefront6targetE1EEEvSL_
	.globl	_ZN7rocprim17ROCPRIM_400000_NS6detail17trampoline_kernelINS0_14default_configENS1_22reduce_config_selectorIiEEZNS1_11reduce_implILb1ES3_N6thrust23THRUST_200600_302600_NS11hip_rocprim35transform_pair_of_input_iterators_tIiPlSB_NS8_12not_equal_toIlEEEEPiiNS8_4plusIiEEEE10hipError_tPvRmT1_T2_T3_mT4_P12ihipStream_tbEUlT_E0_NS1_11comp_targetILNS1_3genE4ELNS1_11target_archE910ELNS1_3gpuE8ELNS1_3repE0EEENS1_30default_config_static_selectorELNS0_4arch9wavefront6targetE1EEEvSL_
	.p2align	8
	.type	_ZN7rocprim17ROCPRIM_400000_NS6detail17trampoline_kernelINS0_14default_configENS1_22reduce_config_selectorIiEEZNS1_11reduce_implILb1ES3_N6thrust23THRUST_200600_302600_NS11hip_rocprim35transform_pair_of_input_iterators_tIiPlSB_NS8_12not_equal_toIlEEEEPiiNS8_4plusIiEEEE10hipError_tPvRmT1_T2_T3_mT4_P12ihipStream_tbEUlT_E0_NS1_11comp_targetILNS1_3genE4ELNS1_11target_archE910ELNS1_3gpuE8ELNS1_3repE0EEENS1_30default_config_static_selectorELNS0_4arch9wavefront6targetE1EEEvSL_,@function
_ZN7rocprim17ROCPRIM_400000_NS6detail17trampoline_kernelINS0_14default_configENS1_22reduce_config_selectorIiEEZNS1_11reduce_implILb1ES3_N6thrust23THRUST_200600_302600_NS11hip_rocprim35transform_pair_of_input_iterators_tIiPlSB_NS8_12not_equal_toIlEEEEPiiNS8_4plusIiEEEE10hipError_tPvRmT1_T2_T3_mT4_P12ihipStream_tbEUlT_E0_NS1_11comp_targetILNS1_3genE4ELNS1_11target_archE910ELNS1_3gpuE8ELNS1_3repE0EEENS1_30default_config_static_selectorELNS0_4arch9wavefront6targetE1EEEvSL_: ; @_ZN7rocprim17ROCPRIM_400000_NS6detail17trampoline_kernelINS0_14default_configENS1_22reduce_config_selectorIiEEZNS1_11reduce_implILb1ES3_N6thrust23THRUST_200600_302600_NS11hip_rocprim35transform_pair_of_input_iterators_tIiPlSB_NS8_12not_equal_toIlEEEEPiiNS8_4plusIiEEEE10hipError_tPvRmT1_T2_T3_mT4_P12ihipStream_tbEUlT_E0_NS1_11comp_targetILNS1_3genE4ELNS1_11target_archE910ELNS1_3gpuE8ELNS1_3repE0EEENS1_30default_config_static_selectorELNS0_4arch9wavefront6targetE1EEEvSL_
; %bb.0:
	s_load_dwordx8 s[16:23], s[4:5], 0x18
	s_load_dwordx4 s[0:3], s[4:5], 0x0
	s_load_dwordx2 s[24:25], s[4:5], 0x38
	v_lshlrev_b32_e32 v10, 3, v0
	v_mbcnt_lo_u32_b32 v1, -1, 0
	s_waitcnt lgkmcnt(0)
	s_lshl_b64 s[8:9], s[16:17], 3
	s_add_u32 s10, s0, s8
	s_addc_u32 s11, s1, s9
	s_add_u32 s12, s2, s8
	s_addc_u32 s13, s3, s9
	s_lshl_b32 s0, s6, 10
	s_mov_b32 s1, 0
	s_lshr_b64 s[2:3], s[18:19], 10
	s_lshl_b64 s[8:9], s[0:1], 3
	s_add_u32 s14, s10, s8
	s_addc_u32 s15, s11, s9
	s_add_u32 s16, s12, s8
	s_mov_b32 s7, s1
	s_addc_u32 s17, s13, s9
	s_cmp_lg_u64 s[2:3], s[6:7]
	s_cbranch_scc0 .LBB1188_6
; %bb.1:
	v_mov_b32_e32 v2, s15
	v_add_co_u32_e32 v3, vcc, s14, v10
	v_addc_co_u32_e32 v4, vcc, 0, v2, vcc
	v_mov_b32_e32 v2, s17
	v_add_co_u32_e32 v5, vcc, s16, v10
	global_load_dwordx2 v[6:7], v10, s[14:15]
	global_load_dwordx2 v[8:9], v10, s[14:15] offset:1024
	global_load_dwordx2 v[12:13], v10, s[14:15] offset:2048
	;; [unrolled: 1-line block ×3, first 2 shown]
	global_load_dwordx2 v[16:17], v10, s[16:17]
	global_load_dwordx2 v[18:19], v10, s[16:17] offset:1024
	global_load_dwordx2 v[20:21], v10, s[16:17] offset:2048
	global_load_dwordx2 v[22:23], v10, s[16:17] offset:3072
	v_addc_co_u32_e32 v11, vcc, 0, v2, vcc
	s_movk_i32 s1, 0x1000
	v_add_co_u32_e32 v2, vcc, s1, v3
	v_addc_co_u32_e32 v3, vcc, 0, v4, vcc
	global_load_dwordx2 v[24:25], v[2:3], off
	v_add_co_u32_e32 v4, vcc, s1, v5
	v_addc_co_u32_e32 v5, vcc, 0, v11, vcc
	global_load_dwordx2 v[26:27], v[4:5], off
	global_load_dwordx2 v[28:29], v[2:3], off offset:2048
	global_load_dwordx2 v[30:31], v[4:5], off offset:2048
	;; [unrolled: 1-line block ×6, first 2 shown]
	v_mbcnt_hi_u32_b32 v3, -1, v1
	v_lshlrev_b32_e32 v4, 2, v3
	s_waitcnt vmcnt(11)
	v_cmp_ne_u64_e32 vcc, v[6:7], v[16:17]
	v_cndmask_b32_e64 v2, 0, 1, vcc
	s_waitcnt vmcnt(9)
	v_cmp_ne_u64_e32 vcc, v[12:13], v[20:21]
	v_cndmask_b32_e64 v5, 0, 1, vcc
	v_cmp_ne_u64_e32 vcc, v[8:9], v[18:19]
	v_addc_co_u32_e32 v2, vcc, 0, v2, vcc
	s_waitcnt vmcnt(8)
	v_cmp_ne_u64_e32 vcc, v[14:15], v[22:23]
	v_addc_co_u32_e32 v2, vcc, v2, v5, vcc
	s_waitcnt vmcnt(6)
	v_cmp_ne_u64_e32 vcc, v[24:25], v[26:27]
	v_cndmask_b32_e64 v5, 0, 1, vcc
	s_waitcnt vmcnt(4)
	v_cmp_ne_u64_e32 vcc, v[28:29], v[30:31]
	v_cndmask_b32_e64 v6, 0, 1, vcc
	s_waitcnt vmcnt(2)
	v_cmp_ne_u64_e32 vcc, v[32:33], v[34:35]
	v_addc_co_u32_e32 v2, vcc, v2, v5, vcc
	s_waitcnt vmcnt(0)
	v_cmp_ne_u64_e32 vcc, v[36:37], v[38:39]
	v_addc_co_u32_e32 v2, vcc, v2, v6, vcc
	v_or_b32_e32 v5, 0xfc, v4
	s_nop 0
	v_add_u32_dpp v2, v2, v2 quad_perm:[1,0,3,2] row_mask:0xf bank_mask:0xf bound_ctrl:1
	v_cmp_eq_u32_e32 vcc, 0, v3
	s_nop 0
	v_add_u32_dpp v2, v2, v2 quad_perm:[2,3,0,1] row_mask:0xf bank_mask:0xf bound_ctrl:1
	s_nop 1
	v_add_u32_dpp v2, v2, v2 row_ror:4 row_mask:0xf bank_mask:0xf bound_ctrl:1
	s_nop 1
	v_add_u32_dpp v2, v2, v2 row_ror:8 row_mask:0xf bank_mask:0xf bound_ctrl:1
	s_nop 1
	v_add_u32_dpp v2, v2, v2 row_bcast:15 row_mask:0xf bank_mask:0xf bound_ctrl:1
	s_nop 1
	v_add_u32_dpp v2, v2, v2 row_bcast:31 row_mask:0xf bank_mask:0xf bound_ctrl:1
	ds_bpermute_b32 v2, v5, v2
	s_and_saveexec_b64 s[2:3], vcc
	s_cbranch_execz .LBB1188_3
; %bb.2:
	v_lshrrev_b32_e32 v5, 4, v0
	v_and_b32_e32 v5, 4, v5
	s_waitcnt lgkmcnt(0)
	ds_write_b32 v5, v2
.LBB1188_3:
	s_or_b64 exec, exec, s[2:3]
	v_cmp_gt_u32_e32 vcc, 64, v0
	s_waitcnt lgkmcnt(0)
	s_barrier
	s_and_saveexec_b64 s[2:3], vcc
	s_cbranch_execz .LBB1188_5
; %bb.4:
	v_and_b32_e32 v2, 1, v3
	v_lshlrev_b32_e32 v2, 2, v2
	ds_read_b32 v2, v2
	v_or_b32_e32 v3, 4, v4
	s_waitcnt lgkmcnt(0)
	ds_bpermute_b32 v3, v3, v2
	s_waitcnt lgkmcnt(0)
	v_add_u32_e32 v2, v3, v2
.LBB1188_5:
	s_or_b64 exec, exec, s[2:3]
	s_load_dword s28, s[4:5], 0x40
	s_branch .LBB1188_28
.LBB1188_6:
                                        ; implicit-def: $vgpr2
	s_load_dword s28, s[4:5], 0x40
	s_cbranch_execz .LBB1188_28
; %bb.7:
	s_sub_i32 s29, s18, s0
	v_cmp_gt_u32_e32 vcc, s29, v0
                                        ; implicit-def: $vgpr2_vgpr3_vgpr4_vgpr5_vgpr6_vgpr7_vgpr8_vgpr9
	s_and_saveexec_b64 s[0:1], vcc
	s_cbranch_execz .LBB1188_9
; %bb.8:
	global_load_dwordx2 v[2:3], v10, s[14:15]
	global_load_dwordx2 v[4:5], v10, s[16:17]
	s_waitcnt vmcnt(0)
	v_cmp_ne_u64_e32 vcc, v[2:3], v[4:5]
	v_cndmask_b32_e64 v2, 0, 1, vcc
.LBB1188_9:
	s_or_b64 exec, exec, s[0:1]
	v_or_b32_e32 v11, 0x80, v0
	v_cmp_gt_u32_e32 vcc, s29, v11
	s_and_saveexec_b64 s[2:3], vcc
	s_cbranch_execz .LBB1188_11
; %bb.10:
	global_load_dwordx2 v[12:13], v10, s[14:15] offset:1024
	global_load_dwordx2 v[14:15], v10, s[16:17] offset:1024
	s_waitcnt vmcnt(0)
	v_cmp_ne_u64_e64 s[0:1], v[12:13], v[14:15]
	v_cndmask_b32_e64 v3, 0, 1, s[0:1]
.LBB1188_11:
	s_or_b64 exec, exec, s[2:3]
	v_or_b32_e32 v11, 0x100, v0
	v_cmp_gt_u32_e64 s[0:1], s29, v11
	s_and_saveexec_b64 s[4:5], s[0:1]
	s_cbranch_execz .LBB1188_13
; %bb.12:
	global_load_dwordx2 v[12:13], v10, s[14:15] offset:2048
	global_load_dwordx2 v[14:15], v10, s[16:17] offset:2048
	s_waitcnt vmcnt(0)
	v_cmp_ne_u64_e64 s[2:3], v[12:13], v[14:15]
	v_cndmask_b32_e64 v4, 0, 1, s[2:3]
.LBB1188_13:
	s_or_b64 exec, exec, s[4:5]
	v_or_b32_e32 v11, 0x180, v0
	v_cmp_gt_u32_e64 s[2:3], s29, v11
	s_and_saveexec_b64 s[8:9], s[2:3]
	;; [unrolled: 12-line block ×3, first 2 shown]
	s_cbranch_execz .LBB1188_17
; %bb.16:
	v_lshlrev_b32_e32 v6, 3, v10
	global_load_dwordx2 v[10:11], v6, s[14:15]
	global_load_dwordx2 v[12:13], v6, s[16:17]
	s_waitcnt vmcnt(0)
	v_cmp_ne_u64_e64 s[8:9], v[10:11], v[12:13]
	v_cndmask_b32_e64 v6, 0, 1, s[8:9]
.LBB1188_17:
	s_or_b64 exec, exec, s[10:11]
	v_or_b32_e32 v10, 0x280, v0
	v_cmp_gt_u32_e64 s[8:9], s29, v10
	s_and_saveexec_b64 s[12:13], s[8:9]
	s_cbranch_execz .LBB1188_19
; %bb.18:
	v_lshlrev_b32_e32 v7, 3, v10
	global_load_dwordx2 v[10:11], v7, s[14:15]
	global_load_dwordx2 v[12:13], v7, s[16:17]
	s_waitcnt vmcnt(0)
	v_cmp_ne_u64_e64 s[10:11], v[10:11], v[12:13]
	v_cndmask_b32_e64 v7, 0, 1, s[10:11]
.LBB1188_19:
	s_or_b64 exec, exec, s[12:13]
	v_or_b32_e32 v10, 0x300, v0
	v_cmp_gt_u32_e64 s[10:11], s29, v10
	s_and_saveexec_b64 s[26:27], s[10:11]
	;; [unrolled: 13-line block ×3, first 2 shown]
	s_cbranch_execz .LBB1188_23
; %bb.22:
	v_lshlrev_b32_e32 v9, 3, v10
	global_load_dwordx2 v[10:11], v9, s[14:15]
	global_load_dwordx2 v[12:13], v9, s[16:17]
	s_waitcnt vmcnt(0)
	v_cmp_ne_u64_e64 s[14:15], v[10:11], v[12:13]
	v_cndmask_b32_e64 v9, 0, 1, s[14:15]
.LBB1188_23:
	s_or_b64 exec, exec, s[26:27]
	v_cndmask_b32_e32 v3, 0, v3, vcc
	v_add_u32_e32 v2, v3, v2
	v_cndmask_b32_e64 v3, 0, v4, s[0:1]
	v_cndmask_b32_e64 v4, 0, v5, s[2:3]
	v_add3_u32 v2, v2, v3, v4
	v_cndmask_b32_e64 v3, 0, v6, s[4:5]
	v_cndmask_b32_e64 v4, 0, v7, s[8:9]
	v_add3_u32 v2, v2, v3, v4
	v_cndmask_b32_e64 v3, 0, v8, s[10:11]
	v_cndmask_b32_e64 v4, 0, v9, s[12:13]
	v_mbcnt_hi_u32_b32 v1, -1, v1
	v_add3_u32 v2, v2, v3, v4
	v_and_b32_e32 v3, 63, v1
	v_cmp_ne_u32_e32 vcc, 63, v3
	v_addc_co_u32_e32 v4, vcc, 0, v1, vcc
	v_lshlrev_b32_e32 v4, 2, v4
	ds_bpermute_b32 v4, v4, v2
	s_min_u32 s2, s29, 0x80
	v_and_b32_e32 v5, 64, v0
	v_sub_u32_e64 v5, s2, v5 clamp
	v_add_u32_e32 v6, 1, v3
	v_cmp_lt_u32_e32 vcc, v6, v5
	s_waitcnt lgkmcnt(0)
	v_cndmask_b32_e32 v4, 0, v4, vcc
	v_cmp_gt_u32_e32 vcc, 62, v3
	v_add_u32_e32 v2, v2, v4
	v_cndmask_b32_e64 v4, 0, 1, vcc
	v_lshlrev_b32_e32 v4, 1, v4
	v_add_lshl_u32 v4, v4, v1, 2
	ds_bpermute_b32 v4, v4, v2
	v_add_u32_e32 v6, 2, v3
	v_cmp_lt_u32_e32 vcc, v6, v5
	v_add_u32_e32 v6, 4, v3
	s_waitcnt lgkmcnt(0)
	v_cndmask_b32_e32 v4, 0, v4, vcc
	v_cmp_gt_u32_e32 vcc, 60, v3
	v_add_u32_e32 v2, v2, v4
	v_cndmask_b32_e64 v4, 0, 1, vcc
	v_lshlrev_b32_e32 v4, 2, v4
	v_add_lshl_u32 v4, v4, v1, 2
	ds_bpermute_b32 v4, v4, v2
	v_cmp_lt_u32_e32 vcc, v6, v5
	v_add_u32_e32 v6, 8, v3
	s_waitcnt lgkmcnt(0)
	v_cndmask_b32_e32 v4, 0, v4, vcc
	v_cmp_gt_u32_e32 vcc, 56, v3
	v_add_u32_e32 v2, v2, v4
	v_cndmask_b32_e64 v4, 0, 1, vcc
	v_lshlrev_b32_e32 v4, 3, v4
	v_add_lshl_u32 v4, v4, v1, 2
	ds_bpermute_b32 v4, v4, v2
	v_cmp_lt_u32_e32 vcc, v6, v5
	v_add_u32_e32 v6, 16, v3
	s_waitcnt lgkmcnt(0)
	v_cndmask_b32_e32 v4, 0, v4, vcc
	v_cmp_gt_u32_e32 vcc, 48, v3
	v_add_u32_e32 v2, v2, v4
	v_cndmask_b32_e64 v4, 0, 1, vcc
	v_lshlrev_b32_e32 v4, 4, v4
	v_add_lshl_u32 v4, v4, v1, 2
	ds_bpermute_b32 v4, v4, v2
	v_cmp_lt_u32_e32 vcc, v6, v5
	s_waitcnt lgkmcnt(0)
	v_cndmask_b32_e32 v4, 0, v4, vcc
	v_cmp_gt_u32_e32 vcc, 32, v3
	v_add_u32_e32 v2, v2, v4
	v_cndmask_b32_e64 v4, 0, 1, vcc
	v_lshlrev_b32_e32 v4, 5, v4
	v_add_lshl_u32 v4, v4, v1, 2
	ds_bpermute_b32 v4, v4, v2
	v_add_u32_e32 v3, 32, v3
	v_cmp_lt_u32_e32 vcc, v3, v5
	s_waitcnt lgkmcnt(0)
	v_cndmask_b32_e32 v3, 0, v4, vcc
	v_add_u32_e32 v2, v2, v3
	v_cmp_eq_u32_e32 vcc, 0, v1
	s_and_saveexec_b64 s[0:1], vcc
	s_cbranch_execz .LBB1188_25
; %bb.24:
	v_lshrrev_b32_e32 v3, 4, v0
	v_and_b32_e32 v3, 4, v3
	ds_write_b32 v3, v2 offset:8
.LBB1188_25:
	s_or_b64 exec, exec, s[0:1]
	v_cmp_gt_u32_e32 vcc, 2, v0
	s_waitcnt lgkmcnt(0)
	s_barrier
	s_and_saveexec_b64 s[0:1], vcc
	s_cbranch_execz .LBB1188_27
; %bb.26:
	v_lshlrev_b32_e32 v2, 2, v1
	ds_read_b32 v3, v2 offset:8
	v_or_b32_e32 v2, 4, v2
	s_add_i32 s2, s2, 63
	v_and_b32_e32 v1, 1, v1
	s_lshr_b32 s2, s2, 6
	s_waitcnt lgkmcnt(0)
	ds_bpermute_b32 v2, v2, v3
	v_add_u32_e32 v1, 1, v1
	v_cmp_gt_u32_e32 vcc, s2, v1
	s_waitcnt lgkmcnt(0)
	v_cndmask_b32_e32 v1, 0, v2, vcc
	v_add_u32_e32 v2, v1, v3
.LBB1188_27:
	s_or_b64 exec, exec, s[0:1]
.LBB1188_28:
	v_cmp_eq_u32_e32 vcc, 0, v0
	s_and_saveexec_b64 s[0:1], vcc
	s_cbranch_execnz .LBB1188_30
; %bb.29:
	s_endpgm
.LBB1188_30:
	s_mul_i32 s0, s24, s23
	s_mul_hi_u32 s1, s24, s22
	s_add_i32 s0, s1, s0
	s_mul_i32 s1, s25, s22
	s_add_i32 s1, s0, s1
	s_mul_i32 s0, s24, s22
	s_lshl_b64 s[0:1], s[0:1], 2
	s_add_u32 s2, s20, s0
	s_addc_u32 s3, s21, s1
	s_cmp_eq_u64 s[18:19], 0
	s_cselect_b64 vcc, -1, 0
	s_lshl_b64 s[0:1], s[6:7], 2
	s_waitcnt lgkmcnt(0)
	v_mov_b32_e32 v0, s28
	s_add_u32 s0, s2, s0
	v_cndmask_b32_e32 v0, v2, v0, vcc
	s_addc_u32 s1, s3, s1
	v_mov_b32_e32 v1, 0
	global_store_dword v1, v0, s[0:1]
	s_endpgm
	.section	.rodata,"a",@progbits
	.p2align	6, 0x0
	.amdhsa_kernel _ZN7rocprim17ROCPRIM_400000_NS6detail17trampoline_kernelINS0_14default_configENS1_22reduce_config_selectorIiEEZNS1_11reduce_implILb1ES3_N6thrust23THRUST_200600_302600_NS11hip_rocprim35transform_pair_of_input_iterators_tIiPlSB_NS8_12not_equal_toIlEEEEPiiNS8_4plusIiEEEE10hipError_tPvRmT1_T2_T3_mT4_P12ihipStream_tbEUlT_E0_NS1_11comp_targetILNS1_3genE4ELNS1_11target_archE910ELNS1_3gpuE8ELNS1_3repE0EEENS1_30default_config_static_selectorELNS0_4arch9wavefront6targetE1EEEvSL_
		.amdhsa_group_segment_fixed_size 16
		.amdhsa_private_segment_fixed_size 0
		.amdhsa_kernarg_size 72
		.amdhsa_user_sgpr_count 6
		.amdhsa_user_sgpr_private_segment_buffer 1
		.amdhsa_user_sgpr_dispatch_ptr 0
		.amdhsa_user_sgpr_queue_ptr 0
		.amdhsa_user_sgpr_kernarg_segment_ptr 1
		.amdhsa_user_sgpr_dispatch_id 0
		.amdhsa_user_sgpr_flat_scratch_init 0
		.amdhsa_user_sgpr_kernarg_preload_length 0
		.amdhsa_user_sgpr_kernarg_preload_offset 0
		.amdhsa_user_sgpr_private_segment_size 0
		.amdhsa_uses_dynamic_stack 0
		.amdhsa_system_sgpr_private_segment_wavefront_offset 0
		.amdhsa_system_sgpr_workgroup_id_x 1
		.amdhsa_system_sgpr_workgroup_id_y 0
		.amdhsa_system_sgpr_workgroup_id_z 0
		.amdhsa_system_sgpr_workgroup_info 0
		.amdhsa_system_vgpr_workitem_id 0
		.amdhsa_next_free_vgpr 40
		.amdhsa_next_free_sgpr 30
		.amdhsa_accum_offset 40
		.amdhsa_reserve_vcc 1
		.amdhsa_reserve_flat_scratch 0
		.amdhsa_float_round_mode_32 0
		.amdhsa_float_round_mode_16_64 0
		.amdhsa_float_denorm_mode_32 3
		.amdhsa_float_denorm_mode_16_64 3
		.amdhsa_dx10_clamp 1
		.amdhsa_ieee_mode 1
		.amdhsa_fp16_overflow 0
		.amdhsa_tg_split 0
		.amdhsa_exception_fp_ieee_invalid_op 0
		.amdhsa_exception_fp_denorm_src 0
		.amdhsa_exception_fp_ieee_div_zero 0
		.amdhsa_exception_fp_ieee_overflow 0
		.amdhsa_exception_fp_ieee_underflow 0
		.amdhsa_exception_fp_ieee_inexact 0
		.amdhsa_exception_int_div_zero 0
	.end_amdhsa_kernel
	.section	.text._ZN7rocprim17ROCPRIM_400000_NS6detail17trampoline_kernelINS0_14default_configENS1_22reduce_config_selectorIiEEZNS1_11reduce_implILb1ES3_N6thrust23THRUST_200600_302600_NS11hip_rocprim35transform_pair_of_input_iterators_tIiPlSB_NS8_12not_equal_toIlEEEEPiiNS8_4plusIiEEEE10hipError_tPvRmT1_T2_T3_mT4_P12ihipStream_tbEUlT_E0_NS1_11comp_targetILNS1_3genE4ELNS1_11target_archE910ELNS1_3gpuE8ELNS1_3repE0EEENS1_30default_config_static_selectorELNS0_4arch9wavefront6targetE1EEEvSL_,"axG",@progbits,_ZN7rocprim17ROCPRIM_400000_NS6detail17trampoline_kernelINS0_14default_configENS1_22reduce_config_selectorIiEEZNS1_11reduce_implILb1ES3_N6thrust23THRUST_200600_302600_NS11hip_rocprim35transform_pair_of_input_iterators_tIiPlSB_NS8_12not_equal_toIlEEEEPiiNS8_4plusIiEEEE10hipError_tPvRmT1_T2_T3_mT4_P12ihipStream_tbEUlT_E0_NS1_11comp_targetILNS1_3genE4ELNS1_11target_archE910ELNS1_3gpuE8ELNS1_3repE0EEENS1_30default_config_static_selectorELNS0_4arch9wavefront6targetE1EEEvSL_,comdat
.Lfunc_end1188:
	.size	_ZN7rocprim17ROCPRIM_400000_NS6detail17trampoline_kernelINS0_14default_configENS1_22reduce_config_selectorIiEEZNS1_11reduce_implILb1ES3_N6thrust23THRUST_200600_302600_NS11hip_rocprim35transform_pair_of_input_iterators_tIiPlSB_NS8_12not_equal_toIlEEEEPiiNS8_4plusIiEEEE10hipError_tPvRmT1_T2_T3_mT4_P12ihipStream_tbEUlT_E0_NS1_11comp_targetILNS1_3genE4ELNS1_11target_archE910ELNS1_3gpuE8ELNS1_3repE0EEENS1_30default_config_static_selectorELNS0_4arch9wavefront6targetE1EEEvSL_, .Lfunc_end1188-_ZN7rocprim17ROCPRIM_400000_NS6detail17trampoline_kernelINS0_14default_configENS1_22reduce_config_selectorIiEEZNS1_11reduce_implILb1ES3_N6thrust23THRUST_200600_302600_NS11hip_rocprim35transform_pair_of_input_iterators_tIiPlSB_NS8_12not_equal_toIlEEEEPiiNS8_4plusIiEEEE10hipError_tPvRmT1_T2_T3_mT4_P12ihipStream_tbEUlT_E0_NS1_11comp_targetILNS1_3genE4ELNS1_11target_archE910ELNS1_3gpuE8ELNS1_3repE0EEENS1_30default_config_static_selectorELNS0_4arch9wavefront6targetE1EEEvSL_
                                        ; -- End function
	.section	.AMDGPU.csdata,"",@progbits
; Kernel info:
; codeLenInByte = 1748
; NumSgprs: 34
; NumVgprs: 40
; NumAgprs: 0
; TotalNumVgprs: 40
; ScratchSize: 0
; MemoryBound: 0
; FloatMode: 240
; IeeeMode: 1
; LDSByteSize: 16 bytes/workgroup (compile time only)
; SGPRBlocks: 4
; VGPRBlocks: 4
; NumSGPRsForWavesPerEU: 34
; NumVGPRsForWavesPerEU: 40
; AccumOffset: 40
; Occupancy: 8
; WaveLimiterHint : 0
; COMPUTE_PGM_RSRC2:SCRATCH_EN: 0
; COMPUTE_PGM_RSRC2:USER_SGPR: 6
; COMPUTE_PGM_RSRC2:TRAP_HANDLER: 0
; COMPUTE_PGM_RSRC2:TGID_X_EN: 1
; COMPUTE_PGM_RSRC2:TGID_Y_EN: 0
; COMPUTE_PGM_RSRC2:TGID_Z_EN: 0
; COMPUTE_PGM_RSRC2:TIDIG_COMP_CNT: 0
; COMPUTE_PGM_RSRC3_GFX90A:ACCUM_OFFSET: 9
; COMPUTE_PGM_RSRC3_GFX90A:TG_SPLIT: 0
	.section	.text._ZN7rocprim17ROCPRIM_400000_NS6detail17trampoline_kernelINS0_14default_configENS1_22reduce_config_selectorIiEEZNS1_11reduce_implILb1ES3_N6thrust23THRUST_200600_302600_NS11hip_rocprim35transform_pair_of_input_iterators_tIiPlSB_NS8_12not_equal_toIlEEEEPiiNS8_4plusIiEEEE10hipError_tPvRmT1_T2_T3_mT4_P12ihipStream_tbEUlT_E0_NS1_11comp_targetILNS1_3genE3ELNS1_11target_archE908ELNS1_3gpuE7ELNS1_3repE0EEENS1_30default_config_static_selectorELNS0_4arch9wavefront6targetE1EEEvSL_,"axG",@progbits,_ZN7rocprim17ROCPRIM_400000_NS6detail17trampoline_kernelINS0_14default_configENS1_22reduce_config_selectorIiEEZNS1_11reduce_implILb1ES3_N6thrust23THRUST_200600_302600_NS11hip_rocprim35transform_pair_of_input_iterators_tIiPlSB_NS8_12not_equal_toIlEEEEPiiNS8_4plusIiEEEE10hipError_tPvRmT1_T2_T3_mT4_P12ihipStream_tbEUlT_E0_NS1_11comp_targetILNS1_3genE3ELNS1_11target_archE908ELNS1_3gpuE7ELNS1_3repE0EEENS1_30default_config_static_selectorELNS0_4arch9wavefront6targetE1EEEvSL_,comdat
	.protected	_ZN7rocprim17ROCPRIM_400000_NS6detail17trampoline_kernelINS0_14default_configENS1_22reduce_config_selectorIiEEZNS1_11reduce_implILb1ES3_N6thrust23THRUST_200600_302600_NS11hip_rocprim35transform_pair_of_input_iterators_tIiPlSB_NS8_12not_equal_toIlEEEEPiiNS8_4plusIiEEEE10hipError_tPvRmT1_T2_T3_mT4_P12ihipStream_tbEUlT_E0_NS1_11comp_targetILNS1_3genE3ELNS1_11target_archE908ELNS1_3gpuE7ELNS1_3repE0EEENS1_30default_config_static_selectorELNS0_4arch9wavefront6targetE1EEEvSL_ ; -- Begin function _ZN7rocprim17ROCPRIM_400000_NS6detail17trampoline_kernelINS0_14default_configENS1_22reduce_config_selectorIiEEZNS1_11reduce_implILb1ES3_N6thrust23THRUST_200600_302600_NS11hip_rocprim35transform_pair_of_input_iterators_tIiPlSB_NS8_12not_equal_toIlEEEEPiiNS8_4plusIiEEEE10hipError_tPvRmT1_T2_T3_mT4_P12ihipStream_tbEUlT_E0_NS1_11comp_targetILNS1_3genE3ELNS1_11target_archE908ELNS1_3gpuE7ELNS1_3repE0EEENS1_30default_config_static_selectorELNS0_4arch9wavefront6targetE1EEEvSL_
	.globl	_ZN7rocprim17ROCPRIM_400000_NS6detail17trampoline_kernelINS0_14default_configENS1_22reduce_config_selectorIiEEZNS1_11reduce_implILb1ES3_N6thrust23THRUST_200600_302600_NS11hip_rocprim35transform_pair_of_input_iterators_tIiPlSB_NS8_12not_equal_toIlEEEEPiiNS8_4plusIiEEEE10hipError_tPvRmT1_T2_T3_mT4_P12ihipStream_tbEUlT_E0_NS1_11comp_targetILNS1_3genE3ELNS1_11target_archE908ELNS1_3gpuE7ELNS1_3repE0EEENS1_30default_config_static_selectorELNS0_4arch9wavefront6targetE1EEEvSL_
	.p2align	8
	.type	_ZN7rocprim17ROCPRIM_400000_NS6detail17trampoline_kernelINS0_14default_configENS1_22reduce_config_selectorIiEEZNS1_11reduce_implILb1ES3_N6thrust23THRUST_200600_302600_NS11hip_rocprim35transform_pair_of_input_iterators_tIiPlSB_NS8_12not_equal_toIlEEEEPiiNS8_4plusIiEEEE10hipError_tPvRmT1_T2_T3_mT4_P12ihipStream_tbEUlT_E0_NS1_11comp_targetILNS1_3genE3ELNS1_11target_archE908ELNS1_3gpuE7ELNS1_3repE0EEENS1_30default_config_static_selectorELNS0_4arch9wavefront6targetE1EEEvSL_,@function
_ZN7rocprim17ROCPRIM_400000_NS6detail17trampoline_kernelINS0_14default_configENS1_22reduce_config_selectorIiEEZNS1_11reduce_implILb1ES3_N6thrust23THRUST_200600_302600_NS11hip_rocprim35transform_pair_of_input_iterators_tIiPlSB_NS8_12not_equal_toIlEEEEPiiNS8_4plusIiEEEE10hipError_tPvRmT1_T2_T3_mT4_P12ihipStream_tbEUlT_E0_NS1_11comp_targetILNS1_3genE3ELNS1_11target_archE908ELNS1_3gpuE7ELNS1_3repE0EEENS1_30default_config_static_selectorELNS0_4arch9wavefront6targetE1EEEvSL_: ; @_ZN7rocprim17ROCPRIM_400000_NS6detail17trampoline_kernelINS0_14default_configENS1_22reduce_config_selectorIiEEZNS1_11reduce_implILb1ES3_N6thrust23THRUST_200600_302600_NS11hip_rocprim35transform_pair_of_input_iterators_tIiPlSB_NS8_12not_equal_toIlEEEEPiiNS8_4plusIiEEEE10hipError_tPvRmT1_T2_T3_mT4_P12ihipStream_tbEUlT_E0_NS1_11comp_targetILNS1_3genE3ELNS1_11target_archE908ELNS1_3gpuE7ELNS1_3repE0EEENS1_30default_config_static_selectorELNS0_4arch9wavefront6targetE1EEEvSL_
; %bb.0:
	.section	.rodata,"a",@progbits
	.p2align	6, 0x0
	.amdhsa_kernel _ZN7rocprim17ROCPRIM_400000_NS6detail17trampoline_kernelINS0_14default_configENS1_22reduce_config_selectorIiEEZNS1_11reduce_implILb1ES3_N6thrust23THRUST_200600_302600_NS11hip_rocprim35transform_pair_of_input_iterators_tIiPlSB_NS8_12not_equal_toIlEEEEPiiNS8_4plusIiEEEE10hipError_tPvRmT1_T2_T3_mT4_P12ihipStream_tbEUlT_E0_NS1_11comp_targetILNS1_3genE3ELNS1_11target_archE908ELNS1_3gpuE7ELNS1_3repE0EEENS1_30default_config_static_selectorELNS0_4arch9wavefront6targetE1EEEvSL_
		.amdhsa_group_segment_fixed_size 0
		.amdhsa_private_segment_fixed_size 0
		.amdhsa_kernarg_size 72
		.amdhsa_user_sgpr_count 6
		.amdhsa_user_sgpr_private_segment_buffer 1
		.amdhsa_user_sgpr_dispatch_ptr 0
		.amdhsa_user_sgpr_queue_ptr 0
		.amdhsa_user_sgpr_kernarg_segment_ptr 1
		.amdhsa_user_sgpr_dispatch_id 0
		.amdhsa_user_sgpr_flat_scratch_init 0
		.amdhsa_user_sgpr_kernarg_preload_length 0
		.amdhsa_user_sgpr_kernarg_preload_offset 0
		.amdhsa_user_sgpr_private_segment_size 0
		.amdhsa_uses_dynamic_stack 0
		.amdhsa_system_sgpr_private_segment_wavefront_offset 0
		.amdhsa_system_sgpr_workgroup_id_x 1
		.amdhsa_system_sgpr_workgroup_id_y 0
		.amdhsa_system_sgpr_workgroup_id_z 0
		.amdhsa_system_sgpr_workgroup_info 0
		.amdhsa_system_vgpr_workitem_id 0
		.amdhsa_next_free_vgpr 1
		.amdhsa_next_free_sgpr 0
		.amdhsa_accum_offset 4
		.amdhsa_reserve_vcc 0
		.amdhsa_reserve_flat_scratch 0
		.amdhsa_float_round_mode_32 0
		.amdhsa_float_round_mode_16_64 0
		.amdhsa_float_denorm_mode_32 3
		.amdhsa_float_denorm_mode_16_64 3
		.amdhsa_dx10_clamp 1
		.amdhsa_ieee_mode 1
		.amdhsa_fp16_overflow 0
		.amdhsa_tg_split 0
		.amdhsa_exception_fp_ieee_invalid_op 0
		.amdhsa_exception_fp_denorm_src 0
		.amdhsa_exception_fp_ieee_div_zero 0
		.amdhsa_exception_fp_ieee_overflow 0
		.amdhsa_exception_fp_ieee_underflow 0
		.amdhsa_exception_fp_ieee_inexact 0
		.amdhsa_exception_int_div_zero 0
	.end_amdhsa_kernel
	.section	.text._ZN7rocprim17ROCPRIM_400000_NS6detail17trampoline_kernelINS0_14default_configENS1_22reduce_config_selectorIiEEZNS1_11reduce_implILb1ES3_N6thrust23THRUST_200600_302600_NS11hip_rocprim35transform_pair_of_input_iterators_tIiPlSB_NS8_12not_equal_toIlEEEEPiiNS8_4plusIiEEEE10hipError_tPvRmT1_T2_T3_mT4_P12ihipStream_tbEUlT_E0_NS1_11comp_targetILNS1_3genE3ELNS1_11target_archE908ELNS1_3gpuE7ELNS1_3repE0EEENS1_30default_config_static_selectorELNS0_4arch9wavefront6targetE1EEEvSL_,"axG",@progbits,_ZN7rocprim17ROCPRIM_400000_NS6detail17trampoline_kernelINS0_14default_configENS1_22reduce_config_selectorIiEEZNS1_11reduce_implILb1ES3_N6thrust23THRUST_200600_302600_NS11hip_rocprim35transform_pair_of_input_iterators_tIiPlSB_NS8_12not_equal_toIlEEEEPiiNS8_4plusIiEEEE10hipError_tPvRmT1_T2_T3_mT4_P12ihipStream_tbEUlT_E0_NS1_11comp_targetILNS1_3genE3ELNS1_11target_archE908ELNS1_3gpuE7ELNS1_3repE0EEENS1_30default_config_static_selectorELNS0_4arch9wavefront6targetE1EEEvSL_,comdat
.Lfunc_end1189:
	.size	_ZN7rocprim17ROCPRIM_400000_NS6detail17trampoline_kernelINS0_14default_configENS1_22reduce_config_selectorIiEEZNS1_11reduce_implILb1ES3_N6thrust23THRUST_200600_302600_NS11hip_rocprim35transform_pair_of_input_iterators_tIiPlSB_NS8_12not_equal_toIlEEEEPiiNS8_4plusIiEEEE10hipError_tPvRmT1_T2_T3_mT4_P12ihipStream_tbEUlT_E0_NS1_11comp_targetILNS1_3genE3ELNS1_11target_archE908ELNS1_3gpuE7ELNS1_3repE0EEENS1_30default_config_static_selectorELNS0_4arch9wavefront6targetE1EEEvSL_, .Lfunc_end1189-_ZN7rocprim17ROCPRIM_400000_NS6detail17trampoline_kernelINS0_14default_configENS1_22reduce_config_selectorIiEEZNS1_11reduce_implILb1ES3_N6thrust23THRUST_200600_302600_NS11hip_rocprim35transform_pair_of_input_iterators_tIiPlSB_NS8_12not_equal_toIlEEEEPiiNS8_4plusIiEEEE10hipError_tPvRmT1_T2_T3_mT4_P12ihipStream_tbEUlT_E0_NS1_11comp_targetILNS1_3genE3ELNS1_11target_archE908ELNS1_3gpuE7ELNS1_3repE0EEENS1_30default_config_static_selectorELNS0_4arch9wavefront6targetE1EEEvSL_
                                        ; -- End function
	.section	.AMDGPU.csdata,"",@progbits
; Kernel info:
; codeLenInByte = 0
; NumSgprs: 4
; NumVgprs: 0
; NumAgprs: 0
; TotalNumVgprs: 0
; ScratchSize: 0
; MemoryBound: 0
; FloatMode: 240
; IeeeMode: 1
; LDSByteSize: 0 bytes/workgroup (compile time only)
; SGPRBlocks: 0
; VGPRBlocks: 0
; NumSGPRsForWavesPerEU: 4
; NumVGPRsForWavesPerEU: 1
; AccumOffset: 4
; Occupancy: 8
; WaveLimiterHint : 0
; COMPUTE_PGM_RSRC2:SCRATCH_EN: 0
; COMPUTE_PGM_RSRC2:USER_SGPR: 6
; COMPUTE_PGM_RSRC2:TRAP_HANDLER: 0
; COMPUTE_PGM_RSRC2:TGID_X_EN: 1
; COMPUTE_PGM_RSRC2:TGID_Y_EN: 0
; COMPUTE_PGM_RSRC2:TGID_Z_EN: 0
; COMPUTE_PGM_RSRC2:TIDIG_COMP_CNT: 0
; COMPUTE_PGM_RSRC3_GFX90A:ACCUM_OFFSET: 0
; COMPUTE_PGM_RSRC3_GFX90A:TG_SPLIT: 0
	.section	.text._ZN7rocprim17ROCPRIM_400000_NS6detail17trampoline_kernelINS0_14default_configENS1_22reduce_config_selectorIiEEZNS1_11reduce_implILb1ES3_N6thrust23THRUST_200600_302600_NS11hip_rocprim35transform_pair_of_input_iterators_tIiPlSB_NS8_12not_equal_toIlEEEEPiiNS8_4plusIiEEEE10hipError_tPvRmT1_T2_T3_mT4_P12ihipStream_tbEUlT_E0_NS1_11comp_targetILNS1_3genE2ELNS1_11target_archE906ELNS1_3gpuE6ELNS1_3repE0EEENS1_30default_config_static_selectorELNS0_4arch9wavefront6targetE1EEEvSL_,"axG",@progbits,_ZN7rocprim17ROCPRIM_400000_NS6detail17trampoline_kernelINS0_14default_configENS1_22reduce_config_selectorIiEEZNS1_11reduce_implILb1ES3_N6thrust23THRUST_200600_302600_NS11hip_rocprim35transform_pair_of_input_iterators_tIiPlSB_NS8_12not_equal_toIlEEEEPiiNS8_4plusIiEEEE10hipError_tPvRmT1_T2_T3_mT4_P12ihipStream_tbEUlT_E0_NS1_11comp_targetILNS1_3genE2ELNS1_11target_archE906ELNS1_3gpuE6ELNS1_3repE0EEENS1_30default_config_static_selectorELNS0_4arch9wavefront6targetE1EEEvSL_,comdat
	.protected	_ZN7rocprim17ROCPRIM_400000_NS6detail17trampoline_kernelINS0_14default_configENS1_22reduce_config_selectorIiEEZNS1_11reduce_implILb1ES3_N6thrust23THRUST_200600_302600_NS11hip_rocprim35transform_pair_of_input_iterators_tIiPlSB_NS8_12not_equal_toIlEEEEPiiNS8_4plusIiEEEE10hipError_tPvRmT1_T2_T3_mT4_P12ihipStream_tbEUlT_E0_NS1_11comp_targetILNS1_3genE2ELNS1_11target_archE906ELNS1_3gpuE6ELNS1_3repE0EEENS1_30default_config_static_selectorELNS0_4arch9wavefront6targetE1EEEvSL_ ; -- Begin function _ZN7rocprim17ROCPRIM_400000_NS6detail17trampoline_kernelINS0_14default_configENS1_22reduce_config_selectorIiEEZNS1_11reduce_implILb1ES3_N6thrust23THRUST_200600_302600_NS11hip_rocprim35transform_pair_of_input_iterators_tIiPlSB_NS8_12not_equal_toIlEEEEPiiNS8_4plusIiEEEE10hipError_tPvRmT1_T2_T3_mT4_P12ihipStream_tbEUlT_E0_NS1_11comp_targetILNS1_3genE2ELNS1_11target_archE906ELNS1_3gpuE6ELNS1_3repE0EEENS1_30default_config_static_selectorELNS0_4arch9wavefront6targetE1EEEvSL_
	.globl	_ZN7rocprim17ROCPRIM_400000_NS6detail17trampoline_kernelINS0_14default_configENS1_22reduce_config_selectorIiEEZNS1_11reduce_implILb1ES3_N6thrust23THRUST_200600_302600_NS11hip_rocprim35transform_pair_of_input_iterators_tIiPlSB_NS8_12not_equal_toIlEEEEPiiNS8_4plusIiEEEE10hipError_tPvRmT1_T2_T3_mT4_P12ihipStream_tbEUlT_E0_NS1_11comp_targetILNS1_3genE2ELNS1_11target_archE906ELNS1_3gpuE6ELNS1_3repE0EEENS1_30default_config_static_selectorELNS0_4arch9wavefront6targetE1EEEvSL_
	.p2align	8
	.type	_ZN7rocprim17ROCPRIM_400000_NS6detail17trampoline_kernelINS0_14default_configENS1_22reduce_config_selectorIiEEZNS1_11reduce_implILb1ES3_N6thrust23THRUST_200600_302600_NS11hip_rocprim35transform_pair_of_input_iterators_tIiPlSB_NS8_12not_equal_toIlEEEEPiiNS8_4plusIiEEEE10hipError_tPvRmT1_T2_T3_mT4_P12ihipStream_tbEUlT_E0_NS1_11comp_targetILNS1_3genE2ELNS1_11target_archE906ELNS1_3gpuE6ELNS1_3repE0EEENS1_30default_config_static_selectorELNS0_4arch9wavefront6targetE1EEEvSL_,@function
_ZN7rocprim17ROCPRIM_400000_NS6detail17trampoline_kernelINS0_14default_configENS1_22reduce_config_selectorIiEEZNS1_11reduce_implILb1ES3_N6thrust23THRUST_200600_302600_NS11hip_rocprim35transform_pair_of_input_iterators_tIiPlSB_NS8_12not_equal_toIlEEEEPiiNS8_4plusIiEEEE10hipError_tPvRmT1_T2_T3_mT4_P12ihipStream_tbEUlT_E0_NS1_11comp_targetILNS1_3genE2ELNS1_11target_archE906ELNS1_3gpuE6ELNS1_3repE0EEENS1_30default_config_static_selectorELNS0_4arch9wavefront6targetE1EEEvSL_: ; @_ZN7rocprim17ROCPRIM_400000_NS6detail17trampoline_kernelINS0_14default_configENS1_22reduce_config_selectorIiEEZNS1_11reduce_implILb1ES3_N6thrust23THRUST_200600_302600_NS11hip_rocprim35transform_pair_of_input_iterators_tIiPlSB_NS8_12not_equal_toIlEEEEPiiNS8_4plusIiEEEE10hipError_tPvRmT1_T2_T3_mT4_P12ihipStream_tbEUlT_E0_NS1_11comp_targetILNS1_3genE2ELNS1_11target_archE906ELNS1_3gpuE6ELNS1_3repE0EEENS1_30default_config_static_selectorELNS0_4arch9wavefront6targetE1EEEvSL_
; %bb.0:
	.section	.rodata,"a",@progbits
	.p2align	6, 0x0
	.amdhsa_kernel _ZN7rocprim17ROCPRIM_400000_NS6detail17trampoline_kernelINS0_14default_configENS1_22reduce_config_selectorIiEEZNS1_11reduce_implILb1ES3_N6thrust23THRUST_200600_302600_NS11hip_rocprim35transform_pair_of_input_iterators_tIiPlSB_NS8_12not_equal_toIlEEEEPiiNS8_4plusIiEEEE10hipError_tPvRmT1_T2_T3_mT4_P12ihipStream_tbEUlT_E0_NS1_11comp_targetILNS1_3genE2ELNS1_11target_archE906ELNS1_3gpuE6ELNS1_3repE0EEENS1_30default_config_static_selectorELNS0_4arch9wavefront6targetE1EEEvSL_
		.amdhsa_group_segment_fixed_size 0
		.amdhsa_private_segment_fixed_size 0
		.amdhsa_kernarg_size 72
		.amdhsa_user_sgpr_count 6
		.amdhsa_user_sgpr_private_segment_buffer 1
		.amdhsa_user_sgpr_dispatch_ptr 0
		.amdhsa_user_sgpr_queue_ptr 0
		.amdhsa_user_sgpr_kernarg_segment_ptr 1
		.amdhsa_user_sgpr_dispatch_id 0
		.amdhsa_user_sgpr_flat_scratch_init 0
		.amdhsa_user_sgpr_kernarg_preload_length 0
		.amdhsa_user_sgpr_kernarg_preload_offset 0
		.amdhsa_user_sgpr_private_segment_size 0
		.amdhsa_uses_dynamic_stack 0
		.amdhsa_system_sgpr_private_segment_wavefront_offset 0
		.amdhsa_system_sgpr_workgroup_id_x 1
		.amdhsa_system_sgpr_workgroup_id_y 0
		.amdhsa_system_sgpr_workgroup_id_z 0
		.amdhsa_system_sgpr_workgroup_info 0
		.amdhsa_system_vgpr_workitem_id 0
		.amdhsa_next_free_vgpr 1
		.amdhsa_next_free_sgpr 0
		.amdhsa_accum_offset 4
		.amdhsa_reserve_vcc 0
		.amdhsa_reserve_flat_scratch 0
		.amdhsa_float_round_mode_32 0
		.amdhsa_float_round_mode_16_64 0
		.amdhsa_float_denorm_mode_32 3
		.amdhsa_float_denorm_mode_16_64 3
		.amdhsa_dx10_clamp 1
		.amdhsa_ieee_mode 1
		.amdhsa_fp16_overflow 0
		.amdhsa_tg_split 0
		.amdhsa_exception_fp_ieee_invalid_op 0
		.amdhsa_exception_fp_denorm_src 0
		.amdhsa_exception_fp_ieee_div_zero 0
		.amdhsa_exception_fp_ieee_overflow 0
		.amdhsa_exception_fp_ieee_underflow 0
		.amdhsa_exception_fp_ieee_inexact 0
		.amdhsa_exception_int_div_zero 0
	.end_amdhsa_kernel
	.section	.text._ZN7rocprim17ROCPRIM_400000_NS6detail17trampoline_kernelINS0_14default_configENS1_22reduce_config_selectorIiEEZNS1_11reduce_implILb1ES3_N6thrust23THRUST_200600_302600_NS11hip_rocprim35transform_pair_of_input_iterators_tIiPlSB_NS8_12not_equal_toIlEEEEPiiNS8_4plusIiEEEE10hipError_tPvRmT1_T2_T3_mT4_P12ihipStream_tbEUlT_E0_NS1_11comp_targetILNS1_3genE2ELNS1_11target_archE906ELNS1_3gpuE6ELNS1_3repE0EEENS1_30default_config_static_selectorELNS0_4arch9wavefront6targetE1EEEvSL_,"axG",@progbits,_ZN7rocprim17ROCPRIM_400000_NS6detail17trampoline_kernelINS0_14default_configENS1_22reduce_config_selectorIiEEZNS1_11reduce_implILb1ES3_N6thrust23THRUST_200600_302600_NS11hip_rocprim35transform_pair_of_input_iterators_tIiPlSB_NS8_12not_equal_toIlEEEEPiiNS8_4plusIiEEEE10hipError_tPvRmT1_T2_T3_mT4_P12ihipStream_tbEUlT_E0_NS1_11comp_targetILNS1_3genE2ELNS1_11target_archE906ELNS1_3gpuE6ELNS1_3repE0EEENS1_30default_config_static_selectorELNS0_4arch9wavefront6targetE1EEEvSL_,comdat
.Lfunc_end1190:
	.size	_ZN7rocprim17ROCPRIM_400000_NS6detail17trampoline_kernelINS0_14default_configENS1_22reduce_config_selectorIiEEZNS1_11reduce_implILb1ES3_N6thrust23THRUST_200600_302600_NS11hip_rocprim35transform_pair_of_input_iterators_tIiPlSB_NS8_12not_equal_toIlEEEEPiiNS8_4plusIiEEEE10hipError_tPvRmT1_T2_T3_mT4_P12ihipStream_tbEUlT_E0_NS1_11comp_targetILNS1_3genE2ELNS1_11target_archE906ELNS1_3gpuE6ELNS1_3repE0EEENS1_30default_config_static_selectorELNS0_4arch9wavefront6targetE1EEEvSL_, .Lfunc_end1190-_ZN7rocprim17ROCPRIM_400000_NS6detail17trampoline_kernelINS0_14default_configENS1_22reduce_config_selectorIiEEZNS1_11reduce_implILb1ES3_N6thrust23THRUST_200600_302600_NS11hip_rocprim35transform_pair_of_input_iterators_tIiPlSB_NS8_12not_equal_toIlEEEEPiiNS8_4plusIiEEEE10hipError_tPvRmT1_T2_T3_mT4_P12ihipStream_tbEUlT_E0_NS1_11comp_targetILNS1_3genE2ELNS1_11target_archE906ELNS1_3gpuE6ELNS1_3repE0EEENS1_30default_config_static_selectorELNS0_4arch9wavefront6targetE1EEEvSL_
                                        ; -- End function
	.section	.AMDGPU.csdata,"",@progbits
; Kernel info:
; codeLenInByte = 0
; NumSgprs: 4
; NumVgprs: 0
; NumAgprs: 0
; TotalNumVgprs: 0
; ScratchSize: 0
; MemoryBound: 0
; FloatMode: 240
; IeeeMode: 1
; LDSByteSize: 0 bytes/workgroup (compile time only)
; SGPRBlocks: 0
; VGPRBlocks: 0
; NumSGPRsForWavesPerEU: 4
; NumVGPRsForWavesPerEU: 1
; AccumOffset: 4
; Occupancy: 8
; WaveLimiterHint : 0
; COMPUTE_PGM_RSRC2:SCRATCH_EN: 0
; COMPUTE_PGM_RSRC2:USER_SGPR: 6
; COMPUTE_PGM_RSRC2:TRAP_HANDLER: 0
; COMPUTE_PGM_RSRC2:TGID_X_EN: 1
; COMPUTE_PGM_RSRC2:TGID_Y_EN: 0
; COMPUTE_PGM_RSRC2:TGID_Z_EN: 0
; COMPUTE_PGM_RSRC2:TIDIG_COMP_CNT: 0
; COMPUTE_PGM_RSRC3_GFX90A:ACCUM_OFFSET: 0
; COMPUTE_PGM_RSRC3_GFX90A:TG_SPLIT: 0
	.section	.text._ZN7rocprim17ROCPRIM_400000_NS6detail17trampoline_kernelINS0_14default_configENS1_22reduce_config_selectorIiEEZNS1_11reduce_implILb1ES3_N6thrust23THRUST_200600_302600_NS11hip_rocprim35transform_pair_of_input_iterators_tIiPlSB_NS8_12not_equal_toIlEEEEPiiNS8_4plusIiEEEE10hipError_tPvRmT1_T2_T3_mT4_P12ihipStream_tbEUlT_E0_NS1_11comp_targetILNS1_3genE10ELNS1_11target_archE1201ELNS1_3gpuE5ELNS1_3repE0EEENS1_30default_config_static_selectorELNS0_4arch9wavefront6targetE1EEEvSL_,"axG",@progbits,_ZN7rocprim17ROCPRIM_400000_NS6detail17trampoline_kernelINS0_14default_configENS1_22reduce_config_selectorIiEEZNS1_11reduce_implILb1ES3_N6thrust23THRUST_200600_302600_NS11hip_rocprim35transform_pair_of_input_iterators_tIiPlSB_NS8_12not_equal_toIlEEEEPiiNS8_4plusIiEEEE10hipError_tPvRmT1_T2_T3_mT4_P12ihipStream_tbEUlT_E0_NS1_11comp_targetILNS1_3genE10ELNS1_11target_archE1201ELNS1_3gpuE5ELNS1_3repE0EEENS1_30default_config_static_selectorELNS0_4arch9wavefront6targetE1EEEvSL_,comdat
	.protected	_ZN7rocprim17ROCPRIM_400000_NS6detail17trampoline_kernelINS0_14default_configENS1_22reduce_config_selectorIiEEZNS1_11reduce_implILb1ES3_N6thrust23THRUST_200600_302600_NS11hip_rocprim35transform_pair_of_input_iterators_tIiPlSB_NS8_12not_equal_toIlEEEEPiiNS8_4plusIiEEEE10hipError_tPvRmT1_T2_T3_mT4_P12ihipStream_tbEUlT_E0_NS1_11comp_targetILNS1_3genE10ELNS1_11target_archE1201ELNS1_3gpuE5ELNS1_3repE0EEENS1_30default_config_static_selectorELNS0_4arch9wavefront6targetE1EEEvSL_ ; -- Begin function _ZN7rocprim17ROCPRIM_400000_NS6detail17trampoline_kernelINS0_14default_configENS1_22reduce_config_selectorIiEEZNS1_11reduce_implILb1ES3_N6thrust23THRUST_200600_302600_NS11hip_rocprim35transform_pair_of_input_iterators_tIiPlSB_NS8_12not_equal_toIlEEEEPiiNS8_4plusIiEEEE10hipError_tPvRmT1_T2_T3_mT4_P12ihipStream_tbEUlT_E0_NS1_11comp_targetILNS1_3genE10ELNS1_11target_archE1201ELNS1_3gpuE5ELNS1_3repE0EEENS1_30default_config_static_selectorELNS0_4arch9wavefront6targetE1EEEvSL_
	.globl	_ZN7rocprim17ROCPRIM_400000_NS6detail17trampoline_kernelINS0_14default_configENS1_22reduce_config_selectorIiEEZNS1_11reduce_implILb1ES3_N6thrust23THRUST_200600_302600_NS11hip_rocprim35transform_pair_of_input_iterators_tIiPlSB_NS8_12not_equal_toIlEEEEPiiNS8_4plusIiEEEE10hipError_tPvRmT1_T2_T3_mT4_P12ihipStream_tbEUlT_E0_NS1_11comp_targetILNS1_3genE10ELNS1_11target_archE1201ELNS1_3gpuE5ELNS1_3repE0EEENS1_30default_config_static_selectorELNS0_4arch9wavefront6targetE1EEEvSL_
	.p2align	8
	.type	_ZN7rocprim17ROCPRIM_400000_NS6detail17trampoline_kernelINS0_14default_configENS1_22reduce_config_selectorIiEEZNS1_11reduce_implILb1ES3_N6thrust23THRUST_200600_302600_NS11hip_rocprim35transform_pair_of_input_iterators_tIiPlSB_NS8_12not_equal_toIlEEEEPiiNS8_4plusIiEEEE10hipError_tPvRmT1_T2_T3_mT4_P12ihipStream_tbEUlT_E0_NS1_11comp_targetILNS1_3genE10ELNS1_11target_archE1201ELNS1_3gpuE5ELNS1_3repE0EEENS1_30default_config_static_selectorELNS0_4arch9wavefront6targetE1EEEvSL_,@function
_ZN7rocprim17ROCPRIM_400000_NS6detail17trampoline_kernelINS0_14default_configENS1_22reduce_config_selectorIiEEZNS1_11reduce_implILb1ES3_N6thrust23THRUST_200600_302600_NS11hip_rocprim35transform_pair_of_input_iterators_tIiPlSB_NS8_12not_equal_toIlEEEEPiiNS8_4plusIiEEEE10hipError_tPvRmT1_T2_T3_mT4_P12ihipStream_tbEUlT_E0_NS1_11comp_targetILNS1_3genE10ELNS1_11target_archE1201ELNS1_3gpuE5ELNS1_3repE0EEENS1_30default_config_static_selectorELNS0_4arch9wavefront6targetE1EEEvSL_: ; @_ZN7rocprim17ROCPRIM_400000_NS6detail17trampoline_kernelINS0_14default_configENS1_22reduce_config_selectorIiEEZNS1_11reduce_implILb1ES3_N6thrust23THRUST_200600_302600_NS11hip_rocprim35transform_pair_of_input_iterators_tIiPlSB_NS8_12not_equal_toIlEEEEPiiNS8_4plusIiEEEE10hipError_tPvRmT1_T2_T3_mT4_P12ihipStream_tbEUlT_E0_NS1_11comp_targetILNS1_3genE10ELNS1_11target_archE1201ELNS1_3gpuE5ELNS1_3repE0EEENS1_30default_config_static_selectorELNS0_4arch9wavefront6targetE1EEEvSL_
; %bb.0:
	.section	.rodata,"a",@progbits
	.p2align	6, 0x0
	.amdhsa_kernel _ZN7rocprim17ROCPRIM_400000_NS6detail17trampoline_kernelINS0_14default_configENS1_22reduce_config_selectorIiEEZNS1_11reduce_implILb1ES3_N6thrust23THRUST_200600_302600_NS11hip_rocprim35transform_pair_of_input_iterators_tIiPlSB_NS8_12not_equal_toIlEEEEPiiNS8_4plusIiEEEE10hipError_tPvRmT1_T2_T3_mT4_P12ihipStream_tbEUlT_E0_NS1_11comp_targetILNS1_3genE10ELNS1_11target_archE1201ELNS1_3gpuE5ELNS1_3repE0EEENS1_30default_config_static_selectorELNS0_4arch9wavefront6targetE1EEEvSL_
		.amdhsa_group_segment_fixed_size 0
		.amdhsa_private_segment_fixed_size 0
		.amdhsa_kernarg_size 72
		.amdhsa_user_sgpr_count 6
		.amdhsa_user_sgpr_private_segment_buffer 1
		.amdhsa_user_sgpr_dispatch_ptr 0
		.amdhsa_user_sgpr_queue_ptr 0
		.amdhsa_user_sgpr_kernarg_segment_ptr 1
		.amdhsa_user_sgpr_dispatch_id 0
		.amdhsa_user_sgpr_flat_scratch_init 0
		.amdhsa_user_sgpr_kernarg_preload_length 0
		.amdhsa_user_sgpr_kernarg_preload_offset 0
		.amdhsa_user_sgpr_private_segment_size 0
		.amdhsa_uses_dynamic_stack 0
		.amdhsa_system_sgpr_private_segment_wavefront_offset 0
		.amdhsa_system_sgpr_workgroup_id_x 1
		.amdhsa_system_sgpr_workgroup_id_y 0
		.amdhsa_system_sgpr_workgroup_id_z 0
		.amdhsa_system_sgpr_workgroup_info 0
		.amdhsa_system_vgpr_workitem_id 0
		.amdhsa_next_free_vgpr 1
		.amdhsa_next_free_sgpr 0
		.amdhsa_accum_offset 4
		.amdhsa_reserve_vcc 0
		.amdhsa_reserve_flat_scratch 0
		.amdhsa_float_round_mode_32 0
		.amdhsa_float_round_mode_16_64 0
		.amdhsa_float_denorm_mode_32 3
		.amdhsa_float_denorm_mode_16_64 3
		.amdhsa_dx10_clamp 1
		.amdhsa_ieee_mode 1
		.amdhsa_fp16_overflow 0
		.amdhsa_tg_split 0
		.amdhsa_exception_fp_ieee_invalid_op 0
		.amdhsa_exception_fp_denorm_src 0
		.amdhsa_exception_fp_ieee_div_zero 0
		.amdhsa_exception_fp_ieee_overflow 0
		.amdhsa_exception_fp_ieee_underflow 0
		.amdhsa_exception_fp_ieee_inexact 0
		.amdhsa_exception_int_div_zero 0
	.end_amdhsa_kernel
	.section	.text._ZN7rocprim17ROCPRIM_400000_NS6detail17trampoline_kernelINS0_14default_configENS1_22reduce_config_selectorIiEEZNS1_11reduce_implILb1ES3_N6thrust23THRUST_200600_302600_NS11hip_rocprim35transform_pair_of_input_iterators_tIiPlSB_NS8_12not_equal_toIlEEEEPiiNS8_4plusIiEEEE10hipError_tPvRmT1_T2_T3_mT4_P12ihipStream_tbEUlT_E0_NS1_11comp_targetILNS1_3genE10ELNS1_11target_archE1201ELNS1_3gpuE5ELNS1_3repE0EEENS1_30default_config_static_selectorELNS0_4arch9wavefront6targetE1EEEvSL_,"axG",@progbits,_ZN7rocprim17ROCPRIM_400000_NS6detail17trampoline_kernelINS0_14default_configENS1_22reduce_config_selectorIiEEZNS1_11reduce_implILb1ES3_N6thrust23THRUST_200600_302600_NS11hip_rocprim35transform_pair_of_input_iterators_tIiPlSB_NS8_12not_equal_toIlEEEEPiiNS8_4plusIiEEEE10hipError_tPvRmT1_T2_T3_mT4_P12ihipStream_tbEUlT_E0_NS1_11comp_targetILNS1_3genE10ELNS1_11target_archE1201ELNS1_3gpuE5ELNS1_3repE0EEENS1_30default_config_static_selectorELNS0_4arch9wavefront6targetE1EEEvSL_,comdat
.Lfunc_end1191:
	.size	_ZN7rocprim17ROCPRIM_400000_NS6detail17trampoline_kernelINS0_14default_configENS1_22reduce_config_selectorIiEEZNS1_11reduce_implILb1ES3_N6thrust23THRUST_200600_302600_NS11hip_rocprim35transform_pair_of_input_iterators_tIiPlSB_NS8_12not_equal_toIlEEEEPiiNS8_4plusIiEEEE10hipError_tPvRmT1_T2_T3_mT4_P12ihipStream_tbEUlT_E0_NS1_11comp_targetILNS1_3genE10ELNS1_11target_archE1201ELNS1_3gpuE5ELNS1_3repE0EEENS1_30default_config_static_selectorELNS0_4arch9wavefront6targetE1EEEvSL_, .Lfunc_end1191-_ZN7rocprim17ROCPRIM_400000_NS6detail17trampoline_kernelINS0_14default_configENS1_22reduce_config_selectorIiEEZNS1_11reduce_implILb1ES3_N6thrust23THRUST_200600_302600_NS11hip_rocprim35transform_pair_of_input_iterators_tIiPlSB_NS8_12not_equal_toIlEEEEPiiNS8_4plusIiEEEE10hipError_tPvRmT1_T2_T3_mT4_P12ihipStream_tbEUlT_E0_NS1_11comp_targetILNS1_3genE10ELNS1_11target_archE1201ELNS1_3gpuE5ELNS1_3repE0EEENS1_30default_config_static_selectorELNS0_4arch9wavefront6targetE1EEEvSL_
                                        ; -- End function
	.section	.AMDGPU.csdata,"",@progbits
; Kernel info:
; codeLenInByte = 0
; NumSgprs: 4
; NumVgprs: 0
; NumAgprs: 0
; TotalNumVgprs: 0
; ScratchSize: 0
; MemoryBound: 0
; FloatMode: 240
; IeeeMode: 1
; LDSByteSize: 0 bytes/workgroup (compile time only)
; SGPRBlocks: 0
; VGPRBlocks: 0
; NumSGPRsForWavesPerEU: 4
; NumVGPRsForWavesPerEU: 1
; AccumOffset: 4
; Occupancy: 8
; WaveLimiterHint : 0
; COMPUTE_PGM_RSRC2:SCRATCH_EN: 0
; COMPUTE_PGM_RSRC2:USER_SGPR: 6
; COMPUTE_PGM_RSRC2:TRAP_HANDLER: 0
; COMPUTE_PGM_RSRC2:TGID_X_EN: 1
; COMPUTE_PGM_RSRC2:TGID_Y_EN: 0
; COMPUTE_PGM_RSRC2:TGID_Z_EN: 0
; COMPUTE_PGM_RSRC2:TIDIG_COMP_CNT: 0
; COMPUTE_PGM_RSRC3_GFX90A:ACCUM_OFFSET: 0
; COMPUTE_PGM_RSRC3_GFX90A:TG_SPLIT: 0
	.section	.text._ZN7rocprim17ROCPRIM_400000_NS6detail17trampoline_kernelINS0_14default_configENS1_22reduce_config_selectorIiEEZNS1_11reduce_implILb1ES3_N6thrust23THRUST_200600_302600_NS11hip_rocprim35transform_pair_of_input_iterators_tIiPlSB_NS8_12not_equal_toIlEEEEPiiNS8_4plusIiEEEE10hipError_tPvRmT1_T2_T3_mT4_P12ihipStream_tbEUlT_E0_NS1_11comp_targetILNS1_3genE10ELNS1_11target_archE1200ELNS1_3gpuE4ELNS1_3repE0EEENS1_30default_config_static_selectorELNS0_4arch9wavefront6targetE1EEEvSL_,"axG",@progbits,_ZN7rocprim17ROCPRIM_400000_NS6detail17trampoline_kernelINS0_14default_configENS1_22reduce_config_selectorIiEEZNS1_11reduce_implILb1ES3_N6thrust23THRUST_200600_302600_NS11hip_rocprim35transform_pair_of_input_iterators_tIiPlSB_NS8_12not_equal_toIlEEEEPiiNS8_4plusIiEEEE10hipError_tPvRmT1_T2_T3_mT4_P12ihipStream_tbEUlT_E0_NS1_11comp_targetILNS1_3genE10ELNS1_11target_archE1200ELNS1_3gpuE4ELNS1_3repE0EEENS1_30default_config_static_selectorELNS0_4arch9wavefront6targetE1EEEvSL_,comdat
	.protected	_ZN7rocprim17ROCPRIM_400000_NS6detail17trampoline_kernelINS0_14default_configENS1_22reduce_config_selectorIiEEZNS1_11reduce_implILb1ES3_N6thrust23THRUST_200600_302600_NS11hip_rocprim35transform_pair_of_input_iterators_tIiPlSB_NS8_12not_equal_toIlEEEEPiiNS8_4plusIiEEEE10hipError_tPvRmT1_T2_T3_mT4_P12ihipStream_tbEUlT_E0_NS1_11comp_targetILNS1_3genE10ELNS1_11target_archE1200ELNS1_3gpuE4ELNS1_3repE0EEENS1_30default_config_static_selectorELNS0_4arch9wavefront6targetE1EEEvSL_ ; -- Begin function _ZN7rocprim17ROCPRIM_400000_NS6detail17trampoline_kernelINS0_14default_configENS1_22reduce_config_selectorIiEEZNS1_11reduce_implILb1ES3_N6thrust23THRUST_200600_302600_NS11hip_rocprim35transform_pair_of_input_iterators_tIiPlSB_NS8_12not_equal_toIlEEEEPiiNS8_4plusIiEEEE10hipError_tPvRmT1_T2_T3_mT4_P12ihipStream_tbEUlT_E0_NS1_11comp_targetILNS1_3genE10ELNS1_11target_archE1200ELNS1_3gpuE4ELNS1_3repE0EEENS1_30default_config_static_selectorELNS0_4arch9wavefront6targetE1EEEvSL_
	.globl	_ZN7rocprim17ROCPRIM_400000_NS6detail17trampoline_kernelINS0_14default_configENS1_22reduce_config_selectorIiEEZNS1_11reduce_implILb1ES3_N6thrust23THRUST_200600_302600_NS11hip_rocprim35transform_pair_of_input_iterators_tIiPlSB_NS8_12not_equal_toIlEEEEPiiNS8_4plusIiEEEE10hipError_tPvRmT1_T2_T3_mT4_P12ihipStream_tbEUlT_E0_NS1_11comp_targetILNS1_3genE10ELNS1_11target_archE1200ELNS1_3gpuE4ELNS1_3repE0EEENS1_30default_config_static_selectorELNS0_4arch9wavefront6targetE1EEEvSL_
	.p2align	8
	.type	_ZN7rocprim17ROCPRIM_400000_NS6detail17trampoline_kernelINS0_14default_configENS1_22reduce_config_selectorIiEEZNS1_11reduce_implILb1ES3_N6thrust23THRUST_200600_302600_NS11hip_rocprim35transform_pair_of_input_iterators_tIiPlSB_NS8_12not_equal_toIlEEEEPiiNS8_4plusIiEEEE10hipError_tPvRmT1_T2_T3_mT4_P12ihipStream_tbEUlT_E0_NS1_11comp_targetILNS1_3genE10ELNS1_11target_archE1200ELNS1_3gpuE4ELNS1_3repE0EEENS1_30default_config_static_selectorELNS0_4arch9wavefront6targetE1EEEvSL_,@function
_ZN7rocprim17ROCPRIM_400000_NS6detail17trampoline_kernelINS0_14default_configENS1_22reduce_config_selectorIiEEZNS1_11reduce_implILb1ES3_N6thrust23THRUST_200600_302600_NS11hip_rocprim35transform_pair_of_input_iterators_tIiPlSB_NS8_12not_equal_toIlEEEEPiiNS8_4plusIiEEEE10hipError_tPvRmT1_T2_T3_mT4_P12ihipStream_tbEUlT_E0_NS1_11comp_targetILNS1_3genE10ELNS1_11target_archE1200ELNS1_3gpuE4ELNS1_3repE0EEENS1_30default_config_static_selectorELNS0_4arch9wavefront6targetE1EEEvSL_: ; @_ZN7rocprim17ROCPRIM_400000_NS6detail17trampoline_kernelINS0_14default_configENS1_22reduce_config_selectorIiEEZNS1_11reduce_implILb1ES3_N6thrust23THRUST_200600_302600_NS11hip_rocprim35transform_pair_of_input_iterators_tIiPlSB_NS8_12not_equal_toIlEEEEPiiNS8_4plusIiEEEE10hipError_tPvRmT1_T2_T3_mT4_P12ihipStream_tbEUlT_E0_NS1_11comp_targetILNS1_3genE10ELNS1_11target_archE1200ELNS1_3gpuE4ELNS1_3repE0EEENS1_30default_config_static_selectorELNS0_4arch9wavefront6targetE1EEEvSL_
; %bb.0:
	.section	.rodata,"a",@progbits
	.p2align	6, 0x0
	.amdhsa_kernel _ZN7rocprim17ROCPRIM_400000_NS6detail17trampoline_kernelINS0_14default_configENS1_22reduce_config_selectorIiEEZNS1_11reduce_implILb1ES3_N6thrust23THRUST_200600_302600_NS11hip_rocprim35transform_pair_of_input_iterators_tIiPlSB_NS8_12not_equal_toIlEEEEPiiNS8_4plusIiEEEE10hipError_tPvRmT1_T2_T3_mT4_P12ihipStream_tbEUlT_E0_NS1_11comp_targetILNS1_3genE10ELNS1_11target_archE1200ELNS1_3gpuE4ELNS1_3repE0EEENS1_30default_config_static_selectorELNS0_4arch9wavefront6targetE1EEEvSL_
		.amdhsa_group_segment_fixed_size 0
		.amdhsa_private_segment_fixed_size 0
		.amdhsa_kernarg_size 72
		.amdhsa_user_sgpr_count 6
		.amdhsa_user_sgpr_private_segment_buffer 1
		.amdhsa_user_sgpr_dispatch_ptr 0
		.amdhsa_user_sgpr_queue_ptr 0
		.amdhsa_user_sgpr_kernarg_segment_ptr 1
		.amdhsa_user_sgpr_dispatch_id 0
		.amdhsa_user_sgpr_flat_scratch_init 0
		.amdhsa_user_sgpr_kernarg_preload_length 0
		.amdhsa_user_sgpr_kernarg_preload_offset 0
		.amdhsa_user_sgpr_private_segment_size 0
		.amdhsa_uses_dynamic_stack 0
		.amdhsa_system_sgpr_private_segment_wavefront_offset 0
		.amdhsa_system_sgpr_workgroup_id_x 1
		.amdhsa_system_sgpr_workgroup_id_y 0
		.amdhsa_system_sgpr_workgroup_id_z 0
		.amdhsa_system_sgpr_workgroup_info 0
		.amdhsa_system_vgpr_workitem_id 0
		.amdhsa_next_free_vgpr 1
		.amdhsa_next_free_sgpr 0
		.amdhsa_accum_offset 4
		.amdhsa_reserve_vcc 0
		.amdhsa_reserve_flat_scratch 0
		.amdhsa_float_round_mode_32 0
		.amdhsa_float_round_mode_16_64 0
		.amdhsa_float_denorm_mode_32 3
		.amdhsa_float_denorm_mode_16_64 3
		.amdhsa_dx10_clamp 1
		.amdhsa_ieee_mode 1
		.amdhsa_fp16_overflow 0
		.amdhsa_tg_split 0
		.amdhsa_exception_fp_ieee_invalid_op 0
		.amdhsa_exception_fp_denorm_src 0
		.amdhsa_exception_fp_ieee_div_zero 0
		.amdhsa_exception_fp_ieee_overflow 0
		.amdhsa_exception_fp_ieee_underflow 0
		.amdhsa_exception_fp_ieee_inexact 0
		.amdhsa_exception_int_div_zero 0
	.end_amdhsa_kernel
	.section	.text._ZN7rocprim17ROCPRIM_400000_NS6detail17trampoline_kernelINS0_14default_configENS1_22reduce_config_selectorIiEEZNS1_11reduce_implILb1ES3_N6thrust23THRUST_200600_302600_NS11hip_rocprim35transform_pair_of_input_iterators_tIiPlSB_NS8_12not_equal_toIlEEEEPiiNS8_4plusIiEEEE10hipError_tPvRmT1_T2_T3_mT4_P12ihipStream_tbEUlT_E0_NS1_11comp_targetILNS1_3genE10ELNS1_11target_archE1200ELNS1_3gpuE4ELNS1_3repE0EEENS1_30default_config_static_selectorELNS0_4arch9wavefront6targetE1EEEvSL_,"axG",@progbits,_ZN7rocprim17ROCPRIM_400000_NS6detail17trampoline_kernelINS0_14default_configENS1_22reduce_config_selectorIiEEZNS1_11reduce_implILb1ES3_N6thrust23THRUST_200600_302600_NS11hip_rocprim35transform_pair_of_input_iterators_tIiPlSB_NS8_12not_equal_toIlEEEEPiiNS8_4plusIiEEEE10hipError_tPvRmT1_T2_T3_mT4_P12ihipStream_tbEUlT_E0_NS1_11comp_targetILNS1_3genE10ELNS1_11target_archE1200ELNS1_3gpuE4ELNS1_3repE0EEENS1_30default_config_static_selectorELNS0_4arch9wavefront6targetE1EEEvSL_,comdat
.Lfunc_end1192:
	.size	_ZN7rocprim17ROCPRIM_400000_NS6detail17trampoline_kernelINS0_14default_configENS1_22reduce_config_selectorIiEEZNS1_11reduce_implILb1ES3_N6thrust23THRUST_200600_302600_NS11hip_rocprim35transform_pair_of_input_iterators_tIiPlSB_NS8_12not_equal_toIlEEEEPiiNS8_4plusIiEEEE10hipError_tPvRmT1_T2_T3_mT4_P12ihipStream_tbEUlT_E0_NS1_11comp_targetILNS1_3genE10ELNS1_11target_archE1200ELNS1_3gpuE4ELNS1_3repE0EEENS1_30default_config_static_selectorELNS0_4arch9wavefront6targetE1EEEvSL_, .Lfunc_end1192-_ZN7rocprim17ROCPRIM_400000_NS6detail17trampoline_kernelINS0_14default_configENS1_22reduce_config_selectorIiEEZNS1_11reduce_implILb1ES3_N6thrust23THRUST_200600_302600_NS11hip_rocprim35transform_pair_of_input_iterators_tIiPlSB_NS8_12not_equal_toIlEEEEPiiNS8_4plusIiEEEE10hipError_tPvRmT1_T2_T3_mT4_P12ihipStream_tbEUlT_E0_NS1_11comp_targetILNS1_3genE10ELNS1_11target_archE1200ELNS1_3gpuE4ELNS1_3repE0EEENS1_30default_config_static_selectorELNS0_4arch9wavefront6targetE1EEEvSL_
                                        ; -- End function
	.section	.AMDGPU.csdata,"",@progbits
; Kernel info:
; codeLenInByte = 0
; NumSgprs: 4
; NumVgprs: 0
; NumAgprs: 0
; TotalNumVgprs: 0
; ScratchSize: 0
; MemoryBound: 0
; FloatMode: 240
; IeeeMode: 1
; LDSByteSize: 0 bytes/workgroup (compile time only)
; SGPRBlocks: 0
; VGPRBlocks: 0
; NumSGPRsForWavesPerEU: 4
; NumVGPRsForWavesPerEU: 1
; AccumOffset: 4
; Occupancy: 8
; WaveLimiterHint : 0
; COMPUTE_PGM_RSRC2:SCRATCH_EN: 0
; COMPUTE_PGM_RSRC2:USER_SGPR: 6
; COMPUTE_PGM_RSRC2:TRAP_HANDLER: 0
; COMPUTE_PGM_RSRC2:TGID_X_EN: 1
; COMPUTE_PGM_RSRC2:TGID_Y_EN: 0
; COMPUTE_PGM_RSRC2:TGID_Z_EN: 0
; COMPUTE_PGM_RSRC2:TIDIG_COMP_CNT: 0
; COMPUTE_PGM_RSRC3_GFX90A:ACCUM_OFFSET: 0
; COMPUTE_PGM_RSRC3_GFX90A:TG_SPLIT: 0
	.section	.text._ZN7rocprim17ROCPRIM_400000_NS6detail17trampoline_kernelINS0_14default_configENS1_22reduce_config_selectorIiEEZNS1_11reduce_implILb1ES3_N6thrust23THRUST_200600_302600_NS11hip_rocprim35transform_pair_of_input_iterators_tIiPlSB_NS8_12not_equal_toIlEEEEPiiNS8_4plusIiEEEE10hipError_tPvRmT1_T2_T3_mT4_P12ihipStream_tbEUlT_E0_NS1_11comp_targetILNS1_3genE9ELNS1_11target_archE1100ELNS1_3gpuE3ELNS1_3repE0EEENS1_30default_config_static_selectorELNS0_4arch9wavefront6targetE1EEEvSL_,"axG",@progbits,_ZN7rocprim17ROCPRIM_400000_NS6detail17trampoline_kernelINS0_14default_configENS1_22reduce_config_selectorIiEEZNS1_11reduce_implILb1ES3_N6thrust23THRUST_200600_302600_NS11hip_rocprim35transform_pair_of_input_iterators_tIiPlSB_NS8_12not_equal_toIlEEEEPiiNS8_4plusIiEEEE10hipError_tPvRmT1_T2_T3_mT4_P12ihipStream_tbEUlT_E0_NS1_11comp_targetILNS1_3genE9ELNS1_11target_archE1100ELNS1_3gpuE3ELNS1_3repE0EEENS1_30default_config_static_selectorELNS0_4arch9wavefront6targetE1EEEvSL_,comdat
	.protected	_ZN7rocprim17ROCPRIM_400000_NS6detail17trampoline_kernelINS0_14default_configENS1_22reduce_config_selectorIiEEZNS1_11reduce_implILb1ES3_N6thrust23THRUST_200600_302600_NS11hip_rocprim35transform_pair_of_input_iterators_tIiPlSB_NS8_12not_equal_toIlEEEEPiiNS8_4plusIiEEEE10hipError_tPvRmT1_T2_T3_mT4_P12ihipStream_tbEUlT_E0_NS1_11comp_targetILNS1_3genE9ELNS1_11target_archE1100ELNS1_3gpuE3ELNS1_3repE0EEENS1_30default_config_static_selectorELNS0_4arch9wavefront6targetE1EEEvSL_ ; -- Begin function _ZN7rocprim17ROCPRIM_400000_NS6detail17trampoline_kernelINS0_14default_configENS1_22reduce_config_selectorIiEEZNS1_11reduce_implILb1ES3_N6thrust23THRUST_200600_302600_NS11hip_rocprim35transform_pair_of_input_iterators_tIiPlSB_NS8_12not_equal_toIlEEEEPiiNS8_4plusIiEEEE10hipError_tPvRmT1_T2_T3_mT4_P12ihipStream_tbEUlT_E0_NS1_11comp_targetILNS1_3genE9ELNS1_11target_archE1100ELNS1_3gpuE3ELNS1_3repE0EEENS1_30default_config_static_selectorELNS0_4arch9wavefront6targetE1EEEvSL_
	.globl	_ZN7rocprim17ROCPRIM_400000_NS6detail17trampoline_kernelINS0_14default_configENS1_22reduce_config_selectorIiEEZNS1_11reduce_implILb1ES3_N6thrust23THRUST_200600_302600_NS11hip_rocprim35transform_pair_of_input_iterators_tIiPlSB_NS8_12not_equal_toIlEEEEPiiNS8_4plusIiEEEE10hipError_tPvRmT1_T2_T3_mT4_P12ihipStream_tbEUlT_E0_NS1_11comp_targetILNS1_3genE9ELNS1_11target_archE1100ELNS1_3gpuE3ELNS1_3repE0EEENS1_30default_config_static_selectorELNS0_4arch9wavefront6targetE1EEEvSL_
	.p2align	8
	.type	_ZN7rocprim17ROCPRIM_400000_NS6detail17trampoline_kernelINS0_14default_configENS1_22reduce_config_selectorIiEEZNS1_11reduce_implILb1ES3_N6thrust23THRUST_200600_302600_NS11hip_rocprim35transform_pair_of_input_iterators_tIiPlSB_NS8_12not_equal_toIlEEEEPiiNS8_4plusIiEEEE10hipError_tPvRmT1_T2_T3_mT4_P12ihipStream_tbEUlT_E0_NS1_11comp_targetILNS1_3genE9ELNS1_11target_archE1100ELNS1_3gpuE3ELNS1_3repE0EEENS1_30default_config_static_selectorELNS0_4arch9wavefront6targetE1EEEvSL_,@function
_ZN7rocprim17ROCPRIM_400000_NS6detail17trampoline_kernelINS0_14default_configENS1_22reduce_config_selectorIiEEZNS1_11reduce_implILb1ES3_N6thrust23THRUST_200600_302600_NS11hip_rocprim35transform_pair_of_input_iterators_tIiPlSB_NS8_12not_equal_toIlEEEEPiiNS8_4plusIiEEEE10hipError_tPvRmT1_T2_T3_mT4_P12ihipStream_tbEUlT_E0_NS1_11comp_targetILNS1_3genE9ELNS1_11target_archE1100ELNS1_3gpuE3ELNS1_3repE0EEENS1_30default_config_static_selectorELNS0_4arch9wavefront6targetE1EEEvSL_: ; @_ZN7rocprim17ROCPRIM_400000_NS6detail17trampoline_kernelINS0_14default_configENS1_22reduce_config_selectorIiEEZNS1_11reduce_implILb1ES3_N6thrust23THRUST_200600_302600_NS11hip_rocprim35transform_pair_of_input_iterators_tIiPlSB_NS8_12not_equal_toIlEEEEPiiNS8_4plusIiEEEE10hipError_tPvRmT1_T2_T3_mT4_P12ihipStream_tbEUlT_E0_NS1_11comp_targetILNS1_3genE9ELNS1_11target_archE1100ELNS1_3gpuE3ELNS1_3repE0EEENS1_30default_config_static_selectorELNS0_4arch9wavefront6targetE1EEEvSL_
; %bb.0:
	.section	.rodata,"a",@progbits
	.p2align	6, 0x0
	.amdhsa_kernel _ZN7rocprim17ROCPRIM_400000_NS6detail17trampoline_kernelINS0_14default_configENS1_22reduce_config_selectorIiEEZNS1_11reduce_implILb1ES3_N6thrust23THRUST_200600_302600_NS11hip_rocprim35transform_pair_of_input_iterators_tIiPlSB_NS8_12not_equal_toIlEEEEPiiNS8_4plusIiEEEE10hipError_tPvRmT1_T2_T3_mT4_P12ihipStream_tbEUlT_E0_NS1_11comp_targetILNS1_3genE9ELNS1_11target_archE1100ELNS1_3gpuE3ELNS1_3repE0EEENS1_30default_config_static_selectorELNS0_4arch9wavefront6targetE1EEEvSL_
		.amdhsa_group_segment_fixed_size 0
		.amdhsa_private_segment_fixed_size 0
		.amdhsa_kernarg_size 72
		.amdhsa_user_sgpr_count 6
		.amdhsa_user_sgpr_private_segment_buffer 1
		.amdhsa_user_sgpr_dispatch_ptr 0
		.amdhsa_user_sgpr_queue_ptr 0
		.amdhsa_user_sgpr_kernarg_segment_ptr 1
		.amdhsa_user_sgpr_dispatch_id 0
		.amdhsa_user_sgpr_flat_scratch_init 0
		.amdhsa_user_sgpr_kernarg_preload_length 0
		.amdhsa_user_sgpr_kernarg_preload_offset 0
		.amdhsa_user_sgpr_private_segment_size 0
		.amdhsa_uses_dynamic_stack 0
		.amdhsa_system_sgpr_private_segment_wavefront_offset 0
		.amdhsa_system_sgpr_workgroup_id_x 1
		.amdhsa_system_sgpr_workgroup_id_y 0
		.amdhsa_system_sgpr_workgroup_id_z 0
		.amdhsa_system_sgpr_workgroup_info 0
		.amdhsa_system_vgpr_workitem_id 0
		.amdhsa_next_free_vgpr 1
		.amdhsa_next_free_sgpr 0
		.amdhsa_accum_offset 4
		.amdhsa_reserve_vcc 0
		.amdhsa_reserve_flat_scratch 0
		.amdhsa_float_round_mode_32 0
		.amdhsa_float_round_mode_16_64 0
		.amdhsa_float_denorm_mode_32 3
		.amdhsa_float_denorm_mode_16_64 3
		.amdhsa_dx10_clamp 1
		.amdhsa_ieee_mode 1
		.amdhsa_fp16_overflow 0
		.amdhsa_tg_split 0
		.amdhsa_exception_fp_ieee_invalid_op 0
		.amdhsa_exception_fp_denorm_src 0
		.amdhsa_exception_fp_ieee_div_zero 0
		.amdhsa_exception_fp_ieee_overflow 0
		.amdhsa_exception_fp_ieee_underflow 0
		.amdhsa_exception_fp_ieee_inexact 0
		.amdhsa_exception_int_div_zero 0
	.end_amdhsa_kernel
	.section	.text._ZN7rocprim17ROCPRIM_400000_NS6detail17trampoline_kernelINS0_14default_configENS1_22reduce_config_selectorIiEEZNS1_11reduce_implILb1ES3_N6thrust23THRUST_200600_302600_NS11hip_rocprim35transform_pair_of_input_iterators_tIiPlSB_NS8_12not_equal_toIlEEEEPiiNS8_4plusIiEEEE10hipError_tPvRmT1_T2_T3_mT4_P12ihipStream_tbEUlT_E0_NS1_11comp_targetILNS1_3genE9ELNS1_11target_archE1100ELNS1_3gpuE3ELNS1_3repE0EEENS1_30default_config_static_selectorELNS0_4arch9wavefront6targetE1EEEvSL_,"axG",@progbits,_ZN7rocprim17ROCPRIM_400000_NS6detail17trampoline_kernelINS0_14default_configENS1_22reduce_config_selectorIiEEZNS1_11reduce_implILb1ES3_N6thrust23THRUST_200600_302600_NS11hip_rocprim35transform_pair_of_input_iterators_tIiPlSB_NS8_12not_equal_toIlEEEEPiiNS8_4plusIiEEEE10hipError_tPvRmT1_T2_T3_mT4_P12ihipStream_tbEUlT_E0_NS1_11comp_targetILNS1_3genE9ELNS1_11target_archE1100ELNS1_3gpuE3ELNS1_3repE0EEENS1_30default_config_static_selectorELNS0_4arch9wavefront6targetE1EEEvSL_,comdat
.Lfunc_end1193:
	.size	_ZN7rocprim17ROCPRIM_400000_NS6detail17trampoline_kernelINS0_14default_configENS1_22reduce_config_selectorIiEEZNS1_11reduce_implILb1ES3_N6thrust23THRUST_200600_302600_NS11hip_rocprim35transform_pair_of_input_iterators_tIiPlSB_NS8_12not_equal_toIlEEEEPiiNS8_4plusIiEEEE10hipError_tPvRmT1_T2_T3_mT4_P12ihipStream_tbEUlT_E0_NS1_11comp_targetILNS1_3genE9ELNS1_11target_archE1100ELNS1_3gpuE3ELNS1_3repE0EEENS1_30default_config_static_selectorELNS0_4arch9wavefront6targetE1EEEvSL_, .Lfunc_end1193-_ZN7rocprim17ROCPRIM_400000_NS6detail17trampoline_kernelINS0_14default_configENS1_22reduce_config_selectorIiEEZNS1_11reduce_implILb1ES3_N6thrust23THRUST_200600_302600_NS11hip_rocprim35transform_pair_of_input_iterators_tIiPlSB_NS8_12not_equal_toIlEEEEPiiNS8_4plusIiEEEE10hipError_tPvRmT1_T2_T3_mT4_P12ihipStream_tbEUlT_E0_NS1_11comp_targetILNS1_3genE9ELNS1_11target_archE1100ELNS1_3gpuE3ELNS1_3repE0EEENS1_30default_config_static_selectorELNS0_4arch9wavefront6targetE1EEEvSL_
                                        ; -- End function
	.section	.AMDGPU.csdata,"",@progbits
; Kernel info:
; codeLenInByte = 0
; NumSgprs: 4
; NumVgprs: 0
; NumAgprs: 0
; TotalNumVgprs: 0
; ScratchSize: 0
; MemoryBound: 0
; FloatMode: 240
; IeeeMode: 1
; LDSByteSize: 0 bytes/workgroup (compile time only)
; SGPRBlocks: 0
; VGPRBlocks: 0
; NumSGPRsForWavesPerEU: 4
; NumVGPRsForWavesPerEU: 1
; AccumOffset: 4
; Occupancy: 8
; WaveLimiterHint : 0
; COMPUTE_PGM_RSRC2:SCRATCH_EN: 0
; COMPUTE_PGM_RSRC2:USER_SGPR: 6
; COMPUTE_PGM_RSRC2:TRAP_HANDLER: 0
; COMPUTE_PGM_RSRC2:TGID_X_EN: 1
; COMPUTE_PGM_RSRC2:TGID_Y_EN: 0
; COMPUTE_PGM_RSRC2:TGID_Z_EN: 0
; COMPUTE_PGM_RSRC2:TIDIG_COMP_CNT: 0
; COMPUTE_PGM_RSRC3_GFX90A:ACCUM_OFFSET: 0
; COMPUTE_PGM_RSRC3_GFX90A:TG_SPLIT: 0
	.section	.text._ZN7rocprim17ROCPRIM_400000_NS6detail17trampoline_kernelINS0_14default_configENS1_22reduce_config_selectorIiEEZNS1_11reduce_implILb1ES3_N6thrust23THRUST_200600_302600_NS11hip_rocprim35transform_pair_of_input_iterators_tIiPlSB_NS8_12not_equal_toIlEEEEPiiNS8_4plusIiEEEE10hipError_tPvRmT1_T2_T3_mT4_P12ihipStream_tbEUlT_E0_NS1_11comp_targetILNS1_3genE8ELNS1_11target_archE1030ELNS1_3gpuE2ELNS1_3repE0EEENS1_30default_config_static_selectorELNS0_4arch9wavefront6targetE1EEEvSL_,"axG",@progbits,_ZN7rocprim17ROCPRIM_400000_NS6detail17trampoline_kernelINS0_14default_configENS1_22reduce_config_selectorIiEEZNS1_11reduce_implILb1ES3_N6thrust23THRUST_200600_302600_NS11hip_rocprim35transform_pair_of_input_iterators_tIiPlSB_NS8_12not_equal_toIlEEEEPiiNS8_4plusIiEEEE10hipError_tPvRmT1_T2_T3_mT4_P12ihipStream_tbEUlT_E0_NS1_11comp_targetILNS1_3genE8ELNS1_11target_archE1030ELNS1_3gpuE2ELNS1_3repE0EEENS1_30default_config_static_selectorELNS0_4arch9wavefront6targetE1EEEvSL_,comdat
	.protected	_ZN7rocprim17ROCPRIM_400000_NS6detail17trampoline_kernelINS0_14default_configENS1_22reduce_config_selectorIiEEZNS1_11reduce_implILb1ES3_N6thrust23THRUST_200600_302600_NS11hip_rocprim35transform_pair_of_input_iterators_tIiPlSB_NS8_12not_equal_toIlEEEEPiiNS8_4plusIiEEEE10hipError_tPvRmT1_T2_T3_mT4_P12ihipStream_tbEUlT_E0_NS1_11comp_targetILNS1_3genE8ELNS1_11target_archE1030ELNS1_3gpuE2ELNS1_3repE0EEENS1_30default_config_static_selectorELNS0_4arch9wavefront6targetE1EEEvSL_ ; -- Begin function _ZN7rocprim17ROCPRIM_400000_NS6detail17trampoline_kernelINS0_14default_configENS1_22reduce_config_selectorIiEEZNS1_11reduce_implILb1ES3_N6thrust23THRUST_200600_302600_NS11hip_rocprim35transform_pair_of_input_iterators_tIiPlSB_NS8_12not_equal_toIlEEEEPiiNS8_4plusIiEEEE10hipError_tPvRmT1_T2_T3_mT4_P12ihipStream_tbEUlT_E0_NS1_11comp_targetILNS1_3genE8ELNS1_11target_archE1030ELNS1_3gpuE2ELNS1_3repE0EEENS1_30default_config_static_selectorELNS0_4arch9wavefront6targetE1EEEvSL_
	.globl	_ZN7rocprim17ROCPRIM_400000_NS6detail17trampoline_kernelINS0_14default_configENS1_22reduce_config_selectorIiEEZNS1_11reduce_implILb1ES3_N6thrust23THRUST_200600_302600_NS11hip_rocprim35transform_pair_of_input_iterators_tIiPlSB_NS8_12not_equal_toIlEEEEPiiNS8_4plusIiEEEE10hipError_tPvRmT1_T2_T3_mT4_P12ihipStream_tbEUlT_E0_NS1_11comp_targetILNS1_3genE8ELNS1_11target_archE1030ELNS1_3gpuE2ELNS1_3repE0EEENS1_30default_config_static_selectorELNS0_4arch9wavefront6targetE1EEEvSL_
	.p2align	8
	.type	_ZN7rocprim17ROCPRIM_400000_NS6detail17trampoline_kernelINS0_14default_configENS1_22reduce_config_selectorIiEEZNS1_11reduce_implILb1ES3_N6thrust23THRUST_200600_302600_NS11hip_rocprim35transform_pair_of_input_iterators_tIiPlSB_NS8_12not_equal_toIlEEEEPiiNS8_4plusIiEEEE10hipError_tPvRmT1_T2_T3_mT4_P12ihipStream_tbEUlT_E0_NS1_11comp_targetILNS1_3genE8ELNS1_11target_archE1030ELNS1_3gpuE2ELNS1_3repE0EEENS1_30default_config_static_selectorELNS0_4arch9wavefront6targetE1EEEvSL_,@function
_ZN7rocprim17ROCPRIM_400000_NS6detail17trampoline_kernelINS0_14default_configENS1_22reduce_config_selectorIiEEZNS1_11reduce_implILb1ES3_N6thrust23THRUST_200600_302600_NS11hip_rocprim35transform_pair_of_input_iterators_tIiPlSB_NS8_12not_equal_toIlEEEEPiiNS8_4plusIiEEEE10hipError_tPvRmT1_T2_T3_mT4_P12ihipStream_tbEUlT_E0_NS1_11comp_targetILNS1_3genE8ELNS1_11target_archE1030ELNS1_3gpuE2ELNS1_3repE0EEENS1_30default_config_static_selectorELNS0_4arch9wavefront6targetE1EEEvSL_: ; @_ZN7rocprim17ROCPRIM_400000_NS6detail17trampoline_kernelINS0_14default_configENS1_22reduce_config_selectorIiEEZNS1_11reduce_implILb1ES3_N6thrust23THRUST_200600_302600_NS11hip_rocprim35transform_pair_of_input_iterators_tIiPlSB_NS8_12not_equal_toIlEEEEPiiNS8_4plusIiEEEE10hipError_tPvRmT1_T2_T3_mT4_P12ihipStream_tbEUlT_E0_NS1_11comp_targetILNS1_3genE8ELNS1_11target_archE1030ELNS1_3gpuE2ELNS1_3repE0EEENS1_30default_config_static_selectorELNS0_4arch9wavefront6targetE1EEEvSL_
; %bb.0:
	.section	.rodata,"a",@progbits
	.p2align	6, 0x0
	.amdhsa_kernel _ZN7rocprim17ROCPRIM_400000_NS6detail17trampoline_kernelINS0_14default_configENS1_22reduce_config_selectorIiEEZNS1_11reduce_implILb1ES3_N6thrust23THRUST_200600_302600_NS11hip_rocprim35transform_pair_of_input_iterators_tIiPlSB_NS8_12not_equal_toIlEEEEPiiNS8_4plusIiEEEE10hipError_tPvRmT1_T2_T3_mT4_P12ihipStream_tbEUlT_E0_NS1_11comp_targetILNS1_3genE8ELNS1_11target_archE1030ELNS1_3gpuE2ELNS1_3repE0EEENS1_30default_config_static_selectorELNS0_4arch9wavefront6targetE1EEEvSL_
		.amdhsa_group_segment_fixed_size 0
		.amdhsa_private_segment_fixed_size 0
		.amdhsa_kernarg_size 72
		.amdhsa_user_sgpr_count 6
		.amdhsa_user_sgpr_private_segment_buffer 1
		.amdhsa_user_sgpr_dispatch_ptr 0
		.amdhsa_user_sgpr_queue_ptr 0
		.amdhsa_user_sgpr_kernarg_segment_ptr 1
		.amdhsa_user_sgpr_dispatch_id 0
		.amdhsa_user_sgpr_flat_scratch_init 0
		.amdhsa_user_sgpr_kernarg_preload_length 0
		.amdhsa_user_sgpr_kernarg_preload_offset 0
		.amdhsa_user_sgpr_private_segment_size 0
		.amdhsa_uses_dynamic_stack 0
		.amdhsa_system_sgpr_private_segment_wavefront_offset 0
		.amdhsa_system_sgpr_workgroup_id_x 1
		.amdhsa_system_sgpr_workgroup_id_y 0
		.amdhsa_system_sgpr_workgroup_id_z 0
		.amdhsa_system_sgpr_workgroup_info 0
		.amdhsa_system_vgpr_workitem_id 0
		.amdhsa_next_free_vgpr 1
		.amdhsa_next_free_sgpr 0
		.amdhsa_accum_offset 4
		.amdhsa_reserve_vcc 0
		.amdhsa_reserve_flat_scratch 0
		.amdhsa_float_round_mode_32 0
		.amdhsa_float_round_mode_16_64 0
		.amdhsa_float_denorm_mode_32 3
		.amdhsa_float_denorm_mode_16_64 3
		.amdhsa_dx10_clamp 1
		.amdhsa_ieee_mode 1
		.amdhsa_fp16_overflow 0
		.amdhsa_tg_split 0
		.amdhsa_exception_fp_ieee_invalid_op 0
		.amdhsa_exception_fp_denorm_src 0
		.amdhsa_exception_fp_ieee_div_zero 0
		.amdhsa_exception_fp_ieee_overflow 0
		.amdhsa_exception_fp_ieee_underflow 0
		.amdhsa_exception_fp_ieee_inexact 0
		.amdhsa_exception_int_div_zero 0
	.end_amdhsa_kernel
	.section	.text._ZN7rocprim17ROCPRIM_400000_NS6detail17trampoline_kernelINS0_14default_configENS1_22reduce_config_selectorIiEEZNS1_11reduce_implILb1ES3_N6thrust23THRUST_200600_302600_NS11hip_rocprim35transform_pair_of_input_iterators_tIiPlSB_NS8_12not_equal_toIlEEEEPiiNS8_4plusIiEEEE10hipError_tPvRmT1_T2_T3_mT4_P12ihipStream_tbEUlT_E0_NS1_11comp_targetILNS1_3genE8ELNS1_11target_archE1030ELNS1_3gpuE2ELNS1_3repE0EEENS1_30default_config_static_selectorELNS0_4arch9wavefront6targetE1EEEvSL_,"axG",@progbits,_ZN7rocprim17ROCPRIM_400000_NS6detail17trampoline_kernelINS0_14default_configENS1_22reduce_config_selectorIiEEZNS1_11reduce_implILb1ES3_N6thrust23THRUST_200600_302600_NS11hip_rocprim35transform_pair_of_input_iterators_tIiPlSB_NS8_12not_equal_toIlEEEEPiiNS8_4plusIiEEEE10hipError_tPvRmT1_T2_T3_mT4_P12ihipStream_tbEUlT_E0_NS1_11comp_targetILNS1_3genE8ELNS1_11target_archE1030ELNS1_3gpuE2ELNS1_3repE0EEENS1_30default_config_static_selectorELNS0_4arch9wavefront6targetE1EEEvSL_,comdat
.Lfunc_end1194:
	.size	_ZN7rocprim17ROCPRIM_400000_NS6detail17trampoline_kernelINS0_14default_configENS1_22reduce_config_selectorIiEEZNS1_11reduce_implILb1ES3_N6thrust23THRUST_200600_302600_NS11hip_rocprim35transform_pair_of_input_iterators_tIiPlSB_NS8_12not_equal_toIlEEEEPiiNS8_4plusIiEEEE10hipError_tPvRmT1_T2_T3_mT4_P12ihipStream_tbEUlT_E0_NS1_11comp_targetILNS1_3genE8ELNS1_11target_archE1030ELNS1_3gpuE2ELNS1_3repE0EEENS1_30default_config_static_selectorELNS0_4arch9wavefront6targetE1EEEvSL_, .Lfunc_end1194-_ZN7rocprim17ROCPRIM_400000_NS6detail17trampoline_kernelINS0_14default_configENS1_22reduce_config_selectorIiEEZNS1_11reduce_implILb1ES3_N6thrust23THRUST_200600_302600_NS11hip_rocprim35transform_pair_of_input_iterators_tIiPlSB_NS8_12not_equal_toIlEEEEPiiNS8_4plusIiEEEE10hipError_tPvRmT1_T2_T3_mT4_P12ihipStream_tbEUlT_E0_NS1_11comp_targetILNS1_3genE8ELNS1_11target_archE1030ELNS1_3gpuE2ELNS1_3repE0EEENS1_30default_config_static_selectorELNS0_4arch9wavefront6targetE1EEEvSL_
                                        ; -- End function
	.section	.AMDGPU.csdata,"",@progbits
; Kernel info:
; codeLenInByte = 0
; NumSgprs: 4
; NumVgprs: 0
; NumAgprs: 0
; TotalNumVgprs: 0
; ScratchSize: 0
; MemoryBound: 0
; FloatMode: 240
; IeeeMode: 1
; LDSByteSize: 0 bytes/workgroup (compile time only)
; SGPRBlocks: 0
; VGPRBlocks: 0
; NumSGPRsForWavesPerEU: 4
; NumVGPRsForWavesPerEU: 1
; AccumOffset: 4
; Occupancy: 8
; WaveLimiterHint : 0
; COMPUTE_PGM_RSRC2:SCRATCH_EN: 0
; COMPUTE_PGM_RSRC2:USER_SGPR: 6
; COMPUTE_PGM_RSRC2:TRAP_HANDLER: 0
; COMPUTE_PGM_RSRC2:TGID_X_EN: 1
; COMPUTE_PGM_RSRC2:TGID_Y_EN: 0
; COMPUTE_PGM_RSRC2:TGID_Z_EN: 0
; COMPUTE_PGM_RSRC2:TIDIG_COMP_CNT: 0
; COMPUTE_PGM_RSRC3_GFX90A:ACCUM_OFFSET: 0
; COMPUTE_PGM_RSRC3_GFX90A:TG_SPLIT: 0
	.section	.text._ZN7rocprim17ROCPRIM_400000_NS6detail17trampoline_kernelINS0_14default_configENS1_22reduce_config_selectorIiEEZNS1_11reduce_implILb1ES3_N6thrust23THRUST_200600_302600_NS11hip_rocprim35transform_pair_of_input_iterators_tIiPlSB_NS8_12not_equal_toIlEEEEPiiNS8_4plusIiEEEE10hipError_tPvRmT1_T2_T3_mT4_P12ihipStream_tbEUlT_E1_NS1_11comp_targetILNS1_3genE0ELNS1_11target_archE4294967295ELNS1_3gpuE0ELNS1_3repE0EEENS1_30default_config_static_selectorELNS0_4arch9wavefront6targetE1EEEvSL_,"axG",@progbits,_ZN7rocprim17ROCPRIM_400000_NS6detail17trampoline_kernelINS0_14default_configENS1_22reduce_config_selectorIiEEZNS1_11reduce_implILb1ES3_N6thrust23THRUST_200600_302600_NS11hip_rocprim35transform_pair_of_input_iterators_tIiPlSB_NS8_12not_equal_toIlEEEEPiiNS8_4plusIiEEEE10hipError_tPvRmT1_T2_T3_mT4_P12ihipStream_tbEUlT_E1_NS1_11comp_targetILNS1_3genE0ELNS1_11target_archE4294967295ELNS1_3gpuE0ELNS1_3repE0EEENS1_30default_config_static_selectorELNS0_4arch9wavefront6targetE1EEEvSL_,comdat
	.protected	_ZN7rocprim17ROCPRIM_400000_NS6detail17trampoline_kernelINS0_14default_configENS1_22reduce_config_selectorIiEEZNS1_11reduce_implILb1ES3_N6thrust23THRUST_200600_302600_NS11hip_rocprim35transform_pair_of_input_iterators_tIiPlSB_NS8_12not_equal_toIlEEEEPiiNS8_4plusIiEEEE10hipError_tPvRmT1_T2_T3_mT4_P12ihipStream_tbEUlT_E1_NS1_11comp_targetILNS1_3genE0ELNS1_11target_archE4294967295ELNS1_3gpuE0ELNS1_3repE0EEENS1_30default_config_static_selectorELNS0_4arch9wavefront6targetE1EEEvSL_ ; -- Begin function _ZN7rocprim17ROCPRIM_400000_NS6detail17trampoline_kernelINS0_14default_configENS1_22reduce_config_selectorIiEEZNS1_11reduce_implILb1ES3_N6thrust23THRUST_200600_302600_NS11hip_rocprim35transform_pair_of_input_iterators_tIiPlSB_NS8_12not_equal_toIlEEEEPiiNS8_4plusIiEEEE10hipError_tPvRmT1_T2_T3_mT4_P12ihipStream_tbEUlT_E1_NS1_11comp_targetILNS1_3genE0ELNS1_11target_archE4294967295ELNS1_3gpuE0ELNS1_3repE0EEENS1_30default_config_static_selectorELNS0_4arch9wavefront6targetE1EEEvSL_
	.globl	_ZN7rocprim17ROCPRIM_400000_NS6detail17trampoline_kernelINS0_14default_configENS1_22reduce_config_selectorIiEEZNS1_11reduce_implILb1ES3_N6thrust23THRUST_200600_302600_NS11hip_rocprim35transform_pair_of_input_iterators_tIiPlSB_NS8_12not_equal_toIlEEEEPiiNS8_4plusIiEEEE10hipError_tPvRmT1_T2_T3_mT4_P12ihipStream_tbEUlT_E1_NS1_11comp_targetILNS1_3genE0ELNS1_11target_archE4294967295ELNS1_3gpuE0ELNS1_3repE0EEENS1_30default_config_static_selectorELNS0_4arch9wavefront6targetE1EEEvSL_
	.p2align	8
	.type	_ZN7rocprim17ROCPRIM_400000_NS6detail17trampoline_kernelINS0_14default_configENS1_22reduce_config_selectorIiEEZNS1_11reduce_implILb1ES3_N6thrust23THRUST_200600_302600_NS11hip_rocprim35transform_pair_of_input_iterators_tIiPlSB_NS8_12not_equal_toIlEEEEPiiNS8_4plusIiEEEE10hipError_tPvRmT1_T2_T3_mT4_P12ihipStream_tbEUlT_E1_NS1_11comp_targetILNS1_3genE0ELNS1_11target_archE4294967295ELNS1_3gpuE0ELNS1_3repE0EEENS1_30default_config_static_selectorELNS0_4arch9wavefront6targetE1EEEvSL_,@function
_ZN7rocprim17ROCPRIM_400000_NS6detail17trampoline_kernelINS0_14default_configENS1_22reduce_config_selectorIiEEZNS1_11reduce_implILb1ES3_N6thrust23THRUST_200600_302600_NS11hip_rocprim35transform_pair_of_input_iterators_tIiPlSB_NS8_12not_equal_toIlEEEEPiiNS8_4plusIiEEEE10hipError_tPvRmT1_T2_T3_mT4_P12ihipStream_tbEUlT_E1_NS1_11comp_targetILNS1_3genE0ELNS1_11target_archE4294967295ELNS1_3gpuE0ELNS1_3repE0EEENS1_30default_config_static_selectorELNS0_4arch9wavefront6targetE1EEEvSL_: ; @_ZN7rocprim17ROCPRIM_400000_NS6detail17trampoline_kernelINS0_14default_configENS1_22reduce_config_selectorIiEEZNS1_11reduce_implILb1ES3_N6thrust23THRUST_200600_302600_NS11hip_rocprim35transform_pair_of_input_iterators_tIiPlSB_NS8_12not_equal_toIlEEEEPiiNS8_4plusIiEEEE10hipError_tPvRmT1_T2_T3_mT4_P12ihipStream_tbEUlT_E1_NS1_11comp_targetILNS1_3genE0ELNS1_11target_archE4294967295ELNS1_3gpuE0ELNS1_3repE0EEENS1_30default_config_static_selectorELNS0_4arch9wavefront6targetE1EEEvSL_
; %bb.0:
	.section	.rodata,"a",@progbits
	.p2align	6, 0x0
	.amdhsa_kernel _ZN7rocprim17ROCPRIM_400000_NS6detail17trampoline_kernelINS0_14default_configENS1_22reduce_config_selectorIiEEZNS1_11reduce_implILb1ES3_N6thrust23THRUST_200600_302600_NS11hip_rocprim35transform_pair_of_input_iterators_tIiPlSB_NS8_12not_equal_toIlEEEEPiiNS8_4plusIiEEEE10hipError_tPvRmT1_T2_T3_mT4_P12ihipStream_tbEUlT_E1_NS1_11comp_targetILNS1_3genE0ELNS1_11target_archE4294967295ELNS1_3gpuE0ELNS1_3repE0EEENS1_30default_config_static_selectorELNS0_4arch9wavefront6targetE1EEEvSL_
		.amdhsa_group_segment_fixed_size 0
		.amdhsa_private_segment_fixed_size 0
		.amdhsa_kernarg_size 56
		.amdhsa_user_sgpr_count 6
		.amdhsa_user_sgpr_private_segment_buffer 1
		.amdhsa_user_sgpr_dispatch_ptr 0
		.amdhsa_user_sgpr_queue_ptr 0
		.amdhsa_user_sgpr_kernarg_segment_ptr 1
		.amdhsa_user_sgpr_dispatch_id 0
		.amdhsa_user_sgpr_flat_scratch_init 0
		.amdhsa_user_sgpr_kernarg_preload_length 0
		.amdhsa_user_sgpr_kernarg_preload_offset 0
		.amdhsa_user_sgpr_private_segment_size 0
		.amdhsa_uses_dynamic_stack 0
		.amdhsa_system_sgpr_private_segment_wavefront_offset 0
		.amdhsa_system_sgpr_workgroup_id_x 1
		.amdhsa_system_sgpr_workgroup_id_y 0
		.amdhsa_system_sgpr_workgroup_id_z 0
		.amdhsa_system_sgpr_workgroup_info 0
		.amdhsa_system_vgpr_workitem_id 0
		.amdhsa_next_free_vgpr 1
		.amdhsa_next_free_sgpr 0
		.amdhsa_accum_offset 4
		.amdhsa_reserve_vcc 0
		.amdhsa_reserve_flat_scratch 0
		.amdhsa_float_round_mode_32 0
		.amdhsa_float_round_mode_16_64 0
		.amdhsa_float_denorm_mode_32 3
		.amdhsa_float_denorm_mode_16_64 3
		.amdhsa_dx10_clamp 1
		.amdhsa_ieee_mode 1
		.amdhsa_fp16_overflow 0
		.amdhsa_tg_split 0
		.amdhsa_exception_fp_ieee_invalid_op 0
		.amdhsa_exception_fp_denorm_src 0
		.amdhsa_exception_fp_ieee_div_zero 0
		.amdhsa_exception_fp_ieee_overflow 0
		.amdhsa_exception_fp_ieee_underflow 0
		.amdhsa_exception_fp_ieee_inexact 0
		.amdhsa_exception_int_div_zero 0
	.end_amdhsa_kernel
	.section	.text._ZN7rocprim17ROCPRIM_400000_NS6detail17trampoline_kernelINS0_14default_configENS1_22reduce_config_selectorIiEEZNS1_11reduce_implILb1ES3_N6thrust23THRUST_200600_302600_NS11hip_rocprim35transform_pair_of_input_iterators_tIiPlSB_NS8_12not_equal_toIlEEEEPiiNS8_4plusIiEEEE10hipError_tPvRmT1_T2_T3_mT4_P12ihipStream_tbEUlT_E1_NS1_11comp_targetILNS1_3genE0ELNS1_11target_archE4294967295ELNS1_3gpuE0ELNS1_3repE0EEENS1_30default_config_static_selectorELNS0_4arch9wavefront6targetE1EEEvSL_,"axG",@progbits,_ZN7rocprim17ROCPRIM_400000_NS6detail17trampoline_kernelINS0_14default_configENS1_22reduce_config_selectorIiEEZNS1_11reduce_implILb1ES3_N6thrust23THRUST_200600_302600_NS11hip_rocprim35transform_pair_of_input_iterators_tIiPlSB_NS8_12not_equal_toIlEEEEPiiNS8_4plusIiEEEE10hipError_tPvRmT1_T2_T3_mT4_P12ihipStream_tbEUlT_E1_NS1_11comp_targetILNS1_3genE0ELNS1_11target_archE4294967295ELNS1_3gpuE0ELNS1_3repE0EEENS1_30default_config_static_selectorELNS0_4arch9wavefront6targetE1EEEvSL_,comdat
.Lfunc_end1195:
	.size	_ZN7rocprim17ROCPRIM_400000_NS6detail17trampoline_kernelINS0_14default_configENS1_22reduce_config_selectorIiEEZNS1_11reduce_implILb1ES3_N6thrust23THRUST_200600_302600_NS11hip_rocprim35transform_pair_of_input_iterators_tIiPlSB_NS8_12not_equal_toIlEEEEPiiNS8_4plusIiEEEE10hipError_tPvRmT1_T2_T3_mT4_P12ihipStream_tbEUlT_E1_NS1_11comp_targetILNS1_3genE0ELNS1_11target_archE4294967295ELNS1_3gpuE0ELNS1_3repE0EEENS1_30default_config_static_selectorELNS0_4arch9wavefront6targetE1EEEvSL_, .Lfunc_end1195-_ZN7rocprim17ROCPRIM_400000_NS6detail17trampoline_kernelINS0_14default_configENS1_22reduce_config_selectorIiEEZNS1_11reduce_implILb1ES3_N6thrust23THRUST_200600_302600_NS11hip_rocprim35transform_pair_of_input_iterators_tIiPlSB_NS8_12not_equal_toIlEEEEPiiNS8_4plusIiEEEE10hipError_tPvRmT1_T2_T3_mT4_P12ihipStream_tbEUlT_E1_NS1_11comp_targetILNS1_3genE0ELNS1_11target_archE4294967295ELNS1_3gpuE0ELNS1_3repE0EEENS1_30default_config_static_selectorELNS0_4arch9wavefront6targetE1EEEvSL_
                                        ; -- End function
	.section	.AMDGPU.csdata,"",@progbits
; Kernel info:
; codeLenInByte = 0
; NumSgprs: 4
; NumVgprs: 0
; NumAgprs: 0
; TotalNumVgprs: 0
; ScratchSize: 0
; MemoryBound: 0
; FloatMode: 240
; IeeeMode: 1
; LDSByteSize: 0 bytes/workgroup (compile time only)
; SGPRBlocks: 0
; VGPRBlocks: 0
; NumSGPRsForWavesPerEU: 4
; NumVGPRsForWavesPerEU: 1
; AccumOffset: 4
; Occupancy: 8
; WaveLimiterHint : 0
; COMPUTE_PGM_RSRC2:SCRATCH_EN: 0
; COMPUTE_PGM_RSRC2:USER_SGPR: 6
; COMPUTE_PGM_RSRC2:TRAP_HANDLER: 0
; COMPUTE_PGM_RSRC2:TGID_X_EN: 1
; COMPUTE_PGM_RSRC2:TGID_Y_EN: 0
; COMPUTE_PGM_RSRC2:TGID_Z_EN: 0
; COMPUTE_PGM_RSRC2:TIDIG_COMP_CNT: 0
; COMPUTE_PGM_RSRC3_GFX90A:ACCUM_OFFSET: 0
; COMPUTE_PGM_RSRC3_GFX90A:TG_SPLIT: 0
	.section	.text._ZN7rocprim17ROCPRIM_400000_NS6detail17trampoline_kernelINS0_14default_configENS1_22reduce_config_selectorIiEEZNS1_11reduce_implILb1ES3_N6thrust23THRUST_200600_302600_NS11hip_rocprim35transform_pair_of_input_iterators_tIiPlSB_NS8_12not_equal_toIlEEEEPiiNS8_4plusIiEEEE10hipError_tPvRmT1_T2_T3_mT4_P12ihipStream_tbEUlT_E1_NS1_11comp_targetILNS1_3genE5ELNS1_11target_archE942ELNS1_3gpuE9ELNS1_3repE0EEENS1_30default_config_static_selectorELNS0_4arch9wavefront6targetE1EEEvSL_,"axG",@progbits,_ZN7rocprim17ROCPRIM_400000_NS6detail17trampoline_kernelINS0_14default_configENS1_22reduce_config_selectorIiEEZNS1_11reduce_implILb1ES3_N6thrust23THRUST_200600_302600_NS11hip_rocprim35transform_pair_of_input_iterators_tIiPlSB_NS8_12not_equal_toIlEEEEPiiNS8_4plusIiEEEE10hipError_tPvRmT1_T2_T3_mT4_P12ihipStream_tbEUlT_E1_NS1_11comp_targetILNS1_3genE5ELNS1_11target_archE942ELNS1_3gpuE9ELNS1_3repE0EEENS1_30default_config_static_selectorELNS0_4arch9wavefront6targetE1EEEvSL_,comdat
	.protected	_ZN7rocprim17ROCPRIM_400000_NS6detail17trampoline_kernelINS0_14default_configENS1_22reduce_config_selectorIiEEZNS1_11reduce_implILb1ES3_N6thrust23THRUST_200600_302600_NS11hip_rocprim35transform_pair_of_input_iterators_tIiPlSB_NS8_12not_equal_toIlEEEEPiiNS8_4plusIiEEEE10hipError_tPvRmT1_T2_T3_mT4_P12ihipStream_tbEUlT_E1_NS1_11comp_targetILNS1_3genE5ELNS1_11target_archE942ELNS1_3gpuE9ELNS1_3repE0EEENS1_30default_config_static_selectorELNS0_4arch9wavefront6targetE1EEEvSL_ ; -- Begin function _ZN7rocprim17ROCPRIM_400000_NS6detail17trampoline_kernelINS0_14default_configENS1_22reduce_config_selectorIiEEZNS1_11reduce_implILb1ES3_N6thrust23THRUST_200600_302600_NS11hip_rocprim35transform_pair_of_input_iterators_tIiPlSB_NS8_12not_equal_toIlEEEEPiiNS8_4plusIiEEEE10hipError_tPvRmT1_T2_T3_mT4_P12ihipStream_tbEUlT_E1_NS1_11comp_targetILNS1_3genE5ELNS1_11target_archE942ELNS1_3gpuE9ELNS1_3repE0EEENS1_30default_config_static_selectorELNS0_4arch9wavefront6targetE1EEEvSL_
	.globl	_ZN7rocprim17ROCPRIM_400000_NS6detail17trampoline_kernelINS0_14default_configENS1_22reduce_config_selectorIiEEZNS1_11reduce_implILb1ES3_N6thrust23THRUST_200600_302600_NS11hip_rocprim35transform_pair_of_input_iterators_tIiPlSB_NS8_12not_equal_toIlEEEEPiiNS8_4plusIiEEEE10hipError_tPvRmT1_T2_T3_mT4_P12ihipStream_tbEUlT_E1_NS1_11comp_targetILNS1_3genE5ELNS1_11target_archE942ELNS1_3gpuE9ELNS1_3repE0EEENS1_30default_config_static_selectorELNS0_4arch9wavefront6targetE1EEEvSL_
	.p2align	8
	.type	_ZN7rocprim17ROCPRIM_400000_NS6detail17trampoline_kernelINS0_14default_configENS1_22reduce_config_selectorIiEEZNS1_11reduce_implILb1ES3_N6thrust23THRUST_200600_302600_NS11hip_rocprim35transform_pair_of_input_iterators_tIiPlSB_NS8_12not_equal_toIlEEEEPiiNS8_4plusIiEEEE10hipError_tPvRmT1_T2_T3_mT4_P12ihipStream_tbEUlT_E1_NS1_11comp_targetILNS1_3genE5ELNS1_11target_archE942ELNS1_3gpuE9ELNS1_3repE0EEENS1_30default_config_static_selectorELNS0_4arch9wavefront6targetE1EEEvSL_,@function
_ZN7rocprim17ROCPRIM_400000_NS6detail17trampoline_kernelINS0_14default_configENS1_22reduce_config_selectorIiEEZNS1_11reduce_implILb1ES3_N6thrust23THRUST_200600_302600_NS11hip_rocprim35transform_pair_of_input_iterators_tIiPlSB_NS8_12not_equal_toIlEEEEPiiNS8_4plusIiEEEE10hipError_tPvRmT1_T2_T3_mT4_P12ihipStream_tbEUlT_E1_NS1_11comp_targetILNS1_3genE5ELNS1_11target_archE942ELNS1_3gpuE9ELNS1_3repE0EEENS1_30default_config_static_selectorELNS0_4arch9wavefront6targetE1EEEvSL_: ; @_ZN7rocprim17ROCPRIM_400000_NS6detail17trampoline_kernelINS0_14default_configENS1_22reduce_config_selectorIiEEZNS1_11reduce_implILb1ES3_N6thrust23THRUST_200600_302600_NS11hip_rocprim35transform_pair_of_input_iterators_tIiPlSB_NS8_12not_equal_toIlEEEEPiiNS8_4plusIiEEEE10hipError_tPvRmT1_T2_T3_mT4_P12ihipStream_tbEUlT_E1_NS1_11comp_targetILNS1_3genE5ELNS1_11target_archE942ELNS1_3gpuE9ELNS1_3repE0EEENS1_30default_config_static_selectorELNS0_4arch9wavefront6targetE1EEEvSL_
; %bb.0:
	.section	.rodata,"a",@progbits
	.p2align	6, 0x0
	.amdhsa_kernel _ZN7rocprim17ROCPRIM_400000_NS6detail17trampoline_kernelINS0_14default_configENS1_22reduce_config_selectorIiEEZNS1_11reduce_implILb1ES3_N6thrust23THRUST_200600_302600_NS11hip_rocprim35transform_pair_of_input_iterators_tIiPlSB_NS8_12not_equal_toIlEEEEPiiNS8_4plusIiEEEE10hipError_tPvRmT1_T2_T3_mT4_P12ihipStream_tbEUlT_E1_NS1_11comp_targetILNS1_3genE5ELNS1_11target_archE942ELNS1_3gpuE9ELNS1_3repE0EEENS1_30default_config_static_selectorELNS0_4arch9wavefront6targetE1EEEvSL_
		.amdhsa_group_segment_fixed_size 0
		.amdhsa_private_segment_fixed_size 0
		.amdhsa_kernarg_size 56
		.amdhsa_user_sgpr_count 6
		.amdhsa_user_sgpr_private_segment_buffer 1
		.amdhsa_user_sgpr_dispatch_ptr 0
		.amdhsa_user_sgpr_queue_ptr 0
		.amdhsa_user_sgpr_kernarg_segment_ptr 1
		.amdhsa_user_sgpr_dispatch_id 0
		.amdhsa_user_sgpr_flat_scratch_init 0
		.amdhsa_user_sgpr_kernarg_preload_length 0
		.amdhsa_user_sgpr_kernarg_preload_offset 0
		.amdhsa_user_sgpr_private_segment_size 0
		.amdhsa_uses_dynamic_stack 0
		.amdhsa_system_sgpr_private_segment_wavefront_offset 0
		.amdhsa_system_sgpr_workgroup_id_x 1
		.amdhsa_system_sgpr_workgroup_id_y 0
		.amdhsa_system_sgpr_workgroup_id_z 0
		.amdhsa_system_sgpr_workgroup_info 0
		.amdhsa_system_vgpr_workitem_id 0
		.amdhsa_next_free_vgpr 1
		.amdhsa_next_free_sgpr 0
		.amdhsa_accum_offset 4
		.amdhsa_reserve_vcc 0
		.amdhsa_reserve_flat_scratch 0
		.amdhsa_float_round_mode_32 0
		.amdhsa_float_round_mode_16_64 0
		.amdhsa_float_denorm_mode_32 3
		.amdhsa_float_denorm_mode_16_64 3
		.amdhsa_dx10_clamp 1
		.amdhsa_ieee_mode 1
		.amdhsa_fp16_overflow 0
		.amdhsa_tg_split 0
		.amdhsa_exception_fp_ieee_invalid_op 0
		.amdhsa_exception_fp_denorm_src 0
		.amdhsa_exception_fp_ieee_div_zero 0
		.amdhsa_exception_fp_ieee_overflow 0
		.amdhsa_exception_fp_ieee_underflow 0
		.amdhsa_exception_fp_ieee_inexact 0
		.amdhsa_exception_int_div_zero 0
	.end_amdhsa_kernel
	.section	.text._ZN7rocprim17ROCPRIM_400000_NS6detail17trampoline_kernelINS0_14default_configENS1_22reduce_config_selectorIiEEZNS1_11reduce_implILb1ES3_N6thrust23THRUST_200600_302600_NS11hip_rocprim35transform_pair_of_input_iterators_tIiPlSB_NS8_12not_equal_toIlEEEEPiiNS8_4plusIiEEEE10hipError_tPvRmT1_T2_T3_mT4_P12ihipStream_tbEUlT_E1_NS1_11comp_targetILNS1_3genE5ELNS1_11target_archE942ELNS1_3gpuE9ELNS1_3repE0EEENS1_30default_config_static_selectorELNS0_4arch9wavefront6targetE1EEEvSL_,"axG",@progbits,_ZN7rocprim17ROCPRIM_400000_NS6detail17trampoline_kernelINS0_14default_configENS1_22reduce_config_selectorIiEEZNS1_11reduce_implILb1ES3_N6thrust23THRUST_200600_302600_NS11hip_rocprim35transform_pair_of_input_iterators_tIiPlSB_NS8_12not_equal_toIlEEEEPiiNS8_4plusIiEEEE10hipError_tPvRmT1_T2_T3_mT4_P12ihipStream_tbEUlT_E1_NS1_11comp_targetILNS1_3genE5ELNS1_11target_archE942ELNS1_3gpuE9ELNS1_3repE0EEENS1_30default_config_static_selectorELNS0_4arch9wavefront6targetE1EEEvSL_,comdat
.Lfunc_end1196:
	.size	_ZN7rocprim17ROCPRIM_400000_NS6detail17trampoline_kernelINS0_14default_configENS1_22reduce_config_selectorIiEEZNS1_11reduce_implILb1ES3_N6thrust23THRUST_200600_302600_NS11hip_rocprim35transform_pair_of_input_iterators_tIiPlSB_NS8_12not_equal_toIlEEEEPiiNS8_4plusIiEEEE10hipError_tPvRmT1_T2_T3_mT4_P12ihipStream_tbEUlT_E1_NS1_11comp_targetILNS1_3genE5ELNS1_11target_archE942ELNS1_3gpuE9ELNS1_3repE0EEENS1_30default_config_static_selectorELNS0_4arch9wavefront6targetE1EEEvSL_, .Lfunc_end1196-_ZN7rocprim17ROCPRIM_400000_NS6detail17trampoline_kernelINS0_14default_configENS1_22reduce_config_selectorIiEEZNS1_11reduce_implILb1ES3_N6thrust23THRUST_200600_302600_NS11hip_rocprim35transform_pair_of_input_iterators_tIiPlSB_NS8_12not_equal_toIlEEEEPiiNS8_4plusIiEEEE10hipError_tPvRmT1_T2_T3_mT4_P12ihipStream_tbEUlT_E1_NS1_11comp_targetILNS1_3genE5ELNS1_11target_archE942ELNS1_3gpuE9ELNS1_3repE0EEENS1_30default_config_static_selectorELNS0_4arch9wavefront6targetE1EEEvSL_
                                        ; -- End function
	.section	.AMDGPU.csdata,"",@progbits
; Kernel info:
; codeLenInByte = 0
; NumSgprs: 4
; NumVgprs: 0
; NumAgprs: 0
; TotalNumVgprs: 0
; ScratchSize: 0
; MemoryBound: 0
; FloatMode: 240
; IeeeMode: 1
; LDSByteSize: 0 bytes/workgroup (compile time only)
; SGPRBlocks: 0
; VGPRBlocks: 0
; NumSGPRsForWavesPerEU: 4
; NumVGPRsForWavesPerEU: 1
; AccumOffset: 4
; Occupancy: 8
; WaveLimiterHint : 0
; COMPUTE_PGM_RSRC2:SCRATCH_EN: 0
; COMPUTE_PGM_RSRC2:USER_SGPR: 6
; COMPUTE_PGM_RSRC2:TRAP_HANDLER: 0
; COMPUTE_PGM_RSRC2:TGID_X_EN: 1
; COMPUTE_PGM_RSRC2:TGID_Y_EN: 0
; COMPUTE_PGM_RSRC2:TGID_Z_EN: 0
; COMPUTE_PGM_RSRC2:TIDIG_COMP_CNT: 0
; COMPUTE_PGM_RSRC3_GFX90A:ACCUM_OFFSET: 0
; COMPUTE_PGM_RSRC3_GFX90A:TG_SPLIT: 0
	.section	.text._ZN7rocprim17ROCPRIM_400000_NS6detail17trampoline_kernelINS0_14default_configENS1_22reduce_config_selectorIiEEZNS1_11reduce_implILb1ES3_N6thrust23THRUST_200600_302600_NS11hip_rocprim35transform_pair_of_input_iterators_tIiPlSB_NS8_12not_equal_toIlEEEEPiiNS8_4plusIiEEEE10hipError_tPvRmT1_T2_T3_mT4_P12ihipStream_tbEUlT_E1_NS1_11comp_targetILNS1_3genE4ELNS1_11target_archE910ELNS1_3gpuE8ELNS1_3repE0EEENS1_30default_config_static_selectorELNS0_4arch9wavefront6targetE1EEEvSL_,"axG",@progbits,_ZN7rocprim17ROCPRIM_400000_NS6detail17trampoline_kernelINS0_14default_configENS1_22reduce_config_selectorIiEEZNS1_11reduce_implILb1ES3_N6thrust23THRUST_200600_302600_NS11hip_rocprim35transform_pair_of_input_iterators_tIiPlSB_NS8_12not_equal_toIlEEEEPiiNS8_4plusIiEEEE10hipError_tPvRmT1_T2_T3_mT4_P12ihipStream_tbEUlT_E1_NS1_11comp_targetILNS1_3genE4ELNS1_11target_archE910ELNS1_3gpuE8ELNS1_3repE0EEENS1_30default_config_static_selectorELNS0_4arch9wavefront6targetE1EEEvSL_,comdat
	.protected	_ZN7rocprim17ROCPRIM_400000_NS6detail17trampoline_kernelINS0_14default_configENS1_22reduce_config_selectorIiEEZNS1_11reduce_implILb1ES3_N6thrust23THRUST_200600_302600_NS11hip_rocprim35transform_pair_of_input_iterators_tIiPlSB_NS8_12not_equal_toIlEEEEPiiNS8_4plusIiEEEE10hipError_tPvRmT1_T2_T3_mT4_P12ihipStream_tbEUlT_E1_NS1_11comp_targetILNS1_3genE4ELNS1_11target_archE910ELNS1_3gpuE8ELNS1_3repE0EEENS1_30default_config_static_selectorELNS0_4arch9wavefront6targetE1EEEvSL_ ; -- Begin function _ZN7rocprim17ROCPRIM_400000_NS6detail17trampoline_kernelINS0_14default_configENS1_22reduce_config_selectorIiEEZNS1_11reduce_implILb1ES3_N6thrust23THRUST_200600_302600_NS11hip_rocprim35transform_pair_of_input_iterators_tIiPlSB_NS8_12not_equal_toIlEEEEPiiNS8_4plusIiEEEE10hipError_tPvRmT1_T2_T3_mT4_P12ihipStream_tbEUlT_E1_NS1_11comp_targetILNS1_3genE4ELNS1_11target_archE910ELNS1_3gpuE8ELNS1_3repE0EEENS1_30default_config_static_selectorELNS0_4arch9wavefront6targetE1EEEvSL_
	.globl	_ZN7rocprim17ROCPRIM_400000_NS6detail17trampoline_kernelINS0_14default_configENS1_22reduce_config_selectorIiEEZNS1_11reduce_implILb1ES3_N6thrust23THRUST_200600_302600_NS11hip_rocprim35transform_pair_of_input_iterators_tIiPlSB_NS8_12not_equal_toIlEEEEPiiNS8_4plusIiEEEE10hipError_tPvRmT1_T2_T3_mT4_P12ihipStream_tbEUlT_E1_NS1_11comp_targetILNS1_3genE4ELNS1_11target_archE910ELNS1_3gpuE8ELNS1_3repE0EEENS1_30default_config_static_selectorELNS0_4arch9wavefront6targetE1EEEvSL_
	.p2align	8
	.type	_ZN7rocprim17ROCPRIM_400000_NS6detail17trampoline_kernelINS0_14default_configENS1_22reduce_config_selectorIiEEZNS1_11reduce_implILb1ES3_N6thrust23THRUST_200600_302600_NS11hip_rocprim35transform_pair_of_input_iterators_tIiPlSB_NS8_12not_equal_toIlEEEEPiiNS8_4plusIiEEEE10hipError_tPvRmT1_T2_T3_mT4_P12ihipStream_tbEUlT_E1_NS1_11comp_targetILNS1_3genE4ELNS1_11target_archE910ELNS1_3gpuE8ELNS1_3repE0EEENS1_30default_config_static_selectorELNS0_4arch9wavefront6targetE1EEEvSL_,@function
_ZN7rocprim17ROCPRIM_400000_NS6detail17trampoline_kernelINS0_14default_configENS1_22reduce_config_selectorIiEEZNS1_11reduce_implILb1ES3_N6thrust23THRUST_200600_302600_NS11hip_rocprim35transform_pair_of_input_iterators_tIiPlSB_NS8_12not_equal_toIlEEEEPiiNS8_4plusIiEEEE10hipError_tPvRmT1_T2_T3_mT4_P12ihipStream_tbEUlT_E1_NS1_11comp_targetILNS1_3genE4ELNS1_11target_archE910ELNS1_3gpuE8ELNS1_3repE0EEENS1_30default_config_static_selectorELNS0_4arch9wavefront6targetE1EEEvSL_: ; @_ZN7rocprim17ROCPRIM_400000_NS6detail17trampoline_kernelINS0_14default_configENS1_22reduce_config_selectorIiEEZNS1_11reduce_implILb1ES3_N6thrust23THRUST_200600_302600_NS11hip_rocprim35transform_pair_of_input_iterators_tIiPlSB_NS8_12not_equal_toIlEEEEPiiNS8_4plusIiEEEE10hipError_tPvRmT1_T2_T3_mT4_P12ihipStream_tbEUlT_E1_NS1_11comp_targetILNS1_3genE4ELNS1_11target_archE910ELNS1_3gpuE8ELNS1_3repE0EEENS1_30default_config_static_selectorELNS0_4arch9wavefront6targetE1EEEvSL_
; %bb.0:
	s_load_dword s33, s[4:5], 0x4
	s_load_dwordx4 s[40:43], s[4:5], 0x8
	s_load_dwordx4 s[36:39], s[4:5], 0x20
	s_waitcnt lgkmcnt(0)
	s_cmp_lt_i32 s33, 8
	s_cbranch_scc1 .LBB1197_11
; %bb.1:
	s_cmp_gt_i32 s33, 15
	s_cbranch_scc0 .LBB1197_12
; %bb.2:
	s_cmp_gt_i32 s33, 31
	s_cbranch_scc0 .LBB1197_13
; %bb.3:
	s_cmp_eq_u32 s33, 32
	s_mov_b64 s[20:21], 0
	s_cbranch_scc0 .LBB1197_14
; %bb.4:
	s_mov_b32 s7, 0
	s_lshl_b32 s26, s6, 12
	s_mov_b32 s27, s7
	s_lshr_b64 s[0:1], s[36:37], 12
	s_lshl_b64 s[2:3], s[26:27], 3
	s_add_u32 s22, s40, s2
	s_addc_u32 s23, s41, s3
	s_add_u32 s24, s42, s2
	s_addc_u32 s25, s43, s3
	s_cmp_lg_u64 s[0:1], s[6:7]
	s_cbranch_scc0 .LBB1197_23
; %bb.5:
	v_lshlrev_b32_e32 v1, 3, v0
	v_mov_b32_e32 v2, s23
	v_add_co_u32_e32 v54, vcc, s22, v1
	v_addc_co_u32_e32 v55, vcc, 0, v2, vcc
	v_mov_b32_e32 v2, s25
	v_add_co_u32_e32 v56, vcc, s24, v1
	v_addc_co_u32_e32 v57, vcc, 0, v2, vcc
	s_movk_i32 s0, 0x1000
	v_add_co_u32_e32 v16, vcc, s0, v54
	global_load_dwordx2 v[4:5], v1, s[22:23]
	global_load_dwordx2 v[6:7], v1, s[22:23] offset:1024
	global_load_dwordx2 v[8:9], v1, s[22:23] offset:2048
	global_load_dwordx2 v[10:11], v1, s[24:25]
	global_load_dwordx2 v[12:13], v1, s[24:25] offset:1024
	global_load_dwordx2 v[14:15], v1, s[24:25] offset:2048
	v_addc_co_u32_e32 v17, vcc, 0, v55, vcc
	s_movk_i32 s1, 0x2000
	v_add_co_u32_e32 v2, vcc, s1, v54
	v_addc_co_u32_e32 v3, vcc, 0, v55, vcc
	global_load_dwordx2 v[18:19], v[2:3], off offset:-4096
	v_add_co_u32_e32 v20, vcc, s0, v56
	v_addc_co_u32_e32 v21, vcc, 0, v57, vcc
	v_add_co_u32_e32 v22, vcc, s1, v56
	v_addc_co_u32_e32 v23, vcc, 0, v57, vcc
	global_load_dwordx2 v[24:25], v[22:23], off offset:-4096
	global_load_dwordx2 v[26:27], v[16:17], off offset:2048
	global_load_dwordx2 v[28:29], v[20:21], off offset:2048
	global_load_dwordx2 v[30:31], v[2:3], off
	global_load_dwordx2 v[32:33], v[22:23], off
	global_load_dwordx2 v[34:35], v1, s[22:23] offset:3072
	global_load_dwordx2 v[36:37], v1, s[24:25] offset:3072
	global_load_dwordx2 v[38:39], v[16:17], off offset:1024
	global_load_dwordx2 v[40:41], v[20:21], off offset:1024
	;; [unrolled: 1-line block ×6, first 2 shown]
	s_movk_i32 s0, 0x3000
	v_add_co_u32_e32 v16, vcc, s0, v54
	s_movk_i32 s2, 0x4000
	v_addc_co_u32_e32 v17, vcc, 0, v55, vcc
	v_add_co_u32_e32 v20, vcc, s2, v54
	v_addc_co_u32_e32 v21, vcc, 0, v55, vcc
	s_movk_i32 s3, 0x6000
	global_load_dwordx2 v[50:51], v[2:3], off offset:2048
	global_load_dwordx2 v[52:53], v[22:23], off offset:2048
	s_waitcnt vmcnt(18)
	v_cmp_ne_u64_e32 vcc, v[4:5], v[10:11]
	v_cndmask_b32_e64 v1, 0, 1, vcc
	s_waitcnt vmcnt(16)
	v_cmp_ne_u64_e32 vcc, v[8:9], v[14:15]
	v_cndmask_b32_e64 v4, 0, 1, vcc
	v_cmp_ne_u64_e32 vcc, v[6:7], v[12:13]
	v_addc_co_u32_e32 v1, vcc, 0, v1, vcc
	s_waitcnt vmcnt(14)
	v_cmp_ne_u64_e32 vcc, v[18:19], v[24:25]
	v_cndmask_b32_e64 v5, 0, 1, vcc
	s_waitcnt vmcnt(12)
	v_cmp_ne_u64_e32 vcc, v[26:27], v[28:29]
	v_cndmask_b32_e64 v6, 0, 1, vcc
	;; [unrolled: 3-line block ×3, first 2 shown]
	s_waitcnt vmcnt(8)
	v_cmp_ne_u64_e32 vcc, v[34:35], v[36:37]
	v_addc_co_u32_e32 v1, vcc, v1, v4, vcc
	s_waitcnt vmcnt(6)
	v_cmp_ne_u64_e32 vcc, v[38:39], v[40:41]
	v_addc_co_u32_e32 v1, vcc, v1, v5, vcc
	v_add_co_u32_e64 v4, s[0:1], s0, v56
	s_waitcnt vmcnt(4)
	v_cmp_ne_u64_e32 vcc, v[42:43], v[44:45]
	v_addc_co_u32_e64 v5, s[0:1], 0, v57, s[0:1]
	v_addc_co_u32_e32 v1, vcc, v1, v6, vcc
	v_add_co_u32_e64 v6, s[0:1], s2, v56
	v_addc_co_u32_e64 v7, s[0:1], 0, v57, s[0:1]
	s_movk_i32 s2, 0x5000
	v_add_co_u32_e64 v26, s[0:1], s2, v54
	v_addc_co_u32_e64 v27, s[0:1], 0, v55, s[0:1]
	v_add_co_u32_e64 v28, s[0:1], s3, v54
	v_addc_co_u32_e64 v29, s[0:1], 0, v55, s[0:1]
	global_load_dwordx2 v[8:9], v[16:17], off offset:2048
	global_load_dwordx2 v[10:11], v[4:5], off offset:2048
	global_load_dwordx2 v[12:13], v[20:21], off
	global_load_dwordx2 v[14:15], v[6:7], off
	global_load_dwordx2 v[18:19], v[20:21], off offset:2048
	global_load_dwordx2 v[24:25], v[6:7], off offset:2048
	v_add_co_u32_e64 v30, s[0:1], s2, v56
	v_addc_co_u32_e64 v31, s[0:1], 0, v57, s[0:1]
	v_add_co_u32_e64 v32, s[0:1], s3, v56
	v_addc_co_u32_e64 v33, s[0:1], 0, v57, s[0:1]
	s_movk_i32 s2, 0x7000
	s_waitcnt vmcnt(8)
	v_cmp_ne_u64_e32 vcc, v[46:47], v[48:49]
	v_add_co_u32_e64 v46, s[0:1], s2, v54
	v_addc_co_u32_e64 v47, s[0:1], 0, v55, s[0:1]
	v_add_co_u32_e64 v48, s[0:1], s2, v56
	global_load_dwordx2 v[34:35], v[26:27], off offset:2048
	global_load_dwordx2 v[36:37], v[30:31], off offset:2048
	global_load_dwordx2 v[38:39], v[28:29], off
	global_load_dwordx2 v[40:41], v[32:33], off
	global_load_dwordx2 v[42:43], v[28:29], off offset:2048
	global_load_dwordx2 v[44:45], v[32:33], off offset:2048
	v_addc_co_u32_e64 v49, s[0:1], 0, v57, s[0:1]
	global_load_dwordx2 v[54:55], v[46:47], off offset:2048
	global_load_dwordx2 v[56:57], v[48:49], off offset:2048
	s_waitcnt vmcnt(14)
	v_cmp_ne_u64_e64 s[0:1], v[50:51], v[52:53]
	global_load_dwordx2 v[50:51], v[16:17], off offset:3072
	global_load_dwordx2 v[52:53], v[4:5], off offset:3072
	v_addc_co_u32_e32 v1, vcc, v1, v82, vcc
	s_waitcnt vmcnt(14)
	v_cmp_ne_u64_e64 s[2:3], v[8:9], v[10:11]
	global_load_dwordx2 v[8:9], v[20:21], off offset:1024
	global_load_dwordx2 v[10:11], v[6:7], off offset:1024
	s_waitcnt vmcnt(14)
	v_cmp_ne_u64_e64 s[8:9], v[12:13], v[14:15]
	global_load_dwordx2 v[12:13], v[20:21], off offset:-4096
	global_load_dwordx2 v[14:15], v[6:7], off offset:-4096
	s_waitcnt vmcnt(14)
	v_cmp_ne_u64_e64 s[10:11], v[18:19], v[24:25]
	global_load_dwordx2 v[18:19], v[26:27], off offset:3072
	global_load_dwordx2 v[24:25], v[30:31], off offset:3072
	s_waitcnt vmcnt(14)
	v_cmp_ne_u64_e64 s[12:13], v[34:35], v[36:37]
	global_load_dwordx2 v[34:35], v[28:29], off offset:1024
	global_load_dwordx2 v[36:37], v[32:33], off offset:1024
	s_waitcnt vmcnt(14)
	v_cmp_ne_u64_e64 s[14:15], v[38:39], v[40:41]
	global_load_dwordx2 v[38:39], v[28:29], off offset:-4096
	global_load_dwordx2 v[40:41], v[32:33], off offset:-4096
	s_waitcnt vmcnt(14)
	v_cmp_ne_u64_e64 s[16:17], v[42:43], v[44:45]
	global_load_dwordx2 v[42:43], v[46:47], off offset:3072
	global_load_dwordx2 v[44:45], v[48:49], off offset:3072
	s_waitcnt vmcnt(14)
	v_cmp_ne_u64_e64 s[18:19], v[54:55], v[56:57]
	global_load_dwordx2 v[54:55], v[48:49], off
	global_load_dwordx2 v[56:57], v[46:47], off
	global_load_dwordx2 v[58:59], v[2:3], off offset:3072
	global_load_dwordx2 v[60:61], v[22:23], off offset:3072
	;; [unrolled: 1-line block ×12, first 2 shown]
	v_cndmask_b32_e64 v2, 0, 1, s[0:1]
	v_cndmask_b32_e64 v4, 0, 1, s[2:3]
	;; [unrolled: 1-line block ×5, first 2 shown]
	s_waitcnt vmcnt(22)
	v_cmp_ne_u64_e64 s[0:1], v[12:13], v[14:15]
	v_cndmask_b32_e64 v3, 0, 1, s[0:1]
	v_cndmask_b32_e64 v12, 0, 1, s[12:13]
	;; [unrolled: 1-line block ×4, first 2 shown]
	s_waitcnt vmcnt(10)
	v_cmp_ne_u64_e32 vcc, v[58:59], v[60:61]
	v_addc_co_u32_e32 v1, vcc, v1, v2, vcc
	s_waitcnt vmcnt(8)
	v_cmp_ne_u64_e32 vcc, v[62:63], v[64:65]
	v_addc_co_u32_e32 v1, vcc, v1, v3, vcc
	v_cmp_ne_u64_e32 vcc, v[50:51], v[52:53]
	v_addc_co_u32_e32 v1, vcc, v1, v4, vcc
	;; [unrolled: 2-line block ×3, first 2 shown]
	s_waitcnt vmcnt(6)
	v_cmp_ne_u64_e32 vcc, v[66:67], v[68:69]
	v_cmp_ne_u64_e64 s[0:1], v[38:39], v[40:41]
	v_addc_co_u32_e32 v1, vcc, v1, v6, vcc
	v_cndmask_b32_e64 v7, 0, 1, s[0:1]
	s_waitcnt vmcnt(4)
	v_cmp_ne_u64_e32 vcc, v[70:71], v[72:73]
	v_addc_co_u32_e32 v1, vcc, v1, v7, vcc
	v_cmp_ne_u64_e32 vcc, v[18:19], v[24:25]
	v_addc_co_u32_e32 v1, vcc, v1, v12, vcc
	;; [unrolled: 2-line block ×3, first 2 shown]
	s_waitcnt vmcnt(2)
	v_cmp_ne_u64_e32 vcc, v[74:75], v[76:77]
	v_cmp_ne_u64_e64 s[0:1], v[56:57], v[54:55]
	v_addc_co_u32_e32 v1, vcc, v1, v14, vcc
	v_cndmask_b32_e64 v15, 0, 1, s[0:1]
	s_waitcnt vmcnt(0)
	v_cmp_ne_u64_e32 vcc, v[78:79], v[80:81]
	v_addc_co_u32_e32 v1, vcc, v1, v15, vcc
	v_cmp_ne_u64_e32 vcc, v[42:43], v[44:45]
	v_addc_co_u32_e32 v1, vcc, v1, v16, vcc
	v_mbcnt_lo_u32_b32 v2, -1, 0
	s_nop 0
	v_add_u32_dpp v1, v1, v1 quad_perm:[1,0,3,2] row_mask:0xf bank_mask:0xf bound_ctrl:1
	v_mbcnt_hi_u32_b32 v2, -1, v2
	v_lshlrev_b32_e32 v3, 2, v2
	v_add_u32_dpp v1, v1, v1 quad_perm:[2,3,0,1] row_mask:0xf bank_mask:0xf bound_ctrl:1
	v_or_b32_e32 v4, 0xfc, v3
	v_cmp_eq_u32_e32 vcc, 0, v2
	v_add_u32_dpp v1, v1, v1 row_ror:4 row_mask:0xf bank_mask:0xf bound_ctrl:1
	s_nop 1
	v_add_u32_dpp v1, v1, v1 row_ror:8 row_mask:0xf bank_mask:0xf bound_ctrl:1
	s_nop 1
	v_add_u32_dpp v1, v1, v1 row_bcast:15 row_mask:0xf bank_mask:0xf bound_ctrl:1
	s_nop 1
	v_add_u32_dpp v1, v1, v1 row_bcast:31 row_mask:0xf bank_mask:0xf bound_ctrl:1
	ds_bpermute_b32 v1, v4, v1
	s_and_saveexec_b64 s[0:1], vcc
	s_cbranch_execz .LBB1197_7
; %bb.6:
	v_lshrrev_b32_e32 v4, 4, v0
	v_and_b32_e32 v4, 4, v4
	s_waitcnt lgkmcnt(0)
	ds_write_b32 v4, v1 offset:24
.LBB1197_7:
	s_or_b64 exec, exec, s[0:1]
	v_cmp_gt_u32_e32 vcc, 64, v0
	s_waitcnt lgkmcnt(0)
	s_barrier
	s_and_saveexec_b64 s[0:1], vcc
	s_cbranch_execz .LBB1197_9
; %bb.8:
	v_and_b32_e32 v1, 1, v2
	v_lshlrev_b32_e32 v1, 2, v1
	ds_read_b32 v1, v1 offset:24
	v_or_b32_e32 v2, 4, v3
	s_waitcnt lgkmcnt(0)
	ds_bpermute_b32 v2, v2, v1
	s_waitcnt lgkmcnt(0)
	v_add_u32_e32 v1, v2, v1
.LBB1197_9:
	s_or_b64 exec, exec, s[0:1]
.LBB1197_10:
	v_cmp_eq_u32_e64 s[0:1], 0, v0
	s_and_b64 vcc, exec, s[20:21]
	s_cbranch_vccnz .LBB1197_15
	s_branch .LBB1197_93
.LBB1197_11:
	s_mov_b64 s[0:1], 0
                                        ; implicit-def: $vgpr1
	s_cbranch_execnz .LBB1197_166
	s_branch .LBB1197_224
.LBB1197_12:
	s_mov_b64 s[0:1], 0
                                        ; implicit-def: $vgpr1
	s_cbranch_execnz .LBB1197_134
	s_branch .LBB1197_142
.LBB1197_13:
	s_mov_b64 s[20:21], -1
.LBB1197_14:
	s_mov_b64 s[0:1], 0
                                        ; implicit-def: $vgpr1
	s_and_b64 vcc, exec, s[20:21]
	s_cbranch_vccz .LBB1197_93
.LBB1197_15:
	s_cmp_eq_u32 s33, 16
	s_cbranch_scc0 .LBB1197_22
; %bb.16:
	s_mov_b32 s7, 0
	s_lshl_b32 s2, s6, 11
	s_mov_b32 s3, s7
	s_lshr_b64 s[0:1], s[36:37], 11
	s_lshl_b64 s[8:9], s[2:3], 3
	s_add_u32 s34, s40, s8
	s_addc_u32 s35, s41, s9
	s_add_u32 s44, s42, s8
	s_addc_u32 s45, s43, s9
	s_cmp_lg_u64 s[0:1], s[6:7]
	s_cbranch_scc0 .LBB1197_94
; %bb.17:
	v_lshlrev_b32_e32 v1, 3, v0
	global_load_dwordx2 v[2:3], v1, s[34:35]
	global_load_dwordx2 v[4:5], v1, s[44:45]
	global_load_dwordx2 v[6:7], v1, s[34:35] offset:2048
	global_load_dwordx2 v[8:9], v1, s[44:45] offset:2048
	v_mov_b32_e32 v10, s35
	v_add_co_u32_e32 v18, vcc, s34, v1
	v_addc_co_u32_e32 v19, vcc, 0, v10, vcc
	v_mov_b32_e32 v11, s45
	v_add_co_u32_e32 v20, vcc, s44, v1
	s_movk_i32 s0, 0x1000
	v_addc_co_u32_e32 v21, vcc, 0, v11, vcc
	v_add_co_u32_e32 v10, vcc, s0, v18
	s_movk_i32 s1, 0x2000
	v_addc_co_u32_e32 v11, vcc, 0, v19, vcc
	v_add_co_u32_e32 v12, vcc, s1, v18
	v_addc_co_u32_e32 v13, vcc, 0, v19, vcc
	v_add_co_u32_e32 v14, vcc, s0, v20
	;; [unrolled: 2-line block ×3, first 2 shown]
	s_movk_i32 s3, 0x3000
	v_addc_co_u32_e32 v17, vcc, 0, v21, vcc
	v_add_co_u32_e32 v18, vcc, s3, v18
	v_addc_co_u32_e32 v19, vcc, 0, v19, vcc
	v_add_co_u32_e32 v20, vcc, s3, v20
	v_addc_co_u32_e32 v21, vcc, 0, v21, vcc
	global_load_dwordx2 v[22:23], v[12:13], off offset:-4096
	global_load_dwordx2 v[24:25], v[16:17], off offset:-4096
	global_load_dwordx2 v[26:27], v[10:11], off offset:2048
	global_load_dwordx2 v[28:29], v[14:15], off offset:2048
	global_load_dwordx2 v[30:31], v[12:13], off
	global_load_dwordx2 v[32:33], v[16:17], off
	global_load_dwordx2 v[34:35], v[12:13], off offset:2048
	global_load_dwordx2 v[36:37], v[16:17], off offset:2048
	global_load_dwordx2 v[38:39], v[18:19], off
	global_load_dwordx2 v[40:41], v[20:21], off
	global_load_dwordx2 v[42:43], v[18:19], off offset:2048
	global_load_dwordx2 v[44:45], v[20:21], off offset:2048
	global_load_dwordx2 v[46:47], v1, s[34:35] offset:1024
	global_load_dwordx2 v[48:49], v1, s[44:45] offset:1024
	global_load_dwordx2 v[50:51], v1, s[34:35] offset:3072
	global_load_dwordx2 v[52:53], v1, s[44:45] offset:3072
	global_load_dwordx2 v[54:55], v[10:11], off offset:1024
	global_load_dwordx2 v[56:57], v[14:15], off offset:1024
	;; [unrolled: 1-line block ×5, first 2 shown]
	s_waitcnt vmcnt(23)
	v_cmp_ne_u64_e32 vcc, v[2:3], v[4:5]
	global_load_dwordx2 v[2:3], v[16:17], off offset:1024
	global_load_dwordx2 v[4:5], v[12:13], off offset:3072
	;; [unrolled: 1-line block ×4, first 2 shown]
	s_waitcnt vmcnt(25)
	v_cmp_ne_u64_e64 s[0:1], v[6:7], v[8:9]
	global_load_dwordx2 v[6:7], v[20:21], off offset:1024
	global_load_dwordx2 v[8:9], v[18:19], off offset:3072
	;; [unrolled: 1-line block ×3, first 2 shown]
	v_cndmask_b32_e64 v1, 0, 1, vcc
	v_cndmask_b32_e64 v16, 0, 1, s[0:1]
	s_waitcnt vmcnt(26)
	v_cmp_ne_u64_e32 vcc, v[22:23], v[24:25]
	v_cndmask_b32_e64 v17, 0, 1, vcc
	s_waitcnt vmcnt(24)
	v_cmp_ne_u64_e32 vcc, v[26:27], v[28:29]
	v_cndmask_b32_e64 v18, 0, 1, vcc
	;; [unrolled: 3-line block ×6, first 2 shown]
	s_waitcnt vmcnt(14)
	v_cmp_ne_u64_e32 vcc, v[46:47], v[48:49]
	v_addc_co_u32_e32 v1, vcc, 0, v1, vcc
	s_waitcnt vmcnt(12)
	v_cmp_ne_u64_e32 vcc, v[50:51], v[52:53]
	v_addc_co_u32_e32 v1, vcc, v1, v16, vcc
	;; [unrolled: 3-line block ×8, first 2 shown]
	v_mbcnt_lo_u32_b32 v2, -1, 0
	s_nop 0
	v_add_u32_dpp v1, v1, v1 quad_perm:[1,0,3,2] row_mask:0xf bank_mask:0xf bound_ctrl:1
	v_mbcnt_hi_u32_b32 v2, -1, v2
	v_lshlrev_b32_e32 v3, 2, v2
	v_add_u32_dpp v1, v1, v1 quad_perm:[2,3,0,1] row_mask:0xf bank_mask:0xf bound_ctrl:1
	v_or_b32_e32 v4, 0xfc, v3
	v_cmp_eq_u32_e32 vcc, 0, v2
	v_add_u32_dpp v1, v1, v1 row_ror:4 row_mask:0xf bank_mask:0xf bound_ctrl:1
	s_nop 1
	v_add_u32_dpp v1, v1, v1 row_ror:8 row_mask:0xf bank_mask:0xf bound_ctrl:1
	s_nop 1
	v_add_u32_dpp v1, v1, v1 row_bcast:15 row_mask:0xf bank_mask:0xf bound_ctrl:1
	s_nop 1
	v_add_u32_dpp v1, v1, v1 row_bcast:31 row_mask:0xf bank_mask:0xf bound_ctrl:1
	ds_bpermute_b32 v1, v4, v1
	s_and_saveexec_b64 s[0:1], vcc
	s_cbranch_execz .LBB1197_19
; %bb.18:
	v_lshrrev_b32_e32 v4, 4, v0
	v_and_b32_e32 v4, 4, v4
	s_waitcnt lgkmcnt(0)
	ds_write_b32 v4, v1
.LBB1197_19:
	s_or_b64 exec, exec, s[0:1]
	v_cmp_gt_u32_e32 vcc, 64, v0
	s_waitcnt lgkmcnt(0)
	s_barrier
	s_and_saveexec_b64 s[0:1], vcc
	s_cbranch_execz .LBB1197_21
; %bb.20:
	v_and_b32_e32 v1, 1, v2
	v_lshlrev_b32_e32 v1, 2, v1
	ds_read_b32 v1, v1
	v_or_b32_e32 v2, 4, v3
	s_waitcnt lgkmcnt(0)
	ds_bpermute_b32 v2, v2, v1
	s_waitcnt lgkmcnt(0)
	v_add_u32_e32 v1, v2, v1
.LBB1197_21:
	s_or_b64 exec, exec, s[0:1]
	s_mov_b64 s[0:1], 0
	s_branch .LBB1197_95
.LBB1197_22:
                                        ; implicit-def: $vgpr1
	s_branch .LBB1197_142
.LBB1197_23:
                                        ; implicit-def: $vgpr1
	s_cbranch_execz .LBB1197_10
; %bb.24:
	s_sub_i32 s2, s36, s26
	v_cmp_gt_u32_e32 vcc, s2, v0
                                        ; implicit-def: $vgpr1
	s_and_saveexec_b64 s[0:1], vcc
	s_cbranch_execz .LBB1197_26
; %bb.25:
	v_lshlrev_b32_e32 v1, 3, v0
	global_load_dwordx2 v[2:3], v1, s[22:23]
	global_load_dwordx2 v[4:5], v1, s[24:25]
	s_waitcnt vmcnt(0)
	v_cmp_ne_u64_e32 vcc, v[2:3], v[4:5]
	v_cndmask_b32_e64 v1, 0, 1, vcc
.LBB1197_26:
	s_or_b64 exec, exec, s[0:1]
	v_or_b32_e32 v2, 0x80, v0
	v_cmp_gt_u32_e32 vcc, s2, v2
	v_mov_b32_e32 v2, 0
	v_mov_b32_e32 v3, 0
	s_and_saveexec_b64 s[0:1], vcc
	s_cbranch_execz .LBB1197_28
; %bb.27:
	v_lshlrev_b32_e32 v3, 3, v0
	global_load_dwordx2 v[4:5], v3, s[22:23] offset:1024
	global_load_dwordx2 v[6:7], v3, s[24:25] offset:1024
	s_waitcnt vmcnt(0)
	v_cmp_ne_u64_e32 vcc, v[4:5], v[6:7]
	v_cndmask_b32_e64 v3, 0, 1, vcc
.LBB1197_28:
	s_or_b64 exec, exec, s[0:1]
	v_or_b32_e32 v4, 0x100, v0
	v_cmp_gt_u32_e32 vcc, s2, v4
	s_and_saveexec_b64 s[0:1], vcc
	s_cbranch_execz .LBB1197_30
; %bb.29:
	v_lshlrev_b32_e32 v2, 3, v0
	global_load_dwordx2 v[4:5], v2, s[22:23] offset:2048
	global_load_dwordx2 v[6:7], v2, s[24:25] offset:2048
	s_waitcnt vmcnt(0)
	v_cmp_ne_u64_e32 vcc, v[4:5], v[6:7]
	v_cndmask_b32_e64 v2, 0, 1, vcc
.LBB1197_30:
	s_or_b64 exec, exec, s[0:1]
	v_or_b32_e32 v4, 0x180, v0
	v_cmp_gt_u32_e32 vcc, s2, v4
	v_mov_b32_e32 v4, 0
	v_mov_b32_e32 v5, 0
	s_and_saveexec_b64 s[0:1], vcc
	s_cbranch_execz .LBB1197_32
; %bb.31:
	v_lshlrev_b32_e32 v5, 3, v0
	global_load_dwordx2 v[6:7], v5, s[22:23] offset:3072
	global_load_dwordx2 v[8:9], v5, s[24:25] offset:3072
	s_waitcnt vmcnt(0)
	v_cmp_ne_u64_e32 vcc, v[6:7], v[8:9]
	v_cndmask_b32_e64 v5, 0, 1, vcc
.LBB1197_32:
	s_or_b64 exec, exec, s[0:1]
	v_or_b32_e32 v6, 0x200, v0
	v_cmp_gt_u32_e32 vcc, s2, v6
	s_and_saveexec_b64 s[0:1], vcc
	s_cbranch_execz .LBB1197_34
; %bb.33:
	v_lshlrev_b32_e32 v4, 3, v6
	global_load_dwordx2 v[6:7], v4, s[22:23]
	global_load_dwordx2 v[8:9], v4, s[24:25]
	s_waitcnt vmcnt(0)
	v_cmp_ne_u64_e32 vcc, v[6:7], v[8:9]
	v_cndmask_b32_e64 v4, 0, 1, vcc
.LBB1197_34:
	s_or_b64 exec, exec, s[0:1]
	v_or_b32_e32 v8, 0x280, v0
	v_cmp_gt_u32_e32 vcc, s2, v8
	v_mov_b32_e32 v6, 0
	v_mov_b32_e32 v7, 0
	s_and_saveexec_b64 s[0:1], vcc
	s_cbranch_execz .LBB1197_36
; %bb.35:
	v_lshlrev_b32_e32 v7, 3, v8
	global_load_dwordx2 v[8:9], v7, s[22:23]
	global_load_dwordx2 v[10:11], v7, s[24:25]
	s_waitcnt vmcnt(0)
	v_cmp_ne_u64_e32 vcc, v[8:9], v[10:11]
	v_cndmask_b32_e64 v7, 0, 1, vcc
.LBB1197_36:
	s_or_b64 exec, exec, s[0:1]
	v_or_b32_e32 v8, 0x300, v0
	v_cmp_gt_u32_e32 vcc, s2, v8
	s_and_saveexec_b64 s[0:1], vcc
	s_cbranch_execz .LBB1197_38
; %bb.37:
	v_lshlrev_b32_e32 v6, 3, v8
	global_load_dwordx2 v[8:9], v6, s[22:23]
	global_load_dwordx2 v[10:11], v6, s[24:25]
	s_waitcnt vmcnt(0)
	v_cmp_ne_u64_e32 vcc, v[8:9], v[10:11]
	v_cndmask_b32_e64 v6, 0, 1, vcc
.LBB1197_38:
	s_or_b64 exec, exec, s[0:1]
	v_or_b32_e32 v10, 0x380, v0
	v_cmp_gt_u32_e32 vcc, s2, v10
	v_mov_b32_e32 v8, 0
	v_mov_b32_e32 v9, 0
	s_and_saveexec_b64 s[0:1], vcc
	s_cbranch_execz .LBB1197_40
; %bb.39:
	v_lshlrev_b32_e32 v9, 3, v10
	global_load_dwordx2 v[10:11], v9, s[22:23]
	global_load_dwordx2 v[12:13], v9, s[24:25]
	s_waitcnt vmcnt(0)
	v_cmp_ne_u64_e32 vcc, v[10:11], v[12:13]
	v_cndmask_b32_e64 v9, 0, 1, vcc
.LBB1197_40:
	;; [unrolled: 28-line block ×13, first 2 shown]
	s_or_b64 exec, exec, s[0:1]
	v_or_b32_e32 v32, 0xf00, v0
	v_cmp_gt_u32_e32 vcc, s2, v32
	s_and_saveexec_b64 s[0:1], vcc
	s_cbranch_execz .LBB1197_86
; %bb.85:
	v_lshlrev_b32_e32 v30, 3, v32
	global_load_dwordx2 v[32:33], v30, s[22:23]
	global_load_dwordx2 v[34:35], v30, s[24:25]
	s_waitcnt vmcnt(0)
	v_cmp_ne_u64_e32 vcc, v[32:33], v[34:35]
	v_cndmask_b32_e64 v30, 0, 1, vcc
.LBB1197_86:
	s_or_b64 exec, exec, s[0:1]
	v_or_b32_e32 v33, 0xf80, v0
	v_cmp_gt_u32_e32 vcc, s2, v33
	v_mov_b32_e32 v32, 0
	s_and_saveexec_b64 s[0:1], vcc
	s_cbranch_execz .LBB1197_88
; %bb.87:
	v_lshlrev_b32_e32 v36, 3, v33
	global_load_dwordx2 v[32:33], v36, s[22:23]
	global_load_dwordx2 v[34:35], v36, s[24:25]
	s_waitcnt vmcnt(0)
	v_cmp_ne_u64_e32 vcc, v[32:33], v[34:35]
	v_cndmask_b32_e64 v32, 0, 1, vcc
.LBB1197_88:
	s_or_b64 exec, exec, s[0:1]
	v_add_u32_e32 v1, v3, v1
	v_add3_u32 v1, v1, v2, v5
	v_add3_u32 v1, v1, v4, v7
	;; [unrolled: 1-line block ×10, first 2 shown]
	v_mbcnt_lo_u32_b32 v2, -1, 0
	v_add3_u32 v1, v1, v22, v25
	v_mbcnt_hi_u32_b32 v2, -1, v2
	v_add3_u32 v1, v1, v24, v27
	v_and_b32_e32 v3, 63, v2
	v_add3_u32 v1, v1, v26, v29
	v_cmp_ne_u32_e32 vcc, 63, v3
	v_add3_u32 v1, v1, v28, v31
	v_addc_co_u32_e32 v4, vcc, 0, v2, vcc
	v_add3_u32 v1, v1, v30, v32
	v_lshlrev_b32_e32 v4, 2, v4
	ds_bpermute_b32 v4, v4, v1
	s_min_u32 s2, s2, 0x80
	v_and_b32_e32 v5, 64, v0
	v_sub_u32_e64 v5, s2, v5 clamp
	v_add_u32_e32 v6, 1, v3
	v_cmp_lt_u32_e32 vcc, v6, v5
	s_waitcnt lgkmcnt(0)
	v_cndmask_b32_e32 v4, 0, v4, vcc
	v_cmp_gt_u32_e32 vcc, 62, v3
	v_add_u32_e32 v1, v4, v1
	v_cndmask_b32_e64 v4, 0, 1, vcc
	v_lshlrev_b32_e32 v4, 1, v4
	v_add_lshl_u32 v4, v4, v2, 2
	ds_bpermute_b32 v4, v4, v1
	v_add_u32_e32 v6, 2, v3
	v_cmp_lt_u32_e32 vcc, v6, v5
	v_add_u32_e32 v6, 4, v3
	s_waitcnt lgkmcnt(0)
	v_cndmask_b32_e32 v4, 0, v4, vcc
	v_cmp_gt_u32_e32 vcc, 60, v3
	v_add_u32_e32 v1, v1, v4
	v_cndmask_b32_e64 v4, 0, 1, vcc
	v_lshlrev_b32_e32 v4, 2, v4
	v_add_lshl_u32 v4, v4, v2, 2
	ds_bpermute_b32 v4, v4, v1
	v_cmp_lt_u32_e32 vcc, v6, v5
	v_add_u32_e32 v6, 8, v3
	s_waitcnt lgkmcnt(0)
	v_cndmask_b32_e32 v4, 0, v4, vcc
	v_cmp_gt_u32_e32 vcc, 56, v3
	v_add_u32_e32 v1, v1, v4
	v_cndmask_b32_e64 v4, 0, 1, vcc
	v_lshlrev_b32_e32 v4, 3, v4
	v_add_lshl_u32 v4, v4, v2, 2
	ds_bpermute_b32 v4, v4, v1
	;; [unrolled: 10-line block ×3, first 2 shown]
	v_cmp_lt_u32_e32 vcc, v6, v5
	s_waitcnt lgkmcnt(0)
	v_cndmask_b32_e32 v4, 0, v4, vcc
	v_cmp_gt_u32_e32 vcc, 32, v3
	v_add_u32_e32 v1, v1, v4
	v_cndmask_b32_e64 v4, 0, 1, vcc
	v_lshlrev_b32_e32 v4, 5, v4
	v_add_lshl_u32 v4, v4, v2, 2
	ds_bpermute_b32 v4, v4, v1
	v_add_u32_e32 v3, 32, v3
	v_cmp_lt_u32_e32 vcc, v3, v5
	s_waitcnt lgkmcnt(0)
	v_cndmask_b32_e32 v3, 0, v4, vcc
	v_add_u32_e32 v1, v1, v3
	v_cmp_eq_u32_e32 vcc, 0, v2
	s_and_saveexec_b64 s[0:1], vcc
	s_cbranch_execz .LBB1197_90
; %bb.89:
	v_lshrrev_b32_e32 v3, 4, v0
	v_and_b32_e32 v3, 4, v3
	ds_write_b32 v3, v1 offset:48
.LBB1197_90:
	s_or_b64 exec, exec, s[0:1]
	v_cmp_gt_u32_e32 vcc, 2, v0
	s_waitcnt lgkmcnt(0)
	s_barrier
	s_and_saveexec_b64 s[0:1], vcc
	s_cbranch_execz .LBB1197_92
; %bb.91:
	v_lshlrev_b32_e32 v1, 2, v2
	ds_read_b32 v3, v1 offset:48
	v_or_b32_e32 v1, 4, v1
	s_add_i32 s2, s2, 63
	v_and_b32_e32 v2, 1, v2
	s_lshr_b32 s2, s2, 6
	s_waitcnt lgkmcnt(0)
	ds_bpermute_b32 v1, v1, v3
	v_add_u32_e32 v2, 1, v2
	v_cmp_gt_u32_e32 vcc, s2, v2
	s_waitcnt lgkmcnt(0)
	v_cndmask_b32_e32 v1, 0, v1, vcc
	v_add_u32_e32 v1, v1, v3
.LBB1197_92:
	s_or_b64 exec, exec, s[0:1]
	v_cmp_eq_u32_e64 s[0:1], 0, v0
	s_and_b64 vcc, exec, s[20:21]
	s_cbranch_vccnz .LBB1197_15
.LBB1197_93:
	s_branch .LBB1197_142
.LBB1197_94:
	s_mov_b64 s[0:1], -1
                                        ; implicit-def: $vgpr1
.LBB1197_95:
	s_and_b64 vcc, exec, s[0:1]
	s_cbranch_vccz .LBB1197_133
; %bb.96:
	s_sub_i32 s48, s36, s2
	v_cmp_gt_u32_e32 vcc, s48, v0
                                        ; implicit-def: $vgpr2_vgpr3_vgpr4_vgpr5_vgpr6_vgpr7_vgpr8_vgpr9_vgpr10_vgpr11_vgpr12_vgpr13_vgpr14_vgpr15_vgpr16_vgpr17
	s_and_saveexec_b64 s[0:1], vcc
	s_cbranch_execz .LBB1197_98
; %bb.97:
	v_lshlrev_b32_e32 v1, 3, v0
	global_load_dwordx2 v[2:3], v1, s[34:35]
	global_load_dwordx2 v[4:5], v1, s[44:45]
	s_waitcnt vmcnt(0)
	v_cmp_ne_u64_e32 vcc, v[2:3], v[4:5]
	v_cndmask_b32_e64 v2, 0, 1, vcc
.LBB1197_98:
	s_or_b64 exec, exec, s[0:1]
	v_or_b32_e32 v1, 0x80, v0
	v_cmp_gt_u32_e32 vcc, s48, v1
	s_and_saveexec_b64 s[2:3], vcc
	s_cbranch_execz .LBB1197_100
; %bb.99:
	v_lshlrev_b32_e32 v1, 3, v0
	global_load_dwordx2 v[18:19], v1, s[34:35] offset:1024
	global_load_dwordx2 v[20:21], v1, s[44:45] offset:1024
	s_waitcnt vmcnt(0)
	v_cmp_ne_u64_e64 s[0:1], v[18:19], v[20:21]
	v_cndmask_b32_e64 v3, 0, 1, s[0:1]
.LBB1197_100:
	s_or_b64 exec, exec, s[2:3]
	v_or_b32_e32 v1, 0x100, v0
	v_cmp_gt_u32_e64 s[0:1], s48, v1
	s_and_saveexec_b64 s[8:9], s[0:1]
	s_cbranch_execz .LBB1197_102
; %bb.101:
	v_lshlrev_b32_e32 v1, 3, v0
	global_load_dwordx2 v[18:19], v1, s[34:35] offset:2048
	global_load_dwordx2 v[20:21], v1, s[44:45] offset:2048
	s_waitcnt vmcnt(0)
	v_cmp_ne_u64_e64 s[2:3], v[18:19], v[20:21]
	v_cndmask_b32_e64 v4, 0, 1, s[2:3]
.LBB1197_102:
	s_or_b64 exec, exec, s[8:9]
	v_or_b32_e32 v1, 0x180, v0
	v_cmp_gt_u32_e64 s[2:3], s48, v1
	s_and_saveexec_b64 s[10:11], s[2:3]
	;; [unrolled: 13-line block ×3, first 2 shown]
	s_cbranch_execz .LBB1197_106
; %bb.105:
	v_lshlrev_b32_e32 v1, 3, v1
	global_load_dwordx2 v[18:19], v1, s[34:35]
	global_load_dwordx2 v[20:21], v1, s[44:45]
	s_waitcnt vmcnt(0)
	v_cmp_ne_u64_e64 s[10:11], v[18:19], v[20:21]
	v_cndmask_b32_e64 v6, 0, 1, s[10:11]
.LBB1197_106:
	s_or_b64 exec, exec, s[12:13]
	v_or_b32_e32 v1, 0x280, v0
	v_cmp_gt_u32_e64 s[10:11], s48, v1
	s_and_saveexec_b64 s[14:15], s[10:11]
	s_cbranch_execz .LBB1197_108
; %bb.107:
	v_lshlrev_b32_e32 v1, 3, v1
	global_load_dwordx2 v[18:19], v1, s[34:35]
	global_load_dwordx2 v[20:21], v1, s[44:45]
	s_waitcnt vmcnt(0)
	v_cmp_ne_u64_e64 s[12:13], v[18:19], v[20:21]
	v_cndmask_b32_e64 v7, 0, 1, s[12:13]
.LBB1197_108:
	s_or_b64 exec, exec, s[14:15]
	v_or_b32_e32 v1, 0x300, v0
	v_cmp_gt_u32_e64 s[12:13], s48, v1
	s_and_saveexec_b64 s[16:17], s[12:13]
	;; [unrolled: 13-line block ×11, first 2 shown]
	s_cbranch_execz .LBB1197_128
; %bb.127:
	v_lshlrev_b32_e32 v1, 3, v1
	global_load_dwordx2 v[18:19], v1, s[34:35]
	global_load_dwordx2 v[20:21], v1, s[44:45]
	s_waitcnt vmcnt(0)
	v_cmp_ne_u64_e64 s[34:35], v[18:19], v[20:21]
	v_cndmask_b32_e64 v17, 0, 1, s[34:35]
.LBB1197_128:
	s_or_b64 exec, exec, s[46:47]
	v_cndmask_b32_e32 v1, 0, v3, vcc
	v_add_u32_e32 v1, v1, v2
	v_cndmask_b32_e64 v2, 0, v4, s[0:1]
	v_cndmask_b32_e64 v3, 0, v5, s[2:3]
	v_add3_u32 v1, v1, v2, v3
	v_cndmask_b32_e64 v2, 0, v6, s[8:9]
	v_cndmask_b32_e64 v3, 0, v7, s[10:11]
	v_add3_u32 v1, v1, v2, v3
	;; [unrolled: 3-line block ×7, first 2 shown]
	v_mbcnt_lo_u32_b32 v2, -1, 0
	v_mbcnt_hi_u32_b32 v2, -1, v2
	v_and_b32_e32 v3, 63, v2
	v_cmp_ne_u32_e32 vcc, 63, v3
	v_addc_co_u32_e32 v4, vcc, 0, v2, vcc
	v_lshlrev_b32_e32 v4, 2, v4
	ds_bpermute_b32 v4, v4, v1
	s_min_u32 s2, s48, 0x80
	v_and_b32_e32 v5, 64, v0
	v_sub_u32_e64 v5, s2, v5 clamp
	v_add_u32_e32 v6, 1, v3
	v_cmp_lt_u32_e32 vcc, v6, v5
	s_waitcnt lgkmcnt(0)
	v_cndmask_b32_e32 v4, 0, v4, vcc
	v_cmp_gt_u32_e32 vcc, 62, v3
	v_add_u32_e32 v1, v1, v4
	v_cndmask_b32_e64 v4, 0, 1, vcc
	v_lshlrev_b32_e32 v4, 1, v4
	v_add_lshl_u32 v4, v4, v2, 2
	ds_bpermute_b32 v4, v4, v1
	v_add_u32_e32 v6, 2, v3
	v_cmp_lt_u32_e32 vcc, v6, v5
	v_add_u32_e32 v6, 4, v3
	s_waitcnt lgkmcnt(0)
	v_cndmask_b32_e32 v4, 0, v4, vcc
	v_cmp_gt_u32_e32 vcc, 60, v3
	v_add_u32_e32 v1, v1, v4
	v_cndmask_b32_e64 v4, 0, 1, vcc
	v_lshlrev_b32_e32 v4, 2, v4
	v_add_lshl_u32 v4, v4, v2, 2
	ds_bpermute_b32 v4, v4, v1
	v_cmp_lt_u32_e32 vcc, v6, v5
	v_add_u32_e32 v6, 8, v3
	s_waitcnt lgkmcnt(0)
	v_cndmask_b32_e32 v4, 0, v4, vcc
	v_cmp_gt_u32_e32 vcc, 56, v3
	v_add_u32_e32 v1, v1, v4
	v_cndmask_b32_e64 v4, 0, 1, vcc
	v_lshlrev_b32_e32 v4, 3, v4
	v_add_lshl_u32 v4, v4, v2, 2
	ds_bpermute_b32 v4, v4, v1
	;; [unrolled: 10-line block ×3, first 2 shown]
	v_cmp_lt_u32_e32 vcc, v6, v5
	s_waitcnt lgkmcnt(0)
	v_cndmask_b32_e32 v4, 0, v4, vcc
	v_cmp_gt_u32_e32 vcc, 32, v3
	v_add_u32_e32 v1, v1, v4
	v_cndmask_b32_e64 v4, 0, 1, vcc
	v_lshlrev_b32_e32 v4, 5, v4
	v_add_lshl_u32 v4, v4, v2, 2
	ds_bpermute_b32 v4, v4, v1
	v_add_u32_e32 v3, 32, v3
	v_cmp_lt_u32_e32 vcc, v3, v5
	s_waitcnt lgkmcnt(0)
	v_cndmask_b32_e32 v3, 0, v4, vcc
	v_add_u32_e32 v1, v1, v3
	v_cmp_eq_u32_e32 vcc, 0, v2
	s_and_saveexec_b64 s[0:1], vcc
	s_cbranch_execz .LBB1197_130
; %bb.129:
	v_lshrrev_b32_e32 v3, 4, v0
	v_and_b32_e32 v3, 4, v3
	ds_write_b32 v3, v1 offset:48
.LBB1197_130:
	s_or_b64 exec, exec, s[0:1]
	v_cmp_gt_u32_e32 vcc, 2, v0
	s_waitcnt lgkmcnt(0)
	s_barrier
	s_and_saveexec_b64 s[0:1], vcc
	s_cbranch_execz .LBB1197_132
; %bb.131:
	v_lshlrev_b32_e32 v1, 2, v2
	ds_read_b32 v3, v1 offset:48
	v_or_b32_e32 v1, 4, v1
	s_add_i32 s2, s2, 63
	v_and_b32_e32 v2, 1, v2
	s_lshr_b32 s2, s2, 6
	s_waitcnt lgkmcnt(0)
	ds_bpermute_b32 v1, v1, v3
	v_add_u32_e32 v2, 1, v2
	v_cmp_gt_u32_e32 vcc, s2, v2
	s_waitcnt lgkmcnt(0)
	v_cndmask_b32_e32 v1, 0, v1, vcc
	v_add_u32_e32 v1, v1, v3
.LBB1197_132:
	s_or_b64 exec, exec, s[0:1]
.LBB1197_133:
	v_cmp_eq_u32_e64 s[0:1], 0, v0
	s_branch .LBB1197_142
.LBB1197_134:
	s_cmp_eq_u32 s33, 8
	s_cbranch_scc0 .LBB1197_141
; %bb.135:
	s_mov_b32 s7, 0
	s_lshl_b32 s0, s6, 10
	s_mov_b32 s1, s7
	s_lshr_b64 s[2:3], s[36:37], 10
	s_lshl_b64 s[8:9], s[0:1], 3
	s_add_u32 s16, s40, s8
	s_addc_u32 s17, s41, s9
	s_add_u32 s18, s42, s8
	s_addc_u32 s19, s43, s9
	s_cmp_lg_u64 s[2:3], s[6:7]
	s_cbranch_scc0 .LBB1197_143
; %bb.136:
	v_lshlrev_b32_e32 v1, 3, v0
	v_mov_b32_e32 v2, s17
	v_add_co_u32_e32 v3, vcc, s16, v1
	v_addc_co_u32_e32 v16, vcc, 0, v2, vcc
	v_mov_b32_e32 v2, s19
	v_add_co_u32_e32 v18, vcc, s18, v1
	v_addc_co_u32_e32 v19, vcc, 0, v2, vcc
	global_load_dwordx2 v[4:5], v1, s[16:17]
	global_load_dwordx2 v[6:7], v1, s[16:17] offset:1024
	global_load_dwordx2 v[8:9], v1, s[16:17] offset:2048
	global_load_dwordx2 v[10:11], v1, s[18:19]
	global_load_dwordx2 v[12:13], v1, s[18:19] offset:1024
	global_load_dwordx2 v[14:15], v1, s[18:19] offset:2048
	s_movk_i32 s1, 0x1000
	v_add_co_u32_e32 v2, vcc, s1, v3
	v_addc_co_u32_e32 v3, vcc, 0, v16, vcc
	global_load_dwordx2 v[16:17], v[2:3], off
	v_add_co_u32_e32 v18, vcc, s1, v18
	v_addc_co_u32_e32 v19, vcc, 0, v19, vcc
	global_load_dwordx2 v[20:21], v[18:19], off
	global_load_dwordx2 v[22:23], v[2:3], off offset:2048
	global_load_dwordx2 v[24:25], v[18:19], off offset:2048
	global_load_dwordx2 v[26:27], v1, s[16:17] offset:3072
	global_load_dwordx2 v[28:29], v1, s[18:19] offset:3072
	global_load_dwordx2 v[30:31], v[2:3], off offset:1024
	global_load_dwordx2 v[32:33], v[18:19], off offset:1024
	;; [unrolled: 1-line block ×4, first 2 shown]
	v_mbcnt_lo_u32_b32 v1, -1, 0
	v_mbcnt_hi_u32_b32 v2, -1, v1
	v_lshlrev_b32_e32 v3, 2, v2
	s_waitcnt vmcnt(12)
	v_cmp_ne_u64_e32 vcc, v[4:5], v[10:11]
	v_cndmask_b32_e64 v1, 0, 1, vcc
	s_waitcnt vmcnt(10)
	v_cmp_ne_u64_e32 vcc, v[8:9], v[14:15]
	v_cndmask_b32_e64 v4, 0, 1, vcc
	v_cmp_ne_u64_e32 vcc, v[6:7], v[12:13]
	v_addc_co_u32_e32 v1, vcc, 0, v1, vcc
	s_waitcnt vmcnt(8)
	v_cmp_ne_u64_e32 vcc, v[16:17], v[20:21]
	v_cndmask_b32_e64 v5, 0, 1, vcc
	s_waitcnt vmcnt(6)
	v_cmp_ne_u64_e32 vcc, v[22:23], v[24:25]
	v_cndmask_b32_e64 v6, 0, 1, vcc
	s_waitcnt vmcnt(4)
	v_cmp_ne_u64_e32 vcc, v[26:27], v[28:29]
	v_addc_co_u32_e32 v1, vcc, v1, v4, vcc
	s_waitcnt vmcnt(2)
	v_cmp_ne_u64_e32 vcc, v[30:31], v[32:33]
	v_addc_co_u32_e32 v1, vcc, v1, v5, vcc
	;; [unrolled: 3-line block ×3, first 2 shown]
	v_or_b32_e32 v4, 0xfc, v3
	s_nop 0
	v_add_u32_dpp v1, v1, v1 quad_perm:[1,0,3,2] row_mask:0xf bank_mask:0xf bound_ctrl:1
	v_cmp_eq_u32_e32 vcc, 0, v2
	s_nop 0
	v_add_u32_dpp v1, v1, v1 quad_perm:[2,3,0,1] row_mask:0xf bank_mask:0xf bound_ctrl:1
	s_nop 1
	v_add_u32_dpp v1, v1, v1 row_ror:4 row_mask:0xf bank_mask:0xf bound_ctrl:1
	s_nop 1
	v_add_u32_dpp v1, v1, v1 row_ror:8 row_mask:0xf bank_mask:0xf bound_ctrl:1
	s_nop 1
	v_add_u32_dpp v1, v1, v1 row_bcast:15 row_mask:0xf bank_mask:0xf bound_ctrl:1
	s_nop 1
	v_add_u32_dpp v1, v1, v1 row_bcast:31 row_mask:0xf bank_mask:0xf bound_ctrl:1
	ds_bpermute_b32 v1, v4, v1
	s_and_saveexec_b64 s[2:3], vcc
	s_cbranch_execz .LBB1197_138
; %bb.137:
	v_lshrrev_b32_e32 v4, 4, v0
	v_and_b32_e32 v4, 4, v4
	s_waitcnt lgkmcnt(0)
	ds_write_b32 v4, v1 offset:40
.LBB1197_138:
	s_or_b64 exec, exec, s[2:3]
	v_cmp_gt_u32_e32 vcc, 64, v0
	s_waitcnt lgkmcnt(0)
	s_barrier
	s_and_saveexec_b64 s[2:3], vcc
	s_cbranch_execz .LBB1197_140
; %bb.139:
	v_and_b32_e32 v1, 1, v2
	v_lshlrev_b32_e32 v1, 2, v1
	ds_read_b32 v1, v1 offset:40
	v_or_b32_e32 v2, 4, v3
	s_waitcnt lgkmcnt(0)
	ds_bpermute_b32 v2, v2, v1
	s_waitcnt lgkmcnt(0)
	v_add_u32_e32 v1, v2, v1
.LBB1197_140:
	s_or_b64 exec, exec, s[2:3]
	s_branch .LBB1197_165
.LBB1197_141:
                                        ; implicit-def: $vgpr1
.LBB1197_142:
	s_branch .LBB1197_224
.LBB1197_143:
                                        ; implicit-def: $vgpr1
	s_cbranch_execz .LBB1197_165
; %bb.144:
	s_sub_i32 s22, s36, s0
	v_cmp_gt_u32_e32 vcc, s22, v0
                                        ; implicit-def: $vgpr2_vgpr3_vgpr4_vgpr5_vgpr6_vgpr7_vgpr8_vgpr9
	s_and_saveexec_b64 s[0:1], vcc
	s_cbranch_execz .LBB1197_146
; %bb.145:
	v_lshlrev_b32_e32 v1, 3, v0
	global_load_dwordx2 v[2:3], v1, s[16:17]
	global_load_dwordx2 v[4:5], v1, s[18:19]
	s_waitcnt vmcnt(0)
	v_cmp_ne_u64_e32 vcc, v[2:3], v[4:5]
	v_cndmask_b32_e64 v2, 0, 1, vcc
.LBB1197_146:
	s_or_b64 exec, exec, s[0:1]
	v_or_b32_e32 v1, 0x80, v0
	v_cmp_gt_u32_e32 vcc, s22, v1
	s_and_saveexec_b64 s[2:3], vcc
	s_cbranch_execz .LBB1197_148
; %bb.147:
	v_lshlrev_b32_e32 v1, 3, v0
	global_load_dwordx2 v[10:11], v1, s[16:17] offset:1024
	global_load_dwordx2 v[12:13], v1, s[18:19] offset:1024
	s_waitcnt vmcnt(0)
	v_cmp_ne_u64_e64 s[0:1], v[10:11], v[12:13]
	v_cndmask_b32_e64 v3, 0, 1, s[0:1]
.LBB1197_148:
	s_or_b64 exec, exec, s[2:3]
	v_or_b32_e32 v1, 0x100, v0
	v_cmp_gt_u32_e64 s[0:1], s22, v1
	s_and_saveexec_b64 s[8:9], s[0:1]
	s_cbranch_execz .LBB1197_150
; %bb.149:
	v_lshlrev_b32_e32 v1, 3, v0
	global_load_dwordx2 v[10:11], v1, s[16:17] offset:2048
	global_load_dwordx2 v[12:13], v1, s[18:19] offset:2048
	s_waitcnt vmcnt(0)
	v_cmp_ne_u64_e64 s[2:3], v[10:11], v[12:13]
	v_cndmask_b32_e64 v4, 0, 1, s[2:3]
.LBB1197_150:
	s_or_b64 exec, exec, s[8:9]
	v_or_b32_e32 v1, 0x180, v0
	v_cmp_gt_u32_e64 s[2:3], s22, v1
	s_and_saveexec_b64 s[10:11], s[2:3]
	;; [unrolled: 13-line block ×3, first 2 shown]
	s_cbranch_execz .LBB1197_154
; %bb.153:
	v_lshlrev_b32_e32 v1, 3, v1
	global_load_dwordx2 v[10:11], v1, s[16:17]
	global_load_dwordx2 v[12:13], v1, s[18:19]
	s_waitcnt vmcnt(0)
	v_cmp_ne_u64_e64 s[10:11], v[10:11], v[12:13]
	v_cndmask_b32_e64 v6, 0, 1, s[10:11]
.LBB1197_154:
	s_or_b64 exec, exec, s[12:13]
	v_or_b32_e32 v1, 0x280, v0
	v_cmp_gt_u32_e64 s[10:11], s22, v1
	s_and_saveexec_b64 s[14:15], s[10:11]
	s_cbranch_execz .LBB1197_156
; %bb.155:
	v_lshlrev_b32_e32 v1, 3, v1
	global_load_dwordx2 v[10:11], v1, s[16:17]
	global_load_dwordx2 v[12:13], v1, s[18:19]
	s_waitcnt vmcnt(0)
	v_cmp_ne_u64_e64 s[12:13], v[10:11], v[12:13]
	v_cndmask_b32_e64 v7, 0, 1, s[12:13]
.LBB1197_156:
	s_or_b64 exec, exec, s[14:15]
	v_or_b32_e32 v1, 0x300, v0
	v_cmp_gt_u32_e64 s[12:13], s22, v1
	s_and_saveexec_b64 s[20:21], s[12:13]
	;; [unrolled: 13-line block ×3, first 2 shown]
	s_cbranch_execz .LBB1197_160
; %bb.159:
	v_lshlrev_b32_e32 v1, 3, v1
	global_load_dwordx2 v[10:11], v1, s[16:17]
	global_load_dwordx2 v[12:13], v1, s[18:19]
	s_waitcnt vmcnt(0)
	v_cmp_ne_u64_e64 s[16:17], v[10:11], v[12:13]
	v_cndmask_b32_e64 v9, 0, 1, s[16:17]
.LBB1197_160:
	s_or_b64 exec, exec, s[20:21]
	v_cndmask_b32_e32 v1, 0, v3, vcc
	v_add_u32_e32 v1, v1, v2
	v_cndmask_b32_e64 v2, 0, v4, s[0:1]
	v_cndmask_b32_e64 v3, 0, v5, s[2:3]
	v_add3_u32 v1, v1, v2, v3
	v_cndmask_b32_e64 v2, 0, v6, s[8:9]
	v_cndmask_b32_e64 v3, 0, v7, s[10:11]
	v_add3_u32 v1, v1, v2, v3
	;; [unrolled: 3-line block ×3, first 2 shown]
	v_mbcnt_lo_u32_b32 v2, -1, 0
	v_mbcnt_hi_u32_b32 v2, -1, v2
	v_and_b32_e32 v3, 63, v2
	v_cmp_ne_u32_e32 vcc, 63, v3
	v_addc_co_u32_e32 v4, vcc, 0, v2, vcc
	v_lshlrev_b32_e32 v4, 2, v4
	ds_bpermute_b32 v4, v4, v1
	s_min_u32 s2, s22, 0x80
	v_and_b32_e32 v5, 64, v0
	v_sub_u32_e64 v5, s2, v5 clamp
	v_add_u32_e32 v6, 1, v3
	v_cmp_lt_u32_e32 vcc, v6, v5
	s_waitcnt lgkmcnt(0)
	v_cndmask_b32_e32 v4, 0, v4, vcc
	v_cmp_gt_u32_e32 vcc, 62, v3
	v_add_u32_e32 v1, v1, v4
	v_cndmask_b32_e64 v4, 0, 1, vcc
	v_lshlrev_b32_e32 v4, 1, v4
	v_add_lshl_u32 v4, v4, v2, 2
	ds_bpermute_b32 v4, v4, v1
	v_add_u32_e32 v6, 2, v3
	v_cmp_lt_u32_e32 vcc, v6, v5
	v_add_u32_e32 v6, 4, v3
	s_waitcnt lgkmcnt(0)
	v_cndmask_b32_e32 v4, 0, v4, vcc
	v_cmp_gt_u32_e32 vcc, 60, v3
	v_add_u32_e32 v1, v1, v4
	v_cndmask_b32_e64 v4, 0, 1, vcc
	v_lshlrev_b32_e32 v4, 2, v4
	v_add_lshl_u32 v4, v4, v2, 2
	ds_bpermute_b32 v4, v4, v1
	v_cmp_lt_u32_e32 vcc, v6, v5
	v_add_u32_e32 v6, 8, v3
	s_waitcnt lgkmcnt(0)
	v_cndmask_b32_e32 v4, 0, v4, vcc
	v_cmp_gt_u32_e32 vcc, 56, v3
	v_add_u32_e32 v1, v1, v4
	v_cndmask_b32_e64 v4, 0, 1, vcc
	v_lshlrev_b32_e32 v4, 3, v4
	v_add_lshl_u32 v4, v4, v2, 2
	ds_bpermute_b32 v4, v4, v1
	;; [unrolled: 10-line block ×3, first 2 shown]
	v_cmp_lt_u32_e32 vcc, v6, v5
	s_waitcnt lgkmcnt(0)
	v_cndmask_b32_e32 v4, 0, v4, vcc
	v_cmp_gt_u32_e32 vcc, 32, v3
	v_add_u32_e32 v1, v1, v4
	v_cndmask_b32_e64 v4, 0, 1, vcc
	v_lshlrev_b32_e32 v4, 5, v4
	v_add_lshl_u32 v4, v4, v2, 2
	ds_bpermute_b32 v4, v4, v1
	v_add_u32_e32 v3, 32, v3
	v_cmp_lt_u32_e32 vcc, v3, v5
	s_waitcnt lgkmcnt(0)
	v_cndmask_b32_e32 v3, 0, v4, vcc
	v_add_u32_e32 v1, v1, v3
	v_cmp_eq_u32_e32 vcc, 0, v2
	s_and_saveexec_b64 s[0:1], vcc
	s_cbranch_execz .LBB1197_162
; %bb.161:
	v_lshrrev_b32_e32 v3, 4, v0
	v_and_b32_e32 v3, 4, v3
	ds_write_b32 v3, v1 offset:48
.LBB1197_162:
	s_or_b64 exec, exec, s[0:1]
	v_cmp_gt_u32_e32 vcc, 2, v0
	s_waitcnt lgkmcnt(0)
	s_barrier
	s_and_saveexec_b64 s[0:1], vcc
	s_cbranch_execz .LBB1197_164
; %bb.163:
	v_lshlrev_b32_e32 v1, 2, v2
	ds_read_b32 v3, v1 offset:48
	v_or_b32_e32 v1, 4, v1
	s_add_i32 s2, s2, 63
	v_and_b32_e32 v2, 1, v2
	s_lshr_b32 s2, s2, 6
	s_waitcnt lgkmcnt(0)
	ds_bpermute_b32 v1, v1, v3
	v_add_u32_e32 v2, 1, v2
	v_cmp_gt_u32_e32 vcc, s2, v2
	s_waitcnt lgkmcnt(0)
	v_cndmask_b32_e32 v1, 0, v1, vcc
	v_add_u32_e32 v1, v1, v3
.LBB1197_164:
	s_or_b64 exec, exec, s[0:1]
.LBB1197_165:
	v_cmp_eq_u32_e64 s[0:1], 0, v0
	s_branch .LBB1197_224
.LBB1197_166:
	s_cmp_gt_i32 s33, 1
	s_cbranch_scc0 .LBB1197_175
; %bb.167:
	s_cmp_gt_i32 s33, 3
	s_cbranch_scc0 .LBB1197_176
; %bb.168:
	s_cmp_eq_u32 s33, 4
	s_cbranch_scc0 .LBB1197_177
; %bb.169:
	s_mov_b32 s7, 0
	s_lshl_b32 s0, s6, 9
	s_mov_b32 s1, s7
	s_lshr_b64 s[2:3], s[36:37], 9
	s_lshl_b64 s[10:11], s[0:1], 3
	s_add_u32 s8, s40, s10
	s_addc_u32 s9, s41, s11
	s_add_u32 s10, s42, s10
	s_addc_u32 s11, s43, s11
	s_cmp_lg_u64 s[2:3], s[6:7]
	s_cbranch_scc0 .LBB1197_179
; %bb.170:
	v_lshlrev_b32_e32 v1, 3, v0
	global_load_dwordx2 v[4:5], v1, s[8:9]
	global_load_dwordx2 v[6:7], v1, s[10:11]
	global_load_dwordx2 v[8:9], v1, s[8:9] offset:2048
	global_load_dwordx2 v[10:11], v1, s[10:11] offset:2048
	global_load_dwordx2 v[12:13], v1, s[8:9] offset:1024
	global_load_dwordx2 v[14:15], v1, s[10:11] offset:1024
	global_load_dwordx2 v[16:17], v1, s[8:9] offset:3072
	global_load_dwordx2 v[18:19], v1, s[10:11] offset:3072
	v_mbcnt_lo_u32_b32 v1, -1, 0
	v_mbcnt_hi_u32_b32 v2, -1, v1
	v_lshlrev_b32_e32 v3, 2, v2
	s_waitcnt vmcnt(6)
	v_cmp_ne_u64_e32 vcc, v[4:5], v[6:7]
	v_cndmask_b32_e64 v1, 0, 1, vcc
	s_waitcnt vmcnt(4)
	v_cmp_ne_u64_e32 vcc, v[8:9], v[10:11]
	v_cndmask_b32_e64 v4, 0, 1, vcc
	s_waitcnt vmcnt(2)
	v_cmp_ne_u64_e32 vcc, v[12:13], v[14:15]
	v_addc_co_u32_e32 v1, vcc, 0, v1, vcc
	s_waitcnt vmcnt(0)
	v_cmp_ne_u64_e32 vcc, v[16:17], v[18:19]
	v_addc_co_u32_e32 v1, vcc, v1, v4, vcc
	v_or_b32_e32 v4, 0xfc, v3
	s_nop 0
	v_add_u32_dpp v1, v1, v1 quad_perm:[1,0,3,2] row_mask:0xf bank_mask:0xf bound_ctrl:1
	v_cmp_eq_u32_e32 vcc, 0, v2
	s_nop 0
	v_add_u32_dpp v1, v1, v1 quad_perm:[2,3,0,1] row_mask:0xf bank_mask:0xf bound_ctrl:1
	s_nop 1
	v_add_u32_dpp v1, v1, v1 row_ror:4 row_mask:0xf bank_mask:0xf bound_ctrl:1
	s_nop 1
	v_add_u32_dpp v1, v1, v1 row_ror:8 row_mask:0xf bank_mask:0xf bound_ctrl:1
	s_nop 1
	v_add_u32_dpp v1, v1, v1 row_bcast:15 row_mask:0xf bank_mask:0xf bound_ctrl:1
	s_nop 1
	v_add_u32_dpp v1, v1, v1 row_bcast:31 row_mask:0xf bank_mask:0xf bound_ctrl:1
	ds_bpermute_b32 v1, v4, v1
	s_and_saveexec_b64 s[2:3], vcc
	s_cbranch_execz .LBB1197_172
; %bb.171:
	v_lshrrev_b32_e32 v4, 4, v0
	v_and_b32_e32 v4, 4, v4
	s_waitcnt lgkmcnt(0)
	ds_write_b32 v4, v1 offset:32
.LBB1197_172:
	s_or_b64 exec, exec, s[2:3]
	v_cmp_gt_u32_e32 vcc, 64, v0
	s_waitcnt lgkmcnt(0)
	s_barrier
	s_and_saveexec_b64 s[2:3], vcc
	s_cbranch_execz .LBB1197_174
; %bb.173:
	v_and_b32_e32 v1, 1, v2
	v_lshlrev_b32_e32 v1, 2, v1
	ds_read_b32 v1, v1 offset:32
	v_or_b32_e32 v2, 4, v3
	s_waitcnt lgkmcnt(0)
	ds_bpermute_b32 v2, v2, v1
	s_waitcnt lgkmcnt(0)
	v_add_u32_e32 v1, v2, v1
.LBB1197_174:
	s_or_b64 exec, exec, s[2:3]
	s_mov_b64 s[2:3], 0
	s_branch .LBB1197_180
.LBB1197_175:
                                        ; implicit-def: $vgpr1
	s_cbranch_execnz .LBB1197_215
	s_branch .LBB1197_224
.LBB1197_176:
                                        ; implicit-def: $vgpr1
	s_cbranch_execz .LBB1197_178
	s_branch .LBB1197_195
.LBB1197_177:
                                        ; implicit-def: $vgpr1
.LBB1197_178:
	s_branch .LBB1197_224
.LBB1197_179:
	s_mov_b64 s[2:3], -1
                                        ; implicit-def: $vgpr1
.LBB1197_180:
	s_and_b64 vcc, exec, s[2:3]
	s_cbranch_vccz .LBB1197_194
; %bb.181:
	s_sub_i32 s14, s36, s0
	v_cmp_gt_u32_e32 vcc, s14, v0
                                        ; implicit-def: $vgpr2_vgpr3_vgpr4_vgpr5
	s_and_saveexec_b64 s[0:1], vcc
	s_cbranch_execz .LBB1197_183
; %bb.182:
	v_lshlrev_b32_e32 v1, 3, v0
	global_load_dwordx2 v[2:3], v1, s[8:9]
	global_load_dwordx2 v[4:5], v1, s[10:11]
	s_waitcnt vmcnt(0)
	v_cmp_ne_u64_e32 vcc, v[2:3], v[4:5]
	v_cndmask_b32_e64 v2, 0, 1, vcc
.LBB1197_183:
	s_or_b64 exec, exec, s[0:1]
	v_or_b32_e32 v1, 0x80, v0
	v_cmp_gt_u32_e32 vcc, s14, v1
	s_and_saveexec_b64 s[2:3], vcc
	s_cbranch_execz .LBB1197_185
; %bb.184:
	v_lshlrev_b32_e32 v1, 3, v0
	global_load_dwordx2 v[6:7], v1, s[8:9] offset:1024
	global_load_dwordx2 v[8:9], v1, s[10:11] offset:1024
	s_waitcnt vmcnt(0)
	v_cmp_ne_u64_e64 s[0:1], v[6:7], v[8:9]
	v_cndmask_b32_e64 v3, 0, 1, s[0:1]
.LBB1197_185:
	s_or_b64 exec, exec, s[2:3]
	v_or_b32_e32 v1, 0x100, v0
	v_cmp_gt_u32_e64 s[0:1], s14, v1
	s_and_saveexec_b64 s[12:13], s[0:1]
	s_cbranch_execz .LBB1197_187
; %bb.186:
	v_lshlrev_b32_e32 v1, 3, v0
	global_load_dwordx2 v[6:7], v1, s[8:9] offset:2048
	global_load_dwordx2 v[8:9], v1, s[10:11] offset:2048
	s_waitcnt vmcnt(0)
	v_cmp_ne_u64_e64 s[2:3], v[6:7], v[8:9]
	v_cndmask_b32_e64 v4, 0, 1, s[2:3]
.LBB1197_187:
	s_or_b64 exec, exec, s[12:13]
	v_or_b32_e32 v1, 0x180, v0
	v_cmp_gt_u32_e64 s[2:3], s14, v1
	s_and_saveexec_b64 s[12:13], s[2:3]
	s_cbranch_execz .LBB1197_189
; %bb.188:
	v_lshlrev_b32_e32 v1, 3, v0
	global_load_dwordx2 v[6:7], v1, s[8:9] offset:3072
	global_load_dwordx2 v[8:9], v1, s[10:11] offset:3072
	s_waitcnt vmcnt(0)
	v_cmp_ne_u64_e64 s[8:9], v[6:7], v[8:9]
	v_cndmask_b32_e64 v5, 0, 1, s[8:9]
.LBB1197_189:
	s_or_b64 exec, exec, s[12:13]
	v_cndmask_b32_e32 v1, 0, v3, vcc
	v_add_u32_e32 v1, v1, v2
	v_cndmask_b32_e64 v2, 0, v4, s[0:1]
	v_cndmask_b32_e64 v3, 0, v5, s[2:3]
	v_add3_u32 v1, v1, v2, v3
	v_mbcnt_lo_u32_b32 v2, -1, 0
	v_mbcnt_hi_u32_b32 v2, -1, v2
	v_and_b32_e32 v3, 63, v2
	v_cmp_ne_u32_e32 vcc, 63, v3
	v_addc_co_u32_e32 v4, vcc, 0, v2, vcc
	v_lshlrev_b32_e32 v4, 2, v4
	ds_bpermute_b32 v4, v4, v1
	s_min_u32 s2, s14, 0x80
	v_and_b32_e32 v5, 64, v0
	v_sub_u32_e64 v5, s2, v5 clamp
	v_add_u32_e32 v6, 1, v3
	v_cmp_lt_u32_e32 vcc, v6, v5
	s_waitcnt lgkmcnt(0)
	v_cndmask_b32_e32 v4, 0, v4, vcc
	v_cmp_gt_u32_e32 vcc, 62, v3
	v_add_u32_e32 v1, v4, v1
	v_cndmask_b32_e64 v4, 0, 1, vcc
	v_lshlrev_b32_e32 v4, 1, v4
	v_add_lshl_u32 v4, v4, v2, 2
	ds_bpermute_b32 v4, v4, v1
	v_add_u32_e32 v6, 2, v3
	v_cmp_lt_u32_e32 vcc, v6, v5
	v_add_u32_e32 v6, 4, v3
	s_waitcnt lgkmcnt(0)
	v_cndmask_b32_e32 v4, 0, v4, vcc
	v_cmp_gt_u32_e32 vcc, 60, v3
	v_add_u32_e32 v1, v1, v4
	v_cndmask_b32_e64 v4, 0, 1, vcc
	v_lshlrev_b32_e32 v4, 2, v4
	v_add_lshl_u32 v4, v4, v2, 2
	ds_bpermute_b32 v4, v4, v1
	v_cmp_lt_u32_e32 vcc, v6, v5
	v_add_u32_e32 v6, 8, v3
	s_waitcnt lgkmcnt(0)
	v_cndmask_b32_e32 v4, 0, v4, vcc
	v_cmp_gt_u32_e32 vcc, 56, v3
	v_add_u32_e32 v1, v1, v4
	v_cndmask_b32_e64 v4, 0, 1, vcc
	v_lshlrev_b32_e32 v4, 3, v4
	v_add_lshl_u32 v4, v4, v2, 2
	ds_bpermute_b32 v4, v4, v1
	;; [unrolled: 10-line block ×3, first 2 shown]
	v_cmp_lt_u32_e32 vcc, v6, v5
	s_waitcnt lgkmcnt(0)
	v_cndmask_b32_e32 v4, 0, v4, vcc
	v_cmp_gt_u32_e32 vcc, 32, v3
	v_add_u32_e32 v1, v1, v4
	v_cndmask_b32_e64 v4, 0, 1, vcc
	v_lshlrev_b32_e32 v4, 5, v4
	v_add_lshl_u32 v4, v4, v2, 2
	ds_bpermute_b32 v4, v4, v1
	v_add_u32_e32 v3, 32, v3
	v_cmp_lt_u32_e32 vcc, v3, v5
	s_waitcnt lgkmcnt(0)
	v_cndmask_b32_e32 v3, 0, v4, vcc
	v_add_u32_e32 v1, v1, v3
	v_cmp_eq_u32_e32 vcc, 0, v2
	s_and_saveexec_b64 s[0:1], vcc
	s_cbranch_execz .LBB1197_191
; %bb.190:
	v_lshrrev_b32_e32 v3, 4, v0
	v_and_b32_e32 v3, 4, v3
	ds_write_b32 v3, v1 offset:48
.LBB1197_191:
	s_or_b64 exec, exec, s[0:1]
	v_cmp_gt_u32_e32 vcc, 2, v0
	s_waitcnt lgkmcnt(0)
	s_barrier
	s_and_saveexec_b64 s[0:1], vcc
	s_cbranch_execz .LBB1197_193
; %bb.192:
	v_lshlrev_b32_e32 v1, 2, v2
	ds_read_b32 v3, v1 offset:48
	v_or_b32_e32 v1, 4, v1
	s_add_i32 s2, s2, 63
	v_and_b32_e32 v2, 1, v2
	s_lshr_b32 s2, s2, 6
	s_waitcnt lgkmcnt(0)
	ds_bpermute_b32 v1, v1, v3
	v_add_u32_e32 v2, 1, v2
	v_cmp_gt_u32_e32 vcc, s2, v2
	s_waitcnt lgkmcnt(0)
	v_cndmask_b32_e32 v1, 0, v1, vcc
	v_add_u32_e32 v1, v1, v3
.LBB1197_193:
	s_or_b64 exec, exec, s[0:1]
.LBB1197_194:
	v_cmp_eq_u32_e64 s[0:1], 0, v0
	s_branch .LBB1197_178
.LBB1197_195:
	s_cmp_eq_u32 s33, 2
	s_cbranch_scc0 .LBB1197_202
; %bb.196:
	s_mov_b32 s7, 0
	s_lshl_b32 s10, s6, 8
	s_mov_b32 s11, s7
	s_lshr_b64 s[0:1], s[36:37], 8
	s_lshl_b64 s[8:9], s[10:11], 3
	s_add_u32 s2, s40, s8
	s_addc_u32 s3, s41, s9
	s_add_u32 s8, s42, s8
	s_addc_u32 s9, s43, s9
	s_cmp_lg_u64 s[0:1], s[6:7]
	s_cbranch_scc0 .LBB1197_203
; %bb.197:
	v_lshlrev_b32_e32 v1, 3, v0
	global_load_dwordx2 v[4:5], v1, s[2:3]
	global_load_dwordx2 v[6:7], v1, s[8:9]
	global_load_dwordx2 v[8:9], v1, s[8:9] offset:1024
	global_load_dwordx2 v[10:11], v1, s[2:3] offset:1024
	v_mbcnt_lo_u32_b32 v1, -1, 0
	v_mbcnt_hi_u32_b32 v2, -1, v1
	v_lshlrev_b32_e32 v3, 2, v2
	s_waitcnt vmcnt(2)
	v_cmp_ne_u64_e32 vcc, v[4:5], v[6:7]
	v_cndmask_b32_e64 v1, 0, 1, vcc
	s_waitcnt vmcnt(0)
	v_cmp_ne_u64_e32 vcc, v[10:11], v[8:9]
	v_addc_co_u32_e64 v4, s[0:1], 0, v1, vcc
	s_nop 1
	v_mov_b32_dpp v4, v4 quad_perm:[1,0,3,2] row_mask:0xf bank_mask:0xf bound_ctrl:1
	v_addc_co_u32_e32 v1, vcc, v4, v1, vcc
	v_or_b32_e32 v4, 0xfc, v3
	s_nop 0
	v_add_u32_dpp v1, v1, v1 quad_perm:[2,3,0,1] row_mask:0xf bank_mask:0xf bound_ctrl:1
	v_cmp_eq_u32_e32 vcc, 0, v2
	s_nop 0
	v_add_u32_dpp v1, v1, v1 row_ror:4 row_mask:0xf bank_mask:0xf bound_ctrl:1
	s_nop 1
	v_add_u32_dpp v1, v1, v1 row_ror:8 row_mask:0xf bank_mask:0xf bound_ctrl:1
	s_nop 1
	v_add_u32_dpp v1, v1, v1 row_bcast:15 row_mask:0xf bank_mask:0xf bound_ctrl:1
	s_nop 1
	v_add_u32_dpp v1, v1, v1 row_bcast:31 row_mask:0xf bank_mask:0xf bound_ctrl:1
	ds_bpermute_b32 v1, v4, v1
	s_and_saveexec_b64 s[0:1], vcc
	s_cbranch_execz .LBB1197_199
; %bb.198:
	v_lshrrev_b32_e32 v4, 4, v0
	v_and_b32_e32 v4, 4, v4
	s_waitcnt lgkmcnt(0)
	ds_write_b32 v4, v1 offset:16
.LBB1197_199:
	s_or_b64 exec, exec, s[0:1]
	v_cmp_gt_u32_e32 vcc, 64, v0
	s_waitcnt lgkmcnt(0)
	s_barrier
	s_and_saveexec_b64 s[0:1], vcc
	s_cbranch_execz .LBB1197_201
; %bb.200:
	v_and_b32_e32 v1, 1, v2
	v_lshlrev_b32_e32 v1, 2, v1
	ds_read_b32 v1, v1 offset:16
	v_or_b32_e32 v2, 4, v3
	s_waitcnt lgkmcnt(0)
	ds_bpermute_b32 v2, v2, v1
	s_waitcnt lgkmcnt(0)
	v_add_u32_e32 v1, v2, v1
.LBB1197_201:
	s_or_b64 exec, exec, s[0:1]
	s_mov_b64 s[0:1], 0
	s_branch .LBB1197_204
.LBB1197_202:
                                        ; implicit-def: $vgpr1
	s_branch .LBB1197_224
.LBB1197_203:
	s_mov_b64 s[0:1], -1
                                        ; implicit-def: $vgpr1
.LBB1197_204:
	s_and_b64 vcc, exec, s[0:1]
	s_cbranch_vccz .LBB1197_214
; %bb.205:
	s_sub_i32 s12, s36, s10
	v_cmp_gt_u32_e32 vcc, s12, v0
                                        ; implicit-def: $vgpr2_vgpr3
	s_and_saveexec_b64 s[0:1], vcc
	s_cbranch_execz .LBB1197_207
; %bb.206:
	v_lshlrev_b32_e32 v1, 3, v0
	global_load_dwordx2 v[2:3], v1, s[2:3]
	global_load_dwordx2 v[4:5], v1, s[8:9]
	s_waitcnt vmcnt(0)
	v_cmp_ne_u64_e32 vcc, v[2:3], v[4:5]
	v_cndmask_b32_e64 v2, 0, 1, vcc
.LBB1197_207:
	s_or_b64 exec, exec, s[0:1]
	v_or_b32_e32 v1, 0x80, v0
	v_cmp_gt_u32_e32 vcc, s12, v1
	s_and_saveexec_b64 s[10:11], vcc
	s_cbranch_execz .LBB1197_209
; %bb.208:
	v_lshlrev_b32_e32 v1, 3, v0
	global_load_dwordx2 v[4:5], v1, s[2:3] offset:1024
	global_load_dwordx2 v[6:7], v1, s[8:9] offset:1024
	s_waitcnt vmcnt(0)
	v_cmp_ne_u64_e64 s[0:1], v[4:5], v[6:7]
	v_cndmask_b32_e64 v3, 0, 1, s[0:1]
.LBB1197_209:
	s_or_b64 exec, exec, s[10:11]
	v_cndmask_b32_e32 v1, 0, v3, vcc
	v_add_u32_e32 v1, v1, v2
	v_mbcnt_lo_u32_b32 v2, -1, 0
	v_mbcnt_hi_u32_b32 v2, -1, v2
	v_and_b32_e32 v3, 63, v2
	v_cmp_ne_u32_e32 vcc, 63, v3
	v_addc_co_u32_e32 v4, vcc, 0, v2, vcc
	v_lshlrev_b32_e32 v4, 2, v4
	ds_bpermute_b32 v4, v4, v1
	s_min_u32 s2, s12, 0x80
	v_and_b32_e32 v5, 64, v0
	v_sub_u32_e64 v5, s2, v5 clamp
	v_add_u32_e32 v6, 1, v3
	v_cmp_lt_u32_e32 vcc, v6, v5
	s_waitcnt lgkmcnt(0)
	v_cndmask_b32_e32 v4, 0, v4, vcc
	v_cmp_gt_u32_e32 vcc, 62, v3
	v_add_u32_e32 v1, v4, v1
	v_cndmask_b32_e64 v4, 0, 1, vcc
	v_lshlrev_b32_e32 v4, 1, v4
	v_add_lshl_u32 v4, v4, v2, 2
	ds_bpermute_b32 v4, v4, v1
	v_add_u32_e32 v6, 2, v3
	v_cmp_lt_u32_e32 vcc, v6, v5
	v_add_u32_e32 v6, 4, v3
	s_waitcnt lgkmcnt(0)
	v_cndmask_b32_e32 v4, 0, v4, vcc
	v_cmp_gt_u32_e32 vcc, 60, v3
	v_add_u32_e32 v1, v1, v4
	v_cndmask_b32_e64 v4, 0, 1, vcc
	v_lshlrev_b32_e32 v4, 2, v4
	v_add_lshl_u32 v4, v4, v2, 2
	ds_bpermute_b32 v4, v4, v1
	v_cmp_lt_u32_e32 vcc, v6, v5
	v_add_u32_e32 v6, 8, v3
	s_waitcnt lgkmcnt(0)
	v_cndmask_b32_e32 v4, 0, v4, vcc
	v_cmp_gt_u32_e32 vcc, 56, v3
	v_add_u32_e32 v1, v1, v4
	v_cndmask_b32_e64 v4, 0, 1, vcc
	v_lshlrev_b32_e32 v4, 3, v4
	v_add_lshl_u32 v4, v4, v2, 2
	ds_bpermute_b32 v4, v4, v1
	v_cmp_lt_u32_e32 vcc, v6, v5
	v_add_u32_e32 v6, 16, v3
	s_waitcnt lgkmcnt(0)
	v_cndmask_b32_e32 v4, 0, v4, vcc
	v_cmp_gt_u32_e32 vcc, 48, v3
	v_add_u32_e32 v1, v1, v4
	v_cndmask_b32_e64 v4, 0, 1, vcc
	v_lshlrev_b32_e32 v4, 4, v4
	v_add_lshl_u32 v4, v4, v2, 2
	ds_bpermute_b32 v4, v4, v1
	v_cmp_lt_u32_e32 vcc, v6, v5
	s_waitcnt lgkmcnt(0)
	v_cndmask_b32_e32 v4, 0, v4, vcc
	v_cmp_gt_u32_e32 vcc, 32, v3
	v_add_u32_e32 v1, v1, v4
	v_cndmask_b32_e64 v4, 0, 1, vcc
	v_lshlrev_b32_e32 v4, 5, v4
	v_add_lshl_u32 v4, v4, v2, 2
	ds_bpermute_b32 v4, v4, v1
	v_add_u32_e32 v3, 32, v3
	v_cmp_lt_u32_e32 vcc, v3, v5
	s_waitcnt lgkmcnt(0)
	v_cndmask_b32_e32 v3, 0, v4, vcc
	v_add_u32_e32 v1, v1, v3
	v_cmp_eq_u32_e32 vcc, 0, v2
	s_and_saveexec_b64 s[0:1], vcc
	s_cbranch_execz .LBB1197_211
; %bb.210:
	v_lshrrev_b32_e32 v3, 4, v0
	v_and_b32_e32 v3, 4, v3
	ds_write_b32 v3, v1 offset:48
.LBB1197_211:
	s_or_b64 exec, exec, s[0:1]
	v_cmp_gt_u32_e32 vcc, 2, v0
	s_waitcnt lgkmcnt(0)
	s_barrier
	s_and_saveexec_b64 s[0:1], vcc
	s_cbranch_execz .LBB1197_213
; %bb.212:
	v_lshlrev_b32_e32 v1, 2, v2
	ds_read_b32 v3, v1 offset:48
	v_or_b32_e32 v1, 4, v1
	s_add_i32 s2, s2, 63
	v_and_b32_e32 v2, 1, v2
	s_lshr_b32 s2, s2, 6
	s_waitcnt lgkmcnt(0)
	ds_bpermute_b32 v1, v1, v3
	v_add_u32_e32 v2, 1, v2
	v_cmp_gt_u32_e32 vcc, s2, v2
	s_waitcnt lgkmcnt(0)
	v_cndmask_b32_e32 v1, 0, v1, vcc
	v_add_u32_e32 v1, v1, v3
.LBB1197_213:
	s_or_b64 exec, exec, s[0:1]
.LBB1197_214:
	v_cmp_eq_u32_e64 s[0:1], 0, v0
	s_branch .LBB1197_224
.LBB1197_215:
	s_cmp_eq_u32 s33, 1
	s_cbranch_scc0 .LBB1197_223
; %bb.216:
	s_mov_b32 s3, 0
	s_lshl_b32 s2, s6, 7
	s_mov_b32 s7, s3
	s_lshr_b64 s[0:1], s[36:37], 7
	s_cmp_lg_u64 s[0:1], s[6:7]
	v_mbcnt_lo_u32_b32 v2, -1, 0
	s_cbranch_scc0 .LBB1197_227
; %bb.217:
	s_lshl_b64 s[0:1], s[2:3], 3
	s_add_u32 s8, s40, s0
	s_addc_u32 s9, s41, s1
	s_add_u32 s0, s42, s0
	v_lshlrev_b32_e32 v1, 3, v0
	s_addc_u32 s1, s43, s1
	global_load_dwordx2 v[6:7], v1, s[8:9]
	global_load_dwordx2 v[8:9], v1, s[0:1]
	v_mbcnt_hi_u32_b32 v3, -1, v2
	v_lshlrev_b32_e32 v4, 2, v3
	s_waitcnt vmcnt(0)
	v_cmp_ne_u64_e32 vcc, v[6:7], v[8:9]
	v_cndmask_b32_e64 v1, 0, 1, vcc
	s_nop 1
	v_mov_b32_dpp v1, v1 quad_perm:[1,0,3,2] row_mask:0xf bank_mask:0xf bound_ctrl:1
	v_addc_co_u32_e64 v5, s[0:1], 0, v1, vcc
	s_nop 1
	v_mov_b32_dpp v5, v5 quad_perm:[2,3,0,1] row_mask:0xf bank_mask:0xf bound_ctrl:1
	v_addc_co_u32_e32 v1, vcc, v5, v1, vcc
	v_or_b32_e32 v5, 0xfc, v4
	s_nop 0
	v_add_u32_dpp v1, v1, v1 row_ror:4 row_mask:0xf bank_mask:0xf bound_ctrl:1
	v_cmp_eq_u32_e32 vcc, 0, v3
	s_nop 0
	v_add_u32_dpp v1, v1, v1 row_ror:8 row_mask:0xf bank_mask:0xf bound_ctrl:1
	s_nop 1
	v_add_u32_dpp v1, v1, v1 row_bcast:15 row_mask:0xf bank_mask:0xf bound_ctrl:1
	s_nop 1
	v_add_u32_dpp v1, v1, v1 row_bcast:31 row_mask:0xf bank_mask:0xf bound_ctrl:1
	ds_bpermute_b32 v1, v5, v1
	s_and_saveexec_b64 s[0:1], vcc
	s_cbranch_execz .LBB1197_219
; %bb.218:
	v_lshrrev_b32_e32 v5, 4, v0
	v_and_b32_e32 v5, 4, v5
	s_waitcnt lgkmcnt(0)
	ds_write_b32 v5, v1 offset:8
.LBB1197_219:
	s_or_b64 exec, exec, s[0:1]
	v_cmp_gt_u32_e32 vcc, 64, v0
	s_waitcnt lgkmcnt(0)
	s_barrier
	s_and_saveexec_b64 s[0:1], vcc
	s_cbranch_execz .LBB1197_221
; %bb.220:
	v_and_b32_e32 v1, 1, v3
	v_lshlrev_b32_e32 v1, 2, v1
	ds_read_b32 v1, v1 offset:8
	v_or_b32_e32 v3, 4, v4
	s_waitcnt lgkmcnt(0)
	ds_bpermute_b32 v3, v3, v1
	s_waitcnt lgkmcnt(0)
	v_add_u32_e32 v1, v3, v1
.LBB1197_221:
	s_or_b64 exec, exec, s[0:1]
.LBB1197_222:
	v_cmp_eq_u32_e64 s[0:1], 0, v0
	s_and_saveexec_b64 s[2:3], s[0:1]
	s_cbranch_execnz .LBB1197_225
	s_branch .LBB1197_226
.LBB1197_223:
                                        ; implicit-def: $vgpr1
                                        ; implicit-def: $sgpr6_sgpr7
.LBB1197_224:
	s_and_saveexec_b64 s[2:3], s[0:1]
	s_cbranch_execz .LBB1197_226
.LBB1197_225:
	s_lshl_b64 s[0:1], s[6:7], 2
	s_load_dword s2, s[4:5], 0x30
	s_add_u32 s0, s38, s0
	s_addc_u32 s1, s39, s1
	s_cmp_lg_u64 s[36:37], 0
	s_cselect_b64 vcc, -1, 0
	v_cndmask_b32_e32 v1, 0, v1, vcc
	v_mov_b32_e32 v0, 0
	s_waitcnt lgkmcnt(0)
	v_add_u32_e32 v1, s2, v1
	global_store_dword v0, v1, s[0:1]
.LBB1197_226:
	s_endpgm
.LBB1197_227:
                                        ; implicit-def: $vgpr1
	s_cbranch_execz .LBB1197_222
; %bb.228:
	s_sub_i32 s8, s36, s2
	v_cmp_gt_u32_e32 vcc, s8, v0
                                        ; implicit-def: $vgpr1
	s_and_saveexec_b64 s[0:1], vcc
	s_cbranch_execz .LBB1197_230
; %bb.229:
	s_lshl_b64 s[2:3], s[2:3], 3
	s_add_u32 s10, s40, s2
	s_addc_u32 s11, s41, s3
	v_lshlrev_b32_e32 v1, 3, v0
	s_add_u32 s2, s42, s2
	s_addc_u32 s3, s43, s3
	global_load_dwordx2 v[4:5], v1, s[10:11]
	global_load_dwordx2 v[6:7], v1, s[2:3]
	s_waitcnt vmcnt(0)
	v_cmp_ne_u64_e32 vcc, v[4:5], v[6:7]
	v_cndmask_b32_e64 v1, 0, 1, vcc
.LBB1197_230:
	s_or_b64 exec, exec, s[0:1]
	v_mbcnt_hi_u32_b32 v2, -1, v2
	v_and_b32_e32 v3, 63, v2
	v_cmp_ne_u32_e32 vcc, 63, v3
	v_addc_co_u32_e32 v4, vcc, 0, v2, vcc
	v_lshlrev_b32_e32 v4, 2, v4
	ds_bpermute_b32 v4, v4, v1
	s_min_u32 s2, s8, 0x80
	v_and_b32_e32 v5, 64, v0
	v_sub_u32_e64 v5, s2, v5 clamp
	v_add_u32_e32 v6, 1, v3
	v_cmp_lt_u32_e32 vcc, v6, v5
	s_waitcnt lgkmcnt(0)
	v_cndmask_b32_e32 v4, 0, v4, vcc
	v_cmp_gt_u32_e32 vcc, 62, v3
	v_add_u32_e32 v1, v4, v1
	v_cndmask_b32_e64 v4, 0, 1, vcc
	v_lshlrev_b32_e32 v4, 1, v4
	v_add_lshl_u32 v4, v4, v2, 2
	ds_bpermute_b32 v4, v4, v1
	v_add_u32_e32 v6, 2, v3
	v_cmp_lt_u32_e32 vcc, v6, v5
	v_add_u32_e32 v6, 4, v3
	s_waitcnt lgkmcnt(0)
	v_cndmask_b32_e32 v4, 0, v4, vcc
	v_cmp_gt_u32_e32 vcc, 60, v3
	v_add_u32_e32 v1, v1, v4
	v_cndmask_b32_e64 v4, 0, 1, vcc
	v_lshlrev_b32_e32 v4, 2, v4
	v_add_lshl_u32 v4, v4, v2, 2
	ds_bpermute_b32 v4, v4, v1
	v_cmp_lt_u32_e32 vcc, v6, v5
	v_add_u32_e32 v6, 8, v3
	s_waitcnt lgkmcnt(0)
	v_cndmask_b32_e32 v4, 0, v4, vcc
	v_cmp_gt_u32_e32 vcc, 56, v3
	v_add_u32_e32 v1, v1, v4
	v_cndmask_b32_e64 v4, 0, 1, vcc
	v_lshlrev_b32_e32 v4, 3, v4
	v_add_lshl_u32 v4, v4, v2, 2
	ds_bpermute_b32 v4, v4, v1
	;; [unrolled: 10-line block ×3, first 2 shown]
	v_cmp_lt_u32_e32 vcc, v6, v5
	s_waitcnt lgkmcnt(0)
	v_cndmask_b32_e32 v4, 0, v4, vcc
	v_cmp_gt_u32_e32 vcc, 32, v3
	v_add_u32_e32 v1, v1, v4
	v_cndmask_b32_e64 v4, 0, 1, vcc
	v_lshlrev_b32_e32 v4, 5, v4
	v_add_lshl_u32 v4, v4, v2, 2
	ds_bpermute_b32 v4, v4, v1
	v_add_u32_e32 v3, 32, v3
	v_cmp_lt_u32_e32 vcc, v3, v5
	s_waitcnt lgkmcnt(0)
	v_cndmask_b32_e32 v3, 0, v4, vcc
	v_add_u32_e32 v1, v1, v3
	v_cmp_eq_u32_e32 vcc, 0, v2
	s_and_saveexec_b64 s[0:1], vcc
	s_cbranch_execz .LBB1197_232
; %bb.231:
	v_lshrrev_b32_e32 v3, 4, v0
	v_and_b32_e32 v3, 4, v3
	ds_write_b32 v3, v1 offset:48
.LBB1197_232:
	s_or_b64 exec, exec, s[0:1]
	v_cmp_gt_u32_e32 vcc, 2, v0
	s_waitcnt lgkmcnt(0)
	s_barrier
	s_and_saveexec_b64 s[0:1], vcc
	s_cbranch_execz .LBB1197_234
; %bb.233:
	v_lshlrev_b32_e32 v1, 2, v2
	ds_read_b32 v3, v1 offset:48
	v_or_b32_e32 v1, 4, v1
	s_add_i32 s2, s2, 63
	v_and_b32_e32 v2, 1, v2
	s_lshr_b32 s2, s2, 6
	s_waitcnt lgkmcnt(0)
	ds_bpermute_b32 v1, v1, v3
	v_add_u32_e32 v2, 1, v2
	v_cmp_gt_u32_e32 vcc, s2, v2
	s_waitcnt lgkmcnt(0)
	v_cndmask_b32_e32 v1, 0, v1, vcc
	v_add_u32_e32 v1, v1, v3
.LBB1197_234:
	s_or_b64 exec, exec, s[0:1]
	v_cmp_eq_u32_e64 s[0:1], 0, v0
	s_and_saveexec_b64 s[2:3], s[0:1]
	s_cbranch_execnz .LBB1197_225
	s_branch .LBB1197_226
	.section	.rodata,"a",@progbits
	.p2align	6, 0x0
	.amdhsa_kernel _ZN7rocprim17ROCPRIM_400000_NS6detail17trampoline_kernelINS0_14default_configENS1_22reduce_config_selectorIiEEZNS1_11reduce_implILb1ES3_N6thrust23THRUST_200600_302600_NS11hip_rocprim35transform_pair_of_input_iterators_tIiPlSB_NS8_12not_equal_toIlEEEEPiiNS8_4plusIiEEEE10hipError_tPvRmT1_T2_T3_mT4_P12ihipStream_tbEUlT_E1_NS1_11comp_targetILNS1_3genE4ELNS1_11target_archE910ELNS1_3gpuE8ELNS1_3repE0EEENS1_30default_config_static_selectorELNS0_4arch9wavefront6targetE1EEEvSL_
		.amdhsa_group_segment_fixed_size 56
		.amdhsa_private_segment_fixed_size 0
		.amdhsa_kernarg_size 56
		.amdhsa_user_sgpr_count 6
		.amdhsa_user_sgpr_private_segment_buffer 1
		.amdhsa_user_sgpr_dispatch_ptr 0
		.amdhsa_user_sgpr_queue_ptr 0
		.amdhsa_user_sgpr_kernarg_segment_ptr 1
		.amdhsa_user_sgpr_dispatch_id 0
		.amdhsa_user_sgpr_flat_scratch_init 0
		.amdhsa_user_sgpr_kernarg_preload_length 0
		.amdhsa_user_sgpr_kernarg_preload_offset 0
		.amdhsa_user_sgpr_private_segment_size 0
		.amdhsa_uses_dynamic_stack 0
		.amdhsa_system_sgpr_private_segment_wavefront_offset 0
		.amdhsa_system_sgpr_workgroup_id_x 1
		.amdhsa_system_sgpr_workgroup_id_y 0
		.amdhsa_system_sgpr_workgroup_id_z 0
		.amdhsa_system_sgpr_workgroup_info 0
		.amdhsa_system_vgpr_workitem_id 0
		.amdhsa_next_free_vgpr 83
		.amdhsa_next_free_sgpr 49
		.amdhsa_accum_offset 84
		.amdhsa_reserve_vcc 1
		.amdhsa_reserve_flat_scratch 0
		.amdhsa_float_round_mode_32 0
		.amdhsa_float_round_mode_16_64 0
		.amdhsa_float_denorm_mode_32 3
		.amdhsa_float_denorm_mode_16_64 3
		.amdhsa_dx10_clamp 1
		.amdhsa_ieee_mode 1
		.amdhsa_fp16_overflow 0
		.amdhsa_tg_split 0
		.amdhsa_exception_fp_ieee_invalid_op 0
		.amdhsa_exception_fp_denorm_src 0
		.amdhsa_exception_fp_ieee_div_zero 0
		.amdhsa_exception_fp_ieee_overflow 0
		.amdhsa_exception_fp_ieee_underflow 0
		.amdhsa_exception_fp_ieee_inexact 0
		.amdhsa_exception_int_div_zero 0
	.end_amdhsa_kernel
	.section	.text._ZN7rocprim17ROCPRIM_400000_NS6detail17trampoline_kernelINS0_14default_configENS1_22reduce_config_selectorIiEEZNS1_11reduce_implILb1ES3_N6thrust23THRUST_200600_302600_NS11hip_rocprim35transform_pair_of_input_iterators_tIiPlSB_NS8_12not_equal_toIlEEEEPiiNS8_4plusIiEEEE10hipError_tPvRmT1_T2_T3_mT4_P12ihipStream_tbEUlT_E1_NS1_11comp_targetILNS1_3genE4ELNS1_11target_archE910ELNS1_3gpuE8ELNS1_3repE0EEENS1_30default_config_static_selectorELNS0_4arch9wavefront6targetE1EEEvSL_,"axG",@progbits,_ZN7rocprim17ROCPRIM_400000_NS6detail17trampoline_kernelINS0_14default_configENS1_22reduce_config_selectorIiEEZNS1_11reduce_implILb1ES3_N6thrust23THRUST_200600_302600_NS11hip_rocprim35transform_pair_of_input_iterators_tIiPlSB_NS8_12not_equal_toIlEEEEPiiNS8_4plusIiEEEE10hipError_tPvRmT1_T2_T3_mT4_P12ihipStream_tbEUlT_E1_NS1_11comp_targetILNS1_3genE4ELNS1_11target_archE910ELNS1_3gpuE8ELNS1_3repE0EEENS1_30default_config_static_selectorELNS0_4arch9wavefront6targetE1EEEvSL_,comdat
.Lfunc_end1197:
	.size	_ZN7rocprim17ROCPRIM_400000_NS6detail17trampoline_kernelINS0_14default_configENS1_22reduce_config_selectorIiEEZNS1_11reduce_implILb1ES3_N6thrust23THRUST_200600_302600_NS11hip_rocprim35transform_pair_of_input_iterators_tIiPlSB_NS8_12not_equal_toIlEEEEPiiNS8_4plusIiEEEE10hipError_tPvRmT1_T2_T3_mT4_P12ihipStream_tbEUlT_E1_NS1_11comp_targetILNS1_3genE4ELNS1_11target_archE910ELNS1_3gpuE8ELNS1_3repE0EEENS1_30default_config_static_selectorELNS0_4arch9wavefront6targetE1EEEvSL_, .Lfunc_end1197-_ZN7rocprim17ROCPRIM_400000_NS6detail17trampoline_kernelINS0_14default_configENS1_22reduce_config_selectorIiEEZNS1_11reduce_implILb1ES3_N6thrust23THRUST_200600_302600_NS11hip_rocprim35transform_pair_of_input_iterators_tIiPlSB_NS8_12not_equal_toIlEEEEPiiNS8_4plusIiEEEE10hipError_tPvRmT1_T2_T3_mT4_P12ihipStream_tbEUlT_E1_NS1_11comp_targetILNS1_3genE4ELNS1_11target_archE910ELNS1_3gpuE8ELNS1_3repE0EEENS1_30default_config_static_selectorELNS0_4arch9wavefront6targetE1EEEvSL_
                                        ; -- End function
	.section	.AMDGPU.csdata,"",@progbits
; Kernel info:
; codeLenInByte = 11500
; NumSgprs: 53
; NumVgprs: 83
; NumAgprs: 0
; TotalNumVgprs: 83
; ScratchSize: 0
; MemoryBound: 1
; FloatMode: 240
; IeeeMode: 1
; LDSByteSize: 56 bytes/workgroup (compile time only)
; SGPRBlocks: 6
; VGPRBlocks: 10
; NumSGPRsForWavesPerEU: 53
; NumVGPRsForWavesPerEU: 83
; AccumOffset: 84
; Occupancy: 5
; WaveLimiterHint : 0
; COMPUTE_PGM_RSRC2:SCRATCH_EN: 0
; COMPUTE_PGM_RSRC2:USER_SGPR: 6
; COMPUTE_PGM_RSRC2:TRAP_HANDLER: 0
; COMPUTE_PGM_RSRC2:TGID_X_EN: 1
; COMPUTE_PGM_RSRC2:TGID_Y_EN: 0
; COMPUTE_PGM_RSRC2:TGID_Z_EN: 0
; COMPUTE_PGM_RSRC2:TIDIG_COMP_CNT: 0
; COMPUTE_PGM_RSRC3_GFX90A:ACCUM_OFFSET: 20
; COMPUTE_PGM_RSRC3_GFX90A:TG_SPLIT: 0
	.section	.text._ZN7rocprim17ROCPRIM_400000_NS6detail17trampoline_kernelINS0_14default_configENS1_22reduce_config_selectorIiEEZNS1_11reduce_implILb1ES3_N6thrust23THRUST_200600_302600_NS11hip_rocprim35transform_pair_of_input_iterators_tIiPlSB_NS8_12not_equal_toIlEEEEPiiNS8_4plusIiEEEE10hipError_tPvRmT1_T2_T3_mT4_P12ihipStream_tbEUlT_E1_NS1_11comp_targetILNS1_3genE3ELNS1_11target_archE908ELNS1_3gpuE7ELNS1_3repE0EEENS1_30default_config_static_selectorELNS0_4arch9wavefront6targetE1EEEvSL_,"axG",@progbits,_ZN7rocprim17ROCPRIM_400000_NS6detail17trampoline_kernelINS0_14default_configENS1_22reduce_config_selectorIiEEZNS1_11reduce_implILb1ES3_N6thrust23THRUST_200600_302600_NS11hip_rocprim35transform_pair_of_input_iterators_tIiPlSB_NS8_12not_equal_toIlEEEEPiiNS8_4plusIiEEEE10hipError_tPvRmT1_T2_T3_mT4_P12ihipStream_tbEUlT_E1_NS1_11comp_targetILNS1_3genE3ELNS1_11target_archE908ELNS1_3gpuE7ELNS1_3repE0EEENS1_30default_config_static_selectorELNS0_4arch9wavefront6targetE1EEEvSL_,comdat
	.protected	_ZN7rocprim17ROCPRIM_400000_NS6detail17trampoline_kernelINS0_14default_configENS1_22reduce_config_selectorIiEEZNS1_11reduce_implILb1ES3_N6thrust23THRUST_200600_302600_NS11hip_rocprim35transform_pair_of_input_iterators_tIiPlSB_NS8_12not_equal_toIlEEEEPiiNS8_4plusIiEEEE10hipError_tPvRmT1_T2_T3_mT4_P12ihipStream_tbEUlT_E1_NS1_11comp_targetILNS1_3genE3ELNS1_11target_archE908ELNS1_3gpuE7ELNS1_3repE0EEENS1_30default_config_static_selectorELNS0_4arch9wavefront6targetE1EEEvSL_ ; -- Begin function _ZN7rocprim17ROCPRIM_400000_NS6detail17trampoline_kernelINS0_14default_configENS1_22reduce_config_selectorIiEEZNS1_11reduce_implILb1ES3_N6thrust23THRUST_200600_302600_NS11hip_rocprim35transform_pair_of_input_iterators_tIiPlSB_NS8_12not_equal_toIlEEEEPiiNS8_4plusIiEEEE10hipError_tPvRmT1_T2_T3_mT4_P12ihipStream_tbEUlT_E1_NS1_11comp_targetILNS1_3genE3ELNS1_11target_archE908ELNS1_3gpuE7ELNS1_3repE0EEENS1_30default_config_static_selectorELNS0_4arch9wavefront6targetE1EEEvSL_
	.globl	_ZN7rocprim17ROCPRIM_400000_NS6detail17trampoline_kernelINS0_14default_configENS1_22reduce_config_selectorIiEEZNS1_11reduce_implILb1ES3_N6thrust23THRUST_200600_302600_NS11hip_rocprim35transform_pair_of_input_iterators_tIiPlSB_NS8_12not_equal_toIlEEEEPiiNS8_4plusIiEEEE10hipError_tPvRmT1_T2_T3_mT4_P12ihipStream_tbEUlT_E1_NS1_11comp_targetILNS1_3genE3ELNS1_11target_archE908ELNS1_3gpuE7ELNS1_3repE0EEENS1_30default_config_static_selectorELNS0_4arch9wavefront6targetE1EEEvSL_
	.p2align	8
	.type	_ZN7rocprim17ROCPRIM_400000_NS6detail17trampoline_kernelINS0_14default_configENS1_22reduce_config_selectorIiEEZNS1_11reduce_implILb1ES3_N6thrust23THRUST_200600_302600_NS11hip_rocprim35transform_pair_of_input_iterators_tIiPlSB_NS8_12not_equal_toIlEEEEPiiNS8_4plusIiEEEE10hipError_tPvRmT1_T2_T3_mT4_P12ihipStream_tbEUlT_E1_NS1_11comp_targetILNS1_3genE3ELNS1_11target_archE908ELNS1_3gpuE7ELNS1_3repE0EEENS1_30default_config_static_selectorELNS0_4arch9wavefront6targetE1EEEvSL_,@function
_ZN7rocprim17ROCPRIM_400000_NS6detail17trampoline_kernelINS0_14default_configENS1_22reduce_config_selectorIiEEZNS1_11reduce_implILb1ES3_N6thrust23THRUST_200600_302600_NS11hip_rocprim35transform_pair_of_input_iterators_tIiPlSB_NS8_12not_equal_toIlEEEEPiiNS8_4plusIiEEEE10hipError_tPvRmT1_T2_T3_mT4_P12ihipStream_tbEUlT_E1_NS1_11comp_targetILNS1_3genE3ELNS1_11target_archE908ELNS1_3gpuE7ELNS1_3repE0EEENS1_30default_config_static_selectorELNS0_4arch9wavefront6targetE1EEEvSL_: ; @_ZN7rocprim17ROCPRIM_400000_NS6detail17trampoline_kernelINS0_14default_configENS1_22reduce_config_selectorIiEEZNS1_11reduce_implILb1ES3_N6thrust23THRUST_200600_302600_NS11hip_rocprim35transform_pair_of_input_iterators_tIiPlSB_NS8_12not_equal_toIlEEEEPiiNS8_4plusIiEEEE10hipError_tPvRmT1_T2_T3_mT4_P12ihipStream_tbEUlT_E1_NS1_11comp_targetILNS1_3genE3ELNS1_11target_archE908ELNS1_3gpuE7ELNS1_3repE0EEENS1_30default_config_static_selectorELNS0_4arch9wavefront6targetE1EEEvSL_
; %bb.0:
	.section	.rodata,"a",@progbits
	.p2align	6, 0x0
	.amdhsa_kernel _ZN7rocprim17ROCPRIM_400000_NS6detail17trampoline_kernelINS0_14default_configENS1_22reduce_config_selectorIiEEZNS1_11reduce_implILb1ES3_N6thrust23THRUST_200600_302600_NS11hip_rocprim35transform_pair_of_input_iterators_tIiPlSB_NS8_12not_equal_toIlEEEEPiiNS8_4plusIiEEEE10hipError_tPvRmT1_T2_T3_mT4_P12ihipStream_tbEUlT_E1_NS1_11comp_targetILNS1_3genE3ELNS1_11target_archE908ELNS1_3gpuE7ELNS1_3repE0EEENS1_30default_config_static_selectorELNS0_4arch9wavefront6targetE1EEEvSL_
		.amdhsa_group_segment_fixed_size 0
		.amdhsa_private_segment_fixed_size 0
		.amdhsa_kernarg_size 56
		.amdhsa_user_sgpr_count 6
		.amdhsa_user_sgpr_private_segment_buffer 1
		.amdhsa_user_sgpr_dispatch_ptr 0
		.amdhsa_user_sgpr_queue_ptr 0
		.amdhsa_user_sgpr_kernarg_segment_ptr 1
		.amdhsa_user_sgpr_dispatch_id 0
		.amdhsa_user_sgpr_flat_scratch_init 0
		.amdhsa_user_sgpr_kernarg_preload_length 0
		.amdhsa_user_sgpr_kernarg_preload_offset 0
		.amdhsa_user_sgpr_private_segment_size 0
		.amdhsa_uses_dynamic_stack 0
		.amdhsa_system_sgpr_private_segment_wavefront_offset 0
		.amdhsa_system_sgpr_workgroup_id_x 1
		.amdhsa_system_sgpr_workgroup_id_y 0
		.amdhsa_system_sgpr_workgroup_id_z 0
		.amdhsa_system_sgpr_workgroup_info 0
		.amdhsa_system_vgpr_workitem_id 0
		.amdhsa_next_free_vgpr 1
		.amdhsa_next_free_sgpr 0
		.amdhsa_accum_offset 4
		.amdhsa_reserve_vcc 0
		.amdhsa_reserve_flat_scratch 0
		.amdhsa_float_round_mode_32 0
		.amdhsa_float_round_mode_16_64 0
		.amdhsa_float_denorm_mode_32 3
		.amdhsa_float_denorm_mode_16_64 3
		.amdhsa_dx10_clamp 1
		.amdhsa_ieee_mode 1
		.amdhsa_fp16_overflow 0
		.amdhsa_tg_split 0
		.amdhsa_exception_fp_ieee_invalid_op 0
		.amdhsa_exception_fp_denorm_src 0
		.amdhsa_exception_fp_ieee_div_zero 0
		.amdhsa_exception_fp_ieee_overflow 0
		.amdhsa_exception_fp_ieee_underflow 0
		.amdhsa_exception_fp_ieee_inexact 0
		.amdhsa_exception_int_div_zero 0
	.end_amdhsa_kernel
	.section	.text._ZN7rocprim17ROCPRIM_400000_NS6detail17trampoline_kernelINS0_14default_configENS1_22reduce_config_selectorIiEEZNS1_11reduce_implILb1ES3_N6thrust23THRUST_200600_302600_NS11hip_rocprim35transform_pair_of_input_iterators_tIiPlSB_NS8_12not_equal_toIlEEEEPiiNS8_4plusIiEEEE10hipError_tPvRmT1_T2_T3_mT4_P12ihipStream_tbEUlT_E1_NS1_11comp_targetILNS1_3genE3ELNS1_11target_archE908ELNS1_3gpuE7ELNS1_3repE0EEENS1_30default_config_static_selectorELNS0_4arch9wavefront6targetE1EEEvSL_,"axG",@progbits,_ZN7rocprim17ROCPRIM_400000_NS6detail17trampoline_kernelINS0_14default_configENS1_22reduce_config_selectorIiEEZNS1_11reduce_implILb1ES3_N6thrust23THRUST_200600_302600_NS11hip_rocprim35transform_pair_of_input_iterators_tIiPlSB_NS8_12not_equal_toIlEEEEPiiNS8_4plusIiEEEE10hipError_tPvRmT1_T2_T3_mT4_P12ihipStream_tbEUlT_E1_NS1_11comp_targetILNS1_3genE3ELNS1_11target_archE908ELNS1_3gpuE7ELNS1_3repE0EEENS1_30default_config_static_selectorELNS0_4arch9wavefront6targetE1EEEvSL_,comdat
.Lfunc_end1198:
	.size	_ZN7rocprim17ROCPRIM_400000_NS6detail17trampoline_kernelINS0_14default_configENS1_22reduce_config_selectorIiEEZNS1_11reduce_implILb1ES3_N6thrust23THRUST_200600_302600_NS11hip_rocprim35transform_pair_of_input_iterators_tIiPlSB_NS8_12not_equal_toIlEEEEPiiNS8_4plusIiEEEE10hipError_tPvRmT1_T2_T3_mT4_P12ihipStream_tbEUlT_E1_NS1_11comp_targetILNS1_3genE3ELNS1_11target_archE908ELNS1_3gpuE7ELNS1_3repE0EEENS1_30default_config_static_selectorELNS0_4arch9wavefront6targetE1EEEvSL_, .Lfunc_end1198-_ZN7rocprim17ROCPRIM_400000_NS6detail17trampoline_kernelINS0_14default_configENS1_22reduce_config_selectorIiEEZNS1_11reduce_implILb1ES3_N6thrust23THRUST_200600_302600_NS11hip_rocprim35transform_pair_of_input_iterators_tIiPlSB_NS8_12not_equal_toIlEEEEPiiNS8_4plusIiEEEE10hipError_tPvRmT1_T2_T3_mT4_P12ihipStream_tbEUlT_E1_NS1_11comp_targetILNS1_3genE3ELNS1_11target_archE908ELNS1_3gpuE7ELNS1_3repE0EEENS1_30default_config_static_selectorELNS0_4arch9wavefront6targetE1EEEvSL_
                                        ; -- End function
	.section	.AMDGPU.csdata,"",@progbits
; Kernel info:
; codeLenInByte = 0
; NumSgprs: 4
; NumVgprs: 0
; NumAgprs: 0
; TotalNumVgprs: 0
; ScratchSize: 0
; MemoryBound: 0
; FloatMode: 240
; IeeeMode: 1
; LDSByteSize: 0 bytes/workgroup (compile time only)
; SGPRBlocks: 0
; VGPRBlocks: 0
; NumSGPRsForWavesPerEU: 4
; NumVGPRsForWavesPerEU: 1
; AccumOffset: 4
; Occupancy: 8
; WaveLimiterHint : 0
; COMPUTE_PGM_RSRC2:SCRATCH_EN: 0
; COMPUTE_PGM_RSRC2:USER_SGPR: 6
; COMPUTE_PGM_RSRC2:TRAP_HANDLER: 0
; COMPUTE_PGM_RSRC2:TGID_X_EN: 1
; COMPUTE_PGM_RSRC2:TGID_Y_EN: 0
; COMPUTE_PGM_RSRC2:TGID_Z_EN: 0
; COMPUTE_PGM_RSRC2:TIDIG_COMP_CNT: 0
; COMPUTE_PGM_RSRC3_GFX90A:ACCUM_OFFSET: 0
; COMPUTE_PGM_RSRC3_GFX90A:TG_SPLIT: 0
	.section	.text._ZN7rocprim17ROCPRIM_400000_NS6detail17trampoline_kernelINS0_14default_configENS1_22reduce_config_selectorIiEEZNS1_11reduce_implILb1ES3_N6thrust23THRUST_200600_302600_NS11hip_rocprim35transform_pair_of_input_iterators_tIiPlSB_NS8_12not_equal_toIlEEEEPiiNS8_4plusIiEEEE10hipError_tPvRmT1_T2_T3_mT4_P12ihipStream_tbEUlT_E1_NS1_11comp_targetILNS1_3genE2ELNS1_11target_archE906ELNS1_3gpuE6ELNS1_3repE0EEENS1_30default_config_static_selectorELNS0_4arch9wavefront6targetE1EEEvSL_,"axG",@progbits,_ZN7rocprim17ROCPRIM_400000_NS6detail17trampoline_kernelINS0_14default_configENS1_22reduce_config_selectorIiEEZNS1_11reduce_implILb1ES3_N6thrust23THRUST_200600_302600_NS11hip_rocprim35transform_pair_of_input_iterators_tIiPlSB_NS8_12not_equal_toIlEEEEPiiNS8_4plusIiEEEE10hipError_tPvRmT1_T2_T3_mT4_P12ihipStream_tbEUlT_E1_NS1_11comp_targetILNS1_3genE2ELNS1_11target_archE906ELNS1_3gpuE6ELNS1_3repE0EEENS1_30default_config_static_selectorELNS0_4arch9wavefront6targetE1EEEvSL_,comdat
	.protected	_ZN7rocprim17ROCPRIM_400000_NS6detail17trampoline_kernelINS0_14default_configENS1_22reduce_config_selectorIiEEZNS1_11reduce_implILb1ES3_N6thrust23THRUST_200600_302600_NS11hip_rocprim35transform_pair_of_input_iterators_tIiPlSB_NS8_12not_equal_toIlEEEEPiiNS8_4plusIiEEEE10hipError_tPvRmT1_T2_T3_mT4_P12ihipStream_tbEUlT_E1_NS1_11comp_targetILNS1_3genE2ELNS1_11target_archE906ELNS1_3gpuE6ELNS1_3repE0EEENS1_30default_config_static_selectorELNS0_4arch9wavefront6targetE1EEEvSL_ ; -- Begin function _ZN7rocprim17ROCPRIM_400000_NS6detail17trampoline_kernelINS0_14default_configENS1_22reduce_config_selectorIiEEZNS1_11reduce_implILb1ES3_N6thrust23THRUST_200600_302600_NS11hip_rocprim35transform_pair_of_input_iterators_tIiPlSB_NS8_12not_equal_toIlEEEEPiiNS8_4plusIiEEEE10hipError_tPvRmT1_T2_T3_mT4_P12ihipStream_tbEUlT_E1_NS1_11comp_targetILNS1_3genE2ELNS1_11target_archE906ELNS1_3gpuE6ELNS1_3repE0EEENS1_30default_config_static_selectorELNS0_4arch9wavefront6targetE1EEEvSL_
	.globl	_ZN7rocprim17ROCPRIM_400000_NS6detail17trampoline_kernelINS0_14default_configENS1_22reduce_config_selectorIiEEZNS1_11reduce_implILb1ES3_N6thrust23THRUST_200600_302600_NS11hip_rocprim35transform_pair_of_input_iterators_tIiPlSB_NS8_12not_equal_toIlEEEEPiiNS8_4plusIiEEEE10hipError_tPvRmT1_T2_T3_mT4_P12ihipStream_tbEUlT_E1_NS1_11comp_targetILNS1_3genE2ELNS1_11target_archE906ELNS1_3gpuE6ELNS1_3repE0EEENS1_30default_config_static_selectorELNS0_4arch9wavefront6targetE1EEEvSL_
	.p2align	8
	.type	_ZN7rocprim17ROCPRIM_400000_NS6detail17trampoline_kernelINS0_14default_configENS1_22reduce_config_selectorIiEEZNS1_11reduce_implILb1ES3_N6thrust23THRUST_200600_302600_NS11hip_rocprim35transform_pair_of_input_iterators_tIiPlSB_NS8_12not_equal_toIlEEEEPiiNS8_4plusIiEEEE10hipError_tPvRmT1_T2_T3_mT4_P12ihipStream_tbEUlT_E1_NS1_11comp_targetILNS1_3genE2ELNS1_11target_archE906ELNS1_3gpuE6ELNS1_3repE0EEENS1_30default_config_static_selectorELNS0_4arch9wavefront6targetE1EEEvSL_,@function
_ZN7rocprim17ROCPRIM_400000_NS6detail17trampoline_kernelINS0_14default_configENS1_22reduce_config_selectorIiEEZNS1_11reduce_implILb1ES3_N6thrust23THRUST_200600_302600_NS11hip_rocprim35transform_pair_of_input_iterators_tIiPlSB_NS8_12not_equal_toIlEEEEPiiNS8_4plusIiEEEE10hipError_tPvRmT1_T2_T3_mT4_P12ihipStream_tbEUlT_E1_NS1_11comp_targetILNS1_3genE2ELNS1_11target_archE906ELNS1_3gpuE6ELNS1_3repE0EEENS1_30default_config_static_selectorELNS0_4arch9wavefront6targetE1EEEvSL_: ; @_ZN7rocprim17ROCPRIM_400000_NS6detail17trampoline_kernelINS0_14default_configENS1_22reduce_config_selectorIiEEZNS1_11reduce_implILb1ES3_N6thrust23THRUST_200600_302600_NS11hip_rocprim35transform_pair_of_input_iterators_tIiPlSB_NS8_12not_equal_toIlEEEEPiiNS8_4plusIiEEEE10hipError_tPvRmT1_T2_T3_mT4_P12ihipStream_tbEUlT_E1_NS1_11comp_targetILNS1_3genE2ELNS1_11target_archE906ELNS1_3gpuE6ELNS1_3repE0EEENS1_30default_config_static_selectorELNS0_4arch9wavefront6targetE1EEEvSL_
; %bb.0:
	.section	.rodata,"a",@progbits
	.p2align	6, 0x0
	.amdhsa_kernel _ZN7rocprim17ROCPRIM_400000_NS6detail17trampoline_kernelINS0_14default_configENS1_22reduce_config_selectorIiEEZNS1_11reduce_implILb1ES3_N6thrust23THRUST_200600_302600_NS11hip_rocprim35transform_pair_of_input_iterators_tIiPlSB_NS8_12not_equal_toIlEEEEPiiNS8_4plusIiEEEE10hipError_tPvRmT1_T2_T3_mT4_P12ihipStream_tbEUlT_E1_NS1_11comp_targetILNS1_3genE2ELNS1_11target_archE906ELNS1_3gpuE6ELNS1_3repE0EEENS1_30default_config_static_selectorELNS0_4arch9wavefront6targetE1EEEvSL_
		.amdhsa_group_segment_fixed_size 0
		.amdhsa_private_segment_fixed_size 0
		.amdhsa_kernarg_size 56
		.amdhsa_user_sgpr_count 6
		.amdhsa_user_sgpr_private_segment_buffer 1
		.amdhsa_user_sgpr_dispatch_ptr 0
		.amdhsa_user_sgpr_queue_ptr 0
		.amdhsa_user_sgpr_kernarg_segment_ptr 1
		.amdhsa_user_sgpr_dispatch_id 0
		.amdhsa_user_sgpr_flat_scratch_init 0
		.amdhsa_user_sgpr_kernarg_preload_length 0
		.amdhsa_user_sgpr_kernarg_preload_offset 0
		.amdhsa_user_sgpr_private_segment_size 0
		.amdhsa_uses_dynamic_stack 0
		.amdhsa_system_sgpr_private_segment_wavefront_offset 0
		.amdhsa_system_sgpr_workgroup_id_x 1
		.amdhsa_system_sgpr_workgroup_id_y 0
		.amdhsa_system_sgpr_workgroup_id_z 0
		.amdhsa_system_sgpr_workgroup_info 0
		.amdhsa_system_vgpr_workitem_id 0
		.amdhsa_next_free_vgpr 1
		.amdhsa_next_free_sgpr 0
		.amdhsa_accum_offset 4
		.amdhsa_reserve_vcc 0
		.amdhsa_reserve_flat_scratch 0
		.amdhsa_float_round_mode_32 0
		.amdhsa_float_round_mode_16_64 0
		.amdhsa_float_denorm_mode_32 3
		.amdhsa_float_denorm_mode_16_64 3
		.amdhsa_dx10_clamp 1
		.amdhsa_ieee_mode 1
		.amdhsa_fp16_overflow 0
		.amdhsa_tg_split 0
		.amdhsa_exception_fp_ieee_invalid_op 0
		.amdhsa_exception_fp_denorm_src 0
		.amdhsa_exception_fp_ieee_div_zero 0
		.amdhsa_exception_fp_ieee_overflow 0
		.amdhsa_exception_fp_ieee_underflow 0
		.amdhsa_exception_fp_ieee_inexact 0
		.amdhsa_exception_int_div_zero 0
	.end_amdhsa_kernel
	.section	.text._ZN7rocprim17ROCPRIM_400000_NS6detail17trampoline_kernelINS0_14default_configENS1_22reduce_config_selectorIiEEZNS1_11reduce_implILb1ES3_N6thrust23THRUST_200600_302600_NS11hip_rocprim35transform_pair_of_input_iterators_tIiPlSB_NS8_12not_equal_toIlEEEEPiiNS8_4plusIiEEEE10hipError_tPvRmT1_T2_T3_mT4_P12ihipStream_tbEUlT_E1_NS1_11comp_targetILNS1_3genE2ELNS1_11target_archE906ELNS1_3gpuE6ELNS1_3repE0EEENS1_30default_config_static_selectorELNS0_4arch9wavefront6targetE1EEEvSL_,"axG",@progbits,_ZN7rocprim17ROCPRIM_400000_NS6detail17trampoline_kernelINS0_14default_configENS1_22reduce_config_selectorIiEEZNS1_11reduce_implILb1ES3_N6thrust23THRUST_200600_302600_NS11hip_rocprim35transform_pair_of_input_iterators_tIiPlSB_NS8_12not_equal_toIlEEEEPiiNS8_4plusIiEEEE10hipError_tPvRmT1_T2_T3_mT4_P12ihipStream_tbEUlT_E1_NS1_11comp_targetILNS1_3genE2ELNS1_11target_archE906ELNS1_3gpuE6ELNS1_3repE0EEENS1_30default_config_static_selectorELNS0_4arch9wavefront6targetE1EEEvSL_,comdat
.Lfunc_end1199:
	.size	_ZN7rocprim17ROCPRIM_400000_NS6detail17trampoline_kernelINS0_14default_configENS1_22reduce_config_selectorIiEEZNS1_11reduce_implILb1ES3_N6thrust23THRUST_200600_302600_NS11hip_rocprim35transform_pair_of_input_iterators_tIiPlSB_NS8_12not_equal_toIlEEEEPiiNS8_4plusIiEEEE10hipError_tPvRmT1_T2_T3_mT4_P12ihipStream_tbEUlT_E1_NS1_11comp_targetILNS1_3genE2ELNS1_11target_archE906ELNS1_3gpuE6ELNS1_3repE0EEENS1_30default_config_static_selectorELNS0_4arch9wavefront6targetE1EEEvSL_, .Lfunc_end1199-_ZN7rocprim17ROCPRIM_400000_NS6detail17trampoline_kernelINS0_14default_configENS1_22reduce_config_selectorIiEEZNS1_11reduce_implILb1ES3_N6thrust23THRUST_200600_302600_NS11hip_rocprim35transform_pair_of_input_iterators_tIiPlSB_NS8_12not_equal_toIlEEEEPiiNS8_4plusIiEEEE10hipError_tPvRmT1_T2_T3_mT4_P12ihipStream_tbEUlT_E1_NS1_11comp_targetILNS1_3genE2ELNS1_11target_archE906ELNS1_3gpuE6ELNS1_3repE0EEENS1_30default_config_static_selectorELNS0_4arch9wavefront6targetE1EEEvSL_
                                        ; -- End function
	.section	.AMDGPU.csdata,"",@progbits
; Kernel info:
; codeLenInByte = 0
; NumSgprs: 4
; NumVgprs: 0
; NumAgprs: 0
; TotalNumVgprs: 0
; ScratchSize: 0
; MemoryBound: 0
; FloatMode: 240
; IeeeMode: 1
; LDSByteSize: 0 bytes/workgroup (compile time only)
; SGPRBlocks: 0
; VGPRBlocks: 0
; NumSGPRsForWavesPerEU: 4
; NumVGPRsForWavesPerEU: 1
; AccumOffset: 4
; Occupancy: 8
; WaveLimiterHint : 0
; COMPUTE_PGM_RSRC2:SCRATCH_EN: 0
; COMPUTE_PGM_RSRC2:USER_SGPR: 6
; COMPUTE_PGM_RSRC2:TRAP_HANDLER: 0
; COMPUTE_PGM_RSRC2:TGID_X_EN: 1
; COMPUTE_PGM_RSRC2:TGID_Y_EN: 0
; COMPUTE_PGM_RSRC2:TGID_Z_EN: 0
; COMPUTE_PGM_RSRC2:TIDIG_COMP_CNT: 0
; COMPUTE_PGM_RSRC3_GFX90A:ACCUM_OFFSET: 0
; COMPUTE_PGM_RSRC3_GFX90A:TG_SPLIT: 0
	.section	.text._ZN7rocprim17ROCPRIM_400000_NS6detail17trampoline_kernelINS0_14default_configENS1_22reduce_config_selectorIiEEZNS1_11reduce_implILb1ES3_N6thrust23THRUST_200600_302600_NS11hip_rocprim35transform_pair_of_input_iterators_tIiPlSB_NS8_12not_equal_toIlEEEEPiiNS8_4plusIiEEEE10hipError_tPvRmT1_T2_T3_mT4_P12ihipStream_tbEUlT_E1_NS1_11comp_targetILNS1_3genE10ELNS1_11target_archE1201ELNS1_3gpuE5ELNS1_3repE0EEENS1_30default_config_static_selectorELNS0_4arch9wavefront6targetE1EEEvSL_,"axG",@progbits,_ZN7rocprim17ROCPRIM_400000_NS6detail17trampoline_kernelINS0_14default_configENS1_22reduce_config_selectorIiEEZNS1_11reduce_implILb1ES3_N6thrust23THRUST_200600_302600_NS11hip_rocprim35transform_pair_of_input_iterators_tIiPlSB_NS8_12not_equal_toIlEEEEPiiNS8_4plusIiEEEE10hipError_tPvRmT1_T2_T3_mT4_P12ihipStream_tbEUlT_E1_NS1_11comp_targetILNS1_3genE10ELNS1_11target_archE1201ELNS1_3gpuE5ELNS1_3repE0EEENS1_30default_config_static_selectorELNS0_4arch9wavefront6targetE1EEEvSL_,comdat
	.protected	_ZN7rocprim17ROCPRIM_400000_NS6detail17trampoline_kernelINS0_14default_configENS1_22reduce_config_selectorIiEEZNS1_11reduce_implILb1ES3_N6thrust23THRUST_200600_302600_NS11hip_rocprim35transform_pair_of_input_iterators_tIiPlSB_NS8_12not_equal_toIlEEEEPiiNS8_4plusIiEEEE10hipError_tPvRmT1_T2_T3_mT4_P12ihipStream_tbEUlT_E1_NS1_11comp_targetILNS1_3genE10ELNS1_11target_archE1201ELNS1_3gpuE5ELNS1_3repE0EEENS1_30default_config_static_selectorELNS0_4arch9wavefront6targetE1EEEvSL_ ; -- Begin function _ZN7rocprim17ROCPRIM_400000_NS6detail17trampoline_kernelINS0_14default_configENS1_22reduce_config_selectorIiEEZNS1_11reduce_implILb1ES3_N6thrust23THRUST_200600_302600_NS11hip_rocprim35transform_pair_of_input_iterators_tIiPlSB_NS8_12not_equal_toIlEEEEPiiNS8_4plusIiEEEE10hipError_tPvRmT1_T2_T3_mT4_P12ihipStream_tbEUlT_E1_NS1_11comp_targetILNS1_3genE10ELNS1_11target_archE1201ELNS1_3gpuE5ELNS1_3repE0EEENS1_30default_config_static_selectorELNS0_4arch9wavefront6targetE1EEEvSL_
	.globl	_ZN7rocprim17ROCPRIM_400000_NS6detail17trampoline_kernelINS0_14default_configENS1_22reduce_config_selectorIiEEZNS1_11reduce_implILb1ES3_N6thrust23THRUST_200600_302600_NS11hip_rocprim35transform_pair_of_input_iterators_tIiPlSB_NS8_12not_equal_toIlEEEEPiiNS8_4plusIiEEEE10hipError_tPvRmT1_T2_T3_mT4_P12ihipStream_tbEUlT_E1_NS1_11comp_targetILNS1_3genE10ELNS1_11target_archE1201ELNS1_3gpuE5ELNS1_3repE0EEENS1_30default_config_static_selectorELNS0_4arch9wavefront6targetE1EEEvSL_
	.p2align	8
	.type	_ZN7rocprim17ROCPRIM_400000_NS6detail17trampoline_kernelINS0_14default_configENS1_22reduce_config_selectorIiEEZNS1_11reduce_implILb1ES3_N6thrust23THRUST_200600_302600_NS11hip_rocprim35transform_pair_of_input_iterators_tIiPlSB_NS8_12not_equal_toIlEEEEPiiNS8_4plusIiEEEE10hipError_tPvRmT1_T2_T3_mT4_P12ihipStream_tbEUlT_E1_NS1_11comp_targetILNS1_3genE10ELNS1_11target_archE1201ELNS1_3gpuE5ELNS1_3repE0EEENS1_30default_config_static_selectorELNS0_4arch9wavefront6targetE1EEEvSL_,@function
_ZN7rocprim17ROCPRIM_400000_NS6detail17trampoline_kernelINS0_14default_configENS1_22reduce_config_selectorIiEEZNS1_11reduce_implILb1ES3_N6thrust23THRUST_200600_302600_NS11hip_rocprim35transform_pair_of_input_iterators_tIiPlSB_NS8_12not_equal_toIlEEEEPiiNS8_4plusIiEEEE10hipError_tPvRmT1_T2_T3_mT4_P12ihipStream_tbEUlT_E1_NS1_11comp_targetILNS1_3genE10ELNS1_11target_archE1201ELNS1_3gpuE5ELNS1_3repE0EEENS1_30default_config_static_selectorELNS0_4arch9wavefront6targetE1EEEvSL_: ; @_ZN7rocprim17ROCPRIM_400000_NS6detail17trampoline_kernelINS0_14default_configENS1_22reduce_config_selectorIiEEZNS1_11reduce_implILb1ES3_N6thrust23THRUST_200600_302600_NS11hip_rocprim35transform_pair_of_input_iterators_tIiPlSB_NS8_12not_equal_toIlEEEEPiiNS8_4plusIiEEEE10hipError_tPvRmT1_T2_T3_mT4_P12ihipStream_tbEUlT_E1_NS1_11comp_targetILNS1_3genE10ELNS1_11target_archE1201ELNS1_3gpuE5ELNS1_3repE0EEENS1_30default_config_static_selectorELNS0_4arch9wavefront6targetE1EEEvSL_
; %bb.0:
	.section	.rodata,"a",@progbits
	.p2align	6, 0x0
	.amdhsa_kernel _ZN7rocprim17ROCPRIM_400000_NS6detail17trampoline_kernelINS0_14default_configENS1_22reduce_config_selectorIiEEZNS1_11reduce_implILb1ES3_N6thrust23THRUST_200600_302600_NS11hip_rocprim35transform_pair_of_input_iterators_tIiPlSB_NS8_12not_equal_toIlEEEEPiiNS8_4plusIiEEEE10hipError_tPvRmT1_T2_T3_mT4_P12ihipStream_tbEUlT_E1_NS1_11comp_targetILNS1_3genE10ELNS1_11target_archE1201ELNS1_3gpuE5ELNS1_3repE0EEENS1_30default_config_static_selectorELNS0_4arch9wavefront6targetE1EEEvSL_
		.amdhsa_group_segment_fixed_size 0
		.amdhsa_private_segment_fixed_size 0
		.amdhsa_kernarg_size 56
		.amdhsa_user_sgpr_count 6
		.amdhsa_user_sgpr_private_segment_buffer 1
		.amdhsa_user_sgpr_dispatch_ptr 0
		.amdhsa_user_sgpr_queue_ptr 0
		.amdhsa_user_sgpr_kernarg_segment_ptr 1
		.amdhsa_user_sgpr_dispatch_id 0
		.amdhsa_user_sgpr_flat_scratch_init 0
		.amdhsa_user_sgpr_kernarg_preload_length 0
		.amdhsa_user_sgpr_kernarg_preload_offset 0
		.amdhsa_user_sgpr_private_segment_size 0
		.amdhsa_uses_dynamic_stack 0
		.amdhsa_system_sgpr_private_segment_wavefront_offset 0
		.amdhsa_system_sgpr_workgroup_id_x 1
		.amdhsa_system_sgpr_workgroup_id_y 0
		.amdhsa_system_sgpr_workgroup_id_z 0
		.amdhsa_system_sgpr_workgroup_info 0
		.amdhsa_system_vgpr_workitem_id 0
		.amdhsa_next_free_vgpr 1
		.amdhsa_next_free_sgpr 0
		.amdhsa_accum_offset 4
		.amdhsa_reserve_vcc 0
		.amdhsa_reserve_flat_scratch 0
		.amdhsa_float_round_mode_32 0
		.amdhsa_float_round_mode_16_64 0
		.amdhsa_float_denorm_mode_32 3
		.amdhsa_float_denorm_mode_16_64 3
		.amdhsa_dx10_clamp 1
		.amdhsa_ieee_mode 1
		.amdhsa_fp16_overflow 0
		.amdhsa_tg_split 0
		.amdhsa_exception_fp_ieee_invalid_op 0
		.amdhsa_exception_fp_denorm_src 0
		.amdhsa_exception_fp_ieee_div_zero 0
		.amdhsa_exception_fp_ieee_overflow 0
		.amdhsa_exception_fp_ieee_underflow 0
		.amdhsa_exception_fp_ieee_inexact 0
		.amdhsa_exception_int_div_zero 0
	.end_amdhsa_kernel
	.section	.text._ZN7rocprim17ROCPRIM_400000_NS6detail17trampoline_kernelINS0_14default_configENS1_22reduce_config_selectorIiEEZNS1_11reduce_implILb1ES3_N6thrust23THRUST_200600_302600_NS11hip_rocprim35transform_pair_of_input_iterators_tIiPlSB_NS8_12not_equal_toIlEEEEPiiNS8_4plusIiEEEE10hipError_tPvRmT1_T2_T3_mT4_P12ihipStream_tbEUlT_E1_NS1_11comp_targetILNS1_3genE10ELNS1_11target_archE1201ELNS1_3gpuE5ELNS1_3repE0EEENS1_30default_config_static_selectorELNS0_4arch9wavefront6targetE1EEEvSL_,"axG",@progbits,_ZN7rocprim17ROCPRIM_400000_NS6detail17trampoline_kernelINS0_14default_configENS1_22reduce_config_selectorIiEEZNS1_11reduce_implILb1ES3_N6thrust23THRUST_200600_302600_NS11hip_rocprim35transform_pair_of_input_iterators_tIiPlSB_NS8_12not_equal_toIlEEEEPiiNS8_4plusIiEEEE10hipError_tPvRmT1_T2_T3_mT4_P12ihipStream_tbEUlT_E1_NS1_11comp_targetILNS1_3genE10ELNS1_11target_archE1201ELNS1_3gpuE5ELNS1_3repE0EEENS1_30default_config_static_selectorELNS0_4arch9wavefront6targetE1EEEvSL_,comdat
.Lfunc_end1200:
	.size	_ZN7rocprim17ROCPRIM_400000_NS6detail17trampoline_kernelINS0_14default_configENS1_22reduce_config_selectorIiEEZNS1_11reduce_implILb1ES3_N6thrust23THRUST_200600_302600_NS11hip_rocprim35transform_pair_of_input_iterators_tIiPlSB_NS8_12not_equal_toIlEEEEPiiNS8_4plusIiEEEE10hipError_tPvRmT1_T2_T3_mT4_P12ihipStream_tbEUlT_E1_NS1_11comp_targetILNS1_3genE10ELNS1_11target_archE1201ELNS1_3gpuE5ELNS1_3repE0EEENS1_30default_config_static_selectorELNS0_4arch9wavefront6targetE1EEEvSL_, .Lfunc_end1200-_ZN7rocprim17ROCPRIM_400000_NS6detail17trampoline_kernelINS0_14default_configENS1_22reduce_config_selectorIiEEZNS1_11reduce_implILb1ES3_N6thrust23THRUST_200600_302600_NS11hip_rocprim35transform_pair_of_input_iterators_tIiPlSB_NS8_12not_equal_toIlEEEEPiiNS8_4plusIiEEEE10hipError_tPvRmT1_T2_T3_mT4_P12ihipStream_tbEUlT_E1_NS1_11comp_targetILNS1_3genE10ELNS1_11target_archE1201ELNS1_3gpuE5ELNS1_3repE0EEENS1_30default_config_static_selectorELNS0_4arch9wavefront6targetE1EEEvSL_
                                        ; -- End function
	.section	.AMDGPU.csdata,"",@progbits
; Kernel info:
; codeLenInByte = 0
; NumSgprs: 4
; NumVgprs: 0
; NumAgprs: 0
; TotalNumVgprs: 0
; ScratchSize: 0
; MemoryBound: 0
; FloatMode: 240
; IeeeMode: 1
; LDSByteSize: 0 bytes/workgroup (compile time only)
; SGPRBlocks: 0
; VGPRBlocks: 0
; NumSGPRsForWavesPerEU: 4
; NumVGPRsForWavesPerEU: 1
; AccumOffset: 4
; Occupancy: 8
; WaveLimiterHint : 0
; COMPUTE_PGM_RSRC2:SCRATCH_EN: 0
; COMPUTE_PGM_RSRC2:USER_SGPR: 6
; COMPUTE_PGM_RSRC2:TRAP_HANDLER: 0
; COMPUTE_PGM_RSRC2:TGID_X_EN: 1
; COMPUTE_PGM_RSRC2:TGID_Y_EN: 0
; COMPUTE_PGM_RSRC2:TGID_Z_EN: 0
; COMPUTE_PGM_RSRC2:TIDIG_COMP_CNT: 0
; COMPUTE_PGM_RSRC3_GFX90A:ACCUM_OFFSET: 0
; COMPUTE_PGM_RSRC3_GFX90A:TG_SPLIT: 0
	.section	.text._ZN7rocprim17ROCPRIM_400000_NS6detail17trampoline_kernelINS0_14default_configENS1_22reduce_config_selectorIiEEZNS1_11reduce_implILb1ES3_N6thrust23THRUST_200600_302600_NS11hip_rocprim35transform_pair_of_input_iterators_tIiPlSB_NS8_12not_equal_toIlEEEEPiiNS8_4plusIiEEEE10hipError_tPvRmT1_T2_T3_mT4_P12ihipStream_tbEUlT_E1_NS1_11comp_targetILNS1_3genE10ELNS1_11target_archE1200ELNS1_3gpuE4ELNS1_3repE0EEENS1_30default_config_static_selectorELNS0_4arch9wavefront6targetE1EEEvSL_,"axG",@progbits,_ZN7rocprim17ROCPRIM_400000_NS6detail17trampoline_kernelINS0_14default_configENS1_22reduce_config_selectorIiEEZNS1_11reduce_implILb1ES3_N6thrust23THRUST_200600_302600_NS11hip_rocprim35transform_pair_of_input_iterators_tIiPlSB_NS8_12not_equal_toIlEEEEPiiNS8_4plusIiEEEE10hipError_tPvRmT1_T2_T3_mT4_P12ihipStream_tbEUlT_E1_NS1_11comp_targetILNS1_3genE10ELNS1_11target_archE1200ELNS1_3gpuE4ELNS1_3repE0EEENS1_30default_config_static_selectorELNS0_4arch9wavefront6targetE1EEEvSL_,comdat
	.protected	_ZN7rocprim17ROCPRIM_400000_NS6detail17trampoline_kernelINS0_14default_configENS1_22reduce_config_selectorIiEEZNS1_11reduce_implILb1ES3_N6thrust23THRUST_200600_302600_NS11hip_rocprim35transform_pair_of_input_iterators_tIiPlSB_NS8_12not_equal_toIlEEEEPiiNS8_4plusIiEEEE10hipError_tPvRmT1_T2_T3_mT4_P12ihipStream_tbEUlT_E1_NS1_11comp_targetILNS1_3genE10ELNS1_11target_archE1200ELNS1_3gpuE4ELNS1_3repE0EEENS1_30default_config_static_selectorELNS0_4arch9wavefront6targetE1EEEvSL_ ; -- Begin function _ZN7rocprim17ROCPRIM_400000_NS6detail17trampoline_kernelINS0_14default_configENS1_22reduce_config_selectorIiEEZNS1_11reduce_implILb1ES3_N6thrust23THRUST_200600_302600_NS11hip_rocprim35transform_pair_of_input_iterators_tIiPlSB_NS8_12not_equal_toIlEEEEPiiNS8_4plusIiEEEE10hipError_tPvRmT1_T2_T3_mT4_P12ihipStream_tbEUlT_E1_NS1_11comp_targetILNS1_3genE10ELNS1_11target_archE1200ELNS1_3gpuE4ELNS1_3repE0EEENS1_30default_config_static_selectorELNS0_4arch9wavefront6targetE1EEEvSL_
	.globl	_ZN7rocprim17ROCPRIM_400000_NS6detail17trampoline_kernelINS0_14default_configENS1_22reduce_config_selectorIiEEZNS1_11reduce_implILb1ES3_N6thrust23THRUST_200600_302600_NS11hip_rocprim35transform_pair_of_input_iterators_tIiPlSB_NS8_12not_equal_toIlEEEEPiiNS8_4plusIiEEEE10hipError_tPvRmT1_T2_T3_mT4_P12ihipStream_tbEUlT_E1_NS1_11comp_targetILNS1_3genE10ELNS1_11target_archE1200ELNS1_3gpuE4ELNS1_3repE0EEENS1_30default_config_static_selectorELNS0_4arch9wavefront6targetE1EEEvSL_
	.p2align	8
	.type	_ZN7rocprim17ROCPRIM_400000_NS6detail17trampoline_kernelINS0_14default_configENS1_22reduce_config_selectorIiEEZNS1_11reduce_implILb1ES3_N6thrust23THRUST_200600_302600_NS11hip_rocprim35transform_pair_of_input_iterators_tIiPlSB_NS8_12not_equal_toIlEEEEPiiNS8_4plusIiEEEE10hipError_tPvRmT1_T2_T3_mT4_P12ihipStream_tbEUlT_E1_NS1_11comp_targetILNS1_3genE10ELNS1_11target_archE1200ELNS1_3gpuE4ELNS1_3repE0EEENS1_30default_config_static_selectorELNS0_4arch9wavefront6targetE1EEEvSL_,@function
_ZN7rocprim17ROCPRIM_400000_NS6detail17trampoline_kernelINS0_14default_configENS1_22reduce_config_selectorIiEEZNS1_11reduce_implILb1ES3_N6thrust23THRUST_200600_302600_NS11hip_rocprim35transform_pair_of_input_iterators_tIiPlSB_NS8_12not_equal_toIlEEEEPiiNS8_4plusIiEEEE10hipError_tPvRmT1_T2_T3_mT4_P12ihipStream_tbEUlT_E1_NS1_11comp_targetILNS1_3genE10ELNS1_11target_archE1200ELNS1_3gpuE4ELNS1_3repE0EEENS1_30default_config_static_selectorELNS0_4arch9wavefront6targetE1EEEvSL_: ; @_ZN7rocprim17ROCPRIM_400000_NS6detail17trampoline_kernelINS0_14default_configENS1_22reduce_config_selectorIiEEZNS1_11reduce_implILb1ES3_N6thrust23THRUST_200600_302600_NS11hip_rocprim35transform_pair_of_input_iterators_tIiPlSB_NS8_12not_equal_toIlEEEEPiiNS8_4plusIiEEEE10hipError_tPvRmT1_T2_T3_mT4_P12ihipStream_tbEUlT_E1_NS1_11comp_targetILNS1_3genE10ELNS1_11target_archE1200ELNS1_3gpuE4ELNS1_3repE0EEENS1_30default_config_static_selectorELNS0_4arch9wavefront6targetE1EEEvSL_
; %bb.0:
	.section	.rodata,"a",@progbits
	.p2align	6, 0x0
	.amdhsa_kernel _ZN7rocprim17ROCPRIM_400000_NS6detail17trampoline_kernelINS0_14default_configENS1_22reduce_config_selectorIiEEZNS1_11reduce_implILb1ES3_N6thrust23THRUST_200600_302600_NS11hip_rocprim35transform_pair_of_input_iterators_tIiPlSB_NS8_12not_equal_toIlEEEEPiiNS8_4plusIiEEEE10hipError_tPvRmT1_T2_T3_mT4_P12ihipStream_tbEUlT_E1_NS1_11comp_targetILNS1_3genE10ELNS1_11target_archE1200ELNS1_3gpuE4ELNS1_3repE0EEENS1_30default_config_static_selectorELNS0_4arch9wavefront6targetE1EEEvSL_
		.amdhsa_group_segment_fixed_size 0
		.amdhsa_private_segment_fixed_size 0
		.amdhsa_kernarg_size 56
		.amdhsa_user_sgpr_count 6
		.amdhsa_user_sgpr_private_segment_buffer 1
		.amdhsa_user_sgpr_dispatch_ptr 0
		.amdhsa_user_sgpr_queue_ptr 0
		.amdhsa_user_sgpr_kernarg_segment_ptr 1
		.amdhsa_user_sgpr_dispatch_id 0
		.amdhsa_user_sgpr_flat_scratch_init 0
		.amdhsa_user_sgpr_kernarg_preload_length 0
		.amdhsa_user_sgpr_kernarg_preload_offset 0
		.amdhsa_user_sgpr_private_segment_size 0
		.amdhsa_uses_dynamic_stack 0
		.amdhsa_system_sgpr_private_segment_wavefront_offset 0
		.amdhsa_system_sgpr_workgroup_id_x 1
		.amdhsa_system_sgpr_workgroup_id_y 0
		.amdhsa_system_sgpr_workgroup_id_z 0
		.amdhsa_system_sgpr_workgroup_info 0
		.amdhsa_system_vgpr_workitem_id 0
		.amdhsa_next_free_vgpr 1
		.amdhsa_next_free_sgpr 0
		.amdhsa_accum_offset 4
		.amdhsa_reserve_vcc 0
		.amdhsa_reserve_flat_scratch 0
		.amdhsa_float_round_mode_32 0
		.amdhsa_float_round_mode_16_64 0
		.amdhsa_float_denorm_mode_32 3
		.amdhsa_float_denorm_mode_16_64 3
		.amdhsa_dx10_clamp 1
		.amdhsa_ieee_mode 1
		.amdhsa_fp16_overflow 0
		.amdhsa_tg_split 0
		.amdhsa_exception_fp_ieee_invalid_op 0
		.amdhsa_exception_fp_denorm_src 0
		.amdhsa_exception_fp_ieee_div_zero 0
		.amdhsa_exception_fp_ieee_overflow 0
		.amdhsa_exception_fp_ieee_underflow 0
		.amdhsa_exception_fp_ieee_inexact 0
		.amdhsa_exception_int_div_zero 0
	.end_amdhsa_kernel
	.section	.text._ZN7rocprim17ROCPRIM_400000_NS6detail17trampoline_kernelINS0_14default_configENS1_22reduce_config_selectorIiEEZNS1_11reduce_implILb1ES3_N6thrust23THRUST_200600_302600_NS11hip_rocprim35transform_pair_of_input_iterators_tIiPlSB_NS8_12not_equal_toIlEEEEPiiNS8_4plusIiEEEE10hipError_tPvRmT1_T2_T3_mT4_P12ihipStream_tbEUlT_E1_NS1_11comp_targetILNS1_3genE10ELNS1_11target_archE1200ELNS1_3gpuE4ELNS1_3repE0EEENS1_30default_config_static_selectorELNS0_4arch9wavefront6targetE1EEEvSL_,"axG",@progbits,_ZN7rocprim17ROCPRIM_400000_NS6detail17trampoline_kernelINS0_14default_configENS1_22reduce_config_selectorIiEEZNS1_11reduce_implILb1ES3_N6thrust23THRUST_200600_302600_NS11hip_rocprim35transform_pair_of_input_iterators_tIiPlSB_NS8_12not_equal_toIlEEEEPiiNS8_4plusIiEEEE10hipError_tPvRmT1_T2_T3_mT4_P12ihipStream_tbEUlT_E1_NS1_11comp_targetILNS1_3genE10ELNS1_11target_archE1200ELNS1_3gpuE4ELNS1_3repE0EEENS1_30default_config_static_selectorELNS0_4arch9wavefront6targetE1EEEvSL_,comdat
.Lfunc_end1201:
	.size	_ZN7rocprim17ROCPRIM_400000_NS6detail17trampoline_kernelINS0_14default_configENS1_22reduce_config_selectorIiEEZNS1_11reduce_implILb1ES3_N6thrust23THRUST_200600_302600_NS11hip_rocprim35transform_pair_of_input_iterators_tIiPlSB_NS8_12not_equal_toIlEEEEPiiNS8_4plusIiEEEE10hipError_tPvRmT1_T2_T3_mT4_P12ihipStream_tbEUlT_E1_NS1_11comp_targetILNS1_3genE10ELNS1_11target_archE1200ELNS1_3gpuE4ELNS1_3repE0EEENS1_30default_config_static_selectorELNS0_4arch9wavefront6targetE1EEEvSL_, .Lfunc_end1201-_ZN7rocprim17ROCPRIM_400000_NS6detail17trampoline_kernelINS0_14default_configENS1_22reduce_config_selectorIiEEZNS1_11reduce_implILb1ES3_N6thrust23THRUST_200600_302600_NS11hip_rocprim35transform_pair_of_input_iterators_tIiPlSB_NS8_12not_equal_toIlEEEEPiiNS8_4plusIiEEEE10hipError_tPvRmT1_T2_T3_mT4_P12ihipStream_tbEUlT_E1_NS1_11comp_targetILNS1_3genE10ELNS1_11target_archE1200ELNS1_3gpuE4ELNS1_3repE0EEENS1_30default_config_static_selectorELNS0_4arch9wavefront6targetE1EEEvSL_
                                        ; -- End function
	.section	.AMDGPU.csdata,"",@progbits
; Kernel info:
; codeLenInByte = 0
; NumSgprs: 4
; NumVgprs: 0
; NumAgprs: 0
; TotalNumVgprs: 0
; ScratchSize: 0
; MemoryBound: 0
; FloatMode: 240
; IeeeMode: 1
; LDSByteSize: 0 bytes/workgroup (compile time only)
; SGPRBlocks: 0
; VGPRBlocks: 0
; NumSGPRsForWavesPerEU: 4
; NumVGPRsForWavesPerEU: 1
; AccumOffset: 4
; Occupancy: 8
; WaveLimiterHint : 0
; COMPUTE_PGM_RSRC2:SCRATCH_EN: 0
; COMPUTE_PGM_RSRC2:USER_SGPR: 6
; COMPUTE_PGM_RSRC2:TRAP_HANDLER: 0
; COMPUTE_PGM_RSRC2:TGID_X_EN: 1
; COMPUTE_PGM_RSRC2:TGID_Y_EN: 0
; COMPUTE_PGM_RSRC2:TGID_Z_EN: 0
; COMPUTE_PGM_RSRC2:TIDIG_COMP_CNT: 0
; COMPUTE_PGM_RSRC3_GFX90A:ACCUM_OFFSET: 0
; COMPUTE_PGM_RSRC3_GFX90A:TG_SPLIT: 0
	.section	.text._ZN7rocprim17ROCPRIM_400000_NS6detail17trampoline_kernelINS0_14default_configENS1_22reduce_config_selectorIiEEZNS1_11reduce_implILb1ES3_N6thrust23THRUST_200600_302600_NS11hip_rocprim35transform_pair_of_input_iterators_tIiPlSB_NS8_12not_equal_toIlEEEEPiiNS8_4plusIiEEEE10hipError_tPvRmT1_T2_T3_mT4_P12ihipStream_tbEUlT_E1_NS1_11comp_targetILNS1_3genE9ELNS1_11target_archE1100ELNS1_3gpuE3ELNS1_3repE0EEENS1_30default_config_static_selectorELNS0_4arch9wavefront6targetE1EEEvSL_,"axG",@progbits,_ZN7rocprim17ROCPRIM_400000_NS6detail17trampoline_kernelINS0_14default_configENS1_22reduce_config_selectorIiEEZNS1_11reduce_implILb1ES3_N6thrust23THRUST_200600_302600_NS11hip_rocprim35transform_pair_of_input_iterators_tIiPlSB_NS8_12not_equal_toIlEEEEPiiNS8_4plusIiEEEE10hipError_tPvRmT1_T2_T3_mT4_P12ihipStream_tbEUlT_E1_NS1_11comp_targetILNS1_3genE9ELNS1_11target_archE1100ELNS1_3gpuE3ELNS1_3repE0EEENS1_30default_config_static_selectorELNS0_4arch9wavefront6targetE1EEEvSL_,comdat
	.protected	_ZN7rocprim17ROCPRIM_400000_NS6detail17trampoline_kernelINS0_14default_configENS1_22reduce_config_selectorIiEEZNS1_11reduce_implILb1ES3_N6thrust23THRUST_200600_302600_NS11hip_rocprim35transform_pair_of_input_iterators_tIiPlSB_NS8_12not_equal_toIlEEEEPiiNS8_4plusIiEEEE10hipError_tPvRmT1_T2_T3_mT4_P12ihipStream_tbEUlT_E1_NS1_11comp_targetILNS1_3genE9ELNS1_11target_archE1100ELNS1_3gpuE3ELNS1_3repE0EEENS1_30default_config_static_selectorELNS0_4arch9wavefront6targetE1EEEvSL_ ; -- Begin function _ZN7rocprim17ROCPRIM_400000_NS6detail17trampoline_kernelINS0_14default_configENS1_22reduce_config_selectorIiEEZNS1_11reduce_implILb1ES3_N6thrust23THRUST_200600_302600_NS11hip_rocprim35transform_pair_of_input_iterators_tIiPlSB_NS8_12not_equal_toIlEEEEPiiNS8_4plusIiEEEE10hipError_tPvRmT1_T2_T3_mT4_P12ihipStream_tbEUlT_E1_NS1_11comp_targetILNS1_3genE9ELNS1_11target_archE1100ELNS1_3gpuE3ELNS1_3repE0EEENS1_30default_config_static_selectorELNS0_4arch9wavefront6targetE1EEEvSL_
	.globl	_ZN7rocprim17ROCPRIM_400000_NS6detail17trampoline_kernelINS0_14default_configENS1_22reduce_config_selectorIiEEZNS1_11reduce_implILb1ES3_N6thrust23THRUST_200600_302600_NS11hip_rocprim35transform_pair_of_input_iterators_tIiPlSB_NS8_12not_equal_toIlEEEEPiiNS8_4plusIiEEEE10hipError_tPvRmT1_T2_T3_mT4_P12ihipStream_tbEUlT_E1_NS1_11comp_targetILNS1_3genE9ELNS1_11target_archE1100ELNS1_3gpuE3ELNS1_3repE0EEENS1_30default_config_static_selectorELNS0_4arch9wavefront6targetE1EEEvSL_
	.p2align	8
	.type	_ZN7rocprim17ROCPRIM_400000_NS6detail17trampoline_kernelINS0_14default_configENS1_22reduce_config_selectorIiEEZNS1_11reduce_implILb1ES3_N6thrust23THRUST_200600_302600_NS11hip_rocprim35transform_pair_of_input_iterators_tIiPlSB_NS8_12not_equal_toIlEEEEPiiNS8_4plusIiEEEE10hipError_tPvRmT1_T2_T3_mT4_P12ihipStream_tbEUlT_E1_NS1_11comp_targetILNS1_3genE9ELNS1_11target_archE1100ELNS1_3gpuE3ELNS1_3repE0EEENS1_30default_config_static_selectorELNS0_4arch9wavefront6targetE1EEEvSL_,@function
_ZN7rocprim17ROCPRIM_400000_NS6detail17trampoline_kernelINS0_14default_configENS1_22reduce_config_selectorIiEEZNS1_11reduce_implILb1ES3_N6thrust23THRUST_200600_302600_NS11hip_rocprim35transform_pair_of_input_iterators_tIiPlSB_NS8_12not_equal_toIlEEEEPiiNS8_4plusIiEEEE10hipError_tPvRmT1_T2_T3_mT4_P12ihipStream_tbEUlT_E1_NS1_11comp_targetILNS1_3genE9ELNS1_11target_archE1100ELNS1_3gpuE3ELNS1_3repE0EEENS1_30default_config_static_selectorELNS0_4arch9wavefront6targetE1EEEvSL_: ; @_ZN7rocprim17ROCPRIM_400000_NS6detail17trampoline_kernelINS0_14default_configENS1_22reduce_config_selectorIiEEZNS1_11reduce_implILb1ES3_N6thrust23THRUST_200600_302600_NS11hip_rocprim35transform_pair_of_input_iterators_tIiPlSB_NS8_12not_equal_toIlEEEEPiiNS8_4plusIiEEEE10hipError_tPvRmT1_T2_T3_mT4_P12ihipStream_tbEUlT_E1_NS1_11comp_targetILNS1_3genE9ELNS1_11target_archE1100ELNS1_3gpuE3ELNS1_3repE0EEENS1_30default_config_static_selectorELNS0_4arch9wavefront6targetE1EEEvSL_
; %bb.0:
	.section	.rodata,"a",@progbits
	.p2align	6, 0x0
	.amdhsa_kernel _ZN7rocprim17ROCPRIM_400000_NS6detail17trampoline_kernelINS0_14default_configENS1_22reduce_config_selectorIiEEZNS1_11reduce_implILb1ES3_N6thrust23THRUST_200600_302600_NS11hip_rocprim35transform_pair_of_input_iterators_tIiPlSB_NS8_12not_equal_toIlEEEEPiiNS8_4plusIiEEEE10hipError_tPvRmT1_T2_T3_mT4_P12ihipStream_tbEUlT_E1_NS1_11comp_targetILNS1_3genE9ELNS1_11target_archE1100ELNS1_3gpuE3ELNS1_3repE0EEENS1_30default_config_static_selectorELNS0_4arch9wavefront6targetE1EEEvSL_
		.amdhsa_group_segment_fixed_size 0
		.amdhsa_private_segment_fixed_size 0
		.amdhsa_kernarg_size 56
		.amdhsa_user_sgpr_count 6
		.amdhsa_user_sgpr_private_segment_buffer 1
		.amdhsa_user_sgpr_dispatch_ptr 0
		.amdhsa_user_sgpr_queue_ptr 0
		.amdhsa_user_sgpr_kernarg_segment_ptr 1
		.amdhsa_user_sgpr_dispatch_id 0
		.amdhsa_user_sgpr_flat_scratch_init 0
		.amdhsa_user_sgpr_kernarg_preload_length 0
		.amdhsa_user_sgpr_kernarg_preload_offset 0
		.amdhsa_user_sgpr_private_segment_size 0
		.amdhsa_uses_dynamic_stack 0
		.amdhsa_system_sgpr_private_segment_wavefront_offset 0
		.amdhsa_system_sgpr_workgroup_id_x 1
		.amdhsa_system_sgpr_workgroup_id_y 0
		.amdhsa_system_sgpr_workgroup_id_z 0
		.amdhsa_system_sgpr_workgroup_info 0
		.amdhsa_system_vgpr_workitem_id 0
		.amdhsa_next_free_vgpr 1
		.amdhsa_next_free_sgpr 0
		.amdhsa_accum_offset 4
		.amdhsa_reserve_vcc 0
		.amdhsa_reserve_flat_scratch 0
		.amdhsa_float_round_mode_32 0
		.amdhsa_float_round_mode_16_64 0
		.amdhsa_float_denorm_mode_32 3
		.amdhsa_float_denorm_mode_16_64 3
		.amdhsa_dx10_clamp 1
		.amdhsa_ieee_mode 1
		.amdhsa_fp16_overflow 0
		.amdhsa_tg_split 0
		.amdhsa_exception_fp_ieee_invalid_op 0
		.amdhsa_exception_fp_denorm_src 0
		.amdhsa_exception_fp_ieee_div_zero 0
		.amdhsa_exception_fp_ieee_overflow 0
		.amdhsa_exception_fp_ieee_underflow 0
		.amdhsa_exception_fp_ieee_inexact 0
		.amdhsa_exception_int_div_zero 0
	.end_amdhsa_kernel
	.section	.text._ZN7rocprim17ROCPRIM_400000_NS6detail17trampoline_kernelINS0_14default_configENS1_22reduce_config_selectorIiEEZNS1_11reduce_implILb1ES3_N6thrust23THRUST_200600_302600_NS11hip_rocprim35transform_pair_of_input_iterators_tIiPlSB_NS8_12not_equal_toIlEEEEPiiNS8_4plusIiEEEE10hipError_tPvRmT1_T2_T3_mT4_P12ihipStream_tbEUlT_E1_NS1_11comp_targetILNS1_3genE9ELNS1_11target_archE1100ELNS1_3gpuE3ELNS1_3repE0EEENS1_30default_config_static_selectorELNS0_4arch9wavefront6targetE1EEEvSL_,"axG",@progbits,_ZN7rocprim17ROCPRIM_400000_NS6detail17trampoline_kernelINS0_14default_configENS1_22reduce_config_selectorIiEEZNS1_11reduce_implILb1ES3_N6thrust23THRUST_200600_302600_NS11hip_rocprim35transform_pair_of_input_iterators_tIiPlSB_NS8_12not_equal_toIlEEEEPiiNS8_4plusIiEEEE10hipError_tPvRmT1_T2_T3_mT4_P12ihipStream_tbEUlT_E1_NS1_11comp_targetILNS1_3genE9ELNS1_11target_archE1100ELNS1_3gpuE3ELNS1_3repE0EEENS1_30default_config_static_selectorELNS0_4arch9wavefront6targetE1EEEvSL_,comdat
.Lfunc_end1202:
	.size	_ZN7rocprim17ROCPRIM_400000_NS6detail17trampoline_kernelINS0_14default_configENS1_22reduce_config_selectorIiEEZNS1_11reduce_implILb1ES3_N6thrust23THRUST_200600_302600_NS11hip_rocprim35transform_pair_of_input_iterators_tIiPlSB_NS8_12not_equal_toIlEEEEPiiNS8_4plusIiEEEE10hipError_tPvRmT1_T2_T3_mT4_P12ihipStream_tbEUlT_E1_NS1_11comp_targetILNS1_3genE9ELNS1_11target_archE1100ELNS1_3gpuE3ELNS1_3repE0EEENS1_30default_config_static_selectorELNS0_4arch9wavefront6targetE1EEEvSL_, .Lfunc_end1202-_ZN7rocprim17ROCPRIM_400000_NS6detail17trampoline_kernelINS0_14default_configENS1_22reduce_config_selectorIiEEZNS1_11reduce_implILb1ES3_N6thrust23THRUST_200600_302600_NS11hip_rocprim35transform_pair_of_input_iterators_tIiPlSB_NS8_12not_equal_toIlEEEEPiiNS8_4plusIiEEEE10hipError_tPvRmT1_T2_T3_mT4_P12ihipStream_tbEUlT_E1_NS1_11comp_targetILNS1_3genE9ELNS1_11target_archE1100ELNS1_3gpuE3ELNS1_3repE0EEENS1_30default_config_static_selectorELNS0_4arch9wavefront6targetE1EEEvSL_
                                        ; -- End function
	.section	.AMDGPU.csdata,"",@progbits
; Kernel info:
; codeLenInByte = 0
; NumSgprs: 4
; NumVgprs: 0
; NumAgprs: 0
; TotalNumVgprs: 0
; ScratchSize: 0
; MemoryBound: 0
; FloatMode: 240
; IeeeMode: 1
; LDSByteSize: 0 bytes/workgroup (compile time only)
; SGPRBlocks: 0
; VGPRBlocks: 0
; NumSGPRsForWavesPerEU: 4
; NumVGPRsForWavesPerEU: 1
; AccumOffset: 4
; Occupancy: 8
; WaveLimiterHint : 0
; COMPUTE_PGM_RSRC2:SCRATCH_EN: 0
; COMPUTE_PGM_RSRC2:USER_SGPR: 6
; COMPUTE_PGM_RSRC2:TRAP_HANDLER: 0
; COMPUTE_PGM_RSRC2:TGID_X_EN: 1
; COMPUTE_PGM_RSRC2:TGID_Y_EN: 0
; COMPUTE_PGM_RSRC2:TGID_Z_EN: 0
; COMPUTE_PGM_RSRC2:TIDIG_COMP_CNT: 0
; COMPUTE_PGM_RSRC3_GFX90A:ACCUM_OFFSET: 0
; COMPUTE_PGM_RSRC3_GFX90A:TG_SPLIT: 0
	.section	.text._ZN7rocprim17ROCPRIM_400000_NS6detail17trampoline_kernelINS0_14default_configENS1_22reduce_config_selectorIiEEZNS1_11reduce_implILb1ES3_N6thrust23THRUST_200600_302600_NS11hip_rocprim35transform_pair_of_input_iterators_tIiPlSB_NS8_12not_equal_toIlEEEEPiiNS8_4plusIiEEEE10hipError_tPvRmT1_T2_T3_mT4_P12ihipStream_tbEUlT_E1_NS1_11comp_targetILNS1_3genE8ELNS1_11target_archE1030ELNS1_3gpuE2ELNS1_3repE0EEENS1_30default_config_static_selectorELNS0_4arch9wavefront6targetE1EEEvSL_,"axG",@progbits,_ZN7rocprim17ROCPRIM_400000_NS6detail17trampoline_kernelINS0_14default_configENS1_22reduce_config_selectorIiEEZNS1_11reduce_implILb1ES3_N6thrust23THRUST_200600_302600_NS11hip_rocprim35transform_pair_of_input_iterators_tIiPlSB_NS8_12not_equal_toIlEEEEPiiNS8_4plusIiEEEE10hipError_tPvRmT1_T2_T3_mT4_P12ihipStream_tbEUlT_E1_NS1_11comp_targetILNS1_3genE8ELNS1_11target_archE1030ELNS1_3gpuE2ELNS1_3repE0EEENS1_30default_config_static_selectorELNS0_4arch9wavefront6targetE1EEEvSL_,comdat
	.protected	_ZN7rocprim17ROCPRIM_400000_NS6detail17trampoline_kernelINS0_14default_configENS1_22reduce_config_selectorIiEEZNS1_11reduce_implILb1ES3_N6thrust23THRUST_200600_302600_NS11hip_rocprim35transform_pair_of_input_iterators_tIiPlSB_NS8_12not_equal_toIlEEEEPiiNS8_4plusIiEEEE10hipError_tPvRmT1_T2_T3_mT4_P12ihipStream_tbEUlT_E1_NS1_11comp_targetILNS1_3genE8ELNS1_11target_archE1030ELNS1_3gpuE2ELNS1_3repE0EEENS1_30default_config_static_selectorELNS0_4arch9wavefront6targetE1EEEvSL_ ; -- Begin function _ZN7rocprim17ROCPRIM_400000_NS6detail17trampoline_kernelINS0_14default_configENS1_22reduce_config_selectorIiEEZNS1_11reduce_implILb1ES3_N6thrust23THRUST_200600_302600_NS11hip_rocprim35transform_pair_of_input_iterators_tIiPlSB_NS8_12not_equal_toIlEEEEPiiNS8_4plusIiEEEE10hipError_tPvRmT1_T2_T3_mT4_P12ihipStream_tbEUlT_E1_NS1_11comp_targetILNS1_3genE8ELNS1_11target_archE1030ELNS1_3gpuE2ELNS1_3repE0EEENS1_30default_config_static_selectorELNS0_4arch9wavefront6targetE1EEEvSL_
	.globl	_ZN7rocprim17ROCPRIM_400000_NS6detail17trampoline_kernelINS0_14default_configENS1_22reduce_config_selectorIiEEZNS1_11reduce_implILb1ES3_N6thrust23THRUST_200600_302600_NS11hip_rocprim35transform_pair_of_input_iterators_tIiPlSB_NS8_12not_equal_toIlEEEEPiiNS8_4plusIiEEEE10hipError_tPvRmT1_T2_T3_mT4_P12ihipStream_tbEUlT_E1_NS1_11comp_targetILNS1_3genE8ELNS1_11target_archE1030ELNS1_3gpuE2ELNS1_3repE0EEENS1_30default_config_static_selectorELNS0_4arch9wavefront6targetE1EEEvSL_
	.p2align	8
	.type	_ZN7rocprim17ROCPRIM_400000_NS6detail17trampoline_kernelINS0_14default_configENS1_22reduce_config_selectorIiEEZNS1_11reduce_implILb1ES3_N6thrust23THRUST_200600_302600_NS11hip_rocprim35transform_pair_of_input_iterators_tIiPlSB_NS8_12not_equal_toIlEEEEPiiNS8_4plusIiEEEE10hipError_tPvRmT1_T2_T3_mT4_P12ihipStream_tbEUlT_E1_NS1_11comp_targetILNS1_3genE8ELNS1_11target_archE1030ELNS1_3gpuE2ELNS1_3repE0EEENS1_30default_config_static_selectorELNS0_4arch9wavefront6targetE1EEEvSL_,@function
_ZN7rocprim17ROCPRIM_400000_NS6detail17trampoline_kernelINS0_14default_configENS1_22reduce_config_selectorIiEEZNS1_11reduce_implILb1ES3_N6thrust23THRUST_200600_302600_NS11hip_rocprim35transform_pair_of_input_iterators_tIiPlSB_NS8_12not_equal_toIlEEEEPiiNS8_4plusIiEEEE10hipError_tPvRmT1_T2_T3_mT4_P12ihipStream_tbEUlT_E1_NS1_11comp_targetILNS1_3genE8ELNS1_11target_archE1030ELNS1_3gpuE2ELNS1_3repE0EEENS1_30default_config_static_selectorELNS0_4arch9wavefront6targetE1EEEvSL_: ; @_ZN7rocprim17ROCPRIM_400000_NS6detail17trampoline_kernelINS0_14default_configENS1_22reduce_config_selectorIiEEZNS1_11reduce_implILb1ES3_N6thrust23THRUST_200600_302600_NS11hip_rocprim35transform_pair_of_input_iterators_tIiPlSB_NS8_12not_equal_toIlEEEEPiiNS8_4plusIiEEEE10hipError_tPvRmT1_T2_T3_mT4_P12ihipStream_tbEUlT_E1_NS1_11comp_targetILNS1_3genE8ELNS1_11target_archE1030ELNS1_3gpuE2ELNS1_3repE0EEENS1_30default_config_static_selectorELNS0_4arch9wavefront6targetE1EEEvSL_
; %bb.0:
	.section	.rodata,"a",@progbits
	.p2align	6, 0x0
	.amdhsa_kernel _ZN7rocprim17ROCPRIM_400000_NS6detail17trampoline_kernelINS0_14default_configENS1_22reduce_config_selectorIiEEZNS1_11reduce_implILb1ES3_N6thrust23THRUST_200600_302600_NS11hip_rocprim35transform_pair_of_input_iterators_tIiPlSB_NS8_12not_equal_toIlEEEEPiiNS8_4plusIiEEEE10hipError_tPvRmT1_T2_T3_mT4_P12ihipStream_tbEUlT_E1_NS1_11comp_targetILNS1_3genE8ELNS1_11target_archE1030ELNS1_3gpuE2ELNS1_3repE0EEENS1_30default_config_static_selectorELNS0_4arch9wavefront6targetE1EEEvSL_
		.amdhsa_group_segment_fixed_size 0
		.amdhsa_private_segment_fixed_size 0
		.amdhsa_kernarg_size 56
		.amdhsa_user_sgpr_count 6
		.amdhsa_user_sgpr_private_segment_buffer 1
		.amdhsa_user_sgpr_dispatch_ptr 0
		.amdhsa_user_sgpr_queue_ptr 0
		.amdhsa_user_sgpr_kernarg_segment_ptr 1
		.amdhsa_user_sgpr_dispatch_id 0
		.amdhsa_user_sgpr_flat_scratch_init 0
		.amdhsa_user_sgpr_kernarg_preload_length 0
		.amdhsa_user_sgpr_kernarg_preload_offset 0
		.amdhsa_user_sgpr_private_segment_size 0
		.amdhsa_uses_dynamic_stack 0
		.amdhsa_system_sgpr_private_segment_wavefront_offset 0
		.amdhsa_system_sgpr_workgroup_id_x 1
		.amdhsa_system_sgpr_workgroup_id_y 0
		.amdhsa_system_sgpr_workgroup_id_z 0
		.amdhsa_system_sgpr_workgroup_info 0
		.amdhsa_system_vgpr_workitem_id 0
		.amdhsa_next_free_vgpr 1
		.amdhsa_next_free_sgpr 0
		.amdhsa_accum_offset 4
		.amdhsa_reserve_vcc 0
		.amdhsa_reserve_flat_scratch 0
		.amdhsa_float_round_mode_32 0
		.amdhsa_float_round_mode_16_64 0
		.amdhsa_float_denorm_mode_32 3
		.amdhsa_float_denorm_mode_16_64 3
		.amdhsa_dx10_clamp 1
		.amdhsa_ieee_mode 1
		.amdhsa_fp16_overflow 0
		.amdhsa_tg_split 0
		.amdhsa_exception_fp_ieee_invalid_op 0
		.amdhsa_exception_fp_denorm_src 0
		.amdhsa_exception_fp_ieee_div_zero 0
		.amdhsa_exception_fp_ieee_overflow 0
		.amdhsa_exception_fp_ieee_underflow 0
		.amdhsa_exception_fp_ieee_inexact 0
		.amdhsa_exception_int_div_zero 0
	.end_amdhsa_kernel
	.section	.text._ZN7rocprim17ROCPRIM_400000_NS6detail17trampoline_kernelINS0_14default_configENS1_22reduce_config_selectorIiEEZNS1_11reduce_implILb1ES3_N6thrust23THRUST_200600_302600_NS11hip_rocprim35transform_pair_of_input_iterators_tIiPlSB_NS8_12not_equal_toIlEEEEPiiNS8_4plusIiEEEE10hipError_tPvRmT1_T2_T3_mT4_P12ihipStream_tbEUlT_E1_NS1_11comp_targetILNS1_3genE8ELNS1_11target_archE1030ELNS1_3gpuE2ELNS1_3repE0EEENS1_30default_config_static_selectorELNS0_4arch9wavefront6targetE1EEEvSL_,"axG",@progbits,_ZN7rocprim17ROCPRIM_400000_NS6detail17trampoline_kernelINS0_14default_configENS1_22reduce_config_selectorIiEEZNS1_11reduce_implILb1ES3_N6thrust23THRUST_200600_302600_NS11hip_rocprim35transform_pair_of_input_iterators_tIiPlSB_NS8_12not_equal_toIlEEEEPiiNS8_4plusIiEEEE10hipError_tPvRmT1_T2_T3_mT4_P12ihipStream_tbEUlT_E1_NS1_11comp_targetILNS1_3genE8ELNS1_11target_archE1030ELNS1_3gpuE2ELNS1_3repE0EEENS1_30default_config_static_selectorELNS0_4arch9wavefront6targetE1EEEvSL_,comdat
.Lfunc_end1203:
	.size	_ZN7rocprim17ROCPRIM_400000_NS6detail17trampoline_kernelINS0_14default_configENS1_22reduce_config_selectorIiEEZNS1_11reduce_implILb1ES3_N6thrust23THRUST_200600_302600_NS11hip_rocprim35transform_pair_of_input_iterators_tIiPlSB_NS8_12not_equal_toIlEEEEPiiNS8_4plusIiEEEE10hipError_tPvRmT1_T2_T3_mT4_P12ihipStream_tbEUlT_E1_NS1_11comp_targetILNS1_3genE8ELNS1_11target_archE1030ELNS1_3gpuE2ELNS1_3repE0EEENS1_30default_config_static_selectorELNS0_4arch9wavefront6targetE1EEEvSL_, .Lfunc_end1203-_ZN7rocprim17ROCPRIM_400000_NS6detail17trampoline_kernelINS0_14default_configENS1_22reduce_config_selectorIiEEZNS1_11reduce_implILb1ES3_N6thrust23THRUST_200600_302600_NS11hip_rocprim35transform_pair_of_input_iterators_tIiPlSB_NS8_12not_equal_toIlEEEEPiiNS8_4plusIiEEEE10hipError_tPvRmT1_T2_T3_mT4_P12ihipStream_tbEUlT_E1_NS1_11comp_targetILNS1_3genE8ELNS1_11target_archE1030ELNS1_3gpuE2ELNS1_3repE0EEENS1_30default_config_static_selectorELNS0_4arch9wavefront6targetE1EEEvSL_
                                        ; -- End function
	.section	.AMDGPU.csdata,"",@progbits
; Kernel info:
; codeLenInByte = 0
; NumSgprs: 4
; NumVgprs: 0
; NumAgprs: 0
; TotalNumVgprs: 0
; ScratchSize: 0
; MemoryBound: 0
; FloatMode: 240
; IeeeMode: 1
; LDSByteSize: 0 bytes/workgroup (compile time only)
; SGPRBlocks: 0
; VGPRBlocks: 0
; NumSGPRsForWavesPerEU: 4
; NumVGPRsForWavesPerEU: 1
; AccumOffset: 4
; Occupancy: 8
; WaveLimiterHint : 0
; COMPUTE_PGM_RSRC2:SCRATCH_EN: 0
; COMPUTE_PGM_RSRC2:USER_SGPR: 6
; COMPUTE_PGM_RSRC2:TRAP_HANDLER: 0
; COMPUTE_PGM_RSRC2:TGID_X_EN: 1
; COMPUTE_PGM_RSRC2:TGID_Y_EN: 0
; COMPUTE_PGM_RSRC2:TGID_Z_EN: 0
; COMPUTE_PGM_RSRC2:TIDIG_COMP_CNT: 0
; COMPUTE_PGM_RSRC3_GFX90A:ACCUM_OFFSET: 0
; COMPUTE_PGM_RSRC3_GFX90A:TG_SPLIT: 0
	.section	.text._ZN7rocprim17ROCPRIM_400000_NS6detail17trampoline_kernelINS0_14default_configENS1_29reduce_by_key_config_selectorIllN6thrust23THRUST_200600_302600_NS4plusIlEEEEZZNS1_33reduce_by_key_impl_wrapped_configILNS1_25lookback_scan_determinismE0ES3_S9_PlNS6_17constant_iteratorIiNS6_11use_defaultESE_EENS6_10device_ptrIlEESH_PmS8_NS6_8equal_toIlEEEE10hipError_tPvRmT2_T3_mT4_T5_T6_T7_T8_P12ihipStream_tbENKUlT_T0_E_clISt17integral_constantIbLb0EES12_EEDaSX_SY_EUlSX_E_NS1_11comp_targetILNS1_3genE0ELNS1_11target_archE4294967295ELNS1_3gpuE0ELNS1_3repE0EEENS1_30default_config_static_selectorELNS0_4arch9wavefront6targetE1EEEvT1_,"axG",@progbits,_ZN7rocprim17ROCPRIM_400000_NS6detail17trampoline_kernelINS0_14default_configENS1_29reduce_by_key_config_selectorIllN6thrust23THRUST_200600_302600_NS4plusIlEEEEZZNS1_33reduce_by_key_impl_wrapped_configILNS1_25lookback_scan_determinismE0ES3_S9_PlNS6_17constant_iteratorIiNS6_11use_defaultESE_EENS6_10device_ptrIlEESH_PmS8_NS6_8equal_toIlEEEE10hipError_tPvRmT2_T3_mT4_T5_T6_T7_T8_P12ihipStream_tbENKUlT_T0_E_clISt17integral_constantIbLb0EES12_EEDaSX_SY_EUlSX_E_NS1_11comp_targetILNS1_3genE0ELNS1_11target_archE4294967295ELNS1_3gpuE0ELNS1_3repE0EEENS1_30default_config_static_selectorELNS0_4arch9wavefront6targetE1EEEvT1_,comdat
	.protected	_ZN7rocprim17ROCPRIM_400000_NS6detail17trampoline_kernelINS0_14default_configENS1_29reduce_by_key_config_selectorIllN6thrust23THRUST_200600_302600_NS4plusIlEEEEZZNS1_33reduce_by_key_impl_wrapped_configILNS1_25lookback_scan_determinismE0ES3_S9_PlNS6_17constant_iteratorIiNS6_11use_defaultESE_EENS6_10device_ptrIlEESH_PmS8_NS6_8equal_toIlEEEE10hipError_tPvRmT2_T3_mT4_T5_T6_T7_T8_P12ihipStream_tbENKUlT_T0_E_clISt17integral_constantIbLb0EES12_EEDaSX_SY_EUlSX_E_NS1_11comp_targetILNS1_3genE0ELNS1_11target_archE4294967295ELNS1_3gpuE0ELNS1_3repE0EEENS1_30default_config_static_selectorELNS0_4arch9wavefront6targetE1EEEvT1_ ; -- Begin function _ZN7rocprim17ROCPRIM_400000_NS6detail17trampoline_kernelINS0_14default_configENS1_29reduce_by_key_config_selectorIllN6thrust23THRUST_200600_302600_NS4plusIlEEEEZZNS1_33reduce_by_key_impl_wrapped_configILNS1_25lookback_scan_determinismE0ES3_S9_PlNS6_17constant_iteratorIiNS6_11use_defaultESE_EENS6_10device_ptrIlEESH_PmS8_NS6_8equal_toIlEEEE10hipError_tPvRmT2_T3_mT4_T5_T6_T7_T8_P12ihipStream_tbENKUlT_T0_E_clISt17integral_constantIbLb0EES12_EEDaSX_SY_EUlSX_E_NS1_11comp_targetILNS1_3genE0ELNS1_11target_archE4294967295ELNS1_3gpuE0ELNS1_3repE0EEENS1_30default_config_static_selectorELNS0_4arch9wavefront6targetE1EEEvT1_
	.globl	_ZN7rocprim17ROCPRIM_400000_NS6detail17trampoline_kernelINS0_14default_configENS1_29reduce_by_key_config_selectorIllN6thrust23THRUST_200600_302600_NS4plusIlEEEEZZNS1_33reduce_by_key_impl_wrapped_configILNS1_25lookback_scan_determinismE0ES3_S9_PlNS6_17constant_iteratorIiNS6_11use_defaultESE_EENS6_10device_ptrIlEESH_PmS8_NS6_8equal_toIlEEEE10hipError_tPvRmT2_T3_mT4_T5_T6_T7_T8_P12ihipStream_tbENKUlT_T0_E_clISt17integral_constantIbLb0EES12_EEDaSX_SY_EUlSX_E_NS1_11comp_targetILNS1_3genE0ELNS1_11target_archE4294967295ELNS1_3gpuE0ELNS1_3repE0EEENS1_30default_config_static_selectorELNS0_4arch9wavefront6targetE1EEEvT1_
	.p2align	8
	.type	_ZN7rocprim17ROCPRIM_400000_NS6detail17trampoline_kernelINS0_14default_configENS1_29reduce_by_key_config_selectorIllN6thrust23THRUST_200600_302600_NS4plusIlEEEEZZNS1_33reduce_by_key_impl_wrapped_configILNS1_25lookback_scan_determinismE0ES3_S9_PlNS6_17constant_iteratorIiNS6_11use_defaultESE_EENS6_10device_ptrIlEESH_PmS8_NS6_8equal_toIlEEEE10hipError_tPvRmT2_T3_mT4_T5_T6_T7_T8_P12ihipStream_tbENKUlT_T0_E_clISt17integral_constantIbLb0EES12_EEDaSX_SY_EUlSX_E_NS1_11comp_targetILNS1_3genE0ELNS1_11target_archE4294967295ELNS1_3gpuE0ELNS1_3repE0EEENS1_30default_config_static_selectorELNS0_4arch9wavefront6targetE1EEEvT1_,@function
_ZN7rocprim17ROCPRIM_400000_NS6detail17trampoline_kernelINS0_14default_configENS1_29reduce_by_key_config_selectorIllN6thrust23THRUST_200600_302600_NS4plusIlEEEEZZNS1_33reduce_by_key_impl_wrapped_configILNS1_25lookback_scan_determinismE0ES3_S9_PlNS6_17constant_iteratorIiNS6_11use_defaultESE_EENS6_10device_ptrIlEESH_PmS8_NS6_8equal_toIlEEEE10hipError_tPvRmT2_T3_mT4_T5_T6_T7_T8_P12ihipStream_tbENKUlT_T0_E_clISt17integral_constantIbLb0EES12_EEDaSX_SY_EUlSX_E_NS1_11comp_targetILNS1_3genE0ELNS1_11target_archE4294967295ELNS1_3gpuE0ELNS1_3repE0EEENS1_30default_config_static_selectorELNS0_4arch9wavefront6targetE1EEEvT1_: ; @_ZN7rocprim17ROCPRIM_400000_NS6detail17trampoline_kernelINS0_14default_configENS1_29reduce_by_key_config_selectorIllN6thrust23THRUST_200600_302600_NS4plusIlEEEEZZNS1_33reduce_by_key_impl_wrapped_configILNS1_25lookback_scan_determinismE0ES3_S9_PlNS6_17constant_iteratorIiNS6_11use_defaultESE_EENS6_10device_ptrIlEESH_PmS8_NS6_8equal_toIlEEEE10hipError_tPvRmT2_T3_mT4_T5_T6_T7_T8_P12ihipStream_tbENKUlT_T0_E_clISt17integral_constantIbLb0EES12_EEDaSX_SY_EUlSX_E_NS1_11comp_targetILNS1_3genE0ELNS1_11target_archE4294967295ELNS1_3gpuE0ELNS1_3repE0EEENS1_30default_config_static_selectorELNS0_4arch9wavefront6targetE1EEEvT1_
; %bb.0:
	.section	.rodata,"a",@progbits
	.p2align	6, 0x0
	.amdhsa_kernel _ZN7rocprim17ROCPRIM_400000_NS6detail17trampoline_kernelINS0_14default_configENS1_29reduce_by_key_config_selectorIllN6thrust23THRUST_200600_302600_NS4plusIlEEEEZZNS1_33reduce_by_key_impl_wrapped_configILNS1_25lookback_scan_determinismE0ES3_S9_PlNS6_17constant_iteratorIiNS6_11use_defaultESE_EENS6_10device_ptrIlEESH_PmS8_NS6_8equal_toIlEEEE10hipError_tPvRmT2_T3_mT4_T5_T6_T7_T8_P12ihipStream_tbENKUlT_T0_E_clISt17integral_constantIbLb0EES12_EEDaSX_SY_EUlSX_E_NS1_11comp_targetILNS1_3genE0ELNS1_11target_archE4294967295ELNS1_3gpuE0ELNS1_3repE0EEENS1_30default_config_static_selectorELNS0_4arch9wavefront6targetE1EEEvT1_
		.amdhsa_group_segment_fixed_size 0
		.amdhsa_private_segment_fixed_size 0
		.amdhsa_kernarg_size 144
		.amdhsa_user_sgpr_count 6
		.amdhsa_user_sgpr_private_segment_buffer 1
		.amdhsa_user_sgpr_dispatch_ptr 0
		.amdhsa_user_sgpr_queue_ptr 0
		.amdhsa_user_sgpr_kernarg_segment_ptr 1
		.amdhsa_user_sgpr_dispatch_id 0
		.amdhsa_user_sgpr_flat_scratch_init 0
		.amdhsa_user_sgpr_kernarg_preload_length 0
		.amdhsa_user_sgpr_kernarg_preload_offset 0
		.amdhsa_user_sgpr_private_segment_size 0
		.amdhsa_uses_dynamic_stack 0
		.amdhsa_system_sgpr_private_segment_wavefront_offset 0
		.amdhsa_system_sgpr_workgroup_id_x 1
		.amdhsa_system_sgpr_workgroup_id_y 0
		.amdhsa_system_sgpr_workgroup_id_z 0
		.amdhsa_system_sgpr_workgroup_info 0
		.amdhsa_system_vgpr_workitem_id 0
		.amdhsa_next_free_vgpr 1
		.amdhsa_next_free_sgpr 0
		.amdhsa_accum_offset 4
		.amdhsa_reserve_vcc 0
		.amdhsa_reserve_flat_scratch 0
		.amdhsa_float_round_mode_32 0
		.amdhsa_float_round_mode_16_64 0
		.amdhsa_float_denorm_mode_32 3
		.amdhsa_float_denorm_mode_16_64 3
		.amdhsa_dx10_clamp 1
		.amdhsa_ieee_mode 1
		.amdhsa_fp16_overflow 0
		.amdhsa_tg_split 0
		.amdhsa_exception_fp_ieee_invalid_op 0
		.amdhsa_exception_fp_denorm_src 0
		.amdhsa_exception_fp_ieee_div_zero 0
		.amdhsa_exception_fp_ieee_overflow 0
		.amdhsa_exception_fp_ieee_underflow 0
		.amdhsa_exception_fp_ieee_inexact 0
		.amdhsa_exception_int_div_zero 0
	.end_amdhsa_kernel
	.section	.text._ZN7rocprim17ROCPRIM_400000_NS6detail17trampoline_kernelINS0_14default_configENS1_29reduce_by_key_config_selectorIllN6thrust23THRUST_200600_302600_NS4plusIlEEEEZZNS1_33reduce_by_key_impl_wrapped_configILNS1_25lookback_scan_determinismE0ES3_S9_PlNS6_17constant_iteratorIiNS6_11use_defaultESE_EENS6_10device_ptrIlEESH_PmS8_NS6_8equal_toIlEEEE10hipError_tPvRmT2_T3_mT4_T5_T6_T7_T8_P12ihipStream_tbENKUlT_T0_E_clISt17integral_constantIbLb0EES12_EEDaSX_SY_EUlSX_E_NS1_11comp_targetILNS1_3genE0ELNS1_11target_archE4294967295ELNS1_3gpuE0ELNS1_3repE0EEENS1_30default_config_static_selectorELNS0_4arch9wavefront6targetE1EEEvT1_,"axG",@progbits,_ZN7rocprim17ROCPRIM_400000_NS6detail17trampoline_kernelINS0_14default_configENS1_29reduce_by_key_config_selectorIllN6thrust23THRUST_200600_302600_NS4plusIlEEEEZZNS1_33reduce_by_key_impl_wrapped_configILNS1_25lookback_scan_determinismE0ES3_S9_PlNS6_17constant_iteratorIiNS6_11use_defaultESE_EENS6_10device_ptrIlEESH_PmS8_NS6_8equal_toIlEEEE10hipError_tPvRmT2_T3_mT4_T5_T6_T7_T8_P12ihipStream_tbENKUlT_T0_E_clISt17integral_constantIbLb0EES12_EEDaSX_SY_EUlSX_E_NS1_11comp_targetILNS1_3genE0ELNS1_11target_archE4294967295ELNS1_3gpuE0ELNS1_3repE0EEENS1_30default_config_static_selectorELNS0_4arch9wavefront6targetE1EEEvT1_,comdat
.Lfunc_end1204:
	.size	_ZN7rocprim17ROCPRIM_400000_NS6detail17trampoline_kernelINS0_14default_configENS1_29reduce_by_key_config_selectorIllN6thrust23THRUST_200600_302600_NS4plusIlEEEEZZNS1_33reduce_by_key_impl_wrapped_configILNS1_25lookback_scan_determinismE0ES3_S9_PlNS6_17constant_iteratorIiNS6_11use_defaultESE_EENS6_10device_ptrIlEESH_PmS8_NS6_8equal_toIlEEEE10hipError_tPvRmT2_T3_mT4_T5_T6_T7_T8_P12ihipStream_tbENKUlT_T0_E_clISt17integral_constantIbLb0EES12_EEDaSX_SY_EUlSX_E_NS1_11comp_targetILNS1_3genE0ELNS1_11target_archE4294967295ELNS1_3gpuE0ELNS1_3repE0EEENS1_30default_config_static_selectorELNS0_4arch9wavefront6targetE1EEEvT1_, .Lfunc_end1204-_ZN7rocprim17ROCPRIM_400000_NS6detail17trampoline_kernelINS0_14default_configENS1_29reduce_by_key_config_selectorIllN6thrust23THRUST_200600_302600_NS4plusIlEEEEZZNS1_33reduce_by_key_impl_wrapped_configILNS1_25lookback_scan_determinismE0ES3_S9_PlNS6_17constant_iteratorIiNS6_11use_defaultESE_EENS6_10device_ptrIlEESH_PmS8_NS6_8equal_toIlEEEE10hipError_tPvRmT2_T3_mT4_T5_T6_T7_T8_P12ihipStream_tbENKUlT_T0_E_clISt17integral_constantIbLb0EES12_EEDaSX_SY_EUlSX_E_NS1_11comp_targetILNS1_3genE0ELNS1_11target_archE4294967295ELNS1_3gpuE0ELNS1_3repE0EEENS1_30default_config_static_selectorELNS0_4arch9wavefront6targetE1EEEvT1_
                                        ; -- End function
	.section	.AMDGPU.csdata,"",@progbits
; Kernel info:
; codeLenInByte = 0
; NumSgprs: 4
; NumVgprs: 0
; NumAgprs: 0
; TotalNumVgprs: 0
; ScratchSize: 0
; MemoryBound: 0
; FloatMode: 240
; IeeeMode: 1
; LDSByteSize: 0 bytes/workgroup (compile time only)
; SGPRBlocks: 0
; VGPRBlocks: 0
; NumSGPRsForWavesPerEU: 4
; NumVGPRsForWavesPerEU: 1
; AccumOffset: 4
; Occupancy: 8
; WaveLimiterHint : 0
; COMPUTE_PGM_RSRC2:SCRATCH_EN: 0
; COMPUTE_PGM_RSRC2:USER_SGPR: 6
; COMPUTE_PGM_RSRC2:TRAP_HANDLER: 0
; COMPUTE_PGM_RSRC2:TGID_X_EN: 1
; COMPUTE_PGM_RSRC2:TGID_Y_EN: 0
; COMPUTE_PGM_RSRC2:TGID_Z_EN: 0
; COMPUTE_PGM_RSRC2:TIDIG_COMP_CNT: 0
; COMPUTE_PGM_RSRC3_GFX90A:ACCUM_OFFSET: 0
; COMPUTE_PGM_RSRC3_GFX90A:TG_SPLIT: 0
	.section	.text._ZN7rocprim17ROCPRIM_400000_NS6detail17trampoline_kernelINS0_14default_configENS1_29reduce_by_key_config_selectorIllN6thrust23THRUST_200600_302600_NS4plusIlEEEEZZNS1_33reduce_by_key_impl_wrapped_configILNS1_25lookback_scan_determinismE0ES3_S9_PlNS6_17constant_iteratorIiNS6_11use_defaultESE_EENS6_10device_ptrIlEESH_PmS8_NS6_8equal_toIlEEEE10hipError_tPvRmT2_T3_mT4_T5_T6_T7_T8_P12ihipStream_tbENKUlT_T0_E_clISt17integral_constantIbLb0EES12_EEDaSX_SY_EUlSX_E_NS1_11comp_targetILNS1_3genE5ELNS1_11target_archE942ELNS1_3gpuE9ELNS1_3repE0EEENS1_30default_config_static_selectorELNS0_4arch9wavefront6targetE1EEEvT1_,"axG",@progbits,_ZN7rocprim17ROCPRIM_400000_NS6detail17trampoline_kernelINS0_14default_configENS1_29reduce_by_key_config_selectorIllN6thrust23THRUST_200600_302600_NS4plusIlEEEEZZNS1_33reduce_by_key_impl_wrapped_configILNS1_25lookback_scan_determinismE0ES3_S9_PlNS6_17constant_iteratorIiNS6_11use_defaultESE_EENS6_10device_ptrIlEESH_PmS8_NS6_8equal_toIlEEEE10hipError_tPvRmT2_T3_mT4_T5_T6_T7_T8_P12ihipStream_tbENKUlT_T0_E_clISt17integral_constantIbLb0EES12_EEDaSX_SY_EUlSX_E_NS1_11comp_targetILNS1_3genE5ELNS1_11target_archE942ELNS1_3gpuE9ELNS1_3repE0EEENS1_30default_config_static_selectorELNS0_4arch9wavefront6targetE1EEEvT1_,comdat
	.protected	_ZN7rocprim17ROCPRIM_400000_NS6detail17trampoline_kernelINS0_14default_configENS1_29reduce_by_key_config_selectorIllN6thrust23THRUST_200600_302600_NS4plusIlEEEEZZNS1_33reduce_by_key_impl_wrapped_configILNS1_25lookback_scan_determinismE0ES3_S9_PlNS6_17constant_iteratorIiNS6_11use_defaultESE_EENS6_10device_ptrIlEESH_PmS8_NS6_8equal_toIlEEEE10hipError_tPvRmT2_T3_mT4_T5_T6_T7_T8_P12ihipStream_tbENKUlT_T0_E_clISt17integral_constantIbLb0EES12_EEDaSX_SY_EUlSX_E_NS1_11comp_targetILNS1_3genE5ELNS1_11target_archE942ELNS1_3gpuE9ELNS1_3repE0EEENS1_30default_config_static_selectorELNS0_4arch9wavefront6targetE1EEEvT1_ ; -- Begin function _ZN7rocprim17ROCPRIM_400000_NS6detail17trampoline_kernelINS0_14default_configENS1_29reduce_by_key_config_selectorIllN6thrust23THRUST_200600_302600_NS4plusIlEEEEZZNS1_33reduce_by_key_impl_wrapped_configILNS1_25lookback_scan_determinismE0ES3_S9_PlNS6_17constant_iteratorIiNS6_11use_defaultESE_EENS6_10device_ptrIlEESH_PmS8_NS6_8equal_toIlEEEE10hipError_tPvRmT2_T3_mT4_T5_T6_T7_T8_P12ihipStream_tbENKUlT_T0_E_clISt17integral_constantIbLb0EES12_EEDaSX_SY_EUlSX_E_NS1_11comp_targetILNS1_3genE5ELNS1_11target_archE942ELNS1_3gpuE9ELNS1_3repE0EEENS1_30default_config_static_selectorELNS0_4arch9wavefront6targetE1EEEvT1_
	.globl	_ZN7rocprim17ROCPRIM_400000_NS6detail17trampoline_kernelINS0_14default_configENS1_29reduce_by_key_config_selectorIllN6thrust23THRUST_200600_302600_NS4plusIlEEEEZZNS1_33reduce_by_key_impl_wrapped_configILNS1_25lookback_scan_determinismE0ES3_S9_PlNS6_17constant_iteratorIiNS6_11use_defaultESE_EENS6_10device_ptrIlEESH_PmS8_NS6_8equal_toIlEEEE10hipError_tPvRmT2_T3_mT4_T5_T6_T7_T8_P12ihipStream_tbENKUlT_T0_E_clISt17integral_constantIbLb0EES12_EEDaSX_SY_EUlSX_E_NS1_11comp_targetILNS1_3genE5ELNS1_11target_archE942ELNS1_3gpuE9ELNS1_3repE0EEENS1_30default_config_static_selectorELNS0_4arch9wavefront6targetE1EEEvT1_
	.p2align	8
	.type	_ZN7rocprim17ROCPRIM_400000_NS6detail17trampoline_kernelINS0_14default_configENS1_29reduce_by_key_config_selectorIllN6thrust23THRUST_200600_302600_NS4plusIlEEEEZZNS1_33reduce_by_key_impl_wrapped_configILNS1_25lookback_scan_determinismE0ES3_S9_PlNS6_17constant_iteratorIiNS6_11use_defaultESE_EENS6_10device_ptrIlEESH_PmS8_NS6_8equal_toIlEEEE10hipError_tPvRmT2_T3_mT4_T5_T6_T7_T8_P12ihipStream_tbENKUlT_T0_E_clISt17integral_constantIbLb0EES12_EEDaSX_SY_EUlSX_E_NS1_11comp_targetILNS1_3genE5ELNS1_11target_archE942ELNS1_3gpuE9ELNS1_3repE0EEENS1_30default_config_static_selectorELNS0_4arch9wavefront6targetE1EEEvT1_,@function
_ZN7rocprim17ROCPRIM_400000_NS6detail17trampoline_kernelINS0_14default_configENS1_29reduce_by_key_config_selectorIllN6thrust23THRUST_200600_302600_NS4plusIlEEEEZZNS1_33reduce_by_key_impl_wrapped_configILNS1_25lookback_scan_determinismE0ES3_S9_PlNS6_17constant_iteratorIiNS6_11use_defaultESE_EENS6_10device_ptrIlEESH_PmS8_NS6_8equal_toIlEEEE10hipError_tPvRmT2_T3_mT4_T5_T6_T7_T8_P12ihipStream_tbENKUlT_T0_E_clISt17integral_constantIbLb0EES12_EEDaSX_SY_EUlSX_E_NS1_11comp_targetILNS1_3genE5ELNS1_11target_archE942ELNS1_3gpuE9ELNS1_3repE0EEENS1_30default_config_static_selectorELNS0_4arch9wavefront6targetE1EEEvT1_: ; @_ZN7rocprim17ROCPRIM_400000_NS6detail17trampoline_kernelINS0_14default_configENS1_29reduce_by_key_config_selectorIllN6thrust23THRUST_200600_302600_NS4plusIlEEEEZZNS1_33reduce_by_key_impl_wrapped_configILNS1_25lookback_scan_determinismE0ES3_S9_PlNS6_17constant_iteratorIiNS6_11use_defaultESE_EENS6_10device_ptrIlEESH_PmS8_NS6_8equal_toIlEEEE10hipError_tPvRmT2_T3_mT4_T5_T6_T7_T8_P12ihipStream_tbENKUlT_T0_E_clISt17integral_constantIbLb0EES12_EEDaSX_SY_EUlSX_E_NS1_11comp_targetILNS1_3genE5ELNS1_11target_archE942ELNS1_3gpuE9ELNS1_3repE0EEENS1_30default_config_static_selectorELNS0_4arch9wavefront6targetE1EEEvT1_
; %bb.0:
	.section	.rodata,"a",@progbits
	.p2align	6, 0x0
	.amdhsa_kernel _ZN7rocprim17ROCPRIM_400000_NS6detail17trampoline_kernelINS0_14default_configENS1_29reduce_by_key_config_selectorIllN6thrust23THRUST_200600_302600_NS4plusIlEEEEZZNS1_33reduce_by_key_impl_wrapped_configILNS1_25lookback_scan_determinismE0ES3_S9_PlNS6_17constant_iteratorIiNS6_11use_defaultESE_EENS6_10device_ptrIlEESH_PmS8_NS6_8equal_toIlEEEE10hipError_tPvRmT2_T3_mT4_T5_T6_T7_T8_P12ihipStream_tbENKUlT_T0_E_clISt17integral_constantIbLb0EES12_EEDaSX_SY_EUlSX_E_NS1_11comp_targetILNS1_3genE5ELNS1_11target_archE942ELNS1_3gpuE9ELNS1_3repE0EEENS1_30default_config_static_selectorELNS0_4arch9wavefront6targetE1EEEvT1_
		.amdhsa_group_segment_fixed_size 0
		.amdhsa_private_segment_fixed_size 0
		.amdhsa_kernarg_size 144
		.amdhsa_user_sgpr_count 6
		.amdhsa_user_sgpr_private_segment_buffer 1
		.amdhsa_user_sgpr_dispatch_ptr 0
		.amdhsa_user_sgpr_queue_ptr 0
		.amdhsa_user_sgpr_kernarg_segment_ptr 1
		.amdhsa_user_sgpr_dispatch_id 0
		.amdhsa_user_sgpr_flat_scratch_init 0
		.amdhsa_user_sgpr_kernarg_preload_length 0
		.amdhsa_user_sgpr_kernarg_preload_offset 0
		.amdhsa_user_sgpr_private_segment_size 0
		.amdhsa_uses_dynamic_stack 0
		.amdhsa_system_sgpr_private_segment_wavefront_offset 0
		.amdhsa_system_sgpr_workgroup_id_x 1
		.amdhsa_system_sgpr_workgroup_id_y 0
		.amdhsa_system_sgpr_workgroup_id_z 0
		.amdhsa_system_sgpr_workgroup_info 0
		.amdhsa_system_vgpr_workitem_id 0
		.amdhsa_next_free_vgpr 1
		.amdhsa_next_free_sgpr 0
		.amdhsa_accum_offset 4
		.amdhsa_reserve_vcc 0
		.amdhsa_reserve_flat_scratch 0
		.amdhsa_float_round_mode_32 0
		.amdhsa_float_round_mode_16_64 0
		.amdhsa_float_denorm_mode_32 3
		.amdhsa_float_denorm_mode_16_64 3
		.amdhsa_dx10_clamp 1
		.amdhsa_ieee_mode 1
		.amdhsa_fp16_overflow 0
		.amdhsa_tg_split 0
		.amdhsa_exception_fp_ieee_invalid_op 0
		.amdhsa_exception_fp_denorm_src 0
		.amdhsa_exception_fp_ieee_div_zero 0
		.amdhsa_exception_fp_ieee_overflow 0
		.amdhsa_exception_fp_ieee_underflow 0
		.amdhsa_exception_fp_ieee_inexact 0
		.amdhsa_exception_int_div_zero 0
	.end_amdhsa_kernel
	.section	.text._ZN7rocprim17ROCPRIM_400000_NS6detail17trampoline_kernelINS0_14default_configENS1_29reduce_by_key_config_selectorIllN6thrust23THRUST_200600_302600_NS4plusIlEEEEZZNS1_33reduce_by_key_impl_wrapped_configILNS1_25lookback_scan_determinismE0ES3_S9_PlNS6_17constant_iteratorIiNS6_11use_defaultESE_EENS6_10device_ptrIlEESH_PmS8_NS6_8equal_toIlEEEE10hipError_tPvRmT2_T3_mT4_T5_T6_T7_T8_P12ihipStream_tbENKUlT_T0_E_clISt17integral_constantIbLb0EES12_EEDaSX_SY_EUlSX_E_NS1_11comp_targetILNS1_3genE5ELNS1_11target_archE942ELNS1_3gpuE9ELNS1_3repE0EEENS1_30default_config_static_selectorELNS0_4arch9wavefront6targetE1EEEvT1_,"axG",@progbits,_ZN7rocprim17ROCPRIM_400000_NS6detail17trampoline_kernelINS0_14default_configENS1_29reduce_by_key_config_selectorIllN6thrust23THRUST_200600_302600_NS4plusIlEEEEZZNS1_33reduce_by_key_impl_wrapped_configILNS1_25lookback_scan_determinismE0ES3_S9_PlNS6_17constant_iteratorIiNS6_11use_defaultESE_EENS6_10device_ptrIlEESH_PmS8_NS6_8equal_toIlEEEE10hipError_tPvRmT2_T3_mT4_T5_T6_T7_T8_P12ihipStream_tbENKUlT_T0_E_clISt17integral_constantIbLb0EES12_EEDaSX_SY_EUlSX_E_NS1_11comp_targetILNS1_3genE5ELNS1_11target_archE942ELNS1_3gpuE9ELNS1_3repE0EEENS1_30default_config_static_selectorELNS0_4arch9wavefront6targetE1EEEvT1_,comdat
.Lfunc_end1205:
	.size	_ZN7rocprim17ROCPRIM_400000_NS6detail17trampoline_kernelINS0_14default_configENS1_29reduce_by_key_config_selectorIllN6thrust23THRUST_200600_302600_NS4plusIlEEEEZZNS1_33reduce_by_key_impl_wrapped_configILNS1_25lookback_scan_determinismE0ES3_S9_PlNS6_17constant_iteratorIiNS6_11use_defaultESE_EENS6_10device_ptrIlEESH_PmS8_NS6_8equal_toIlEEEE10hipError_tPvRmT2_T3_mT4_T5_T6_T7_T8_P12ihipStream_tbENKUlT_T0_E_clISt17integral_constantIbLb0EES12_EEDaSX_SY_EUlSX_E_NS1_11comp_targetILNS1_3genE5ELNS1_11target_archE942ELNS1_3gpuE9ELNS1_3repE0EEENS1_30default_config_static_selectorELNS0_4arch9wavefront6targetE1EEEvT1_, .Lfunc_end1205-_ZN7rocprim17ROCPRIM_400000_NS6detail17trampoline_kernelINS0_14default_configENS1_29reduce_by_key_config_selectorIllN6thrust23THRUST_200600_302600_NS4plusIlEEEEZZNS1_33reduce_by_key_impl_wrapped_configILNS1_25lookback_scan_determinismE0ES3_S9_PlNS6_17constant_iteratorIiNS6_11use_defaultESE_EENS6_10device_ptrIlEESH_PmS8_NS6_8equal_toIlEEEE10hipError_tPvRmT2_T3_mT4_T5_T6_T7_T8_P12ihipStream_tbENKUlT_T0_E_clISt17integral_constantIbLb0EES12_EEDaSX_SY_EUlSX_E_NS1_11comp_targetILNS1_3genE5ELNS1_11target_archE942ELNS1_3gpuE9ELNS1_3repE0EEENS1_30default_config_static_selectorELNS0_4arch9wavefront6targetE1EEEvT1_
                                        ; -- End function
	.section	.AMDGPU.csdata,"",@progbits
; Kernel info:
; codeLenInByte = 0
; NumSgprs: 4
; NumVgprs: 0
; NumAgprs: 0
; TotalNumVgprs: 0
; ScratchSize: 0
; MemoryBound: 0
; FloatMode: 240
; IeeeMode: 1
; LDSByteSize: 0 bytes/workgroup (compile time only)
; SGPRBlocks: 0
; VGPRBlocks: 0
; NumSGPRsForWavesPerEU: 4
; NumVGPRsForWavesPerEU: 1
; AccumOffset: 4
; Occupancy: 8
; WaveLimiterHint : 0
; COMPUTE_PGM_RSRC2:SCRATCH_EN: 0
; COMPUTE_PGM_RSRC2:USER_SGPR: 6
; COMPUTE_PGM_RSRC2:TRAP_HANDLER: 0
; COMPUTE_PGM_RSRC2:TGID_X_EN: 1
; COMPUTE_PGM_RSRC2:TGID_Y_EN: 0
; COMPUTE_PGM_RSRC2:TGID_Z_EN: 0
; COMPUTE_PGM_RSRC2:TIDIG_COMP_CNT: 0
; COMPUTE_PGM_RSRC3_GFX90A:ACCUM_OFFSET: 0
; COMPUTE_PGM_RSRC3_GFX90A:TG_SPLIT: 0
	.section	.text._ZN7rocprim17ROCPRIM_400000_NS6detail17trampoline_kernelINS0_14default_configENS1_29reduce_by_key_config_selectorIllN6thrust23THRUST_200600_302600_NS4plusIlEEEEZZNS1_33reduce_by_key_impl_wrapped_configILNS1_25lookback_scan_determinismE0ES3_S9_PlNS6_17constant_iteratorIiNS6_11use_defaultESE_EENS6_10device_ptrIlEESH_PmS8_NS6_8equal_toIlEEEE10hipError_tPvRmT2_T3_mT4_T5_T6_T7_T8_P12ihipStream_tbENKUlT_T0_E_clISt17integral_constantIbLb0EES12_EEDaSX_SY_EUlSX_E_NS1_11comp_targetILNS1_3genE4ELNS1_11target_archE910ELNS1_3gpuE8ELNS1_3repE0EEENS1_30default_config_static_selectorELNS0_4arch9wavefront6targetE1EEEvT1_,"axG",@progbits,_ZN7rocprim17ROCPRIM_400000_NS6detail17trampoline_kernelINS0_14default_configENS1_29reduce_by_key_config_selectorIllN6thrust23THRUST_200600_302600_NS4plusIlEEEEZZNS1_33reduce_by_key_impl_wrapped_configILNS1_25lookback_scan_determinismE0ES3_S9_PlNS6_17constant_iteratorIiNS6_11use_defaultESE_EENS6_10device_ptrIlEESH_PmS8_NS6_8equal_toIlEEEE10hipError_tPvRmT2_T3_mT4_T5_T6_T7_T8_P12ihipStream_tbENKUlT_T0_E_clISt17integral_constantIbLb0EES12_EEDaSX_SY_EUlSX_E_NS1_11comp_targetILNS1_3genE4ELNS1_11target_archE910ELNS1_3gpuE8ELNS1_3repE0EEENS1_30default_config_static_selectorELNS0_4arch9wavefront6targetE1EEEvT1_,comdat
	.protected	_ZN7rocprim17ROCPRIM_400000_NS6detail17trampoline_kernelINS0_14default_configENS1_29reduce_by_key_config_selectorIllN6thrust23THRUST_200600_302600_NS4plusIlEEEEZZNS1_33reduce_by_key_impl_wrapped_configILNS1_25lookback_scan_determinismE0ES3_S9_PlNS6_17constant_iteratorIiNS6_11use_defaultESE_EENS6_10device_ptrIlEESH_PmS8_NS6_8equal_toIlEEEE10hipError_tPvRmT2_T3_mT4_T5_T6_T7_T8_P12ihipStream_tbENKUlT_T0_E_clISt17integral_constantIbLb0EES12_EEDaSX_SY_EUlSX_E_NS1_11comp_targetILNS1_3genE4ELNS1_11target_archE910ELNS1_3gpuE8ELNS1_3repE0EEENS1_30default_config_static_selectorELNS0_4arch9wavefront6targetE1EEEvT1_ ; -- Begin function _ZN7rocprim17ROCPRIM_400000_NS6detail17trampoline_kernelINS0_14default_configENS1_29reduce_by_key_config_selectorIllN6thrust23THRUST_200600_302600_NS4plusIlEEEEZZNS1_33reduce_by_key_impl_wrapped_configILNS1_25lookback_scan_determinismE0ES3_S9_PlNS6_17constant_iteratorIiNS6_11use_defaultESE_EENS6_10device_ptrIlEESH_PmS8_NS6_8equal_toIlEEEE10hipError_tPvRmT2_T3_mT4_T5_T6_T7_T8_P12ihipStream_tbENKUlT_T0_E_clISt17integral_constantIbLb0EES12_EEDaSX_SY_EUlSX_E_NS1_11comp_targetILNS1_3genE4ELNS1_11target_archE910ELNS1_3gpuE8ELNS1_3repE0EEENS1_30default_config_static_selectorELNS0_4arch9wavefront6targetE1EEEvT1_
	.globl	_ZN7rocprim17ROCPRIM_400000_NS6detail17trampoline_kernelINS0_14default_configENS1_29reduce_by_key_config_selectorIllN6thrust23THRUST_200600_302600_NS4plusIlEEEEZZNS1_33reduce_by_key_impl_wrapped_configILNS1_25lookback_scan_determinismE0ES3_S9_PlNS6_17constant_iteratorIiNS6_11use_defaultESE_EENS6_10device_ptrIlEESH_PmS8_NS6_8equal_toIlEEEE10hipError_tPvRmT2_T3_mT4_T5_T6_T7_T8_P12ihipStream_tbENKUlT_T0_E_clISt17integral_constantIbLb0EES12_EEDaSX_SY_EUlSX_E_NS1_11comp_targetILNS1_3genE4ELNS1_11target_archE910ELNS1_3gpuE8ELNS1_3repE0EEENS1_30default_config_static_selectorELNS0_4arch9wavefront6targetE1EEEvT1_
	.p2align	8
	.type	_ZN7rocprim17ROCPRIM_400000_NS6detail17trampoline_kernelINS0_14default_configENS1_29reduce_by_key_config_selectorIllN6thrust23THRUST_200600_302600_NS4plusIlEEEEZZNS1_33reduce_by_key_impl_wrapped_configILNS1_25lookback_scan_determinismE0ES3_S9_PlNS6_17constant_iteratorIiNS6_11use_defaultESE_EENS6_10device_ptrIlEESH_PmS8_NS6_8equal_toIlEEEE10hipError_tPvRmT2_T3_mT4_T5_T6_T7_T8_P12ihipStream_tbENKUlT_T0_E_clISt17integral_constantIbLb0EES12_EEDaSX_SY_EUlSX_E_NS1_11comp_targetILNS1_3genE4ELNS1_11target_archE910ELNS1_3gpuE8ELNS1_3repE0EEENS1_30default_config_static_selectorELNS0_4arch9wavefront6targetE1EEEvT1_,@function
_ZN7rocprim17ROCPRIM_400000_NS6detail17trampoline_kernelINS0_14default_configENS1_29reduce_by_key_config_selectorIllN6thrust23THRUST_200600_302600_NS4plusIlEEEEZZNS1_33reduce_by_key_impl_wrapped_configILNS1_25lookback_scan_determinismE0ES3_S9_PlNS6_17constant_iteratorIiNS6_11use_defaultESE_EENS6_10device_ptrIlEESH_PmS8_NS6_8equal_toIlEEEE10hipError_tPvRmT2_T3_mT4_T5_T6_T7_T8_P12ihipStream_tbENKUlT_T0_E_clISt17integral_constantIbLb0EES12_EEDaSX_SY_EUlSX_E_NS1_11comp_targetILNS1_3genE4ELNS1_11target_archE910ELNS1_3gpuE8ELNS1_3repE0EEENS1_30default_config_static_selectorELNS0_4arch9wavefront6targetE1EEEvT1_: ; @_ZN7rocprim17ROCPRIM_400000_NS6detail17trampoline_kernelINS0_14default_configENS1_29reduce_by_key_config_selectorIllN6thrust23THRUST_200600_302600_NS4plusIlEEEEZZNS1_33reduce_by_key_impl_wrapped_configILNS1_25lookback_scan_determinismE0ES3_S9_PlNS6_17constant_iteratorIiNS6_11use_defaultESE_EENS6_10device_ptrIlEESH_PmS8_NS6_8equal_toIlEEEE10hipError_tPvRmT2_T3_mT4_T5_T6_T7_T8_P12ihipStream_tbENKUlT_T0_E_clISt17integral_constantIbLb0EES12_EEDaSX_SY_EUlSX_E_NS1_11comp_targetILNS1_3genE4ELNS1_11target_archE910ELNS1_3gpuE8ELNS1_3repE0EEENS1_30default_config_static_selectorELNS0_4arch9wavefront6targetE1EEEvT1_
; %bb.0:
	s_load_dwordx16 s[36:51], s[4:5], 0x40
	s_load_dwordx4 s[8:11], s[4:5], 0x0
	s_load_dword s2, s[4:5], 0x18
	s_load_dwordx4 s[52:55], s[4:5], 0x20
	s_load_dwordx2 s[34:35], s[4:5], 0x30
	s_waitcnt lgkmcnt(0)
	s_mul_i32 s0, s44, s43
	s_mul_hi_u32 s1, s44, s42
	s_add_i32 s0, s1, s0
	s_mul_i32 s1, s45, s42
	s_add_i32 s3, s0, s1
	s_lshl_b64 s[0:1], s[10:11], 3
	s_add_u32 s8, s8, s0
	s_addc_u32 s9, s9, s1
	s_mul_i32 s0, s6, 0xf00
	s_mov_b32 s1, 0
	s_lshl_b64 s[0:1], s[0:1], 3
	s_add_u32 s58, s8, s0
	s_mul_i32 s7, s44, s42
	s_addc_u32 s59, s9, s1
	s_add_u32 s30, s7, s6
	s_addc_u32 s31, s3, 0
	s_add_u32 s10, s46, -1
	s_addc_u32 s11, s47, -1
	s_cmp_eq_u64 s[30:31], s[10:11]
	s_cselect_b64 s[44:45], -1, 0
	s_cmp_lg_u64 s[30:31], s[10:11]
	s_mov_b64 s[8:9], -1
	s_cselect_b64 s[0:1], -1, 0
	s_mul_i32 s33, s10, 0xfffff100
	s_and_b64 vcc, exec, s[44:45]
	s_cbranch_vccnz .LBB1206_2
; %bb.1:
	v_lshlrev_b32_e32 v38, 3, v0
	v_mov_b32_e32 v1, s59
	v_add_co_u32_e32 v30, vcc, s58, v38
	v_addc_co_u32_e32 v1, vcc, 0, v1, vcc
	v_add_co_u32_e32 v2, vcc, 0x1000, v30
	v_addc_co_u32_e32 v3, vcc, 0, v1, vcc
	global_load_dwordx2 v[4:5], v38, s[58:59]
	global_load_dwordx2 v[6:7], v38, s[58:59] offset:2048
	global_load_dwordx2 v[8:9], v[2:3], off
	global_load_dwordx2 v[10:11], v[2:3], off offset:2048
	v_add_co_u32_e32 v2, vcc, 0x2000, v30
	v_addc_co_u32_e32 v3, vcc, 0, v1, vcc
	v_add_co_u32_e32 v12, vcc, 0x3000, v30
	v_addc_co_u32_e32 v13, vcc, 0, v1, vcc
	global_load_dwordx2 v[14:15], v[2:3], off
	global_load_dwordx2 v[16:17], v[2:3], off offset:2048
	global_load_dwordx2 v[18:19], v[12:13], off
	global_load_dwordx2 v[20:21], v[12:13], off offset:2048
	v_add_co_u32_e32 v2, vcc, 0x4000, v30
	v_addc_co_u32_e32 v3, vcc, 0, v1, vcc
	v_add_co_u32_e32 v12, vcc, 0x5000, v30
	v_addc_co_u32_e32 v13, vcc, 0, v1, vcc
	global_load_dwordx2 v[22:23], v[2:3], off
	global_load_dwordx2 v[24:25], v[2:3], off offset:2048
	;; [unrolled: 8-line block ×3, first 2 shown]
	global_load_dwordx2 v[34:35], v[12:13], off
	s_movk_i32 s7, 0x70
	v_mad_u32_u24 v1, v0, s7, v38
	s_ashr_i32 s3, s2, 31
	v_pk_mov_b32 v[36:37], s[2:3], s[2:3] op_sel:[0,1]
	s_waitcnt vmcnt(13)
	ds_write2st64_b64 v38, v[4:5], v[6:7] offset1:4
	s_waitcnt vmcnt(11)
	ds_write2st64_b64 v38, v[8:9], v[10:11] offset0:8 offset1:12
	s_waitcnt vmcnt(9)
	ds_write2st64_b64 v38, v[14:15], v[16:17] offset0:16 offset1:20
	;; [unrolled: 2-line block ×6, first 2 shown]
	s_waitcnt vmcnt(0)
	ds_write_b64 v38, v[34:35] offset:28672
	s_waitcnt lgkmcnt(0)
	s_barrier
	ds_read2_b64 v[26:29], v1 offset1:1
	ds_read2_b64 v[22:25], v1 offset0:2 offset1:3
	ds_read2_b64 v[18:21], v1 offset0:4 offset1:5
	;; [unrolled: 1-line block ×6, first 2 shown]
	ds_read_b64 v[74:75], v1 offset:112
	s_waitcnt lgkmcnt(7)
	v_mov_b32_e32 v58, v26
	v_mov_b32_e32 v59, v27
	s_waitcnt lgkmcnt(6)
	v_mov_b32_e32 v60, v22
	v_mov_b32_e32 v61, v23
	;; [unrolled: 3-line block ×7, first 2 shown]
	s_waitcnt lgkmcnt(0)
	s_barrier
	ds_write2st64_b64 v38, v[36:37], v[36:37] offset1:4
	ds_write2st64_b64 v38, v[36:37], v[36:37] offset0:8 offset1:12
	ds_write2st64_b64 v38, v[36:37], v[36:37] offset0:16 offset1:20
	;; [unrolled: 1-line block ×6, first 2 shown]
	ds_write_b64 v38, v[36:37] offset:28672
	s_waitcnt lgkmcnt(0)
	s_barrier
	s_load_dwordx2 s[56:57], s[4:5], 0x80
	s_add_i32 s33, s33, s48
	s_cbranch_execz .LBB1206_3
	s_branch .LBB1206_34
.LBB1206_2:
                                        ; implicit-def: $vgpr74_vgpr75
                                        ; implicit-def: $vgpr2_vgpr3
                                        ; implicit-def: $vgpr6_vgpr7
                                        ; implicit-def: $vgpr10_vgpr11
                                        ; implicit-def: $vgpr14_vgpr15
                                        ; implicit-def: $vgpr18_vgpr19
                                        ; implicit-def: $vgpr22_vgpr23
                                        ; implicit-def: $vgpr26_vgpr27
                                        ; implicit-def: $vgpr1
                                        ; implicit-def: $vgpr66_vgpr67_vgpr68_vgpr69
                                        ; implicit-def: $vgpr62_vgpr63_vgpr64_vgpr65
                                        ; implicit-def: $vgpr58_vgpr59_vgpr60_vgpr61
                                        ; implicit-def: $vgpr70_vgpr71_vgpr72_vgpr73
	s_load_dwordx2 s[56:57], s[4:5], 0x80
	s_andn2_b64 vcc, exec, s[8:9]
	s_add_i32 s33, s33, s48
	s_cbranch_vccnz .LBB1206_34
.LBB1206_3:
	v_cmp_gt_u32_e32 vcc, s33, v0
                                        ; implicit-def: $vgpr2_vgpr3
	s_and_saveexec_b64 s[4:5], vcc
	s_cbranch_execz .LBB1206_5
; %bb.4:
	v_lshlrev_b32_e32 v1, 3, v0
	global_load_dwordx2 v[2:3], v1, s[58:59]
.LBB1206_5:
	s_or_b64 exec, exec, s[4:5]
	v_or_b32_e32 v1, 0x100, v0
	v_cmp_gt_u32_e32 vcc, s33, v1
                                        ; implicit-def: $vgpr4_vgpr5
	s_and_saveexec_b64 s[4:5], vcc
	s_cbranch_execz .LBB1206_7
; %bb.6:
	v_lshlrev_b32_e32 v1, 3, v0
	global_load_dwordx2 v[4:5], v1, s[58:59] offset:2048
.LBB1206_7:
	s_or_b64 exec, exec, s[4:5]
	v_or_b32_e32 v1, 0x200, v0
	v_cmp_gt_u32_e32 vcc, s33, v1
                                        ; implicit-def: $vgpr6_vgpr7
	s_and_saveexec_b64 s[4:5], vcc
	s_cbranch_execz .LBB1206_9
; %bb.8:
	v_lshlrev_b32_e32 v1, 3, v1
	global_load_dwordx2 v[6:7], v1, s[58:59]
.LBB1206_9:
	s_or_b64 exec, exec, s[4:5]
	v_or_b32_e32 v1, 0x300, v0
	v_cmp_gt_u32_e32 vcc, s33, v1
                                        ; implicit-def: $vgpr8_vgpr9
	s_and_saveexec_b64 s[4:5], vcc
	s_cbranch_execz .LBB1206_11
; %bb.10:
	v_lshlrev_b32_e32 v1, 3, v1
	global_load_dwordx2 v[8:9], v1, s[58:59]
.LBB1206_11:
	s_or_b64 exec, exec, s[4:5]
	v_or_b32_e32 v1, 0x400, v0
	v_cmp_gt_u32_e32 vcc, s33, v1
                                        ; implicit-def: $vgpr10_vgpr11
	s_and_saveexec_b64 s[4:5], vcc
	s_cbranch_execz .LBB1206_13
; %bb.12:
	v_lshlrev_b32_e32 v1, 3, v1
	global_load_dwordx2 v[10:11], v1, s[58:59]
.LBB1206_13:
	s_or_b64 exec, exec, s[4:5]
	v_or_b32_e32 v1, 0x500, v0
	v_cmp_gt_u32_e32 vcc, s33, v1
                                        ; implicit-def: $vgpr12_vgpr13
	s_and_saveexec_b64 s[4:5], vcc
	s_cbranch_execz .LBB1206_15
; %bb.14:
	v_lshlrev_b32_e32 v1, 3, v1
	global_load_dwordx2 v[12:13], v1, s[58:59]
.LBB1206_15:
	s_or_b64 exec, exec, s[4:5]
	v_or_b32_e32 v1, 0x600, v0
	v_cmp_gt_u32_e32 vcc, s33, v1
                                        ; implicit-def: $vgpr14_vgpr15
	s_and_saveexec_b64 s[4:5], vcc
	s_cbranch_execz .LBB1206_17
; %bb.16:
	v_lshlrev_b32_e32 v1, 3, v1
	global_load_dwordx2 v[14:15], v1, s[58:59]
.LBB1206_17:
	s_or_b64 exec, exec, s[4:5]
	v_or_b32_e32 v1, 0x700, v0
	v_cmp_gt_u32_e32 vcc, s33, v1
                                        ; implicit-def: $vgpr16_vgpr17
	s_and_saveexec_b64 s[4:5], vcc
	s_cbranch_execz .LBB1206_19
; %bb.18:
	v_lshlrev_b32_e32 v1, 3, v1
	global_load_dwordx2 v[16:17], v1, s[58:59]
.LBB1206_19:
	s_or_b64 exec, exec, s[4:5]
	v_or_b32_e32 v1, 0x800, v0
	v_cmp_gt_u32_e32 vcc, s33, v1
                                        ; implicit-def: $vgpr18_vgpr19
	s_and_saveexec_b64 s[4:5], vcc
	s_cbranch_execz .LBB1206_21
; %bb.20:
	v_lshlrev_b32_e32 v1, 3, v1
	global_load_dwordx2 v[18:19], v1, s[58:59]
.LBB1206_21:
	s_or_b64 exec, exec, s[4:5]
	v_or_b32_e32 v1, 0x900, v0
	v_cmp_gt_u32_e32 vcc, s33, v1
                                        ; implicit-def: $vgpr20_vgpr21
	s_and_saveexec_b64 s[4:5], vcc
	s_cbranch_execz .LBB1206_23
; %bb.22:
	v_lshlrev_b32_e32 v1, 3, v1
	global_load_dwordx2 v[20:21], v1, s[58:59]
.LBB1206_23:
	s_or_b64 exec, exec, s[4:5]
	v_or_b32_e32 v1, 0xa00, v0
	v_cmp_gt_u32_e32 vcc, s33, v1
                                        ; implicit-def: $vgpr22_vgpr23
	s_and_saveexec_b64 s[4:5], vcc
	s_cbranch_execz .LBB1206_25
; %bb.24:
	v_lshlrev_b32_e32 v1, 3, v1
	global_load_dwordx2 v[22:23], v1, s[58:59]
.LBB1206_25:
	s_or_b64 exec, exec, s[4:5]
	v_or_b32_e32 v1, 0xb00, v0
	v_cmp_gt_u32_e32 vcc, s33, v1
                                        ; implicit-def: $vgpr24_vgpr25
	s_and_saveexec_b64 s[4:5], vcc
	s_cbranch_execz .LBB1206_27
; %bb.26:
	v_lshlrev_b32_e32 v1, 3, v1
	global_load_dwordx2 v[24:25], v1, s[58:59]
.LBB1206_27:
	s_or_b64 exec, exec, s[4:5]
	v_or_b32_e32 v1, 0xc00, v0
	v_cmp_gt_u32_e32 vcc, s33, v1
                                        ; implicit-def: $vgpr26_vgpr27
	s_and_saveexec_b64 s[4:5], vcc
	s_cbranch_execz .LBB1206_29
; %bb.28:
	v_lshlrev_b32_e32 v1, 3, v1
	global_load_dwordx2 v[26:27], v1, s[58:59]
.LBB1206_29:
	s_or_b64 exec, exec, s[4:5]
	v_or_b32_e32 v1, 0xd00, v0
	v_cmp_gt_u32_e32 vcc, s33, v1
                                        ; implicit-def: $vgpr28_vgpr29
	s_and_saveexec_b64 s[4:5], vcc
	s_cbranch_execz .LBB1206_31
; %bb.30:
	v_lshlrev_b32_e32 v1, 3, v1
	global_load_dwordx2 v[28:29], v1, s[58:59]
.LBB1206_31:
	s_or_b64 exec, exec, s[4:5]
	v_or_b32_e32 v1, 0xe00, v0
	v_cmp_gt_u32_e32 vcc, s33, v1
                                        ; implicit-def: $vgpr30_vgpr31
	s_and_saveexec_b64 s[4:5], vcc
	s_cbranch_execz .LBB1206_33
; %bb.32:
	v_lshlrev_b32_e32 v1, 3, v1
	global_load_dwordx2 v[30:31], v1, s[58:59]
.LBB1206_33:
	s_or_b64 exec, exec, s[4:5]
	v_lshlrev_b32_e32 v32, 3, v0
	s_movk_i32 s3, 0x70
	v_mad_u32_u24 v1, v0, s3, v32
	s_waitcnt vmcnt(0)
	ds_write2st64_b64 v32, v[2:3], v[4:5] offset1:4
	ds_write2st64_b64 v32, v[6:7], v[8:9] offset0:8 offset1:12
	ds_write2st64_b64 v32, v[10:11], v[12:13] offset0:16 offset1:20
	;; [unrolled: 1-line block ×6, first 2 shown]
	ds_write_b64 v32, v[30:31] offset:28672
	s_waitcnt lgkmcnt(0)
	s_barrier
	ds_read2_b64 v[26:29], v1 offset1:1
	ds_read2_b64 v[22:25], v1 offset0:2 offset1:3
	ds_read2_b64 v[18:21], v1 offset0:4 offset1:5
	;; [unrolled: 1-line block ×6, first 2 shown]
	ds_read_b64 v[74:75], v1 offset:112
	s_ashr_i32 s3, s2, 31
	v_pk_mov_b32 v[30:31], s[2:3], s[2:3] op_sel:[0,1]
	s_waitcnt lgkmcnt(7)
	v_mov_b32_e32 v58, v26
	v_mov_b32_e32 v59, v27
	s_waitcnt lgkmcnt(6)
	v_mov_b32_e32 v60, v22
	v_mov_b32_e32 v61, v23
	;; [unrolled: 3-line block ×7, first 2 shown]
	s_waitcnt lgkmcnt(0)
	s_barrier
	ds_write2st64_b64 v32, v[30:31], v[30:31] offset1:4
	ds_write2st64_b64 v32, v[30:31], v[30:31] offset0:8 offset1:12
	ds_write2st64_b64 v32, v[30:31], v[30:31] offset0:16 offset1:20
	;; [unrolled: 1-line block ×6, first 2 shown]
	ds_write_b64 v32, v[30:31] offset:28672
	s_waitcnt lgkmcnt(0)
	s_barrier
.LBB1206_34:
	s_waitcnt lgkmcnt(0)
	ds_read2_b64 v[54:57], v1 offset1:1
	ds_read2_b64 v[50:53], v1 offset0:2 offset1:3
	ds_read2_b64 v[46:49], v1 offset0:4 offset1:5
	;; [unrolled: 1-line block ×6, first 2 shown]
	ds_read_b64 v[72:73], v1 offset:112
	s_cmp_eq_u64 s[30:31], 0
	s_cselect_b64 s[46:47], -1, 0
	s_cmp_lg_u64 s[30:31], 0
	s_mov_b64 s[60:61], 0
	s_cselect_b64 s[62:63], -1, 0
	s_and_b64 vcc, exec, s[0:1]
	s_waitcnt lgkmcnt(0)
	s_barrier
	s_cbranch_vccz .LBB1206_40
; %bb.35:
	s_and_b64 vcc, exec, s[62:63]
	s_cbranch_vccz .LBB1206_41
; %bb.36:
	s_add_u32 s0, s58, -8
	s_addc_u32 s1, s59, -1
	s_load_dwordx2 s[60:61], s[0:1], 0x0
	v_lshlrev_b32_e32 v1, 3, v0
	v_cmp_ne_u64_e32 vcc, v[4:5], v[74:75]
	v_cmp_ne_u64_e64 s[0:1], v[2:3], v[4:5]
	v_cmp_ne_u64_e64 s[2:3], v[8:9], v[2:3]
	;; [unrolled: 1-line block ×13, first 2 shown]
	v_cmp_ne_u32_e64 s[28:29], 0, v0
	s_waitcnt lgkmcnt(0)
	v_pk_mov_b32 v[76:77], s[60:61], s[60:61] op_sel:[0,1]
	ds_write_b64 v1, v[74:75]
	s_waitcnt lgkmcnt(0)
	s_barrier
	s_and_saveexec_b64 s[60:61], s[28:29]
	s_cbranch_execz .LBB1206_38
; %bb.37:
	v_add_u32_e32 v1, -8, v1
	ds_read_b64 v[76:77], v1
.LBB1206_38:
	s_or_b64 exec, exec, s[60:61]
	v_cndmask_b32_e64 v1, 0, 1, vcc
	v_cndmask_b32_e64 v100, 0, 1, s[0:1]
	v_cndmask_b32_e64 v101, 0, 1, s[2:3]
	;; [unrolled: 1-line block ×13, first 2 shown]
	s_waitcnt lgkmcnt(0)
	v_cmp_ne_u64_e64 s[0:1], v[76:77], v[26:27]
	s_mov_b64 s[60:61], -1
.LBB1206_39:
                                        ; implicit-def: $sgpr4
	s_branch .LBB1206_53
.LBB1206_40:
                                        ; implicit-def: $sgpr0_sgpr1
                                        ; implicit-def: $vgpr1
                                        ; implicit-def: $vgpr100
                                        ; implicit-def: $vgpr101
                                        ; implicit-def: $vgpr102
                                        ; implicit-def: $vgpr103
                                        ; implicit-def: $vgpr104
                                        ; implicit-def: $vgpr105
                                        ; implicit-def: $vgpr106
                                        ; implicit-def: $vgpr107
                                        ; implicit-def: $vgpr108
                                        ; implicit-def: $vgpr109
                                        ; implicit-def: $vgpr110
                                        ; implicit-def: $vgpr111
                                        ; implicit-def: $vgpr112
                                        ; implicit-def: $sgpr4
	s_cbranch_execnz .LBB1206_45
	s_branch .LBB1206_53
.LBB1206_41:
                                        ; implicit-def: $sgpr0_sgpr1
                                        ; implicit-def: $vgpr1
                                        ; implicit-def: $vgpr100
                                        ; implicit-def: $vgpr101
                                        ; implicit-def: $vgpr102
                                        ; implicit-def: $vgpr103
                                        ; implicit-def: $vgpr104
                                        ; implicit-def: $vgpr105
                                        ; implicit-def: $vgpr106
                                        ; implicit-def: $vgpr107
                                        ; implicit-def: $vgpr108
                                        ; implicit-def: $vgpr109
                                        ; implicit-def: $vgpr110
                                        ; implicit-def: $vgpr111
                                        ; implicit-def: $vgpr112
	s_cbranch_execz .LBB1206_39
; %bb.42:
	v_cmp_ne_u64_e32 vcc, v[28:29], v[58:59]
	v_cndmask_b32_e64 v112, 0, 1, vcc
	v_cmp_ne_u64_e32 vcc, v[28:29], v[60:61]
	v_cndmask_b32_e64 v111, 0, 1, vcc
	;; [unrolled: 2-line block ×13, first 2 shown]
	v_cmp_ne_u64_e32 vcc, v[4:5], v[74:75]
	v_lshlrev_b32_e32 v76, 3, v0
	v_cndmask_b32_e64 v1, 0, 1, vcc
	v_cmp_ne_u32_e32 vcc, 0, v0
	ds_write_b64 v76, v[74:75]
	s_waitcnt lgkmcnt(0)
	s_barrier
	s_waitcnt lgkmcnt(0)
                                        ; implicit-def: $sgpr0_sgpr1
	s_and_saveexec_b64 s[2:3], vcc
	s_xor_b64 s[2:3], exec, s[2:3]
	s_cbranch_execz .LBB1206_44
; %bb.43:
	v_add_u32_e32 v58, -8, v76
	ds_read_b64 v[58:59], v58
	s_or_b64 s[60:61], s[60:61], exec
	s_waitcnt lgkmcnt(0)
	v_cmp_ne_u64_e32 vcc, v[58:59], v[26:27]
	s_and_b64 s[0:1], vcc, exec
.LBB1206_44:
	s_or_b64 exec, exec, s[2:3]
	s_mov_b32 s4, 1
	s_branch .LBB1206_53
.LBB1206_45:
	s_mul_hi_u32 s1, s30, 0xfffff100
	s_mul_i32 s0, s31, 0xfffff100
	s_sub_i32 s1, s1, s30
	s_add_i32 s1, s1, s0
	s_mul_i32 s0, s30, 0xfffff100
	s_add_u32 s48, s0, s48
	s_addc_u32 s49, s1, s49
	s_and_b64 vcc, exec, s[62:63]
	v_cmp_ne_u64_e64 s[28:29], v[4:5], v[74:75]
	v_cmp_ne_u64_e64 s[26:27], v[2:3], v[4:5]
	;; [unrolled: 1-line block ×14, first 2 shown]
	v_mad_u32_u24 v58, v0, 15, 14
	v_mad_u32_u24 v88, v0, 15, 13
	;; [unrolled: 1-line block ×14, first 2 shown]
	v_cmp_ne_u32_e64 s[30:31], 0, v0
	s_cbranch_vccz .LBB1206_50
; %bb.46:
	v_mov_b32_e32 v59, 0
	s_add_u32 s58, s58, -8
	v_cmp_gt_u64_e32 vcc, s[48:49], v[58:59]
	v_mov_b32_e32 v89, v59
	s_addc_u32 s59, s59, -1
	s_and_b64 s[28:29], vcc, s[28:29]
	v_cmp_gt_u64_e32 vcc, s[48:49], v[88:89]
	v_mov_b32_e32 v87, v59
	s_and_b64 s[26:27], vcc, s[26:27]
	v_cmp_gt_u64_e32 vcc, s[48:49], v[86:87]
	v_mov_b32_e32 v85, v59
	;; [unrolled: 3-line block ×8, first 2 shown]
	s_load_dwordx2 s[58:59], s[58:59], 0x0
	s_and_b64 s[12:13], vcc, s[12:13]
	v_cmp_gt_u64_e32 vcc, s[48:49], v[68:69]
	v_mov_b32_e32 v67, v59
	s_and_b64 s[10:11], vcc, s[10:11]
	v_cmp_gt_u64_e32 vcc, s[48:49], v[66:67]
	v_mov_b32_e32 v65, v59
	;; [unrolled: 3-line block ×4, first 2 shown]
	s_and_b64 s[2:3], vcc, s[2:3]
	v_cmp_gt_u64_e32 vcc, s[48:49], v[60:61]
	v_lshlrev_b32_e32 v1, 3, v0
	v_mul_u32_u24_e32 v90, 15, v0
	s_and_b64 s[0:1], vcc, s[0:1]
	s_waitcnt lgkmcnt(0)
	v_pk_mov_b32 v[92:93], s[58:59], s[58:59] op_sel:[0,1]
	ds_write_b64 v1, v[74:75]
	s_waitcnt lgkmcnt(0)
	s_barrier
	s_and_saveexec_b64 s[58:59], s[30:31]
	s_cbranch_execz .LBB1206_48
; %bb.47:
	v_add_u32_e32 v1, -8, v1
	ds_read_b64 v[92:93], v1
.LBB1206_48:
	s_or_b64 exec, exec, s[58:59]
	v_mov_b32_e32 v91, v59
	v_cndmask_b32_e64 v112, 0, 1, s[0:1]
	v_cmp_gt_u64_e32 vcc, s[48:49], v[90:91]
	s_waitcnt lgkmcnt(0)
	v_cmp_ne_u64_e64 s[0:1], v[92:93], v[26:27]
	v_cndmask_b32_e64 v1, 0, 1, s[28:29]
	v_cndmask_b32_e64 v100, 0, 1, s[26:27]
	;; [unrolled: 1-line block ×13, first 2 shown]
	s_and_b64 s[0:1], vcc, s[0:1]
	s_mov_b64 s[60:61], -1
.LBB1206_49:
                                        ; implicit-def: $sgpr4
	v_mov_b32_e32 v113, s4
	s_and_saveexec_b64 s[2:3], s[60:61]
	s_cbranch_execnz .LBB1206_54
	s_branch .LBB1206_55
.LBB1206_50:
                                        ; implicit-def: $sgpr0_sgpr1
                                        ; implicit-def: $vgpr1
                                        ; implicit-def: $vgpr100
                                        ; implicit-def: $vgpr101
                                        ; implicit-def: $vgpr102
                                        ; implicit-def: $vgpr103
                                        ; implicit-def: $vgpr104
                                        ; implicit-def: $vgpr105
                                        ; implicit-def: $vgpr106
                                        ; implicit-def: $vgpr107
                                        ; implicit-def: $vgpr108
                                        ; implicit-def: $vgpr109
                                        ; implicit-def: $vgpr110
                                        ; implicit-def: $vgpr111
                                        ; implicit-def: $vgpr112
	s_cbranch_execz .LBB1206_49
; %bb.51:
	v_mov_b32_e32 v59, 0
	v_cmp_gt_u64_e32 vcc, s[48:49], v[58:59]
	v_cmp_ne_u64_e64 s[0:1], v[4:5], v[74:75]
	s_and_b64 s[0:1], vcc, s[0:1]
	v_mov_b32_e32 v89, v59
	v_cndmask_b32_e64 v1, 0, 1, s[0:1]
	v_cmp_gt_u64_e32 vcc, s[48:49], v[88:89]
	v_cmp_ne_u64_e64 s[0:1], v[2:3], v[4:5]
	s_and_b64 s[0:1], vcc, s[0:1]
	v_mov_b32_e32 v87, v59
	v_cndmask_b32_e64 v100, 0, 1, s[0:1]
	;; [unrolled: 5-line block ×13, first 2 shown]
	v_cmp_gt_u64_e32 vcc, s[48:49], v[60:61]
	v_cmp_ne_u64_e64 s[0:1], v[26:27], v[28:29]
	s_and_b64 s[0:1], vcc, s[0:1]
	v_lshlrev_b32_e32 v90, 3, v0
	s_mov_b32 s4, 1
	v_cndmask_b32_e64 v112, 0, 1, s[0:1]
	v_cmp_ne_u32_e32 vcc, 0, v0
	ds_write_b64 v90, v[74:75]
	s_waitcnt lgkmcnt(0)
	s_barrier
	s_waitcnt lgkmcnt(0)
                                        ; implicit-def: $sgpr0_sgpr1
	s_and_saveexec_b64 s[2:3], vcc
	s_cbranch_execz .LBB1206_190
; %bb.52:
	v_add_u32_e32 v58, -8, v90
	ds_read_b64 v[60:61], v58
	v_mul_u32_u24_e32 v58, 15, v0
	v_cmp_gt_u64_e32 vcc, s[48:49], v[58:59]
	s_or_b64 s[60:61], s[60:61], exec
	s_waitcnt lgkmcnt(0)
	v_cmp_ne_u64_e64 s[0:1], v[60:61], v[26:27]
	s_and_b64 s[0:1], vcc, s[0:1]
	s_and_b64 s[0:1], s[0:1], exec
	s_or_b64 exec, exec, s[2:3]
.LBB1206_53:
	v_mov_b32_e32 v113, s4
	s_and_saveexec_b64 s[2:3], s[60:61]
.LBB1206_54:
	v_cndmask_b32_e64 v113, 0, 1, s[0:1]
.LBB1206_55:
	s_or_b64 exec, exec, s[2:3]
	s_cmp_eq_u64 s[42:43], 0
	v_add3_u32 v58, v112, v113, v111
	v_mov_b32_e32 v96, v54
	v_mov_b32_e32 v97, v55
	s_cselect_b64 s[30:31], -1, 0
	s_cmp_lg_u32 s6, 0
	v_cmp_eq_u32_e64 s[24:25], 0, v112
	v_cmp_eq_u32_e64 s[22:23], 0, v111
	;; [unrolled: 1-line block ×3, first 2 shown]
	v_add3_u32 v115, v58, v110, v109
	v_cmp_eq_u32_e64 s[18:19], 0, v109
	v_cmp_eq_u32_e64 s[16:17], 0, v108
	;; [unrolled: 1-line block ×10, first 2 shown]
	v_cmp_eq_u32_e32 vcc, 0, v1
	v_mbcnt_lo_u32_b32 v114, -1, 0
	s_cbranch_scc0 .LBB1206_122
; %bb.56:
	v_cndmask_b32_e64 v59, 0, v54, s[24:25]
	v_cndmask_b32_e64 v58, 0, v55, s[24:25]
	v_add_co_u32_e64 v59, s[26:27], v59, v56
	v_addc_co_u32_e64 v58, s[26:27], v58, v57, s[26:27]
	v_cndmask_b32_e64 v59, 0, v59, s[22:23]
	v_cndmask_b32_e64 v58, 0, v58, s[22:23]
	v_add_co_u32_e64 v59, s[26:27], v59, v50
	v_addc_co_u32_e64 v58, s[26:27], v58, v51, s[26:27]
	;; [unrolled: 4-line block ×11, first 2 shown]
	v_cndmask_b32_e64 v59, 0, v59, s[2:3]
	v_add3_u32 v60, v115, v108, v107
	v_cndmask_b32_e64 v58, 0, v58, s[2:3]
	v_add_co_u32_e64 v59, s[26:27], v59, v30
	v_add3_u32 v60, v60, v106, v105
	v_addc_co_u32_e64 v58, s[26:27], v58, v31, s[26:27]
	v_cndmask_b32_e64 v59, 0, v59, s[0:1]
	v_add3_u32 v60, v60, v104, v103
	v_cndmask_b32_e64 v58, 0, v58, s[0:1]
	v_add_co_u32_e64 v59, s[26:27], v59, v32
	v_add3_u32 v60, v60, v102, v101
	v_addc_co_u32_e64 v58, s[26:27], v58, v33, s[26:27]
	v_cndmask_b32_e32 v59, 0, v59, vcc
	v_add3_u32 v62, v60, v100, v1
	v_cndmask_b32_e32 v58, 0, v58, vcc
	v_add_co_u32_e32 v60, vcc, v59, v72
	v_mbcnt_hi_u32_b32 v63, -1, v114
	v_addc_co_u32_e32 v61, vcc, v58, v73, vcc
	v_and_b32_e32 v58, 15, v63
	v_mov_b32_dpp v64, v62 row_shr:1 row_mask:0xf bank_mask:0xf
	v_mov_b32_dpp v59, v60 row_shr:1 row_mask:0xf bank_mask:0xf
	;; [unrolled: 1-line block ×3, first 2 shown]
	v_cmp_ne_u32_e32 vcc, 0, v58
	s_and_saveexec_b64 s[26:27], vcc
; %bb.57:
	v_cmp_eq_u32_e32 vcc, 0, v62
	v_cndmask_b32_e32 v59, 0, v59, vcc
	v_add_u32_e32 v64, v64, v62
	v_cndmask_b32_e32 v62, 0, v65, vcc
	v_add_co_u32_e32 v60, vcc, v59, v60
	v_addc_co_u32_e32 v61, vcc, v62, v61, vcc
	v_mov_b32_e32 v62, v64
; %bb.58:
	s_or_b64 exec, exec, s[26:27]
	s_nop 0
	v_mov_b32_dpp v64, v62 row_shr:2 row_mask:0xf bank_mask:0xf
	v_mov_b32_dpp v59, v60 row_shr:2 row_mask:0xf bank_mask:0xf
	v_mov_b32_dpp v65, v61 row_shr:2 row_mask:0xf bank_mask:0xf
	v_cmp_lt_u32_e32 vcc, 1, v58
	s_and_saveexec_b64 s[26:27], vcc
; %bb.59:
	v_cmp_eq_u32_e32 vcc, 0, v62
	v_cndmask_b32_e32 v59, 0, v59, vcc
	v_add_u32_e32 v64, v64, v62
	v_cndmask_b32_e32 v62, 0, v65, vcc
	v_add_co_u32_e32 v60, vcc, v59, v60
	v_addc_co_u32_e32 v61, vcc, v62, v61, vcc
	v_mov_b32_e32 v62, v64
; %bb.60:
	s_or_b64 exec, exec, s[26:27]
	s_nop 0
	v_mov_b32_dpp v64, v62 row_shr:4 row_mask:0xf bank_mask:0xf
	v_mov_b32_dpp v59, v60 row_shr:4 row_mask:0xf bank_mask:0xf
	v_mov_b32_dpp v65, v61 row_shr:4 row_mask:0xf bank_mask:0xf
	v_cmp_lt_u32_e32 vcc, 3, v58
	;; [unrolled: 16-line block ×3, first 2 shown]
	s_and_saveexec_b64 s[26:27], vcc
; %bb.63:
	v_cmp_eq_u32_e32 vcc, 0, v62
	v_cndmask_b32_e32 v59, 0, v59, vcc
	v_add_u32_e32 v58, v64, v62
	v_cndmask_b32_e32 v62, 0, v65, vcc
	v_add_co_u32_e32 v60, vcc, v59, v60
	v_addc_co_u32_e32 v61, vcc, v62, v61, vcc
	v_mov_b32_e32 v62, v58
; %bb.64:
	s_or_b64 exec, exec, s[26:27]
	v_and_b32_e32 v65, 16, v63
	v_mov_b32_dpp v59, v62 row_bcast:15 row_mask:0xf bank_mask:0xf
	v_mov_b32_dpp v58, v60 row_bcast:15 row_mask:0xf bank_mask:0xf
	;; [unrolled: 1-line block ×3, first 2 shown]
	v_cmp_ne_u32_e32 vcc, 0, v65
	s_and_saveexec_b64 s[26:27], vcc
; %bb.65:
	v_cmp_eq_u32_e32 vcc, 0, v62
	v_cndmask_b32_e32 v58, 0, v58, vcc
	v_add_u32_e32 v59, v59, v62
	v_cndmask_b32_e32 v62, 0, v64, vcc
	v_add_co_u32_e32 v60, vcc, v58, v60
	v_addc_co_u32_e32 v61, vcc, v62, v61, vcc
	v_mov_b32_e32 v62, v59
; %bb.66:
	s_or_b64 exec, exec, s[26:27]
	s_nop 0
	v_mov_b32_dpp v59, v62 row_bcast:31 row_mask:0xf bank_mask:0xf
	v_mov_b32_dpp v58, v60 row_bcast:31 row_mask:0xf bank_mask:0xf
	;; [unrolled: 1-line block ×3, first 2 shown]
	v_cmp_lt_u32_e32 vcc, 31, v63
	s_and_saveexec_b64 s[26:27], vcc
; %bb.67:
	v_cmp_eq_u32_e32 vcc, 0, v62
	v_cndmask_b32_e32 v58, 0, v58, vcc
	v_add_u32_e32 v59, v59, v62
	v_cndmask_b32_e32 v62, 0, v64, vcc
	v_add_co_u32_e32 v60, vcc, v58, v60
	v_addc_co_u32_e32 v61, vcc, v62, v61, vcc
	v_mov_b32_e32 v62, v59
; %bb.68:
	s_or_b64 exec, exec, s[26:27]
	v_lshrrev_b32_e32 v58, 6, v0
	v_or_b32_e32 v59, 63, v0
	v_cmp_eq_u32_e32 vcc, v59, v0
	v_lshlrev_b32_e32 v64, 4, v58
	s_and_saveexec_b64 s[26:27], vcc
	s_cbranch_execz .LBB1206_70
; %bb.69:
	ds_write_b32 v64, v62 offset:4128
	ds_write_b64 v64, v[60:61] offset:4136
.LBB1206_70:
	s_or_b64 exec, exec, s[26:27]
	v_cmp_gt_u32_e32 vcc, 4, v0
	s_waitcnt lgkmcnt(0)
	s_barrier
	s_and_saveexec_b64 s[26:27], vcc
	s_cbranch_execz .LBB1206_76
; %bb.71:
	v_lshlrev_b32_e32 v65, 4, v0
	ds_read_b32 v66, v65 offset:4128
	ds_read_b64 v[58:59], v65 offset:4136
	v_and_b32_e32 v67, 3, v63
	v_cmp_ne_u32_e32 vcc, 0, v67
	s_waitcnt lgkmcnt(1)
	v_mov_b32_dpp v69, v66 row_shr:1 row_mask:0xf bank_mask:0xf
	s_waitcnt lgkmcnt(0)
	v_mov_b32_dpp v68, v58 row_shr:1 row_mask:0xf bank_mask:0xf
	v_mov_b32_dpp v70, v59 row_shr:1 row_mask:0xf bank_mask:0xf
	s_and_saveexec_b64 s[42:43], vcc
; %bb.72:
	v_cmp_eq_u32_e32 vcc, 0, v66
	v_cndmask_b32_e32 v68, 0, v68, vcc
	v_add_u32_e32 v69, v69, v66
	v_cndmask_b32_e32 v66, 0, v70, vcc
	v_add_co_u32_e32 v58, vcc, v68, v58
	v_addc_co_u32_e32 v59, vcc, v66, v59, vcc
	v_mov_b32_e32 v66, v69
; %bb.73:
	s_or_b64 exec, exec, s[42:43]
	s_nop 0
	v_mov_b32_dpp v69, v66 row_shr:2 row_mask:0xf bank_mask:0xf
	v_mov_b32_dpp v68, v58 row_shr:2 row_mask:0xf bank_mask:0xf
	;; [unrolled: 1-line block ×3, first 2 shown]
	v_cmp_lt_u32_e32 vcc, 1, v67
	s_and_saveexec_b64 s[42:43], vcc
; %bb.74:
	v_cmp_eq_u32_e32 vcc, 0, v66
	v_cndmask_b32_e32 v68, 0, v68, vcc
	v_add_u32_e32 v67, v69, v66
	v_cndmask_b32_e32 v66, 0, v70, vcc
	v_add_co_u32_e32 v58, vcc, v68, v58
	v_addc_co_u32_e32 v59, vcc, v66, v59, vcc
	v_mov_b32_e32 v66, v67
; %bb.75:
	s_or_b64 exec, exec, s[42:43]
	ds_write_b32 v65, v66 offset:4128
	ds_write_b64 v65, v[58:59] offset:4136
.LBB1206_76:
	s_or_b64 exec, exec, s[26:27]
	v_cmp_gt_u32_e32 vcc, 64, v0
	v_cmp_lt_u32_e64 s[26:27], 63, v0
	v_pk_mov_b32 v[58:59], 0, 0
	v_mov_b32_e32 v70, 0
	s_waitcnt lgkmcnt(0)
	s_barrier
	s_and_saveexec_b64 s[42:43], s[26:27]
	s_cbranch_execz .LBB1206_78
; %bb.77:
	ds_read_b32 v70, v64 offset:4112
	ds_read_b64 v[58:59], v64 offset:4120
	v_cmp_eq_u32_e64 s[26:27], 0, v62
	s_waitcnt lgkmcnt(1)
	v_add_u32_e32 v64, v70, v62
	s_waitcnt lgkmcnt(0)
	v_cndmask_b32_e64 v65, 0, v58, s[26:27]
	v_cndmask_b32_e64 v62, 0, v59, s[26:27]
	v_add_co_u32_e64 v60, s[26:27], v65, v60
	v_addc_co_u32_e64 v61, s[26:27], v62, v61, s[26:27]
	v_mov_b32_e32 v62, v64
.LBB1206_78:
	s_or_b64 exec, exec, s[42:43]
	v_add_u32_e32 v64, -1, v63
	v_and_b32_e32 v65, 64, v63
	v_cmp_lt_i32_e64 s[26:27], v64, v65
	v_cndmask_b32_e64 v64, v64, v63, s[26:27]
	v_lshlrev_b32_e32 v64, 2, v64
	ds_bpermute_b32 v71, v64, v62
	ds_bpermute_b32 v76, v64, v60
	;; [unrolled: 1-line block ×3, first 2 shown]
	v_cmp_eq_u32_e64 s[26:27], 0, v63
	s_and_saveexec_b64 s[42:43], vcc
	s_cbranch_execz .LBB1206_121
; %bb.79:
	v_mov_b32_e32 v65, 0
	ds_read_b32 v78, v65 offset:4176
	ds_read_b64 v[60:61], v65 offset:4184
	s_and_saveexec_b64 s[48:49], s[26:27]
	s_cbranch_execz .LBB1206_81
; %bb.80:
	s_add_i32 s58, s6, 64
	s_mov_b32 s59, 0
	s_lshl_b64 s[60:61], s[58:59], 4
	s_add_u32 s60, s36, s60
	s_addc_u32 s61, s37, s61
	v_mov_b32_e32 v62, s58
	v_mov_b32_e32 v64, 1
	s_waitcnt lgkmcnt(1)
	global_store_dword v65, v78, s[60:61]
	s_waitcnt lgkmcnt(0)
	global_store_dwordx2 v65, v[60:61], s[60:61] offset:8
	s_waitcnt vmcnt(0)
	buffer_wbinvl1_vol
	global_store_byte v62, v64, s[40:41]
.LBB1206_81:
	s_or_b64 exec, exec, s[48:49]
	v_xad_u32 v62, v63, -1, s6
	v_add_u32_e32 v64, 64, v62
	global_load_ubyte v79, v64, s[40:41] glc
	s_waitcnt vmcnt(0)
	v_cmp_eq_u16_e32 vcc, 0, v79
	s_and_saveexec_b64 s[48:49], vcc
	s_cbranch_execz .LBB1206_85
; %bb.82:
	v_mov_b32_e32 v67, s41
	v_add_co_u32_e32 v66, vcc, s40, v64
	v_addc_co_u32_e32 v67, vcc, 0, v67, vcc
	s_mov_b64 s[58:59], 0
.LBB1206_83:                            ; =>This Inner Loop Header: Depth=1
	global_load_ubyte v79, v[66:67], off glc
	s_waitcnt vmcnt(0)
	v_cmp_ne_u16_e32 vcc, 0, v79
	s_or_b64 s[58:59], vcc, s[58:59]
	s_andn2_b64 exec, exec, s[58:59]
	s_cbranch_execnz .LBB1206_83
; %bb.84:
	s_or_b64 exec, exec, s[58:59]
.LBB1206_85:
	s_or_b64 exec, exec, s[48:49]
	v_mov_b32_e32 v66, s39
	v_mov_b32_e32 v67, s37
	v_cmp_eq_u16_e32 vcc, 1, v79
	v_cndmask_b32_e32 v66, v66, v67, vcc
	v_mov_b32_e32 v67, s38
	v_mov_b32_e32 v68, s36
	v_cndmask_b32_e32 v67, v67, v68, vcc
	v_lshlrev_b64 v[64:65], 4, v[64:65]
	v_add_co_u32_e32 v64, vcc, v67, v64
	v_addc_co_u32_e32 v65, vcc, v66, v65, vcc
	s_waitcnt lgkmcnt(0)
	buffer_wbinvl1_vol
	global_load_dword v94, v[64:65], off
	global_load_dwordx2 v[68:69], v[64:65], off offset:8
	v_cmp_eq_u16_e32 vcc, 2, v79
	v_lshlrev_b64 v[64:65], v63, -1
	v_and_b32_e32 v80, 63, v63
	v_and_b32_e32 v66, vcc_hi, v65
	v_and_b32_e32 v84, vcc_lo, v64
	v_cmp_ne_u32_e32 vcc, 63, v80
	v_addc_co_u32_e32 v67, vcc, 0, v63, vcc
	v_lshlrev_b32_e32 v81, 2, v67
	v_or_b32_e32 v66, 0x80000000, v66
	v_ffbl_b32_e32 v66, v66
	v_add_u32_e32 v66, 32, v66
	v_ffbl_b32_e32 v84, v84
	v_min_u32_e32 v66, v84, v66
	v_cmp_lt_u32_e32 vcc, v80, v66
	s_waitcnt vmcnt(1)
	ds_bpermute_b32 v82, v81, v94
	s_waitcnt vmcnt(0)
	ds_bpermute_b32 v67, v81, v68
	ds_bpermute_b32 v83, v81, v69
	s_and_saveexec_b64 s[48:49], vcc
	s_cbranch_execz .LBB1206_87
; %bb.86:
	v_cmp_eq_u32_e32 vcc, 0, v94
	s_waitcnt lgkmcnt(1)
	v_cndmask_b32_e32 v67, 0, v67, vcc
	v_add_u32_e32 v82, v82, v94
	s_waitcnt lgkmcnt(0)
	v_cndmask_b32_e32 v83, 0, v83, vcc
	v_add_co_u32_e32 v68, vcc, v67, v68
	v_addc_co_u32_e32 v69, vcc, v83, v69, vcc
	v_mov_b32_e32 v94, v82
.LBB1206_87:
	s_or_b64 exec, exec, s[48:49]
	v_cmp_gt_u32_e32 vcc, 62, v80
	s_waitcnt lgkmcnt(1)
	v_cndmask_b32_e64 v67, 0, 1, vcc
	v_lshlrev_b32_e32 v67, 1, v67
	v_add_lshl_u32 v82, v67, v63, 2
	ds_bpermute_b32 v84, v82, v94
	ds_bpermute_b32 v67, v82, v68
	ds_bpermute_b32 v85, v82, v69
	s_waitcnt lgkmcnt(3)
	v_add_u32_e32 v83, 2, v80
	v_cmp_le_u32_e32 vcc, v83, v66
	s_and_saveexec_b64 s[48:49], vcc
	s_cbranch_execz .LBB1206_89
; %bb.88:
	v_cmp_eq_u32_e32 vcc, 0, v94
	s_waitcnt lgkmcnt(1)
	v_cndmask_b32_e32 v67, 0, v67, vcc
	v_add_u32_e32 v84, v84, v94
	s_waitcnt lgkmcnt(0)
	v_cndmask_b32_e32 v85, 0, v85, vcc
	v_add_co_u32_e32 v68, vcc, v67, v68
	v_addc_co_u32_e32 v69, vcc, v85, v69, vcc
	v_mov_b32_e32 v94, v84
.LBB1206_89:
	s_or_b64 exec, exec, s[48:49]
	v_cmp_gt_u32_e32 vcc, 60, v80
	s_waitcnt lgkmcnt(1)
	v_cndmask_b32_e64 v67, 0, 1, vcc
	v_lshlrev_b32_e32 v67, 2, v67
	v_add_lshl_u32 v84, v67, v63, 2
	ds_bpermute_b32 v86, v84, v94
	ds_bpermute_b32 v67, v84, v68
	ds_bpermute_b32 v87, v84, v69
	s_waitcnt lgkmcnt(3)
	v_add_u32_e32 v85, 4, v80
	v_cmp_le_u32_e32 vcc, v85, v66
	;; [unrolled: 25-line block ×4, first 2 shown]
	s_and_saveexec_b64 s[48:49], vcc
	s_cbranch_execz .LBB1206_95
; %bb.94:
	v_cmp_eq_u32_e32 vcc, 0, v94
	s_waitcnt lgkmcnt(1)
	v_cndmask_b32_e32 v67, 0, v67, vcc
	v_add_u32_e32 v90, v90, v94
	s_waitcnt lgkmcnt(0)
	v_cndmask_b32_e32 v91, 0, v91, vcc
	v_add_co_u32_e32 v68, vcc, v67, v68
	v_addc_co_u32_e32 v69, vcc, v91, v69, vcc
	v_mov_b32_e32 v94, v90
.LBB1206_95:
	s_or_b64 exec, exec, s[48:49]
	v_cmp_gt_u32_e32 vcc, 32, v80
	s_waitcnt lgkmcnt(1)
	v_cndmask_b32_e64 v67, 0, 1, vcc
	v_lshlrev_b32_e32 v67, 5, v67
	v_add_lshl_u32 v90, v67, v63, 2
	ds_bpermute_b32 v67, v90, v94
	ds_bpermute_b32 v63, v90, v68
	s_waitcnt lgkmcnt(2)
	ds_bpermute_b32 v91, v90, v69
	v_add_u32_e32 v92, 32, v80
	v_cmp_le_u32_e32 vcc, v92, v66
	s_and_saveexec_b64 s[48:49], vcc
	s_cbranch_execz .LBB1206_97
; %bb.96:
	v_cmp_eq_u32_e32 vcc, 0, v94
	s_waitcnt lgkmcnt(1)
	v_cndmask_b32_e32 v63, 0, v63, vcc
	v_add_u32_e32 v66, v67, v94
	s_waitcnt lgkmcnt(0)
	v_cndmask_b32_e32 v67, 0, v91, vcc
	v_add_co_u32_e32 v68, vcc, v63, v68
	v_addc_co_u32_e32 v69, vcc, v67, v69, vcc
	v_mov_b32_e32 v94, v66
.LBB1206_97:
	s_or_b64 exec, exec, s[48:49]
	s_waitcnt lgkmcnt(1)
	v_mov_b32_e32 v63, 0
	v_mov_b32_e32 v93, 2
	s_branch .LBB1206_99
.LBB1206_98:                            ;   in Loop: Header=BB1206_99 Depth=1
	s_or_b64 exec, exec, s[48:49]
	v_cmp_eq_u32_e32 vcc, 0, v91
	v_cndmask_b32_e32 v68, 0, v68, vcc
	v_cndmask_b32_e32 v69, 0, v69, vcc
	v_add_co_u32_e32 v68, vcc, v68, v66
	v_subrev_u32_e32 v62, 64, v62
	v_add_u32_e32 v94, v95, v91
	v_addc_co_u32_e32 v69, vcc, v69, v67, vcc
.LBB1206_99:                            ; =>This Loop Header: Depth=1
                                        ;     Child Loop BB1206_102 Depth 2
	v_cmp_ne_u16_sdwa s[48:49], v79, v93 src0_sel:BYTE_0 src1_sel:DWORD
	v_pk_mov_b32 v[66:67], v[68:69], v[68:69] op_sel:[0,1]
	v_cndmask_b32_e64 v68, 0, 1, s[48:49]
	;;#ASMSTART
	;;#ASMEND
	v_cmp_ne_u32_e32 vcc, 0, v68
	s_cmp_lg_u64 vcc, exec
	s_waitcnt lgkmcnt(0)
	v_mov_b32_e32 v91, v94
	s_cbranch_scc1 .LBB1206_116
; %bb.100:                              ;   in Loop: Header=BB1206_99 Depth=1
	global_load_ubyte v79, v62, s[40:41] glc
	s_waitcnt vmcnt(0)
	v_cmp_eq_u16_e32 vcc, 0, v79
	s_and_saveexec_b64 s[48:49], vcc
	s_cbranch_execz .LBB1206_104
; %bb.101:                              ;   in Loop: Header=BB1206_99 Depth=1
	v_mov_b32_e32 v69, s41
	v_add_co_u32_e32 v68, vcc, s40, v62
	v_addc_co_u32_e32 v69, vcc, 0, v69, vcc
	s_mov_b64 s[58:59], 0
.LBB1206_102:                           ;   Parent Loop BB1206_99 Depth=1
                                        ; =>  This Inner Loop Header: Depth=2
	global_load_ubyte v79, v[68:69], off glc
	s_waitcnt vmcnt(0)
	v_cmp_ne_u16_e32 vcc, 0, v79
	s_or_b64 s[58:59], vcc, s[58:59]
	s_andn2_b64 exec, exec, s[58:59]
	s_cbranch_execnz .LBB1206_102
; %bb.103:                              ;   in Loop: Header=BB1206_99 Depth=1
	s_or_b64 exec, exec, s[58:59]
.LBB1206_104:                           ;   in Loop: Header=BB1206_99 Depth=1
	s_or_b64 exec, exec, s[48:49]
	v_mov_b32_e32 v68, s39
	v_mov_b32_e32 v69, s37
	v_cmp_eq_u16_e32 vcc, 1, v79
	v_cndmask_b32_e32 v94, v68, v69, vcc
	v_mov_b32_e32 v68, s38
	v_mov_b32_e32 v69, s36
	v_cndmask_b32_e32 v95, v68, v69, vcc
	v_lshlrev_b64 v[68:69], 4, v[62:63]
	v_add_co_u32_e32 v68, vcc, v95, v68
	v_addc_co_u32_e32 v69, vcc, v94, v69, vcc
	buffer_wbinvl1_vol
	global_load_dword v95, v[68:69], off
	s_nop 0
	global_load_dwordx2 v[68:69], v[68:69], off offset:8
	v_cmp_eq_u16_e32 vcc, 2, v79
	v_and_b32_e32 v94, vcc_hi, v65
	v_or_b32_e32 v94, 0x80000000, v94
	v_and_b32_e32 v117, vcc_lo, v64
	v_ffbl_b32_e32 v94, v94
	v_add_u32_e32 v94, 32, v94
	v_ffbl_b32_e32 v117, v117
	v_min_u32_e32 v94, v117, v94
	v_cmp_lt_u32_e32 vcc, v80, v94
	s_waitcnt vmcnt(1)
	ds_bpermute_b32 v99, v81, v95
	s_waitcnt vmcnt(0)
	ds_bpermute_b32 v98, v81, v68
	ds_bpermute_b32 v116, v81, v69
	s_and_saveexec_b64 s[48:49], vcc
	s_cbranch_execz .LBB1206_106
; %bb.105:                              ;   in Loop: Header=BB1206_99 Depth=1
	v_cmp_eq_u32_e32 vcc, 0, v95
	s_waitcnt lgkmcnt(1)
	v_cndmask_b32_e32 v98, 0, v98, vcc
	v_add_u32_e32 v99, v99, v95
	s_waitcnt lgkmcnt(0)
	v_cndmask_b32_e32 v95, 0, v116, vcc
	v_add_co_u32_e32 v68, vcc, v98, v68
	v_addc_co_u32_e32 v69, vcc, v95, v69, vcc
	v_mov_b32_e32 v95, v99
.LBB1206_106:                           ;   in Loop: Header=BB1206_99 Depth=1
	s_or_b64 exec, exec, s[48:49]
	s_waitcnt lgkmcnt(2)
	ds_bpermute_b32 v99, v82, v95
	s_waitcnt lgkmcnt(2)
	ds_bpermute_b32 v98, v82, v68
	s_waitcnt lgkmcnt(2)
	ds_bpermute_b32 v116, v82, v69
	v_cmp_le_u32_e32 vcc, v83, v94
	s_and_saveexec_b64 s[48:49], vcc
	s_cbranch_execz .LBB1206_108
; %bb.107:                              ;   in Loop: Header=BB1206_99 Depth=1
	v_cmp_eq_u32_e32 vcc, 0, v95
	s_waitcnt lgkmcnt(1)
	v_cndmask_b32_e32 v98, 0, v98, vcc
	v_add_u32_e32 v99, v99, v95
	s_waitcnt lgkmcnt(0)
	v_cndmask_b32_e32 v95, 0, v116, vcc
	v_add_co_u32_e32 v68, vcc, v98, v68
	v_addc_co_u32_e32 v69, vcc, v95, v69, vcc
	v_mov_b32_e32 v95, v99
.LBB1206_108:                           ;   in Loop: Header=BB1206_99 Depth=1
	s_or_b64 exec, exec, s[48:49]
	s_waitcnt lgkmcnt(2)
	ds_bpermute_b32 v99, v84, v95
	s_waitcnt lgkmcnt(2)
	ds_bpermute_b32 v98, v84, v68
	s_waitcnt lgkmcnt(2)
	ds_bpermute_b32 v116, v84, v69
	v_cmp_le_u32_e32 vcc, v85, v94
	s_and_saveexec_b64 s[48:49], vcc
	s_cbranch_execz .LBB1206_110
; %bb.109:                              ;   in Loop: Header=BB1206_99 Depth=1
	v_cmp_eq_u32_e32 vcc, 0, v95
	s_waitcnt lgkmcnt(1)
	v_cndmask_b32_e32 v98, 0, v98, vcc
	v_add_u32_e32 v99, v99, v95
	s_waitcnt lgkmcnt(0)
	v_cndmask_b32_e32 v95, 0, v116, vcc
	v_add_co_u32_e32 v68, vcc, v98, v68
	v_addc_co_u32_e32 v69, vcc, v95, v69, vcc
	v_mov_b32_e32 v95, v99
.LBB1206_110:                           ;   in Loop: Header=BB1206_99 Depth=1
	s_or_b64 exec, exec, s[48:49]
	s_waitcnt lgkmcnt(2)
	ds_bpermute_b32 v99, v86, v95
	s_waitcnt lgkmcnt(2)
	ds_bpermute_b32 v98, v86, v68
	s_waitcnt lgkmcnt(2)
	ds_bpermute_b32 v116, v86, v69
	v_cmp_le_u32_e32 vcc, v87, v94
	s_and_saveexec_b64 s[48:49], vcc
	s_cbranch_execz .LBB1206_112
; %bb.111:                              ;   in Loop: Header=BB1206_99 Depth=1
	v_cmp_eq_u32_e32 vcc, 0, v95
	s_waitcnt lgkmcnt(1)
	v_cndmask_b32_e32 v98, 0, v98, vcc
	v_add_u32_e32 v99, v99, v95
	s_waitcnt lgkmcnt(0)
	v_cndmask_b32_e32 v95, 0, v116, vcc
	v_add_co_u32_e32 v68, vcc, v98, v68
	v_addc_co_u32_e32 v69, vcc, v95, v69, vcc
	v_mov_b32_e32 v95, v99
.LBB1206_112:                           ;   in Loop: Header=BB1206_99 Depth=1
	s_or_b64 exec, exec, s[48:49]
	s_waitcnt lgkmcnt(2)
	ds_bpermute_b32 v99, v88, v95
	s_waitcnt lgkmcnt(2)
	ds_bpermute_b32 v98, v88, v68
	s_waitcnt lgkmcnt(2)
	ds_bpermute_b32 v116, v88, v69
	v_cmp_le_u32_e32 vcc, v89, v94
	s_and_saveexec_b64 s[48:49], vcc
	s_cbranch_execz .LBB1206_114
; %bb.113:                              ;   in Loop: Header=BB1206_99 Depth=1
	v_cmp_eq_u32_e32 vcc, 0, v95
	s_waitcnt lgkmcnt(1)
	v_cndmask_b32_e32 v98, 0, v98, vcc
	v_add_u32_e32 v99, v99, v95
	s_waitcnt lgkmcnt(0)
	v_cndmask_b32_e32 v95, 0, v116, vcc
	v_add_co_u32_e32 v68, vcc, v98, v68
	v_addc_co_u32_e32 v69, vcc, v95, v69, vcc
	v_mov_b32_e32 v95, v99
.LBB1206_114:                           ;   in Loop: Header=BB1206_99 Depth=1
	s_or_b64 exec, exec, s[48:49]
	s_waitcnt lgkmcnt(2)
	ds_bpermute_b32 v99, v90, v95
	s_waitcnt lgkmcnt(2)
	ds_bpermute_b32 v98, v90, v68
	s_waitcnt lgkmcnt(2)
	ds_bpermute_b32 v116, v90, v69
	v_cmp_le_u32_e32 vcc, v92, v94
	s_and_saveexec_b64 s[48:49], vcc
	s_cbranch_execz .LBB1206_98
; %bb.115:                              ;   in Loop: Header=BB1206_99 Depth=1
	v_cmp_eq_u32_e32 vcc, 0, v95
	s_waitcnt lgkmcnt(1)
	v_cndmask_b32_e32 v98, 0, v98, vcc
	v_add_u32_e32 v94, v99, v95
	s_waitcnt lgkmcnt(0)
	v_cndmask_b32_e32 v95, 0, v116, vcc
	v_add_co_u32_e32 v68, vcc, v98, v68
	v_addc_co_u32_e32 v69, vcc, v95, v69, vcc
	v_mov_b32_e32 v95, v94
	s_branch .LBB1206_98
.LBB1206_116:                           ;   in Loop: Header=BB1206_99 Depth=1
                                        ; implicit-def: $vgpr68_vgpr69
                                        ; implicit-def: $vgpr94
                                        ; implicit-def: $vgpr79
	s_cbranch_execz .LBB1206_99
; %bb.117:
	s_and_saveexec_b64 s[36:37], s[26:27]
	s_cbranch_execz .LBB1206_119
; %bb.118:
	s_mov_b32 s7, 0
	v_cmp_eq_u32_e32 vcc, 0, v78
	s_add_i32 s6, s6, 64
	v_cndmask_b32_e32 v62, 0, v66, vcc
	s_lshl_b64 s[48:49], s[6:7], 4
	v_cndmask_b32_e32 v63, 0, v67, vcc
	v_add_co_u32_e32 v62, vcc, v62, v60
	s_add_u32 s48, s38, s48
	v_add_u32_e32 v64, v91, v78
	v_addc_co_u32_e32 v63, vcc, v63, v61, vcc
	s_addc_u32 s49, s39, s49
	v_mov_b32_e32 v65, 0
	global_store_dword v65, v64, s[48:49]
	global_store_dwordx2 v65, v[62:63], s[48:49] offset:8
	v_mov_b32_e32 v62, s6
	v_mov_b32_e32 v63, 2
	s_waitcnt vmcnt(0) lgkmcnt(0)
	buffer_wbinvl1_vol
	global_store_byte v62, v63, s[40:41]
	ds_write_b32 v65, v78 offset:4096
	ds_write_b64 v65, v[60:61] offset:4104
	ds_write_b32 v65, v91 offset:4112
	ds_write_b64 v65, v[66:67] offset:4120
.LBB1206_119:
	s_or_b64 exec, exec, s[36:37]
	v_cmp_eq_u32_e32 vcc, 0, v0
	s_and_b64 exec, exec, vcc
	s_cbranch_execz .LBB1206_121
; %bb.120:
	v_mov_b32_e32 v60, 0
	ds_write_b32 v60, v91 offset:4176
	ds_write_b64 v60, v[66:67] offset:4184
.LBB1206_121:
	s_or_b64 exec, exec, s[42:43]
	v_mov_b32_e32 v63, 0
	s_waitcnt lgkmcnt(0)
	s_barrier
	ds_read_b32 v62, v63 offset:4176
	ds_read_b64 v[60:61], v63 offset:4184
	v_cndmask_b32_e64 v64, v71, v70, s[26:27]
	v_cmp_eq_u32_e32 vcc, 0, v64
	v_cndmask_b32_e64 v58, v76, v58, s[26:27]
	v_cndmask_b32_e64 v59, v77, v59, s[26:27]
	s_waitcnt lgkmcnt(0)
	v_cndmask_b32_e32 v66, 0, v60, vcc
	v_cndmask_b32_e32 v65, 0, v61, vcc
	v_add_co_u32_e32 v58, vcc, v66, v58
	v_addc_co_u32_e32 v65, vcc, v65, v59, vcc
	v_cmp_eq_u32_e32 vcc, 0, v0
	v_cndmask_b32_e64 v59, v64, 0, vcc
	v_cndmask_b32_e32 v93, v65, v61, vcc
	v_cndmask_b32_e32 v92, v58, v60, vcc
	v_cmp_eq_u32_e32 vcc, 0, v113
	v_cndmask_b32_e32 v60, 0, v92, vcc
	v_cndmask_b32_e32 v58, 0, v93, vcc
	v_add_co_u32_e32 v64, vcc, v60, v54
	v_addc_co_u32_e32 v65, vcc, v58, v55, vcc
	v_cndmask_b32_e64 v60, 0, v64, s[24:25]
	v_cndmask_b32_e64 v58, 0, v65, s[24:25]
	v_add_co_u32_e32 v66, vcc, v60, v56
	v_addc_co_u32_e32 v67, vcc, v58, v57, vcc
	v_cndmask_b32_e64 v60, 0, v66, s[22:23]
	v_cndmask_b32_e64 v58, 0, v67, s[22:23]
	;; [unrolled: 4-line block ×11, first 2 shown]
	v_add_co_u32_e32 v90, vcc, v60, v36
	v_add_u32_e32 v59, v62, v59
	v_addc_co_u32_e32 v91, vcc, v58, v37, vcc
	s_barrier
	ds_read_b32 v58, v63 offset:4096
	ds_read_b64 v[60:61], v63 offset:4104
	ds_read_b32 v62, v63 offset:4112
	ds_read_b64 v[116:117], v63 offset:4120
	v_cndmask_b32_e64 v94, 0, v90, s[2:3]
	v_cndmask_b32_e64 v95, 0, v91, s[2:3]
	v_add_co_u32_e32 v94, vcc, v94, v30
	v_addc_co_u32_e32 v95, vcc, v95, v31, vcc
	s_waitcnt lgkmcnt(3)
	v_cmp_eq_u32_e32 vcc, 0, v58
	s_waitcnt lgkmcnt(0)
	v_cndmask_b32_e32 v116, 0, v116, vcc
	v_cndmask_b32_e32 v63, 0, v117, vcc
	v_add_co_u32_e32 v60, vcc, v116, v60
	v_cndmask_b32_e64 v99, 0, v95, s[0:1]
	v_cndmask_b32_e64 v98, 0, v94, s[0:1]
	v_addc_co_u32_e32 v61, vcc, v63, v61, vcc
	s_branch .LBB1206_150
.LBB1206_122:
                                        ; implicit-def: $vgpr58
                                        ; implicit-def: $vgpr60_vgpr61
                                        ; implicit-def: $vgpr62
                                        ; implicit-def: $vgpr92_vgpr93
                                        ; implicit-def: $vgpr64_vgpr65
                                        ; implicit-def: $vgpr66_vgpr67
                                        ; implicit-def: $vgpr68_vgpr69
                                        ; implicit-def: $vgpr70_vgpr71
                                        ; implicit-def: $vgpr76_vgpr77
                                        ; implicit-def: $vgpr78_vgpr79
                                        ; implicit-def: $vgpr80_vgpr81
                                        ; implicit-def: $vgpr82_vgpr83
                                        ; implicit-def: $vgpr84_vgpr85
                                        ; implicit-def: $vgpr86_vgpr87
                                        ; implicit-def: $vgpr88_vgpr89
                                        ; implicit-def: $vgpr90_vgpr91
                                        ; implicit-def: $vgpr94_vgpr95
                                        ; implicit-def: $vgpr98_vgpr99
                                        ; implicit-def: $vgpr59
	s_cbranch_execz .LBB1206_150
; %bb.123:
	s_and_b64 s[0:1], s[30:31], exec
	s_cselect_b32 s1, 0, s57
	s_cselect_b32 s0, 0, s56
	s_cmp_eq_u64 s[0:1], 0
	s_cbranch_scc1 .LBB1206_125
; %bb.124:
	v_mov_b32_e32 v58, 0
	global_load_dwordx2 v[96:97], v58, s[0:1]
.LBB1206_125:
	v_cmp_eq_u32_e64 s[22:23], 0, v112
	v_cndmask_b32_e64 v59, 0, v54, s[22:23]
	v_cndmask_b32_e64 v58, 0, v55, s[22:23]
	v_add_co_u32_e32 v59, vcc, v59, v56
	v_cmp_eq_u32_e64 s[20:21], 0, v111
	v_addc_co_u32_e32 v58, vcc, v58, v57, vcc
	v_cndmask_b32_e64 v59, 0, v59, s[20:21]
	v_cndmask_b32_e64 v58, 0, v58, s[20:21]
	v_add_co_u32_e32 v59, vcc, v59, v50
	v_cmp_eq_u32_e64 s[18:19], 0, v110
	v_addc_co_u32_e32 v58, vcc, v58, v51, vcc
	;; [unrolled: 5-line block ×11, first 2 shown]
	v_cndmask_b32_e64 v59, 0, v59, s[2:3]
	v_cndmask_b32_e64 v58, 0, v58, s[2:3]
	v_add_co_u32_e32 v59, vcc, v59, v30
	v_addc_co_u32_e32 v58, vcc, v58, v31, vcc
	v_cmp_eq_u32_e32 vcc, 0, v100
	v_add3_u32 v60, v115, v108, v107
	v_cndmask_b32_e32 v59, 0, v59, vcc
	v_add3_u32 v60, v60, v106, v105
	v_cndmask_b32_e32 v58, 0, v58, vcc
	v_add_co_u32_e64 v59, s[24:25], v59, v32
	v_add3_u32 v60, v60, v104, v103
	v_addc_co_u32_e64 v58, s[24:25], v58, v33, s[24:25]
	v_add3_u32 v60, v60, v102, v101
	v_cmp_eq_u32_e64 s[24:25], 0, v1
	v_add3_u32 v63, v60, v100, v1
	v_cndmask_b32_e64 v60, 0, v58, s[24:25]
	v_cndmask_b32_e64 v58, 0, v59, s[24:25]
	v_add_co_u32_e64 v58, s[24:25], v58, v72
	v_mbcnt_hi_u32_b32 v62, -1, v114
	v_addc_co_u32_e64 v59, s[24:25], v60, v73, s[24:25]
	v_and_b32_e32 v60, 15, v62
	v_mov_b32_dpp v64, v63 row_shr:1 row_mask:0xf bank_mask:0xf
	v_mov_b32_dpp v61, v58 row_shr:1 row_mask:0xf bank_mask:0xf
	;; [unrolled: 1-line block ×3, first 2 shown]
	v_cmp_ne_u32_e64 s[24:25], 0, v60
	s_and_saveexec_b64 s[26:27], s[24:25]
; %bb.126:
	v_cmp_eq_u32_e64 s[24:25], 0, v63
	v_cndmask_b32_e64 v61, 0, v61, s[24:25]
	v_add_u32_e32 v64, v64, v63
	v_cndmask_b32_e64 v63, 0, v65, s[24:25]
	v_add_co_u32_e64 v58, s[24:25], v61, v58
	v_addc_co_u32_e64 v59, s[24:25], v63, v59, s[24:25]
	v_mov_b32_e32 v63, v64
; %bb.127:
	s_or_b64 exec, exec, s[26:27]
	s_nop 0
	v_mov_b32_dpp v64, v63 row_shr:2 row_mask:0xf bank_mask:0xf
	v_mov_b32_dpp v61, v58 row_shr:2 row_mask:0xf bank_mask:0xf
	v_mov_b32_dpp v65, v59 row_shr:2 row_mask:0xf bank_mask:0xf
	v_cmp_lt_u32_e64 s[24:25], 1, v60
	s_and_saveexec_b64 s[26:27], s[24:25]
; %bb.128:
	v_cmp_eq_u32_e64 s[24:25], 0, v63
	v_cndmask_b32_e64 v61, 0, v61, s[24:25]
	v_add_u32_e32 v64, v64, v63
	v_cndmask_b32_e64 v63, 0, v65, s[24:25]
	v_add_co_u32_e64 v58, s[24:25], v61, v58
	v_addc_co_u32_e64 v59, s[24:25], v63, v59, s[24:25]
	v_mov_b32_e32 v63, v64
; %bb.129:
	s_or_b64 exec, exec, s[26:27]
	s_nop 0
	v_mov_b32_dpp v64, v63 row_shr:4 row_mask:0xf bank_mask:0xf
	v_mov_b32_dpp v61, v58 row_shr:4 row_mask:0xf bank_mask:0xf
	v_mov_b32_dpp v65, v59 row_shr:4 row_mask:0xf bank_mask:0xf
	v_cmp_lt_u32_e64 s[24:25], 3, v60
	;; [unrolled: 16-line block ×3, first 2 shown]
	s_and_saveexec_b64 s[26:27], s[24:25]
; %bb.132:
	v_cmp_eq_u32_e64 s[24:25], 0, v63
	v_cndmask_b32_e64 v61, 0, v61, s[24:25]
	v_add_u32_e32 v60, v64, v63
	v_cndmask_b32_e64 v63, 0, v65, s[24:25]
	v_add_co_u32_e64 v58, s[24:25], v61, v58
	v_addc_co_u32_e64 v59, s[24:25], v63, v59, s[24:25]
	v_mov_b32_e32 v63, v60
; %bb.133:
	s_or_b64 exec, exec, s[26:27]
	v_and_b32_e32 v65, 16, v62
	v_mov_b32_dpp v61, v63 row_bcast:15 row_mask:0xf bank_mask:0xf
	v_mov_b32_dpp v60, v58 row_bcast:15 row_mask:0xf bank_mask:0xf
	;; [unrolled: 1-line block ×3, first 2 shown]
	v_cmp_ne_u32_e64 s[24:25], 0, v65
	s_and_saveexec_b64 s[26:27], s[24:25]
; %bb.134:
	v_cmp_eq_u32_e64 s[24:25], 0, v63
	v_cndmask_b32_e64 v60, 0, v60, s[24:25]
	v_add_u32_e32 v61, v61, v63
	v_cndmask_b32_e64 v63, 0, v64, s[24:25]
	v_add_co_u32_e64 v58, s[24:25], v60, v58
	v_addc_co_u32_e64 v59, s[24:25], v63, v59, s[24:25]
	v_mov_b32_e32 v63, v61
; %bb.135:
	s_or_b64 exec, exec, s[26:27]
	s_nop 0
	v_mov_b32_dpp v61, v63 row_bcast:31 row_mask:0xf bank_mask:0xf
	v_mov_b32_dpp v60, v58 row_bcast:31 row_mask:0xf bank_mask:0xf
	v_mov_b32_dpp v64, v59 row_bcast:31 row_mask:0xf bank_mask:0xf
	v_cmp_lt_u32_e64 s[24:25], 31, v62
	s_and_saveexec_b64 s[26:27], s[24:25]
; %bb.136:
	v_cmp_eq_u32_e64 s[24:25], 0, v63
	v_cndmask_b32_e64 v60, 0, v60, s[24:25]
	v_add_u32_e32 v61, v61, v63
	v_cndmask_b32_e64 v63, 0, v64, s[24:25]
	v_add_co_u32_e64 v58, s[24:25], v60, v58
	v_addc_co_u32_e64 v59, s[24:25], v63, v59, s[24:25]
	v_mov_b32_e32 v63, v61
; %bb.137:
	s_or_b64 exec, exec, s[26:27]
	v_lshrrev_b32_e32 v60, 6, v0
	v_or_b32_e32 v61, 63, v0
	v_cmp_eq_u32_e64 s[24:25], v61, v0
	v_lshlrev_b32_e32 v64, 4, v60
	s_and_saveexec_b64 s[26:27], s[24:25]
	s_cbranch_execz .LBB1206_139
; %bb.138:
	ds_write_b32 v64, v63 offset:4128
	ds_write_b64 v64, v[58:59] offset:4136
.LBB1206_139:
	s_or_b64 exec, exec, s[26:27]
	v_cmp_gt_u32_e64 s[24:25], 4, v0
	s_waitcnt lgkmcnt(0)
	s_barrier
	s_and_saveexec_b64 s[26:27], s[24:25]
	s_cbranch_execz .LBB1206_145
; %bb.140:
	v_lshlrev_b32_e32 v65, 4, v0
	ds_read_b32 v66, v65 offset:4128
	ds_read_b64 v[60:61], v65 offset:4136
	v_and_b32_e32 v67, 3, v62
	v_cmp_ne_u32_e64 s[24:25], 0, v67
	s_waitcnt lgkmcnt(1)
	v_mov_b32_dpp v69, v66 row_shr:1 row_mask:0xf bank_mask:0xf
	s_waitcnt lgkmcnt(0)
	v_mov_b32_dpp v68, v60 row_shr:1 row_mask:0xf bank_mask:0xf
	v_mov_b32_dpp v70, v61 row_shr:1 row_mask:0xf bank_mask:0xf
	s_and_saveexec_b64 s[28:29], s[24:25]
; %bb.141:
	v_cmp_eq_u32_e64 s[24:25], 0, v66
	v_cndmask_b32_e64 v68, 0, v68, s[24:25]
	v_add_u32_e32 v69, v69, v66
	v_cndmask_b32_e64 v66, 0, v70, s[24:25]
	v_add_co_u32_e64 v60, s[24:25], v68, v60
	v_addc_co_u32_e64 v61, s[24:25], v66, v61, s[24:25]
	v_mov_b32_e32 v66, v69
; %bb.142:
	s_or_b64 exec, exec, s[28:29]
	s_nop 0
	v_mov_b32_dpp v69, v66 row_shr:2 row_mask:0xf bank_mask:0xf
	v_mov_b32_dpp v68, v60 row_shr:2 row_mask:0xf bank_mask:0xf
	;; [unrolled: 1-line block ×3, first 2 shown]
	v_cmp_lt_u32_e64 s[24:25], 1, v67
	s_and_saveexec_b64 s[28:29], s[24:25]
; %bb.143:
	v_cmp_eq_u32_e64 s[24:25], 0, v66
	v_cndmask_b32_e64 v68, 0, v68, s[24:25]
	v_add_u32_e32 v67, v69, v66
	v_cndmask_b32_e64 v66, 0, v70, s[24:25]
	v_add_co_u32_e64 v60, s[24:25], v68, v60
	v_addc_co_u32_e64 v61, s[24:25], v66, v61, s[24:25]
	v_mov_b32_e32 v66, v67
; %bb.144:
	s_or_b64 exec, exec, s[28:29]
	ds_write_b32 v65, v66 offset:4128
	ds_write_b64 v65, v[60:61] offset:4136
.LBB1206_145:
	s_or_b64 exec, exec, s[26:27]
	v_cmp_lt_u32_e64 s[24:25], 63, v0
	v_mov_b32_e32 v72, 0
	v_mov_b32_e32 v65, 0
	s_waitcnt vmcnt(0)
	v_pk_mov_b32 v[60:61], v[96:97], v[96:97] op_sel:[0,1]
	s_waitcnt lgkmcnt(0)
	s_barrier
	s_and_saveexec_b64 s[26:27], s[24:25]
	s_cbranch_execz .LBB1206_147
; %bb.146:
	ds_read_b32 v65, v64 offset:4112
	ds_read_b64 v[60:61], v64 offset:4120
	s_waitcnt lgkmcnt(1)
	v_cmp_eq_u32_e64 s[24:25], 0, v65
	v_cndmask_b32_e64 v66, 0, v96, s[24:25]
	v_cndmask_b32_e64 v64, 0, v97, s[24:25]
	s_waitcnt lgkmcnt(0)
	v_add_co_u32_e64 v60, s[24:25], v66, v60
	v_addc_co_u32_e64 v61, s[24:25], v64, v61, s[24:25]
.LBB1206_147:
	s_or_b64 exec, exec, s[26:27]
	v_cmp_eq_u32_e64 s[24:25], 0, v63
	v_cndmask_b32_e64 v66, 0, v60, s[24:25]
	v_add_u32_e32 v64, v65, v63
	v_cndmask_b32_e64 v63, 0, v61, s[24:25]
	v_add_co_u32_e64 v58, s[24:25], v66, v58
	v_addc_co_u32_e64 v59, s[24:25], v63, v59, s[24:25]
	v_add_u32_e32 v63, -1, v62
	v_and_b32_e32 v66, 64, v62
	v_cmp_lt_i32_e64 s[24:25], v63, v66
	v_cndmask_b32_e64 v63, v63, v62, s[24:25]
	v_lshlrev_b32_e32 v63, 2, v63
	ds_bpermute_b32 v64, v63, v64
	ds_bpermute_b32 v66, v63, v59
	;; [unrolled: 1-line block ×3, first 2 shown]
	v_cmp_eq_u32_e64 s[24:25], 0, v62
	v_cmp_eq_u32_e64 s[26:27], 0, v113
	s_waitcnt lgkmcnt(2)
	v_cndmask_b32_e64 v59, v64, v65, s[24:25]
	s_waitcnt lgkmcnt(1)
	v_cndmask_b32_e64 v93, v66, v61, s[24:25]
	;; [unrolled: 2-line block ×3, first 2 shown]
	v_cmp_eq_u32_e64 s[24:25], 0, v0
	v_cndmask_b32_e64 v58, v92, v96, s[24:25]
	v_cndmask_b32_e64 v60, v93, v97, s[24:25]
	;; [unrolled: 1-line block ×4, first 2 shown]
	v_add_co_u32_e64 v64, s[26:27], v58, v54
	v_addc_co_u32_e64 v65, s[26:27], v60, v55, s[26:27]
	v_cndmask_b32_e64 v55, 0, v64, s[22:23]
	v_cndmask_b32_e64 v54, 0, v65, s[22:23]
	v_add_co_u32_e64 v66, s[22:23], v55, v56
	v_addc_co_u32_e64 v67, s[22:23], v54, v57, s[22:23]
	v_cndmask_b32_e64 v55, 0, v66, s[20:21]
	v_cndmask_b32_e64 v54, 0, v67, s[20:21]
	;; [unrolled: 4-line block ×11, first 2 shown]
	v_add_co_u32_e64 v90, s[0:1], v35, v36
	v_addc_co_u32_e64 v91, s[0:1], v34, v37, s[0:1]
	v_cndmask_b32_e64 v35, 0, v90, s[2:3]
	ds_read_b32 v58, v72 offset:4176
	v_cndmask_b32_e64 v34, 0, v91, s[2:3]
	v_add_co_u32_e64 v94, s[0:1], v35, v30
	v_addc_co_u32_e64 v95, s[0:1], v34, v31, s[0:1]
	ds_read_b64 v[30:31], v72 offset:4184
	v_cndmask_b32_e32 v99, 0, v95, vcc
	v_cndmask_b32_e32 v98, 0, v94, vcc
	s_waitcnt lgkmcnt(1)
	v_cmp_eq_u32_e32 vcc, 0, v58
	v_cndmask_b32_e32 v35, 0, v96, vcc
	v_cndmask_b32_e32 v34, 0, v97, vcc
	s_waitcnt lgkmcnt(0)
	v_add_co_u32_e32 v60, vcc, v35, v30
	v_addc_co_u32_e32 v61, vcc, v34, v31, vcc
	s_and_saveexec_b64 s[0:1], s[24:25]
	s_cbranch_execz .LBB1206_149
; %bb.148:
	v_mov_b32_e32 v59, 0
	v_mov_b32_e32 v30, 2
	v_pk_mov_b32 v[92:93], v[96:97], v[96:97] op_sel:[0,1]
	global_store_dword v59, v58, s[38:39] offset:1024
	global_store_dwordx2 v59, v[60:61], s[38:39] offset:1032
	s_waitcnt vmcnt(0)
	buffer_wbinvl1_vol
	global_store_byte v59, v30, s[40:41] offset:64
.LBB1206_149:
	s_or_b64 exec, exec, s[0:1]
	v_mov_b32_e32 v62, 0
.LBB1206_150:
	s_and_b64 s[0:1], s[30:31], exec
	s_cselect_b32 s1, 0, s51
	s_cselect_b32 s0, 0, s50
	s_cmp_eq_u64 s[0:1], 0
	v_pk_mov_b32 v[30:31], 0, 0
	s_barrier
	s_cbranch_scc1 .LBB1206_152
; %bb.151:
	v_mov_b32_e32 v30, 0
	global_load_dwordx2 v[30:31], v30, s[0:1]
.LBB1206_152:
	s_waitcnt vmcnt(0)
	v_lshlrev_b64 v[34:35], 3, v[30:31]
	v_mov_b32_e32 v36, s53
	v_add_co_u32_e32 v52, vcc, s52, v34
	v_mov_b32_e32 v63, 0
	v_addc_co_u32_e32 v53, vcc, v36, v35, vcc
	v_lshlrev_b64 v[36:37], 3, v[62:63]
	v_add_co_u32_e32 v52, vcc, v52, v36
	v_addc_co_u32_e32 v53, vcc, v53, v37, vcc
	v_cmp_eq_u32_e32 vcc, 0, v113
	v_cndmask_b32_e64 v54, 1, 2, vcc
	v_cmp_eq_u32_e32 vcc, 0, v112
	v_cndmask_b32_e64 v55, 1, 2, vcc
	v_cmp_eq_u32_e32 vcc, 0, v111
	v_and_b32_e32 v54, v55, v54
	v_cndmask_b32_e64 v55, 1, 2, vcc
	v_cmp_eq_u32_e32 vcc, 0, v110
	v_add_u32_e32 v51, v59, v113
	v_and_b32_e32 v54, v54, v55
	v_cndmask_b32_e64 v55, 1, 2, vcc
	v_cmp_eq_u32_e32 vcc, 0, v109
	v_add_u32_e32 v50, v51, v112
	;; [unrolled: 4-line block ×12, first 2 shown]
	v_and_b32_e32 v54, v54, v55
	v_cndmask_b32_e64 v55, 1, 2, vcc
	s_movk_i32 s30, 0x100
	v_add_u32_e32 v39, v40, v101
	v_and_b32_e32 v54, v54, v55
	v_cmp_gt_u32_e32 vcc, s30, v58
	v_add_u32_e32 v38, v39, v100
	v_cmp_ne_u32_e64 s[28:29], 0, v113
	v_cmp_ne_u32_e64 s[26:27], 0, v112
	v_cmp_ne_u32_e64 s[24:25], 0, v111
	v_cmp_ne_u32_e64 s[22:23], 0, v110
	v_cmp_ne_u32_e64 s[20:21], 0, v109
	v_cmp_ne_u32_e64 s[18:19], 0, v108
	v_cmp_ne_u32_e64 s[16:17], 0, v107
	v_cmp_ne_u32_e64 s[14:15], 0, v106
	v_cmp_ne_u32_e64 s[12:13], 0, v105
	v_cmp_ne_u32_e64 s[10:11], 0, v104
	v_cmp_ne_u32_e64 s[8:9], 0, v103
	v_cmp_ne_u32_e64 s[6:7], 0, v102
	v_cmp_ne_u32_e64 s[4:5], 0, v101
	v_cmp_ne_u32_e64 s[2:3], 0, v100
	v_cmp_ne_u32_e64 s[0:1], 0, v1
	s_mov_b64 s[36:37], -1
	v_cmp_gt_i16_e64 s[30:31], 2, v54
	s_cbranch_vccz .LBB1206_159
; %bb.153:
	s_and_saveexec_b64 s[36:37], s[30:31]
	s_cbranch_execz .LBB1206_158
; %bb.154:
	v_cmp_ne_u16_e32 vcc, 1, v54
	s_mov_b64 s[38:39], 0
	s_and_saveexec_b64 s[30:31], vcc
	s_xor_b64 s[30:31], exec, s[30:31]
	s_cbranch_execnz .LBB1206_191
; %bb.155:
	s_andn2_saveexec_b64 s[30:31], s[30:31]
	s_cbranch_execnz .LBB1206_207
.LBB1206_156:
	s_or_b64 exec, exec, s[30:31]
	s_and_b64 exec, exec, s[38:39]
	s_cbranch_execz .LBB1206_158
.LBB1206_157:
	v_sub_u32_e32 v56, v38, v62
	v_mov_b32_e32 v57, 0
	v_lshlrev_b64 v[56:57], 3, v[56:57]
	v_add_co_u32_e32 v56, vcc, v52, v56
	v_addc_co_u32_e32 v57, vcc, v53, v57, vcc
	global_store_dwordx2 v[56:57], v[74:75], off
.LBB1206_158:
	s_or_b64 exec, exec, s[36:37]
	s_mov_b64 s[36:37], 0
.LBB1206_159:
	s_and_b64 vcc, exec, s[36:37]
	s_cbranch_vccz .LBB1206_169
; %bb.160:
	v_cmp_gt_i16_e32 vcc, 2, v54
	s_and_saveexec_b64 s[30:31], vcc
	s_cbranch_execz .LBB1206_165
; %bb.161:
	v_cmp_ne_u16_e32 vcc, 1, v54
	s_mov_b64 s[38:39], 0
	s_and_saveexec_b64 s[36:37], vcc
	s_xor_b64 s[36:37], exec, s[36:37]
	s_cbranch_execnz .LBB1206_208
; %bb.162:
	s_andn2_saveexec_b64 s[0:1], s[36:37]
	s_cbranch_execnz .LBB1206_224
.LBB1206_163:
	s_or_b64 exec, exec, s[0:1]
	s_and_b64 exec, exec, s[38:39]
	s_cbranch_execz .LBB1206_165
.LBB1206_164:
	v_sub_u32_e32 v2, v38, v62
	v_lshlrev_b32_e32 v2, 3, v2
	ds_write_b64 v2, v[74:75]
.LBB1206_165:
	s_or_b64 exec, exec, s[30:31]
	v_cmp_lt_u32_e32 vcc, v0, v58
	s_waitcnt lgkmcnt(0)
	s_barrier
	s_and_saveexec_b64 s[0:1], vcc
	s_cbranch_execz .LBB1206_168
; %bb.166:
	v_lshlrev_b32_e32 v4, 3, v0
	s_mov_b64 s[2:3], 0
	v_mov_b32_e32 v3, 0
	v_mov_b32_e32 v2, v0
.LBB1206_167:                           ; =>This Inner Loop Header: Depth=1
	v_lshlrev_b64 v[6:7], 3, v[2:3]
	ds_read_b64 v[8:9], v4
	v_add_co_u32_e32 v6, vcc, v52, v6
	v_add_u32_e32 v2, 0x100, v2
	v_addc_co_u32_e32 v7, vcc, v53, v7, vcc
	v_cmp_ge_u32_e32 vcc, v2, v58
	v_add_u32_e32 v4, 0x800, v4
	s_or_b64 s[2:3], vcc, s[2:3]
	s_waitcnt lgkmcnt(0)
	global_store_dwordx2 v[6:7], v[8:9], off
	s_andn2_b64 exec, exec, s[2:3]
	s_cbranch_execnz .LBB1206_167
.LBB1206_168:
	s_or_b64 exec, exec, s[0:1]
.LBB1206_169:
	v_add_co_u32_e32 v2, vcc, v98, v32
	s_cmpk_lg_i32 s33, 0xf00
	v_addc_co_u32_e32 v3, vcc, v99, v33, vcc
	s_cselect_b64 s[0:1], -1, 0
	v_cndmask_b32_e64 v8, 0, 1, s[46:47]
	s_and_b64 s[0:1], s[44:45], s[0:1]
	v_cmp_eq_u32_e32 vcc, 0, v0
	v_sub_u32_e32 v4, v58, v8
	v_cndmask_b32_e64 v5, 0, 1, s[0:1]
	s_and_b64 s[0:1], vcc, s[46:47]
	v_add_u32_e32 v4, v4, v5
	v_cndmask_b32_e64 v5, v113, 0, s[0:1]
	s_mul_hi_u32 s0, s33, 0x88888889
	s_lshr_b32 s0, s0, 3
	v_mad_i32_i24 v6, v0, -15, s33
	v_cmp_eq_u32_e32 vcc, s0, v0
	v_cmp_ne_u32_e64 s[0:1], 0, v6
	v_cndmask_b32_e64 v7, 1, v5, s[0:1]
	v_cmp_ne_u32_e64 s[0:1], 1, v6
	v_cndmask_b32_e64 v9, 1, v112, s[0:1]
	;; [unrolled: 2-line block ×15, first 2 shown]
	s_and_b64 vcc, s[44:45], vcc
	v_cndmask_b32_e32 v22, v1, v6, vcc
	v_cndmask_b32_e32 v21, v100, v21, vcc
	;; [unrolled: 1-line block ×15, first 2 shown]
	v_mov_b32_e32 v1, s55
	v_add_co_u32_e32 v5, vcc, s54, v34
	v_addc_co_u32_e32 v6, vcc, v1, v35, vcc
	v_add_co_u32_e32 v1, vcc, v5, v36
	v_addc_co_u32_e32 v5, vcc, v6, v37, vcc
	v_lshlrev_b32_e32 v6, 3, v8
	v_add_co_u32_e32 v6, vcc, v6, v1
	v_addc_co_u32_e32 v7, vcc, 0, v5, vcc
	v_add_co_u32_e32 v6, vcc, -8, v6
	v_addc_co_u32_e32 v7, vcc, -1, v7, vcc
	v_cmp_eq_u32_e32 vcc, 0, v23
	v_cmp_ne_u32_e64 s[28:29], 0, v23
	v_cndmask_b32_e64 v23, 1, 2, vcc
	v_cmp_eq_u32_e32 vcc, 0, v9
	v_cmp_ne_u32_e64 s[26:27], 0, v9
	v_cndmask_b32_e64 v9, 1, 2, vcc
	v_cmp_eq_u32_e32 vcc, 0, v10
	v_and_b32_e32 v9, v9, v23
	v_cmp_ne_u32_e64 s[24:25], 0, v10
	v_cndmask_b32_e64 v10, 1, 2, vcc
	v_cmp_eq_u32_e32 vcc, 0, v11
	v_and_b32_e32 v9, v9, v10
	v_cndmask_b32_e64 v10, 1, 2, vcc
	v_cmp_eq_u32_e32 vcc, 0, v12
	v_and_b32_e32 v9, v9, v10
	;; [unrolled: 3-line block ×12, first 2 shown]
	v_cndmask_b32_e64 v10, 1, 2, vcc
	s_movk_i32 s30, 0x100
	v_and_b32_e32 v9, v9, v10
	v_cmp_gt_u32_e32 vcc, s30, v4
	v_add_u32_e32 v8, v62, v8
	v_cmp_ne_u32_e64 s[22:23], 0, v11
	v_cmp_ne_u32_e64 s[20:21], 0, v12
	;; [unrolled: 1-line block ×12, first 2 shown]
	s_mov_b64 s[36:37], -1
	v_cmp_gt_i16_e64 s[30:31], 2, v9
	s_barrier
	s_cbranch_vccz .LBB1206_176
; %bb.170:
	s_and_saveexec_b64 s[36:37], s[30:31]
	s_cbranch_execz .LBB1206_175
; %bb.171:
	v_cmp_ne_u16_e32 vcc, 1, v9
	s_mov_b64 s[38:39], 0
	s_and_saveexec_b64 s[30:31], vcc
	s_xor_b64 s[30:31], exec, s[30:31]
	s_cbranch_execnz .LBB1206_225
; %bb.172:
	s_andn2_saveexec_b64 s[30:31], s[30:31]
	s_cbranch_execnz .LBB1206_241
.LBB1206_173:
	s_or_b64 exec, exec, s[30:31]
	s_and_b64 exec, exec, s[38:39]
	s_cbranch_execz .LBB1206_175
.LBB1206_174:
	v_sub_u32_e32 v10, v38, v8
	v_mov_b32_e32 v11, 0
	v_lshlrev_b64 v[10:11], 3, v[10:11]
	v_add_co_u32_e32 v10, vcc, v6, v10
	v_addc_co_u32_e32 v11, vcc, v7, v11, vcc
	global_store_dwordx2 v[10:11], v[2:3], off
.LBB1206_175:
	s_or_b64 exec, exec, s[36:37]
	s_mov_b64 s[36:37], 0
.LBB1206_176:
	s_and_b64 vcc, exec, s[36:37]
	s_cbranch_vccz .LBB1206_186
; %bb.177:
	v_cmp_gt_i16_e32 vcc, 2, v9
	s_and_saveexec_b64 s[30:31], vcc
	s_cbranch_execz .LBB1206_182
; %bb.178:
	v_cmp_ne_u16_e32 vcc, 1, v9
	s_mov_b64 s[38:39], 0
	s_and_saveexec_b64 s[36:37], vcc
	s_xor_b64 s[36:37], exec, s[36:37]
	s_cbranch_execnz .LBB1206_242
; %bb.179:
	s_andn2_saveexec_b64 s[0:1], s[36:37]
	s_cbranch_execnz .LBB1206_258
.LBB1206_180:
	s_or_b64 exec, exec, s[0:1]
	s_and_b64 exec, exec, s[38:39]
	s_cbranch_execz .LBB1206_182
.LBB1206_181:
	v_sub_u32_e32 v8, v38, v8
	v_lshlrev_b32_e32 v8, 3, v8
	ds_write_b64 v8, v[2:3]
.LBB1206_182:
	s_or_b64 exec, exec, s[30:31]
	v_cmp_lt_u32_e32 vcc, v0, v4
	s_waitcnt lgkmcnt(0)
	s_barrier
	s_and_saveexec_b64 s[0:1], vcc
	s_cbranch_execz .LBB1206_185
; %bb.183:
	v_lshlrev_b32_e32 v8, 3, v0
	s_mov_b64 s[2:3], 0
	v_mov_b32_e32 v3, 0
	v_mov_b32_e32 v2, v0
.LBB1206_184:                           ; =>This Inner Loop Header: Depth=1
	v_lshlrev_b64 v[10:11], 3, v[2:3]
	ds_read_b64 v[12:13], v8
	v_add_co_u32_e32 v10, vcc, v6, v10
	v_add_u32_e32 v2, 0x100, v2
	v_addc_co_u32_e32 v11, vcc, v7, v11, vcc
	v_cmp_ge_u32_e32 vcc, v2, v4
	v_add_u32_e32 v8, 0x800, v8
	s_or_b64 s[2:3], vcc, s[2:3]
	s_waitcnt lgkmcnt(0)
	global_store_dwordx2 v[10:11], v[12:13], off
	s_andn2_b64 exec, exec, s[2:3]
	s_cbranch_execnz .LBB1206_184
.LBB1206_185:
	s_or_b64 exec, exec, s[0:1]
.LBB1206_186:
	s_movk_i32 s0, 0xff
	v_cmp_eq_u32_e32 vcc, s0, v0
	s_and_b64 s[0:1], vcc, s[44:45]
	s_and_saveexec_b64 s[2:3], s[0:1]
	s_cbranch_execz .LBB1206_189
; %bb.187:
	v_add_co_u32_e32 v0, vcc, v58, v62
	v_addc_co_u32_e64 v3, s[0:1], 0, 0, vcc
	v_add_co_u32_e32 v2, vcc, v0, v30
	v_mov_b32_e32 v59, 0
	v_addc_co_u32_e32 v3, vcc, v3, v31, vcc
	s_cmpk_lg_i32 s33, 0xf00
	global_store_dwordx2 v59, v[2:3], s[34:35]
	s_cbranch_scc1 .LBB1206_189
; %bb.188:
	v_lshlrev_b64 v[2:3], 3, v[58:59]
	v_add_co_u32_e32 v0, vcc, v1, v2
	v_addc_co_u32_e32 v1, vcc, v5, v3, vcc
	global_store_dwordx2 v[0:1], v[60:61], off offset:-8
.LBB1206_189:
	s_endpgm
.LBB1206_190:
	s_or_b64 exec, exec, s[2:3]
	v_mov_b32_e32 v113, s4
	s_and_saveexec_b64 s[2:3], s[60:61]
	s_cbranch_execnz .LBB1206_54
	s_branch .LBB1206_55
.LBB1206_191:
	s_and_saveexec_b64 s[38:39], s[28:29]
	s_cbranch_execnz .LBB1206_259
; %bb.192:
	s_or_b64 exec, exec, s[38:39]
	s_and_saveexec_b64 s[38:39], s[26:27]
	s_cbranch_execnz .LBB1206_260
.LBB1206_193:
	s_or_b64 exec, exec, s[38:39]
	s_and_saveexec_b64 s[38:39], s[24:25]
	s_cbranch_execnz .LBB1206_261
.LBB1206_194:
	s_or_b64 exec, exec, s[38:39]
	s_and_saveexec_b64 s[38:39], s[22:23]
	s_cbranch_execnz .LBB1206_262
.LBB1206_195:
	s_or_b64 exec, exec, s[38:39]
	s_and_saveexec_b64 s[38:39], s[20:21]
	s_cbranch_execnz .LBB1206_263
.LBB1206_196:
	s_or_b64 exec, exec, s[38:39]
	s_and_saveexec_b64 s[38:39], s[18:19]
	s_cbranch_execnz .LBB1206_264
.LBB1206_197:
	s_or_b64 exec, exec, s[38:39]
	s_and_saveexec_b64 s[38:39], s[16:17]
	s_cbranch_execnz .LBB1206_265
.LBB1206_198:
	s_or_b64 exec, exec, s[38:39]
	s_and_saveexec_b64 s[38:39], s[14:15]
	s_cbranch_execnz .LBB1206_266
.LBB1206_199:
	s_or_b64 exec, exec, s[38:39]
	s_and_saveexec_b64 s[38:39], s[12:13]
	s_cbranch_execnz .LBB1206_267
.LBB1206_200:
	s_or_b64 exec, exec, s[38:39]
	s_and_saveexec_b64 s[38:39], s[10:11]
	s_cbranch_execnz .LBB1206_268
.LBB1206_201:
	s_or_b64 exec, exec, s[38:39]
	s_and_saveexec_b64 s[38:39], s[8:9]
	s_cbranch_execnz .LBB1206_269
.LBB1206_202:
	s_or_b64 exec, exec, s[38:39]
	s_and_saveexec_b64 s[38:39], s[6:7]
	s_cbranch_execnz .LBB1206_270
.LBB1206_203:
	s_or_b64 exec, exec, s[38:39]
	s_and_saveexec_b64 s[38:39], s[4:5]
	s_cbranch_execnz .LBB1206_271
.LBB1206_204:
	s_or_b64 exec, exec, s[38:39]
	s_and_saveexec_b64 s[38:39], s[2:3]
	s_cbranch_execz .LBB1206_206
.LBB1206_205:
	v_sub_u32_e32 v56, v39, v62
	v_mov_b32_e32 v57, 0
	v_lshlrev_b64 v[56:57], 3, v[56:57]
	v_add_co_u32_e32 v56, vcc, v52, v56
	v_addc_co_u32_e32 v57, vcc, v53, v57, vcc
	global_store_dwordx2 v[56:57], v[4:5], off
.LBB1206_206:
	s_or_b64 exec, exec, s[38:39]
	s_and_b64 s[38:39], s[0:1], exec
	s_andn2_saveexec_b64 s[30:31], s[30:31]
	s_cbranch_execz .LBB1206_156
.LBB1206_207:
	v_sub_u32_e32 v56, v59, v62
	v_mov_b32_e32 v57, 0
	v_lshlrev_b64 v[72:73], 3, v[56:57]
	v_add_co_u32_e32 v72, vcc, v52, v72
	v_addc_co_u32_e32 v73, vcc, v53, v73, vcc
	v_sub_u32_e32 v56, v51, v62
	global_store_dwordx2 v[72:73], v[26:27], off
	v_lshlrev_b64 v[72:73], 3, v[56:57]
	v_add_co_u32_e32 v72, vcc, v52, v72
	v_addc_co_u32_e32 v73, vcc, v53, v73, vcc
	v_sub_u32_e32 v56, v50, v62
	global_store_dwordx2 v[72:73], v[28:29], off
	;; [unrolled: 5-line block ×12, first 2 shown]
	v_lshlrev_b64 v[72:73], 3, v[56:57]
	v_add_co_u32_e32 v72, vcc, v52, v72
	v_sub_u32_e32 v56, v39, v62
	v_addc_co_u32_e32 v73, vcc, v53, v73, vcc
	v_lshlrev_b64 v[56:57], 3, v[56:57]
	v_add_co_u32_e32 v56, vcc, v52, v56
	v_addc_co_u32_e32 v57, vcc, v53, v57, vcc
	s_or_b64 s[38:39], s[38:39], exec
	global_store_dwordx2 v[72:73], v[2:3], off
	global_store_dwordx2 v[56:57], v[4:5], off
	s_or_b64 exec, exec, s[30:31]
	s_and_b64 exec, exec, s[38:39]
	s_cbranch_execnz .LBB1206_157
	s_branch .LBB1206_158
.LBB1206_208:
	s_and_saveexec_b64 s[38:39], s[28:29]
	s_cbranch_execnz .LBB1206_272
; %bb.209:
	s_or_b64 exec, exec, s[38:39]
	s_and_saveexec_b64 s[28:29], s[26:27]
	s_cbranch_execnz .LBB1206_273
.LBB1206_210:
	s_or_b64 exec, exec, s[28:29]
	s_and_saveexec_b64 s[26:27], s[24:25]
	s_cbranch_execnz .LBB1206_274
.LBB1206_211:
	s_or_b64 exec, exec, s[26:27]
	s_and_saveexec_b64 s[24:25], s[22:23]
	s_cbranch_execnz .LBB1206_275
.LBB1206_212:
	s_or_b64 exec, exec, s[24:25]
	s_and_saveexec_b64 s[22:23], s[20:21]
	s_cbranch_execnz .LBB1206_276
.LBB1206_213:
	s_or_b64 exec, exec, s[22:23]
	s_and_saveexec_b64 s[20:21], s[18:19]
	s_cbranch_execnz .LBB1206_277
.LBB1206_214:
	s_or_b64 exec, exec, s[20:21]
	s_and_saveexec_b64 s[18:19], s[16:17]
	s_cbranch_execnz .LBB1206_278
.LBB1206_215:
	s_or_b64 exec, exec, s[18:19]
	s_and_saveexec_b64 s[16:17], s[14:15]
	s_cbranch_execnz .LBB1206_279
.LBB1206_216:
	s_or_b64 exec, exec, s[16:17]
	s_and_saveexec_b64 s[14:15], s[12:13]
	s_cbranch_execnz .LBB1206_280
.LBB1206_217:
	s_or_b64 exec, exec, s[14:15]
	s_and_saveexec_b64 s[12:13], s[10:11]
	s_cbranch_execnz .LBB1206_281
.LBB1206_218:
	s_or_b64 exec, exec, s[12:13]
	s_and_saveexec_b64 s[10:11], s[8:9]
	s_cbranch_execnz .LBB1206_282
.LBB1206_219:
	s_or_b64 exec, exec, s[10:11]
	s_and_saveexec_b64 s[8:9], s[6:7]
	s_cbranch_execnz .LBB1206_283
.LBB1206_220:
	s_or_b64 exec, exec, s[8:9]
	s_and_saveexec_b64 s[6:7], s[4:5]
	s_cbranch_execnz .LBB1206_284
.LBB1206_221:
	s_or_b64 exec, exec, s[6:7]
	s_and_saveexec_b64 s[4:5], s[2:3]
	s_cbranch_execz .LBB1206_223
.LBB1206_222:
	v_sub_u32_e32 v2, v39, v62
	v_lshlrev_b32_e32 v2, 3, v2
	ds_write_b64 v2, v[4:5]
.LBB1206_223:
	s_or_b64 exec, exec, s[4:5]
	s_and_b64 s[38:39], s[0:1], exec
                                        ; implicit-def: $vgpr2_vgpr3
                                        ; implicit-def: $vgpr6_vgpr7
                                        ; implicit-def: $vgpr10_vgpr11
                                        ; implicit-def: $vgpr14_vgpr15
                                        ; implicit-def: $vgpr18_vgpr19
                                        ; implicit-def: $vgpr22_vgpr23
                                        ; implicit-def: $vgpr26_vgpr27
	s_andn2_saveexec_b64 s[0:1], s[36:37]
	s_cbranch_execz .LBB1206_163
.LBB1206_224:
	v_sub_u32_e32 v54, v59, v62
	v_lshlrev_b32_e32 v54, 3, v54
	ds_write_b64 v54, v[26:27]
	v_sub_u32_e32 v26, v51, v62
	v_lshlrev_b32_e32 v26, 3, v26
	ds_write_b64 v26, v[28:29]
	;; [unrolled: 3-line block ×13, first 2 shown]
	v_sub_u32_e32 v2, v39, v62
	v_lshlrev_b32_e32 v2, 3, v2
	s_or_b64 s[38:39], s[38:39], exec
	ds_write_b64 v2, v[4:5]
	s_or_b64 exec, exec, s[0:1]
	s_and_b64 exec, exec, s[38:39]
	s_cbranch_execnz .LBB1206_164
	s_branch .LBB1206_165
.LBB1206_225:
	s_and_saveexec_b64 s[38:39], s[28:29]
	s_cbranch_execnz .LBB1206_285
; %bb.226:
	s_or_b64 exec, exec, s[38:39]
	s_and_saveexec_b64 s[38:39], s[26:27]
	s_cbranch_execnz .LBB1206_286
.LBB1206_227:
	s_or_b64 exec, exec, s[38:39]
	s_and_saveexec_b64 s[38:39], s[24:25]
	s_cbranch_execnz .LBB1206_287
.LBB1206_228:
	s_or_b64 exec, exec, s[38:39]
	s_and_saveexec_b64 s[38:39], s[22:23]
	s_cbranch_execnz .LBB1206_288
.LBB1206_229:
	s_or_b64 exec, exec, s[38:39]
	s_and_saveexec_b64 s[38:39], s[20:21]
	s_cbranch_execnz .LBB1206_289
.LBB1206_230:
	s_or_b64 exec, exec, s[38:39]
	s_and_saveexec_b64 s[38:39], s[18:19]
	s_cbranch_execnz .LBB1206_290
.LBB1206_231:
	s_or_b64 exec, exec, s[38:39]
	s_and_saveexec_b64 s[38:39], s[16:17]
	s_cbranch_execnz .LBB1206_291
.LBB1206_232:
	s_or_b64 exec, exec, s[38:39]
	s_and_saveexec_b64 s[38:39], s[14:15]
	s_cbranch_execnz .LBB1206_292
.LBB1206_233:
	s_or_b64 exec, exec, s[38:39]
	s_and_saveexec_b64 s[38:39], s[12:13]
	s_cbranch_execnz .LBB1206_293
.LBB1206_234:
	s_or_b64 exec, exec, s[38:39]
	s_and_saveexec_b64 s[38:39], s[10:11]
	s_cbranch_execnz .LBB1206_294
.LBB1206_235:
	s_or_b64 exec, exec, s[38:39]
	s_and_saveexec_b64 s[38:39], s[8:9]
	s_cbranch_execnz .LBB1206_295
.LBB1206_236:
	s_or_b64 exec, exec, s[38:39]
	s_and_saveexec_b64 s[38:39], s[6:7]
	s_cbranch_execnz .LBB1206_296
.LBB1206_237:
	s_or_b64 exec, exec, s[38:39]
	s_and_saveexec_b64 s[38:39], s[4:5]
	s_cbranch_execnz .LBB1206_297
.LBB1206_238:
	s_or_b64 exec, exec, s[38:39]
	s_and_saveexec_b64 s[38:39], s[2:3]
	s_cbranch_execz .LBB1206_240
.LBB1206_239:
	v_sub_u32_e32 v10, v39, v8
	v_mov_b32_e32 v11, 0
	v_lshlrev_b64 v[10:11], 3, v[10:11]
	v_add_co_u32_e32 v10, vcc, v6, v10
	v_addc_co_u32_e32 v11, vcc, v7, v11, vcc
	global_store_dwordx2 v[10:11], v[94:95], off
.LBB1206_240:
	s_or_b64 exec, exec, s[38:39]
	s_and_b64 s[38:39], s[0:1], exec
	s_andn2_saveexec_b64 s[30:31], s[30:31]
	s_cbranch_execz .LBB1206_173
.LBB1206_241:
	v_sub_u32_e32 v10, v59, v8
	v_mov_b32_e32 v11, 0
	v_lshlrev_b64 v[12:13], 3, v[10:11]
	v_add_co_u32_e32 v12, vcc, v6, v12
	v_addc_co_u32_e32 v13, vcc, v7, v13, vcc
	v_sub_u32_e32 v10, v51, v8
	global_store_dwordx2 v[12:13], v[92:93], off
	v_lshlrev_b64 v[12:13], 3, v[10:11]
	v_add_co_u32_e32 v12, vcc, v6, v12
	v_addc_co_u32_e32 v13, vcc, v7, v13, vcc
	v_sub_u32_e32 v10, v50, v8
	global_store_dwordx2 v[12:13], v[64:65], off
	;; [unrolled: 5-line block ×12, first 2 shown]
	v_lshlrev_b64 v[12:13], 3, v[10:11]
	v_add_co_u32_e32 v12, vcc, v6, v12
	v_sub_u32_e32 v10, v39, v8
	v_addc_co_u32_e32 v13, vcc, v7, v13, vcc
	v_lshlrev_b64 v[10:11], 3, v[10:11]
	v_add_co_u32_e32 v10, vcc, v6, v10
	v_addc_co_u32_e32 v11, vcc, v7, v11, vcc
	s_or_b64 s[38:39], s[38:39], exec
	global_store_dwordx2 v[12:13], v[90:91], off
	global_store_dwordx2 v[10:11], v[94:95], off
	s_or_b64 exec, exec, s[30:31]
	s_and_b64 exec, exec, s[38:39]
	s_cbranch_execnz .LBB1206_174
	s_branch .LBB1206_175
.LBB1206_242:
	s_and_saveexec_b64 s[38:39], s[28:29]
	s_cbranch_execnz .LBB1206_298
; %bb.243:
	s_or_b64 exec, exec, s[38:39]
	s_and_saveexec_b64 s[28:29], s[26:27]
	s_cbranch_execnz .LBB1206_299
.LBB1206_244:
	s_or_b64 exec, exec, s[28:29]
	s_and_saveexec_b64 s[26:27], s[24:25]
	s_cbranch_execnz .LBB1206_300
.LBB1206_245:
	s_or_b64 exec, exec, s[26:27]
	s_and_saveexec_b64 s[24:25], s[22:23]
	s_cbranch_execnz .LBB1206_301
.LBB1206_246:
	s_or_b64 exec, exec, s[24:25]
	s_and_saveexec_b64 s[22:23], s[20:21]
	s_cbranch_execnz .LBB1206_302
.LBB1206_247:
	s_or_b64 exec, exec, s[22:23]
	s_and_saveexec_b64 s[20:21], s[18:19]
	s_cbranch_execnz .LBB1206_303
.LBB1206_248:
	s_or_b64 exec, exec, s[20:21]
	s_and_saveexec_b64 s[18:19], s[16:17]
	s_cbranch_execnz .LBB1206_304
.LBB1206_249:
	s_or_b64 exec, exec, s[18:19]
	s_and_saveexec_b64 s[16:17], s[14:15]
	s_cbranch_execnz .LBB1206_305
.LBB1206_250:
	s_or_b64 exec, exec, s[16:17]
	s_and_saveexec_b64 s[14:15], s[12:13]
	s_cbranch_execnz .LBB1206_306
.LBB1206_251:
	s_or_b64 exec, exec, s[14:15]
	s_and_saveexec_b64 s[12:13], s[10:11]
	s_cbranch_execnz .LBB1206_307
.LBB1206_252:
	s_or_b64 exec, exec, s[12:13]
	s_and_saveexec_b64 s[10:11], s[8:9]
	s_cbranch_execnz .LBB1206_308
.LBB1206_253:
	s_or_b64 exec, exec, s[10:11]
	s_and_saveexec_b64 s[8:9], s[6:7]
	s_cbranch_execnz .LBB1206_309
.LBB1206_254:
	s_or_b64 exec, exec, s[8:9]
	s_and_saveexec_b64 s[6:7], s[4:5]
	s_cbranch_execnz .LBB1206_310
.LBB1206_255:
	s_or_b64 exec, exec, s[6:7]
	s_and_saveexec_b64 s[4:5], s[2:3]
	s_cbranch_execz .LBB1206_257
.LBB1206_256:
	v_sub_u32_e32 v9, v39, v8
	v_lshlrev_b32_e32 v9, 3, v9
	ds_write_b64 v9, v[94:95]
.LBB1206_257:
	s_or_b64 exec, exec, s[4:5]
	s_and_b64 s[38:39], s[0:1], exec
                                        ; implicit-def: $vgpr92_vgpr93
                                        ; implicit-def: $vgpr64_vgpr65
                                        ; implicit-def: $vgpr66_vgpr67
                                        ; implicit-def: $vgpr68_vgpr69
                                        ; implicit-def: $vgpr70_vgpr71
                                        ; implicit-def: $vgpr76_vgpr77
                                        ; implicit-def: $vgpr78_vgpr79
                                        ; implicit-def: $vgpr80_vgpr81
                                        ; implicit-def: $vgpr82_vgpr83
                                        ; implicit-def: $vgpr84_vgpr85
                                        ; implicit-def: $vgpr86_vgpr87
                                        ; implicit-def: $vgpr88_vgpr89
                                        ; implicit-def: $vgpr90_vgpr91
                                        ; implicit-def: $vgpr94_vgpr95
                                        ; implicit-def: $vgpr59
                                        ; implicit-def: $vgpr51
                                        ; implicit-def: $vgpr50
                                        ; implicit-def: $vgpr49
                                        ; implicit-def: $vgpr48
                                        ; implicit-def: $vgpr47
                                        ; implicit-def: $vgpr46
                                        ; implicit-def: $vgpr45
                                        ; implicit-def: $vgpr44
                                        ; implicit-def: $vgpr43
                                        ; implicit-def: $vgpr42
                                        ; implicit-def: $vgpr41
                                        ; implicit-def: $vgpr40
                                        ; implicit-def: $vgpr39
	s_andn2_saveexec_b64 s[0:1], s[36:37]
	s_cbranch_execz .LBB1206_180
.LBB1206_258:
	v_sub_u32_e32 v9, v59, v8
	v_lshlrev_b32_e32 v9, 3, v9
	ds_write_b64 v9, v[92:93]
	v_sub_u32_e32 v9, v51, v8
	v_lshlrev_b32_e32 v9, 3, v9
	ds_write_b64 v9, v[64:65]
	;; [unrolled: 3-line block ×13, first 2 shown]
	v_sub_u32_e32 v9, v39, v8
	v_lshlrev_b32_e32 v9, 3, v9
	s_or_b64 s[38:39], s[38:39], exec
	ds_write_b64 v9, v[94:95]
	s_or_b64 exec, exec, s[0:1]
	s_and_b64 exec, exec, s[38:39]
	s_cbranch_execnz .LBB1206_181
	s_branch .LBB1206_182
.LBB1206_259:
	v_sub_u32_e32 v56, v59, v62
	v_mov_b32_e32 v57, 0
	v_lshlrev_b64 v[56:57], 3, v[56:57]
	v_add_co_u32_e32 v56, vcc, v52, v56
	v_addc_co_u32_e32 v57, vcc, v53, v57, vcc
	global_store_dwordx2 v[56:57], v[26:27], off
	s_or_b64 exec, exec, s[38:39]
	s_and_saveexec_b64 s[38:39], s[26:27]
	s_cbranch_execz .LBB1206_193
.LBB1206_260:
	v_sub_u32_e32 v56, v51, v62
	v_mov_b32_e32 v57, 0
	v_lshlrev_b64 v[56:57], 3, v[56:57]
	v_add_co_u32_e32 v56, vcc, v52, v56
	v_addc_co_u32_e32 v57, vcc, v53, v57, vcc
	global_store_dwordx2 v[56:57], v[28:29], off
	s_or_b64 exec, exec, s[38:39]
	s_and_saveexec_b64 s[38:39], s[24:25]
	s_cbranch_execz .LBB1206_194
.LBB1206_261:
	v_sub_u32_e32 v56, v50, v62
	v_mov_b32_e32 v57, 0
	v_lshlrev_b64 v[56:57], 3, v[56:57]
	v_add_co_u32_e32 v56, vcc, v52, v56
	v_addc_co_u32_e32 v57, vcc, v53, v57, vcc
	global_store_dwordx2 v[56:57], v[22:23], off
	s_or_b64 exec, exec, s[38:39]
	s_and_saveexec_b64 s[38:39], s[22:23]
	s_cbranch_execz .LBB1206_195
.LBB1206_262:
	v_sub_u32_e32 v56, v49, v62
	v_mov_b32_e32 v57, 0
	v_lshlrev_b64 v[56:57], 3, v[56:57]
	v_add_co_u32_e32 v56, vcc, v52, v56
	v_addc_co_u32_e32 v57, vcc, v53, v57, vcc
	global_store_dwordx2 v[56:57], v[24:25], off
	s_or_b64 exec, exec, s[38:39]
	s_and_saveexec_b64 s[38:39], s[20:21]
	s_cbranch_execz .LBB1206_196
.LBB1206_263:
	v_sub_u32_e32 v56, v48, v62
	v_mov_b32_e32 v57, 0
	v_lshlrev_b64 v[56:57], 3, v[56:57]
	v_add_co_u32_e32 v56, vcc, v52, v56
	v_addc_co_u32_e32 v57, vcc, v53, v57, vcc
	global_store_dwordx2 v[56:57], v[18:19], off
	s_or_b64 exec, exec, s[38:39]
	s_and_saveexec_b64 s[38:39], s[18:19]
	s_cbranch_execz .LBB1206_197
.LBB1206_264:
	v_sub_u32_e32 v56, v47, v62
	v_mov_b32_e32 v57, 0
	v_lshlrev_b64 v[56:57], 3, v[56:57]
	v_add_co_u32_e32 v56, vcc, v52, v56
	v_addc_co_u32_e32 v57, vcc, v53, v57, vcc
	global_store_dwordx2 v[56:57], v[20:21], off
	s_or_b64 exec, exec, s[38:39]
	s_and_saveexec_b64 s[38:39], s[16:17]
	s_cbranch_execz .LBB1206_198
.LBB1206_265:
	v_sub_u32_e32 v56, v46, v62
	v_mov_b32_e32 v57, 0
	v_lshlrev_b64 v[56:57], 3, v[56:57]
	v_add_co_u32_e32 v56, vcc, v52, v56
	v_addc_co_u32_e32 v57, vcc, v53, v57, vcc
	global_store_dwordx2 v[56:57], v[14:15], off
	s_or_b64 exec, exec, s[38:39]
	s_and_saveexec_b64 s[38:39], s[14:15]
	s_cbranch_execz .LBB1206_199
.LBB1206_266:
	v_sub_u32_e32 v56, v45, v62
	v_mov_b32_e32 v57, 0
	v_lshlrev_b64 v[56:57], 3, v[56:57]
	v_add_co_u32_e32 v56, vcc, v52, v56
	v_addc_co_u32_e32 v57, vcc, v53, v57, vcc
	global_store_dwordx2 v[56:57], v[16:17], off
	s_or_b64 exec, exec, s[38:39]
	s_and_saveexec_b64 s[38:39], s[12:13]
	s_cbranch_execz .LBB1206_200
.LBB1206_267:
	v_sub_u32_e32 v56, v44, v62
	v_mov_b32_e32 v57, 0
	v_lshlrev_b64 v[56:57], 3, v[56:57]
	v_add_co_u32_e32 v56, vcc, v52, v56
	v_addc_co_u32_e32 v57, vcc, v53, v57, vcc
	global_store_dwordx2 v[56:57], v[10:11], off
	s_or_b64 exec, exec, s[38:39]
	s_and_saveexec_b64 s[38:39], s[10:11]
	s_cbranch_execz .LBB1206_201
.LBB1206_268:
	v_sub_u32_e32 v56, v43, v62
	v_mov_b32_e32 v57, 0
	v_lshlrev_b64 v[56:57], 3, v[56:57]
	v_add_co_u32_e32 v56, vcc, v52, v56
	v_addc_co_u32_e32 v57, vcc, v53, v57, vcc
	global_store_dwordx2 v[56:57], v[12:13], off
	s_or_b64 exec, exec, s[38:39]
	s_and_saveexec_b64 s[38:39], s[8:9]
	s_cbranch_execz .LBB1206_202
.LBB1206_269:
	v_sub_u32_e32 v56, v42, v62
	v_mov_b32_e32 v57, 0
	v_lshlrev_b64 v[56:57], 3, v[56:57]
	v_add_co_u32_e32 v56, vcc, v52, v56
	v_addc_co_u32_e32 v57, vcc, v53, v57, vcc
	global_store_dwordx2 v[56:57], v[6:7], off
	s_or_b64 exec, exec, s[38:39]
	s_and_saveexec_b64 s[38:39], s[6:7]
	s_cbranch_execz .LBB1206_203
.LBB1206_270:
	v_sub_u32_e32 v56, v41, v62
	v_mov_b32_e32 v57, 0
	v_lshlrev_b64 v[56:57], 3, v[56:57]
	v_add_co_u32_e32 v56, vcc, v52, v56
	v_addc_co_u32_e32 v57, vcc, v53, v57, vcc
	global_store_dwordx2 v[56:57], v[8:9], off
	s_or_b64 exec, exec, s[38:39]
	s_and_saveexec_b64 s[38:39], s[4:5]
	s_cbranch_execz .LBB1206_204
.LBB1206_271:
	v_sub_u32_e32 v56, v40, v62
	v_mov_b32_e32 v57, 0
	v_lshlrev_b64 v[56:57], 3, v[56:57]
	v_add_co_u32_e32 v56, vcc, v52, v56
	v_addc_co_u32_e32 v57, vcc, v53, v57, vcc
	global_store_dwordx2 v[56:57], v[2:3], off
	s_or_b64 exec, exec, s[38:39]
	s_and_saveexec_b64 s[38:39], s[2:3]
	s_cbranch_execnz .LBB1206_205
	s_branch .LBB1206_206
.LBB1206_272:
	v_sub_u32_e32 v54, v59, v62
	v_lshlrev_b32_e32 v54, 3, v54
	ds_write_b64 v54, v[26:27]
	s_or_b64 exec, exec, s[38:39]
	s_and_saveexec_b64 s[28:29], s[26:27]
	s_cbranch_execz .LBB1206_210
.LBB1206_273:
	v_sub_u32_e32 v26, v51, v62
	v_lshlrev_b32_e32 v26, 3, v26
	ds_write_b64 v26, v[28:29]
	s_or_b64 exec, exec, s[28:29]
	s_and_saveexec_b64 s[26:27], s[24:25]
	s_cbranch_execz .LBB1206_211
.LBB1206_274:
	v_sub_u32_e32 v26, v50, v62
	v_lshlrev_b32_e32 v26, 3, v26
	ds_write_b64 v26, v[22:23]
	s_or_b64 exec, exec, s[26:27]
	s_and_saveexec_b64 s[24:25], s[22:23]
	s_cbranch_execz .LBB1206_212
.LBB1206_275:
	v_sub_u32_e32 v22, v49, v62
	v_lshlrev_b32_e32 v22, 3, v22
	ds_write_b64 v22, v[24:25]
	s_or_b64 exec, exec, s[24:25]
	s_and_saveexec_b64 s[22:23], s[20:21]
	s_cbranch_execz .LBB1206_213
.LBB1206_276:
	v_sub_u32_e32 v22, v48, v62
	v_lshlrev_b32_e32 v22, 3, v22
	ds_write_b64 v22, v[18:19]
	s_or_b64 exec, exec, s[22:23]
	s_and_saveexec_b64 s[20:21], s[18:19]
	s_cbranch_execz .LBB1206_214
.LBB1206_277:
	v_sub_u32_e32 v18, v47, v62
	v_lshlrev_b32_e32 v18, 3, v18
	ds_write_b64 v18, v[20:21]
	s_or_b64 exec, exec, s[20:21]
	s_and_saveexec_b64 s[18:19], s[16:17]
	s_cbranch_execz .LBB1206_215
.LBB1206_278:
	v_sub_u32_e32 v18, v46, v62
	v_lshlrev_b32_e32 v18, 3, v18
	ds_write_b64 v18, v[14:15]
	s_or_b64 exec, exec, s[18:19]
	s_and_saveexec_b64 s[16:17], s[14:15]
	s_cbranch_execz .LBB1206_216
.LBB1206_279:
	v_sub_u32_e32 v14, v45, v62
	v_lshlrev_b32_e32 v14, 3, v14
	ds_write_b64 v14, v[16:17]
	s_or_b64 exec, exec, s[16:17]
	s_and_saveexec_b64 s[14:15], s[12:13]
	s_cbranch_execz .LBB1206_217
.LBB1206_280:
	v_sub_u32_e32 v14, v44, v62
	v_lshlrev_b32_e32 v14, 3, v14
	ds_write_b64 v14, v[10:11]
	s_or_b64 exec, exec, s[14:15]
	s_and_saveexec_b64 s[12:13], s[10:11]
	s_cbranch_execz .LBB1206_218
.LBB1206_281:
	v_sub_u32_e32 v10, v43, v62
	v_lshlrev_b32_e32 v10, 3, v10
	ds_write_b64 v10, v[12:13]
	s_or_b64 exec, exec, s[12:13]
	s_and_saveexec_b64 s[10:11], s[8:9]
	s_cbranch_execz .LBB1206_219
.LBB1206_282:
	v_sub_u32_e32 v10, v42, v62
	v_lshlrev_b32_e32 v10, 3, v10
	ds_write_b64 v10, v[6:7]
	s_or_b64 exec, exec, s[10:11]
	s_and_saveexec_b64 s[8:9], s[6:7]
	s_cbranch_execz .LBB1206_220
.LBB1206_283:
	v_sub_u32_e32 v6, v41, v62
	v_lshlrev_b32_e32 v6, 3, v6
	ds_write_b64 v6, v[8:9]
	s_or_b64 exec, exec, s[8:9]
	s_and_saveexec_b64 s[6:7], s[4:5]
	s_cbranch_execz .LBB1206_221
.LBB1206_284:
	v_sub_u32_e32 v6, v40, v62
	v_lshlrev_b32_e32 v6, 3, v6
	ds_write_b64 v6, v[2:3]
	s_or_b64 exec, exec, s[6:7]
	s_and_saveexec_b64 s[4:5], s[2:3]
	s_cbranch_execnz .LBB1206_222
	s_branch .LBB1206_223
.LBB1206_285:
	v_sub_u32_e32 v10, v59, v8
	v_mov_b32_e32 v11, 0
	v_lshlrev_b64 v[10:11], 3, v[10:11]
	v_add_co_u32_e32 v10, vcc, v6, v10
	v_addc_co_u32_e32 v11, vcc, v7, v11, vcc
	global_store_dwordx2 v[10:11], v[92:93], off
	s_or_b64 exec, exec, s[38:39]
	s_and_saveexec_b64 s[38:39], s[26:27]
	s_cbranch_execz .LBB1206_227
.LBB1206_286:
	v_sub_u32_e32 v10, v51, v8
	v_mov_b32_e32 v11, 0
	v_lshlrev_b64 v[10:11], 3, v[10:11]
	v_add_co_u32_e32 v10, vcc, v6, v10
	v_addc_co_u32_e32 v11, vcc, v7, v11, vcc
	global_store_dwordx2 v[10:11], v[64:65], off
	s_or_b64 exec, exec, s[38:39]
	s_and_saveexec_b64 s[38:39], s[24:25]
	s_cbranch_execz .LBB1206_228
.LBB1206_287:
	v_sub_u32_e32 v10, v50, v8
	v_mov_b32_e32 v11, 0
	v_lshlrev_b64 v[10:11], 3, v[10:11]
	v_add_co_u32_e32 v10, vcc, v6, v10
	v_addc_co_u32_e32 v11, vcc, v7, v11, vcc
	global_store_dwordx2 v[10:11], v[66:67], off
	s_or_b64 exec, exec, s[38:39]
	s_and_saveexec_b64 s[38:39], s[22:23]
	s_cbranch_execz .LBB1206_229
.LBB1206_288:
	v_sub_u32_e32 v10, v49, v8
	v_mov_b32_e32 v11, 0
	v_lshlrev_b64 v[10:11], 3, v[10:11]
	v_add_co_u32_e32 v10, vcc, v6, v10
	v_addc_co_u32_e32 v11, vcc, v7, v11, vcc
	global_store_dwordx2 v[10:11], v[68:69], off
	s_or_b64 exec, exec, s[38:39]
	s_and_saveexec_b64 s[38:39], s[20:21]
	s_cbranch_execz .LBB1206_230
.LBB1206_289:
	v_sub_u32_e32 v10, v48, v8
	v_mov_b32_e32 v11, 0
	v_lshlrev_b64 v[10:11], 3, v[10:11]
	v_add_co_u32_e32 v10, vcc, v6, v10
	v_addc_co_u32_e32 v11, vcc, v7, v11, vcc
	global_store_dwordx2 v[10:11], v[70:71], off
	s_or_b64 exec, exec, s[38:39]
	s_and_saveexec_b64 s[38:39], s[18:19]
	s_cbranch_execz .LBB1206_231
.LBB1206_290:
	v_sub_u32_e32 v10, v47, v8
	v_mov_b32_e32 v11, 0
	v_lshlrev_b64 v[10:11], 3, v[10:11]
	v_add_co_u32_e32 v10, vcc, v6, v10
	v_addc_co_u32_e32 v11, vcc, v7, v11, vcc
	global_store_dwordx2 v[10:11], v[76:77], off
	s_or_b64 exec, exec, s[38:39]
	s_and_saveexec_b64 s[38:39], s[16:17]
	s_cbranch_execz .LBB1206_232
.LBB1206_291:
	v_sub_u32_e32 v10, v46, v8
	v_mov_b32_e32 v11, 0
	v_lshlrev_b64 v[10:11], 3, v[10:11]
	v_add_co_u32_e32 v10, vcc, v6, v10
	v_addc_co_u32_e32 v11, vcc, v7, v11, vcc
	global_store_dwordx2 v[10:11], v[78:79], off
	s_or_b64 exec, exec, s[38:39]
	s_and_saveexec_b64 s[38:39], s[14:15]
	s_cbranch_execz .LBB1206_233
.LBB1206_292:
	v_sub_u32_e32 v10, v45, v8
	v_mov_b32_e32 v11, 0
	v_lshlrev_b64 v[10:11], 3, v[10:11]
	v_add_co_u32_e32 v10, vcc, v6, v10
	v_addc_co_u32_e32 v11, vcc, v7, v11, vcc
	global_store_dwordx2 v[10:11], v[80:81], off
	s_or_b64 exec, exec, s[38:39]
	s_and_saveexec_b64 s[38:39], s[12:13]
	s_cbranch_execz .LBB1206_234
.LBB1206_293:
	v_sub_u32_e32 v10, v44, v8
	v_mov_b32_e32 v11, 0
	v_lshlrev_b64 v[10:11], 3, v[10:11]
	v_add_co_u32_e32 v10, vcc, v6, v10
	v_addc_co_u32_e32 v11, vcc, v7, v11, vcc
	global_store_dwordx2 v[10:11], v[82:83], off
	s_or_b64 exec, exec, s[38:39]
	s_and_saveexec_b64 s[38:39], s[10:11]
	s_cbranch_execz .LBB1206_235
.LBB1206_294:
	v_sub_u32_e32 v10, v43, v8
	v_mov_b32_e32 v11, 0
	v_lshlrev_b64 v[10:11], 3, v[10:11]
	v_add_co_u32_e32 v10, vcc, v6, v10
	v_addc_co_u32_e32 v11, vcc, v7, v11, vcc
	global_store_dwordx2 v[10:11], v[84:85], off
	s_or_b64 exec, exec, s[38:39]
	s_and_saveexec_b64 s[38:39], s[8:9]
	s_cbranch_execz .LBB1206_236
.LBB1206_295:
	v_sub_u32_e32 v10, v42, v8
	v_mov_b32_e32 v11, 0
	v_lshlrev_b64 v[10:11], 3, v[10:11]
	v_add_co_u32_e32 v10, vcc, v6, v10
	v_addc_co_u32_e32 v11, vcc, v7, v11, vcc
	global_store_dwordx2 v[10:11], v[86:87], off
	s_or_b64 exec, exec, s[38:39]
	s_and_saveexec_b64 s[38:39], s[6:7]
	s_cbranch_execz .LBB1206_237
.LBB1206_296:
	v_sub_u32_e32 v10, v41, v8
	v_mov_b32_e32 v11, 0
	v_lshlrev_b64 v[10:11], 3, v[10:11]
	v_add_co_u32_e32 v10, vcc, v6, v10
	v_addc_co_u32_e32 v11, vcc, v7, v11, vcc
	global_store_dwordx2 v[10:11], v[88:89], off
	s_or_b64 exec, exec, s[38:39]
	s_and_saveexec_b64 s[38:39], s[4:5]
	s_cbranch_execz .LBB1206_238
.LBB1206_297:
	v_sub_u32_e32 v10, v40, v8
	v_mov_b32_e32 v11, 0
	v_lshlrev_b64 v[10:11], 3, v[10:11]
	v_add_co_u32_e32 v10, vcc, v6, v10
	v_addc_co_u32_e32 v11, vcc, v7, v11, vcc
	global_store_dwordx2 v[10:11], v[90:91], off
	s_or_b64 exec, exec, s[38:39]
	s_and_saveexec_b64 s[38:39], s[2:3]
	s_cbranch_execnz .LBB1206_239
	s_branch .LBB1206_240
.LBB1206_298:
	v_sub_u32_e32 v9, v59, v8
	v_lshlrev_b32_e32 v9, 3, v9
	ds_write_b64 v9, v[92:93]
	s_or_b64 exec, exec, s[38:39]
	s_and_saveexec_b64 s[28:29], s[26:27]
	s_cbranch_execz .LBB1206_244
.LBB1206_299:
	v_sub_u32_e32 v9, v51, v8
	v_lshlrev_b32_e32 v9, 3, v9
	ds_write_b64 v9, v[64:65]
	s_or_b64 exec, exec, s[28:29]
	s_and_saveexec_b64 s[26:27], s[24:25]
	s_cbranch_execz .LBB1206_245
.LBB1206_300:
	v_sub_u32_e32 v9, v50, v8
	v_lshlrev_b32_e32 v9, 3, v9
	ds_write_b64 v9, v[66:67]
	s_or_b64 exec, exec, s[26:27]
	s_and_saveexec_b64 s[24:25], s[22:23]
	s_cbranch_execz .LBB1206_246
.LBB1206_301:
	v_sub_u32_e32 v9, v49, v8
	v_lshlrev_b32_e32 v9, 3, v9
	ds_write_b64 v9, v[68:69]
	s_or_b64 exec, exec, s[24:25]
	s_and_saveexec_b64 s[22:23], s[20:21]
	s_cbranch_execz .LBB1206_247
.LBB1206_302:
	v_sub_u32_e32 v9, v48, v8
	v_lshlrev_b32_e32 v9, 3, v9
	ds_write_b64 v9, v[70:71]
	s_or_b64 exec, exec, s[22:23]
	s_and_saveexec_b64 s[20:21], s[18:19]
	s_cbranch_execz .LBB1206_248
.LBB1206_303:
	v_sub_u32_e32 v9, v47, v8
	v_lshlrev_b32_e32 v9, 3, v9
	ds_write_b64 v9, v[76:77]
	s_or_b64 exec, exec, s[20:21]
	s_and_saveexec_b64 s[18:19], s[16:17]
	s_cbranch_execz .LBB1206_249
.LBB1206_304:
	v_sub_u32_e32 v9, v46, v8
	v_lshlrev_b32_e32 v9, 3, v9
	ds_write_b64 v9, v[78:79]
	s_or_b64 exec, exec, s[18:19]
	s_and_saveexec_b64 s[16:17], s[14:15]
	s_cbranch_execz .LBB1206_250
.LBB1206_305:
	v_sub_u32_e32 v9, v45, v8
	v_lshlrev_b32_e32 v9, 3, v9
	ds_write_b64 v9, v[80:81]
	s_or_b64 exec, exec, s[16:17]
	s_and_saveexec_b64 s[14:15], s[12:13]
	s_cbranch_execz .LBB1206_251
.LBB1206_306:
	v_sub_u32_e32 v9, v44, v8
	v_lshlrev_b32_e32 v9, 3, v9
	ds_write_b64 v9, v[82:83]
	s_or_b64 exec, exec, s[14:15]
	s_and_saveexec_b64 s[12:13], s[10:11]
	s_cbranch_execz .LBB1206_252
.LBB1206_307:
	v_sub_u32_e32 v9, v43, v8
	v_lshlrev_b32_e32 v9, 3, v9
	ds_write_b64 v9, v[84:85]
	s_or_b64 exec, exec, s[12:13]
	s_and_saveexec_b64 s[10:11], s[8:9]
	s_cbranch_execz .LBB1206_253
.LBB1206_308:
	v_sub_u32_e32 v9, v42, v8
	v_lshlrev_b32_e32 v9, 3, v9
	ds_write_b64 v9, v[86:87]
	s_or_b64 exec, exec, s[10:11]
	s_and_saveexec_b64 s[8:9], s[6:7]
	s_cbranch_execz .LBB1206_254
.LBB1206_309:
	v_sub_u32_e32 v9, v41, v8
	v_lshlrev_b32_e32 v9, 3, v9
	ds_write_b64 v9, v[88:89]
	s_or_b64 exec, exec, s[8:9]
	s_and_saveexec_b64 s[6:7], s[4:5]
	s_cbranch_execz .LBB1206_255
.LBB1206_310:
	v_sub_u32_e32 v9, v40, v8
	v_lshlrev_b32_e32 v9, 3, v9
	ds_write_b64 v9, v[90:91]
	s_or_b64 exec, exec, s[6:7]
	s_and_saveexec_b64 s[4:5], s[2:3]
	s_cbranch_execnz .LBB1206_256
	s_branch .LBB1206_257
	.section	.rodata,"a",@progbits
	.p2align	6, 0x0
	.amdhsa_kernel _ZN7rocprim17ROCPRIM_400000_NS6detail17trampoline_kernelINS0_14default_configENS1_29reduce_by_key_config_selectorIllN6thrust23THRUST_200600_302600_NS4plusIlEEEEZZNS1_33reduce_by_key_impl_wrapped_configILNS1_25lookback_scan_determinismE0ES3_S9_PlNS6_17constant_iteratorIiNS6_11use_defaultESE_EENS6_10device_ptrIlEESH_PmS8_NS6_8equal_toIlEEEE10hipError_tPvRmT2_T3_mT4_T5_T6_T7_T8_P12ihipStream_tbENKUlT_T0_E_clISt17integral_constantIbLb0EES12_EEDaSX_SY_EUlSX_E_NS1_11comp_targetILNS1_3genE4ELNS1_11target_archE910ELNS1_3gpuE8ELNS1_3repE0EEENS1_30default_config_static_selectorELNS0_4arch9wavefront6targetE1EEEvT1_
		.amdhsa_group_segment_fixed_size 30720
		.amdhsa_private_segment_fixed_size 0
		.amdhsa_kernarg_size 144
		.amdhsa_user_sgpr_count 6
		.amdhsa_user_sgpr_private_segment_buffer 1
		.amdhsa_user_sgpr_dispatch_ptr 0
		.amdhsa_user_sgpr_queue_ptr 0
		.amdhsa_user_sgpr_kernarg_segment_ptr 1
		.amdhsa_user_sgpr_dispatch_id 0
		.amdhsa_user_sgpr_flat_scratch_init 0
		.amdhsa_user_sgpr_kernarg_preload_length 0
		.amdhsa_user_sgpr_kernarg_preload_offset 0
		.amdhsa_user_sgpr_private_segment_size 0
		.amdhsa_uses_dynamic_stack 0
		.amdhsa_system_sgpr_private_segment_wavefront_offset 0
		.amdhsa_system_sgpr_workgroup_id_x 1
		.amdhsa_system_sgpr_workgroup_id_y 0
		.amdhsa_system_sgpr_workgroup_id_z 0
		.amdhsa_system_sgpr_workgroup_info 0
		.amdhsa_system_vgpr_workitem_id 0
		.amdhsa_next_free_vgpr 118
		.amdhsa_next_free_sgpr 64
		.amdhsa_accum_offset 120
		.amdhsa_reserve_vcc 1
		.amdhsa_reserve_flat_scratch 0
		.amdhsa_float_round_mode_32 0
		.amdhsa_float_round_mode_16_64 0
		.amdhsa_float_denorm_mode_32 3
		.amdhsa_float_denorm_mode_16_64 3
		.amdhsa_dx10_clamp 1
		.amdhsa_ieee_mode 1
		.amdhsa_fp16_overflow 0
		.amdhsa_tg_split 0
		.amdhsa_exception_fp_ieee_invalid_op 0
		.amdhsa_exception_fp_denorm_src 0
		.amdhsa_exception_fp_ieee_div_zero 0
		.amdhsa_exception_fp_ieee_overflow 0
		.amdhsa_exception_fp_ieee_underflow 0
		.amdhsa_exception_fp_ieee_inexact 0
		.amdhsa_exception_int_div_zero 0
	.end_amdhsa_kernel
	.section	.text._ZN7rocprim17ROCPRIM_400000_NS6detail17trampoline_kernelINS0_14default_configENS1_29reduce_by_key_config_selectorIllN6thrust23THRUST_200600_302600_NS4plusIlEEEEZZNS1_33reduce_by_key_impl_wrapped_configILNS1_25lookback_scan_determinismE0ES3_S9_PlNS6_17constant_iteratorIiNS6_11use_defaultESE_EENS6_10device_ptrIlEESH_PmS8_NS6_8equal_toIlEEEE10hipError_tPvRmT2_T3_mT4_T5_T6_T7_T8_P12ihipStream_tbENKUlT_T0_E_clISt17integral_constantIbLb0EES12_EEDaSX_SY_EUlSX_E_NS1_11comp_targetILNS1_3genE4ELNS1_11target_archE910ELNS1_3gpuE8ELNS1_3repE0EEENS1_30default_config_static_selectorELNS0_4arch9wavefront6targetE1EEEvT1_,"axG",@progbits,_ZN7rocprim17ROCPRIM_400000_NS6detail17trampoline_kernelINS0_14default_configENS1_29reduce_by_key_config_selectorIllN6thrust23THRUST_200600_302600_NS4plusIlEEEEZZNS1_33reduce_by_key_impl_wrapped_configILNS1_25lookback_scan_determinismE0ES3_S9_PlNS6_17constant_iteratorIiNS6_11use_defaultESE_EENS6_10device_ptrIlEESH_PmS8_NS6_8equal_toIlEEEE10hipError_tPvRmT2_T3_mT4_T5_T6_T7_T8_P12ihipStream_tbENKUlT_T0_E_clISt17integral_constantIbLb0EES12_EEDaSX_SY_EUlSX_E_NS1_11comp_targetILNS1_3genE4ELNS1_11target_archE910ELNS1_3gpuE8ELNS1_3repE0EEENS1_30default_config_static_selectorELNS0_4arch9wavefront6targetE1EEEvT1_,comdat
.Lfunc_end1206:
	.size	_ZN7rocprim17ROCPRIM_400000_NS6detail17trampoline_kernelINS0_14default_configENS1_29reduce_by_key_config_selectorIllN6thrust23THRUST_200600_302600_NS4plusIlEEEEZZNS1_33reduce_by_key_impl_wrapped_configILNS1_25lookback_scan_determinismE0ES3_S9_PlNS6_17constant_iteratorIiNS6_11use_defaultESE_EENS6_10device_ptrIlEESH_PmS8_NS6_8equal_toIlEEEE10hipError_tPvRmT2_T3_mT4_T5_T6_T7_T8_P12ihipStream_tbENKUlT_T0_E_clISt17integral_constantIbLb0EES12_EEDaSX_SY_EUlSX_E_NS1_11comp_targetILNS1_3genE4ELNS1_11target_archE910ELNS1_3gpuE8ELNS1_3repE0EEENS1_30default_config_static_selectorELNS0_4arch9wavefront6targetE1EEEvT1_, .Lfunc_end1206-_ZN7rocprim17ROCPRIM_400000_NS6detail17trampoline_kernelINS0_14default_configENS1_29reduce_by_key_config_selectorIllN6thrust23THRUST_200600_302600_NS4plusIlEEEEZZNS1_33reduce_by_key_impl_wrapped_configILNS1_25lookback_scan_determinismE0ES3_S9_PlNS6_17constant_iteratorIiNS6_11use_defaultESE_EENS6_10device_ptrIlEESH_PmS8_NS6_8equal_toIlEEEE10hipError_tPvRmT2_T3_mT4_T5_T6_T7_T8_P12ihipStream_tbENKUlT_T0_E_clISt17integral_constantIbLb0EES12_EEDaSX_SY_EUlSX_E_NS1_11comp_targetILNS1_3genE4ELNS1_11target_archE910ELNS1_3gpuE8ELNS1_3repE0EEENS1_30default_config_static_selectorELNS0_4arch9wavefront6targetE1EEEvT1_
                                        ; -- End function
	.section	.AMDGPU.csdata,"",@progbits
; Kernel info:
; codeLenInByte = 15660
; NumSgprs: 68
; NumVgprs: 118
; NumAgprs: 0
; TotalNumVgprs: 118
; ScratchSize: 0
; MemoryBound: 0
; FloatMode: 240
; IeeeMode: 1
; LDSByteSize: 30720 bytes/workgroup (compile time only)
; SGPRBlocks: 8
; VGPRBlocks: 14
; NumSGPRsForWavesPerEU: 68
; NumVGPRsForWavesPerEU: 118
; AccumOffset: 120
; Occupancy: 2
; WaveLimiterHint : 1
; COMPUTE_PGM_RSRC2:SCRATCH_EN: 0
; COMPUTE_PGM_RSRC2:USER_SGPR: 6
; COMPUTE_PGM_RSRC2:TRAP_HANDLER: 0
; COMPUTE_PGM_RSRC2:TGID_X_EN: 1
; COMPUTE_PGM_RSRC2:TGID_Y_EN: 0
; COMPUTE_PGM_RSRC2:TGID_Z_EN: 0
; COMPUTE_PGM_RSRC2:TIDIG_COMP_CNT: 0
; COMPUTE_PGM_RSRC3_GFX90A:ACCUM_OFFSET: 29
; COMPUTE_PGM_RSRC3_GFX90A:TG_SPLIT: 0
	.section	.text._ZN7rocprim17ROCPRIM_400000_NS6detail17trampoline_kernelINS0_14default_configENS1_29reduce_by_key_config_selectorIllN6thrust23THRUST_200600_302600_NS4plusIlEEEEZZNS1_33reduce_by_key_impl_wrapped_configILNS1_25lookback_scan_determinismE0ES3_S9_PlNS6_17constant_iteratorIiNS6_11use_defaultESE_EENS6_10device_ptrIlEESH_PmS8_NS6_8equal_toIlEEEE10hipError_tPvRmT2_T3_mT4_T5_T6_T7_T8_P12ihipStream_tbENKUlT_T0_E_clISt17integral_constantIbLb0EES12_EEDaSX_SY_EUlSX_E_NS1_11comp_targetILNS1_3genE3ELNS1_11target_archE908ELNS1_3gpuE7ELNS1_3repE0EEENS1_30default_config_static_selectorELNS0_4arch9wavefront6targetE1EEEvT1_,"axG",@progbits,_ZN7rocprim17ROCPRIM_400000_NS6detail17trampoline_kernelINS0_14default_configENS1_29reduce_by_key_config_selectorIllN6thrust23THRUST_200600_302600_NS4plusIlEEEEZZNS1_33reduce_by_key_impl_wrapped_configILNS1_25lookback_scan_determinismE0ES3_S9_PlNS6_17constant_iteratorIiNS6_11use_defaultESE_EENS6_10device_ptrIlEESH_PmS8_NS6_8equal_toIlEEEE10hipError_tPvRmT2_T3_mT4_T5_T6_T7_T8_P12ihipStream_tbENKUlT_T0_E_clISt17integral_constantIbLb0EES12_EEDaSX_SY_EUlSX_E_NS1_11comp_targetILNS1_3genE3ELNS1_11target_archE908ELNS1_3gpuE7ELNS1_3repE0EEENS1_30default_config_static_selectorELNS0_4arch9wavefront6targetE1EEEvT1_,comdat
	.protected	_ZN7rocprim17ROCPRIM_400000_NS6detail17trampoline_kernelINS0_14default_configENS1_29reduce_by_key_config_selectorIllN6thrust23THRUST_200600_302600_NS4plusIlEEEEZZNS1_33reduce_by_key_impl_wrapped_configILNS1_25lookback_scan_determinismE0ES3_S9_PlNS6_17constant_iteratorIiNS6_11use_defaultESE_EENS6_10device_ptrIlEESH_PmS8_NS6_8equal_toIlEEEE10hipError_tPvRmT2_T3_mT4_T5_T6_T7_T8_P12ihipStream_tbENKUlT_T0_E_clISt17integral_constantIbLb0EES12_EEDaSX_SY_EUlSX_E_NS1_11comp_targetILNS1_3genE3ELNS1_11target_archE908ELNS1_3gpuE7ELNS1_3repE0EEENS1_30default_config_static_selectorELNS0_4arch9wavefront6targetE1EEEvT1_ ; -- Begin function _ZN7rocprim17ROCPRIM_400000_NS6detail17trampoline_kernelINS0_14default_configENS1_29reduce_by_key_config_selectorIllN6thrust23THRUST_200600_302600_NS4plusIlEEEEZZNS1_33reduce_by_key_impl_wrapped_configILNS1_25lookback_scan_determinismE0ES3_S9_PlNS6_17constant_iteratorIiNS6_11use_defaultESE_EENS6_10device_ptrIlEESH_PmS8_NS6_8equal_toIlEEEE10hipError_tPvRmT2_T3_mT4_T5_T6_T7_T8_P12ihipStream_tbENKUlT_T0_E_clISt17integral_constantIbLb0EES12_EEDaSX_SY_EUlSX_E_NS1_11comp_targetILNS1_3genE3ELNS1_11target_archE908ELNS1_3gpuE7ELNS1_3repE0EEENS1_30default_config_static_selectorELNS0_4arch9wavefront6targetE1EEEvT1_
	.globl	_ZN7rocprim17ROCPRIM_400000_NS6detail17trampoline_kernelINS0_14default_configENS1_29reduce_by_key_config_selectorIllN6thrust23THRUST_200600_302600_NS4plusIlEEEEZZNS1_33reduce_by_key_impl_wrapped_configILNS1_25lookback_scan_determinismE0ES3_S9_PlNS6_17constant_iteratorIiNS6_11use_defaultESE_EENS6_10device_ptrIlEESH_PmS8_NS6_8equal_toIlEEEE10hipError_tPvRmT2_T3_mT4_T5_T6_T7_T8_P12ihipStream_tbENKUlT_T0_E_clISt17integral_constantIbLb0EES12_EEDaSX_SY_EUlSX_E_NS1_11comp_targetILNS1_3genE3ELNS1_11target_archE908ELNS1_3gpuE7ELNS1_3repE0EEENS1_30default_config_static_selectorELNS0_4arch9wavefront6targetE1EEEvT1_
	.p2align	8
	.type	_ZN7rocprim17ROCPRIM_400000_NS6detail17trampoline_kernelINS0_14default_configENS1_29reduce_by_key_config_selectorIllN6thrust23THRUST_200600_302600_NS4plusIlEEEEZZNS1_33reduce_by_key_impl_wrapped_configILNS1_25lookback_scan_determinismE0ES3_S9_PlNS6_17constant_iteratorIiNS6_11use_defaultESE_EENS6_10device_ptrIlEESH_PmS8_NS6_8equal_toIlEEEE10hipError_tPvRmT2_T3_mT4_T5_T6_T7_T8_P12ihipStream_tbENKUlT_T0_E_clISt17integral_constantIbLb0EES12_EEDaSX_SY_EUlSX_E_NS1_11comp_targetILNS1_3genE3ELNS1_11target_archE908ELNS1_3gpuE7ELNS1_3repE0EEENS1_30default_config_static_selectorELNS0_4arch9wavefront6targetE1EEEvT1_,@function
_ZN7rocprim17ROCPRIM_400000_NS6detail17trampoline_kernelINS0_14default_configENS1_29reduce_by_key_config_selectorIllN6thrust23THRUST_200600_302600_NS4plusIlEEEEZZNS1_33reduce_by_key_impl_wrapped_configILNS1_25lookback_scan_determinismE0ES3_S9_PlNS6_17constant_iteratorIiNS6_11use_defaultESE_EENS6_10device_ptrIlEESH_PmS8_NS6_8equal_toIlEEEE10hipError_tPvRmT2_T3_mT4_T5_T6_T7_T8_P12ihipStream_tbENKUlT_T0_E_clISt17integral_constantIbLb0EES12_EEDaSX_SY_EUlSX_E_NS1_11comp_targetILNS1_3genE3ELNS1_11target_archE908ELNS1_3gpuE7ELNS1_3repE0EEENS1_30default_config_static_selectorELNS0_4arch9wavefront6targetE1EEEvT1_: ; @_ZN7rocprim17ROCPRIM_400000_NS6detail17trampoline_kernelINS0_14default_configENS1_29reduce_by_key_config_selectorIllN6thrust23THRUST_200600_302600_NS4plusIlEEEEZZNS1_33reduce_by_key_impl_wrapped_configILNS1_25lookback_scan_determinismE0ES3_S9_PlNS6_17constant_iteratorIiNS6_11use_defaultESE_EENS6_10device_ptrIlEESH_PmS8_NS6_8equal_toIlEEEE10hipError_tPvRmT2_T3_mT4_T5_T6_T7_T8_P12ihipStream_tbENKUlT_T0_E_clISt17integral_constantIbLb0EES12_EEDaSX_SY_EUlSX_E_NS1_11comp_targetILNS1_3genE3ELNS1_11target_archE908ELNS1_3gpuE7ELNS1_3repE0EEENS1_30default_config_static_selectorELNS0_4arch9wavefront6targetE1EEEvT1_
; %bb.0:
	.section	.rodata,"a",@progbits
	.p2align	6, 0x0
	.amdhsa_kernel _ZN7rocprim17ROCPRIM_400000_NS6detail17trampoline_kernelINS0_14default_configENS1_29reduce_by_key_config_selectorIllN6thrust23THRUST_200600_302600_NS4plusIlEEEEZZNS1_33reduce_by_key_impl_wrapped_configILNS1_25lookback_scan_determinismE0ES3_S9_PlNS6_17constant_iteratorIiNS6_11use_defaultESE_EENS6_10device_ptrIlEESH_PmS8_NS6_8equal_toIlEEEE10hipError_tPvRmT2_T3_mT4_T5_T6_T7_T8_P12ihipStream_tbENKUlT_T0_E_clISt17integral_constantIbLb0EES12_EEDaSX_SY_EUlSX_E_NS1_11comp_targetILNS1_3genE3ELNS1_11target_archE908ELNS1_3gpuE7ELNS1_3repE0EEENS1_30default_config_static_selectorELNS0_4arch9wavefront6targetE1EEEvT1_
		.amdhsa_group_segment_fixed_size 0
		.amdhsa_private_segment_fixed_size 0
		.amdhsa_kernarg_size 144
		.amdhsa_user_sgpr_count 6
		.amdhsa_user_sgpr_private_segment_buffer 1
		.amdhsa_user_sgpr_dispatch_ptr 0
		.amdhsa_user_sgpr_queue_ptr 0
		.amdhsa_user_sgpr_kernarg_segment_ptr 1
		.amdhsa_user_sgpr_dispatch_id 0
		.amdhsa_user_sgpr_flat_scratch_init 0
		.amdhsa_user_sgpr_kernarg_preload_length 0
		.amdhsa_user_sgpr_kernarg_preload_offset 0
		.amdhsa_user_sgpr_private_segment_size 0
		.amdhsa_uses_dynamic_stack 0
		.amdhsa_system_sgpr_private_segment_wavefront_offset 0
		.amdhsa_system_sgpr_workgroup_id_x 1
		.amdhsa_system_sgpr_workgroup_id_y 0
		.amdhsa_system_sgpr_workgroup_id_z 0
		.amdhsa_system_sgpr_workgroup_info 0
		.amdhsa_system_vgpr_workitem_id 0
		.amdhsa_next_free_vgpr 1
		.amdhsa_next_free_sgpr 0
		.amdhsa_accum_offset 4
		.amdhsa_reserve_vcc 0
		.amdhsa_reserve_flat_scratch 0
		.amdhsa_float_round_mode_32 0
		.amdhsa_float_round_mode_16_64 0
		.amdhsa_float_denorm_mode_32 3
		.amdhsa_float_denorm_mode_16_64 3
		.amdhsa_dx10_clamp 1
		.amdhsa_ieee_mode 1
		.amdhsa_fp16_overflow 0
		.amdhsa_tg_split 0
		.amdhsa_exception_fp_ieee_invalid_op 0
		.amdhsa_exception_fp_denorm_src 0
		.amdhsa_exception_fp_ieee_div_zero 0
		.amdhsa_exception_fp_ieee_overflow 0
		.amdhsa_exception_fp_ieee_underflow 0
		.amdhsa_exception_fp_ieee_inexact 0
		.amdhsa_exception_int_div_zero 0
	.end_amdhsa_kernel
	.section	.text._ZN7rocprim17ROCPRIM_400000_NS6detail17trampoline_kernelINS0_14default_configENS1_29reduce_by_key_config_selectorIllN6thrust23THRUST_200600_302600_NS4plusIlEEEEZZNS1_33reduce_by_key_impl_wrapped_configILNS1_25lookback_scan_determinismE0ES3_S9_PlNS6_17constant_iteratorIiNS6_11use_defaultESE_EENS6_10device_ptrIlEESH_PmS8_NS6_8equal_toIlEEEE10hipError_tPvRmT2_T3_mT4_T5_T6_T7_T8_P12ihipStream_tbENKUlT_T0_E_clISt17integral_constantIbLb0EES12_EEDaSX_SY_EUlSX_E_NS1_11comp_targetILNS1_3genE3ELNS1_11target_archE908ELNS1_3gpuE7ELNS1_3repE0EEENS1_30default_config_static_selectorELNS0_4arch9wavefront6targetE1EEEvT1_,"axG",@progbits,_ZN7rocprim17ROCPRIM_400000_NS6detail17trampoline_kernelINS0_14default_configENS1_29reduce_by_key_config_selectorIllN6thrust23THRUST_200600_302600_NS4plusIlEEEEZZNS1_33reduce_by_key_impl_wrapped_configILNS1_25lookback_scan_determinismE0ES3_S9_PlNS6_17constant_iteratorIiNS6_11use_defaultESE_EENS6_10device_ptrIlEESH_PmS8_NS6_8equal_toIlEEEE10hipError_tPvRmT2_T3_mT4_T5_T6_T7_T8_P12ihipStream_tbENKUlT_T0_E_clISt17integral_constantIbLb0EES12_EEDaSX_SY_EUlSX_E_NS1_11comp_targetILNS1_3genE3ELNS1_11target_archE908ELNS1_3gpuE7ELNS1_3repE0EEENS1_30default_config_static_selectorELNS0_4arch9wavefront6targetE1EEEvT1_,comdat
.Lfunc_end1207:
	.size	_ZN7rocprim17ROCPRIM_400000_NS6detail17trampoline_kernelINS0_14default_configENS1_29reduce_by_key_config_selectorIllN6thrust23THRUST_200600_302600_NS4plusIlEEEEZZNS1_33reduce_by_key_impl_wrapped_configILNS1_25lookback_scan_determinismE0ES3_S9_PlNS6_17constant_iteratorIiNS6_11use_defaultESE_EENS6_10device_ptrIlEESH_PmS8_NS6_8equal_toIlEEEE10hipError_tPvRmT2_T3_mT4_T5_T6_T7_T8_P12ihipStream_tbENKUlT_T0_E_clISt17integral_constantIbLb0EES12_EEDaSX_SY_EUlSX_E_NS1_11comp_targetILNS1_3genE3ELNS1_11target_archE908ELNS1_3gpuE7ELNS1_3repE0EEENS1_30default_config_static_selectorELNS0_4arch9wavefront6targetE1EEEvT1_, .Lfunc_end1207-_ZN7rocprim17ROCPRIM_400000_NS6detail17trampoline_kernelINS0_14default_configENS1_29reduce_by_key_config_selectorIllN6thrust23THRUST_200600_302600_NS4plusIlEEEEZZNS1_33reduce_by_key_impl_wrapped_configILNS1_25lookback_scan_determinismE0ES3_S9_PlNS6_17constant_iteratorIiNS6_11use_defaultESE_EENS6_10device_ptrIlEESH_PmS8_NS6_8equal_toIlEEEE10hipError_tPvRmT2_T3_mT4_T5_T6_T7_T8_P12ihipStream_tbENKUlT_T0_E_clISt17integral_constantIbLb0EES12_EEDaSX_SY_EUlSX_E_NS1_11comp_targetILNS1_3genE3ELNS1_11target_archE908ELNS1_3gpuE7ELNS1_3repE0EEENS1_30default_config_static_selectorELNS0_4arch9wavefront6targetE1EEEvT1_
                                        ; -- End function
	.section	.AMDGPU.csdata,"",@progbits
; Kernel info:
; codeLenInByte = 0
; NumSgprs: 4
; NumVgprs: 0
; NumAgprs: 0
; TotalNumVgprs: 0
; ScratchSize: 0
; MemoryBound: 0
; FloatMode: 240
; IeeeMode: 1
; LDSByteSize: 0 bytes/workgroup (compile time only)
; SGPRBlocks: 0
; VGPRBlocks: 0
; NumSGPRsForWavesPerEU: 4
; NumVGPRsForWavesPerEU: 1
; AccumOffset: 4
; Occupancy: 8
; WaveLimiterHint : 0
; COMPUTE_PGM_RSRC2:SCRATCH_EN: 0
; COMPUTE_PGM_RSRC2:USER_SGPR: 6
; COMPUTE_PGM_RSRC2:TRAP_HANDLER: 0
; COMPUTE_PGM_RSRC2:TGID_X_EN: 1
; COMPUTE_PGM_RSRC2:TGID_Y_EN: 0
; COMPUTE_PGM_RSRC2:TGID_Z_EN: 0
; COMPUTE_PGM_RSRC2:TIDIG_COMP_CNT: 0
; COMPUTE_PGM_RSRC3_GFX90A:ACCUM_OFFSET: 0
; COMPUTE_PGM_RSRC3_GFX90A:TG_SPLIT: 0
	.section	.text._ZN7rocprim17ROCPRIM_400000_NS6detail17trampoline_kernelINS0_14default_configENS1_29reduce_by_key_config_selectorIllN6thrust23THRUST_200600_302600_NS4plusIlEEEEZZNS1_33reduce_by_key_impl_wrapped_configILNS1_25lookback_scan_determinismE0ES3_S9_PlNS6_17constant_iteratorIiNS6_11use_defaultESE_EENS6_10device_ptrIlEESH_PmS8_NS6_8equal_toIlEEEE10hipError_tPvRmT2_T3_mT4_T5_T6_T7_T8_P12ihipStream_tbENKUlT_T0_E_clISt17integral_constantIbLb0EES12_EEDaSX_SY_EUlSX_E_NS1_11comp_targetILNS1_3genE2ELNS1_11target_archE906ELNS1_3gpuE6ELNS1_3repE0EEENS1_30default_config_static_selectorELNS0_4arch9wavefront6targetE1EEEvT1_,"axG",@progbits,_ZN7rocprim17ROCPRIM_400000_NS6detail17trampoline_kernelINS0_14default_configENS1_29reduce_by_key_config_selectorIllN6thrust23THRUST_200600_302600_NS4plusIlEEEEZZNS1_33reduce_by_key_impl_wrapped_configILNS1_25lookback_scan_determinismE0ES3_S9_PlNS6_17constant_iteratorIiNS6_11use_defaultESE_EENS6_10device_ptrIlEESH_PmS8_NS6_8equal_toIlEEEE10hipError_tPvRmT2_T3_mT4_T5_T6_T7_T8_P12ihipStream_tbENKUlT_T0_E_clISt17integral_constantIbLb0EES12_EEDaSX_SY_EUlSX_E_NS1_11comp_targetILNS1_3genE2ELNS1_11target_archE906ELNS1_3gpuE6ELNS1_3repE0EEENS1_30default_config_static_selectorELNS0_4arch9wavefront6targetE1EEEvT1_,comdat
	.protected	_ZN7rocprim17ROCPRIM_400000_NS6detail17trampoline_kernelINS0_14default_configENS1_29reduce_by_key_config_selectorIllN6thrust23THRUST_200600_302600_NS4plusIlEEEEZZNS1_33reduce_by_key_impl_wrapped_configILNS1_25lookback_scan_determinismE0ES3_S9_PlNS6_17constant_iteratorIiNS6_11use_defaultESE_EENS6_10device_ptrIlEESH_PmS8_NS6_8equal_toIlEEEE10hipError_tPvRmT2_T3_mT4_T5_T6_T7_T8_P12ihipStream_tbENKUlT_T0_E_clISt17integral_constantIbLb0EES12_EEDaSX_SY_EUlSX_E_NS1_11comp_targetILNS1_3genE2ELNS1_11target_archE906ELNS1_3gpuE6ELNS1_3repE0EEENS1_30default_config_static_selectorELNS0_4arch9wavefront6targetE1EEEvT1_ ; -- Begin function _ZN7rocprim17ROCPRIM_400000_NS6detail17trampoline_kernelINS0_14default_configENS1_29reduce_by_key_config_selectorIllN6thrust23THRUST_200600_302600_NS4plusIlEEEEZZNS1_33reduce_by_key_impl_wrapped_configILNS1_25lookback_scan_determinismE0ES3_S9_PlNS6_17constant_iteratorIiNS6_11use_defaultESE_EENS6_10device_ptrIlEESH_PmS8_NS6_8equal_toIlEEEE10hipError_tPvRmT2_T3_mT4_T5_T6_T7_T8_P12ihipStream_tbENKUlT_T0_E_clISt17integral_constantIbLb0EES12_EEDaSX_SY_EUlSX_E_NS1_11comp_targetILNS1_3genE2ELNS1_11target_archE906ELNS1_3gpuE6ELNS1_3repE0EEENS1_30default_config_static_selectorELNS0_4arch9wavefront6targetE1EEEvT1_
	.globl	_ZN7rocprim17ROCPRIM_400000_NS6detail17trampoline_kernelINS0_14default_configENS1_29reduce_by_key_config_selectorIllN6thrust23THRUST_200600_302600_NS4plusIlEEEEZZNS1_33reduce_by_key_impl_wrapped_configILNS1_25lookback_scan_determinismE0ES3_S9_PlNS6_17constant_iteratorIiNS6_11use_defaultESE_EENS6_10device_ptrIlEESH_PmS8_NS6_8equal_toIlEEEE10hipError_tPvRmT2_T3_mT4_T5_T6_T7_T8_P12ihipStream_tbENKUlT_T0_E_clISt17integral_constantIbLb0EES12_EEDaSX_SY_EUlSX_E_NS1_11comp_targetILNS1_3genE2ELNS1_11target_archE906ELNS1_3gpuE6ELNS1_3repE0EEENS1_30default_config_static_selectorELNS0_4arch9wavefront6targetE1EEEvT1_
	.p2align	8
	.type	_ZN7rocprim17ROCPRIM_400000_NS6detail17trampoline_kernelINS0_14default_configENS1_29reduce_by_key_config_selectorIllN6thrust23THRUST_200600_302600_NS4plusIlEEEEZZNS1_33reduce_by_key_impl_wrapped_configILNS1_25lookback_scan_determinismE0ES3_S9_PlNS6_17constant_iteratorIiNS6_11use_defaultESE_EENS6_10device_ptrIlEESH_PmS8_NS6_8equal_toIlEEEE10hipError_tPvRmT2_T3_mT4_T5_T6_T7_T8_P12ihipStream_tbENKUlT_T0_E_clISt17integral_constantIbLb0EES12_EEDaSX_SY_EUlSX_E_NS1_11comp_targetILNS1_3genE2ELNS1_11target_archE906ELNS1_3gpuE6ELNS1_3repE0EEENS1_30default_config_static_selectorELNS0_4arch9wavefront6targetE1EEEvT1_,@function
_ZN7rocprim17ROCPRIM_400000_NS6detail17trampoline_kernelINS0_14default_configENS1_29reduce_by_key_config_selectorIllN6thrust23THRUST_200600_302600_NS4plusIlEEEEZZNS1_33reduce_by_key_impl_wrapped_configILNS1_25lookback_scan_determinismE0ES3_S9_PlNS6_17constant_iteratorIiNS6_11use_defaultESE_EENS6_10device_ptrIlEESH_PmS8_NS6_8equal_toIlEEEE10hipError_tPvRmT2_T3_mT4_T5_T6_T7_T8_P12ihipStream_tbENKUlT_T0_E_clISt17integral_constantIbLb0EES12_EEDaSX_SY_EUlSX_E_NS1_11comp_targetILNS1_3genE2ELNS1_11target_archE906ELNS1_3gpuE6ELNS1_3repE0EEENS1_30default_config_static_selectorELNS0_4arch9wavefront6targetE1EEEvT1_: ; @_ZN7rocprim17ROCPRIM_400000_NS6detail17trampoline_kernelINS0_14default_configENS1_29reduce_by_key_config_selectorIllN6thrust23THRUST_200600_302600_NS4plusIlEEEEZZNS1_33reduce_by_key_impl_wrapped_configILNS1_25lookback_scan_determinismE0ES3_S9_PlNS6_17constant_iteratorIiNS6_11use_defaultESE_EENS6_10device_ptrIlEESH_PmS8_NS6_8equal_toIlEEEE10hipError_tPvRmT2_T3_mT4_T5_T6_T7_T8_P12ihipStream_tbENKUlT_T0_E_clISt17integral_constantIbLb0EES12_EEDaSX_SY_EUlSX_E_NS1_11comp_targetILNS1_3genE2ELNS1_11target_archE906ELNS1_3gpuE6ELNS1_3repE0EEENS1_30default_config_static_selectorELNS0_4arch9wavefront6targetE1EEEvT1_
; %bb.0:
	.section	.rodata,"a",@progbits
	.p2align	6, 0x0
	.amdhsa_kernel _ZN7rocprim17ROCPRIM_400000_NS6detail17trampoline_kernelINS0_14default_configENS1_29reduce_by_key_config_selectorIllN6thrust23THRUST_200600_302600_NS4plusIlEEEEZZNS1_33reduce_by_key_impl_wrapped_configILNS1_25lookback_scan_determinismE0ES3_S9_PlNS6_17constant_iteratorIiNS6_11use_defaultESE_EENS6_10device_ptrIlEESH_PmS8_NS6_8equal_toIlEEEE10hipError_tPvRmT2_T3_mT4_T5_T6_T7_T8_P12ihipStream_tbENKUlT_T0_E_clISt17integral_constantIbLb0EES12_EEDaSX_SY_EUlSX_E_NS1_11comp_targetILNS1_3genE2ELNS1_11target_archE906ELNS1_3gpuE6ELNS1_3repE0EEENS1_30default_config_static_selectorELNS0_4arch9wavefront6targetE1EEEvT1_
		.amdhsa_group_segment_fixed_size 0
		.amdhsa_private_segment_fixed_size 0
		.amdhsa_kernarg_size 144
		.amdhsa_user_sgpr_count 6
		.amdhsa_user_sgpr_private_segment_buffer 1
		.amdhsa_user_sgpr_dispatch_ptr 0
		.amdhsa_user_sgpr_queue_ptr 0
		.amdhsa_user_sgpr_kernarg_segment_ptr 1
		.amdhsa_user_sgpr_dispatch_id 0
		.amdhsa_user_sgpr_flat_scratch_init 0
		.amdhsa_user_sgpr_kernarg_preload_length 0
		.amdhsa_user_sgpr_kernarg_preload_offset 0
		.amdhsa_user_sgpr_private_segment_size 0
		.amdhsa_uses_dynamic_stack 0
		.amdhsa_system_sgpr_private_segment_wavefront_offset 0
		.amdhsa_system_sgpr_workgroup_id_x 1
		.amdhsa_system_sgpr_workgroup_id_y 0
		.amdhsa_system_sgpr_workgroup_id_z 0
		.amdhsa_system_sgpr_workgroup_info 0
		.amdhsa_system_vgpr_workitem_id 0
		.amdhsa_next_free_vgpr 1
		.amdhsa_next_free_sgpr 0
		.amdhsa_accum_offset 4
		.amdhsa_reserve_vcc 0
		.amdhsa_reserve_flat_scratch 0
		.amdhsa_float_round_mode_32 0
		.amdhsa_float_round_mode_16_64 0
		.amdhsa_float_denorm_mode_32 3
		.amdhsa_float_denorm_mode_16_64 3
		.amdhsa_dx10_clamp 1
		.amdhsa_ieee_mode 1
		.amdhsa_fp16_overflow 0
		.amdhsa_tg_split 0
		.amdhsa_exception_fp_ieee_invalid_op 0
		.amdhsa_exception_fp_denorm_src 0
		.amdhsa_exception_fp_ieee_div_zero 0
		.amdhsa_exception_fp_ieee_overflow 0
		.amdhsa_exception_fp_ieee_underflow 0
		.amdhsa_exception_fp_ieee_inexact 0
		.amdhsa_exception_int_div_zero 0
	.end_amdhsa_kernel
	.section	.text._ZN7rocprim17ROCPRIM_400000_NS6detail17trampoline_kernelINS0_14default_configENS1_29reduce_by_key_config_selectorIllN6thrust23THRUST_200600_302600_NS4plusIlEEEEZZNS1_33reduce_by_key_impl_wrapped_configILNS1_25lookback_scan_determinismE0ES3_S9_PlNS6_17constant_iteratorIiNS6_11use_defaultESE_EENS6_10device_ptrIlEESH_PmS8_NS6_8equal_toIlEEEE10hipError_tPvRmT2_T3_mT4_T5_T6_T7_T8_P12ihipStream_tbENKUlT_T0_E_clISt17integral_constantIbLb0EES12_EEDaSX_SY_EUlSX_E_NS1_11comp_targetILNS1_3genE2ELNS1_11target_archE906ELNS1_3gpuE6ELNS1_3repE0EEENS1_30default_config_static_selectorELNS0_4arch9wavefront6targetE1EEEvT1_,"axG",@progbits,_ZN7rocprim17ROCPRIM_400000_NS6detail17trampoline_kernelINS0_14default_configENS1_29reduce_by_key_config_selectorIllN6thrust23THRUST_200600_302600_NS4plusIlEEEEZZNS1_33reduce_by_key_impl_wrapped_configILNS1_25lookback_scan_determinismE0ES3_S9_PlNS6_17constant_iteratorIiNS6_11use_defaultESE_EENS6_10device_ptrIlEESH_PmS8_NS6_8equal_toIlEEEE10hipError_tPvRmT2_T3_mT4_T5_T6_T7_T8_P12ihipStream_tbENKUlT_T0_E_clISt17integral_constantIbLb0EES12_EEDaSX_SY_EUlSX_E_NS1_11comp_targetILNS1_3genE2ELNS1_11target_archE906ELNS1_3gpuE6ELNS1_3repE0EEENS1_30default_config_static_selectorELNS0_4arch9wavefront6targetE1EEEvT1_,comdat
.Lfunc_end1208:
	.size	_ZN7rocprim17ROCPRIM_400000_NS6detail17trampoline_kernelINS0_14default_configENS1_29reduce_by_key_config_selectorIllN6thrust23THRUST_200600_302600_NS4plusIlEEEEZZNS1_33reduce_by_key_impl_wrapped_configILNS1_25lookback_scan_determinismE0ES3_S9_PlNS6_17constant_iteratorIiNS6_11use_defaultESE_EENS6_10device_ptrIlEESH_PmS8_NS6_8equal_toIlEEEE10hipError_tPvRmT2_T3_mT4_T5_T6_T7_T8_P12ihipStream_tbENKUlT_T0_E_clISt17integral_constantIbLb0EES12_EEDaSX_SY_EUlSX_E_NS1_11comp_targetILNS1_3genE2ELNS1_11target_archE906ELNS1_3gpuE6ELNS1_3repE0EEENS1_30default_config_static_selectorELNS0_4arch9wavefront6targetE1EEEvT1_, .Lfunc_end1208-_ZN7rocprim17ROCPRIM_400000_NS6detail17trampoline_kernelINS0_14default_configENS1_29reduce_by_key_config_selectorIllN6thrust23THRUST_200600_302600_NS4plusIlEEEEZZNS1_33reduce_by_key_impl_wrapped_configILNS1_25lookback_scan_determinismE0ES3_S9_PlNS6_17constant_iteratorIiNS6_11use_defaultESE_EENS6_10device_ptrIlEESH_PmS8_NS6_8equal_toIlEEEE10hipError_tPvRmT2_T3_mT4_T5_T6_T7_T8_P12ihipStream_tbENKUlT_T0_E_clISt17integral_constantIbLb0EES12_EEDaSX_SY_EUlSX_E_NS1_11comp_targetILNS1_3genE2ELNS1_11target_archE906ELNS1_3gpuE6ELNS1_3repE0EEENS1_30default_config_static_selectorELNS0_4arch9wavefront6targetE1EEEvT1_
                                        ; -- End function
	.section	.AMDGPU.csdata,"",@progbits
; Kernel info:
; codeLenInByte = 0
; NumSgprs: 4
; NumVgprs: 0
; NumAgprs: 0
; TotalNumVgprs: 0
; ScratchSize: 0
; MemoryBound: 0
; FloatMode: 240
; IeeeMode: 1
; LDSByteSize: 0 bytes/workgroup (compile time only)
; SGPRBlocks: 0
; VGPRBlocks: 0
; NumSGPRsForWavesPerEU: 4
; NumVGPRsForWavesPerEU: 1
; AccumOffset: 4
; Occupancy: 8
; WaveLimiterHint : 0
; COMPUTE_PGM_RSRC2:SCRATCH_EN: 0
; COMPUTE_PGM_RSRC2:USER_SGPR: 6
; COMPUTE_PGM_RSRC2:TRAP_HANDLER: 0
; COMPUTE_PGM_RSRC2:TGID_X_EN: 1
; COMPUTE_PGM_RSRC2:TGID_Y_EN: 0
; COMPUTE_PGM_RSRC2:TGID_Z_EN: 0
; COMPUTE_PGM_RSRC2:TIDIG_COMP_CNT: 0
; COMPUTE_PGM_RSRC3_GFX90A:ACCUM_OFFSET: 0
; COMPUTE_PGM_RSRC3_GFX90A:TG_SPLIT: 0
	.section	.text._ZN7rocprim17ROCPRIM_400000_NS6detail17trampoline_kernelINS0_14default_configENS1_29reduce_by_key_config_selectorIllN6thrust23THRUST_200600_302600_NS4plusIlEEEEZZNS1_33reduce_by_key_impl_wrapped_configILNS1_25lookback_scan_determinismE0ES3_S9_PlNS6_17constant_iteratorIiNS6_11use_defaultESE_EENS6_10device_ptrIlEESH_PmS8_NS6_8equal_toIlEEEE10hipError_tPvRmT2_T3_mT4_T5_T6_T7_T8_P12ihipStream_tbENKUlT_T0_E_clISt17integral_constantIbLb0EES12_EEDaSX_SY_EUlSX_E_NS1_11comp_targetILNS1_3genE10ELNS1_11target_archE1201ELNS1_3gpuE5ELNS1_3repE0EEENS1_30default_config_static_selectorELNS0_4arch9wavefront6targetE1EEEvT1_,"axG",@progbits,_ZN7rocprim17ROCPRIM_400000_NS6detail17trampoline_kernelINS0_14default_configENS1_29reduce_by_key_config_selectorIllN6thrust23THRUST_200600_302600_NS4plusIlEEEEZZNS1_33reduce_by_key_impl_wrapped_configILNS1_25lookback_scan_determinismE0ES3_S9_PlNS6_17constant_iteratorIiNS6_11use_defaultESE_EENS6_10device_ptrIlEESH_PmS8_NS6_8equal_toIlEEEE10hipError_tPvRmT2_T3_mT4_T5_T6_T7_T8_P12ihipStream_tbENKUlT_T0_E_clISt17integral_constantIbLb0EES12_EEDaSX_SY_EUlSX_E_NS1_11comp_targetILNS1_3genE10ELNS1_11target_archE1201ELNS1_3gpuE5ELNS1_3repE0EEENS1_30default_config_static_selectorELNS0_4arch9wavefront6targetE1EEEvT1_,comdat
	.protected	_ZN7rocprim17ROCPRIM_400000_NS6detail17trampoline_kernelINS0_14default_configENS1_29reduce_by_key_config_selectorIllN6thrust23THRUST_200600_302600_NS4plusIlEEEEZZNS1_33reduce_by_key_impl_wrapped_configILNS1_25lookback_scan_determinismE0ES3_S9_PlNS6_17constant_iteratorIiNS6_11use_defaultESE_EENS6_10device_ptrIlEESH_PmS8_NS6_8equal_toIlEEEE10hipError_tPvRmT2_T3_mT4_T5_T6_T7_T8_P12ihipStream_tbENKUlT_T0_E_clISt17integral_constantIbLb0EES12_EEDaSX_SY_EUlSX_E_NS1_11comp_targetILNS1_3genE10ELNS1_11target_archE1201ELNS1_3gpuE5ELNS1_3repE0EEENS1_30default_config_static_selectorELNS0_4arch9wavefront6targetE1EEEvT1_ ; -- Begin function _ZN7rocprim17ROCPRIM_400000_NS6detail17trampoline_kernelINS0_14default_configENS1_29reduce_by_key_config_selectorIllN6thrust23THRUST_200600_302600_NS4plusIlEEEEZZNS1_33reduce_by_key_impl_wrapped_configILNS1_25lookback_scan_determinismE0ES3_S9_PlNS6_17constant_iteratorIiNS6_11use_defaultESE_EENS6_10device_ptrIlEESH_PmS8_NS6_8equal_toIlEEEE10hipError_tPvRmT2_T3_mT4_T5_T6_T7_T8_P12ihipStream_tbENKUlT_T0_E_clISt17integral_constantIbLb0EES12_EEDaSX_SY_EUlSX_E_NS1_11comp_targetILNS1_3genE10ELNS1_11target_archE1201ELNS1_3gpuE5ELNS1_3repE0EEENS1_30default_config_static_selectorELNS0_4arch9wavefront6targetE1EEEvT1_
	.globl	_ZN7rocprim17ROCPRIM_400000_NS6detail17trampoline_kernelINS0_14default_configENS1_29reduce_by_key_config_selectorIllN6thrust23THRUST_200600_302600_NS4plusIlEEEEZZNS1_33reduce_by_key_impl_wrapped_configILNS1_25lookback_scan_determinismE0ES3_S9_PlNS6_17constant_iteratorIiNS6_11use_defaultESE_EENS6_10device_ptrIlEESH_PmS8_NS6_8equal_toIlEEEE10hipError_tPvRmT2_T3_mT4_T5_T6_T7_T8_P12ihipStream_tbENKUlT_T0_E_clISt17integral_constantIbLb0EES12_EEDaSX_SY_EUlSX_E_NS1_11comp_targetILNS1_3genE10ELNS1_11target_archE1201ELNS1_3gpuE5ELNS1_3repE0EEENS1_30default_config_static_selectorELNS0_4arch9wavefront6targetE1EEEvT1_
	.p2align	8
	.type	_ZN7rocprim17ROCPRIM_400000_NS6detail17trampoline_kernelINS0_14default_configENS1_29reduce_by_key_config_selectorIllN6thrust23THRUST_200600_302600_NS4plusIlEEEEZZNS1_33reduce_by_key_impl_wrapped_configILNS1_25lookback_scan_determinismE0ES3_S9_PlNS6_17constant_iteratorIiNS6_11use_defaultESE_EENS6_10device_ptrIlEESH_PmS8_NS6_8equal_toIlEEEE10hipError_tPvRmT2_T3_mT4_T5_T6_T7_T8_P12ihipStream_tbENKUlT_T0_E_clISt17integral_constantIbLb0EES12_EEDaSX_SY_EUlSX_E_NS1_11comp_targetILNS1_3genE10ELNS1_11target_archE1201ELNS1_3gpuE5ELNS1_3repE0EEENS1_30default_config_static_selectorELNS0_4arch9wavefront6targetE1EEEvT1_,@function
_ZN7rocprim17ROCPRIM_400000_NS6detail17trampoline_kernelINS0_14default_configENS1_29reduce_by_key_config_selectorIllN6thrust23THRUST_200600_302600_NS4plusIlEEEEZZNS1_33reduce_by_key_impl_wrapped_configILNS1_25lookback_scan_determinismE0ES3_S9_PlNS6_17constant_iteratorIiNS6_11use_defaultESE_EENS6_10device_ptrIlEESH_PmS8_NS6_8equal_toIlEEEE10hipError_tPvRmT2_T3_mT4_T5_T6_T7_T8_P12ihipStream_tbENKUlT_T0_E_clISt17integral_constantIbLb0EES12_EEDaSX_SY_EUlSX_E_NS1_11comp_targetILNS1_3genE10ELNS1_11target_archE1201ELNS1_3gpuE5ELNS1_3repE0EEENS1_30default_config_static_selectorELNS0_4arch9wavefront6targetE1EEEvT1_: ; @_ZN7rocprim17ROCPRIM_400000_NS6detail17trampoline_kernelINS0_14default_configENS1_29reduce_by_key_config_selectorIllN6thrust23THRUST_200600_302600_NS4plusIlEEEEZZNS1_33reduce_by_key_impl_wrapped_configILNS1_25lookback_scan_determinismE0ES3_S9_PlNS6_17constant_iteratorIiNS6_11use_defaultESE_EENS6_10device_ptrIlEESH_PmS8_NS6_8equal_toIlEEEE10hipError_tPvRmT2_T3_mT4_T5_T6_T7_T8_P12ihipStream_tbENKUlT_T0_E_clISt17integral_constantIbLb0EES12_EEDaSX_SY_EUlSX_E_NS1_11comp_targetILNS1_3genE10ELNS1_11target_archE1201ELNS1_3gpuE5ELNS1_3repE0EEENS1_30default_config_static_selectorELNS0_4arch9wavefront6targetE1EEEvT1_
; %bb.0:
	.section	.rodata,"a",@progbits
	.p2align	6, 0x0
	.amdhsa_kernel _ZN7rocprim17ROCPRIM_400000_NS6detail17trampoline_kernelINS0_14default_configENS1_29reduce_by_key_config_selectorIllN6thrust23THRUST_200600_302600_NS4plusIlEEEEZZNS1_33reduce_by_key_impl_wrapped_configILNS1_25lookback_scan_determinismE0ES3_S9_PlNS6_17constant_iteratorIiNS6_11use_defaultESE_EENS6_10device_ptrIlEESH_PmS8_NS6_8equal_toIlEEEE10hipError_tPvRmT2_T3_mT4_T5_T6_T7_T8_P12ihipStream_tbENKUlT_T0_E_clISt17integral_constantIbLb0EES12_EEDaSX_SY_EUlSX_E_NS1_11comp_targetILNS1_3genE10ELNS1_11target_archE1201ELNS1_3gpuE5ELNS1_3repE0EEENS1_30default_config_static_selectorELNS0_4arch9wavefront6targetE1EEEvT1_
		.amdhsa_group_segment_fixed_size 0
		.amdhsa_private_segment_fixed_size 0
		.amdhsa_kernarg_size 144
		.amdhsa_user_sgpr_count 6
		.amdhsa_user_sgpr_private_segment_buffer 1
		.amdhsa_user_sgpr_dispatch_ptr 0
		.amdhsa_user_sgpr_queue_ptr 0
		.amdhsa_user_sgpr_kernarg_segment_ptr 1
		.amdhsa_user_sgpr_dispatch_id 0
		.amdhsa_user_sgpr_flat_scratch_init 0
		.amdhsa_user_sgpr_kernarg_preload_length 0
		.amdhsa_user_sgpr_kernarg_preload_offset 0
		.amdhsa_user_sgpr_private_segment_size 0
		.amdhsa_uses_dynamic_stack 0
		.amdhsa_system_sgpr_private_segment_wavefront_offset 0
		.amdhsa_system_sgpr_workgroup_id_x 1
		.amdhsa_system_sgpr_workgroup_id_y 0
		.amdhsa_system_sgpr_workgroup_id_z 0
		.amdhsa_system_sgpr_workgroup_info 0
		.amdhsa_system_vgpr_workitem_id 0
		.amdhsa_next_free_vgpr 1
		.amdhsa_next_free_sgpr 0
		.amdhsa_accum_offset 4
		.amdhsa_reserve_vcc 0
		.amdhsa_reserve_flat_scratch 0
		.amdhsa_float_round_mode_32 0
		.amdhsa_float_round_mode_16_64 0
		.amdhsa_float_denorm_mode_32 3
		.amdhsa_float_denorm_mode_16_64 3
		.amdhsa_dx10_clamp 1
		.amdhsa_ieee_mode 1
		.amdhsa_fp16_overflow 0
		.amdhsa_tg_split 0
		.amdhsa_exception_fp_ieee_invalid_op 0
		.amdhsa_exception_fp_denorm_src 0
		.amdhsa_exception_fp_ieee_div_zero 0
		.amdhsa_exception_fp_ieee_overflow 0
		.amdhsa_exception_fp_ieee_underflow 0
		.amdhsa_exception_fp_ieee_inexact 0
		.amdhsa_exception_int_div_zero 0
	.end_amdhsa_kernel
	.section	.text._ZN7rocprim17ROCPRIM_400000_NS6detail17trampoline_kernelINS0_14default_configENS1_29reduce_by_key_config_selectorIllN6thrust23THRUST_200600_302600_NS4plusIlEEEEZZNS1_33reduce_by_key_impl_wrapped_configILNS1_25lookback_scan_determinismE0ES3_S9_PlNS6_17constant_iteratorIiNS6_11use_defaultESE_EENS6_10device_ptrIlEESH_PmS8_NS6_8equal_toIlEEEE10hipError_tPvRmT2_T3_mT4_T5_T6_T7_T8_P12ihipStream_tbENKUlT_T0_E_clISt17integral_constantIbLb0EES12_EEDaSX_SY_EUlSX_E_NS1_11comp_targetILNS1_3genE10ELNS1_11target_archE1201ELNS1_3gpuE5ELNS1_3repE0EEENS1_30default_config_static_selectorELNS0_4arch9wavefront6targetE1EEEvT1_,"axG",@progbits,_ZN7rocprim17ROCPRIM_400000_NS6detail17trampoline_kernelINS0_14default_configENS1_29reduce_by_key_config_selectorIllN6thrust23THRUST_200600_302600_NS4plusIlEEEEZZNS1_33reduce_by_key_impl_wrapped_configILNS1_25lookback_scan_determinismE0ES3_S9_PlNS6_17constant_iteratorIiNS6_11use_defaultESE_EENS6_10device_ptrIlEESH_PmS8_NS6_8equal_toIlEEEE10hipError_tPvRmT2_T3_mT4_T5_T6_T7_T8_P12ihipStream_tbENKUlT_T0_E_clISt17integral_constantIbLb0EES12_EEDaSX_SY_EUlSX_E_NS1_11comp_targetILNS1_3genE10ELNS1_11target_archE1201ELNS1_3gpuE5ELNS1_3repE0EEENS1_30default_config_static_selectorELNS0_4arch9wavefront6targetE1EEEvT1_,comdat
.Lfunc_end1209:
	.size	_ZN7rocprim17ROCPRIM_400000_NS6detail17trampoline_kernelINS0_14default_configENS1_29reduce_by_key_config_selectorIllN6thrust23THRUST_200600_302600_NS4plusIlEEEEZZNS1_33reduce_by_key_impl_wrapped_configILNS1_25lookback_scan_determinismE0ES3_S9_PlNS6_17constant_iteratorIiNS6_11use_defaultESE_EENS6_10device_ptrIlEESH_PmS8_NS6_8equal_toIlEEEE10hipError_tPvRmT2_T3_mT4_T5_T6_T7_T8_P12ihipStream_tbENKUlT_T0_E_clISt17integral_constantIbLb0EES12_EEDaSX_SY_EUlSX_E_NS1_11comp_targetILNS1_3genE10ELNS1_11target_archE1201ELNS1_3gpuE5ELNS1_3repE0EEENS1_30default_config_static_selectorELNS0_4arch9wavefront6targetE1EEEvT1_, .Lfunc_end1209-_ZN7rocprim17ROCPRIM_400000_NS6detail17trampoline_kernelINS0_14default_configENS1_29reduce_by_key_config_selectorIllN6thrust23THRUST_200600_302600_NS4plusIlEEEEZZNS1_33reduce_by_key_impl_wrapped_configILNS1_25lookback_scan_determinismE0ES3_S9_PlNS6_17constant_iteratorIiNS6_11use_defaultESE_EENS6_10device_ptrIlEESH_PmS8_NS6_8equal_toIlEEEE10hipError_tPvRmT2_T3_mT4_T5_T6_T7_T8_P12ihipStream_tbENKUlT_T0_E_clISt17integral_constantIbLb0EES12_EEDaSX_SY_EUlSX_E_NS1_11comp_targetILNS1_3genE10ELNS1_11target_archE1201ELNS1_3gpuE5ELNS1_3repE0EEENS1_30default_config_static_selectorELNS0_4arch9wavefront6targetE1EEEvT1_
                                        ; -- End function
	.section	.AMDGPU.csdata,"",@progbits
; Kernel info:
; codeLenInByte = 0
; NumSgprs: 4
; NumVgprs: 0
; NumAgprs: 0
; TotalNumVgprs: 0
; ScratchSize: 0
; MemoryBound: 0
; FloatMode: 240
; IeeeMode: 1
; LDSByteSize: 0 bytes/workgroup (compile time only)
; SGPRBlocks: 0
; VGPRBlocks: 0
; NumSGPRsForWavesPerEU: 4
; NumVGPRsForWavesPerEU: 1
; AccumOffset: 4
; Occupancy: 8
; WaveLimiterHint : 0
; COMPUTE_PGM_RSRC2:SCRATCH_EN: 0
; COMPUTE_PGM_RSRC2:USER_SGPR: 6
; COMPUTE_PGM_RSRC2:TRAP_HANDLER: 0
; COMPUTE_PGM_RSRC2:TGID_X_EN: 1
; COMPUTE_PGM_RSRC2:TGID_Y_EN: 0
; COMPUTE_PGM_RSRC2:TGID_Z_EN: 0
; COMPUTE_PGM_RSRC2:TIDIG_COMP_CNT: 0
; COMPUTE_PGM_RSRC3_GFX90A:ACCUM_OFFSET: 0
; COMPUTE_PGM_RSRC3_GFX90A:TG_SPLIT: 0
	.section	.text._ZN7rocprim17ROCPRIM_400000_NS6detail17trampoline_kernelINS0_14default_configENS1_29reduce_by_key_config_selectorIllN6thrust23THRUST_200600_302600_NS4plusIlEEEEZZNS1_33reduce_by_key_impl_wrapped_configILNS1_25lookback_scan_determinismE0ES3_S9_PlNS6_17constant_iteratorIiNS6_11use_defaultESE_EENS6_10device_ptrIlEESH_PmS8_NS6_8equal_toIlEEEE10hipError_tPvRmT2_T3_mT4_T5_T6_T7_T8_P12ihipStream_tbENKUlT_T0_E_clISt17integral_constantIbLb0EES12_EEDaSX_SY_EUlSX_E_NS1_11comp_targetILNS1_3genE10ELNS1_11target_archE1200ELNS1_3gpuE4ELNS1_3repE0EEENS1_30default_config_static_selectorELNS0_4arch9wavefront6targetE1EEEvT1_,"axG",@progbits,_ZN7rocprim17ROCPRIM_400000_NS6detail17trampoline_kernelINS0_14default_configENS1_29reduce_by_key_config_selectorIllN6thrust23THRUST_200600_302600_NS4plusIlEEEEZZNS1_33reduce_by_key_impl_wrapped_configILNS1_25lookback_scan_determinismE0ES3_S9_PlNS6_17constant_iteratorIiNS6_11use_defaultESE_EENS6_10device_ptrIlEESH_PmS8_NS6_8equal_toIlEEEE10hipError_tPvRmT2_T3_mT4_T5_T6_T7_T8_P12ihipStream_tbENKUlT_T0_E_clISt17integral_constantIbLb0EES12_EEDaSX_SY_EUlSX_E_NS1_11comp_targetILNS1_3genE10ELNS1_11target_archE1200ELNS1_3gpuE4ELNS1_3repE0EEENS1_30default_config_static_selectorELNS0_4arch9wavefront6targetE1EEEvT1_,comdat
	.protected	_ZN7rocprim17ROCPRIM_400000_NS6detail17trampoline_kernelINS0_14default_configENS1_29reduce_by_key_config_selectorIllN6thrust23THRUST_200600_302600_NS4plusIlEEEEZZNS1_33reduce_by_key_impl_wrapped_configILNS1_25lookback_scan_determinismE0ES3_S9_PlNS6_17constant_iteratorIiNS6_11use_defaultESE_EENS6_10device_ptrIlEESH_PmS8_NS6_8equal_toIlEEEE10hipError_tPvRmT2_T3_mT4_T5_T6_T7_T8_P12ihipStream_tbENKUlT_T0_E_clISt17integral_constantIbLb0EES12_EEDaSX_SY_EUlSX_E_NS1_11comp_targetILNS1_3genE10ELNS1_11target_archE1200ELNS1_3gpuE4ELNS1_3repE0EEENS1_30default_config_static_selectorELNS0_4arch9wavefront6targetE1EEEvT1_ ; -- Begin function _ZN7rocprim17ROCPRIM_400000_NS6detail17trampoline_kernelINS0_14default_configENS1_29reduce_by_key_config_selectorIllN6thrust23THRUST_200600_302600_NS4plusIlEEEEZZNS1_33reduce_by_key_impl_wrapped_configILNS1_25lookback_scan_determinismE0ES3_S9_PlNS6_17constant_iteratorIiNS6_11use_defaultESE_EENS6_10device_ptrIlEESH_PmS8_NS6_8equal_toIlEEEE10hipError_tPvRmT2_T3_mT4_T5_T6_T7_T8_P12ihipStream_tbENKUlT_T0_E_clISt17integral_constantIbLb0EES12_EEDaSX_SY_EUlSX_E_NS1_11comp_targetILNS1_3genE10ELNS1_11target_archE1200ELNS1_3gpuE4ELNS1_3repE0EEENS1_30default_config_static_selectorELNS0_4arch9wavefront6targetE1EEEvT1_
	.globl	_ZN7rocprim17ROCPRIM_400000_NS6detail17trampoline_kernelINS0_14default_configENS1_29reduce_by_key_config_selectorIllN6thrust23THRUST_200600_302600_NS4plusIlEEEEZZNS1_33reduce_by_key_impl_wrapped_configILNS1_25lookback_scan_determinismE0ES3_S9_PlNS6_17constant_iteratorIiNS6_11use_defaultESE_EENS6_10device_ptrIlEESH_PmS8_NS6_8equal_toIlEEEE10hipError_tPvRmT2_T3_mT4_T5_T6_T7_T8_P12ihipStream_tbENKUlT_T0_E_clISt17integral_constantIbLb0EES12_EEDaSX_SY_EUlSX_E_NS1_11comp_targetILNS1_3genE10ELNS1_11target_archE1200ELNS1_3gpuE4ELNS1_3repE0EEENS1_30default_config_static_selectorELNS0_4arch9wavefront6targetE1EEEvT1_
	.p2align	8
	.type	_ZN7rocprim17ROCPRIM_400000_NS6detail17trampoline_kernelINS0_14default_configENS1_29reduce_by_key_config_selectorIllN6thrust23THRUST_200600_302600_NS4plusIlEEEEZZNS1_33reduce_by_key_impl_wrapped_configILNS1_25lookback_scan_determinismE0ES3_S9_PlNS6_17constant_iteratorIiNS6_11use_defaultESE_EENS6_10device_ptrIlEESH_PmS8_NS6_8equal_toIlEEEE10hipError_tPvRmT2_T3_mT4_T5_T6_T7_T8_P12ihipStream_tbENKUlT_T0_E_clISt17integral_constantIbLb0EES12_EEDaSX_SY_EUlSX_E_NS1_11comp_targetILNS1_3genE10ELNS1_11target_archE1200ELNS1_3gpuE4ELNS1_3repE0EEENS1_30default_config_static_selectorELNS0_4arch9wavefront6targetE1EEEvT1_,@function
_ZN7rocprim17ROCPRIM_400000_NS6detail17trampoline_kernelINS0_14default_configENS1_29reduce_by_key_config_selectorIllN6thrust23THRUST_200600_302600_NS4plusIlEEEEZZNS1_33reduce_by_key_impl_wrapped_configILNS1_25lookback_scan_determinismE0ES3_S9_PlNS6_17constant_iteratorIiNS6_11use_defaultESE_EENS6_10device_ptrIlEESH_PmS8_NS6_8equal_toIlEEEE10hipError_tPvRmT2_T3_mT4_T5_T6_T7_T8_P12ihipStream_tbENKUlT_T0_E_clISt17integral_constantIbLb0EES12_EEDaSX_SY_EUlSX_E_NS1_11comp_targetILNS1_3genE10ELNS1_11target_archE1200ELNS1_3gpuE4ELNS1_3repE0EEENS1_30default_config_static_selectorELNS0_4arch9wavefront6targetE1EEEvT1_: ; @_ZN7rocprim17ROCPRIM_400000_NS6detail17trampoline_kernelINS0_14default_configENS1_29reduce_by_key_config_selectorIllN6thrust23THRUST_200600_302600_NS4plusIlEEEEZZNS1_33reduce_by_key_impl_wrapped_configILNS1_25lookback_scan_determinismE0ES3_S9_PlNS6_17constant_iteratorIiNS6_11use_defaultESE_EENS6_10device_ptrIlEESH_PmS8_NS6_8equal_toIlEEEE10hipError_tPvRmT2_T3_mT4_T5_T6_T7_T8_P12ihipStream_tbENKUlT_T0_E_clISt17integral_constantIbLb0EES12_EEDaSX_SY_EUlSX_E_NS1_11comp_targetILNS1_3genE10ELNS1_11target_archE1200ELNS1_3gpuE4ELNS1_3repE0EEENS1_30default_config_static_selectorELNS0_4arch9wavefront6targetE1EEEvT1_
; %bb.0:
	.section	.rodata,"a",@progbits
	.p2align	6, 0x0
	.amdhsa_kernel _ZN7rocprim17ROCPRIM_400000_NS6detail17trampoline_kernelINS0_14default_configENS1_29reduce_by_key_config_selectorIllN6thrust23THRUST_200600_302600_NS4plusIlEEEEZZNS1_33reduce_by_key_impl_wrapped_configILNS1_25lookback_scan_determinismE0ES3_S9_PlNS6_17constant_iteratorIiNS6_11use_defaultESE_EENS6_10device_ptrIlEESH_PmS8_NS6_8equal_toIlEEEE10hipError_tPvRmT2_T3_mT4_T5_T6_T7_T8_P12ihipStream_tbENKUlT_T0_E_clISt17integral_constantIbLb0EES12_EEDaSX_SY_EUlSX_E_NS1_11comp_targetILNS1_3genE10ELNS1_11target_archE1200ELNS1_3gpuE4ELNS1_3repE0EEENS1_30default_config_static_selectorELNS0_4arch9wavefront6targetE1EEEvT1_
		.amdhsa_group_segment_fixed_size 0
		.amdhsa_private_segment_fixed_size 0
		.amdhsa_kernarg_size 144
		.amdhsa_user_sgpr_count 6
		.amdhsa_user_sgpr_private_segment_buffer 1
		.amdhsa_user_sgpr_dispatch_ptr 0
		.amdhsa_user_sgpr_queue_ptr 0
		.amdhsa_user_sgpr_kernarg_segment_ptr 1
		.amdhsa_user_sgpr_dispatch_id 0
		.amdhsa_user_sgpr_flat_scratch_init 0
		.amdhsa_user_sgpr_kernarg_preload_length 0
		.amdhsa_user_sgpr_kernarg_preload_offset 0
		.amdhsa_user_sgpr_private_segment_size 0
		.amdhsa_uses_dynamic_stack 0
		.amdhsa_system_sgpr_private_segment_wavefront_offset 0
		.amdhsa_system_sgpr_workgroup_id_x 1
		.amdhsa_system_sgpr_workgroup_id_y 0
		.amdhsa_system_sgpr_workgroup_id_z 0
		.amdhsa_system_sgpr_workgroup_info 0
		.amdhsa_system_vgpr_workitem_id 0
		.amdhsa_next_free_vgpr 1
		.amdhsa_next_free_sgpr 0
		.amdhsa_accum_offset 4
		.amdhsa_reserve_vcc 0
		.amdhsa_reserve_flat_scratch 0
		.amdhsa_float_round_mode_32 0
		.amdhsa_float_round_mode_16_64 0
		.amdhsa_float_denorm_mode_32 3
		.amdhsa_float_denorm_mode_16_64 3
		.amdhsa_dx10_clamp 1
		.amdhsa_ieee_mode 1
		.amdhsa_fp16_overflow 0
		.amdhsa_tg_split 0
		.amdhsa_exception_fp_ieee_invalid_op 0
		.amdhsa_exception_fp_denorm_src 0
		.amdhsa_exception_fp_ieee_div_zero 0
		.amdhsa_exception_fp_ieee_overflow 0
		.amdhsa_exception_fp_ieee_underflow 0
		.amdhsa_exception_fp_ieee_inexact 0
		.amdhsa_exception_int_div_zero 0
	.end_amdhsa_kernel
	.section	.text._ZN7rocprim17ROCPRIM_400000_NS6detail17trampoline_kernelINS0_14default_configENS1_29reduce_by_key_config_selectorIllN6thrust23THRUST_200600_302600_NS4plusIlEEEEZZNS1_33reduce_by_key_impl_wrapped_configILNS1_25lookback_scan_determinismE0ES3_S9_PlNS6_17constant_iteratorIiNS6_11use_defaultESE_EENS6_10device_ptrIlEESH_PmS8_NS6_8equal_toIlEEEE10hipError_tPvRmT2_T3_mT4_T5_T6_T7_T8_P12ihipStream_tbENKUlT_T0_E_clISt17integral_constantIbLb0EES12_EEDaSX_SY_EUlSX_E_NS1_11comp_targetILNS1_3genE10ELNS1_11target_archE1200ELNS1_3gpuE4ELNS1_3repE0EEENS1_30default_config_static_selectorELNS0_4arch9wavefront6targetE1EEEvT1_,"axG",@progbits,_ZN7rocprim17ROCPRIM_400000_NS6detail17trampoline_kernelINS0_14default_configENS1_29reduce_by_key_config_selectorIllN6thrust23THRUST_200600_302600_NS4plusIlEEEEZZNS1_33reduce_by_key_impl_wrapped_configILNS1_25lookback_scan_determinismE0ES3_S9_PlNS6_17constant_iteratorIiNS6_11use_defaultESE_EENS6_10device_ptrIlEESH_PmS8_NS6_8equal_toIlEEEE10hipError_tPvRmT2_T3_mT4_T5_T6_T7_T8_P12ihipStream_tbENKUlT_T0_E_clISt17integral_constantIbLb0EES12_EEDaSX_SY_EUlSX_E_NS1_11comp_targetILNS1_3genE10ELNS1_11target_archE1200ELNS1_3gpuE4ELNS1_3repE0EEENS1_30default_config_static_selectorELNS0_4arch9wavefront6targetE1EEEvT1_,comdat
.Lfunc_end1210:
	.size	_ZN7rocprim17ROCPRIM_400000_NS6detail17trampoline_kernelINS0_14default_configENS1_29reduce_by_key_config_selectorIllN6thrust23THRUST_200600_302600_NS4plusIlEEEEZZNS1_33reduce_by_key_impl_wrapped_configILNS1_25lookback_scan_determinismE0ES3_S9_PlNS6_17constant_iteratorIiNS6_11use_defaultESE_EENS6_10device_ptrIlEESH_PmS8_NS6_8equal_toIlEEEE10hipError_tPvRmT2_T3_mT4_T5_T6_T7_T8_P12ihipStream_tbENKUlT_T0_E_clISt17integral_constantIbLb0EES12_EEDaSX_SY_EUlSX_E_NS1_11comp_targetILNS1_3genE10ELNS1_11target_archE1200ELNS1_3gpuE4ELNS1_3repE0EEENS1_30default_config_static_selectorELNS0_4arch9wavefront6targetE1EEEvT1_, .Lfunc_end1210-_ZN7rocprim17ROCPRIM_400000_NS6detail17trampoline_kernelINS0_14default_configENS1_29reduce_by_key_config_selectorIllN6thrust23THRUST_200600_302600_NS4plusIlEEEEZZNS1_33reduce_by_key_impl_wrapped_configILNS1_25lookback_scan_determinismE0ES3_S9_PlNS6_17constant_iteratorIiNS6_11use_defaultESE_EENS6_10device_ptrIlEESH_PmS8_NS6_8equal_toIlEEEE10hipError_tPvRmT2_T3_mT4_T5_T6_T7_T8_P12ihipStream_tbENKUlT_T0_E_clISt17integral_constantIbLb0EES12_EEDaSX_SY_EUlSX_E_NS1_11comp_targetILNS1_3genE10ELNS1_11target_archE1200ELNS1_3gpuE4ELNS1_3repE0EEENS1_30default_config_static_selectorELNS0_4arch9wavefront6targetE1EEEvT1_
                                        ; -- End function
	.section	.AMDGPU.csdata,"",@progbits
; Kernel info:
; codeLenInByte = 0
; NumSgprs: 4
; NumVgprs: 0
; NumAgprs: 0
; TotalNumVgprs: 0
; ScratchSize: 0
; MemoryBound: 0
; FloatMode: 240
; IeeeMode: 1
; LDSByteSize: 0 bytes/workgroup (compile time only)
; SGPRBlocks: 0
; VGPRBlocks: 0
; NumSGPRsForWavesPerEU: 4
; NumVGPRsForWavesPerEU: 1
; AccumOffset: 4
; Occupancy: 8
; WaveLimiterHint : 0
; COMPUTE_PGM_RSRC2:SCRATCH_EN: 0
; COMPUTE_PGM_RSRC2:USER_SGPR: 6
; COMPUTE_PGM_RSRC2:TRAP_HANDLER: 0
; COMPUTE_PGM_RSRC2:TGID_X_EN: 1
; COMPUTE_PGM_RSRC2:TGID_Y_EN: 0
; COMPUTE_PGM_RSRC2:TGID_Z_EN: 0
; COMPUTE_PGM_RSRC2:TIDIG_COMP_CNT: 0
; COMPUTE_PGM_RSRC3_GFX90A:ACCUM_OFFSET: 0
; COMPUTE_PGM_RSRC3_GFX90A:TG_SPLIT: 0
	.section	.text._ZN7rocprim17ROCPRIM_400000_NS6detail17trampoline_kernelINS0_14default_configENS1_29reduce_by_key_config_selectorIllN6thrust23THRUST_200600_302600_NS4plusIlEEEEZZNS1_33reduce_by_key_impl_wrapped_configILNS1_25lookback_scan_determinismE0ES3_S9_PlNS6_17constant_iteratorIiNS6_11use_defaultESE_EENS6_10device_ptrIlEESH_PmS8_NS6_8equal_toIlEEEE10hipError_tPvRmT2_T3_mT4_T5_T6_T7_T8_P12ihipStream_tbENKUlT_T0_E_clISt17integral_constantIbLb0EES12_EEDaSX_SY_EUlSX_E_NS1_11comp_targetILNS1_3genE9ELNS1_11target_archE1100ELNS1_3gpuE3ELNS1_3repE0EEENS1_30default_config_static_selectorELNS0_4arch9wavefront6targetE1EEEvT1_,"axG",@progbits,_ZN7rocprim17ROCPRIM_400000_NS6detail17trampoline_kernelINS0_14default_configENS1_29reduce_by_key_config_selectorIllN6thrust23THRUST_200600_302600_NS4plusIlEEEEZZNS1_33reduce_by_key_impl_wrapped_configILNS1_25lookback_scan_determinismE0ES3_S9_PlNS6_17constant_iteratorIiNS6_11use_defaultESE_EENS6_10device_ptrIlEESH_PmS8_NS6_8equal_toIlEEEE10hipError_tPvRmT2_T3_mT4_T5_T6_T7_T8_P12ihipStream_tbENKUlT_T0_E_clISt17integral_constantIbLb0EES12_EEDaSX_SY_EUlSX_E_NS1_11comp_targetILNS1_3genE9ELNS1_11target_archE1100ELNS1_3gpuE3ELNS1_3repE0EEENS1_30default_config_static_selectorELNS0_4arch9wavefront6targetE1EEEvT1_,comdat
	.protected	_ZN7rocprim17ROCPRIM_400000_NS6detail17trampoline_kernelINS0_14default_configENS1_29reduce_by_key_config_selectorIllN6thrust23THRUST_200600_302600_NS4plusIlEEEEZZNS1_33reduce_by_key_impl_wrapped_configILNS1_25lookback_scan_determinismE0ES3_S9_PlNS6_17constant_iteratorIiNS6_11use_defaultESE_EENS6_10device_ptrIlEESH_PmS8_NS6_8equal_toIlEEEE10hipError_tPvRmT2_T3_mT4_T5_T6_T7_T8_P12ihipStream_tbENKUlT_T0_E_clISt17integral_constantIbLb0EES12_EEDaSX_SY_EUlSX_E_NS1_11comp_targetILNS1_3genE9ELNS1_11target_archE1100ELNS1_3gpuE3ELNS1_3repE0EEENS1_30default_config_static_selectorELNS0_4arch9wavefront6targetE1EEEvT1_ ; -- Begin function _ZN7rocprim17ROCPRIM_400000_NS6detail17trampoline_kernelINS0_14default_configENS1_29reduce_by_key_config_selectorIllN6thrust23THRUST_200600_302600_NS4plusIlEEEEZZNS1_33reduce_by_key_impl_wrapped_configILNS1_25lookback_scan_determinismE0ES3_S9_PlNS6_17constant_iteratorIiNS6_11use_defaultESE_EENS6_10device_ptrIlEESH_PmS8_NS6_8equal_toIlEEEE10hipError_tPvRmT2_T3_mT4_T5_T6_T7_T8_P12ihipStream_tbENKUlT_T0_E_clISt17integral_constantIbLb0EES12_EEDaSX_SY_EUlSX_E_NS1_11comp_targetILNS1_3genE9ELNS1_11target_archE1100ELNS1_3gpuE3ELNS1_3repE0EEENS1_30default_config_static_selectorELNS0_4arch9wavefront6targetE1EEEvT1_
	.globl	_ZN7rocprim17ROCPRIM_400000_NS6detail17trampoline_kernelINS0_14default_configENS1_29reduce_by_key_config_selectorIllN6thrust23THRUST_200600_302600_NS4plusIlEEEEZZNS1_33reduce_by_key_impl_wrapped_configILNS1_25lookback_scan_determinismE0ES3_S9_PlNS6_17constant_iteratorIiNS6_11use_defaultESE_EENS6_10device_ptrIlEESH_PmS8_NS6_8equal_toIlEEEE10hipError_tPvRmT2_T3_mT4_T5_T6_T7_T8_P12ihipStream_tbENKUlT_T0_E_clISt17integral_constantIbLb0EES12_EEDaSX_SY_EUlSX_E_NS1_11comp_targetILNS1_3genE9ELNS1_11target_archE1100ELNS1_3gpuE3ELNS1_3repE0EEENS1_30default_config_static_selectorELNS0_4arch9wavefront6targetE1EEEvT1_
	.p2align	8
	.type	_ZN7rocprim17ROCPRIM_400000_NS6detail17trampoline_kernelINS0_14default_configENS1_29reduce_by_key_config_selectorIllN6thrust23THRUST_200600_302600_NS4plusIlEEEEZZNS1_33reduce_by_key_impl_wrapped_configILNS1_25lookback_scan_determinismE0ES3_S9_PlNS6_17constant_iteratorIiNS6_11use_defaultESE_EENS6_10device_ptrIlEESH_PmS8_NS6_8equal_toIlEEEE10hipError_tPvRmT2_T3_mT4_T5_T6_T7_T8_P12ihipStream_tbENKUlT_T0_E_clISt17integral_constantIbLb0EES12_EEDaSX_SY_EUlSX_E_NS1_11comp_targetILNS1_3genE9ELNS1_11target_archE1100ELNS1_3gpuE3ELNS1_3repE0EEENS1_30default_config_static_selectorELNS0_4arch9wavefront6targetE1EEEvT1_,@function
_ZN7rocprim17ROCPRIM_400000_NS6detail17trampoline_kernelINS0_14default_configENS1_29reduce_by_key_config_selectorIllN6thrust23THRUST_200600_302600_NS4plusIlEEEEZZNS1_33reduce_by_key_impl_wrapped_configILNS1_25lookback_scan_determinismE0ES3_S9_PlNS6_17constant_iteratorIiNS6_11use_defaultESE_EENS6_10device_ptrIlEESH_PmS8_NS6_8equal_toIlEEEE10hipError_tPvRmT2_T3_mT4_T5_T6_T7_T8_P12ihipStream_tbENKUlT_T0_E_clISt17integral_constantIbLb0EES12_EEDaSX_SY_EUlSX_E_NS1_11comp_targetILNS1_3genE9ELNS1_11target_archE1100ELNS1_3gpuE3ELNS1_3repE0EEENS1_30default_config_static_selectorELNS0_4arch9wavefront6targetE1EEEvT1_: ; @_ZN7rocprim17ROCPRIM_400000_NS6detail17trampoline_kernelINS0_14default_configENS1_29reduce_by_key_config_selectorIllN6thrust23THRUST_200600_302600_NS4plusIlEEEEZZNS1_33reduce_by_key_impl_wrapped_configILNS1_25lookback_scan_determinismE0ES3_S9_PlNS6_17constant_iteratorIiNS6_11use_defaultESE_EENS6_10device_ptrIlEESH_PmS8_NS6_8equal_toIlEEEE10hipError_tPvRmT2_T3_mT4_T5_T6_T7_T8_P12ihipStream_tbENKUlT_T0_E_clISt17integral_constantIbLb0EES12_EEDaSX_SY_EUlSX_E_NS1_11comp_targetILNS1_3genE9ELNS1_11target_archE1100ELNS1_3gpuE3ELNS1_3repE0EEENS1_30default_config_static_selectorELNS0_4arch9wavefront6targetE1EEEvT1_
; %bb.0:
	.section	.rodata,"a",@progbits
	.p2align	6, 0x0
	.amdhsa_kernel _ZN7rocprim17ROCPRIM_400000_NS6detail17trampoline_kernelINS0_14default_configENS1_29reduce_by_key_config_selectorIllN6thrust23THRUST_200600_302600_NS4plusIlEEEEZZNS1_33reduce_by_key_impl_wrapped_configILNS1_25lookback_scan_determinismE0ES3_S9_PlNS6_17constant_iteratorIiNS6_11use_defaultESE_EENS6_10device_ptrIlEESH_PmS8_NS6_8equal_toIlEEEE10hipError_tPvRmT2_T3_mT4_T5_T6_T7_T8_P12ihipStream_tbENKUlT_T0_E_clISt17integral_constantIbLb0EES12_EEDaSX_SY_EUlSX_E_NS1_11comp_targetILNS1_3genE9ELNS1_11target_archE1100ELNS1_3gpuE3ELNS1_3repE0EEENS1_30default_config_static_selectorELNS0_4arch9wavefront6targetE1EEEvT1_
		.amdhsa_group_segment_fixed_size 0
		.amdhsa_private_segment_fixed_size 0
		.amdhsa_kernarg_size 144
		.amdhsa_user_sgpr_count 6
		.amdhsa_user_sgpr_private_segment_buffer 1
		.amdhsa_user_sgpr_dispatch_ptr 0
		.amdhsa_user_sgpr_queue_ptr 0
		.amdhsa_user_sgpr_kernarg_segment_ptr 1
		.amdhsa_user_sgpr_dispatch_id 0
		.amdhsa_user_sgpr_flat_scratch_init 0
		.amdhsa_user_sgpr_kernarg_preload_length 0
		.amdhsa_user_sgpr_kernarg_preload_offset 0
		.amdhsa_user_sgpr_private_segment_size 0
		.amdhsa_uses_dynamic_stack 0
		.amdhsa_system_sgpr_private_segment_wavefront_offset 0
		.amdhsa_system_sgpr_workgroup_id_x 1
		.amdhsa_system_sgpr_workgroup_id_y 0
		.amdhsa_system_sgpr_workgroup_id_z 0
		.amdhsa_system_sgpr_workgroup_info 0
		.amdhsa_system_vgpr_workitem_id 0
		.amdhsa_next_free_vgpr 1
		.amdhsa_next_free_sgpr 0
		.amdhsa_accum_offset 4
		.amdhsa_reserve_vcc 0
		.amdhsa_reserve_flat_scratch 0
		.amdhsa_float_round_mode_32 0
		.amdhsa_float_round_mode_16_64 0
		.amdhsa_float_denorm_mode_32 3
		.amdhsa_float_denorm_mode_16_64 3
		.amdhsa_dx10_clamp 1
		.amdhsa_ieee_mode 1
		.amdhsa_fp16_overflow 0
		.amdhsa_tg_split 0
		.amdhsa_exception_fp_ieee_invalid_op 0
		.amdhsa_exception_fp_denorm_src 0
		.amdhsa_exception_fp_ieee_div_zero 0
		.amdhsa_exception_fp_ieee_overflow 0
		.amdhsa_exception_fp_ieee_underflow 0
		.amdhsa_exception_fp_ieee_inexact 0
		.amdhsa_exception_int_div_zero 0
	.end_amdhsa_kernel
	.section	.text._ZN7rocprim17ROCPRIM_400000_NS6detail17trampoline_kernelINS0_14default_configENS1_29reduce_by_key_config_selectorIllN6thrust23THRUST_200600_302600_NS4plusIlEEEEZZNS1_33reduce_by_key_impl_wrapped_configILNS1_25lookback_scan_determinismE0ES3_S9_PlNS6_17constant_iteratorIiNS6_11use_defaultESE_EENS6_10device_ptrIlEESH_PmS8_NS6_8equal_toIlEEEE10hipError_tPvRmT2_T3_mT4_T5_T6_T7_T8_P12ihipStream_tbENKUlT_T0_E_clISt17integral_constantIbLb0EES12_EEDaSX_SY_EUlSX_E_NS1_11comp_targetILNS1_3genE9ELNS1_11target_archE1100ELNS1_3gpuE3ELNS1_3repE0EEENS1_30default_config_static_selectorELNS0_4arch9wavefront6targetE1EEEvT1_,"axG",@progbits,_ZN7rocprim17ROCPRIM_400000_NS6detail17trampoline_kernelINS0_14default_configENS1_29reduce_by_key_config_selectorIllN6thrust23THRUST_200600_302600_NS4plusIlEEEEZZNS1_33reduce_by_key_impl_wrapped_configILNS1_25lookback_scan_determinismE0ES3_S9_PlNS6_17constant_iteratorIiNS6_11use_defaultESE_EENS6_10device_ptrIlEESH_PmS8_NS6_8equal_toIlEEEE10hipError_tPvRmT2_T3_mT4_T5_T6_T7_T8_P12ihipStream_tbENKUlT_T0_E_clISt17integral_constantIbLb0EES12_EEDaSX_SY_EUlSX_E_NS1_11comp_targetILNS1_3genE9ELNS1_11target_archE1100ELNS1_3gpuE3ELNS1_3repE0EEENS1_30default_config_static_selectorELNS0_4arch9wavefront6targetE1EEEvT1_,comdat
.Lfunc_end1211:
	.size	_ZN7rocprim17ROCPRIM_400000_NS6detail17trampoline_kernelINS0_14default_configENS1_29reduce_by_key_config_selectorIllN6thrust23THRUST_200600_302600_NS4plusIlEEEEZZNS1_33reduce_by_key_impl_wrapped_configILNS1_25lookback_scan_determinismE0ES3_S9_PlNS6_17constant_iteratorIiNS6_11use_defaultESE_EENS6_10device_ptrIlEESH_PmS8_NS6_8equal_toIlEEEE10hipError_tPvRmT2_T3_mT4_T5_T6_T7_T8_P12ihipStream_tbENKUlT_T0_E_clISt17integral_constantIbLb0EES12_EEDaSX_SY_EUlSX_E_NS1_11comp_targetILNS1_3genE9ELNS1_11target_archE1100ELNS1_3gpuE3ELNS1_3repE0EEENS1_30default_config_static_selectorELNS0_4arch9wavefront6targetE1EEEvT1_, .Lfunc_end1211-_ZN7rocprim17ROCPRIM_400000_NS6detail17trampoline_kernelINS0_14default_configENS1_29reduce_by_key_config_selectorIllN6thrust23THRUST_200600_302600_NS4plusIlEEEEZZNS1_33reduce_by_key_impl_wrapped_configILNS1_25lookback_scan_determinismE0ES3_S9_PlNS6_17constant_iteratorIiNS6_11use_defaultESE_EENS6_10device_ptrIlEESH_PmS8_NS6_8equal_toIlEEEE10hipError_tPvRmT2_T3_mT4_T5_T6_T7_T8_P12ihipStream_tbENKUlT_T0_E_clISt17integral_constantIbLb0EES12_EEDaSX_SY_EUlSX_E_NS1_11comp_targetILNS1_3genE9ELNS1_11target_archE1100ELNS1_3gpuE3ELNS1_3repE0EEENS1_30default_config_static_selectorELNS0_4arch9wavefront6targetE1EEEvT1_
                                        ; -- End function
	.section	.AMDGPU.csdata,"",@progbits
; Kernel info:
; codeLenInByte = 0
; NumSgprs: 4
; NumVgprs: 0
; NumAgprs: 0
; TotalNumVgprs: 0
; ScratchSize: 0
; MemoryBound: 0
; FloatMode: 240
; IeeeMode: 1
; LDSByteSize: 0 bytes/workgroup (compile time only)
; SGPRBlocks: 0
; VGPRBlocks: 0
; NumSGPRsForWavesPerEU: 4
; NumVGPRsForWavesPerEU: 1
; AccumOffset: 4
; Occupancy: 8
; WaveLimiterHint : 0
; COMPUTE_PGM_RSRC2:SCRATCH_EN: 0
; COMPUTE_PGM_RSRC2:USER_SGPR: 6
; COMPUTE_PGM_RSRC2:TRAP_HANDLER: 0
; COMPUTE_PGM_RSRC2:TGID_X_EN: 1
; COMPUTE_PGM_RSRC2:TGID_Y_EN: 0
; COMPUTE_PGM_RSRC2:TGID_Z_EN: 0
; COMPUTE_PGM_RSRC2:TIDIG_COMP_CNT: 0
; COMPUTE_PGM_RSRC3_GFX90A:ACCUM_OFFSET: 0
; COMPUTE_PGM_RSRC3_GFX90A:TG_SPLIT: 0
	.section	.text._ZN7rocprim17ROCPRIM_400000_NS6detail17trampoline_kernelINS0_14default_configENS1_29reduce_by_key_config_selectorIllN6thrust23THRUST_200600_302600_NS4plusIlEEEEZZNS1_33reduce_by_key_impl_wrapped_configILNS1_25lookback_scan_determinismE0ES3_S9_PlNS6_17constant_iteratorIiNS6_11use_defaultESE_EENS6_10device_ptrIlEESH_PmS8_NS6_8equal_toIlEEEE10hipError_tPvRmT2_T3_mT4_T5_T6_T7_T8_P12ihipStream_tbENKUlT_T0_E_clISt17integral_constantIbLb0EES12_EEDaSX_SY_EUlSX_E_NS1_11comp_targetILNS1_3genE8ELNS1_11target_archE1030ELNS1_3gpuE2ELNS1_3repE0EEENS1_30default_config_static_selectorELNS0_4arch9wavefront6targetE1EEEvT1_,"axG",@progbits,_ZN7rocprim17ROCPRIM_400000_NS6detail17trampoline_kernelINS0_14default_configENS1_29reduce_by_key_config_selectorIllN6thrust23THRUST_200600_302600_NS4plusIlEEEEZZNS1_33reduce_by_key_impl_wrapped_configILNS1_25lookback_scan_determinismE0ES3_S9_PlNS6_17constant_iteratorIiNS6_11use_defaultESE_EENS6_10device_ptrIlEESH_PmS8_NS6_8equal_toIlEEEE10hipError_tPvRmT2_T3_mT4_T5_T6_T7_T8_P12ihipStream_tbENKUlT_T0_E_clISt17integral_constantIbLb0EES12_EEDaSX_SY_EUlSX_E_NS1_11comp_targetILNS1_3genE8ELNS1_11target_archE1030ELNS1_3gpuE2ELNS1_3repE0EEENS1_30default_config_static_selectorELNS0_4arch9wavefront6targetE1EEEvT1_,comdat
	.protected	_ZN7rocprim17ROCPRIM_400000_NS6detail17trampoline_kernelINS0_14default_configENS1_29reduce_by_key_config_selectorIllN6thrust23THRUST_200600_302600_NS4plusIlEEEEZZNS1_33reduce_by_key_impl_wrapped_configILNS1_25lookback_scan_determinismE0ES3_S9_PlNS6_17constant_iteratorIiNS6_11use_defaultESE_EENS6_10device_ptrIlEESH_PmS8_NS6_8equal_toIlEEEE10hipError_tPvRmT2_T3_mT4_T5_T6_T7_T8_P12ihipStream_tbENKUlT_T0_E_clISt17integral_constantIbLb0EES12_EEDaSX_SY_EUlSX_E_NS1_11comp_targetILNS1_3genE8ELNS1_11target_archE1030ELNS1_3gpuE2ELNS1_3repE0EEENS1_30default_config_static_selectorELNS0_4arch9wavefront6targetE1EEEvT1_ ; -- Begin function _ZN7rocprim17ROCPRIM_400000_NS6detail17trampoline_kernelINS0_14default_configENS1_29reduce_by_key_config_selectorIllN6thrust23THRUST_200600_302600_NS4plusIlEEEEZZNS1_33reduce_by_key_impl_wrapped_configILNS1_25lookback_scan_determinismE0ES3_S9_PlNS6_17constant_iteratorIiNS6_11use_defaultESE_EENS6_10device_ptrIlEESH_PmS8_NS6_8equal_toIlEEEE10hipError_tPvRmT2_T3_mT4_T5_T6_T7_T8_P12ihipStream_tbENKUlT_T0_E_clISt17integral_constantIbLb0EES12_EEDaSX_SY_EUlSX_E_NS1_11comp_targetILNS1_3genE8ELNS1_11target_archE1030ELNS1_3gpuE2ELNS1_3repE0EEENS1_30default_config_static_selectorELNS0_4arch9wavefront6targetE1EEEvT1_
	.globl	_ZN7rocprim17ROCPRIM_400000_NS6detail17trampoline_kernelINS0_14default_configENS1_29reduce_by_key_config_selectorIllN6thrust23THRUST_200600_302600_NS4plusIlEEEEZZNS1_33reduce_by_key_impl_wrapped_configILNS1_25lookback_scan_determinismE0ES3_S9_PlNS6_17constant_iteratorIiNS6_11use_defaultESE_EENS6_10device_ptrIlEESH_PmS8_NS6_8equal_toIlEEEE10hipError_tPvRmT2_T3_mT4_T5_T6_T7_T8_P12ihipStream_tbENKUlT_T0_E_clISt17integral_constantIbLb0EES12_EEDaSX_SY_EUlSX_E_NS1_11comp_targetILNS1_3genE8ELNS1_11target_archE1030ELNS1_3gpuE2ELNS1_3repE0EEENS1_30default_config_static_selectorELNS0_4arch9wavefront6targetE1EEEvT1_
	.p2align	8
	.type	_ZN7rocprim17ROCPRIM_400000_NS6detail17trampoline_kernelINS0_14default_configENS1_29reduce_by_key_config_selectorIllN6thrust23THRUST_200600_302600_NS4plusIlEEEEZZNS1_33reduce_by_key_impl_wrapped_configILNS1_25lookback_scan_determinismE0ES3_S9_PlNS6_17constant_iteratorIiNS6_11use_defaultESE_EENS6_10device_ptrIlEESH_PmS8_NS6_8equal_toIlEEEE10hipError_tPvRmT2_T3_mT4_T5_T6_T7_T8_P12ihipStream_tbENKUlT_T0_E_clISt17integral_constantIbLb0EES12_EEDaSX_SY_EUlSX_E_NS1_11comp_targetILNS1_3genE8ELNS1_11target_archE1030ELNS1_3gpuE2ELNS1_3repE0EEENS1_30default_config_static_selectorELNS0_4arch9wavefront6targetE1EEEvT1_,@function
_ZN7rocprim17ROCPRIM_400000_NS6detail17trampoline_kernelINS0_14default_configENS1_29reduce_by_key_config_selectorIllN6thrust23THRUST_200600_302600_NS4plusIlEEEEZZNS1_33reduce_by_key_impl_wrapped_configILNS1_25lookback_scan_determinismE0ES3_S9_PlNS6_17constant_iteratorIiNS6_11use_defaultESE_EENS6_10device_ptrIlEESH_PmS8_NS6_8equal_toIlEEEE10hipError_tPvRmT2_T3_mT4_T5_T6_T7_T8_P12ihipStream_tbENKUlT_T0_E_clISt17integral_constantIbLb0EES12_EEDaSX_SY_EUlSX_E_NS1_11comp_targetILNS1_3genE8ELNS1_11target_archE1030ELNS1_3gpuE2ELNS1_3repE0EEENS1_30default_config_static_selectorELNS0_4arch9wavefront6targetE1EEEvT1_: ; @_ZN7rocprim17ROCPRIM_400000_NS6detail17trampoline_kernelINS0_14default_configENS1_29reduce_by_key_config_selectorIllN6thrust23THRUST_200600_302600_NS4plusIlEEEEZZNS1_33reduce_by_key_impl_wrapped_configILNS1_25lookback_scan_determinismE0ES3_S9_PlNS6_17constant_iteratorIiNS6_11use_defaultESE_EENS6_10device_ptrIlEESH_PmS8_NS6_8equal_toIlEEEE10hipError_tPvRmT2_T3_mT4_T5_T6_T7_T8_P12ihipStream_tbENKUlT_T0_E_clISt17integral_constantIbLb0EES12_EEDaSX_SY_EUlSX_E_NS1_11comp_targetILNS1_3genE8ELNS1_11target_archE1030ELNS1_3gpuE2ELNS1_3repE0EEENS1_30default_config_static_selectorELNS0_4arch9wavefront6targetE1EEEvT1_
; %bb.0:
	.section	.rodata,"a",@progbits
	.p2align	6, 0x0
	.amdhsa_kernel _ZN7rocprim17ROCPRIM_400000_NS6detail17trampoline_kernelINS0_14default_configENS1_29reduce_by_key_config_selectorIllN6thrust23THRUST_200600_302600_NS4plusIlEEEEZZNS1_33reduce_by_key_impl_wrapped_configILNS1_25lookback_scan_determinismE0ES3_S9_PlNS6_17constant_iteratorIiNS6_11use_defaultESE_EENS6_10device_ptrIlEESH_PmS8_NS6_8equal_toIlEEEE10hipError_tPvRmT2_T3_mT4_T5_T6_T7_T8_P12ihipStream_tbENKUlT_T0_E_clISt17integral_constantIbLb0EES12_EEDaSX_SY_EUlSX_E_NS1_11comp_targetILNS1_3genE8ELNS1_11target_archE1030ELNS1_3gpuE2ELNS1_3repE0EEENS1_30default_config_static_selectorELNS0_4arch9wavefront6targetE1EEEvT1_
		.amdhsa_group_segment_fixed_size 0
		.amdhsa_private_segment_fixed_size 0
		.amdhsa_kernarg_size 144
		.amdhsa_user_sgpr_count 6
		.amdhsa_user_sgpr_private_segment_buffer 1
		.amdhsa_user_sgpr_dispatch_ptr 0
		.amdhsa_user_sgpr_queue_ptr 0
		.amdhsa_user_sgpr_kernarg_segment_ptr 1
		.amdhsa_user_sgpr_dispatch_id 0
		.amdhsa_user_sgpr_flat_scratch_init 0
		.amdhsa_user_sgpr_kernarg_preload_length 0
		.amdhsa_user_sgpr_kernarg_preload_offset 0
		.amdhsa_user_sgpr_private_segment_size 0
		.amdhsa_uses_dynamic_stack 0
		.amdhsa_system_sgpr_private_segment_wavefront_offset 0
		.amdhsa_system_sgpr_workgroup_id_x 1
		.amdhsa_system_sgpr_workgroup_id_y 0
		.amdhsa_system_sgpr_workgroup_id_z 0
		.amdhsa_system_sgpr_workgroup_info 0
		.amdhsa_system_vgpr_workitem_id 0
		.amdhsa_next_free_vgpr 1
		.amdhsa_next_free_sgpr 0
		.amdhsa_accum_offset 4
		.amdhsa_reserve_vcc 0
		.amdhsa_reserve_flat_scratch 0
		.amdhsa_float_round_mode_32 0
		.amdhsa_float_round_mode_16_64 0
		.amdhsa_float_denorm_mode_32 3
		.amdhsa_float_denorm_mode_16_64 3
		.amdhsa_dx10_clamp 1
		.amdhsa_ieee_mode 1
		.amdhsa_fp16_overflow 0
		.amdhsa_tg_split 0
		.amdhsa_exception_fp_ieee_invalid_op 0
		.amdhsa_exception_fp_denorm_src 0
		.amdhsa_exception_fp_ieee_div_zero 0
		.amdhsa_exception_fp_ieee_overflow 0
		.amdhsa_exception_fp_ieee_underflow 0
		.amdhsa_exception_fp_ieee_inexact 0
		.amdhsa_exception_int_div_zero 0
	.end_amdhsa_kernel
	.section	.text._ZN7rocprim17ROCPRIM_400000_NS6detail17trampoline_kernelINS0_14default_configENS1_29reduce_by_key_config_selectorIllN6thrust23THRUST_200600_302600_NS4plusIlEEEEZZNS1_33reduce_by_key_impl_wrapped_configILNS1_25lookback_scan_determinismE0ES3_S9_PlNS6_17constant_iteratorIiNS6_11use_defaultESE_EENS6_10device_ptrIlEESH_PmS8_NS6_8equal_toIlEEEE10hipError_tPvRmT2_T3_mT4_T5_T6_T7_T8_P12ihipStream_tbENKUlT_T0_E_clISt17integral_constantIbLb0EES12_EEDaSX_SY_EUlSX_E_NS1_11comp_targetILNS1_3genE8ELNS1_11target_archE1030ELNS1_3gpuE2ELNS1_3repE0EEENS1_30default_config_static_selectorELNS0_4arch9wavefront6targetE1EEEvT1_,"axG",@progbits,_ZN7rocprim17ROCPRIM_400000_NS6detail17trampoline_kernelINS0_14default_configENS1_29reduce_by_key_config_selectorIllN6thrust23THRUST_200600_302600_NS4plusIlEEEEZZNS1_33reduce_by_key_impl_wrapped_configILNS1_25lookback_scan_determinismE0ES3_S9_PlNS6_17constant_iteratorIiNS6_11use_defaultESE_EENS6_10device_ptrIlEESH_PmS8_NS6_8equal_toIlEEEE10hipError_tPvRmT2_T3_mT4_T5_T6_T7_T8_P12ihipStream_tbENKUlT_T0_E_clISt17integral_constantIbLb0EES12_EEDaSX_SY_EUlSX_E_NS1_11comp_targetILNS1_3genE8ELNS1_11target_archE1030ELNS1_3gpuE2ELNS1_3repE0EEENS1_30default_config_static_selectorELNS0_4arch9wavefront6targetE1EEEvT1_,comdat
.Lfunc_end1212:
	.size	_ZN7rocprim17ROCPRIM_400000_NS6detail17trampoline_kernelINS0_14default_configENS1_29reduce_by_key_config_selectorIllN6thrust23THRUST_200600_302600_NS4plusIlEEEEZZNS1_33reduce_by_key_impl_wrapped_configILNS1_25lookback_scan_determinismE0ES3_S9_PlNS6_17constant_iteratorIiNS6_11use_defaultESE_EENS6_10device_ptrIlEESH_PmS8_NS6_8equal_toIlEEEE10hipError_tPvRmT2_T3_mT4_T5_T6_T7_T8_P12ihipStream_tbENKUlT_T0_E_clISt17integral_constantIbLb0EES12_EEDaSX_SY_EUlSX_E_NS1_11comp_targetILNS1_3genE8ELNS1_11target_archE1030ELNS1_3gpuE2ELNS1_3repE0EEENS1_30default_config_static_selectorELNS0_4arch9wavefront6targetE1EEEvT1_, .Lfunc_end1212-_ZN7rocprim17ROCPRIM_400000_NS6detail17trampoline_kernelINS0_14default_configENS1_29reduce_by_key_config_selectorIllN6thrust23THRUST_200600_302600_NS4plusIlEEEEZZNS1_33reduce_by_key_impl_wrapped_configILNS1_25lookback_scan_determinismE0ES3_S9_PlNS6_17constant_iteratorIiNS6_11use_defaultESE_EENS6_10device_ptrIlEESH_PmS8_NS6_8equal_toIlEEEE10hipError_tPvRmT2_T3_mT4_T5_T6_T7_T8_P12ihipStream_tbENKUlT_T0_E_clISt17integral_constantIbLb0EES12_EEDaSX_SY_EUlSX_E_NS1_11comp_targetILNS1_3genE8ELNS1_11target_archE1030ELNS1_3gpuE2ELNS1_3repE0EEENS1_30default_config_static_selectorELNS0_4arch9wavefront6targetE1EEEvT1_
                                        ; -- End function
	.section	.AMDGPU.csdata,"",@progbits
; Kernel info:
; codeLenInByte = 0
; NumSgprs: 4
; NumVgprs: 0
; NumAgprs: 0
; TotalNumVgprs: 0
; ScratchSize: 0
; MemoryBound: 0
; FloatMode: 240
; IeeeMode: 1
; LDSByteSize: 0 bytes/workgroup (compile time only)
; SGPRBlocks: 0
; VGPRBlocks: 0
; NumSGPRsForWavesPerEU: 4
; NumVGPRsForWavesPerEU: 1
; AccumOffset: 4
; Occupancy: 8
; WaveLimiterHint : 0
; COMPUTE_PGM_RSRC2:SCRATCH_EN: 0
; COMPUTE_PGM_RSRC2:USER_SGPR: 6
; COMPUTE_PGM_RSRC2:TRAP_HANDLER: 0
; COMPUTE_PGM_RSRC2:TGID_X_EN: 1
; COMPUTE_PGM_RSRC2:TGID_Y_EN: 0
; COMPUTE_PGM_RSRC2:TGID_Z_EN: 0
; COMPUTE_PGM_RSRC2:TIDIG_COMP_CNT: 0
; COMPUTE_PGM_RSRC3_GFX90A:ACCUM_OFFSET: 0
; COMPUTE_PGM_RSRC3_GFX90A:TG_SPLIT: 0
	.section	.text._ZN7rocprim17ROCPRIM_400000_NS6detail17trampoline_kernelINS0_14default_configENS1_29reduce_by_key_config_selectorIllN6thrust23THRUST_200600_302600_NS4plusIlEEEEZZNS1_33reduce_by_key_impl_wrapped_configILNS1_25lookback_scan_determinismE0ES3_S9_PlNS6_17constant_iteratorIiNS6_11use_defaultESE_EENS6_10device_ptrIlEESH_PmS8_NS6_8equal_toIlEEEE10hipError_tPvRmT2_T3_mT4_T5_T6_T7_T8_P12ihipStream_tbENKUlT_T0_E_clISt17integral_constantIbLb1EES12_EEDaSX_SY_EUlSX_E_NS1_11comp_targetILNS1_3genE0ELNS1_11target_archE4294967295ELNS1_3gpuE0ELNS1_3repE0EEENS1_30default_config_static_selectorELNS0_4arch9wavefront6targetE1EEEvT1_,"axG",@progbits,_ZN7rocprim17ROCPRIM_400000_NS6detail17trampoline_kernelINS0_14default_configENS1_29reduce_by_key_config_selectorIllN6thrust23THRUST_200600_302600_NS4plusIlEEEEZZNS1_33reduce_by_key_impl_wrapped_configILNS1_25lookback_scan_determinismE0ES3_S9_PlNS6_17constant_iteratorIiNS6_11use_defaultESE_EENS6_10device_ptrIlEESH_PmS8_NS6_8equal_toIlEEEE10hipError_tPvRmT2_T3_mT4_T5_T6_T7_T8_P12ihipStream_tbENKUlT_T0_E_clISt17integral_constantIbLb1EES12_EEDaSX_SY_EUlSX_E_NS1_11comp_targetILNS1_3genE0ELNS1_11target_archE4294967295ELNS1_3gpuE0ELNS1_3repE0EEENS1_30default_config_static_selectorELNS0_4arch9wavefront6targetE1EEEvT1_,comdat
	.protected	_ZN7rocprim17ROCPRIM_400000_NS6detail17trampoline_kernelINS0_14default_configENS1_29reduce_by_key_config_selectorIllN6thrust23THRUST_200600_302600_NS4plusIlEEEEZZNS1_33reduce_by_key_impl_wrapped_configILNS1_25lookback_scan_determinismE0ES3_S9_PlNS6_17constant_iteratorIiNS6_11use_defaultESE_EENS6_10device_ptrIlEESH_PmS8_NS6_8equal_toIlEEEE10hipError_tPvRmT2_T3_mT4_T5_T6_T7_T8_P12ihipStream_tbENKUlT_T0_E_clISt17integral_constantIbLb1EES12_EEDaSX_SY_EUlSX_E_NS1_11comp_targetILNS1_3genE0ELNS1_11target_archE4294967295ELNS1_3gpuE0ELNS1_3repE0EEENS1_30default_config_static_selectorELNS0_4arch9wavefront6targetE1EEEvT1_ ; -- Begin function _ZN7rocprim17ROCPRIM_400000_NS6detail17trampoline_kernelINS0_14default_configENS1_29reduce_by_key_config_selectorIllN6thrust23THRUST_200600_302600_NS4plusIlEEEEZZNS1_33reduce_by_key_impl_wrapped_configILNS1_25lookback_scan_determinismE0ES3_S9_PlNS6_17constant_iteratorIiNS6_11use_defaultESE_EENS6_10device_ptrIlEESH_PmS8_NS6_8equal_toIlEEEE10hipError_tPvRmT2_T3_mT4_T5_T6_T7_T8_P12ihipStream_tbENKUlT_T0_E_clISt17integral_constantIbLb1EES12_EEDaSX_SY_EUlSX_E_NS1_11comp_targetILNS1_3genE0ELNS1_11target_archE4294967295ELNS1_3gpuE0ELNS1_3repE0EEENS1_30default_config_static_selectorELNS0_4arch9wavefront6targetE1EEEvT1_
	.globl	_ZN7rocprim17ROCPRIM_400000_NS6detail17trampoline_kernelINS0_14default_configENS1_29reduce_by_key_config_selectorIllN6thrust23THRUST_200600_302600_NS4plusIlEEEEZZNS1_33reduce_by_key_impl_wrapped_configILNS1_25lookback_scan_determinismE0ES3_S9_PlNS6_17constant_iteratorIiNS6_11use_defaultESE_EENS6_10device_ptrIlEESH_PmS8_NS6_8equal_toIlEEEE10hipError_tPvRmT2_T3_mT4_T5_T6_T7_T8_P12ihipStream_tbENKUlT_T0_E_clISt17integral_constantIbLb1EES12_EEDaSX_SY_EUlSX_E_NS1_11comp_targetILNS1_3genE0ELNS1_11target_archE4294967295ELNS1_3gpuE0ELNS1_3repE0EEENS1_30default_config_static_selectorELNS0_4arch9wavefront6targetE1EEEvT1_
	.p2align	8
	.type	_ZN7rocprim17ROCPRIM_400000_NS6detail17trampoline_kernelINS0_14default_configENS1_29reduce_by_key_config_selectorIllN6thrust23THRUST_200600_302600_NS4plusIlEEEEZZNS1_33reduce_by_key_impl_wrapped_configILNS1_25lookback_scan_determinismE0ES3_S9_PlNS6_17constant_iteratorIiNS6_11use_defaultESE_EENS6_10device_ptrIlEESH_PmS8_NS6_8equal_toIlEEEE10hipError_tPvRmT2_T3_mT4_T5_T6_T7_T8_P12ihipStream_tbENKUlT_T0_E_clISt17integral_constantIbLb1EES12_EEDaSX_SY_EUlSX_E_NS1_11comp_targetILNS1_3genE0ELNS1_11target_archE4294967295ELNS1_3gpuE0ELNS1_3repE0EEENS1_30default_config_static_selectorELNS0_4arch9wavefront6targetE1EEEvT1_,@function
_ZN7rocprim17ROCPRIM_400000_NS6detail17trampoline_kernelINS0_14default_configENS1_29reduce_by_key_config_selectorIllN6thrust23THRUST_200600_302600_NS4plusIlEEEEZZNS1_33reduce_by_key_impl_wrapped_configILNS1_25lookback_scan_determinismE0ES3_S9_PlNS6_17constant_iteratorIiNS6_11use_defaultESE_EENS6_10device_ptrIlEESH_PmS8_NS6_8equal_toIlEEEE10hipError_tPvRmT2_T3_mT4_T5_T6_T7_T8_P12ihipStream_tbENKUlT_T0_E_clISt17integral_constantIbLb1EES12_EEDaSX_SY_EUlSX_E_NS1_11comp_targetILNS1_3genE0ELNS1_11target_archE4294967295ELNS1_3gpuE0ELNS1_3repE0EEENS1_30default_config_static_selectorELNS0_4arch9wavefront6targetE1EEEvT1_: ; @_ZN7rocprim17ROCPRIM_400000_NS6detail17trampoline_kernelINS0_14default_configENS1_29reduce_by_key_config_selectorIllN6thrust23THRUST_200600_302600_NS4plusIlEEEEZZNS1_33reduce_by_key_impl_wrapped_configILNS1_25lookback_scan_determinismE0ES3_S9_PlNS6_17constant_iteratorIiNS6_11use_defaultESE_EENS6_10device_ptrIlEESH_PmS8_NS6_8equal_toIlEEEE10hipError_tPvRmT2_T3_mT4_T5_T6_T7_T8_P12ihipStream_tbENKUlT_T0_E_clISt17integral_constantIbLb1EES12_EEDaSX_SY_EUlSX_E_NS1_11comp_targetILNS1_3genE0ELNS1_11target_archE4294967295ELNS1_3gpuE0ELNS1_3repE0EEENS1_30default_config_static_selectorELNS0_4arch9wavefront6targetE1EEEvT1_
; %bb.0:
	.section	.rodata,"a",@progbits
	.p2align	6, 0x0
	.amdhsa_kernel _ZN7rocprim17ROCPRIM_400000_NS6detail17trampoline_kernelINS0_14default_configENS1_29reduce_by_key_config_selectorIllN6thrust23THRUST_200600_302600_NS4plusIlEEEEZZNS1_33reduce_by_key_impl_wrapped_configILNS1_25lookback_scan_determinismE0ES3_S9_PlNS6_17constant_iteratorIiNS6_11use_defaultESE_EENS6_10device_ptrIlEESH_PmS8_NS6_8equal_toIlEEEE10hipError_tPvRmT2_T3_mT4_T5_T6_T7_T8_P12ihipStream_tbENKUlT_T0_E_clISt17integral_constantIbLb1EES12_EEDaSX_SY_EUlSX_E_NS1_11comp_targetILNS1_3genE0ELNS1_11target_archE4294967295ELNS1_3gpuE0ELNS1_3repE0EEENS1_30default_config_static_selectorELNS0_4arch9wavefront6targetE1EEEvT1_
		.amdhsa_group_segment_fixed_size 0
		.amdhsa_private_segment_fixed_size 0
		.amdhsa_kernarg_size 144
		.amdhsa_user_sgpr_count 6
		.amdhsa_user_sgpr_private_segment_buffer 1
		.amdhsa_user_sgpr_dispatch_ptr 0
		.amdhsa_user_sgpr_queue_ptr 0
		.amdhsa_user_sgpr_kernarg_segment_ptr 1
		.amdhsa_user_sgpr_dispatch_id 0
		.amdhsa_user_sgpr_flat_scratch_init 0
		.amdhsa_user_sgpr_kernarg_preload_length 0
		.amdhsa_user_sgpr_kernarg_preload_offset 0
		.amdhsa_user_sgpr_private_segment_size 0
		.amdhsa_uses_dynamic_stack 0
		.amdhsa_system_sgpr_private_segment_wavefront_offset 0
		.amdhsa_system_sgpr_workgroup_id_x 1
		.amdhsa_system_sgpr_workgroup_id_y 0
		.amdhsa_system_sgpr_workgroup_id_z 0
		.amdhsa_system_sgpr_workgroup_info 0
		.amdhsa_system_vgpr_workitem_id 0
		.amdhsa_next_free_vgpr 1
		.amdhsa_next_free_sgpr 0
		.amdhsa_accum_offset 4
		.amdhsa_reserve_vcc 0
		.amdhsa_reserve_flat_scratch 0
		.amdhsa_float_round_mode_32 0
		.amdhsa_float_round_mode_16_64 0
		.amdhsa_float_denorm_mode_32 3
		.amdhsa_float_denorm_mode_16_64 3
		.amdhsa_dx10_clamp 1
		.amdhsa_ieee_mode 1
		.amdhsa_fp16_overflow 0
		.amdhsa_tg_split 0
		.amdhsa_exception_fp_ieee_invalid_op 0
		.amdhsa_exception_fp_denorm_src 0
		.amdhsa_exception_fp_ieee_div_zero 0
		.amdhsa_exception_fp_ieee_overflow 0
		.amdhsa_exception_fp_ieee_underflow 0
		.amdhsa_exception_fp_ieee_inexact 0
		.amdhsa_exception_int_div_zero 0
	.end_amdhsa_kernel
	.section	.text._ZN7rocprim17ROCPRIM_400000_NS6detail17trampoline_kernelINS0_14default_configENS1_29reduce_by_key_config_selectorIllN6thrust23THRUST_200600_302600_NS4plusIlEEEEZZNS1_33reduce_by_key_impl_wrapped_configILNS1_25lookback_scan_determinismE0ES3_S9_PlNS6_17constant_iteratorIiNS6_11use_defaultESE_EENS6_10device_ptrIlEESH_PmS8_NS6_8equal_toIlEEEE10hipError_tPvRmT2_T3_mT4_T5_T6_T7_T8_P12ihipStream_tbENKUlT_T0_E_clISt17integral_constantIbLb1EES12_EEDaSX_SY_EUlSX_E_NS1_11comp_targetILNS1_3genE0ELNS1_11target_archE4294967295ELNS1_3gpuE0ELNS1_3repE0EEENS1_30default_config_static_selectorELNS0_4arch9wavefront6targetE1EEEvT1_,"axG",@progbits,_ZN7rocprim17ROCPRIM_400000_NS6detail17trampoline_kernelINS0_14default_configENS1_29reduce_by_key_config_selectorIllN6thrust23THRUST_200600_302600_NS4plusIlEEEEZZNS1_33reduce_by_key_impl_wrapped_configILNS1_25lookback_scan_determinismE0ES3_S9_PlNS6_17constant_iteratorIiNS6_11use_defaultESE_EENS6_10device_ptrIlEESH_PmS8_NS6_8equal_toIlEEEE10hipError_tPvRmT2_T3_mT4_T5_T6_T7_T8_P12ihipStream_tbENKUlT_T0_E_clISt17integral_constantIbLb1EES12_EEDaSX_SY_EUlSX_E_NS1_11comp_targetILNS1_3genE0ELNS1_11target_archE4294967295ELNS1_3gpuE0ELNS1_3repE0EEENS1_30default_config_static_selectorELNS0_4arch9wavefront6targetE1EEEvT1_,comdat
.Lfunc_end1213:
	.size	_ZN7rocprim17ROCPRIM_400000_NS6detail17trampoline_kernelINS0_14default_configENS1_29reduce_by_key_config_selectorIllN6thrust23THRUST_200600_302600_NS4plusIlEEEEZZNS1_33reduce_by_key_impl_wrapped_configILNS1_25lookback_scan_determinismE0ES3_S9_PlNS6_17constant_iteratorIiNS6_11use_defaultESE_EENS6_10device_ptrIlEESH_PmS8_NS6_8equal_toIlEEEE10hipError_tPvRmT2_T3_mT4_T5_T6_T7_T8_P12ihipStream_tbENKUlT_T0_E_clISt17integral_constantIbLb1EES12_EEDaSX_SY_EUlSX_E_NS1_11comp_targetILNS1_3genE0ELNS1_11target_archE4294967295ELNS1_3gpuE0ELNS1_3repE0EEENS1_30default_config_static_selectorELNS0_4arch9wavefront6targetE1EEEvT1_, .Lfunc_end1213-_ZN7rocprim17ROCPRIM_400000_NS6detail17trampoline_kernelINS0_14default_configENS1_29reduce_by_key_config_selectorIllN6thrust23THRUST_200600_302600_NS4plusIlEEEEZZNS1_33reduce_by_key_impl_wrapped_configILNS1_25lookback_scan_determinismE0ES3_S9_PlNS6_17constant_iteratorIiNS6_11use_defaultESE_EENS6_10device_ptrIlEESH_PmS8_NS6_8equal_toIlEEEE10hipError_tPvRmT2_T3_mT4_T5_T6_T7_T8_P12ihipStream_tbENKUlT_T0_E_clISt17integral_constantIbLb1EES12_EEDaSX_SY_EUlSX_E_NS1_11comp_targetILNS1_3genE0ELNS1_11target_archE4294967295ELNS1_3gpuE0ELNS1_3repE0EEENS1_30default_config_static_selectorELNS0_4arch9wavefront6targetE1EEEvT1_
                                        ; -- End function
	.section	.AMDGPU.csdata,"",@progbits
; Kernel info:
; codeLenInByte = 0
; NumSgprs: 4
; NumVgprs: 0
; NumAgprs: 0
; TotalNumVgprs: 0
; ScratchSize: 0
; MemoryBound: 0
; FloatMode: 240
; IeeeMode: 1
; LDSByteSize: 0 bytes/workgroup (compile time only)
; SGPRBlocks: 0
; VGPRBlocks: 0
; NumSGPRsForWavesPerEU: 4
; NumVGPRsForWavesPerEU: 1
; AccumOffset: 4
; Occupancy: 8
; WaveLimiterHint : 0
; COMPUTE_PGM_RSRC2:SCRATCH_EN: 0
; COMPUTE_PGM_RSRC2:USER_SGPR: 6
; COMPUTE_PGM_RSRC2:TRAP_HANDLER: 0
; COMPUTE_PGM_RSRC2:TGID_X_EN: 1
; COMPUTE_PGM_RSRC2:TGID_Y_EN: 0
; COMPUTE_PGM_RSRC2:TGID_Z_EN: 0
; COMPUTE_PGM_RSRC2:TIDIG_COMP_CNT: 0
; COMPUTE_PGM_RSRC3_GFX90A:ACCUM_OFFSET: 0
; COMPUTE_PGM_RSRC3_GFX90A:TG_SPLIT: 0
	.section	.text._ZN7rocprim17ROCPRIM_400000_NS6detail17trampoline_kernelINS0_14default_configENS1_29reduce_by_key_config_selectorIllN6thrust23THRUST_200600_302600_NS4plusIlEEEEZZNS1_33reduce_by_key_impl_wrapped_configILNS1_25lookback_scan_determinismE0ES3_S9_PlNS6_17constant_iteratorIiNS6_11use_defaultESE_EENS6_10device_ptrIlEESH_PmS8_NS6_8equal_toIlEEEE10hipError_tPvRmT2_T3_mT4_T5_T6_T7_T8_P12ihipStream_tbENKUlT_T0_E_clISt17integral_constantIbLb1EES12_EEDaSX_SY_EUlSX_E_NS1_11comp_targetILNS1_3genE5ELNS1_11target_archE942ELNS1_3gpuE9ELNS1_3repE0EEENS1_30default_config_static_selectorELNS0_4arch9wavefront6targetE1EEEvT1_,"axG",@progbits,_ZN7rocprim17ROCPRIM_400000_NS6detail17trampoline_kernelINS0_14default_configENS1_29reduce_by_key_config_selectorIllN6thrust23THRUST_200600_302600_NS4plusIlEEEEZZNS1_33reduce_by_key_impl_wrapped_configILNS1_25lookback_scan_determinismE0ES3_S9_PlNS6_17constant_iteratorIiNS6_11use_defaultESE_EENS6_10device_ptrIlEESH_PmS8_NS6_8equal_toIlEEEE10hipError_tPvRmT2_T3_mT4_T5_T6_T7_T8_P12ihipStream_tbENKUlT_T0_E_clISt17integral_constantIbLb1EES12_EEDaSX_SY_EUlSX_E_NS1_11comp_targetILNS1_3genE5ELNS1_11target_archE942ELNS1_3gpuE9ELNS1_3repE0EEENS1_30default_config_static_selectorELNS0_4arch9wavefront6targetE1EEEvT1_,comdat
	.protected	_ZN7rocprim17ROCPRIM_400000_NS6detail17trampoline_kernelINS0_14default_configENS1_29reduce_by_key_config_selectorIllN6thrust23THRUST_200600_302600_NS4plusIlEEEEZZNS1_33reduce_by_key_impl_wrapped_configILNS1_25lookback_scan_determinismE0ES3_S9_PlNS6_17constant_iteratorIiNS6_11use_defaultESE_EENS6_10device_ptrIlEESH_PmS8_NS6_8equal_toIlEEEE10hipError_tPvRmT2_T3_mT4_T5_T6_T7_T8_P12ihipStream_tbENKUlT_T0_E_clISt17integral_constantIbLb1EES12_EEDaSX_SY_EUlSX_E_NS1_11comp_targetILNS1_3genE5ELNS1_11target_archE942ELNS1_3gpuE9ELNS1_3repE0EEENS1_30default_config_static_selectorELNS0_4arch9wavefront6targetE1EEEvT1_ ; -- Begin function _ZN7rocprim17ROCPRIM_400000_NS6detail17trampoline_kernelINS0_14default_configENS1_29reduce_by_key_config_selectorIllN6thrust23THRUST_200600_302600_NS4plusIlEEEEZZNS1_33reduce_by_key_impl_wrapped_configILNS1_25lookback_scan_determinismE0ES3_S9_PlNS6_17constant_iteratorIiNS6_11use_defaultESE_EENS6_10device_ptrIlEESH_PmS8_NS6_8equal_toIlEEEE10hipError_tPvRmT2_T3_mT4_T5_T6_T7_T8_P12ihipStream_tbENKUlT_T0_E_clISt17integral_constantIbLb1EES12_EEDaSX_SY_EUlSX_E_NS1_11comp_targetILNS1_3genE5ELNS1_11target_archE942ELNS1_3gpuE9ELNS1_3repE0EEENS1_30default_config_static_selectorELNS0_4arch9wavefront6targetE1EEEvT1_
	.globl	_ZN7rocprim17ROCPRIM_400000_NS6detail17trampoline_kernelINS0_14default_configENS1_29reduce_by_key_config_selectorIllN6thrust23THRUST_200600_302600_NS4plusIlEEEEZZNS1_33reduce_by_key_impl_wrapped_configILNS1_25lookback_scan_determinismE0ES3_S9_PlNS6_17constant_iteratorIiNS6_11use_defaultESE_EENS6_10device_ptrIlEESH_PmS8_NS6_8equal_toIlEEEE10hipError_tPvRmT2_T3_mT4_T5_T6_T7_T8_P12ihipStream_tbENKUlT_T0_E_clISt17integral_constantIbLb1EES12_EEDaSX_SY_EUlSX_E_NS1_11comp_targetILNS1_3genE5ELNS1_11target_archE942ELNS1_3gpuE9ELNS1_3repE0EEENS1_30default_config_static_selectorELNS0_4arch9wavefront6targetE1EEEvT1_
	.p2align	8
	.type	_ZN7rocprim17ROCPRIM_400000_NS6detail17trampoline_kernelINS0_14default_configENS1_29reduce_by_key_config_selectorIllN6thrust23THRUST_200600_302600_NS4plusIlEEEEZZNS1_33reduce_by_key_impl_wrapped_configILNS1_25lookback_scan_determinismE0ES3_S9_PlNS6_17constant_iteratorIiNS6_11use_defaultESE_EENS6_10device_ptrIlEESH_PmS8_NS6_8equal_toIlEEEE10hipError_tPvRmT2_T3_mT4_T5_T6_T7_T8_P12ihipStream_tbENKUlT_T0_E_clISt17integral_constantIbLb1EES12_EEDaSX_SY_EUlSX_E_NS1_11comp_targetILNS1_3genE5ELNS1_11target_archE942ELNS1_3gpuE9ELNS1_3repE0EEENS1_30default_config_static_selectorELNS0_4arch9wavefront6targetE1EEEvT1_,@function
_ZN7rocprim17ROCPRIM_400000_NS6detail17trampoline_kernelINS0_14default_configENS1_29reduce_by_key_config_selectorIllN6thrust23THRUST_200600_302600_NS4plusIlEEEEZZNS1_33reduce_by_key_impl_wrapped_configILNS1_25lookback_scan_determinismE0ES3_S9_PlNS6_17constant_iteratorIiNS6_11use_defaultESE_EENS6_10device_ptrIlEESH_PmS8_NS6_8equal_toIlEEEE10hipError_tPvRmT2_T3_mT4_T5_T6_T7_T8_P12ihipStream_tbENKUlT_T0_E_clISt17integral_constantIbLb1EES12_EEDaSX_SY_EUlSX_E_NS1_11comp_targetILNS1_3genE5ELNS1_11target_archE942ELNS1_3gpuE9ELNS1_3repE0EEENS1_30default_config_static_selectorELNS0_4arch9wavefront6targetE1EEEvT1_: ; @_ZN7rocprim17ROCPRIM_400000_NS6detail17trampoline_kernelINS0_14default_configENS1_29reduce_by_key_config_selectorIllN6thrust23THRUST_200600_302600_NS4plusIlEEEEZZNS1_33reduce_by_key_impl_wrapped_configILNS1_25lookback_scan_determinismE0ES3_S9_PlNS6_17constant_iteratorIiNS6_11use_defaultESE_EENS6_10device_ptrIlEESH_PmS8_NS6_8equal_toIlEEEE10hipError_tPvRmT2_T3_mT4_T5_T6_T7_T8_P12ihipStream_tbENKUlT_T0_E_clISt17integral_constantIbLb1EES12_EEDaSX_SY_EUlSX_E_NS1_11comp_targetILNS1_3genE5ELNS1_11target_archE942ELNS1_3gpuE9ELNS1_3repE0EEENS1_30default_config_static_selectorELNS0_4arch9wavefront6targetE1EEEvT1_
; %bb.0:
	.section	.rodata,"a",@progbits
	.p2align	6, 0x0
	.amdhsa_kernel _ZN7rocprim17ROCPRIM_400000_NS6detail17trampoline_kernelINS0_14default_configENS1_29reduce_by_key_config_selectorIllN6thrust23THRUST_200600_302600_NS4plusIlEEEEZZNS1_33reduce_by_key_impl_wrapped_configILNS1_25lookback_scan_determinismE0ES3_S9_PlNS6_17constant_iteratorIiNS6_11use_defaultESE_EENS6_10device_ptrIlEESH_PmS8_NS6_8equal_toIlEEEE10hipError_tPvRmT2_T3_mT4_T5_T6_T7_T8_P12ihipStream_tbENKUlT_T0_E_clISt17integral_constantIbLb1EES12_EEDaSX_SY_EUlSX_E_NS1_11comp_targetILNS1_3genE5ELNS1_11target_archE942ELNS1_3gpuE9ELNS1_3repE0EEENS1_30default_config_static_selectorELNS0_4arch9wavefront6targetE1EEEvT1_
		.amdhsa_group_segment_fixed_size 0
		.amdhsa_private_segment_fixed_size 0
		.amdhsa_kernarg_size 144
		.amdhsa_user_sgpr_count 6
		.amdhsa_user_sgpr_private_segment_buffer 1
		.amdhsa_user_sgpr_dispatch_ptr 0
		.amdhsa_user_sgpr_queue_ptr 0
		.amdhsa_user_sgpr_kernarg_segment_ptr 1
		.amdhsa_user_sgpr_dispatch_id 0
		.amdhsa_user_sgpr_flat_scratch_init 0
		.amdhsa_user_sgpr_kernarg_preload_length 0
		.amdhsa_user_sgpr_kernarg_preload_offset 0
		.amdhsa_user_sgpr_private_segment_size 0
		.amdhsa_uses_dynamic_stack 0
		.amdhsa_system_sgpr_private_segment_wavefront_offset 0
		.amdhsa_system_sgpr_workgroup_id_x 1
		.amdhsa_system_sgpr_workgroup_id_y 0
		.amdhsa_system_sgpr_workgroup_id_z 0
		.amdhsa_system_sgpr_workgroup_info 0
		.amdhsa_system_vgpr_workitem_id 0
		.amdhsa_next_free_vgpr 1
		.amdhsa_next_free_sgpr 0
		.amdhsa_accum_offset 4
		.amdhsa_reserve_vcc 0
		.amdhsa_reserve_flat_scratch 0
		.amdhsa_float_round_mode_32 0
		.amdhsa_float_round_mode_16_64 0
		.amdhsa_float_denorm_mode_32 3
		.amdhsa_float_denorm_mode_16_64 3
		.amdhsa_dx10_clamp 1
		.amdhsa_ieee_mode 1
		.amdhsa_fp16_overflow 0
		.amdhsa_tg_split 0
		.amdhsa_exception_fp_ieee_invalid_op 0
		.amdhsa_exception_fp_denorm_src 0
		.amdhsa_exception_fp_ieee_div_zero 0
		.amdhsa_exception_fp_ieee_overflow 0
		.amdhsa_exception_fp_ieee_underflow 0
		.amdhsa_exception_fp_ieee_inexact 0
		.amdhsa_exception_int_div_zero 0
	.end_amdhsa_kernel
	.section	.text._ZN7rocprim17ROCPRIM_400000_NS6detail17trampoline_kernelINS0_14default_configENS1_29reduce_by_key_config_selectorIllN6thrust23THRUST_200600_302600_NS4plusIlEEEEZZNS1_33reduce_by_key_impl_wrapped_configILNS1_25lookback_scan_determinismE0ES3_S9_PlNS6_17constant_iteratorIiNS6_11use_defaultESE_EENS6_10device_ptrIlEESH_PmS8_NS6_8equal_toIlEEEE10hipError_tPvRmT2_T3_mT4_T5_T6_T7_T8_P12ihipStream_tbENKUlT_T0_E_clISt17integral_constantIbLb1EES12_EEDaSX_SY_EUlSX_E_NS1_11comp_targetILNS1_3genE5ELNS1_11target_archE942ELNS1_3gpuE9ELNS1_3repE0EEENS1_30default_config_static_selectorELNS0_4arch9wavefront6targetE1EEEvT1_,"axG",@progbits,_ZN7rocprim17ROCPRIM_400000_NS6detail17trampoline_kernelINS0_14default_configENS1_29reduce_by_key_config_selectorIllN6thrust23THRUST_200600_302600_NS4plusIlEEEEZZNS1_33reduce_by_key_impl_wrapped_configILNS1_25lookback_scan_determinismE0ES3_S9_PlNS6_17constant_iteratorIiNS6_11use_defaultESE_EENS6_10device_ptrIlEESH_PmS8_NS6_8equal_toIlEEEE10hipError_tPvRmT2_T3_mT4_T5_T6_T7_T8_P12ihipStream_tbENKUlT_T0_E_clISt17integral_constantIbLb1EES12_EEDaSX_SY_EUlSX_E_NS1_11comp_targetILNS1_3genE5ELNS1_11target_archE942ELNS1_3gpuE9ELNS1_3repE0EEENS1_30default_config_static_selectorELNS0_4arch9wavefront6targetE1EEEvT1_,comdat
.Lfunc_end1214:
	.size	_ZN7rocprim17ROCPRIM_400000_NS6detail17trampoline_kernelINS0_14default_configENS1_29reduce_by_key_config_selectorIllN6thrust23THRUST_200600_302600_NS4plusIlEEEEZZNS1_33reduce_by_key_impl_wrapped_configILNS1_25lookback_scan_determinismE0ES3_S9_PlNS6_17constant_iteratorIiNS6_11use_defaultESE_EENS6_10device_ptrIlEESH_PmS8_NS6_8equal_toIlEEEE10hipError_tPvRmT2_T3_mT4_T5_T6_T7_T8_P12ihipStream_tbENKUlT_T0_E_clISt17integral_constantIbLb1EES12_EEDaSX_SY_EUlSX_E_NS1_11comp_targetILNS1_3genE5ELNS1_11target_archE942ELNS1_3gpuE9ELNS1_3repE0EEENS1_30default_config_static_selectorELNS0_4arch9wavefront6targetE1EEEvT1_, .Lfunc_end1214-_ZN7rocprim17ROCPRIM_400000_NS6detail17trampoline_kernelINS0_14default_configENS1_29reduce_by_key_config_selectorIllN6thrust23THRUST_200600_302600_NS4plusIlEEEEZZNS1_33reduce_by_key_impl_wrapped_configILNS1_25lookback_scan_determinismE0ES3_S9_PlNS6_17constant_iteratorIiNS6_11use_defaultESE_EENS6_10device_ptrIlEESH_PmS8_NS6_8equal_toIlEEEE10hipError_tPvRmT2_T3_mT4_T5_T6_T7_T8_P12ihipStream_tbENKUlT_T0_E_clISt17integral_constantIbLb1EES12_EEDaSX_SY_EUlSX_E_NS1_11comp_targetILNS1_3genE5ELNS1_11target_archE942ELNS1_3gpuE9ELNS1_3repE0EEENS1_30default_config_static_selectorELNS0_4arch9wavefront6targetE1EEEvT1_
                                        ; -- End function
	.section	.AMDGPU.csdata,"",@progbits
; Kernel info:
; codeLenInByte = 0
; NumSgprs: 4
; NumVgprs: 0
; NumAgprs: 0
; TotalNumVgprs: 0
; ScratchSize: 0
; MemoryBound: 0
; FloatMode: 240
; IeeeMode: 1
; LDSByteSize: 0 bytes/workgroup (compile time only)
; SGPRBlocks: 0
; VGPRBlocks: 0
; NumSGPRsForWavesPerEU: 4
; NumVGPRsForWavesPerEU: 1
; AccumOffset: 4
; Occupancy: 8
; WaveLimiterHint : 0
; COMPUTE_PGM_RSRC2:SCRATCH_EN: 0
; COMPUTE_PGM_RSRC2:USER_SGPR: 6
; COMPUTE_PGM_RSRC2:TRAP_HANDLER: 0
; COMPUTE_PGM_RSRC2:TGID_X_EN: 1
; COMPUTE_PGM_RSRC2:TGID_Y_EN: 0
; COMPUTE_PGM_RSRC2:TGID_Z_EN: 0
; COMPUTE_PGM_RSRC2:TIDIG_COMP_CNT: 0
; COMPUTE_PGM_RSRC3_GFX90A:ACCUM_OFFSET: 0
; COMPUTE_PGM_RSRC3_GFX90A:TG_SPLIT: 0
	.section	.text._ZN7rocprim17ROCPRIM_400000_NS6detail17trampoline_kernelINS0_14default_configENS1_29reduce_by_key_config_selectorIllN6thrust23THRUST_200600_302600_NS4plusIlEEEEZZNS1_33reduce_by_key_impl_wrapped_configILNS1_25lookback_scan_determinismE0ES3_S9_PlNS6_17constant_iteratorIiNS6_11use_defaultESE_EENS6_10device_ptrIlEESH_PmS8_NS6_8equal_toIlEEEE10hipError_tPvRmT2_T3_mT4_T5_T6_T7_T8_P12ihipStream_tbENKUlT_T0_E_clISt17integral_constantIbLb1EES12_EEDaSX_SY_EUlSX_E_NS1_11comp_targetILNS1_3genE4ELNS1_11target_archE910ELNS1_3gpuE8ELNS1_3repE0EEENS1_30default_config_static_selectorELNS0_4arch9wavefront6targetE1EEEvT1_,"axG",@progbits,_ZN7rocprim17ROCPRIM_400000_NS6detail17trampoline_kernelINS0_14default_configENS1_29reduce_by_key_config_selectorIllN6thrust23THRUST_200600_302600_NS4plusIlEEEEZZNS1_33reduce_by_key_impl_wrapped_configILNS1_25lookback_scan_determinismE0ES3_S9_PlNS6_17constant_iteratorIiNS6_11use_defaultESE_EENS6_10device_ptrIlEESH_PmS8_NS6_8equal_toIlEEEE10hipError_tPvRmT2_T3_mT4_T5_T6_T7_T8_P12ihipStream_tbENKUlT_T0_E_clISt17integral_constantIbLb1EES12_EEDaSX_SY_EUlSX_E_NS1_11comp_targetILNS1_3genE4ELNS1_11target_archE910ELNS1_3gpuE8ELNS1_3repE0EEENS1_30default_config_static_selectorELNS0_4arch9wavefront6targetE1EEEvT1_,comdat
	.protected	_ZN7rocprim17ROCPRIM_400000_NS6detail17trampoline_kernelINS0_14default_configENS1_29reduce_by_key_config_selectorIllN6thrust23THRUST_200600_302600_NS4plusIlEEEEZZNS1_33reduce_by_key_impl_wrapped_configILNS1_25lookback_scan_determinismE0ES3_S9_PlNS6_17constant_iteratorIiNS6_11use_defaultESE_EENS6_10device_ptrIlEESH_PmS8_NS6_8equal_toIlEEEE10hipError_tPvRmT2_T3_mT4_T5_T6_T7_T8_P12ihipStream_tbENKUlT_T0_E_clISt17integral_constantIbLb1EES12_EEDaSX_SY_EUlSX_E_NS1_11comp_targetILNS1_3genE4ELNS1_11target_archE910ELNS1_3gpuE8ELNS1_3repE0EEENS1_30default_config_static_selectorELNS0_4arch9wavefront6targetE1EEEvT1_ ; -- Begin function _ZN7rocprim17ROCPRIM_400000_NS6detail17trampoline_kernelINS0_14default_configENS1_29reduce_by_key_config_selectorIllN6thrust23THRUST_200600_302600_NS4plusIlEEEEZZNS1_33reduce_by_key_impl_wrapped_configILNS1_25lookback_scan_determinismE0ES3_S9_PlNS6_17constant_iteratorIiNS6_11use_defaultESE_EENS6_10device_ptrIlEESH_PmS8_NS6_8equal_toIlEEEE10hipError_tPvRmT2_T3_mT4_T5_T6_T7_T8_P12ihipStream_tbENKUlT_T0_E_clISt17integral_constantIbLb1EES12_EEDaSX_SY_EUlSX_E_NS1_11comp_targetILNS1_3genE4ELNS1_11target_archE910ELNS1_3gpuE8ELNS1_3repE0EEENS1_30default_config_static_selectorELNS0_4arch9wavefront6targetE1EEEvT1_
	.globl	_ZN7rocprim17ROCPRIM_400000_NS6detail17trampoline_kernelINS0_14default_configENS1_29reduce_by_key_config_selectorIllN6thrust23THRUST_200600_302600_NS4plusIlEEEEZZNS1_33reduce_by_key_impl_wrapped_configILNS1_25lookback_scan_determinismE0ES3_S9_PlNS6_17constant_iteratorIiNS6_11use_defaultESE_EENS6_10device_ptrIlEESH_PmS8_NS6_8equal_toIlEEEE10hipError_tPvRmT2_T3_mT4_T5_T6_T7_T8_P12ihipStream_tbENKUlT_T0_E_clISt17integral_constantIbLb1EES12_EEDaSX_SY_EUlSX_E_NS1_11comp_targetILNS1_3genE4ELNS1_11target_archE910ELNS1_3gpuE8ELNS1_3repE0EEENS1_30default_config_static_selectorELNS0_4arch9wavefront6targetE1EEEvT1_
	.p2align	8
	.type	_ZN7rocprim17ROCPRIM_400000_NS6detail17trampoline_kernelINS0_14default_configENS1_29reduce_by_key_config_selectorIllN6thrust23THRUST_200600_302600_NS4plusIlEEEEZZNS1_33reduce_by_key_impl_wrapped_configILNS1_25lookback_scan_determinismE0ES3_S9_PlNS6_17constant_iteratorIiNS6_11use_defaultESE_EENS6_10device_ptrIlEESH_PmS8_NS6_8equal_toIlEEEE10hipError_tPvRmT2_T3_mT4_T5_T6_T7_T8_P12ihipStream_tbENKUlT_T0_E_clISt17integral_constantIbLb1EES12_EEDaSX_SY_EUlSX_E_NS1_11comp_targetILNS1_3genE4ELNS1_11target_archE910ELNS1_3gpuE8ELNS1_3repE0EEENS1_30default_config_static_selectorELNS0_4arch9wavefront6targetE1EEEvT1_,@function
_ZN7rocprim17ROCPRIM_400000_NS6detail17trampoline_kernelINS0_14default_configENS1_29reduce_by_key_config_selectorIllN6thrust23THRUST_200600_302600_NS4plusIlEEEEZZNS1_33reduce_by_key_impl_wrapped_configILNS1_25lookback_scan_determinismE0ES3_S9_PlNS6_17constant_iteratorIiNS6_11use_defaultESE_EENS6_10device_ptrIlEESH_PmS8_NS6_8equal_toIlEEEE10hipError_tPvRmT2_T3_mT4_T5_T6_T7_T8_P12ihipStream_tbENKUlT_T0_E_clISt17integral_constantIbLb1EES12_EEDaSX_SY_EUlSX_E_NS1_11comp_targetILNS1_3genE4ELNS1_11target_archE910ELNS1_3gpuE8ELNS1_3repE0EEENS1_30default_config_static_selectorELNS0_4arch9wavefront6targetE1EEEvT1_: ; @_ZN7rocprim17ROCPRIM_400000_NS6detail17trampoline_kernelINS0_14default_configENS1_29reduce_by_key_config_selectorIllN6thrust23THRUST_200600_302600_NS4plusIlEEEEZZNS1_33reduce_by_key_impl_wrapped_configILNS1_25lookback_scan_determinismE0ES3_S9_PlNS6_17constant_iteratorIiNS6_11use_defaultESE_EENS6_10device_ptrIlEESH_PmS8_NS6_8equal_toIlEEEE10hipError_tPvRmT2_T3_mT4_T5_T6_T7_T8_P12ihipStream_tbENKUlT_T0_E_clISt17integral_constantIbLb1EES12_EEDaSX_SY_EUlSX_E_NS1_11comp_targetILNS1_3genE4ELNS1_11target_archE910ELNS1_3gpuE8ELNS1_3repE0EEENS1_30default_config_static_selectorELNS0_4arch9wavefront6targetE1EEEvT1_
; %bb.0:
	s_load_dwordx4 s[52:55], s[4:5], 0x20
	s_load_dwordx2 s[56:57], s[4:5], 0x30
	s_load_dwordx2 s[30:31], s[4:5], 0x80
	v_cmp_ne_u32_e64 s[2:3], 0, v0
	v_cmp_eq_u32_e64 s[0:1], 0, v0
	s_and_saveexec_b64 s[6:7], s[0:1]
	s_cbranch_execz .LBB1215_4
; %bb.1:
	s_mov_b64 s[10:11], exec
	v_mbcnt_lo_u32_b32 v1, s10, 0
	v_mbcnt_hi_u32_b32 v1, s11, v1
	v_cmp_eq_u32_e32 vcc, 0, v1
                                        ; implicit-def: $vgpr2
	s_and_saveexec_b64 s[8:9], vcc
	s_cbranch_execz .LBB1215_3
; %bb.2:
	s_load_dwordx2 s[12:13], s[4:5], 0x88
	s_bcnt1_i32_b64 s10, s[10:11]
	v_mov_b32_e32 v2, 0
	v_mov_b32_e32 v3, s10
	s_waitcnt lgkmcnt(0)
	global_atomic_add v2, v2, v3, s[12:13] glc
.LBB1215_3:
	s_or_b64 exec, exec, s[8:9]
	s_waitcnt vmcnt(0)
	v_readfirstlane_b32 s8, v2
	v_add_u32_e32 v1, s8, v1
	v_mov_b32_e32 v2, 0
	ds_write_b32 v2, v1
.LBB1215_4:
	s_or_b64 exec, exec, s[6:7]
	s_load_dwordx4 s[8:11], s[4:5], 0x0
	s_load_dword s6, s[4:5], 0x18
	s_load_dwordx16 s[36:51], s[4:5], 0x40
	v_mov_b32_e32 v3, 0
	s_waitcnt lgkmcnt(0)
	s_barrier
	ds_read_b32 v1, v3
	s_mul_i32 s4, s44, s43
	s_mul_hi_u32 s5, s44, s42
	s_add_i32 s4, s5, s4
	s_mul_i32 s5, s45, s42
	s_add_i32 s7, s4, s5
	s_lshl_b64 s[4:5], s[10:11], 3
	s_add_u32 s4, s8, s4
	s_mul_i32 s12, s44, s42
	s_addc_u32 s5, s9, s5
	s_waitcnt lgkmcnt(0)
	v_readfirstlane_b32 s62, v1
	s_add_u32 s34, s12, s62
	s_movk_i32 s8, 0xf00
	s_addc_u32 s35, s7, 0
	v_mul_lo_u32 v2, v1, s8
	s_add_u32 s10, s46, -1
	v_lshlrev_b64 v[2:3], 3, v[2:3]
	s_addc_u32 s11, s47, -1
	v_mov_b32_e32 v1, s5
	v_add_co_u32_e32 v76, vcc, s4, v2
	s_cmp_eq_u64 s[34:35], s[10:11]
	v_addc_co_u32_e32 v77, vcc, v1, v3, vcc
	s_cselect_b64 s[44:45], -1, 0
	s_cmp_lg_u64 s[34:35], s[10:11]
	s_mov_b64 s[8:9], -1
	s_cselect_b64 s[4:5], -1, 0
	s_mul_i32 s33, s10, 0xfffff100
	s_and_b64 vcc, exec, s[44:45]
	s_barrier
	s_cbranch_vccnz .LBB1215_6
; %bb.5:
	v_lshlrev_b32_e32 v38, 3, v0
	v_add_co_u32_e32 v1, vcc, v76, v38
	v_addc_co_u32_e32 v30, vcc, 0, v77, vcc
	v_add_co_u32_e32 v2, vcc, 0x1000, v1
	v_readfirstlane_b32 s8, v76
	v_readfirstlane_b32 s9, v77
	v_addc_co_u32_e32 v3, vcc, 0, v30, vcc
	s_nop 3
	global_load_dwordx2 v[4:5], v38, s[8:9]
	global_load_dwordx2 v[6:7], v38, s[8:9] offset:2048
	global_load_dwordx2 v[8:9], v[2:3], off
	global_load_dwordx2 v[10:11], v[2:3], off offset:2048
	v_add_co_u32_e32 v2, vcc, 0x2000, v1
	v_addc_co_u32_e32 v3, vcc, 0, v30, vcc
	v_add_co_u32_e32 v12, vcc, 0x3000, v1
	v_addc_co_u32_e32 v13, vcc, 0, v30, vcc
	global_load_dwordx2 v[14:15], v[2:3], off
	global_load_dwordx2 v[16:17], v[2:3], off offset:2048
	global_load_dwordx2 v[18:19], v[12:13], off
	global_load_dwordx2 v[20:21], v[12:13], off offset:2048
	v_add_co_u32_e32 v2, vcc, 0x4000, v1
	v_addc_co_u32_e32 v3, vcc, 0, v30, vcc
	v_add_co_u32_e32 v12, vcc, 0x5000, v1
	v_addc_co_u32_e32 v13, vcc, 0, v30, vcc
	global_load_dwordx2 v[22:23], v[2:3], off
	global_load_dwordx2 v[24:25], v[2:3], off offset:2048
	;; [unrolled: 8-line block ×3, first 2 shown]
	global_load_dwordx2 v[34:35], v[12:13], off
	s_movk_i32 s8, 0x70
	v_mad_u32_u24 v1, v0, s8, v38
	s_ashr_i32 s7, s6, 31
	v_pk_mov_b32 v[36:37], s[6:7], s[6:7] op_sel:[0,1]
	s_waitcnt vmcnt(13)
	ds_write2st64_b64 v38, v[4:5], v[6:7] offset1:4
	s_waitcnt vmcnt(11)
	ds_write2st64_b64 v38, v[8:9], v[10:11] offset0:8 offset1:12
	s_waitcnt vmcnt(9)
	ds_write2st64_b64 v38, v[14:15], v[16:17] offset0:16 offset1:20
	;; [unrolled: 2-line block ×6, first 2 shown]
	s_waitcnt vmcnt(0)
	ds_write_b64 v38, v[34:35] offset:28672
	s_waitcnt lgkmcnt(0)
	s_barrier
	ds_read2_b64 v[26:29], v1 offset1:1
	ds_read2_b64 v[22:25], v1 offset0:2 offset1:3
	ds_read2_b64 v[18:21], v1 offset0:4 offset1:5
	;; [unrolled: 1-line block ×6, first 2 shown]
	ds_read_b64 v[74:75], v1 offset:112
	s_waitcnt lgkmcnt(7)
	v_mov_b32_e32 v58, v26
	v_mov_b32_e32 v59, v27
	s_waitcnt lgkmcnt(6)
	v_mov_b32_e32 v60, v22
	v_mov_b32_e32 v61, v23
	;; [unrolled: 3-line block ×7, first 2 shown]
	s_waitcnt lgkmcnt(0)
	s_barrier
	ds_write2st64_b64 v38, v[36:37], v[36:37] offset1:4
	ds_write2st64_b64 v38, v[36:37], v[36:37] offset0:8 offset1:12
	ds_write2st64_b64 v38, v[36:37], v[36:37] offset0:16 offset1:20
	;; [unrolled: 1-line block ×6, first 2 shown]
	ds_write_b64 v38, v[36:37] offset:28672
	s_waitcnt lgkmcnt(0)
	s_barrier
	s_add_i32 s33, s33, s48
	s_cbranch_execz .LBB1215_7
	s_branch .LBB1215_38
.LBB1215_6:
                                        ; implicit-def: $vgpr74_vgpr75
                                        ; implicit-def: $vgpr2_vgpr3
                                        ; implicit-def: $vgpr6_vgpr7
                                        ; implicit-def: $vgpr10_vgpr11
                                        ; implicit-def: $vgpr14_vgpr15
                                        ; implicit-def: $vgpr18_vgpr19
                                        ; implicit-def: $vgpr22_vgpr23
                                        ; implicit-def: $vgpr26_vgpr27
                                        ; implicit-def: $vgpr1
                                        ; implicit-def: $vgpr66_vgpr67_vgpr68_vgpr69
                                        ; implicit-def: $vgpr62_vgpr63_vgpr64_vgpr65
                                        ; implicit-def: $vgpr58_vgpr59_vgpr60_vgpr61
                                        ; implicit-def: $vgpr70_vgpr71_vgpr72_vgpr73
	s_andn2_b64 vcc, exec, s[8:9]
	s_add_i32 s33, s33, s48
	s_cbranch_vccnz .LBB1215_38
.LBB1215_7:
	v_cmp_gt_u32_e32 vcc, s33, v0
                                        ; implicit-def: $vgpr2_vgpr3
	s_and_saveexec_b64 s[8:9], vcc
	s_cbranch_execz .LBB1215_9
; %bb.8:
	v_lshlrev_b32_e32 v1, 3, v0
	v_readfirstlane_b32 s10, v76
	v_readfirstlane_b32 s11, v77
	s_nop 4
	global_load_dwordx2 v[2:3], v1, s[10:11]
.LBB1215_9:
	s_or_b64 exec, exec, s[8:9]
	v_or_b32_e32 v1, 0x100, v0
	v_cmp_gt_u32_e32 vcc, s33, v1
                                        ; implicit-def: $vgpr4_vgpr5
	s_and_saveexec_b64 s[8:9], vcc
	s_cbranch_execz .LBB1215_11
; %bb.10:
	v_lshlrev_b32_e32 v1, 3, v0
	v_readfirstlane_b32 s10, v76
	v_readfirstlane_b32 s11, v77
	s_nop 4
	global_load_dwordx2 v[4:5], v1, s[10:11] offset:2048
.LBB1215_11:
	s_or_b64 exec, exec, s[8:9]
	v_or_b32_e32 v1, 0x200, v0
	v_cmp_gt_u32_e32 vcc, s33, v1
                                        ; implicit-def: $vgpr6_vgpr7
	s_and_saveexec_b64 s[8:9], vcc
	s_cbranch_execz .LBB1215_13
; %bb.12:
	v_lshlrev_b32_e32 v1, 3, v1
	v_readfirstlane_b32 s10, v76
	v_readfirstlane_b32 s11, v77
	s_nop 4
	global_load_dwordx2 v[6:7], v1, s[10:11]
.LBB1215_13:
	s_or_b64 exec, exec, s[8:9]
	v_or_b32_e32 v1, 0x300, v0
	v_cmp_gt_u32_e32 vcc, s33, v1
                                        ; implicit-def: $vgpr8_vgpr9
	s_and_saveexec_b64 s[8:9], vcc
	s_cbranch_execz .LBB1215_15
; %bb.14:
	v_lshlrev_b32_e32 v1, 3, v1
	v_readfirstlane_b32 s10, v76
	v_readfirstlane_b32 s11, v77
	s_nop 4
	global_load_dwordx2 v[8:9], v1, s[10:11]
.LBB1215_15:
	s_or_b64 exec, exec, s[8:9]
	v_or_b32_e32 v1, 0x400, v0
	v_cmp_gt_u32_e32 vcc, s33, v1
                                        ; implicit-def: $vgpr10_vgpr11
	s_and_saveexec_b64 s[8:9], vcc
	s_cbranch_execz .LBB1215_17
; %bb.16:
	v_lshlrev_b32_e32 v1, 3, v1
	v_readfirstlane_b32 s10, v76
	v_readfirstlane_b32 s11, v77
	s_nop 4
	global_load_dwordx2 v[10:11], v1, s[10:11]
.LBB1215_17:
	s_or_b64 exec, exec, s[8:9]
	v_or_b32_e32 v1, 0x500, v0
	v_cmp_gt_u32_e32 vcc, s33, v1
                                        ; implicit-def: $vgpr12_vgpr13
	s_and_saveexec_b64 s[8:9], vcc
	s_cbranch_execz .LBB1215_19
; %bb.18:
	v_lshlrev_b32_e32 v1, 3, v1
	v_readfirstlane_b32 s10, v76
	v_readfirstlane_b32 s11, v77
	s_nop 4
	global_load_dwordx2 v[12:13], v1, s[10:11]
.LBB1215_19:
	s_or_b64 exec, exec, s[8:9]
	v_or_b32_e32 v1, 0x600, v0
	v_cmp_gt_u32_e32 vcc, s33, v1
                                        ; implicit-def: $vgpr14_vgpr15
	s_and_saveexec_b64 s[8:9], vcc
	s_cbranch_execz .LBB1215_21
; %bb.20:
	v_lshlrev_b32_e32 v1, 3, v1
	v_readfirstlane_b32 s10, v76
	v_readfirstlane_b32 s11, v77
	s_nop 4
	global_load_dwordx2 v[14:15], v1, s[10:11]
.LBB1215_21:
	s_or_b64 exec, exec, s[8:9]
	v_or_b32_e32 v1, 0x700, v0
	v_cmp_gt_u32_e32 vcc, s33, v1
                                        ; implicit-def: $vgpr16_vgpr17
	s_and_saveexec_b64 s[8:9], vcc
	s_cbranch_execz .LBB1215_23
; %bb.22:
	v_lshlrev_b32_e32 v1, 3, v1
	v_readfirstlane_b32 s10, v76
	v_readfirstlane_b32 s11, v77
	s_nop 4
	global_load_dwordx2 v[16:17], v1, s[10:11]
.LBB1215_23:
	s_or_b64 exec, exec, s[8:9]
	v_or_b32_e32 v1, 0x800, v0
	v_cmp_gt_u32_e32 vcc, s33, v1
                                        ; implicit-def: $vgpr18_vgpr19
	s_and_saveexec_b64 s[8:9], vcc
	s_cbranch_execz .LBB1215_25
; %bb.24:
	v_lshlrev_b32_e32 v1, 3, v1
	v_readfirstlane_b32 s10, v76
	v_readfirstlane_b32 s11, v77
	s_nop 4
	global_load_dwordx2 v[18:19], v1, s[10:11]
.LBB1215_25:
	s_or_b64 exec, exec, s[8:9]
	v_or_b32_e32 v1, 0x900, v0
	v_cmp_gt_u32_e32 vcc, s33, v1
                                        ; implicit-def: $vgpr20_vgpr21
	s_and_saveexec_b64 s[8:9], vcc
	s_cbranch_execz .LBB1215_27
; %bb.26:
	v_lshlrev_b32_e32 v1, 3, v1
	v_readfirstlane_b32 s10, v76
	v_readfirstlane_b32 s11, v77
	s_nop 4
	global_load_dwordx2 v[20:21], v1, s[10:11]
.LBB1215_27:
	s_or_b64 exec, exec, s[8:9]
	v_or_b32_e32 v1, 0xa00, v0
	v_cmp_gt_u32_e32 vcc, s33, v1
                                        ; implicit-def: $vgpr22_vgpr23
	s_and_saveexec_b64 s[8:9], vcc
	s_cbranch_execz .LBB1215_29
; %bb.28:
	v_lshlrev_b32_e32 v1, 3, v1
	v_readfirstlane_b32 s10, v76
	v_readfirstlane_b32 s11, v77
	s_nop 4
	global_load_dwordx2 v[22:23], v1, s[10:11]
.LBB1215_29:
	s_or_b64 exec, exec, s[8:9]
	v_or_b32_e32 v1, 0xb00, v0
	v_cmp_gt_u32_e32 vcc, s33, v1
                                        ; implicit-def: $vgpr24_vgpr25
	s_and_saveexec_b64 s[8:9], vcc
	s_cbranch_execz .LBB1215_31
; %bb.30:
	v_lshlrev_b32_e32 v1, 3, v1
	v_readfirstlane_b32 s10, v76
	v_readfirstlane_b32 s11, v77
	s_nop 4
	global_load_dwordx2 v[24:25], v1, s[10:11]
.LBB1215_31:
	s_or_b64 exec, exec, s[8:9]
	v_or_b32_e32 v1, 0xc00, v0
	v_cmp_gt_u32_e32 vcc, s33, v1
                                        ; implicit-def: $vgpr26_vgpr27
	s_and_saveexec_b64 s[8:9], vcc
	s_cbranch_execz .LBB1215_33
; %bb.32:
	v_lshlrev_b32_e32 v1, 3, v1
	v_readfirstlane_b32 s10, v76
	v_readfirstlane_b32 s11, v77
	s_nop 4
	global_load_dwordx2 v[26:27], v1, s[10:11]
.LBB1215_33:
	s_or_b64 exec, exec, s[8:9]
	v_or_b32_e32 v1, 0xd00, v0
	v_cmp_gt_u32_e32 vcc, s33, v1
                                        ; implicit-def: $vgpr28_vgpr29
	s_and_saveexec_b64 s[8:9], vcc
	s_cbranch_execz .LBB1215_35
; %bb.34:
	v_lshlrev_b32_e32 v1, 3, v1
	v_readfirstlane_b32 s10, v76
	v_readfirstlane_b32 s11, v77
	s_nop 4
	global_load_dwordx2 v[28:29], v1, s[10:11]
.LBB1215_35:
	s_or_b64 exec, exec, s[8:9]
	v_or_b32_e32 v1, 0xe00, v0
	v_cmp_gt_u32_e32 vcc, s33, v1
                                        ; implicit-def: $vgpr30_vgpr31
	s_and_saveexec_b64 s[8:9], vcc
	s_cbranch_execz .LBB1215_37
; %bb.36:
	v_lshlrev_b32_e32 v1, 3, v1
	v_readfirstlane_b32 s10, v76
	v_readfirstlane_b32 s11, v77
	s_nop 4
	global_load_dwordx2 v[30:31], v1, s[10:11]
.LBB1215_37:
	s_or_b64 exec, exec, s[8:9]
	v_lshlrev_b32_e32 v32, 3, v0
	s_movk_i32 s7, 0x70
	v_mad_u32_u24 v1, v0, s7, v32
	s_waitcnt vmcnt(0)
	ds_write2st64_b64 v32, v[2:3], v[4:5] offset1:4
	ds_write2st64_b64 v32, v[6:7], v[8:9] offset0:8 offset1:12
	ds_write2st64_b64 v32, v[10:11], v[12:13] offset0:16 offset1:20
	;; [unrolled: 1-line block ×6, first 2 shown]
	ds_write_b64 v32, v[30:31] offset:28672
	s_waitcnt lgkmcnt(0)
	s_barrier
	ds_read2_b64 v[26:29], v1 offset1:1
	ds_read2_b64 v[22:25], v1 offset0:2 offset1:3
	ds_read2_b64 v[18:21], v1 offset0:4 offset1:5
	;; [unrolled: 1-line block ×6, first 2 shown]
	ds_read_b64 v[74:75], v1 offset:112
	s_ashr_i32 s7, s6, 31
	v_pk_mov_b32 v[30:31], s[6:7], s[6:7] op_sel:[0,1]
	s_waitcnt lgkmcnt(7)
	v_mov_b32_e32 v58, v26
	v_mov_b32_e32 v59, v27
	s_waitcnt lgkmcnt(6)
	v_mov_b32_e32 v60, v22
	v_mov_b32_e32 v61, v23
	;; [unrolled: 3-line block ×7, first 2 shown]
	s_waitcnt lgkmcnt(0)
	s_barrier
	ds_write2st64_b64 v32, v[30:31], v[30:31] offset1:4
	ds_write2st64_b64 v32, v[30:31], v[30:31] offset0:8 offset1:12
	ds_write2st64_b64 v32, v[30:31], v[30:31] offset0:16 offset1:20
	;; [unrolled: 1-line block ×6, first 2 shown]
	ds_write_b64 v32, v[30:31] offset:28672
	s_waitcnt lgkmcnt(0)
	s_barrier
.LBB1215_38:
	ds_read2_b64 v[54:57], v1 offset1:1
	ds_read2_b64 v[50:53], v1 offset0:2 offset1:3
	ds_read2_b64 v[46:49], v1 offset0:4 offset1:5
	ds_read2_b64 v[42:45], v1 offset0:6 offset1:7
	ds_read2_b64 v[38:41], v1 offset0:8 offset1:9
	ds_read2_b64 v[34:37], v1 offset0:10 offset1:11
	ds_read2_b64 v[30:33], v1 offset0:12 offset1:13
	ds_read_b64 v[72:73], v1 offset:112
	s_cmp_eq_u64 s[34:35], 0
	s_cselect_b64 s[46:47], -1, 0
	s_cmp_lg_u64 s[34:35], 0
	s_mov_b64 s[6:7], 0
	s_cselect_b64 s[58:59], -1, 0
	s_and_b64 vcc, exec, s[4:5]
	s_waitcnt lgkmcnt(0)
	s_barrier
	s_cbranch_vccz .LBB1215_44
; %bb.39:
	s_and_b64 vcc, exec, s[58:59]
	s_cbranch_vccz .LBB1215_45
; %bb.40:
	global_load_dwordx2 v[78:79], v[76:77], off offset:-8
	v_lshlrev_b32_e32 v1, 3, v0
	v_cmp_ne_u64_e32 vcc, v[4:5], v[74:75]
	v_cmp_ne_u64_e64 s[4:5], v[2:3], v[4:5]
	v_cmp_ne_u64_e64 s[6:7], v[8:9], v[2:3]
	;; [unrolled: 1-line block ×13, first 2 shown]
	ds_write_b64 v1, v[74:75]
	s_waitcnt lgkmcnt(0)
	s_barrier
	s_and_saveexec_b64 s[60:61], s[2:3]
	s_cbranch_execz .LBB1215_42
; %bb.41:
	v_add_u32_e32 v1, -8, v1
	s_waitcnt vmcnt(0)
	ds_read_b64 v[78:79], v1
.LBB1215_42:
	s_or_b64 exec, exec, s[60:61]
	v_cndmask_b32_e64 v1, 0, 1, vcc
	v_cndmask_b32_e64 v100, 0, 1, s[4:5]
	v_cndmask_b32_e64 v101, 0, 1, s[6:7]
	;; [unrolled: 1-line block ×13, first 2 shown]
	s_waitcnt vmcnt(0) lgkmcnt(0)
	v_cmp_ne_u64_e64 s[4:5], v[78:79], v[26:27]
	s_mov_b64 s[6:7], -1
.LBB1215_43:
                                        ; implicit-def: $sgpr12
	s_branch .LBB1215_57
.LBB1215_44:
                                        ; implicit-def: $sgpr4_sgpr5
                                        ; implicit-def: $vgpr1
                                        ; implicit-def: $vgpr100
                                        ; implicit-def: $vgpr101
                                        ; implicit-def: $vgpr102
                                        ; implicit-def: $vgpr103
                                        ; implicit-def: $vgpr104
                                        ; implicit-def: $vgpr105
                                        ; implicit-def: $vgpr106
                                        ; implicit-def: $vgpr107
                                        ; implicit-def: $vgpr108
                                        ; implicit-def: $vgpr109
                                        ; implicit-def: $vgpr110
                                        ; implicit-def: $vgpr111
                                        ; implicit-def: $vgpr112
                                        ; implicit-def: $sgpr12
	s_cbranch_execnz .LBB1215_49
	s_branch .LBB1215_57
.LBB1215_45:
                                        ; implicit-def: $sgpr4_sgpr5
                                        ; implicit-def: $vgpr1
                                        ; implicit-def: $vgpr100
                                        ; implicit-def: $vgpr101
                                        ; implicit-def: $vgpr102
                                        ; implicit-def: $vgpr103
                                        ; implicit-def: $vgpr104
                                        ; implicit-def: $vgpr105
                                        ; implicit-def: $vgpr106
                                        ; implicit-def: $vgpr107
                                        ; implicit-def: $vgpr108
                                        ; implicit-def: $vgpr109
                                        ; implicit-def: $vgpr110
                                        ; implicit-def: $vgpr111
                                        ; implicit-def: $vgpr112
	s_cbranch_execz .LBB1215_43
; %bb.46:
	v_cmp_ne_u64_e32 vcc, v[28:29], v[58:59]
	v_cndmask_b32_e64 v112, 0, 1, vcc
	v_cmp_ne_u64_e32 vcc, v[28:29], v[60:61]
	v_cndmask_b32_e64 v111, 0, 1, vcc
	;; [unrolled: 2-line block ×13, first 2 shown]
	v_cmp_ne_u64_e32 vcc, v[4:5], v[74:75]
	v_lshlrev_b32_e32 v78, 3, v0
	v_cndmask_b32_e64 v1, 0, 1, vcc
	ds_write_b64 v78, v[74:75]
	s_waitcnt lgkmcnt(0)
	s_barrier
	s_waitcnt lgkmcnt(0)
                                        ; implicit-def: $sgpr4_sgpr5
	s_and_saveexec_b64 s[8:9], s[2:3]
	s_xor_b64 s[8:9], exec, s[8:9]
	s_cbranch_execz .LBB1215_48
; %bb.47:
	v_add_u32_e32 v58, -8, v78
	ds_read_b64 v[58:59], v58
	s_or_b64 s[6:7], s[6:7], exec
	s_waitcnt lgkmcnt(0)
	v_cmp_ne_u64_e32 vcc, v[58:59], v[26:27]
	s_and_b64 s[4:5], vcc, exec
.LBB1215_48:
	s_or_b64 exec, exec, s[8:9]
	s_mov_b32 s12, 1
	s_branch .LBB1215_57
.LBB1215_49:
	s_mul_hi_u32 s5, s34, 0xfffff100
	s_mul_i32 s4, s35, 0xfffff100
	s_sub_i32 s5, s5, s34
	s_add_i32 s5, s5, s4
	s_mul_i32 s4, s34, 0xfffff100
	s_add_u32 s8, s4, s48
	s_addc_u32 s9, s5, s49
	s_and_b64 vcc, exec, s[58:59]
	s_cbranch_vccz .LBB1215_54
; %bb.50:
	global_load_dwordx2 v[58:59], v[76:77], off offset:-8
	v_mad_u32_u24 v62, v0, 15, 14
	v_mov_b32_e32 v63, 0
	v_cmp_gt_u64_e32 vcc, s[8:9], v[62:63]
	v_cmp_ne_u64_e64 s[4:5], v[4:5], v[74:75]
	v_mad_u32_u24 v62, v0, 15, 13
	s_and_b64 s[6:7], vcc, s[4:5]
	v_cmp_gt_u64_e32 vcc, s[8:9], v[62:63]
	v_cmp_ne_u64_e64 s[4:5], v[2:3], v[4:5]
	v_mad_u32_u24 v62, v0, 15, 12
	s_and_b64 s[10:11], vcc, s[4:5]
	;; [unrolled: 4-line block ×13, first 2 shown]
	v_cmp_gt_u64_e32 vcc, s[8:9], v[62:63]
	v_cmp_ne_u64_e64 s[4:5], v[26:27], v[28:29]
	v_lshlrev_b32_e32 v1, 3, v0
	v_mul_u32_u24_e32 v60, 15, v0
	s_and_b64 s[4:5], vcc, s[4:5]
	ds_write_b64 v1, v[74:75]
	s_waitcnt lgkmcnt(0)
	s_barrier
	s_and_saveexec_b64 s[58:59], s[2:3]
	s_cbranch_execz .LBB1215_52
; %bb.51:
	v_add_u32_e32 v1, -8, v1
	s_waitcnt vmcnt(0)
	ds_read_b64 v[58:59], v1
.LBB1215_52:
	s_or_b64 exec, exec, s[58:59]
	v_mov_b32_e32 v61, v63
	v_cndmask_b32_e64 v112, 0, 1, s[4:5]
	v_cmp_gt_u64_e32 vcc, s[8:9], v[60:61]
	s_waitcnt vmcnt(0) lgkmcnt(0)
	v_cmp_ne_u64_e64 s[4:5], v[58:59], v[26:27]
	v_cndmask_b32_e64 v1, 0, 1, s[6:7]
	v_cndmask_b32_e64 v100, 0, 1, s[10:11]
	;; [unrolled: 1-line block ×13, first 2 shown]
	s_and_b64 s[4:5], vcc, s[4:5]
	s_mov_b64 s[6:7], -1
.LBB1215_53:
                                        ; implicit-def: $sgpr12
	v_mov_b32_e32 v113, s12
	s_and_saveexec_b64 s[2:3], s[6:7]
	s_cbranch_execnz .LBB1215_58
	s_branch .LBB1215_59
.LBB1215_54:
                                        ; implicit-def: $sgpr4_sgpr5
                                        ; implicit-def: $vgpr1
                                        ; implicit-def: $vgpr100
                                        ; implicit-def: $vgpr101
                                        ; implicit-def: $vgpr102
                                        ; implicit-def: $vgpr103
                                        ; implicit-def: $vgpr104
                                        ; implicit-def: $vgpr105
                                        ; implicit-def: $vgpr106
                                        ; implicit-def: $vgpr107
                                        ; implicit-def: $vgpr108
                                        ; implicit-def: $vgpr109
                                        ; implicit-def: $vgpr110
                                        ; implicit-def: $vgpr111
                                        ; implicit-def: $vgpr112
	s_cbranch_execz .LBB1215_53
; %bb.55:
	v_mad_u32_u24 v58, v0, 15, 14
	v_mov_b32_e32 v59, 0
	v_cmp_gt_u64_e32 vcc, s[8:9], v[58:59]
	v_cmp_ne_u64_e64 s[4:5], v[4:5], v[74:75]
	s_and_b64 s[4:5], vcc, s[4:5]
	v_mad_u32_u24 v58, v0, 15, 13
	v_cndmask_b32_e64 v1, 0, 1, s[4:5]
	v_cmp_gt_u64_e32 vcc, s[8:9], v[58:59]
	v_cmp_ne_u64_e64 s[4:5], v[2:3], v[4:5]
	s_and_b64 s[4:5], vcc, s[4:5]
	v_mad_u32_u24 v58, v0, 15, 12
	v_cndmask_b32_e64 v100, 0, 1, s[4:5]
	;; [unrolled: 5-line block ×13, first 2 shown]
	v_cmp_gt_u64_e32 vcc, s[8:9], v[58:59]
	v_cmp_ne_u64_e64 s[4:5], v[26:27], v[28:29]
	s_and_b64 s[4:5], vcc, s[4:5]
	v_lshlrev_b32_e32 v60, 3, v0
	s_mov_b32 s12, 1
	v_cndmask_b32_e64 v112, 0, 1, s[4:5]
	ds_write_b64 v60, v[74:75]
	s_waitcnt lgkmcnt(0)
	s_barrier
	s_waitcnt lgkmcnt(0)
                                        ; implicit-def: $sgpr4_sgpr5
	s_and_saveexec_b64 s[10:11], s[2:3]
	s_cbranch_execz .LBB1215_198
; %bb.56:
	v_add_u32_e32 v58, -8, v60
	ds_read_b64 v[60:61], v58
	v_mul_u32_u24_e32 v58, 15, v0
	v_cmp_gt_u64_e32 vcc, s[8:9], v[58:59]
	s_or_b64 s[6:7], s[6:7], exec
	s_waitcnt lgkmcnt(0)
	v_cmp_ne_u64_e64 s[2:3], v[60:61], v[26:27]
	s_and_b64 s[2:3], vcc, s[2:3]
	s_and_b64 s[4:5], s[2:3], exec
	s_or_b64 exec, exec, s[10:11]
.LBB1215_57:
	v_mov_b32_e32 v113, s12
	s_and_saveexec_b64 s[2:3], s[6:7]
.LBB1215_58:
	v_cndmask_b32_e64 v113, 0, 1, s[4:5]
.LBB1215_59:
	s_or_b64 exec, exec, s[2:3]
	s_cmp_eq_u64 s[42:43], 0
	v_add3_u32 v58, v112, v113, v111
	v_mov_b32_e32 v64, v54
	v_mov_b32_e32 v65, v55
	s_cselect_b64 s[34:35], -1, 0
	s_cmp_lg_u32 s62, 0
	v_cmp_eq_u32_e64 s[26:27], 0, v112
	v_cmp_eq_u32_e64 s[24:25], 0, v111
	;; [unrolled: 1-line block ×3, first 2 shown]
	v_add3_u32 v115, v58, v110, v109
	v_cmp_eq_u32_e64 s[20:21], 0, v109
	v_cmp_eq_u32_e64 s[18:19], 0, v108
	;; [unrolled: 1-line block ×10, first 2 shown]
	v_cmp_eq_u32_e32 vcc, 0, v1
	v_mbcnt_lo_u32_b32 v114, -1, 0
	s_cbranch_scc0 .LBB1215_130
; %bb.60:
	v_cndmask_b32_e64 v59, 0, v54, s[26:27]
	v_cndmask_b32_e64 v58, 0, v55, s[26:27]
	v_add_co_u32_e64 v59, s[28:29], v59, v56
	v_addc_co_u32_e64 v58, s[28:29], v58, v57, s[28:29]
	v_cndmask_b32_e64 v59, 0, v59, s[24:25]
	v_cndmask_b32_e64 v58, 0, v58, s[24:25]
	v_add_co_u32_e64 v59, s[28:29], v59, v50
	v_addc_co_u32_e64 v58, s[28:29], v58, v51, s[28:29]
	;; [unrolled: 4-line block ×11, first 2 shown]
	v_cndmask_b32_e64 v59, 0, v59, s[4:5]
	v_add3_u32 v60, v115, v108, v107
	v_cndmask_b32_e64 v58, 0, v58, s[4:5]
	v_add_co_u32_e64 v59, s[28:29], v59, v30
	v_add3_u32 v60, v60, v106, v105
	v_addc_co_u32_e64 v58, s[28:29], v58, v31, s[28:29]
	v_cndmask_b32_e64 v59, 0, v59, s[2:3]
	v_add3_u32 v60, v60, v104, v103
	v_cndmask_b32_e64 v58, 0, v58, s[2:3]
	v_add_co_u32_e64 v59, s[28:29], v59, v32
	v_add3_u32 v60, v60, v102, v101
	v_addc_co_u32_e64 v58, s[28:29], v58, v33, s[28:29]
	v_cndmask_b32_e32 v59, 0, v59, vcc
	v_add3_u32 v62, v60, v100, v1
	v_cndmask_b32_e32 v58, 0, v58, vcc
	v_add_co_u32_e32 v60, vcc, v59, v72
	v_mbcnt_hi_u32_b32 v63, -1, v114
	v_addc_co_u32_e32 v61, vcc, v58, v73, vcc
	v_and_b32_e32 v58, 15, v63
	v_mov_b32_dpp v66, v62 row_shr:1 row_mask:0xf bank_mask:0xf
	v_mov_b32_dpp v59, v60 row_shr:1 row_mask:0xf bank_mask:0xf
	;; [unrolled: 1-line block ×3, first 2 shown]
	v_cmp_ne_u32_e32 vcc, 0, v58
	s_and_saveexec_b64 s[28:29], vcc
; %bb.61:
	v_cmp_eq_u32_e32 vcc, 0, v62
	v_cndmask_b32_e32 v59, 0, v59, vcc
	v_add_u32_e32 v66, v66, v62
	v_cndmask_b32_e32 v62, 0, v67, vcc
	v_add_co_u32_e32 v60, vcc, v59, v60
	v_addc_co_u32_e32 v61, vcc, v62, v61, vcc
	v_mov_b32_e32 v62, v66
; %bb.62:
	s_or_b64 exec, exec, s[28:29]
	s_nop 0
	v_mov_b32_dpp v66, v62 row_shr:2 row_mask:0xf bank_mask:0xf
	v_mov_b32_dpp v59, v60 row_shr:2 row_mask:0xf bank_mask:0xf
	v_mov_b32_dpp v67, v61 row_shr:2 row_mask:0xf bank_mask:0xf
	v_cmp_lt_u32_e32 vcc, 1, v58
	s_and_saveexec_b64 s[28:29], vcc
; %bb.63:
	v_cmp_eq_u32_e32 vcc, 0, v62
	v_cndmask_b32_e32 v59, 0, v59, vcc
	v_add_u32_e32 v66, v66, v62
	v_cndmask_b32_e32 v62, 0, v67, vcc
	v_add_co_u32_e32 v60, vcc, v59, v60
	v_addc_co_u32_e32 v61, vcc, v62, v61, vcc
	v_mov_b32_e32 v62, v66
; %bb.64:
	s_or_b64 exec, exec, s[28:29]
	s_nop 0
	v_mov_b32_dpp v66, v62 row_shr:4 row_mask:0xf bank_mask:0xf
	v_mov_b32_dpp v59, v60 row_shr:4 row_mask:0xf bank_mask:0xf
	v_mov_b32_dpp v67, v61 row_shr:4 row_mask:0xf bank_mask:0xf
	v_cmp_lt_u32_e32 vcc, 3, v58
	;; [unrolled: 16-line block ×3, first 2 shown]
	s_and_saveexec_b64 s[28:29], vcc
; %bb.67:
	v_cmp_eq_u32_e32 vcc, 0, v62
	v_cndmask_b32_e32 v59, 0, v59, vcc
	v_add_u32_e32 v58, v66, v62
	v_cndmask_b32_e32 v62, 0, v67, vcc
	v_add_co_u32_e32 v60, vcc, v59, v60
	v_addc_co_u32_e32 v61, vcc, v62, v61, vcc
	v_mov_b32_e32 v62, v58
; %bb.68:
	s_or_b64 exec, exec, s[28:29]
	v_and_b32_e32 v67, 16, v63
	v_mov_b32_dpp v59, v62 row_bcast:15 row_mask:0xf bank_mask:0xf
	v_mov_b32_dpp v58, v60 row_bcast:15 row_mask:0xf bank_mask:0xf
	;; [unrolled: 1-line block ×3, first 2 shown]
	v_cmp_ne_u32_e32 vcc, 0, v67
	s_and_saveexec_b64 s[28:29], vcc
; %bb.69:
	v_cmp_eq_u32_e32 vcc, 0, v62
	v_cndmask_b32_e32 v58, 0, v58, vcc
	v_add_u32_e32 v59, v59, v62
	v_cndmask_b32_e32 v62, 0, v66, vcc
	v_add_co_u32_e32 v60, vcc, v58, v60
	v_addc_co_u32_e32 v61, vcc, v62, v61, vcc
	v_mov_b32_e32 v62, v59
; %bb.70:
	s_or_b64 exec, exec, s[28:29]
	s_nop 0
	v_mov_b32_dpp v59, v62 row_bcast:31 row_mask:0xf bank_mask:0xf
	v_mov_b32_dpp v58, v60 row_bcast:31 row_mask:0xf bank_mask:0xf
	;; [unrolled: 1-line block ×3, first 2 shown]
	v_cmp_lt_u32_e32 vcc, 31, v63
	s_and_saveexec_b64 s[28:29], vcc
; %bb.71:
	v_cmp_eq_u32_e32 vcc, 0, v62
	v_cndmask_b32_e32 v58, 0, v58, vcc
	v_add_u32_e32 v59, v59, v62
	v_cndmask_b32_e32 v62, 0, v66, vcc
	v_add_co_u32_e32 v60, vcc, v58, v60
	v_addc_co_u32_e32 v61, vcc, v62, v61, vcc
	v_mov_b32_e32 v62, v59
; %bb.72:
	s_or_b64 exec, exec, s[28:29]
	v_lshrrev_b32_e32 v58, 6, v0
	v_or_b32_e32 v59, 63, v0
	v_cmp_eq_u32_e32 vcc, v59, v0
	v_lshlrev_b32_e32 v66, 4, v58
	s_and_saveexec_b64 s[28:29], vcc
	s_cbranch_execz .LBB1215_74
; %bb.73:
	ds_write_b32 v66, v62 offset:4128
	ds_write_b64 v66, v[60:61] offset:4136
.LBB1215_74:
	s_or_b64 exec, exec, s[28:29]
	v_cmp_gt_u32_e32 vcc, 4, v0
	s_waitcnt lgkmcnt(0)
	s_barrier
	s_and_saveexec_b64 s[28:29], vcc
	s_cbranch_execz .LBB1215_80
; %bb.75:
	v_lshlrev_b32_e32 v67, 4, v0
	ds_read_b32 v68, v67 offset:4128
	ds_read_b64 v[58:59], v67 offset:4136
	v_and_b32_e32 v69, 3, v63
	v_cmp_ne_u32_e32 vcc, 0, v69
	s_waitcnt lgkmcnt(1)
	v_mov_b32_dpp v71, v68 row_shr:1 row_mask:0xf bank_mask:0xf
	s_waitcnt lgkmcnt(0)
	v_mov_b32_dpp v70, v58 row_shr:1 row_mask:0xf bank_mask:0xf
	v_mov_b32_dpp v76, v59 row_shr:1 row_mask:0xf bank_mask:0xf
	s_and_saveexec_b64 s[42:43], vcc
; %bb.76:
	v_cmp_eq_u32_e32 vcc, 0, v68
	v_cndmask_b32_e32 v70, 0, v70, vcc
	v_add_u32_e32 v71, v71, v68
	v_cndmask_b32_e32 v68, 0, v76, vcc
	v_add_co_u32_e32 v58, vcc, v70, v58
	v_addc_co_u32_e32 v59, vcc, v68, v59, vcc
	v_mov_b32_e32 v68, v71
; %bb.77:
	s_or_b64 exec, exec, s[42:43]
	s_nop 0
	v_mov_b32_dpp v71, v68 row_shr:2 row_mask:0xf bank_mask:0xf
	v_mov_b32_dpp v70, v58 row_shr:2 row_mask:0xf bank_mask:0xf
	;; [unrolled: 1-line block ×3, first 2 shown]
	v_cmp_lt_u32_e32 vcc, 1, v69
	s_and_saveexec_b64 s[42:43], vcc
; %bb.78:
	v_cmp_eq_u32_e32 vcc, 0, v68
	v_cndmask_b32_e32 v70, 0, v70, vcc
	v_add_u32_e32 v69, v71, v68
	v_cndmask_b32_e32 v68, 0, v76, vcc
	v_add_co_u32_e32 v58, vcc, v70, v58
	v_addc_co_u32_e32 v59, vcc, v68, v59, vcc
	v_mov_b32_e32 v68, v69
; %bb.79:
	s_or_b64 exec, exec, s[42:43]
	ds_write_b32 v67, v68 offset:4128
	ds_write_b64 v67, v[58:59] offset:4136
.LBB1215_80:
	s_or_b64 exec, exec, s[28:29]
	v_cmp_gt_u32_e32 vcc, 64, v0
	v_cmp_lt_u32_e64 s[28:29], 63, v0
	v_pk_mov_b32 v[58:59], 0, 0
	v_mov_b32_e32 v76, 0
	s_waitcnt lgkmcnt(0)
	s_barrier
	s_and_saveexec_b64 s[42:43], s[28:29]
	s_cbranch_execz .LBB1215_82
; %bb.81:
	ds_read_b32 v76, v66 offset:4112
	ds_read_b64 v[58:59], v66 offset:4120
	v_cmp_eq_u32_e64 s[28:29], 0, v62
	s_waitcnt lgkmcnt(1)
	v_add_u32_e32 v66, v76, v62
	s_waitcnt lgkmcnt(0)
	v_cndmask_b32_e64 v67, 0, v58, s[28:29]
	v_cndmask_b32_e64 v62, 0, v59, s[28:29]
	v_add_co_u32_e64 v60, s[28:29], v67, v60
	v_addc_co_u32_e64 v61, s[28:29], v62, v61, s[28:29]
	v_mov_b32_e32 v62, v66
.LBB1215_82:
	s_or_b64 exec, exec, s[42:43]
	v_add_u32_e32 v66, -1, v63
	v_and_b32_e32 v67, 64, v63
	v_cmp_lt_i32_e64 s[28:29], v66, v67
	v_cndmask_b32_e64 v66, v66, v63, s[28:29]
	v_lshlrev_b32_e32 v66, 2, v66
	ds_bpermute_b32 v77, v66, v62
	ds_bpermute_b32 v78, v66, v60
	;; [unrolled: 1-line block ×3, first 2 shown]
	v_cmp_eq_u32_e64 s[28:29], 0, v63
	s_and_saveexec_b64 s[42:43], vcc
	s_cbranch_execz .LBB1215_129
; %bb.83:
	v_mov_b32_e32 v67, 0
	ds_read_b32 v80, v67 offset:4176
	ds_read_b64 v[60:61], v67 offset:4184
	s_and_saveexec_b64 s[48:49], s[28:29]
	s_cbranch_execz .LBB1215_85
; %bb.84:
	s_add_i32 s58, s62, 64
	s_mov_b32 s59, 0
	s_lshl_b64 s[60:61], s[58:59], 4
	s_add_u32 s60, s36, s60
	s_addc_u32 s61, s37, s61
	v_mov_b32_e32 v62, s58
	v_mov_b32_e32 v66, 1
	s_waitcnt lgkmcnt(1)
	global_store_dword v67, v80, s[60:61]
	s_waitcnt lgkmcnt(0)
	global_store_dwordx2 v67, v[60:61], s[60:61] offset:8
	s_waitcnt vmcnt(0)
	buffer_wbinvl1_vol
	global_store_byte v62, v66, s[40:41]
.LBB1215_85:
	s_or_b64 exec, exec, s[48:49]
	v_xad_u32 v62, v63, -1, s62
	v_add_u32_e32 v66, 64, v62
	global_load_ubyte v81, v66, s[40:41] glc
	s_waitcnt vmcnt(0)
	v_cmp_eq_u16_e32 vcc, 0, v81
	s_and_saveexec_b64 s[48:49], vcc
	s_cbranch_execz .LBB1215_91
; %bb.86:
	v_mov_b32_e32 v69, s41
	v_add_co_u32_e32 v68, vcc, s40, v66
	v_addc_co_u32_e32 v69, vcc, 0, v69, vcc
	s_mov_b32 s60, 1
	s_mov_b64 s[58:59], 0
.LBB1215_87:                            ; =>This Loop Header: Depth=1
                                        ;     Child Loop BB1215_88 Depth 2
	s_max_u32 s61, s60, 1
.LBB1215_88:                            ;   Parent Loop BB1215_87 Depth=1
                                        ; =>  This Inner Loop Header: Depth=2
	s_add_i32 s61, s61, -1
	s_cmp_eq_u32 s61, 0
	s_sleep 1
	s_cbranch_scc0 .LBB1215_88
; %bb.89:                               ;   in Loop: Header=BB1215_87 Depth=1
	global_load_ubyte v81, v[68:69], off glc
	s_cmp_lt_u32 s60, 32
	s_cselect_b64 s[64:65], -1, 0
	s_cmp_lg_u64 s[64:65], 0
	s_addc_u32 s60, s60, 0
	s_waitcnt vmcnt(0)
	v_cmp_ne_u16_e32 vcc, 0, v81
	s_or_b64 s[58:59], vcc, s[58:59]
	s_andn2_b64 exec, exec, s[58:59]
	s_cbranch_execnz .LBB1215_87
; %bb.90:
	s_or_b64 exec, exec, s[58:59]
.LBB1215_91:
	s_or_b64 exec, exec, s[48:49]
	v_mov_b32_e32 v68, s39
	v_mov_b32_e32 v69, s37
	v_cmp_eq_u16_e32 vcc, 1, v81
	v_cndmask_b32_e32 v68, v68, v69, vcc
	v_mov_b32_e32 v69, s38
	v_mov_b32_e32 v70, s36
	v_cndmask_b32_e32 v69, v69, v70, vcc
	v_lshlrev_b64 v[66:67], 4, v[66:67]
	v_add_co_u32_e32 v66, vcc, v69, v66
	v_addc_co_u32_e32 v67, vcc, v68, v67, vcc
	s_waitcnt lgkmcnt(0)
	buffer_wbinvl1_vol
	global_load_dword v96, v[66:67], off
	global_load_dwordx2 v[70:71], v[66:67], off offset:8
	v_cmp_eq_u16_e32 vcc, 2, v81
	v_lshlrev_b64 v[66:67], v63, -1
	v_and_b32_e32 v82, 63, v63
	v_and_b32_e32 v68, vcc_hi, v67
	v_and_b32_e32 v86, vcc_lo, v66
	v_cmp_ne_u32_e32 vcc, 63, v82
	v_addc_co_u32_e32 v69, vcc, 0, v63, vcc
	v_lshlrev_b32_e32 v83, 2, v69
	v_or_b32_e32 v68, 0x80000000, v68
	v_ffbl_b32_e32 v68, v68
	v_add_u32_e32 v68, 32, v68
	v_ffbl_b32_e32 v86, v86
	v_min_u32_e32 v68, v86, v68
	v_cmp_lt_u32_e32 vcc, v82, v68
	s_waitcnt vmcnt(1)
	ds_bpermute_b32 v84, v83, v96
	s_waitcnt vmcnt(0)
	ds_bpermute_b32 v69, v83, v70
	ds_bpermute_b32 v85, v83, v71
	s_and_saveexec_b64 s[48:49], vcc
	s_cbranch_execz .LBB1215_93
; %bb.92:
	v_cmp_eq_u32_e32 vcc, 0, v96
	s_waitcnt lgkmcnt(1)
	v_cndmask_b32_e32 v69, 0, v69, vcc
	v_add_u32_e32 v84, v84, v96
	s_waitcnt lgkmcnt(0)
	v_cndmask_b32_e32 v85, 0, v85, vcc
	v_add_co_u32_e32 v70, vcc, v69, v70
	v_addc_co_u32_e32 v71, vcc, v85, v71, vcc
	v_mov_b32_e32 v96, v84
.LBB1215_93:
	s_or_b64 exec, exec, s[48:49]
	v_cmp_gt_u32_e32 vcc, 62, v82
	s_waitcnt lgkmcnt(1)
	v_cndmask_b32_e64 v69, 0, 1, vcc
	v_lshlrev_b32_e32 v69, 1, v69
	v_add_lshl_u32 v84, v69, v63, 2
	ds_bpermute_b32 v86, v84, v96
	ds_bpermute_b32 v69, v84, v70
	ds_bpermute_b32 v87, v84, v71
	s_waitcnt lgkmcnt(3)
	v_add_u32_e32 v85, 2, v82
	v_cmp_le_u32_e32 vcc, v85, v68
	s_and_saveexec_b64 s[48:49], vcc
	s_cbranch_execz .LBB1215_95
; %bb.94:
	v_cmp_eq_u32_e32 vcc, 0, v96
	s_waitcnt lgkmcnt(1)
	v_cndmask_b32_e32 v69, 0, v69, vcc
	v_add_u32_e32 v86, v86, v96
	s_waitcnt lgkmcnt(0)
	v_cndmask_b32_e32 v87, 0, v87, vcc
	v_add_co_u32_e32 v70, vcc, v69, v70
	v_addc_co_u32_e32 v71, vcc, v87, v71, vcc
	v_mov_b32_e32 v96, v86
.LBB1215_95:
	s_or_b64 exec, exec, s[48:49]
	v_cmp_gt_u32_e32 vcc, 60, v82
	s_waitcnt lgkmcnt(1)
	v_cndmask_b32_e64 v69, 0, 1, vcc
	v_lshlrev_b32_e32 v69, 2, v69
	v_add_lshl_u32 v86, v69, v63, 2
	ds_bpermute_b32 v88, v86, v96
	ds_bpermute_b32 v69, v86, v70
	ds_bpermute_b32 v89, v86, v71
	s_waitcnt lgkmcnt(3)
	v_add_u32_e32 v87, 4, v82
	v_cmp_le_u32_e32 vcc, v87, v68
	;; [unrolled: 25-line block ×4, first 2 shown]
	s_and_saveexec_b64 s[48:49], vcc
	s_cbranch_execz .LBB1215_101
; %bb.100:
	v_cmp_eq_u32_e32 vcc, 0, v96
	s_waitcnt lgkmcnt(1)
	v_cndmask_b32_e32 v69, 0, v69, vcc
	v_add_u32_e32 v92, v92, v96
	s_waitcnt lgkmcnt(0)
	v_cndmask_b32_e32 v93, 0, v93, vcc
	v_add_co_u32_e32 v70, vcc, v69, v70
	v_addc_co_u32_e32 v71, vcc, v93, v71, vcc
	v_mov_b32_e32 v96, v92
.LBB1215_101:
	s_or_b64 exec, exec, s[48:49]
	v_cmp_gt_u32_e32 vcc, 32, v82
	s_waitcnt lgkmcnt(1)
	v_cndmask_b32_e64 v69, 0, 1, vcc
	v_lshlrev_b32_e32 v69, 5, v69
	v_add_lshl_u32 v92, v69, v63, 2
	ds_bpermute_b32 v69, v92, v96
	ds_bpermute_b32 v63, v92, v70
	s_waitcnt lgkmcnt(2)
	ds_bpermute_b32 v93, v92, v71
	v_add_u32_e32 v94, 32, v82
	v_cmp_le_u32_e32 vcc, v94, v68
	s_and_saveexec_b64 s[48:49], vcc
	s_cbranch_execz .LBB1215_103
; %bb.102:
	v_cmp_eq_u32_e32 vcc, 0, v96
	s_waitcnt lgkmcnt(1)
	v_cndmask_b32_e32 v63, 0, v63, vcc
	v_add_u32_e32 v68, v69, v96
	s_waitcnt lgkmcnt(0)
	v_cndmask_b32_e32 v69, 0, v93, vcc
	v_add_co_u32_e32 v70, vcc, v63, v70
	v_addc_co_u32_e32 v71, vcc, v69, v71, vcc
	v_mov_b32_e32 v96, v68
.LBB1215_103:
	s_or_b64 exec, exec, s[48:49]
	s_waitcnt lgkmcnt(1)
	v_mov_b32_e32 v63, 0
	v_mov_b32_e32 v95, 2
	s_branch .LBB1215_105
.LBB1215_104:                           ;   in Loop: Header=BB1215_105 Depth=1
	s_or_b64 exec, exec, s[48:49]
	v_cmp_eq_u32_e32 vcc, 0, v93
	v_cndmask_b32_e32 v70, 0, v70, vcc
	v_cndmask_b32_e32 v71, 0, v71, vcc
	v_add_co_u32_e32 v70, vcc, v70, v68
	v_subrev_u32_e32 v62, 64, v62
	v_add_u32_e32 v96, v97, v93
	v_addc_co_u32_e32 v71, vcc, v71, v69, vcc
.LBB1215_105:                           ; =>This Loop Header: Depth=1
                                        ;     Child Loop BB1215_108 Depth 2
                                        ;       Child Loop BB1215_109 Depth 3
	v_cmp_ne_u16_sdwa s[48:49], v81, v95 src0_sel:BYTE_0 src1_sel:DWORD
	v_pk_mov_b32 v[68:69], v[70:71], v[70:71] op_sel:[0,1]
	v_cndmask_b32_e64 v70, 0, 1, s[48:49]
	;;#ASMSTART
	;;#ASMEND
	v_cmp_ne_u32_e32 vcc, 0, v70
	s_cmp_lg_u64 vcc, exec
	s_waitcnt lgkmcnt(0)
	v_mov_b32_e32 v93, v96
	s_cbranch_scc1 .LBB1215_124
; %bb.106:                              ;   in Loop: Header=BB1215_105 Depth=1
	global_load_ubyte v81, v62, s[40:41] glc
	s_waitcnt vmcnt(0)
	v_cmp_eq_u16_e32 vcc, 0, v81
	s_and_saveexec_b64 s[48:49], vcc
	s_cbranch_execz .LBB1215_112
; %bb.107:                              ;   in Loop: Header=BB1215_105 Depth=1
	v_mov_b32_e32 v71, s41
	v_add_co_u32_e32 v70, vcc, s40, v62
	v_addc_co_u32_e32 v71, vcc, 0, v71, vcc
	s_mov_b32 s60, 1
	s_mov_b64 s[58:59], 0
.LBB1215_108:                           ;   Parent Loop BB1215_105 Depth=1
                                        ; =>  This Loop Header: Depth=2
                                        ;       Child Loop BB1215_109 Depth 3
	s_max_u32 s61, s60, 1
.LBB1215_109:                           ;   Parent Loop BB1215_105 Depth=1
                                        ;     Parent Loop BB1215_108 Depth=2
                                        ; =>    This Inner Loop Header: Depth=3
	s_add_i32 s61, s61, -1
	s_cmp_eq_u32 s61, 0
	s_sleep 1
	s_cbranch_scc0 .LBB1215_109
; %bb.110:                              ;   in Loop: Header=BB1215_108 Depth=2
	global_load_ubyte v81, v[70:71], off glc
	s_cmp_lt_u32 s60, 32
	s_cselect_b64 s[64:65], -1, 0
	s_cmp_lg_u64 s[64:65], 0
	s_addc_u32 s60, s60, 0
	s_waitcnt vmcnt(0)
	v_cmp_ne_u16_e32 vcc, 0, v81
	s_or_b64 s[58:59], vcc, s[58:59]
	s_andn2_b64 exec, exec, s[58:59]
	s_cbranch_execnz .LBB1215_108
; %bb.111:                              ;   in Loop: Header=BB1215_105 Depth=1
	s_or_b64 exec, exec, s[58:59]
.LBB1215_112:                           ;   in Loop: Header=BB1215_105 Depth=1
	s_or_b64 exec, exec, s[48:49]
	v_mov_b32_e32 v70, s39
	v_mov_b32_e32 v71, s37
	v_cmp_eq_u16_e32 vcc, 1, v81
	v_cndmask_b32_e32 v96, v70, v71, vcc
	v_mov_b32_e32 v70, s38
	v_mov_b32_e32 v71, s36
	v_cndmask_b32_e32 v97, v70, v71, vcc
	v_lshlrev_b64 v[70:71], 4, v[62:63]
	v_add_co_u32_e32 v70, vcc, v97, v70
	v_addc_co_u32_e32 v71, vcc, v96, v71, vcc
	buffer_wbinvl1_vol
	global_load_dword v97, v[70:71], off
	s_nop 0
	global_load_dwordx2 v[70:71], v[70:71], off offset:8
	v_cmp_eq_u16_e32 vcc, 2, v81
	v_and_b32_e32 v96, vcc_hi, v67
	v_or_b32_e32 v96, 0x80000000, v96
	v_and_b32_e32 v117, vcc_lo, v66
	v_ffbl_b32_e32 v96, v96
	v_add_u32_e32 v96, 32, v96
	v_ffbl_b32_e32 v117, v117
	v_min_u32_e32 v96, v117, v96
	v_cmp_lt_u32_e32 vcc, v82, v96
	s_waitcnt vmcnt(1)
	ds_bpermute_b32 v99, v83, v97
	s_waitcnt vmcnt(0)
	ds_bpermute_b32 v98, v83, v70
	ds_bpermute_b32 v116, v83, v71
	s_and_saveexec_b64 s[48:49], vcc
	s_cbranch_execz .LBB1215_114
; %bb.113:                              ;   in Loop: Header=BB1215_105 Depth=1
	v_cmp_eq_u32_e32 vcc, 0, v97
	s_waitcnt lgkmcnt(1)
	v_cndmask_b32_e32 v98, 0, v98, vcc
	v_add_u32_e32 v99, v99, v97
	s_waitcnt lgkmcnt(0)
	v_cndmask_b32_e32 v97, 0, v116, vcc
	v_add_co_u32_e32 v70, vcc, v98, v70
	v_addc_co_u32_e32 v71, vcc, v97, v71, vcc
	v_mov_b32_e32 v97, v99
.LBB1215_114:                           ;   in Loop: Header=BB1215_105 Depth=1
	s_or_b64 exec, exec, s[48:49]
	s_waitcnt lgkmcnt(2)
	ds_bpermute_b32 v99, v84, v97
	s_waitcnt lgkmcnt(2)
	ds_bpermute_b32 v98, v84, v70
	s_waitcnt lgkmcnt(2)
	ds_bpermute_b32 v116, v84, v71
	v_cmp_le_u32_e32 vcc, v85, v96
	s_and_saveexec_b64 s[48:49], vcc
	s_cbranch_execz .LBB1215_116
; %bb.115:                              ;   in Loop: Header=BB1215_105 Depth=1
	v_cmp_eq_u32_e32 vcc, 0, v97
	s_waitcnt lgkmcnt(1)
	v_cndmask_b32_e32 v98, 0, v98, vcc
	v_add_u32_e32 v99, v99, v97
	s_waitcnt lgkmcnt(0)
	v_cndmask_b32_e32 v97, 0, v116, vcc
	v_add_co_u32_e32 v70, vcc, v98, v70
	v_addc_co_u32_e32 v71, vcc, v97, v71, vcc
	v_mov_b32_e32 v97, v99
.LBB1215_116:                           ;   in Loop: Header=BB1215_105 Depth=1
	s_or_b64 exec, exec, s[48:49]
	s_waitcnt lgkmcnt(2)
	ds_bpermute_b32 v99, v86, v97
	s_waitcnt lgkmcnt(2)
	ds_bpermute_b32 v98, v86, v70
	s_waitcnt lgkmcnt(2)
	ds_bpermute_b32 v116, v86, v71
	v_cmp_le_u32_e32 vcc, v87, v96
	;; [unrolled: 21-line block ×5, first 2 shown]
	s_and_saveexec_b64 s[48:49], vcc
	s_cbranch_execz .LBB1215_104
; %bb.123:                              ;   in Loop: Header=BB1215_105 Depth=1
	v_cmp_eq_u32_e32 vcc, 0, v97
	s_waitcnt lgkmcnt(1)
	v_cndmask_b32_e32 v98, 0, v98, vcc
	v_add_u32_e32 v96, v99, v97
	s_waitcnt lgkmcnt(0)
	v_cndmask_b32_e32 v97, 0, v116, vcc
	v_add_co_u32_e32 v70, vcc, v98, v70
	v_addc_co_u32_e32 v71, vcc, v97, v71, vcc
	v_mov_b32_e32 v97, v96
	s_branch .LBB1215_104
.LBB1215_124:                           ;   in Loop: Header=BB1215_105 Depth=1
                                        ; implicit-def: $vgpr70_vgpr71
                                        ; implicit-def: $vgpr96
                                        ; implicit-def: $vgpr81
	s_cbranch_execz .LBB1215_105
; %bb.125:
	s_and_saveexec_b64 s[36:37], s[28:29]
	s_cbranch_execz .LBB1215_127
; %bb.126:
	s_mov_b32 s49, 0
	v_cmp_eq_u32_e32 vcc, 0, v80
	s_add_i32 s48, s62, 64
	v_cndmask_b32_e32 v62, 0, v68, vcc
	s_lshl_b64 s[58:59], s[48:49], 4
	v_cndmask_b32_e32 v63, 0, v69, vcc
	v_add_co_u32_e32 v62, vcc, v62, v60
	s_add_u32 s58, s38, s58
	v_add_u32_e32 v66, v93, v80
	v_addc_co_u32_e32 v63, vcc, v63, v61, vcc
	s_addc_u32 s59, s39, s59
	v_mov_b32_e32 v67, 0
	global_store_dword v67, v66, s[58:59]
	global_store_dwordx2 v67, v[62:63], s[58:59] offset:8
	v_mov_b32_e32 v62, s48
	v_mov_b32_e32 v63, 2
	s_waitcnt vmcnt(0) lgkmcnt(0)
	buffer_wbinvl1_vol
	global_store_byte v62, v63, s[40:41]
	ds_write_b32 v67, v80 offset:4096
	ds_write_b64 v67, v[60:61] offset:4104
	ds_write_b32 v67, v93 offset:4112
	ds_write_b64 v67, v[68:69] offset:4120
.LBB1215_127:
	s_or_b64 exec, exec, s[36:37]
	s_and_b64 exec, exec, s[0:1]
	s_cbranch_execz .LBB1215_129
; %bb.128:
	v_mov_b32_e32 v60, 0
	ds_write_b32 v60, v93 offset:4176
	ds_write_b64 v60, v[68:69] offset:4184
.LBB1215_129:
	s_or_b64 exec, exec, s[42:43]
	v_mov_b32_e32 v63, 0
	s_waitcnt lgkmcnt(0)
	s_barrier
	ds_read_b32 v62, v63 offset:4176
	ds_read_b64 v[60:61], v63 offset:4184
	v_cndmask_b32_e64 v66, v77, v76, s[28:29]
	v_cmp_eq_u32_e32 vcc, 0, v66
	v_cndmask_b32_e64 v58, v78, v58, s[28:29]
	v_cndmask_b32_e64 v59, v79, v59, s[28:29]
	s_waitcnt lgkmcnt(0)
	v_cndmask_b32_e32 v68, 0, v60, vcc
	v_cndmask_b32_e32 v67, 0, v61, vcc
	v_add_co_u32_e32 v58, vcc, v68, v58
	v_addc_co_u32_e32 v67, vcc, v67, v59, vcc
	v_cndmask_b32_e64 v94, v58, v60, s[0:1]
	v_cmp_eq_u32_e32 vcc, 0, v113
	v_cndmask_b32_e64 v95, v67, v61, s[0:1]
	v_cndmask_b32_e32 v60, 0, v94, vcc
	v_cndmask_b32_e64 v59, v66, 0, s[0:1]
	v_cndmask_b32_e32 v58, 0, v95, vcc
	v_add_co_u32_e32 v66, vcc, v60, v54
	v_addc_co_u32_e32 v67, vcc, v58, v55, vcc
	v_cndmask_b32_e64 v60, 0, v66, s[26:27]
	v_cndmask_b32_e64 v58, 0, v67, s[26:27]
	v_add_co_u32_e32 v68, vcc, v60, v56
	v_addc_co_u32_e32 v69, vcc, v58, v57, vcc
	v_cndmask_b32_e64 v60, 0, v68, s[24:25]
	v_cndmask_b32_e64 v58, 0, v69, s[24:25]
	;; [unrolled: 4-line block ×11, first 2 shown]
	v_add_co_u32_e32 v92, vcc, v60, v36
	v_add_u32_e32 v59, v62, v59
	v_addc_co_u32_e32 v93, vcc, v58, v37, vcc
	s_barrier
	ds_read_b32 v58, v63 offset:4096
	ds_read_b64 v[60:61], v63 offset:4104
	ds_read_b32 v62, v63 offset:4112
	ds_read_b64 v[116:117], v63 offset:4120
	v_cndmask_b32_e64 v96, 0, v92, s[4:5]
	v_cndmask_b32_e64 v97, 0, v93, s[4:5]
	v_add_co_u32_e32 v96, vcc, v96, v30
	v_addc_co_u32_e32 v97, vcc, v97, v31, vcc
	s_waitcnt lgkmcnt(3)
	v_cmp_eq_u32_e32 vcc, 0, v58
	s_waitcnt lgkmcnt(0)
	v_cndmask_b32_e32 v116, 0, v116, vcc
	v_cndmask_b32_e32 v63, 0, v117, vcc
	v_add_co_u32_e32 v60, vcc, v116, v60
	v_cndmask_b32_e64 v99, 0, v97, s[2:3]
	v_cndmask_b32_e64 v98, 0, v96, s[2:3]
	v_addc_co_u32_e32 v61, vcc, v63, v61, vcc
	s_branch .LBB1215_158
.LBB1215_130:
                                        ; implicit-def: $vgpr58
                                        ; implicit-def: $vgpr60_vgpr61
                                        ; implicit-def: $vgpr62
                                        ; implicit-def: $vgpr94_vgpr95
                                        ; implicit-def: $vgpr66_vgpr67
                                        ; implicit-def: $vgpr68_vgpr69
                                        ; implicit-def: $vgpr70_vgpr71
                                        ; implicit-def: $vgpr76_vgpr77
                                        ; implicit-def: $vgpr78_vgpr79
                                        ; implicit-def: $vgpr80_vgpr81
                                        ; implicit-def: $vgpr82_vgpr83
                                        ; implicit-def: $vgpr84_vgpr85
                                        ; implicit-def: $vgpr86_vgpr87
                                        ; implicit-def: $vgpr88_vgpr89
                                        ; implicit-def: $vgpr90_vgpr91
                                        ; implicit-def: $vgpr92_vgpr93
                                        ; implicit-def: $vgpr96_vgpr97
                                        ; implicit-def: $vgpr98_vgpr99
                                        ; implicit-def: $vgpr59
	s_cbranch_execz .LBB1215_158
; %bb.131:
	s_and_b64 s[2:3], s[34:35], exec
	s_cselect_b32 s3, 0, s31
	s_cselect_b32 s2, 0, s30
	s_cmp_eq_u64 s[2:3], 0
	s_cbranch_scc1 .LBB1215_133
; %bb.132:
	v_mov_b32_e32 v58, 0
	global_load_dwordx2 v[64:65], v58, s[2:3]
.LBB1215_133:
	v_cmp_eq_u32_e64 s[24:25], 0, v112
	v_cndmask_b32_e64 v59, 0, v54, s[24:25]
	v_cndmask_b32_e64 v58, 0, v55, s[24:25]
	v_add_co_u32_e32 v59, vcc, v59, v56
	v_cmp_eq_u32_e64 s[22:23], 0, v111
	v_addc_co_u32_e32 v58, vcc, v58, v57, vcc
	v_cndmask_b32_e64 v59, 0, v59, s[22:23]
	v_cndmask_b32_e64 v58, 0, v58, s[22:23]
	v_add_co_u32_e32 v59, vcc, v59, v50
	v_cmp_eq_u32_e64 s[20:21], 0, v110
	v_addc_co_u32_e32 v58, vcc, v58, v51, vcc
	;; [unrolled: 5-line block ×11, first 2 shown]
	v_cndmask_b32_e64 v59, 0, v59, s[4:5]
	v_cndmask_b32_e64 v58, 0, v58, s[4:5]
	v_add_co_u32_e32 v59, vcc, v59, v30
	v_addc_co_u32_e32 v58, vcc, v58, v31, vcc
	v_cmp_eq_u32_e32 vcc, 0, v100
	v_add3_u32 v60, v115, v108, v107
	v_cndmask_b32_e32 v59, 0, v59, vcc
	v_add3_u32 v60, v60, v106, v105
	v_cndmask_b32_e32 v58, 0, v58, vcc
	v_add_co_u32_e64 v59, s[26:27], v59, v32
	v_add3_u32 v60, v60, v104, v103
	v_addc_co_u32_e64 v58, s[26:27], v58, v33, s[26:27]
	v_add3_u32 v60, v60, v102, v101
	v_cmp_eq_u32_e64 s[26:27], 0, v1
	v_add3_u32 v63, v60, v100, v1
	v_cndmask_b32_e64 v60, 0, v58, s[26:27]
	v_cndmask_b32_e64 v58, 0, v59, s[26:27]
	v_add_co_u32_e64 v58, s[26:27], v58, v72
	v_mbcnt_hi_u32_b32 v62, -1, v114
	v_addc_co_u32_e64 v59, s[26:27], v60, v73, s[26:27]
	v_and_b32_e32 v60, 15, v62
	v_mov_b32_dpp v66, v63 row_shr:1 row_mask:0xf bank_mask:0xf
	v_mov_b32_dpp v61, v58 row_shr:1 row_mask:0xf bank_mask:0xf
	;; [unrolled: 1-line block ×3, first 2 shown]
	v_cmp_ne_u32_e64 s[26:27], 0, v60
	s_and_saveexec_b64 s[28:29], s[26:27]
; %bb.134:
	v_cmp_eq_u32_e64 s[26:27], 0, v63
	v_cndmask_b32_e64 v61, 0, v61, s[26:27]
	v_add_u32_e32 v66, v66, v63
	v_cndmask_b32_e64 v63, 0, v67, s[26:27]
	v_add_co_u32_e64 v58, s[26:27], v61, v58
	v_addc_co_u32_e64 v59, s[26:27], v63, v59, s[26:27]
	v_mov_b32_e32 v63, v66
; %bb.135:
	s_or_b64 exec, exec, s[28:29]
	s_nop 0
	v_mov_b32_dpp v66, v63 row_shr:2 row_mask:0xf bank_mask:0xf
	v_mov_b32_dpp v61, v58 row_shr:2 row_mask:0xf bank_mask:0xf
	v_mov_b32_dpp v67, v59 row_shr:2 row_mask:0xf bank_mask:0xf
	v_cmp_lt_u32_e64 s[26:27], 1, v60
	s_and_saveexec_b64 s[28:29], s[26:27]
; %bb.136:
	v_cmp_eq_u32_e64 s[26:27], 0, v63
	v_cndmask_b32_e64 v61, 0, v61, s[26:27]
	v_add_u32_e32 v66, v66, v63
	v_cndmask_b32_e64 v63, 0, v67, s[26:27]
	v_add_co_u32_e64 v58, s[26:27], v61, v58
	v_addc_co_u32_e64 v59, s[26:27], v63, v59, s[26:27]
	v_mov_b32_e32 v63, v66
; %bb.137:
	s_or_b64 exec, exec, s[28:29]
	s_nop 0
	v_mov_b32_dpp v66, v63 row_shr:4 row_mask:0xf bank_mask:0xf
	v_mov_b32_dpp v61, v58 row_shr:4 row_mask:0xf bank_mask:0xf
	v_mov_b32_dpp v67, v59 row_shr:4 row_mask:0xf bank_mask:0xf
	v_cmp_lt_u32_e64 s[26:27], 3, v60
	;; [unrolled: 16-line block ×3, first 2 shown]
	s_and_saveexec_b64 s[28:29], s[26:27]
; %bb.140:
	v_cmp_eq_u32_e64 s[26:27], 0, v63
	v_cndmask_b32_e64 v61, 0, v61, s[26:27]
	v_add_u32_e32 v60, v66, v63
	v_cndmask_b32_e64 v63, 0, v67, s[26:27]
	v_add_co_u32_e64 v58, s[26:27], v61, v58
	v_addc_co_u32_e64 v59, s[26:27], v63, v59, s[26:27]
	v_mov_b32_e32 v63, v60
; %bb.141:
	s_or_b64 exec, exec, s[28:29]
	v_and_b32_e32 v67, 16, v62
	v_mov_b32_dpp v61, v63 row_bcast:15 row_mask:0xf bank_mask:0xf
	v_mov_b32_dpp v60, v58 row_bcast:15 row_mask:0xf bank_mask:0xf
	;; [unrolled: 1-line block ×3, first 2 shown]
	v_cmp_ne_u32_e64 s[26:27], 0, v67
	s_and_saveexec_b64 s[28:29], s[26:27]
; %bb.142:
	v_cmp_eq_u32_e64 s[26:27], 0, v63
	v_cndmask_b32_e64 v60, 0, v60, s[26:27]
	v_add_u32_e32 v61, v61, v63
	v_cndmask_b32_e64 v63, 0, v66, s[26:27]
	v_add_co_u32_e64 v58, s[26:27], v60, v58
	v_addc_co_u32_e64 v59, s[26:27], v63, v59, s[26:27]
	v_mov_b32_e32 v63, v61
; %bb.143:
	s_or_b64 exec, exec, s[28:29]
	s_nop 0
	v_mov_b32_dpp v61, v63 row_bcast:31 row_mask:0xf bank_mask:0xf
	v_mov_b32_dpp v60, v58 row_bcast:31 row_mask:0xf bank_mask:0xf
	;; [unrolled: 1-line block ×3, first 2 shown]
	v_cmp_lt_u32_e64 s[26:27], 31, v62
	s_and_saveexec_b64 s[28:29], s[26:27]
; %bb.144:
	v_cmp_eq_u32_e64 s[26:27], 0, v63
	v_cndmask_b32_e64 v60, 0, v60, s[26:27]
	v_add_u32_e32 v61, v61, v63
	v_cndmask_b32_e64 v63, 0, v66, s[26:27]
	v_add_co_u32_e64 v58, s[26:27], v60, v58
	v_addc_co_u32_e64 v59, s[26:27], v63, v59, s[26:27]
	v_mov_b32_e32 v63, v61
; %bb.145:
	s_or_b64 exec, exec, s[28:29]
	v_or_b32_e32 v60, 63, v0
	v_lshrrev_b32_e32 v66, 6, v0
	v_cmp_eq_u32_e64 s[26:27], v60, v0
	s_and_saveexec_b64 s[28:29], s[26:27]
	s_cbranch_execz .LBB1215_147
; %bb.146:
	v_lshlrev_b32_e32 v60, 4, v66
	ds_write_b32 v60, v63 offset:4128
	ds_write_b64 v60, v[58:59] offset:4136
.LBB1215_147:
	s_or_b64 exec, exec, s[28:29]
	v_cmp_gt_u32_e64 s[26:27], 4, v0
	s_waitcnt lgkmcnt(0)
	s_barrier
	s_and_saveexec_b64 s[28:29], s[26:27]
	s_cbranch_execz .LBB1215_153
; %bb.148:
	v_lshlrev_b32_e32 v67, 4, v0
	ds_read_b32 v68, v67 offset:4128
	ds_read_b64 v[60:61], v67 offset:4136
	v_and_b32_e32 v69, 3, v62
	v_cmp_ne_u32_e64 s[26:27], 0, v69
	s_waitcnt lgkmcnt(1)
	v_mov_b32_dpp v71, v68 row_shr:1 row_mask:0xf bank_mask:0xf
	s_waitcnt lgkmcnt(0)
	v_mov_b32_dpp v70, v60 row_shr:1 row_mask:0xf bank_mask:0xf
	v_mov_b32_dpp v72, v61 row_shr:1 row_mask:0xf bank_mask:0xf
	s_and_saveexec_b64 s[30:31], s[26:27]
; %bb.149:
	v_cmp_eq_u32_e64 s[26:27], 0, v68
	v_cndmask_b32_e64 v70, 0, v70, s[26:27]
	v_add_u32_e32 v71, v71, v68
	v_cndmask_b32_e64 v68, 0, v72, s[26:27]
	v_add_co_u32_e64 v60, s[26:27], v70, v60
	v_addc_co_u32_e64 v61, s[26:27], v68, v61, s[26:27]
	v_mov_b32_e32 v68, v71
; %bb.150:
	s_or_b64 exec, exec, s[30:31]
	s_nop 0
	v_mov_b32_dpp v71, v68 row_shr:2 row_mask:0xf bank_mask:0xf
	v_mov_b32_dpp v70, v60 row_shr:2 row_mask:0xf bank_mask:0xf
	v_mov_b32_dpp v72, v61 row_shr:2 row_mask:0xf bank_mask:0xf
	v_cmp_lt_u32_e64 s[26:27], 1, v69
	s_and_saveexec_b64 s[30:31], s[26:27]
; %bb.151:
	v_cmp_eq_u32_e64 s[26:27], 0, v68
	v_cndmask_b32_e64 v70, 0, v70, s[26:27]
	v_add_u32_e32 v69, v71, v68
	v_cndmask_b32_e64 v68, 0, v72, s[26:27]
	v_add_co_u32_e64 v60, s[26:27], v70, v60
	v_addc_co_u32_e64 v61, s[26:27], v68, v61, s[26:27]
	v_mov_b32_e32 v68, v69
; %bb.152:
	s_or_b64 exec, exec, s[30:31]
	ds_write_b32 v67, v68 offset:4128
	ds_write_b64 v67, v[60:61] offset:4136
.LBB1215_153:
	s_or_b64 exec, exec, s[28:29]
	v_cmp_lt_u32_e64 s[26:27], 63, v0
	v_mov_b32_e32 v72, 0
	v_mov_b32_e32 v67, 0
	s_waitcnt vmcnt(0)
	v_pk_mov_b32 v[60:61], v[64:65], v[64:65] op_sel:[0,1]
	s_waitcnt lgkmcnt(0)
	s_barrier
	s_and_saveexec_b64 s[28:29], s[26:27]
	s_cbranch_execz .LBB1215_155
; %bb.154:
	v_lshlrev_b32_e32 v60, 4, v66
	ds_read_b32 v67, v60 offset:4112
	ds_read_b64 v[60:61], v60 offset:4120
	s_waitcnt lgkmcnt(1)
	v_cmp_eq_u32_e64 s[26:27], 0, v67
	v_cndmask_b32_e64 v68, 0, v64, s[26:27]
	v_cndmask_b32_e64 v66, 0, v65, s[26:27]
	s_waitcnt lgkmcnt(0)
	v_add_co_u32_e64 v60, s[26:27], v68, v60
	v_addc_co_u32_e64 v61, s[26:27], v66, v61, s[26:27]
.LBB1215_155:
	s_or_b64 exec, exec, s[28:29]
	v_cmp_eq_u32_e64 s[26:27], 0, v63
	v_cndmask_b32_e64 v68, 0, v60, s[26:27]
	v_add_u32_e32 v66, v67, v63
	v_cndmask_b32_e64 v63, 0, v61, s[26:27]
	v_add_co_u32_e64 v58, s[26:27], v68, v58
	v_addc_co_u32_e64 v59, s[26:27], v63, v59, s[26:27]
	v_add_u32_e32 v63, -1, v62
	v_and_b32_e32 v68, 64, v62
	v_cmp_lt_i32_e64 s[26:27], v63, v68
	v_cndmask_b32_e64 v63, v63, v62, s[26:27]
	v_lshlrev_b32_e32 v63, 2, v63
	ds_bpermute_b32 v58, v63, v58
	ds_bpermute_b32 v66, v63, v66
	;; [unrolled: 1-line block ×3, first 2 shown]
	v_cmp_eq_u32_e64 s[26:27], 0, v62
	s_waitcnt lgkmcnt(2)
	v_cndmask_b32_e64 v94, v58, v60, s[26:27]
	s_waitcnt lgkmcnt(1)
	v_cndmask_b32_e64 v59, v66, v67, s[26:27]
	;; [unrolled: 2-line block ×3, first 2 shown]
	v_cndmask_b32_e64 v58, v94, v64, s[0:1]
	v_cmp_eq_u32_e64 s[26:27], 0, v113
	v_cndmask_b32_e64 v60, v95, v65, s[0:1]
	v_cndmask_b32_e64 v58, 0, v58, s[26:27]
	;; [unrolled: 1-line block ×3, first 2 shown]
	v_add_co_u32_e64 v66, s[26:27], v58, v54
	v_addc_co_u32_e64 v67, s[26:27], v60, v55, s[26:27]
	v_cndmask_b32_e64 v55, 0, v66, s[24:25]
	v_cndmask_b32_e64 v54, 0, v67, s[24:25]
	v_add_co_u32_e64 v68, s[24:25], v55, v56
	v_addc_co_u32_e64 v69, s[24:25], v54, v57, s[24:25]
	v_cndmask_b32_e64 v55, 0, v68, s[22:23]
	v_cndmask_b32_e64 v54, 0, v69, s[22:23]
	;; [unrolled: 4-line block ×11, first 2 shown]
	v_add_co_u32_e64 v92, s[2:3], v35, v36
	v_addc_co_u32_e64 v93, s[2:3], v34, v37, s[2:3]
	v_cndmask_b32_e64 v35, 0, v92, s[4:5]
	ds_read_b32 v58, v72 offset:4176
	v_cndmask_b32_e64 v34, 0, v93, s[4:5]
	v_add_co_u32_e64 v96, s[2:3], v35, v30
	v_addc_co_u32_e64 v97, s[2:3], v34, v31, s[2:3]
	ds_read_b64 v[30:31], v72 offset:4184
	v_cndmask_b32_e32 v99, 0, v97, vcc
	v_cndmask_b32_e32 v98, 0, v96, vcc
	s_waitcnt lgkmcnt(1)
	v_cmp_eq_u32_e32 vcc, 0, v58
	v_cndmask_b32_e32 v35, 0, v64, vcc
	v_cndmask_b32_e32 v34, 0, v65, vcc
	s_waitcnt lgkmcnt(0)
	v_add_co_u32_e32 v60, vcc, v35, v30
	v_addc_co_u32_e32 v61, vcc, v34, v31, vcc
	s_and_saveexec_b64 s[2:3], s[0:1]
	s_cbranch_execz .LBB1215_157
; %bb.156:
	v_mov_b32_e32 v59, 0
	v_mov_b32_e32 v30, 2
	v_pk_mov_b32 v[94:95], v[64:65], v[64:65] op_sel:[0,1]
	global_store_dword v59, v58, s[38:39] offset:1024
	global_store_dwordx2 v59, v[60:61], s[38:39] offset:1032
	s_waitcnt vmcnt(0)
	buffer_wbinvl1_vol
	global_store_byte v59, v30, s[40:41] offset:64
.LBB1215_157:
	s_or_b64 exec, exec, s[2:3]
	v_mov_b32_e32 v62, 0
.LBB1215_158:
	s_and_b64 s[2:3], s[34:35], exec
	s_cselect_b32 s3, 0, s51
	s_cselect_b32 s2, 0, s50
	s_cmp_eq_u64 s[2:3], 0
	v_pk_mov_b32 v[30:31], 0, 0
	s_barrier
	s_cbranch_scc1 .LBB1215_160
; %bb.159:
	v_mov_b32_e32 v30, 0
	global_load_dwordx2 v[30:31], v30, s[2:3]
.LBB1215_160:
	s_waitcnt vmcnt(0)
	v_lshlrev_b64 v[34:35], 3, v[30:31]
	v_mov_b32_e32 v36, s53
	v_add_co_u32_e32 v52, vcc, s52, v34
	v_mov_b32_e32 v63, 0
	v_addc_co_u32_e32 v53, vcc, v36, v35, vcc
	v_lshlrev_b64 v[36:37], 3, v[62:63]
	v_add_co_u32_e32 v52, vcc, v52, v36
	v_addc_co_u32_e32 v53, vcc, v53, v37, vcc
	v_cmp_eq_u32_e32 vcc, 0, v113
	v_cndmask_b32_e64 v54, 1, 2, vcc
	v_cmp_eq_u32_e32 vcc, 0, v112
	v_cndmask_b32_e64 v55, 1, 2, vcc
	v_cmp_eq_u32_e32 vcc, 0, v111
	v_and_b32_e32 v54, v55, v54
	v_cndmask_b32_e64 v55, 1, 2, vcc
	v_cmp_eq_u32_e32 vcc, 0, v110
	v_add_u32_e32 v51, v59, v113
	v_and_b32_e32 v54, v54, v55
	v_cndmask_b32_e64 v55, 1, 2, vcc
	v_cmp_eq_u32_e32 vcc, 0, v109
	v_add_u32_e32 v50, v51, v112
	;; [unrolled: 4-line block ×12, first 2 shown]
	v_and_b32_e32 v54, v54, v55
	v_cndmask_b32_e64 v55, 1, 2, vcc
	s_movk_i32 s34, 0x100
	v_add_u32_e32 v39, v40, v101
	v_and_b32_e32 v54, v54, v55
	v_cmp_gt_u32_e32 vcc, s34, v58
	v_add_u32_e32 v38, v39, v100
	v_cmp_ne_u32_e64 s[30:31], 0, v113
	v_cmp_ne_u32_e64 s[28:29], 0, v112
	;; [unrolled: 1-line block ×15, first 2 shown]
	s_mov_b64 s[36:37], -1
	v_cmp_gt_i16_e64 s[34:35], 2, v54
	s_cbranch_vccz .LBB1215_167
; %bb.161:
	s_and_saveexec_b64 s[36:37], s[34:35]
	s_cbranch_execz .LBB1215_166
; %bb.162:
	v_cmp_ne_u16_e32 vcc, 1, v54
	s_mov_b64 s[38:39], 0
	s_and_saveexec_b64 s[34:35], vcc
	s_xor_b64 s[34:35], exec, s[34:35]
	s_cbranch_execnz .LBB1215_199
; %bb.163:
	s_andn2_saveexec_b64 s[34:35], s[34:35]
	s_cbranch_execnz .LBB1215_215
.LBB1215_164:
	s_or_b64 exec, exec, s[34:35]
	s_and_b64 exec, exec, s[38:39]
	s_cbranch_execz .LBB1215_166
.LBB1215_165:
	v_sub_u32_e32 v56, v38, v62
	v_mov_b32_e32 v57, 0
	v_lshlrev_b64 v[56:57], 3, v[56:57]
	v_add_co_u32_e32 v56, vcc, v52, v56
	v_addc_co_u32_e32 v57, vcc, v53, v57, vcc
	global_store_dwordx2 v[56:57], v[74:75], off
.LBB1215_166:
	s_or_b64 exec, exec, s[36:37]
	s_mov_b64 s[36:37], 0
.LBB1215_167:
	s_and_b64 vcc, exec, s[36:37]
	s_cbranch_vccz .LBB1215_177
; %bb.168:
	v_cmp_gt_i16_e32 vcc, 2, v54
	s_and_saveexec_b64 s[34:35], vcc
	s_cbranch_execz .LBB1215_173
; %bb.169:
	v_cmp_ne_u16_e32 vcc, 1, v54
	s_mov_b64 s[38:39], 0
	s_and_saveexec_b64 s[36:37], vcc
	s_xor_b64 s[36:37], exec, s[36:37]
	s_cbranch_execnz .LBB1215_216
; %bb.170:
	s_andn2_saveexec_b64 s[2:3], s[36:37]
	s_cbranch_execnz .LBB1215_232
.LBB1215_171:
	s_or_b64 exec, exec, s[2:3]
	s_and_b64 exec, exec, s[38:39]
	s_cbranch_execz .LBB1215_173
.LBB1215_172:
	v_sub_u32_e32 v2, v38, v62
	v_lshlrev_b32_e32 v2, 3, v2
	ds_write_b64 v2, v[74:75]
.LBB1215_173:
	s_or_b64 exec, exec, s[34:35]
	v_cmp_lt_u32_e32 vcc, v0, v58
	s_waitcnt lgkmcnt(0)
	s_barrier
	s_and_saveexec_b64 s[2:3], vcc
	s_cbranch_execz .LBB1215_176
; %bb.174:
	v_lshlrev_b32_e32 v4, 3, v0
	s_mov_b64 s[4:5], 0
	v_mov_b32_e32 v3, 0
	v_mov_b32_e32 v2, v0
.LBB1215_175:                           ; =>This Inner Loop Header: Depth=1
	v_lshlrev_b64 v[6:7], 3, v[2:3]
	ds_read_b64 v[8:9], v4
	v_add_co_u32_e32 v6, vcc, v52, v6
	v_add_u32_e32 v2, 0x100, v2
	v_addc_co_u32_e32 v7, vcc, v53, v7, vcc
	v_cmp_ge_u32_e32 vcc, v2, v58
	v_add_u32_e32 v4, 0x800, v4
	s_or_b64 s[4:5], vcc, s[4:5]
	s_waitcnt lgkmcnt(0)
	global_store_dwordx2 v[6:7], v[8:9], off
	s_andn2_b64 exec, exec, s[4:5]
	s_cbranch_execnz .LBB1215_175
.LBB1215_176:
	s_or_b64 exec, exec, s[2:3]
.LBB1215_177:
	s_cmpk_lg_i32 s33, 0xf00
	s_cselect_b64 s[2:3], -1, 0
	v_cndmask_b32_e64 v8, 0, 1, s[46:47]
	s_and_b64 s[2:3], s[2:3], s[44:45]
	v_sub_u32_e32 v4, v58, v8
	v_cndmask_b32_e64 v5, 0, 1, s[2:3]
	s_and_b64 s[0:1], s[0:1], s[46:47]
	v_add_co_u32_e32 v2, vcc, v98, v32
	v_add_u32_e32 v4, v4, v5
	v_cndmask_b32_e64 v5, v113, 0, s[0:1]
	s_mul_hi_u32 s0, s33, 0x88888889
	v_addc_co_u32_e32 v3, vcc, v99, v33, vcc
	s_lshr_b32 s0, s0, 3
	v_mad_i32_i24 v6, v0, -15, s33
	v_cmp_eq_u32_e32 vcc, s0, v0
	v_cmp_ne_u32_e64 s[0:1], 0, v6
	v_cndmask_b32_e64 v7, 1, v5, s[0:1]
	v_cmp_ne_u32_e64 s[0:1], 1, v6
	v_cndmask_b32_e64 v9, 1, v112, s[0:1]
	;; [unrolled: 2-line block ×15, first 2 shown]
	s_and_b64 vcc, vcc, s[44:45]
	v_cndmask_b32_e32 v22, v1, v6, vcc
	v_cndmask_b32_e32 v21, v100, v21, vcc
	;; [unrolled: 1-line block ×15, first 2 shown]
	v_mov_b32_e32 v1, s55
	v_add_co_u32_e32 v5, vcc, s54, v34
	v_addc_co_u32_e32 v6, vcc, v1, v35, vcc
	v_add_co_u32_e32 v1, vcc, v5, v36
	v_addc_co_u32_e32 v5, vcc, v6, v37, vcc
	v_lshlrev_b32_e32 v6, 3, v8
	v_add_co_u32_e32 v6, vcc, v6, v1
	v_addc_co_u32_e32 v7, vcc, 0, v5, vcc
	v_add_co_u32_e32 v6, vcc, -8, v6
	v_addc_co_u32_e32 v7, vcc, -1, v7, vcc
	v_cmp_eq_u32_e32 vcc, 0, v23
	v_cmp_ne_u32_e64 s[28:29], 0, v23
	v_cndmask_b32_e64 v23, 1, 2, vcc
	v_cmp_eq_u32_e32 vcc, 0, v9
	v_cmp_ne_u32_e64 s[26:27], 0, v9
	v_cndmask_b32_e64 v9, 1, 2, vcc
	v_cmp_eq_u32_e32 vcc, 0, v10
	v_and_b32_e32 v9, v9, v23
	v_cmp_ne_u32_e64 s[24:25], 0, v10
	v_cndmask_b32_e64 v10, 1, 2, vcc
	v_cmp_eq_u32_e32 vcc, 0, v11
	v_and_b32_e32 v9, v9, v10
	v_cndmask_b32_e64 v10, 1, 2, vcc
	v_cmp_eq_u32_e32 vcc, 0, v12
	v_and_b32_e32 v9, v9, v10
	;; [unrolled: 3-line block ×12, first 2 shown]
	v_cndmask_b32_e64 v10, 1, 2, vcc
	s_movk_i32 s30, 0x100
	v_and_b32_e32 v9, v9, v10
	v_cmp_gt_u32_e32 vcc, s30, v4
	v_add_u32_e32 v8, v62, v8
	v_cmp_ne_u32_e64 s[22:23], 0, v11
	v_cmp_ne_u32_e64 s[20:21], 0, v12
	;; [unrolled: 1-line block ×12, first 2 shown]
	s_mov_b64 s[34:35], -1
	v_cmp_gt_i16_e64 s[30:31], 2, v9
	s_barrier
	s_cbranch_vccz .LBB1215_184
; %bb.178:
	s_and_saveexec_b64 s[34:35], s[30:31]
	s_cbranch_execz .LBB1215_183
; %bb.179:
	v_cmp_ne_u16_e32 vcc, 1, v9
	s_mov_b64 s[36:37], 0
	s_and_saveexec_b64 s[30:31], vcc
	s_xor_b64 s[30:31], exec, s[30:31]
	s_cbranch_execnz .LBB1215_233
; %bb.180:
	s_andn2_saveexec_b64 s[30:31], s[30:31]
	s_cbranch_execnz .LBB1215_249
.LBB1215_181:
	s_or_b64 exec, exec, s[30:31]
	s_and_b64 exec, exec, s[36:37]
	s_cbranch_execz .LBB1215_183
.LBB1215_182:
	v_sub_u32_e32 v10, v38, v8
	v_mov_b32_e32 v11, 0
	v_lshlrev_b64 v[10:11], 3, v[10:11]
	v_add_co_u32_e32 v10, vcc, v6, v10
	v_addc_co_u32_e32 v11, vcc, v7, v11, vcc
	global_store_dwordx2 v[10:11], v[2:3], off
.LBB1215_183:
	s_or_b64 exec, exec, s[34:35]
	s_mov_b64 s[34:35], 0
.LBB1215_184:
	s_and_b64 vcc, exec, s[34:35]
	s_cbranch_vccz .LBB1215_194
; %bb.185:
	v_cmp_gt_i16_e32 vcc, 2, v9
	s_and_saveexec_b64 s[30:31], vcc
	s_cbranch_execz .LBB1215_190
; %bb.186:
	v_cmp_ne_u16_e32 vcc, 1, v9
	s_mov_b64 s[36:37], 0
	s_and_saveexec_b64 s[34:35], vcc
	s_xor_b64 s[34:35], exec, s[34:35]
	s_cbranch_execnz .LBB1215_250
; %bb.187:
	s_andn2_saveexec_b64 s[0:1], s[34:35]
	s_cbranch_execnz .LBB1215_266
.LBB1215_188:
	s_or_b64 exec, exec, s[0:1]
	s_and_b64 exec, exec, s[36:37]
	s_cbranch_execz .LBB1215_190
.LBB1215_189:
	v_sub_u32_e32 v8, v38, v8
	v_lshlrev_b32_e32 v8, 3, v8
	ds_write_b64 v8, v[2:3]
.LBB1215_190:
	s_or_b64 exec, exec, s[30:31]
	v_cmp_lt_u32_e32 vcc, v0, v4
	s_waitcnt lgkmcnt(0)
	s_barrier
	s_and_saveexec_b64 s[0:1], vcc
	s_cbranch_execz .LBB1215_193
; %bb.191:
	v_lshlrev_b32_e32 v8, 3, v0
	s_mov_b64 s[2:3], 0
	v_mov_b32_e32 v3, 0
	v_mov_b32_e32 v2, v0
.LBB1215_192:                           ; =>This Inner Loop Header: Depth=1
	v_lshlrev_b64 v[10:11], 3, v[2:3]
	ds_read_b64 v[12:13], v8
	v_add_co_u32_e32 v10, vcc, v6, v10
	v_add_u32_e32 v2, 0x100, v2
	v_addc_co_u32_e32 v11, vcc, v7, v11, vcc
	v_cmp_ge_u32_e32 vcc, v2, v4
	v_add_u32_e32 v8, 0x800, v8
	s_or_b64 s[2:3], vcc, s[2:3]
	s_waitcnt lgkmcnt(0)
	global_store_dwordx2 v[10:11], v[12:13], off
	s_andn2_b64 exec, exec, s[2:3]
	s_cbranch_execnz .LBB1215_192
.LBB1215_193:
	s_or_b64 exec, exec, s[0:1]
.LBB1215_194:
	s_movk_i32 s0, 0xff
	v_cmp_eq_u32_e32 vcc, s0, v0
	s_and_b64 s[0:1], vcc, s[44:45]
	s_and_saveexec_b64 s[2:3], s[0:1]
	s_cbranch_execz .LBB1215_197
; %bb.195:
	v_add_co_u32_e32 v0, vcc, v58, v62
	v_addc_co_u32_e64 v3, s[0:1], 0, 0, vcc
	v_add_co_u32_e32 v2, vcc, v0, v30
	v_mov_b32_e32 v59, 0
	v_addc_co_u32_e32 v3, vcc, v3, v31, vcc
	s_cmpk_lg_i32 s33, 0xf00
	global_store_dwordx2 v59, v[2:3], s[56:57]
	s_cbranch_scc1 .LBB1215_197
; %bb.196:
	v_lshlrev_b64 v[2:3], 3, v[58:59]
	v_add_co_u32_e32 v0, vcc, v1, v2
	v_addc_co_u32_e32 v1, vcc, v5, v3, vcc
	global_store_dwordx2 v[0:1], v[60:61], off offset:-8
.LBB1215_197:
	s_endpgm
.LBB1215_198:
	s_or_b64 exec, exec, s[10:11]
	v_mov_b32_e32 v113, s12
	s_and_saveexec_b64 s[2:3], s[6:7]
	s_cbranch_execnz .LBB1215_58
	s_branch .LBB1215_59
.LBB1215_199:
	s_and_saveexec_b64 s[38:39], s[30:31]
	s_cbranch_execnz .LBB1215_267
; %bb.200:
	s_or_b64 exec, exec, s[38:39]
	s_and_saveexec_b64 s[38:39], s[28:29]
	s_cbranch_execnz .LBB1215_268
.LBB1215_201:
	s_or_b64 exec, exec, s[38:39]
	s_and_saveexec_b64 s[38:39], s[26:27]
	s_cbranch_execnz .LBB1215_269
.LBB1215_202:
	s_or_b64 exec, exec, s[38:39]
	s_and_saveexec_b64 s[38:39], s[24:25]
	s_cbranch_execnz .LBB1215_270
.LBB1215_203:
	s_or_b64 exec, exec, s[38:39]
	s_and_saveexec_b64 s[38:39], s[22:23]
	s_cbranch_execnz .LBB1215_271
.LBB1215_204:
	s_or_b64 exec, exec, s[38:39]
	s_and_saveexec_b64 s[38:39], s[20:21]
	s_cbranch_execnz .LBB1215_272
.LBB1215_205:
	s_or_b64 exec, exec, s[38:39]
	s_and_saveexec_b64 s[38:39], s[18:19]
	s_cbranch_execnz .LBB1215_273
.LBB1215_206:
	s_or_b64 exec, exec, s[38:39]
	s_and_saveexec_b64 s[38:39], s[16:17]
	s_cbranch_execnz .LBB1215_274
.LBB1215_207:
	s_or_b64 exec, exec, s[38:39]
	s_and_saveexec_b64 s[38:39], s[14:15]
	s_cbranch_execnz .LBB1215_275
.LBB1215_208:
	s_or_b64 exec, exec, s[38:39]
	s_and_saveexec_b64 s[38:39], s[12:13]
	s_cbranch_execnz .LBB1215_276
.LBB1215_209:
	s_or_b64 exec, exec, s[38:39]
	s_and_saveexec_b64 s[38:39], s[10:11]
	s_cbranch_execnz .LBB1215_277
.LBB1215_210:
	s_or_b64 exec, exec, s[38:39]
	s_and_saveexec_b64 s[38:39], s[8:9]
	s_cbranch_execnz .LBB1215_278
.LBB1215_211:
	s_or_b64 exec, exec, s[38:39]
	s_and_saveexec_b64 s[38:39], s[6:7]
	s_cbranch_execnz .LBB1215_279
.LBB1215_212:
	s_or_b64 exec, exec, s[38:39]
	s_and_saveexec_b64 s[38:39], s[4:5]
	s_cbranch_execz .LBB1215_214
.LBB1215_213:
	v_sub_u32_e32 v56, v39, v62
	v_mov_b32_e32 v57, 0
	v_lshlrev_b64 v[56:57], 3, v[56:57]
	v_add_co_u32_e32 v56, vcc, v52, v56
	v_addc_co_u32_e32 v57, vcc, v53, v57, vcc
	global_store_dwordx2 v[56:57], v[4:5], off
.LBB1215_214:
	s_or_b64 exec, exec, s[38:39]
	s_and_b64 s[38:39], s[2:3], exec
	s_andn2_saveexec_b64 s[34:35], s[34:35]
	s_cbranch_execz .LBB1215_164
.LBB1215_215:
	v_sub_u32_e32 v56, v59, v62
	v_mov_b32_e32 v57, 0
	v_lshlrev_b64 v[64:65], 3, v[56:57]
	v_add_co_u32_e32 v64, vcc, v52, v64
	v_addc_co_u32_e32 v65, vcc, v53, v65, vcc
	v_sub_u32_e32 v56, v51, v62
	global_store_dwordx2 v[64:65], v[26:27], off
	v_lshlrev_b64 v[64:65], 3, v[56:57]
	v_add_co_u32_e32 v64, vcc, v52, v64
	v_addc_co_u32_e32 v65, vcc, v53, v65, vcc
	v_sub_u32_e32 v56, v50, v62
	global_store_dwordx2 v[64:65], v[28:29], off
	;; [unrolled: 5-line block ×12, first 2 shown]
	v_lshlrev_b64 v[64:65], 3, v[56:57]
	v_add_co_u32_e32 v64, vcc, v52, v64
	v_sub_u32_e32 v56, v39, v62
	v_addc_co_u32_e32 v65, vcc, v53, v65, vcc
	v_lshlrev_b64 v[56:57], 3, v[56:57]
	v_add_co_u32_e32 v56, vcc, v52, v56
	v_addc_co_u32_e32 v57, vcc, v53, v57, vcc
	s_or_b64 s[38:39], s[38:39], exec
	global_store_dwordx2 v[64:65], v[2:3], off
	global_store_dwordx2 v[56:57], v[4:5], off
	s_or_b64 exec, exec, s[34:35]
	s_and_b64 exec, exec, s[38:39]
	s_cbranch_execnz .LBB1215_165
	s_branch .LBB1215_166
.LBB1215_216:
	s_and_saveexec_b64 s[38:39], s[30:31]
	s_cbranch_execnz .LBB1215_280
; %bb.217:
	s_or_b64 exec, exec, s[38:39]
	s_and_saveexec_b64 s[30:31], s[28:29]
	s_cbranch_execnz .LBB1215_281
.LBB1215_218:
	s_or_b64 exec, exec, s[30:31]
	s_and_saveexec_b64 s[28:29], s[26:27]
	s_cbranch_execnz .LBB1215_282
.LBB1215_219:
	s_or_b64 exec, exec, s[28:29]
	s_and_saveexec_b64 s[26:27], s[24:25]
	s_cbranch_execnz .LBB1215_283
.LBB1215_220:
	s_or_b64 exec, exec, s[26:27]
	s_and_saveexec_b64 s[24:25], s[22:23]
	s_cbranch_execnz .LBB1215_284
.LBB1215_221:
	s_or_b64 exec, exec, s[24:25]
	s_and_saveexec_b64 s[22:23], s[20:21]
	s_cbranch_execnz .LBB1215_285
.LBB1215_222:
	s_or_b64 exec, exec, s[22:23]
	s_and_saveexec_b64 s[20:21], s[18:19]
	s_cbranch_execnz .LBB1215_286
.LBB1215_223:
	s_or_b64 exec, exec, s[20:21]
	s_and_saveexec_b64 s[18:19], s[16:17]
	s_cbranch_execnz .LBB1215_287
.LBB1215_224:
	s_or_b64 exec, exec, s[18:19]
	s_and_saveexec_b64 s[16:17], s[14:15]
	s_cbranch_execnz .LBB1215_288
.LBB1215_225:
	s_or_b64 exec, exec, s[16:17]
	s_and_saveexec_b64 s[14:15], s[12:13]
	s_cbranch_execnz .LBB1215_289
.LBB1215_226:
	s_or_b64 exec, exec, s[14:15]
	s_and_saveexec_b64 s[12:13], s[10:11]
	s_cbranch_execnz .LBB1215_290
.LBB1215_227:
	s_or_b64 exec, exec, s[12:13]
	s_and_saveexec_b64 s[10:11], s[8:9]
	s_cbranch_execnz .LBB1215_291
.LBB1215_228:
	s_or_b64 exec, exec, s[10:11]
	s_and_saveexec_b64 s[8:9], s[6:7]
	s_cbranch_execnz .LBB1215_292
.LBB1215_229:
	s_or_b64 exec, exec, s[8:9]
	s_and_saveexec_b64 s[6:7], s[4:5]
	s_cbranch_execz .LBB1215_231
.LBB1215_230:
	v_sub_u32_e32 v2, v39, v62
	v_lshlrev_b32_e32 v2, 3, v2
	ds_write_b64 v2, v[4:5]
.LBB1215_231:
	s_or_b64 exec, exec, s[6:7]
	s_and_b64 s[38:39], s[2:3], exec
                                        ; implicit-def: $vgpr2_vgpr3
                                        ; implicit-def: $vgpr6_vgpr7
                                        ; implicit-def: $vgpr10_vgpr11
                                        ; implicit-def: $vgpr14_vgpr15
                                        ; implicit-def: $vgpr18_vgpr19
                                        ; implicit-def: $vgpr22_vgpr23
                                        ; implicit-def: $vgpr26_vgpr27
	s_andn2_saveexec_b64 s[2:3], s[36:37]
	s_cbranch_execz .LBB1215_171
.LBB1215_232:
	v_sub_u32_e32 v54, v59, v62
	v_lshlrev_b32_e32 v54, 3, v54
	ds_write_b64 v54, v[26:27]
	v_sub_u32_e32 v26, v51, v62
	v_lshlrev_b32_e32 v26, 3, v26
	ds_write_b64 v26, v[28:29]
	;; [unrolled: 3-line block ×13, first 2 shown]
	v_sub_u32_e32 v2, v39, v62
	v_lshlrev_b32_e32 v2, 3, v2
	s_or_b64 s[38:39], s[38:39], exec
	ds_write_b64 v2, v[4:5]
	s_or_b64 exec, exec, s[2:3]
	s_and_b64 exec, exec, s[38:39]
	s_cbranch_execnz .LBB1215_172
	s_branch .LBB1215_173
.LBB1215_233:
	s_and_saveexec_b64 s[36:37], s[28:29]
	s_cbranch_execnz .LBB1215_293
; %bb.234:
	s_or_b64 exec, exec, s[36:37]
	s_and_saveexec_b64 s[36:37], s[26:27]
	s_cbranch_execnz .LBB1215_294
.LBB1215_235:
	s_or_b64 exec, exec, s[36:37]
	s_and_saveexec_b64 s[36:37], s[24:25]
	s_cbranch_execnz .LBB1215_295
.LBB1215_236:
	s_or_b64 exec, exec, s[36:37]
	s_and_saveexec_b64 s[36:37], s[22:23]
	s_cbranch_execnz .LBB1215_296
.LBB1215_237:
	s_or_b64 exec, exec, s[36:37]
	s_and_saveexec_b64 s[36:37], s[20:21]
	s_cbranch_execnz .LBB1215_297
.LBB1215_238:
	s_or_b64 exec, exec, s[36:37]
	s_and_saveexec_b64 s[36:37], s[18:19]
	s_cbranch_execnz .LBB1215_298
.LBB1215_239:
	s_or_b64 exec, exec, s[36:37]
	s_and_saveexec_b64 s[36:37], s[16:17]
	s_cbranch_execnz .LBB1215_299
.LBB1215_240:
	s_or_b64 exec, exec, s[36:37]
	s_and_saveexec_b64 s[36:37], s[14:15]
	s_cbranch_execnz .LBB1215_300
.LBB1215_241:
	s_or_b64 exec, exec, s[36:37]
	s_and_saveexec_b64 s[36:37], s[12:13]
	s_cbranch_execnz .LBB1215_301
.LBB1215_242:
	s_or_b64 exec, exec, s[36:37]
	s_and_saveexec_b64 s[36:37], s[10:11]
	s_cbranch_execnz .LBB1215_302
.LBB1215_243:
	s_or_b64 exec, exec, s[36:37]
	s_and_saveexec_b64 s[36:37], s[8:9]
	s_cbranch_execnz .LBB1215_303
.LBB1215_244:
	s_or_b64 exec, exec, s[36:37]
	s_and_saveexec_b64 s[36:37], s[6:7]
	s_cbranch_execnz .LBB1215_304
.LBB1215_245:
	s_or_b64 exec, exec, s[36:37]
	s_and_saveexec_b64 s[36:37], s[4:5]
	s_cbranch_execnz .LBB1215_305
.LBB1215_246:
	s_or_b64 exec, exec, s[36:37]
	s_and_saveexec_b64 s[36:37], s[2:3]
	s_cbranch_execz .LBB1215_248
.LBB1215_247:
	v_sub_u32_e32 v10, v39, v8
	v_mov_b32_e32 v11, 0
	v_lshlrev_b64 v[10:11], 3, v[10:11]
	v_add_co_u32_e32 v10, vcc, v6, v10
	v_addc_co_u32_e32 v11, vcc, v7, v11, vcc
	global_store_dwordx2 v[10:11], v[96:97], off
.LBB1215_248:
	s_or_b64 exec, exec, s[36:37]
	s_and_b64 s[36:37], s[0:1], exec
	s_andn2_saveexec_b64 s[30:31], s[30:31]
	s_cbranch_execz .LBB1215_181
.LBB1215_249:
	v_sub_u32_e32 v10, v59, v8
	v_mov_b32_e32 v11, 0
	v_lshlrev_b64 v[12:13], 3, v[10:11]
	v_add_co_u32_e32 v12, vcc, v6, v12
	v_addc_co_u32_e32 v13, vcc, v7, v13, vcc
	v_sub_u32_e32 v10, v51, v8
	global_store_dwordx2 v[12:13], v[94:95], off
	v_lshlrev_b64 v[12:13], 3, v[10:11]
	v_add_co_u32_e32 v12, vcc, v6, v12
	v_addc_co_u32_e32 v13, vcc, v7, v13, vcc
	v_sub_u32_e32 v10, v50, v8
	global_store_dwordx2 v[12:13], v[66:67], off
	;; [unrolled: 5-line block ×12, first 2 shown]
	v_lshlrev_b64 v[12:13], 3, v[10:11]
	v_add_co_u32_e32 v12, vcc, v6, v12
	v_sub_u32_e32 v10, v39, v8
	v_addc_co_u32_e32 v13, vcc, v7, v13, vcc
	v_lshlrev_b64 v[10:11], 3, v[10:11]
	v_add_co_u32_e32 v10, vcc, v6, v10
	v_addc_co_u32_e32 v11, vcc, v7, v11, vcc
	s_or_b64 s[36:37], s[36:37], exec
	global_store_dwordx2 v[12:13], v[92:93], off
	global_store_dwordx2 v[10:11], v[96:97], off
	s_or_b64 exec, exec, s[30:31]
	s_and_b64 exec, exec, s[36:37]
	s_cbranch_execnz .LBB1215_182
	s_branch .LBB1215_183
.LBB1215_250:
	s_and_saveexec_b64 s[36:37], s[28:29]
	s_cbranch_execnz .LBB1215_306
; %bb.251:
	s_or_b64 exec, exec, s[36:37]
	s_and_saveexec_b64 s[28:29], s[26:27]
	s_cbranch_execnz .LBB1215_307
.LBB1215_252:
	s_or_b64 exec, exec, s[28:29]
	s_and_saveexec_b64 s[26:27], s[24:25]
	s_cbranch_execnz .LBB1215_308
.LBB1215_253:
	s_or_b64 exec, exec, s[26:27]
	s_and_saveexec_b64 s[24:25], s[22:23]
	s_cbranch_execnz .LBB1215_309
.LBB1215_254:
	s_or_b64 exec, exec, s[24:25]
	s_and_saveexec_b64 s[22:23], s[20:21]
	s_cbranch_execnz .LBB1215_310
.LBB1215_255:
	s_or_b64 exec, exec, s[22:23]
	s_and_saveexec_b64 s[20:21], s[18:19]
	s_cbranch_execnz .LBB1215_311
.LBB1215_256:
	s_or_b64 exec, exec, s[20:21]
	s_and_saveexec_b64 s[18:19], s[16:17]
	s_cbranch_execnz .LBB1215_312
.LBB1215_257:
	s_or_b64 exec, exec, s[18:19]
	s_and_saveexec_b64 s[16:17], s[14:15]
	s_cbranch_execnz .LBB1215_313
.LBB1215_258:
	s_or_b64 exec, exec, s[16:17]
	s_and_saveexec_b64 s[14:15], s[12:13]
	s_cbranch_execnz .LBB1215_314
.LBB1215_259:
	s_or_b64 exec, exec, s[14:15]
	s_and_saveexec_b64 s[12:13], s[10:11]
	s_cbranch_execnz .LBB1215_315
.LBB1215_260:
	s_or_b64 exec, exec, s[12:13]
	s_and_saveexec_b64 s[10:11], s[8:9]
	s_cbranch_execnz .LBB1215_316
.LBB1215_261:
	s_or_b64 exec, exec, s[10:11]
	s_and_saveexec_b64 s[8:9], s[6:7]
	s_cbranch_execnz .LBB1215_317
.LBB1215_262:
	s_or_b64 exec, exec, s[8:9]
	s_and_saveexec_b64 s[6:7], s[4:5]
	s_cbranch_execnz .LBB1215_318
.LBB1215_263:
	s_or_b64 exec, exec, s[6:7]
	s_and_saveexec_b64 s[4:5], s[2:3]
	s_cbranch_execz .LBB1215_265
.LBB1215_264:
	v_sub_u32_e32 v9, v39, v8
	v_lshlrev_b32_e32 v9, 3, v9
	ds_write_b64 v9, v[96:97]
.LBB1215_265:
	s_or_b64 exec, exec, s[4:5]
	s_and_b64 s[36:37], s[0:1], exec
                                        ; implicit-def: $vgpr94_vgpr95
                                        ; implicit-def: $vgpr66_vgpr67
                                        ; implicit-def: $vgpr68_vgpr69
                                        ; implicit-def: $vgpr70_vgpr71
                                        ; implicit-def: $vgpr76_vgpr77
                                        ; implicit-def: $vgpr78_vgpr79
                                        ; implicit-def: $vgpr80_vgpr81
                                        ; implicit-def: $vgpr82_vgpr83
                                        ; implicit-def: $vgpr84_vgpr85
                                        ; implicit-def: $vgpr86_vgpr87
                                        ; implicit-def: $vgpr88_vgpr89
                                        ; implicit-def: $vgpr90_vgpr91
                                        ; implicit-def: $vgpr92_vgpr93
                                        ; implicit-def: $vgpr96_vgpr97
                                        ; implicit-def: $vgpr59
                                        ; implicit-def: $vgpr51
                                        ; implicit-def: $vgpr50
                                        ; implicit-def: $vgpr49
                                        ; implicit-def: $vgpr48
                                        ; implicit-def: $vgpr47
                                        ; implicit-def: $vgpr46
                                        ; implicit-def: $vgpr45
                                        ; implicit-def: $vgpr44
                                        ; implicit-def: $vgpr43
                                        ; implicit-def: $vgpr42
                                        ; implicit-def: $vgpr41
                                        ; implicit-def: $vgpr40
                                        ; implicit-def: $vgpr39
	s_andn2_saveexec_b64 s[0:1], s[34:35]
	s_cbranch_execz .LBB1215_188
.LBB1215_266:
	v_sub_u32_e32 v9, v59, v8
	v_lshlrev_b32_e32 v9, 3, v9
	ds_write_b64 v9, v[94:95]
	v_sub_u32_e32 v9, v51, v8
	v_lshlrev_b32_e32 v9, 3, v9
	ds_write_b64 v9, v[66:67]
	;; [unrolled: 3-line block ×13, first 2 shown]
	v_sub_u32_e32 v9, v39, v8
	v_lshlrev_b32_e32 v9, 3, v9
	s_or_b64 s[36:37], s[36:37], exec
	ds_write_b64 v9, v[96:97]
	s_or_b64 exec, exec, s[0:1]
	s_and_b64 exec, exec, s[36:37]
	s_cbranch_execnz .LBB1215_189
	s_branch .LBB1215_190
.LBB1215_267:
	v_sub_u32_e32 v56, v59, v62
	v_mov_b32_e32 v57, 0
	v_lshlrev_b64 v[56:57], 3, v[56:57]
	v_add_co_u32_e32 v56, vcc, v52, v56
	v_addc_co_u32_e32 v57, vcc, v53, v57, vcc
	global_store_dwordx2 v[56:57], v[26:27], off
	s_or_b64 exec, exec, s[38:39]
	s_and_saveexec_b64 s[38:39], s[28:29]
	s_cbranch_execz .LBB1215_201
.LBB1215_268:
	v_sub_u32_e32 v56, v51, v62
	v_mov_b32_e32 v57, 0
	v_lshlrev_b64 v[56:57], 3, v[56:57]
	v_add_co_u32_e32 v56, vcc, v52, v56
	v_addc_co_u32_e32 v57, vcc, v53, v57, vcc
	global_store_dwordx2 v[56:57], v[28:29], off
	s_or_b64 exec, exec, s[38:39]
	s_and_saveexec_b64 s[38:39], s[26:27]
	s_cbranch_execz .LBB1215_202
.LBB1215_269:
	v_sub_u32_e32 v56, v50, v62
	v_mov_b32_e32 v57, 0
	v_lshlrev_b64 v[56:57], 3, v[56:57]
	v_add_co_u32_e32 v56, vcc, v52, v56
	v_addc_co_u32_e32 v57, vcc, v53, v57, vcc
	global_store_dwordx2 v[56:57], v[22:23], off
	s_or_b64 exec, exec, s[38:39]
	s_and_saveexec_b64 s[38:39], s[24:25]
	s_cbranch_execz .LBB1215_203
.LBB1215_270:
	v_sub_u32_e32 v56, v49, v62
	v_mov_b32_e32 v57, 0
	v_lshlrev_b64 v[56:57], 3, v[56:57]
	v_add_co_u32_e32 v56, vcc, v52, v56
	v_addc_co_u32_e32 v57, vcc, v53, v57, vcc
	global_store_dwordx2 v[56:57], v[24:25], off
	s_or_b64 exec, exec, s[38:39]
	s_and_saveexec_b64 s[38:39], s[22:23]
	s_cbranch_execz .LBB1215_204
.LBB1215_271:
	v_sub_u32_e32 v56, v48, v62
	v_mov_b32_e32 v57, 0
	v_lshlrev_b64 v[56:57], 3, v[56:57]
	v_add_co_u32_e32 v56, vcc, v52, v56
	v_addc_co_u32_e32 v57, vcc, v53, v57, vcc
	global_store_dwordx2 v[56:57], v[18:19], off
	s_or_b64 exec, exec, s[38:39]
	s_and_saveexec_b64 s[38:39], s[20:21]
	s_cbranch_execz .LBB1215_205
.LBB1215_272:
	v_sub_u32_e32 v56, v47, v62
	v_mov_b32_e32 v57, 0
	v_lshlrev_b64 v[56:57], 3, v[56:57]
	v_add_co_u32_e32 v56, vcc, v52, v56
	v_addc_co_u32_e32 v57, vcc, v53, v57, vcc
	global_store_dwordx2 v[56:57], v[20:21], off
	s_or_b64 exec, exec, s[38:39]
	s_and_saveexec_b64 s[38:39], s[18:19]
	s_cbranch_execz .LBB1215_206
.LBB1215_273:
	v_sub_u32_e32 v56, v46, v62
	v_mov_b32_e32 v57, 0
	v_lshlrev_b64 v[56:57], 3, v[56:57]
	v_add_co_u32_e32 v56, vcc, v52, v56
	v_addc_co_u32_e32 v57, vcc, v53, v57, vcc
	global_store_dwordx2 v[56:57], v[14:15], off
	s_or_b64 exec, exec, s[38:39]
	s_and_saveexec_b64 s[38:39], s[16:17]
	s_cbranch_execz .LBB1215_207
.LBB1215_274:
	v_sub_u32_e32 v56, v45, v62
	v_mov_b32_e32 v57, 0
	v_lshlrev_b64 v[56:57], 3, v[56:57]
	v_add_co_u32_e32 v56, vcc, v52, v56
	v_addc_co_u32_e32 v57, vcc, v53, v57, vcc
	global_store_dwordx2 v[56:57], v[16:17], off
	s_or_b64 exec, exec, s[38:39]
	s_and_saveexec_b64 s[38:39], s[14:15]
	s_cbranch_execz .LBB1215_208
.LBB1215_275:
	v_sub_u32_e32 v56, v44, v62
	v_mov_b32_e32 v57, 0
	v_lshlrev_b64 v[56:57], 3, v[56:57]
	v_add_co_u32_e32 v56, vcc, v52, v56
	v_addc_co_u32_e32 v57, vcc, v53, v57, vcc
	global_store_dwordx2 v[56:57], v[10:11], off
	s_or_b64 exec, exec, s[38:39]
	s_and_saveexec_b64 s[38:39], s[12:13]
	s_cbranch_execz .LBB1215_209
.LBB1215_276:
	v_sub_u32_e32 v56, v43, v62
	v_mov_b32_e32 v57, 0
	v_lshlrev_b64 v[56:57], 3, v[56:57]
	v_add_co_u32_e32 v56, vcc, v52, v56
	v_addc_co_u32_e32 v57, vcc, v53, v57, vcc
	global_store_dwordx2 v[56:57], v[12:13], off
	s_or_b64 exec, exec, s[38:39]
	s_and_saveexec_b64 s[38:39], s[10:11]
	s_cbranch_execz .LBB1215_210
.LBB1215_277:
	v_sub_u32_e32 v56, v42, v62
	v_mov_b32_e32 v57, 0
	v_lshlrev_b64 v[56:57], 3, v[56:57]
	v_add_co_u32_e32 v56, vcc, v52, v56
	v_addc_co_u32_e32 v57, vcc, v53, v57, vcc
	global_store_dwordx2 v[56:57], v[6:7], off
	s_or_b64 exec, exec, s[38:39]
	s_and_saveexec_b64 s[38:39], s[8:9]
	s_cbranch_execz .LBB1215_211
.LBB1215_278:
	v_sub_u32_e32 v56, v41, v62
	v_mov_b32_e32 v57, 0
	v_lshlrev_b64 v[56:57], 3, v[56:57]
	v_add_co_u32_e32 v56, vcc, v52, v56
	v_addc_co_u32_e32 v57, vcc, v53, v57, vcc
	global_store_dwordx2 v[56:57], v[8:9], off
	s_or_b64 exec, exec, s[38:39]
	s_and_saveexec_b64 s[38:39], s[6:7]
	s_cbranch_execz .LBB1215_212
.LBB1215_279:
	v_sub_u32_e32 v56, v40, v62
	v_mov_b32_e32 v57, 0
	v_lshlrev_b64 v[56:57], 3, v[56:57]
	v_add_co_u32_e32 v56, vcc, v52, v56
	v_addc_co_u32_e32 v57, vcc, v53, v57, vcc
	global_store_dwordx2 v[56:57], v[2:3], off
	s_or_b64 exec, exec, s[38:39]
	s_and_saveexec_b64 s[38:39], s[4:5]
	s_cbranch_execnz .LBB1215_213
	s_branch .LBB1215_214
.LBB1215_280:
	v_sub_u32_e32 v54, v59, v62
	v_lshlrev_b32_e32 v54, 3, v54
	ds_write_b64 v54, v[26:27]
	s_or_b64 exec, exec, s[38:39]
	s_and_saveexec_b64 s[30:31], s[28:29]
	s_cbranch_execz .LBB1215_218
.LBB1215_281:
	v_sub_u32_e32 v26, v51, v62
	v_lshlrev_b32_e32 v26, 3, v26
	ds_write_b64 v26, v[28:29]
	s_or_b64 exec, exec, s[30:31]
	s_and_saveexec_b64 s[28:29], s[26:27]
	s_cbranch_execz .LBB1215_219
.LBB1215_282:
	v_sub_u32_e32 v26, v50, v62
	v_lshlrev_b32_e32 v26, 3, v26
	ds_write_b64 v26, v[22:23]
	s_or_b64 exec, exec, s[28:29]
	s_and_saveexec_b64 s[26:27], s[24:25]
	s_cbranch_execz .LBB1215_220
.LBB1215_283:
	v_sub_u32_e32 v22, v49, v62
	v_lshlrev_b32_e32 v22, 3, v22
	ds_write_b64 v22, v[24:25]
	s_or_b64 exec, exec, s[26:27]
	s_and_saveexec_b64 s[24:25], s[22:23]
	s_cbranch_execz .LBB1215_221
.LBB1215_284:
	v_sub_u32_e32 v22, v48, v62
	v_lshlrev_b32_e32 v22, 3, v22
	ds_write_b64 v22, v[18:19]
	s_or_b64 exec, exec, s[24:25]
	s_and_saveexec_b64 s[22:23], s[20:21]
	s_cbranch_execz .LBB1215_222
.LBB1215_285:
	v_sub_u32_e32 v18, v47, v62
	v_lshlrev_b32_e32 v18, 3, v18
	ds_write_b64 v18, v[20:21]
	s_or_b64 exec, exec, s[22:23]
	s_and_saveexec_b64 s[20:21], s[18:19]
	s_cbranch_execz .LBB1215_223
.LBB1215_286:
	v_sub_u32_e32 v18, v46, v62
	v_lshlrev_b32_e32 v18, 3, v18
	ds_write_b64 v18, v[14:15]
	s_or_b64 exec, exec, s[20:21]
	s_and_saveexec_b64 s[18:19], s[16:17]
	s_cbranch_execz .LBB1215_224
.LBB1215_287:
	v_sub_u32_e32 v14, v45, v62
	v_lshlrev_b32_e32 v14, 3, v14
	ds_write_b64 v14, v[16:17]
	s_or_b64 exec, exec, s[18:19]
	s_and_saveexec_b64 s[16:17], s[14:15]
	s_cbranch_execz .LBB1215_225
.LBB1215_288:
	v_sub_u32_e32 v14, v44, v62
	v_lshlrev_b32_e32 v14, 3, v14
	ds_write_b64 v14, v[10:11]
	s_or_b64 exec, exec, s[16:17]
	s_and_saveexec_b64 s[14:15], s[12:13]
	s_cbranch_execz .LBB1215_226
.LBB1215_289:
	v_sub_u32_e32 v10, v43, v62
	v_lshlrev_b32_e32 v10, 3, v10
	ds_write_b64 v10, v[12:13]
	s_or_b64 exec, exec, s[14:15]
	s_and_saveexec_b64 s[12:13], s[10:11]
	s_cbranch_execz .LBB1215_227
.LBB1215_290:
	v_sub_u32_e32 v10, v42, v62
	v_lshlrev_b32_e32 v10, 3, v10
	ds_write_b64 v10, v[6:7]
	s_or_b64 exec, exec, s[12:13]
	s_and_saveexec_b64 s[10:11], s[8:9]
	s_cbranch_execz .LBB1215_228
.LBB1215_291:
	v_sub_u32_e32 v6, v41, v62
	v_lshlrev_b32_e32 v6, 3, v6
	ds_write_b64 v6, v[8:9]
	s_or_b64 exec, exec, s[10:11]
	s_and_saveexec_b64 s[8:9], s[6:7]
	s_cbranch_execz .LBB1215_229
.LBB1215_292:
	v_sub_u32_e32 v6, v40, v62
	v_lshlrev_b32_e32 v6, 3, v6
	ds_write_b64 v6, v[2:3]
	s_or_b64 exec, exec, s[8:9]
	s_and_saveexec_b64 s[6:7], s[4:5]
	s_cbranch_execnz .LBB1215_230
	s_branch .LBB1215_231
.LBB1215_293:
	v_sub_u32_e32 v10, v59, v8
	v_mov_b32_e32 v11, 0
	v_lshlrev_b64 v[10:11], 3, v[10:11]
	v_add_co_u32_e32 v10, vcc, v6, v10
	v_addc_co_u32_e32 v11, vcc, v7, v11, vcc
	global_store_dwordx2 v[10:11], v[94:95], off
	s_or_b64 exec, exec, s[36:37]
	s_and_saveexec_b64 s[36:37], s[26:27]
	s_cbranch_execz .LBB1215_235
.LBB1215_294:
	v_sub_u32_e32 v10, v51, v8
	v_mov_b32_e32 v11, 0
	v_lshlrev_b64 v[10:11], 3, v[10:11]
	v_add_co_u32_e32 v10, vcc, v6, v10
	v_addc_co_u32_e32 v11, vcc, v7, v11, vcc
	global_store_dwordx2 v[10:11], v[66:67], off
	s_or_b64 exec, exec, s[36:37]
	s_and_saveexec_b64 s[36:37], s[24:25]
	s_cbranch_execz .LBB1215_236
.LBB1215_295:
	v_sub_u32_e32 v10, v50, v8
	v_mov_b32_e32 v11, 0
	v_lshlrev_b64 v[10:11], 3, v[10:11]
	v_add_co_u32_e32 v10, vcc, v6, v10
	v_addc_co_u32_e32 v11, vcc, v7, v11, vcc
	global_store_dwordx2 v[10:11], v[68:69], off
	s_or_b64 exec, exec, s[36:37]
	s_and_saveexec_b64 s[36:37], s[22:23]
	s_cbranch_execz .LBB1215_237
.LBB1215_296:
	v_sub_u32_e32 v10, v49, v8
	v_mov_b32_e32 v11, 0
	v_lshlrev_b64 v[10:11], 3, v[10:11]
	v_add_co_u32_e32 v10, vcc, v6, v10
	v_addc_co_u32_e32 v11, vcc, v7, v11, vcc
	global_store_dwordx2 v[10:11], v[70:71], off
	s_or_b64 exec, exec, s[36:37]
	s_and_saveexec_b64 s[36:37], s[20:21]
	s_cbranch_execz .LBB1215_238
.LBB1215_297:
	v_sub_u32_e32 v10, v48, v8
	v_mov_b32_e32 v11, 0
	v_lshlrev_b64 v[10:11], 3, v[10:11]
	v_add_co_u32_e32 v10, vcc, v6, v10
	v_addc_co_u32_e32 v11, vcc, v7, v11, vcc
	global_store_dwordx2 v[10:11], v[76:77], off
	s_or_b64 exec, exec, s[36:37]
	s_and_saveexec_b64 s[36:37], s[18:19]
	s_cbranch_execz .LBB1215_239
.LBB1215_298:
	v_sub_u32_e32 v10, v47, v8
	v_mov_b32_e32 v11, 0
	v_lshlrev_b64 v[10:11], 3, v[10:11]
	v_add_co_u32_e32 v10, vcc, v6, v10
	v_addc_co_u32_e32 v11, vcc, v7, v11, vcc
	global_store_dwordx2 v[10:11], v[78:79], off
	s_or_b64 exec, exec, s[36:37]
	s_and_saveexec_b64 s[36:37], s[16:17]
	s_cbranch_execz .LBB1215_240
.LBB1215_299:
	v_sub_u32_e32 v10, v46, v8
	v_mov_b32_e32 v11, 0
	v_lshlrev_b64 v[10:11], 3, v[10:11]
	v_add_co_u32_e32 v10, vcc, v6, v10
	v_addc_co_u32_e32 v11, vcc, v7, v11, vcc
	global_store_dwordx2 v[10:11], v[80:81], off
	s_or_b64 exec, exec, s[36:37]
	s_and_saveexec_b64 s[36:37], s[14:15]
	s_cbranch_execz .LBB1215_241
.LBB1215_300:
	v_sub_u32_e32 v10, v45, v8
	v_mov_b32_e32 v11, 0
	v_lshlrev_b64 v[10:11], 3, v[10:11]
	v_add_co_u32_e32 v10, vcc, v6, v10
	v_addc_co_u32_e32 v11, vcc, v7, v11, vcc
	global_store_dwordx2 v[10:11], v[82:83], off
	s_or_b64 exec, exec, s[36:37]
	s_and_saveexec_b64 s[36:37], s[12:13]
	s_cbranch_execz .LBB1215_242
.LBB1215_301:
	v_sub_u32_e32 v10, v44, v8
	v_mov_b32_e32 v11, 0
	v_lshlrev_b64 v[10:11], 3, v[10:11]
	v_add_co_u32_e32 v10, vcc, v6, v10
	v_addc_co_u32_e32 v11, vcc, v7, v11, vcc
	global_store_dwordx2 v[10:11], v[84:85], off
	s_or_b64 exec, exec, s[36:37]
	s_and_saveexec_b64 s[36:37], s[10:11]
	s_cbranch_execz .LBB1215_243
.LBB1215_302:
	v_sub_u32_e32 v10, v43, v8
	v_mov_b32_e32 v11, 0
	v_lshlrev_b64 v[10:11], 3, v[10:11]
	v_add_co_u32_e32 v10, vcc, v6, v10
	v_addc_co_u32_e32 v11, vcc, v7, v11, vcc
	global_store_dwordx2 v[10:11], v[86:87], off
	s_or_b64 exec, exec, s[36:37]
	s_and_saveexec_b64 s[36:37], s[8:9]
	s_cbranch_execz .LBB1215_244
.LBB1215_303:
	v_sub_u32_e32 v10, v42, v8
	v_mov_b32_e32 v11, 0
	v_lshlrev_b64 v[10:11], 3, v[10:11]
	v_add_co_u32_e32 v10, vcc, v6, v10
	v_addc_co_u32_e32 v11, vcc, v7, v11, vcc
	global_store_dwordx2 v[10:11], v[88:89], off
	s_or_b64 exec, exec, s[36:37]
	s_and_saveexec_b64 s[36:37], s[6:7]
	s_cbranch_execz .LBB1215_245
.LBB1215_304:
	v_sub_u32_e32 v10, v41, v8
	v_mov_b32_e32 v11, 0
	v_lshlrev_b64 v[10:11], 3, v[10:11]
	v_add_co_u32_e32 v10, vcc, v6, v10
	v_addc_co_u32_e32 v11, vcc, v7, v11, vcc
	global_store_dwordx2 v[10:11], v[90:91], off
	s_or_b64 exec, exec, s[36:37]
	s_and_saveexec_b64 s[36:37], s[4:5]
	s_cbranch_execz .LBB1215_246
.LBB1215_305:
	v_sub_u32_e32 v10, v40, v8
	v_mov_b32_e32 v11, 0
	v_lshlrev_b64 v[10:11], 3, v[10:11]
	v_add_co_u32_e32 v10, vcc, v6, v10
	v_addc_co_u32_e32 v11, vcc, v7, v11, vcc
	global_store_dwordx2 v[10:11], v[92:93], off
	s_or_b64 exec, exec, s[36:37]
	s_and_saveexec_b64 s[36:37], s[2:3]
	s_cbranch_execnz .LBB1215_247
	s_branch .LBB1215_248
.LBB1215_306:
	v_sub_u32_e32 v9, v59, v8
	v_lshlrev_b32_e32 v9, 3, v9
	ds_write_b64 v9, v[94:95]
	s_or_b64 exec, exec, s[36:37]
	s_and_saveexec_b64 s[28:29], s[26:27]
	s_cbranch_execz .LBB1215_252
.LBB1215_307:
	v_sub_u32_e32 v9, v51, v8
	v_lshlrev_b32_e32 v9, 3, v9
	ds_write_b64 v9, v[66:67]
	s_or_b64 exec, exec, s[28:29]
	s_and_saveexec_b64 s[26:27], s[24:25]
	s_cbranch_execz .LBB1215_253
.LBB1215_308:
	v_sub_u32_e32 v9, v50, v8
	v_lshlrev_b32_e32 v9, 3, v9
	ds_write_b64 v9, v[68:69]
	s_or_b64 exec, exec, s[26:27]
	s_and_saveexec_b64 s[24:25], s[22:23]
	s_cbranch_execz .LBB1215_254
.LBB1215_309:
	v_sub_u32_e32 v9, v49, v8
	v_lshlrev_b32_e32 v9, 3, v9
	ds_write_b64 v9, v[70:71]
	s_or_b64 exec, exec, s[24:25]
	s_and_saveexec_b64 s[22:23], s[20:21]
	s_cbranch_execz .LBB1215_255
.LBB1215_310:
	v_sub_u32_e32 v9, v48, v8
	v_lshlrev_b32_e32 v9, 3, v9
	ds_write_b64 v9, v[76:77]
	s_or_b64 exec, exec, s[22:23]
	s_and_saveexec_b64 s[20:21], s[18:19]
	s_cbranch_execz .LBB1215_256
.LBB1215_311:
	v_sub_u32_e32 v9, v47, v8
	v_lshlrev_b32_e32 v9, 3, v9
	ds_write_b64 v9, v[78:79]
	s_or_b64 exec, exec, s[20:21]
	s_and_saveexec_b64 s[18:19], s[16:17]
	s_cbranch_execz .LBB1215_257
.LBB1215_312:
	v_sub_u32_e32 v9, v46, v8
	v_lshlrev_b32_e32 v9, 3, v9
	ds_write_b64 v9, v[80:81]
	s_or_b64 exec, exec, s[18:19]
	s_and_saveexec_b64 s[16:17], s[14:15]
	s_cbranch_execz .LBB1215_258
.LBB1215_313:
	v_sub_u32_e32 v9, v45, v8
	v_lshlrev_b32_e32 v9, 3, v9
	ds_write_b64 v9, v[82:83]
	s_or_b64 exec, exec, s[16:17]
	s_and_saveexec_b64 s[14:15], s[12:13]
	s_cbranch_execz .LBB1215_259
.LBB1215_314:
	v_sub_u32_e32 v9, v44, v8
	v_lshlrev_b32_e32 v9, 3, v9
	ds_write_b64 v9, v[84:85]
	s_or_b64 exec, exec, s[14:15]
	s_and_saveexec_b64 s[12:13], s[10:11]
	s_cbranch_execz .LBB1215_260
.LBB1215_315:
	v_sub_u32_e32 v9, v43, v8
	v_lshlrev_b32_e32 v9, 3, v9
	ds_write_b64 v9, v[86:87]
	s_or_b64 exec, exec, s[12:13]
	s_and_saveexec_b64 s[10:11], s[8:9]
	s_cbranch_execz .LBB1215_261
.LBB1215_316:
	v_sub_u32_e32 v9, v42, v8
	v_lshlrev_b32_e32 v9, 3, v9
	ds_write_b64 v9, v[88:89]
	s_or_b64 exec, exec, s[10:11]
	s_and_saveexec_b64 s[8:9], s[6:7]
	s_cbranch_execz .LBB1215_262
.LBB1215_317:
	v_sub_u32_e32 v9, v41, v8
	v_lshlrev_b32_e32 v9, 3, v9
	ds_write_b64 v9, v[90:91]
	s_or_b64 exec, exec, s[8:9]
	s_and_saveexec_b64 s[6:7], s[4:5]
	s_cbranch_execz .LBB1215_263
.LBB1215_318:
	v_sub_u32_e32 v9, v40, v8
	v_lshlrev_b32_e32 v9, 3, v9
	ds_write_b64 v9, v[92:93]
	s_or_b64 exec, exec, s[6:7]
	s_and_saveexec_b64 s[4:5], s[2:3]
	s_cbranch_execnz .LBB1215_264
	s_branch .LBB1215_265
	.section	.rodata,"a",@progbits
	.p2align	6, 0x0
	.amdhsa_kernel _ZN7rocprim17ROCPRIM_400000_NS6detail17trampoline_kernelINS0_14default_configENS1_29reduce_by_key_config_selectorIllN6thrust23THRUST_200600_302600_NS4plusIlEEEEZZNS1_33reduce_by_key_impl_wrapped_configILNS1_25lookback_scan_determinismE0ES3_S9_PlNS6_17constant_iteratorIiNS6_11use_defaultESE_EENS6_10device_ptrIlEESH_PmS8_NS6_8equal_toIlEEEE10hipError_tPvRmT2_T3_mT4_T5_T6_T7_T8_P12ihipStream_tbENKUlT_T0_E_clISt17integral_constantIbLb1EES12_EEDaSX_SY_EUlSX_E_NS1_11comp_targetILNS1_3genE4ELNS1_11target_archE910ELNS1_3gpuE8ELNS1_3repE0EEENS1_30default_config_static_selectorELNS0_4arch9wavefront6targetE1EEEvT1_
		.amdhsa_group_segment_fixed_size 30720
		.amdhsa_private_segment_fixed_size 0
		.amdhsa_kernarg_size 144
		.amdhsa_user_sgpr_count 6
		.amdhsa_user_sgpr_private_segment_buffer 1
		.amdhsa_user_sgpr_dispatch_ptr 0
		.amdhsa_user_sgpr_queue_ptr 0
		.amdhsa_user_sgpr_kernarg_segment_ptr 1
		.amdhsa_user_sgpr_dispatch_id 0
		.amdhsa_user_sgpr_flat_scratch_init 0
		.amdhsa_user_sgpr_kernarg_preload_length 0
		.amdhsa_user_sgpr_kernarg_preload_offset 0
		.amdhsa_user_sgpr_private_segment_size 0
		.amdhsa_uses_dynamic_stack 0
		.amdhsa_system_sgpr_private_segment_wavefront_offset 0
		.amdhsa_system_sgpr_workgroup_id_x 1
		.amdhsa_system_sgpr_workgroup_id_y 0
		.amdhsa_system_sgpr_workgroup_id_z 0
		.amdhsa_system_sgpr_workgroup_info 0
		.amdhsa_system_vgpr_workitem_id 0
		.amdhsa_next_free_vgpr 118
		.amdhsa_next_free_sgpr 66
		.amdhsa_accum_offset 120
		.amdhsa_reserve_vcc 1
		.amdhsa_reserve_flat_scratch 0
		.amdhsa_float_round_mode_32 0
		.amdhsa_float_round_mode_16_64 0
		.amdhsa_float_denorm_mode_32 3
		.amdhsa_float_denorm_mode_16_64 3
		.amdhsa_dx10_clamp 1
		.amdhsa_ieee_mode 1
		.amdhsa_fp16_overflow 0
		.amdhsa_tg_split 0
		.amdhsa_exception_fp_ieee_invalid_op 0
		.amdhsa_exception_fp_denorm_src 0
		.amdhsa_exception_fp_ieee_div_zero 0
		.amdhsa_exception_fp_ieee_overflow 0
		.amdhsa_exception_fp_ieee_underflow 0
		.amdhsa_exception_fp_ieee_inexact 0
		.amdhsa_exception_int_div_zero 0
	.end_amdhsa_kernel
	.section	.text._ZN7rocprim17ROCPRIM_400000_NS6detail17trampoline_kernelINS0_14default_configENS1_29reduce_by_key_config_selectorIllN6thrust23THRUST_200600_302600_NS4plusIlEEEEZZNS1_33reduce_by_key_impl_wrapped_configILNS1_25lookback_scan_determinismE0ES3_S9_PlNS6_17constant_iteratorIiNS6_11use_defaultESE_EENS6_10device_ptrIlEESH_PmS8_NS6_8equal_toIlEEEE10hipError_tPvRmT2_T3_mT4_T5_T6_T7_T8_P12ihipStream_tbENKUlT_T0_E_clISt17integral_constantIbLb1EES12_EEDaSX_SY_EUlSX_E_NS1_11comp_targetILNS1_3genE4ELNS1_11target_archE910ELNS1_3gpuE8ELNS1_3repE0EEENS1_30default_config_static_selectorELNS0_4arch9wavefront6targetE1EEEvT1_,"axG",@progbits,_ZN7rocprim17ROCPRIM_400000_NS6detail17trampoline_kernelINS0_14default_configENS1_29reduce_by_key_config_selectorIllN6thrust23THRUST_200600_302600_NS4plusIlEEEEZZNS1_33reduce_by_key_impl_wrapped_configILNS1_25lookback_scan_determinismE0ES3_S9_PlNS6_17constant_iteratorIiNS6_11use_defaultESE_EENS6_10device_ptrIlEESH_PmS8_NS6_8equal_toIlEEEE10hipError_tPvRmT2_T3_mT4_T5_T6_T7_T8_P12ihipStream_tbENKUlT_T0_E_clISt17integral_constantIbLb1EES12_EEDaSX_SY_EUlSX_E_NS1_11comp_targetILNS1_3genE4ELNS1_11target_archE910ELNS1_3gpuE8ELNS1_3repE0EEENS1_30default_config_static_selectorELNS0_4arch9wavefront6targetE1EEEvT1_,comdat
.Lfunc_end1215:
	.size	_ZN7rocprim17ROCPRIM_400000_NS6detail17trampoline_kernelINS0_14default_configENS1_29reduce_by_key_config_selectorIllN6thrust23THRUST_200600_302600_NS4plusIlEEEEZZNS1_33reduce_by_key_impl_wrapped_configILNS1_25lookback_scan_determinismE0ES3_S9_PlNS6_17constant_iteratorIiNS6_11use_defaultESE_EENS6_10device_ptrIlEESH_PmS8_NS6_8equal_toIlEEEE10hipError_tPvRmT2_T3_mT4_T5_T6_T7_T8_P12ihipStream_tbENKUlT_T0_E_clISt17integral_constantIbLb1EES12_EEDaSX_SY_EUlSX_E_NS1_11comp_targetILNS1_3genE4ELNS1_11target_archE910ELNS1_3gpuE8ELNS1_3repE0EEENS1_30default_config_static_selectorELNS0_4arch9wavefront6targetE1EEEvT1_, .Lfunc_end1215-_ZN7rocprim17ROCPRIM_400000_NS6detail17trampoline_kernelINS0_14default_configENS1_29reduce_by_key_config_selectorIllN6thrust23THRUST_200600_302600_NS4plusIlEEEEZZNS1_33reduce_by_key_impl_wrapped_configILNS1_25lookback_scan_determinismE0ES3_S9_PlNS6_17constant_iteratorIiNS6_11use_defaultESE_EENS6_10device_ptrIlEESH_PmS8_NS6_8equal_toIlEEEE10hipError_tPvRmT2_T3_mT4_T5_T6_T7_T8_P12ihipStream_tbENKUlT_T0_E_clISt17integral_constantIbLb1EES12_EEDaSX_SY_EUlSX_E_NS1_11comp_targetILNS1_3genE4ELNS1_11target_archE910ELNS1_3gpuE8ELNS1_3repE0EEENS1_30default_config_static_selectorELNS0_4arch9wavefront6targetE1EEEvT1_
                                        ; -- End function
	.section	.AMDGPU.csdata,"",@progbits
; Kernel info:
; codeLenInByte = 16016
; NumSgprs: 70
; NumVgprs: 118
; NumAgprs: 0
; TotalNumVgprs: 118
; ScratchSize: 0
; MemoryBound: 0
; FloatMode: 240
; IeeeMode: 1
; LDSByteSize: 30720 bytes/workgroup (compile time only)
; SGPRBlocks: 8
; VGPRBlocks: 14
; NumSGPRsForWavesPerEU: 70
; NumVGPRsForWavesPerEU: 118
; AccumOffset: 120
; Occupancy: 2
; WaveLimiterHint : 1
; COMPUTE_PGM_RSRC2:SCRATCH_EN: 0
; COMPUTE_PGM_RSRC2:USER_SGPR: 6
; COMPUTE_PGM_RSRC2:TRAP_HANDLER: 0
; COMPUTE_PGM_RSRC2:TGID_X_EN: 1
; COMPUTE_PGM_RSRC2:TGID_Y_EN: 0
; COMPUTE_PGM_RSRC2:TGID_Z_EN: 0
; COMPUTE_PGM_RSRC2:TIDIG_COMP_CNT: 0
; COMPUTE_PGM_RSRC3_GFX90A:ACCUM_OFFSET: 29
; COMPUTE_PGM_RSRC3_GFX90A:TG_SPLIT: 0
	.section	.text._ZN7rocprim17ROCPRIM_400000_NS6detail17trampoline_kernelINS0_14default_configENS1_29reduce_by_key_config_selectorIllN6thrust23THRUST_200600_302600_NS4plusIlEEEEZZNS1_33reduce_by_key_impl_wrapped_configILNS1_25lookback_scan_determinismE0ES3_S9_PlNS6_17constant_iteratorIiNS6_11use_defaultESE_EENS6_10device_ptrIlEESH_PmS8_NS6_8equal_toIlEEEE10hipError_tPvRmT2_T3_mT4_T5_T6_T7_T8_P12ihipStream_tbENKUlT_T0_E_clISt17integral_constantIbLb1EES12_EEDaSX_SY_EUlSX_E_NS1_11comp_targetILNS1_3genE3ELNS1_11target_archE908ELNS1_3gpuE7ELNS1_3repE0EEENS1_30default_config_static_selectorELNS0_4arch9wavefront6targetE1EEEvT1_,"axG",@progbits,_ZN7rocprim17ROCPRIM_400000_NS6detail17trampoline_kernelINS0_14default_configENS1_29reduce_by_key_config_selectorIllN6thrust23THRUST_200600_302600_NS4plusIlEEEEZZNS1_33reduce_by_key_impl_wrapped_configILNS1_25lookback_scan_determinismE0ES3_S9_PlNS6_17constant_iteratorIiNS6_11use_defaultESE_EENS6_10device_ptrIlEESH_PmS8_NS6_8equal_toIlEEEE10hipError_tPvRmT2_T3_mT4_T5_T6_T7_T8_P12ihipStream_tbENKUlT_T0_E_clISt17integral_constantIbLb1EES12_EEDaSX_SY_EUlSX_E_NS1_11comp_targetILNS1_3genE3ELNS1_11target_archE908ELNS1_3gpuE7ELNS1_3repE0EEENS1_30default_config_static_selectorELNS0_4arch9wavefront6targetE1EEEvT1_,comdat
	.protected	_ZN7rocprim17ROCPRIM_400000_NS6detail17trampoline_kernelINS0_14default_configENS1_29reduce_by_key_config_selectorIllN6thrust23THRUST_200600_302600_NS4plusIlEEEEZZNS1_33reduce_by_key_impl_wrapped_configILNS1_25lookback_scan_determinismE0ES3_S9_PlNS6_17constant_iteratorIiNS6_11use_defaultESE_EENS6_10device_ptrIlEESH_PmS8_NS6_8equal_toIlEEEE10hipError_tPvRmT2_T3_mT4_T5_T6_T7_T8_P12ihipStream_tbENKUlT_T0_E_clISt17integral_constantIbLb1EES12_EEDaSX_SY_EUlSX_E_NS1_11comp_targetILNS1_3genE3ELNS1_11target_archE908ELNS1_3gpuE7ELNS1_3repE0EEENS1_30default_config_static_selectorELNS0_4arch9wavefront6targetE1EEEvT1_ ; -- Begin function _ZN7rocprim17ROCPRIM_400000_NS6detail17trampoline_kernelINS0_14default_configENS1_29reduce_by_key_config_selectorIllN6thrust23THRUST_200600_302600_NS4plusIlEEEEZZNS1_33reduce_by_key_impl_wrapped_configILNS1_25lookback_scan_determinismE0ES3_S9_PlNS6_17constant_iteratorIiNS6_11use_defaultESE_EENS6_10device_ptrIlEESH_PmS8_NS6_8equal_toIlEEEE10hipError_tPvRmT2_T3_mT4_T5_T6_T7_T8_P12ihipStream_tbENKUlT_T0_E_clISt17integral_constantIbLb1EES12_EEDaSX_SY_EUlSX_E_NS1_11comp_targetILNS1_3genE3ELNS1_11target_archE908ELNS1_3gpuE7ELNS1_3repE0EEENS1_30default_config_static_selectorELNS0_4arch9wavefront6targetE1EEEvT1_
	.globl	_ZN7rocprim17ROCPRIM_400000_NS6detail17trampoline_kernelINS0_14default_configENS1_29reduce_by_key_config_selectorIllN6thrust23THRUST_200600_302600_NS4plusIlEEEEZZNS1_33reduce_by_key_impl_wrapped_configILNS1_25lookback_scan_determinismE0ES3_S9_PlNS6_17constant_iteratorIiNS6_11use_defaultESE_EENS6_10device_ptrIlEESH_PmS8_NS6_8equal_toIlEEEE10hipError_tPvRmT2_T3_mT4_T5_T6_T7_T8_P12ihipStream_tbENKUlT_T0_E_clISt17integral_constantIbLb1EES12_EEDaSX_SY_EUlSX_E_NS1_11comp_targetILNS1_3genE3ELNS1_11target_archE908ELNS1_3gpuE7ELNS1_3repE0EEENS1_30default_config_static_selectorELNS0_4arch9wavefront6targetE1EEEvT1_
	.p2align	8
	.type	_ZN7rocprim17ROCPRIM_400000_NS6detail17trampoline_kernelINS0_14default_configENS1_29reduce_by_key_config_selectorIllN6thrust23THRUST_200600_302600_NS4plusIlEEEEZZNS1_33reduce_by_key_impl_wrapped_configILNS1_25lookback_scan_determinismE0ES3_S9_PlNS6_17constant_iteratorIiNS6_11use_defaultESE_EENS6_10device_ptrIlEESH_PmS8_NS6_8equal_toIlEEEE10hipError_tPvRmT2_T3_mT4_T5_T6_T7_T8_P12ihipStream_tbENKUlT_T0_E_clISt17integral_constantIbLb1EES12_EEDaSX_SY_EUlSX_E_NS1_11comp_targetILNS1_3genE3ELNS1_11target_archE908ELNS1_3gpuE7ELNS1_3repE0EEENS1_30default_config_static_selectorELNS0_4arch9wavefront6targetE1EEEvT1_,@function
_ZN7rocprim17ROCPRIM_400000_NS6detail17trampoline_kernelINS0_14default_configENS1_29reduce_by_key_config_selectorIllN6thrust23THRUST_200600_302600_NS4plusIlEEEEZZNS1_33reduce_by_key_impl_wrapped_configILNS1_25lookback_scan_determinismE0ES3_S9_PlNS6_17constant_iteratorIiNS6_11use_defaultESE_EENS6_10device_ptrIlEESH_PmS8_NS6_8equal_toIlEEEE10hipError_tPvRmT2_T3_mT4_T5_T6_T7_T8_P12ihipStream_tbENKUlT_T0_E_clISt17integral_constantIbLb1EES12_EEDaSX_SY_EUlSX_E_NS1_11comp_targetILNS1_3genE3ELNS1_11target_archE908ELNS1_3gpuE7ELNS1_3repE0EEENS1_30default_config_static_selectorELNS0_4arch9wavefront6targetE1EEEvT1_: ; @_ZN7rocprim17ROCPRIM_400000_NS6detail17trampoline_kernelINS0_14default_configENS1_29reduce_by_key_config_selectorIllN6thrust23THRUST_200600_302600_NS4plusIlEEEEZZNS1_33reduce_by_key_impl_wrapped_configILNS1_25lookback_scan_determinismE0ES3_S9_PlNS6_17constant_iteratorIiNS6_11use_defaultESE_EENS6_10device_ptrIlEESH_PmS8_NS6_8equal_toIlEEEE10hipError_tPvRmT2_T3_mT4_T5_T6_T7_T8_P12ihipStream_tbENKUlT_T0_E_clISt17integral_constantIbLb1EES12_EEDaSX_SY_EUlSX_E_NS1_11comp_targetILNS1_3genE3ELNS1_11target_archE908ELNS1_3gpuE7ELNS1_3repE0EEENS1_30default_config_static_selectorELNS0_4arch9wavefront6targetE1EEEvT1_
; %bb.0:
	.section	.rodata,"a",@progbits
	.p2align	6, 0x0
	.amdhsa_kernel _ZN7rocprim17ROCPRIM_400000_NS6detail17trampoline_kernelINS0_14default_configENS1_29reduce_by_key_config_selectorIllN6thrust23THRUST_200600_302600_NS4plusIlEEEEZZNS1_33reduce_by_key_impl_wrapped_configILNS1_25lookback_scan_determinismE0ES3_S9_PlNS6_17constant_iteratorIiNS6_11use_defaultESE_EENS6_10device_ptrIlEESH_PmS8_NS6_8equal_toIlEEEE10hipError_tPvRmT2_T3_mT4_T5_T6_T7_T8_P12ihipStream_tbENKUlT_T0_E_clISt17integral_constantIbLb1EES12_EEDaSX_SY_EUlSX_E_NS1_11comp_targetILNS1_3genE3ELNS1_11target_archE908ELNS1_3gpuE7ELNS1_3repE0EEENS1_30default_config_static_selectorELNS0_4arch9wavefront6targetE1EEEvT1_
		.amdhsa_group_segment_fixed_size 0
		.amdhsa_private_segment_fixed_size 0
		.amdhsa_kernarg_size 144
		.amdhsa_user_sgpr_count 6
		.amdhsa_user_sgpr_private_segment_buffer 1
		.amdhsa_user_sgpr_dispatch_ptr 0
		.amdhsa_user_sgpr_queue_ptr 0
		.amdhsa_user_sgpr_kernarg_segment_ptr 1
		.amdhsa_user_sgpr_dispatch_id 0
		.amdhsa_user_sgpr_flat_scratch_init 0
		.amdhsa_user_sgpr_kernarg_preload_length 0
		.amdhsa_user_sgpr_kernarg_preload_offset 0
		.amdhsa_user_sgpr_private_segment_size 0
		.amdhsa_uses_dynamic_stack 0
		.amdhsa_system_sgpr_private_segment_wavefront_offset 0
		.amdhsa_system_sgpr_workgroup_id_x 1
		.amdhsa_system_sgpr_workgroup_id_y 0
		.amdhsa_system_sgpr_workgroup_id_z 0
		.amdhsa_system_sgpr_workgroup_info 0
		.amdhsa_system_vgpr_workitem_id 0
		.amdhsa_next_free_vgpr 1
		.amdhsa_next_free_sgpr 0
		.amdhsa_accum_offset 4
		.amdhsa_reserve_vcc 0
		.amdhsa_reserve_flat_scratch 0
		.amdhsa_float_round_mode_32 0
		.amdhsa_float_round_mode_16_64 0
		.amdhsa_float_denorm_mode_32 3
		.amdhsa_float_denorm_mode_16_64 3
		.amdhsa_dx10_clamp 1
		.amdhsa_ieee_mode 1
		.amdhsa_fp16_overflow 0
		.amdhsa_tg_split 0
		.amdhsa_exception_fp_ieee_invalid_op 0
		.amdhsa_exception_fp_denorm_src 0
		.amdhsa_exception_fp_ieee_div_zero 0
		.amdhsa_exception_fp_ieee_overflow 0
		.amdhsa_exception_fp_ieee_underflow 0
		.amdhsa_exception_fp_ieee_inexact 0
		.amdhsa_exception_int_div_zero 0
	.end_amdhsa_kernel
	.section	.text._ZN7rocprim17ROCPRIM_400000_NS6detail17trampoline_kernelINS0_14default_configENS1_29reduce_by_key_config_selectorIllN6thrust23THRUST_200600_302600_NS4plusIlEEEEZZNS1_33reduce_by_key_impl_wrapped_configILNS1_25lookback_scan_determinismE0ES3_S9_PlNS6_17constant_iteratorIiNS6_11use_defaultESE_EENS6_10device_ptrIlEESH_PmS8_NS6_8equal_toIlEEEE10hipError_tPvRmT2_T3_mT4_T5_T6_T7_T8_P12ihipStream_tbENKUlT_T0_E_clISt17integral_constantIbLb1EES12_EEDaSX_SY_EUlSX_E_NS1_11comp_targetILNS1_3genE3ELNS1_11target_archE908ELNS1_3gpuE7ELNS1_3repE0EEENS1_30default_config_static_selectorELNS0_4arch9wavefront6targetE1EEEvT1_,"axG",@progbits,_ZN7rocprim17ROCPRIM_400000_NS6detail17trampoline_kernelINS0_14default_configENS1_29reduce_by_key_config_selectorIllN6thrust23THRUST_200600_302600_NS4plusIlEEEEZZNS1_33reduce_by_key_impl_wrapped_configILNS1_25lookback_scan_determinismE0ES3_S9_PlNS6_17constant_iteratorIiNS6_11use_defaultESE_EENS6_10device_ptrIlEESH_PmS8_NS6_8equal_toIlEEEE10hipError_tPvRmT2_T3_mT4_T5_T6_T7_T8_P12ihipStream_tbENKUlT_T0_E_clISt17integral_constantIbLb1EES12_EEDaSX_SY_EUlSX_E_NS1_11comp_targetILNS1_3genE3ELNS1_11target_archE908ELNS1_3gpuE7ELNS1_3repE0EEENS1_30default_config_static_selectorELNS0_4arch9wavefront6targetE1EEEvT1_,comdat
.Lfunc_end1216:
	.size	_ZN7rocprim17ROCPRIM_400000_NS6detail17trampoline_kernelINS0_14default_configENS1_29reduce_by_key_config_selectorIllN6thrust23THRUST_200600_302600_NS4plusIlEEEEZZNS1_33reduce_by_key_impl_wrapped_configILNS1_25lookback_scan_determinismE0ES3_S9_PlNS6_17constant_iteratorIiNS6_11use_defaultESE_EENS6_10device_ptrIlEESH_PmS8_NS6_8equal_toIlEEEE10hipError_tPvRmT2_T3_mT4_T5_T6_T7_T8_P12ihipStream_tbENKUlT_T0_E_clISt17integral_constantIbLb1EES12_EEDaSX_SY_EUlSX_E_NS1_11comp_targetILNS1_3genE3ELNS1_11target_archE908ELNS1_3gpuE7ELNS1_3repE0EEENS1_30default_config_static_selectorELNS0_4arch9wavefront6targetE1EEEvT1_, .Lfunc_end1216-_ZN7rocprim17ROCPRIM_400000_NS6detail17trampoline_kernelINS0_14default_configENS1_29reduce_by_key_config_selectorIllN6thrust23THRUST_200600_302600_NS4plusIlEEEEZZNS1_33reduce_by_key_impl_wrapped_configILNS1_25lookback_scan_determinismE0ES3_S9_PlNS6_17constant_iteratorIiNS6_11use_defaultESE_EENS6_10device_ptrIlEESH_PmS8_NS6_8equal_toIlEEEE10hipError_tPvRmT2_T3_mT4_T5_T6_T7_T8_P12ihipStream_tbENKUlT_T0_E_clISt17integral_constantIbLb1EES12_EEDaSX_SY_EUlSX_E_NS1_11comp_targetILNS1_3genE3ELNS1_11target_archE908ELNS1_3gpuE7ELNS1_3repE0EEENS1_30default_config_static_selectorELNS0_4arch9wavefront6targetE1EEEvT1_
                                        ; -- End function
	.section	.AMDGPU.csdata,"",@progbits
; Kernel info:
; codeLenInByte = 0
; NumSgprs: 4
; NumVgprs: 0
; NumAgprs: 0
; TotalNumVgprs: 0
; ScratchSize: 0
; MemoryBound: 0
; FloatMode: 240
; IeeeMode: 1
; LDSByteSize: 0 bytes/workgroup (compile time only)
; SGPRBlocks: 0
; VGPRBlocks: 0
; NumSGPRsForWavesPerEU: 4
; NumVGPRsForWavesPerEU: 1
; AccumOffset: 4
; Occupancy: 8
; WaveLimiterHint : 0
; COMPUTE_PGM_RSRC2:SCRATCH_EN: 0
; COMPUTE_PGM_RSRC2:USER_SGPR: 6
; COMPUTE_PGM_RSRC2:TRAP_HANDLER: 0
; COMPUTE_PGM_RSRC2:TGID_X_EN: 1
; COMPUTE_PGM_RSRC2:TGID_Y_EN: 0
; COMPUTE_PGM_RSRC2:TGID_Z_EN: 0
; COMPUTE_PGM_RSRC2:TIDIG_COMP_CNT: 0
; COMPUTE_PGM_RSRC3_GFX90A:ACCUM_OFFSET: 0
; COMPUTE_PGM_RSRC3_GFX90A:TG_SPLIT: 0
	.section	.text._ZN7rocprim17ROCPRIM_400000_NS6detail17trampoline_kernelINS0_14default_configENS1_29reduce_by_key_config_selectorIllN6thrust23THRUST_200600_302600_NS4plusIlEEEEZZNS1_33reduce_by_key_impl_wrapped_configILNS1_25lookback_scan_determinismE0ES3_S9_PlNS6_17constant_iteratorIiNS6_11use_defaultESE_EENS6_10device_ptrIlEESH_PmS8_NS6_8equal_toIlEEEE10hipError_tPvRmT2_T3_mT4_T5_T6_T7_T8_P12ihipStream_tbENKUlT_T0_E_clISt17integral_constantIbLb1EES12_EEDaSX_SY_EUlSX_E_NS1_11comp_targetILNS1_3genE2ELNS1_11target_archE906ELNS1_3gpuE6ELNS1_3repE0EEENS1_30default_config_static_selectorELNS0_4arch9wavefront6targetE1EEEvT1_,"axG",@progbits,_ZN7rocprim17ROCPRIM_400000_NS6detail17trampoline_kernelINS0_14default_configENS1_29reduce_by_key_config_selectorIllN6thrust23THRUST_200600_302600_NS4plusIlEEEEZZNS1_33reduce_by_key_impl_wrapped_configILNS1_25lookback_scan_determinismE0ES3_S9_PlNS6_17constant_iteratorIiNS6_11use_defaultESE_EENS6_10device_ptrIlEESH_PmS8_NS6_8equal_toIlEEEE10hipError_tPvRmT2_T3_mT4_T5_T6_T7_T8_P12ihipStream_tbENKUlT_T0_E_clISt17integral_constantIbLb1EES12_EEDaSX_SY_EUlSX_E_NS1_11comp_targetILNS1_3genE2ELNS1_11target_archE906ELNS1_3gpuE6ELNS1_3repE0EEENS1_30default_config_static_selectorELNS0_4arch9wavefront6targetE1EEEvT1_,comdat
	.protected	_ZN7rocprim17ROCPRIM_400000_NS6detail17trampoline_kernelINS0_14default_configENS1_29reduce_by_key_config_selectorIllN6thrust23THRUST_200600_302600_NS4plusIlEEEEZZNS1_33reduce_by_key_impl_wrapped_configILNS1_25lookback_scan_determinismE0ES3_S9_PlNS6_17constant_iteratorIiNS6_11use_defaultESE_EENS6_10device_ptrIlEESH_PmS8_NS6_8equal_toIlEEEE10hipError_tPvRmT2_T3_mT4_T5_T6_T7_T8_P12ihipStream_tbENKUlT_T0_E_clISt17integral_constantIbLb1EES12_EEDaSX_SY_EUlSX_E_NS1_11comp_targetILNS1_3genE2ELNS1_11target_archE906ELNS1_3gpuE6ELNS1_3repE0EEENS1_30default_config_static_selectorELNS0_4arch9wavefront6targetE1EEEvT1_ ; -- Begin function _ZN7rocprim17ROCPRIM_400000_NS6detail17trampoline_kernelINS0_14default_configENS1_29reduce_by_key_config_selectorIllN6thrust23THRUST_200600_302600_NS4plusIlEEEEZZNS1_33reduce_by_key_impl_wrapped_configILNS1_25lookback_scan_determinismE0ES3_S9_PlNS6_17constant_iteratorIiNS6_11use_defaultESE_EENS6_10device_ptrIlEESH_PmS8_NS6_8equal_toIlEEEE10hipError_tPvRmT2_T3_mT4_T5_T6_T7_T8_P12ihipStream_tbENKUlT_T0_E_clISt17integral_constantIbLb1EES12_EEDaSX_SY_EUlSX_E_NS1_11comp_targetILNS1_3genE2ELNS1_11target_archE906ELNS1_3gpuE6ELNS1_3repE0EEENS1_30default_config_static_selectorELNS0_4arch9wavefront6targetE1EEEvT1_
	.globl	_ZN7rocprim17ROCPRIM_400000_NS6detail17trampoline_kernelINS0_14default_configENS1_29reduce_by_key_config_selectorIllN6thrust23THRUST_200600_302600_NS4plusIlEEEEZZNS1_33reduce_by_key_impl_wrapped_configILNS1_25lookback_scan_determinismE0ES3_S9_PlNS6_17constant_iteratorIiNS6_11use_defaultESE_EENS6_10device_ptrIlEESH_PmS8_NS6_8equal_toIlEEEE10hipError_tPvRmT2_T3_mT4_T5_T6_T7_T8_P12ihipStream_tbENKUlT_T0_E_clISt17integral_constantIbLb1EES12_EEDaSX_SY_EUlSX_E_NS1_11comp_targetILNS1_3genE2ELNS1_11target_archE906ELNS1_3gpuE6ELNS1_3repE0EEENS1_30default_config_static_selectorELNS0_4arch9wavefront6targetE1EEEvT1_
	.p2align	8
	.type	_ZN7rocprim17ROCPRIM_400000_NS6detail17trampoline_kernelINS0_14default_configENS1_29reduce_by_key_config_selectorIllN6thrust23THRUST_200600_302600_NS4plusIlEEEEZZNS1_33reduce_by_key_impl_wrapped_configILNS1_25lookback_scan_determinismE0ES3_S9_PlNS6_17constant_iteratorIiNS6_11use_defaultESE_EENS6_10device_ptrIlEESH_PmS8_NS6_8equal_toIlEEEE10hipError_tPvRmT2_T3_mT4_T5_T6_T7_T8_P12ihipStream_tbENKUlT_T0_E_clISt17integral_constantIbLb1EES12_EEDaSX_SY_EUlSX_E_NS1_11comp_targetILNS1_3genE2ELNS1_11target_archE906ELNS1_3gpuE6ELNS1_3repE0EEENS1_30default_config_static_selectorELNS0_4arch9wavefront6targetE1EEEvT1_,@function
_ZN7rocprim17ROCPRIM_400000_NS6detail17trampoline_kernelINS0_14default_configENS1_29reduce_by_key_config_selectorIllN6thrust23THRUST_200600_302600_NS4plusIlEEEEZZNS1_33reduce_by_key_impl_wrapped_configILNS1_25lookback_scan_determinismE0ES3_S9_PlNS6_17constant_iteratorIiNS6_11use_defaultESE_EENS6_10device_ptrIlEESH_PmS8_NS6_8equal_toIlEEEE10hipError_tPvRmT2_T3_mT4_T5_T6_T7_T8_P12ihipStream_tbENKUlT_T0_E_clISt17integral_constantIbLb1EES12_EEDaSX_SY_EUlSX_E_NS1_11comp_targetILNS1_3genE2ELNS1_11target_archE906ELNS1_3gpuE6ELNS1_3repE0EEENS1_30default_config_static_selectorELNS0_4arch9wavefront6targetE1EEEvT1_: ; @_ZN7rocprim17ROCPRIM_400000_NS6detail17trampoline_kernelINS0_14default_configENS1_29reduce_by_key_config_selectorIllN6thrust23THRUST_200600_302600_NS4plusIlEEEEZZNS1_33reduce_by_key_impl_wrapped_configILNS1_25lookback_scan_determinismE0ES3_S9_PlNS6_17constant_iteratorIiNS6_11use_defaultESE_EENS6_10device_ptrIlEESH_PmS8_NS6_8equal_toIlEEEE10hipError_tPvRmT2_T3_mT4_T5_T6_T7_T8_P12ihipStream_tbENKUlT_T0_E_clISt17integral_constantIbLb1EES12_EEDaSX_SY_EUlSX_E_NS1_11comp_targetILNS1_3genE2ELNS1_11target_archE906ELNS1_3gpuE6ELNS1_3repE0EEENS1_30default_config_static_selectorELNS0_4arch9wavefront6targetE1EEEvT1_
; %bb.0:
	.section	.rodata,"a",@progbits
	.p2align	6, 0x0
	.amdhsa_kernel _ZN7rocprim17ROCPRIM_400000_NS6detail17trampoline_kernelINS0_14default_configENS1_29reduce_by_key_config_selectorIllN6thrust23THRUST_200600_302600_NS4plusIlEEEEZZNS1_33reduce_by_key_impl_wrapped_configILNS1_25lookback_scan_determinismE0ES3_S9_PlNS6_17constant_iteratorIiNS6_11use_defaultESE_EENS6_10device_ptrIlEESH_PmS8_NS6_8equal_toIlEEEE10hipError_tPvRmT2_T3_mT4_T5_T6_T7_T8_P12ihipStream_tbENKUlT_T0_E_clISt17integral_constantIbLb1EES12_EEDaSX_SY_EUlSX_E_NS1_11comp_targetILNS1_3genE2ELNS1_11target_archE906ELNS1_3gpuE6ELNS1_3repE0EEENS1_30default_config_static_selectorELNS0_4arch9wavefront6targetE1EEEvT1_
		.amdhsa_group_segment_fixed_size 0
		.amdhsa_private_segment_fixed_size 0
		.amdhsa_kernarg_size 144
		.amdhsa_user_sgpr_count 6
		.amdhsa_user_sgpr_private_segment_buffer 1
		.amdhsa_user_sgpr_dispatch_ptr 0
		.amdhsa_user_sgpr_queue_ptr 0
		.amdhsa_user_sgpr_kernarg_segment_ptr 1
		.amdhsa_user_sgpr_dispatch_id 0
		.amdhsa_user_sgpr_flat_scratch_init 0
		.amdhsa_user_sgpr_kernarg_preload_length 0
		.amdhsa_user_sgpr_kernarg_preload_offset 0
		.amdhsa_user_sgpr_private_segment_size 0
		.amdhsa_uses_dynamic_stack 0
		.amdhsa_system_sgpr_private_segment_wavefront_offset 0
		.amdhsa_system_sgpr_workgroup_id_x 1
		.amdhsa_system_sgpr_workgroup_id_y 0
		.amdhsa_system_sgpr_workgroup_id_z 0
		.amdhsa_system_sgpr_workgroup_info 0
		.amdhsa_system_vgpr_workitem_id 0
		.amdhsa_next_free_vgpr 1
		.amdhsa_next_free_sgpr 0
		.amdhsa_accum_offset 4
		.amdhsa_reserve_vcc 0
		.amdhsa_reserve_flat_scratch 0
		.amdhsa_float_round_mode_32 0
		.amdhsa_float_round_mode_16_64 0
		.amdhsa_float_denorm_mode_32 3
		.amdhsa_float_denorm_mode_16_64 3
		.amdhsa_dx10_clamp 1
		.amdhsa_ieee_mode 1
		.amdhsa_fp16_overflow 0
		.amdhsa_tg_split 0
		.amdhsa_exception_fp_ieee_invalid_op 0
		.amdhsa_exception_fp_denorm_src 0
		.amdhsa_exception_fp_ieee_div_zero 0
		.amdhsa_exception_fp_ieee_overflow 0
		.amdhsa_exception_fp_ieee_underflow 0
		.amdhsa_exception_fp_ieee_inexact 0
		.amdhsa_exception_int_div_zero 0
	.end_amdhsa_kernel
	.section	.text._ZN7rocprim17ROCPRIM_400000_NS6detail17trampoline_kernelINS0_14default_configENS1_29reduce_by_key_config_selectorIllN6thrust23THRUST_200600_302600_NS4plusIlEEEEZZNS1_33reduce_by_key_impl_wrapped_configILNS1_25lookback_scan_determinismE0ES3_S9_PlNS6_17constant_iteratorIiNS6_11use_defaultESE_EENS6_10device_ptrIlEESH_PmS8_NS6_8equal_toIlEEEE10hipError_tPvRmT2_T3_mT4_T5_T6_T7_T8_P12ihipStream_tbENKUlT_T0_E_clISt17integral_constantIbLb1EES12_EEDaSX_SY_EUlSX_E_NS1_11comp_targetILNS1_3genE2ELNS1_11target_archE906ELNS1_3gpuE6ELNS1_3repE0EEENS1_30default_config_static_selectorELNS0_4arch9wavefront6targetE1EEEvT1_,"axG",@progbits,_ZN7rocprim17ROCPRIM_400000_NS6detail17trampoline_kernelINS0_14default_configENS1_29reduce_by_key_config_selectorIllN6thrust23THRUST_200600_302600_NS4plusIlEEEEZZNS1_33reduce_by_key_impl_wrapped_configILNS1_25lookback_scan_determinismE0ES3_S9_PlNS6_17constant_iteratorIiNS6_11use_defaultESE_EENS6_10device_ptrIlEESH_PmS8_NS6_8equal_toIlEEEE10hipError_tPvRmT2_T3_mT4_T5_T6_T7_T8_P12ihipStream_tbENKUlT_T0_E_clISt17integral_constantIbLb1EES12_EEDaSX_SY_EUlSX_E_NS1_11comp_targetILNS1_3genE2ELNS1_11target_archE906ELNS1_3gpuE6ELNS1_3repE0EEENS1_30default_config_static_selectorELNS0_4arch9wavefront6targetE1EEEvT1_,comdat
.Lfunc_end1217:
	.size	_ZN7rocprim17ROCPRIM_400000_NS6detail17trampoline_kernelINS0_14default_configENS1_29reduce_by_key_config_selectorIllN6thrust23THRUST_200600_302600_NS4plusIlEEEEZZNS1_33reduce_by_key_impl_wrapped_configILNS1_25lookback_scan_determinismE0ES3_S9_PlNS6_17constant_iteratorIiNS6_11use_defaultESE_EENS6_10device_ptrIlEESH_PmS8_NS6_8equal_toIlEEEE10hipError_tPvRmT2_T3_mT4_T5_T6_T7_T8_P12ihipStream_tbENKUlT_T0_E_clISt17integral_constantIbLb1EES12_EEDaSX_SY_EUlSX_E_NS1_11comp_targetILNS1_3genE2ELNS1_11target_archE906ELNS1_3gpuE6ELNS1_3repE0EEENS1_30default_config_static_selectorELNS0_4arch9wavefront6targetE1EEEvT1_, .Lfunc_end1217-_ZN7rocprim17ROCPRIM_400000_NS6detail17trampoline_kernelINS0_14default_configENS1_29reduce_by_key_config_selectorIllN6thrust23THRUST_200600_302600_NS4plusIlEEEEZZNS1_33reduce_by_key_impl_wrapped_configILNS1_25lookback_scan_determinismE0ES3_S9_PlNS6_17constant_iteratorIiNS6_11use_defaultESE_EENS6_10device_ptrIlEESH_PmS8_NS6_8equal_toIlEEEE10hipError_tPvRmT2_T3_mT4_T5_T6_T7_T8_P12ihipStream_tbENKUlT_T0_E_clISt17integral_constantIbLb1EES12_EEDaSX_SY_EUlSX_E_NS1_11comp_targetILNS1_3genE2ELNS1_11target_archE906ELNS1_3gpuE6ELNS1_3repE0EEENS1_30default_config_static_selectorELNS0_4arch9wavefront6targetE1EEEvT1_
                                        ; -- End function
	.section	.AMDGPU.csdata,"",@progbits
; Kernel info:
; codeLenInByte = 0
; NumSgprs: 4
; NumVgprs: 0
; NumAgprs: 0
; TotalNumVgprs: 0
; ScratchSize: 0
; MemoryBound: 0
; FloatMode: 240
; IeeeMode: 1
; LDSByteSize: 0 bytes/workgroup (compile time only)
; SGPRBlocks: 0
; VGPRBlocks: 0
; NumSGPRsForWavesPerEU: 4
; NumVGPRsForWavesPerEU: 1
; AccumOffset: 4
; Occupancy: 8
; WaveLimiterHint : 0
; COMPUTE_PGM_RSRC2:SCRATCH_EN: 0
; COMPUTE_PGM_RSRC2:USER_SGPR: 6
; COMPUTE_PGM_RSRC2:TRAP_HANDLER: 0
; COMPUTE_PGM_RSRC2:TGID_X_EN: 1
; COMPUTE_PGM_RSRC2:TGID_Y_EN: 0
; COMPUTE_PGM_RSRC2:TGID_Z_EN: 0
; COMPUTE_PGM_RSRC2:TIDIG_COMP_CNT: 0
; COMPUTE_PGM_RSRC3_GFX90A:ACCUM_OFFSET: 0
; COMPUTE_PGM_RSRC3_GFX90A:TG_SPLIT: 0
	.section	.text._ZN7rocprim17ROCPRIM_400000_NS6detail17trampoline_kernelINS0_14default_configENS1_29reduce_by_key_config_selectorIllN6thrust23THRUST_200600_302600_NS4plusIlEEEEZZNS1_33reduce_by_key_impl_wrapped_configILNS1_25lookback_scan_determinismE0ES3_S9_PlNS6_17constant_iteratorIiNS6_11use_defaultESE_EENS6_10device_ptrIlEESH_PmS8_NS6_8equal_toIlEEEE10hipError_tPvRmT2_T3_mT4_T5_T6_T7_T8_P12ihipStream_tbENKUlT_T0_E_clISt17integral_constantIbLb1EES12_EEDaSX_SY_EUlSX_E_NS1_11comp_targetILNS1_3genE10ELNS1_11target_archE1201ELNS1_3gpuE5ELNS1_3repE0EEENS1_30default_config_static_selectorELNS0_4arch9wavefront6targetE1EEEvT1_,"axG",@progbits,_ZN7rocprim17ROCPRIM_400000_NS6detail17trampoline_kernelINS0_14default_configENS1_29reduce_by_key_config_selectorIllN6thrust23THRUST_200600_302600_NS4plusIlEEEEZZNS1_33reduce_by_key_impl_wrapped_configILNS1_25lookback_scan_determinismE0ES3_S9_PlNS6_17constant_iteratorIiNS6_11use_defaultESE_EENS6_10device_ptrIlEESH_PmS8_NS6_8equal_toIlEEEE10hipError_tPvRmT2_T3_mT4_T5_T6_T7_T8_P12ihipStream_tbENKUlT_T0_E_clISt17integral_constantIbLb1EES12_EEDaSX_SY_EUlSX_E_NS1_11comp_targetILNS1_3genE10ELNS1_11target_archE1201ELNS1_3gpuE5ELNS1_3repE0EEENS1_30default_config_static_selectorELNS0_4arch9wavefront6targetE1EEEvT1_,comdat
	.protected	_ZN7rocprim17ROCPRIM_400000_NS6detail17trampoline_kernelINS0_14default_configENS1_29reduce_by_key_config_selectorIllN6thrust23THRUST_200600_302600_NS4plusIlEEEEZZNS1_33reduce_by_key_impl_wrapped_configILNS1_25lookback_scan_determinismE0ES3_S9_PlNS6_17constant_iteratorIiNS6_11use_defaultESE_EENS6_10device_ptrIlEESH_PmS8_NS6_8equal_toIlEEEE10hipError_tPvRmT2_T3_mT4_T5_T6_T7_T8_P12ihipStream_tbENKUlT_T0_E_clISt17integral_constantIbLb1EES12_EEDaSX_SY_EUlSX_E_NS1_11comp_targetILNS1_3genE10ELNS1_11target_archE1201ELNS1_3gpuE5ELNS1_3repE0EEENS1_30default_config_static_selectorELNS0_4arch9wavefront6targetE1EEEvT1_ ; -- Begin function _ZN7rocprim17ROCPRIM_400000_NS6detail17trampoline_kernelINS0_14default_configENS1_29reduce_by_key_config_selectorIllN6thrust23THRUST_200600_302600_NS4plusIlEEEEZZNS1_33reduce_by_key_impl_wrapped_configILNS1_25lookback_scan_determinismE0ES3_S9_PlNS6_17constant_iteratorIiNS6_11use_defaultESE_EENS6_10device_ptrIlEESH_PmS8_NS6_8equal_toIlEEEE10hipError_tPvRmT2_T3_mT4_T5_T6_T7_T8_P12ihipStream_tbENKUlT_T0_E_clISt17integral_constantIbLb1EES12_EEDaSX_SY_EUlSX_E_NS1_11comp_targetILNS1_3genE10ELNS1_11target_archE1201ELNS1_3gpuE5ELNS1_3repE0EEENS1_30default_config_static_selectorELNS0_4arch9wavefront6targetE1EEEvT1_
	.globl	_ZN7rocprim17ROCPRIM_400000_NS6detail17trampoline_kernelINS0_14default_configENS1_29reduce_by_key_config_selectorIllN6thrust23THRUST_200600_302600_NS4plusIlEEEEZZNS1_33reduce_by_key_impl_wrapped_configILNS1_25lookback_scan_determinismE0ES3_S9_PlNS6_17constant_iteratorIiNS6_11use_defaultESE_EENS6_10device_ptrIlEESH_PmS8_NS6_8equal_toIlEEEE10hipError_tPvRmT2_T3_mT4_T5_T6_T7_T8_P12ihipStream_tbENKUlT_T0_E_clISt17integral_constantIbLb1EES12_EEDaSX_SY_EUlSX_E_NS1_11comp_targetILNS1_3genE10ELNS1_11target_archE1201ELNS1_3gpuE5ELNS1_3repE0EEENS1_30default_config_static_selectorELNS0_4arch9wavefront6targetE1EEEvT1_
	.p2align	8
	.type	_ZN7rocprim17ROCPRIM_400000_NS6detail17trampoline_kernelINS0_14default_configENS1_29reduce_by_key_config_selectorIllN6thrust23THRUST_200600_302600_NS4plusIlEEEEZZNS1_33reduce_by_key_impl_wrapped_configILNS1_25lookback_scan_determinismE0ES3_S9_PlNS6_17constant_iteratorIiNS6_11use_defaultESE_EENS6_10device_ptrIlEESH_PmS8_NS6_8equal_toIlEEEE10hipError_tPvRmT2_T3_mT4_T5_T6_T7_T8_P12ihipStream_tbENKUlT_T0_E_clISt17integral_constantIbLb1EES12_EEDaSX_SY_EUlSX_E_NS1_11comp_targetILNS1_3genE10ELNS1_11target_archE1201ELNS1_3gpuE5ELNS1_3repE0EEENS1_30default_config_static_selectorELNS0_4arch9wavefront6targetE1EEEvT1_,@function
_ZN7rocprim17ROCPRIM_400000_NS6detail17trampoline_kernelINS0_14default_configENS1_29reduce_by_key_config_selectorIllN6thrust23THRUST_200600_302600_NS4plusIlEEEEZZNS1_33reduce_by_key_impl_wrapped_configILNS1_25lookback_scan_determinismE0ES3_S9_PlNS6_17constant_iteratorIiNS6_11use_defaultESE_EENS6_10device_ptrIlEESH_PmS8_NS6_8equal_toIlEEEE10hipError_tPvRmT2_T3_mT4_T5_T6_T7_T8_P12ihipStream_tbENKUlT_T0_E_clISt17integral_constantIbLb1EES12_EEDaSX_SY_EUlSX_E_NS1_11comp_targetILNS1_3genE10ELNS1_11target_archE1201ELNS1_3gpuE5ELNS1_3repE0EEENS1_30default_config_static_selectorELNS0_4arch9wavefront6targetE1EEEvT1_: ; @_ZN7rocprim17ROCPRIM_400000_NS6detail17trampoline_kernelINS0_14default_configENS1_29reduce_by_key_config_selectorIllN6thrust23THRUST_200600_302600_NS4plusIlEEEEZZNS1_33reduce_by_key_impl_wrapped_configILNS1_25lookback_scan_determinismE0ES3_S9_PlNS6_17constant_iteratorIiNS6_11use_defaultESE_EENS6_10device_ptrIlEESH_PmS8_NS6_8equal_toIlEEEE10hipError_tPvRmT2_T3_mT4_T5_T6_T7_T8_P12ihipStream_tbENKUlT_T0_E_clISt17integral_constantIbLb1EES12_EEDaSX_SY_EUlSX_E_NS1_11comp_targetILNS1_3genE10ELNS1_11target_archE1201ELNS1_3gpuE5ELNS1_3repE0EEENS1_30default_config_static_selectorELNS0_4arch9wavefront6targetE1EEEvT1_
; %bb.0:
	.section	.rodata,"a",@progbits
	.p2align	6, 0x0
	.amdhsa_kernel _ZN7rocprim17ROCPRIM_400000_NS6detail17trampoline_kernelINS0_14default_configENS1_29reduce_by_key_config_selectorIllN6thrust23THRUST_200600_302600_NS4plusIlEEEEZZNS1_33reduce_by_key_impl_wrapped_configILNS1_25lookback_scan_determinismE0ES3_S9_PlNS6_17constant_iteratorIiNS6_11use_defaultESE_EENS6_10device_ptrIlEESH_PmS8_NS6_8equal_toIlEEEE10hipError_tPvRmT2_T3_mT4_T5_T6_T7_T8_P12ihipStream_tbENKUlT_T0_E_clISt17integral_constantIbLb1EES12_EEDaSX_SY_EUlSX_E_NS1_11comp_targetILNS1_3genE10ELNS1_11target_archE1201ELNS1_3gpuE5ELNS1_3repE0EEENS1_30default_config_static_selectorELNS0_4arch9wavefront6targetE1EEEvT1_
		.amdhsa_group_segment_fixed_size 0
		.amdhsa_private_segment_fixed_size 0
		.amdhsa_kernarg_size 144
		.amdhsa_user_sgpr_count 6
		.amdhsa_user_sgpr_private_segment_buffer 1
		.amdhsa_user_sgpr_dispatch_ptr 0
		.amdhsa_user_sgpr_queue_ptr 0
		.amdhsa_user_sgpr_kernarg_segment_ptr 1
		.amdhsa_user_sgpr_dispatch_id 0
		.amdhsa_user_sgpr_flat_scratch_init 0
		.amdhsa_user_sgpr_kernarg_preload_length 0
		.amdhsa_user_sgpr_kernarg_preload_offset 0
		.amdhsa_user_sgpr_private_segment_size 0
		.amdhsa_uses_dynamic_stack 0
		.amdhsa_system_sgpr_private_segment_wavefront_offset 0
		.amdhsa_system_sgpr_workgroup_id_x 1
		.amdhsa_system_sgpr_workgroup_id_y 0
		.amdhsa_system_sgpr_workgroup_id_z 0
		.amdhsa_system_sgpr_workgroup_info 0
		.amdhsa_system_vgpr_workitem_id 0
		.amdhsa_next_free_vgpr 1
		.amdhsa_next_free_sgpr 0
		.amdhsa_accum_offset 4
		.amdhsa_reserve_vcc 0
		.amdhsa_reserve_flat_scratch 0
		.amdhsa_float_round_mode_32 0
		.amdhsa_float_round_mode_16_64 0
		.amdhsa_float_denorm_mode_32 3
		.amdhsa_float_denorm_mode_16_64 3
		.amdhsa_dx10_clamp 1
		.amdhsa_ieee_mode 1
		.amdhsa_fp16_overflow 0
		.amdhsa_tg_split 0
		.amdhsa_exception_fp_ieee_invalid_op 0
		.amdhsa_exception_fp_denorm_src 0
		.amdhsa_exception_fp_ieee_div_zero 0
		.amdhsa_exception_fp_ieee_overflow 0
		.amdhsa_exception_fp_ieee_underflow 0
		.amdhsa_exception_fp_ieee_inexact 0
		.amdhsa_exception_int_div_zero 0
	.end_amdhsa_kernel
	.section	.text._ZN7rocprim17ROCPRIM_400000_NS6detail17trampoline_kernelINS0_14default_configENS1_29reduce_by_key_config_selectorIllN6thrust23THRUST_200600_302600_NS4plusIlEEEEZZNS1_33reduce_by_key_impl_wrapped_configILNS1_25lookback_scan_determinismE0ES3_S9_PlNS6_17constant_iteratorIiNS6_11use_defaultESE_EENS6_10device_ptrIlEESH_PmS8_NS6_8equal_toIlEEEE10hipError_tPvRmT2_T3_mT4_T5_T6_T7_T8_P12ihipStream_tbENKUlT_T0_E_clISt17integral_constantIbLb1EES12_EEDaSX_SY_EUlSX_E_NS1_11comp_targetILNS1_3genE10ELNS1_11target_archE1201ELNS1_3gpuE5ELNS1_3repE0EEENS1_30default_config_static_selectorELNS0_4arch9wavefront6targetE1EEEvT1_,"axG",@progbits,_ZN7rocprim17ROCPRIM_400000_NS6detail17trampoline_kernelINS0_14default_configENS1_29reduce_by_key_config_selectorIllN6thrust23THRUST_200600_302600_NS4plusIlEEEEZZNS1_33reduce_by_key_impl_wrapped_configILNS1_25lookback_scan_determinismE0ES3_S9_PlNS6_17constant_iteratorIiNS6_11use_defaultESE_EENS6_10device_ptrIlEESH_PmS8_NS6_8equal_toIlEEEE10hipError_tPvRmT2_T3_mT4_T5_T6_T7_T8_P12ihipStream_tbENKUlT_T0_E_clISt17integral_constantIbLb1EES12_EEDaSX_SY_EUlSX_E_NS1_11comp_targetILNS1_3genE10ELNS1_11target_archE1201ELNS1_3gpuE5ELNS1_3repE0EEENS1_30default_config_static_selectorELNS0_4arch9wavefront6targetE1EEEvT1_,comdat
.Lfunc_end1218:
	.size	_ZN7rocprim17ROCPRIM_400000_NS6detail17trampoline_kernelINS0_14default_configENS1_29reduce_by_key_config_selectorIllN6thrust23THRUST_200600_302600_NS4plusIlEEEEZZNS1_33reduce_by_key_impl_wrapped_configILNS1_25lookback_scan_determinismE0ES3_S9_PlNS6_17constant_iteratorIiNS6_11use_defaultESE_EENS6_10device_ptrIlEESH_PmS8_NS6_8equal_toIlEEEE10hipError_tPvRmT2_T3_mT4_T5_T6_T7_T8_P12ihipStream_tbENKUlT_T0_E_clISt17integral_constantIbLb1EES12_EEDaSX_SY_EUlSX_E_NS1_11comp_targetILNS1_3genE10ELNS1_11target_archE1201ELNS1_3gpuE5ELNS1_3repE0EEENS1_30default_config_static_selectorELNS0_4arch9wavefront6targetE1EEEvT1_, .Lfunc_end1218-_ZN7rocprim17ROCPRIM_400000_NS6detail17trampoline_kernelINS0_14default_configENS1_29reduce_by_key_config_selectorIllN6thrust23THRUST_200600_302600_NS4plusIlEEEEZZNS1_33reduce_by_key_impl_wrapped_configILNS1_25lookback_scan_determinismE0ES3_S9_PlNS6_17constant_iteratorIiNS6_11use_defaultESE_EENS6_10device_ptrIlEESH_PmS8_NS6_8equal_toIlEEEE10hipError_tPvRmT2_T3_mT4_T5_T6_T7_T8_P12ihipStream_tbENKUlT_T0_E_clISt17integral_constantIbLb1EES12_EEDaSX_SY_EUlSX_E_NS1_11comp_targetILNS1_3genE10ELNS1_11target_archE1201ELNS1_3gpuE5ELNS1_3repE0EEENS1_30default_config_static_selectorELNS0_4arch9wavefront6targetE1EEEvT1_
                                        ; -- End function
	.section	.AMDGPU.csdata,"",@progbits
; Kernel info:
; codeLenInByte = 0
; NumSgprs: 4
; NumVgprs: 0
; NumAgprs: 0
; TotalNumVgprs: 0
; ScratchSize: 0
; MemoryBound: 0
; FloatMode: 240
; IeeeMode: 1
; LDSByteSize: 0 bytes/workgroup (compile time only)
; SGPRBlocks: 0
; VGPRBlocks: 0
; NumSGPRsForWavesPerEU: 4
; NumVGPRsForWavesPerEU: 1
; AccumOffset: 4
; Occupancy: 8
; WaveLimiterHint : 0
; COMPUTE_PGM_RSRC2:SCRATCH_EN: 0
; COMPUTE_PGM_RSRC2:USER_SGPR: 6
; COMPUTE_PGM_RSRC2:TRAP_HANDLER: 0
; COMPUTE_PGM_RSRC2:TGID_X_EN: 1
; COMPUTE_PGM_RSRC2:TGID_Y_EN: 0
; COMPUTE_PGM_RSRC2:TGID_Z_EN: 0
; COMPUTE_PGM_RSRC2:TIDIG_COMP_CNT: 0
; COMPUTE_PGM_RSRC3_GFX90A:ACCUM_OFFSET: 0
; COMPUTE_PGM_RSRC3_GFX90A:TG_SPLIT: 0
	.section	.text._ZN7rocprim17ROCPRIM_400000_NS6detail17trampoline_kernelINS0_14default_configENS1_29reduce_by_key_config_selectorIllN6thrust23THRUST_200600_302600_NS4plusIlEEEEZZNS1_33reduce_by_key_impl_wrapped_configILNS1_25lookback_scan_determinismE0ES3_S9_PlNS6_17constant_iteratorIiNS6_11use_defaultESE_EENS6_10device_ptrIlEESH_PmS8_NS6_8equal_toIlEEEE10hipError_tPvRmT2_T3_mT4_T5_T6_T7_T8_P12ihipStream_tbENKUlT_T0_E_clISt17integral_constantIbLb1EES12_EEDaSX_SY_EUlSX_E_NS1_11comp_targetILNS1_3genE10ELNS1_11target_archE1200ELNS1_3gpuE4ELNS1_3repE0EEENS1_30default_config_static_selectorELNS0_4arch9wavefront6targetE1EEEvT1_,"axG",@progbits,_ZN7rocprim17ROCPRIM_400000_NS6detail17trampoline_kernelINS0_14default_configENS1_29reduce_by_key_config_selectorIllN6thrust23THRUST_200600_302600_NS4plusIlEEEEZZNS1_33reduce_by_key_impl_wrapped_configILNS1_25lookback_scan_determinismE0ES3_S9_PlNS6_17constant_iteratorIiNS6_11use_defaultESE_EENS6_10device_ptrIlEESH_PmS8_NS6_8equal_toIlEEEE10hipError_tPvRmT2_T3_mT4_T5_T6_T7_T8_P12ihipStream_tbENKUlT_T0_E_clISt17integral_constantIbLb1EES12_EEDaSX_SY_EUlSX_E_NS1_11comp_targetILNS1_3genE10ELNS1_11target_archE1200ELNS1_3gpuE4ELNS1_3repE0EEENS1_30default_config_static_selectorELNS0_4arch9wavefront6targetE1EEEvT1_,comdat
	.protected	_ZN7rocprim17ROCPRIM_400000_NS6detail17trampoline_kernelINS0_14default_configENS1_29reduce_by_key_config_selectorIllN6thrust23THRUST_200600_302600_NS4plusIlEEEEZZNS1_33reduce_by_key_impl_wrapped_configILNS1_25lookback_scan_determinismE0ES3_S9_PlNS6_17constant_iteratorIiNS6_11use_defaultESE_EENS6_10device_ptrIlEESH_PmS8_NS6_8equal_toIlEEEE10hipError_tPvRmT2_T3_mT4_T5_T6_T7_T8_P12ihipStream_tbENKUlT_T0_E_clISt17integral_constantIbLb1EES12_EEDaSX_SY_EUlSX_E_NS1_11comp_targetILNS1_3genE10ELNS1_11target_archE1200ELNS1_3gpuE4ELNS1_3repE0EEENS1_30default_config_static_selectorELNS0_4arch9wavefront6targetE1EEEvT1_ ; -- Begin function _ZN7rocprim17ROCPRIM_400000_NS6detail17trampoline_kernelINS0_14default_configENS1_29reduce_by_key_config_selectorIllN6thrust23THRUST_200600_302600_NS4plusIlEEEEZZNS1_33reduce_by_key_impl_wrapped_configILNS1_25lookback_scan_determinismE0ES3_S9_PlNS6_17constant_iteratorIiNS6_11use_defaultESE_EENS6_10device_ptrIlEESH_PmS8_NS6_8equal_toIlEEEE10hipError_tPvRmT2_T3_mT4_T5_T6_T7_T8_P12ihipStream_tbENKUlT_T0_E_clISt17integral_constantIbLb1EES12_EEDaSX_SY_EUlSX_E_NS1_11comp_targetILNS1_3genE10ELNS1_11target_archE1200ELNS1_3gpuE4ELNS1_3repE0EEENS1_30default_config_static_selectorELNS0_4arch9wavefront6targetE1EEEvT1_
	.globl	_ZN7rocprim17ROCPRIM_400000_NS6detail17trampoline_kernelINS0_14default_configENS1_29reduce_by_key_config_selectorIllN6thrust23THRUST_200600_302600_NS4plusIlEEEEZZNS1_33reduce_by_key_impl_wrapped_configILNS1_25lookback_scan_determinismE0ES3_S9_PlNS6_17constant_iteratorIiNS6_11use_defaultESE_EENS6_10device_ptrIlEESH_PmS8_NS6_8equal_toIlEEEE10hipError_tPvRmT2_T3_mT4_T5_T6_T7_T8_P12ihipStream_tbENKUlT_T0_E_clISt17integral_constantIbLb1EES12_EEDaSX_SY_EUlSX_E_NS1_11comp_targetILNS1_3genE10ELNS1_11target_archE1200ELNS1_3gpuE4ELNS1_3repE0EEENS1_30default_config_static_selectorELNS0_4arch9wavefront6targetE1EEEvT1_
	.p2align	8
	.type	_ZN7rocprim17ROCPRIM_400000_NS6detail17trampoline_kernelINS0_14default_configENS1_29reduce_by_key_config_selectorIllN6thrust23THRUST_200600_302600_NS4plusIlEEEEZZNS1_33reduce_by_key_impl_wrapped_configILNS1_25lookback_scan_determinismE0ES3_S9_PlNS6_17constant_iteratorIiNS6_11use_defaultESE_EENS6_10device_ptrIlEESH_PmS8_NS6_8equal_toIlEEEE10hipError_tPvRmT2_T3_mT4_T5_T6_T7_T8_P12ihipStream_tbENKUlT_T0_E_clISt17integral_constantIbLb1EES12_EEDaSX_SY_EUlSX_E_NS1_11comp_targetILNS1_3genE10ELNS1_11target_archE1200ELNS1_3gpuE4ELNS1_3repE0EEENS1_30default_config_static_selectorELNS0_4arch9wavefront6targetE1EEEvT1_,@function
_ZN7rocprim17ROCPRIM_400000_NS6detail17trampoline_kernelINS0_14default_configENS1_29reduce_by_key_config_selectorIllN6thrust23THRUST_200600_302600_NS4plusIlEEEEZZNS1_33reduce_by_key_impl_wrapped_configILNS1_25lookback_scan_determinismE0ES3_S9_PlNS6_17constant_iteratorIiNS6_11use_defaultESE_EENS6_10device_ptrIlEESH_PmS8_NS6_8equal_toIlEEEE10hipError_tPvRmT2_T3_mT4_T5_T6_T7_T8_P12ihipStream_tbENKUlT_T0_E_clISt17integral_constantIbLb1EES12_EEDaSX_SY_EUlSX_E_NS1_11comp_targetILNS1_3genE10ELNS1_11target_archE1200ELNS1_3gpuE4ELNS1_3repE0EEENS1_30default_config_static_selectorELNS0_4arch9wavefront6targetE1EEEvT1_: ; @_ZN7rocprim17ROCPRIM_400000_NS6detail17trampoline_kernelINS0_14default_configENS1_29reduce_by_key_config_selectorIllN6thrust23THRUST_200600_302600_NS4plusIlEEEEZZNS1_33reduce_by_key_impl_wrapped_configILNS1_25lookback_scan_determinismE0ES3_S9_PlNS6_17constant_iteratorIiNS6_11use_defaultESE_EENS6_10device_ptrIlEESH_PmS8_NS6_8equal_toIlEEEE10hipError_tPvRmT2_T3_mT4_T5_T6_T7_T8_P12ihipStream_tbENKUlT_T0_E_clISt17integral_constantIbLb1EES12_EEDaSX_SY_EUlSX_E_NS1_11comp_targetILNS1_3genE10ELNS1_11target_archE1200ELNS1_3gpuE4ELNS1_3repE0EEENS1_30default_config_static_selectorELNS0_4arch9wavefront6targetE1EEEvT1_
; %bb.0:
	.section	.rodata,"a",@progbits
	.p2align	6, 0x0
	.amdhsa_kernel _ZN7rocprim17ROCPRIM_400000_NS6detail17trampoline_kernelINS0_14default_configENS1_29reduce_by_key_config_selectorIllN6thrust23THRUST_200600_302600_NS4plusIlEEEEZZNS1_33reduce_by_key_impl_wrapped_configILNS1_25lookback_scan_determinismE0ES3_S9_PlNS6_17constant_iteratorIiNS6_11use_defaultESE_EENS6_10device_ptrIlEESH_PmS8_NS6_8equal_toIlEEEE10hipError_tPvRmT2_T3_mT4_T5_T6_T7_T8_P12ihipStream_tbENKUlT_T0_E_clISt17integral_constantIbLb1EES12_EEDaSX_SY_EUlSX_E_NS1_11comp_targetILNS1_3genE10ELNS1_11target_archE1200ELNS1_3gpuE4ELNS1_3repE0EEENS1_30default_config_static_selectorELNS0_4arch9wavefront6targetE1EEEvT1_
		.amdhsa_group_segment_fixed_size 0
		.amdhsa_private_segment_fixed_size 0
		.amdhsa_kernarg_size 144
		.amdhsa_user_sgpr_count 6
		.amdhsa_user_sgpr_private_segment_buffer 1
		.amdhsa_user_sgpr_dispatch_ptr 0
		.amdhsa_user_sgpr_queue_ptr 0
		.amdhsa_user_sgpr_kernarg_segment_ptr 1
		.amdhsa_user_sgpr_dispatch_id 0
		.amdhsa_user_sgpr_flat_scratch_init 0
		.amdhsa_user_sgpr_kernarg_preload_length 0
		.amdhsa_user_sgpr_kernarg_preload_offset 0
		.amdhsa_user_sgpr_private_segment_size 0
		.amdhsa_uses_dynamic_stack 0
		.amdhsa_system_sgpr_private_segment_wavefront_offset 0
		.amdhsa_system_sgpr_workgroup_id_x 1
		.amdhsa_system_sgpr_workgroup_id_y 0
		.amdhsa_system_sgpr_workgroup_id_z 0
		.amdhsa_system_sgpr_workgroup_info 0
		.amdhsa_system_vgpr_workitem_id 0
		.amdhsa_next_free_vgpr 1
		.amdhsa_next_free_sgpr 0
		.amdhsa_accum_offset 4
		.amdhsa_reserve_vcc 0
		.amdhsa_reserve_flat_scratch 0
		.amdhsa_float_round_mode_32 0
		.amdhsa_float_round_mode_16_64 0
		.amdhsa_float_denorm_mode_32 3
		.amdhsa_float_denorm_mode_16_64 3
		.amdhsa_dx10_clamp 1
		.amdhsa_ieee_mode 1
		.amdhsa_fp16_overflow 0
		.amdhsa_tg_split 0
		.amdhsa_exception_fp_ieee_invalid_op 0
		.amdhsa_exception_fp_denorm_src 0
		.amdhsa_exception_fp_ieee_div_zero 0
		.amdhsa_exception_fp_ieee_overflow 0
		.amdhsa_exception_fp_ieee_underflow 0
		.amdhsa_exception_fp_ieee_inexact 0
		.amdhsa_exception_int_div_zero 0
	.end_amdhsa_kernel
	.section	.text._ZN7rocprim17ROCPRIM_400000_NS6detail17trampoline_kernelINS0_14default_configENS1_29reduce_by_key_config_selectorIllN6thrust23THRUST_200600_302600_NS4plusIlEEEEZZNS1_33reduce_by_key_impl_wrapped_configILNS1_25lookback_scan_determinismE0ES3_S9_PlNS6_17constant_iteratorIiNS6_11use_defaultESE_EENS6_10device_ptrIlEESH_PmS8_NS6_8equal_toIlEEEE10hipError_tPvRmT2_T3_mT4_T5_T6_T7_T8_P12ihipStream_tbENKUlT_T0_E_clISt17integral_constantIbLb1EES12_EEDaSX_SY_EUlSX_E_NS1_11comp_targetILNS1_3genE10ELNS1_11target_archE1200ELNS1_3gpuE4ELNS1_3repE0EEENS1_30default_config_static_selectorELNS0_4arch9wavefront6targetE1EEEvT1_,"axG",@progbits,_ZN7rocprim17ROCPRIM_400000_NS6detail17trampoline_kernelINS0_14default_configENS1_29reduce_by_key_config_selectorIllN6thrust23THRUST_200600_302600_NS4plusIlEEEEZZNS1_33reduce_by_key_impl_wrapped_configILNS1_25lookback_scan_determinismE0ES3_S9_PlNS6_17constant_iteratorIiNS6_11use_defaultESE_EENS6_10device_ptrIlEESH_PmS8_NS6_8equal_toIlEEEE10hipError_tPvRmT2_T3_mT4_T5_T6_T7_T8_P12ihipStream_tbENKUlT_T0_E_clISt17integral_constantIbLb1EES12_EEDaSX_SY_EUlSX_E_NS1_11comp_targetILNS1_3genE10ELNS1_11target_archE1200ELNS1_3gpuE4ELNS1_3repE0EEENS1_30default_config_static_selectorELNS0_4arch9wavefront6targetE1EEEvT1_,comdat
.Lfunc_end1219:
	.size	_ZN7rocprim17ROCPRIM_400000_NS6detail17trampoline_kernelINS0_14default_configENS1_29reduce_by_key_config_selectorIllN6thrust23THRUST_200600_302600_NS4plusIlEEEEZZNS1_33reduce_by_key_impl_wrapped_configILNS1_25lookback_scan_determinismE0ES3_S9_PlNS6_17constant_iteratorIiNS6_11use_defaultESE_EENS6_10device_ptrIlEESH_PmS8_NS6_8equal_toIlEEEE10hipError_tPvRmT2_T3_mT4_T5_T6_T7_T8_P12ihipStream_tbENKUlT_T0_E_clISt17integral_constantIbLb1EES12_EEDaSX_SY_EUlSX_E_NS1_11comp_targetILNS1_3genE10ELNS1_11target_archE1200ELNS1_3gpuE4ELNS1_3repE0EEENS1_30default_config_static_selectorELNS0_4arch9wavefront6targetE1EEEvT1_, .Lfunc_end1219-_ZN7rocprim17ROCPRIM_400000_NS6detail17trampoline_kernelINS0_14default_configENS1_29reduce_by_key_config_selectorIllN6thrust23THRUST_200600_302600_NS4plusIlEEEEZZNS1_33reduce_by_key_impl_wrapped_configILNS1_25lookback_scan_determinismE0ES3_S9_PlNS6_17constant_iteratorIiNS6_11use_defaultESE_EENS6_10device_ptrIlEESH_PmS8_NS6_8equal_toIlEEEE10hipError_tPvRmT2_T3_mT4_T5_T6_T7_T8_P12ihipStream_tbENKUlT_T0_E_clISt17integral_constantIbLb1EES12_EEDaSX_SY_EUlSX_E_NS1_11comp_targetILNS1_3genE10ELNS1_11target_archE1200ELNS1_3gpuE4ELNS1_3repE0EEENS1_30default_config_static_selectorELNS0_4arch9wavefront6targetE1EEEvT1_
                                        ; -- End function
	.section	.AMDGPU.csdata,"",@progbits
; Kernel info:
; codeLenInByte = 0
; NumSgprs: 4
; NumVgprs: 0
; NumAgprs: 0
; TotalNumVgprs: 0
; ScratchSize: 0
; MemoryBound: 0
; FloatMode: 240
; IeeeMode: 1
; LDSByteSize: 0 bytes/workgroup (compile time only)
; SGPRBlocks: 0
; VGPRBlocks: 0
; NumSGPRsForWavesPerEU: 4
; NumVGPRsForWavesPerEU: 1
; AccumOffset: 4
; Occupancy: 8
; WaveLimiterHint : 0
; COMPUTE_PGM_RSRC2:SCRATCH_EN: 0
; COMPUTE_PGM_RSRC2:USER_SGPR: 6
; COMPUTE_PGM_RSRC2:TRAP_HANDLER: 0
; COMPUTE_PGM_RSRC2:TGID_X_EN: 1
; COMPUTE_PGM_RSRC2:TGID_Y_EN: 0
; COMPUTE_PGM_RSRC2:TGID_Z_EN: 0
; COMPUTE_PGM_RSRC2:TIDIG_COMP_CNT: 0
; COMPUTE_PGM_RSRC3_GFX90A:ACCUM_OFFSET: 0
; COMPUTE_PGM_RSRC3_GFX90A:TG_SPLIT: 0
	.section	.text._ZN7rocprim17ROCPRIM_400000_NS6detail17trampoline_kernelINS0_14default_configENS1_29reduce_by_key_config_selectorIllN6thrust23THRUST_200600_302600_NS4plusIlEEEEZZNS1_33reduce_by_key_impl_wrapped_configILNS1_25lookback_scan_determinismE0ES3_S9_PlNS6_17constant_iteratorIiNS6_11use_defaultESE_EENS6_10device_ptrIlEESH_PmS8_NS6_8equal_toIlEEEE10hipError_tPvRmT2_T3_mT4_T5_T6_T7_T8_P12ihipStream_tbENKUlT_T0_E_clISt17integral_constantIbLb1EES12_EEDaSX_SY_EUlSX_E_NS1_11comp_targetILNS1_3genE9ELNS1_11target_archE1100ELNS1_3gpuE3ELNS1_3repE0EEENS1_30default_config_static_selectorELNS0_4arch9wavefront6targetE1EEEvT1_,"axG",@progbits,_ZN7rocprim17ROCPRIM_400000_NS6detail17trampoline_kernelINS0_14default_configENS1_29reduce_by_key_config_selectorIllN6thrust23THRUST_200600_302600_NS4plusIlEEEEZZNS1_33reduce_by_key_impl_wrapped_configILNS1_25lookback_scan_determinismE0ES3_S9_PlNS6_17constant_iteratorIiNS6_11use_defaultESE_EENS6_10device_ptrIlEESH_PmS8_NS6_8equal_toIlEEEE10hipError_tPvRmT2_T3_mT4_T5_T6_T7_T8_P12ihipStream_tbENKUlT_T0_E_clISt17integral_constantIbLb1EES12_EEDaSX_SY_EUlSX_E_NS1_11comp_targetILNS1_3genE9ELNS1_11target_archE1100ELNS1_3gpuE3ELNS1_3repE0EEENS1_30default_config_static_selectorELNS0_4arch9wavefront6targetE1EEEvT1_,comdat
	.protected	_ZN7rocprim17ROCPRIM_400000_NS6detail17trampoline_kernelINS0_14default_configENS1_29reduce_by_key_config_selectorIllN6thrust23THRUST_200600_302600_NS4plusIlEEEEZZNS1_33reduce_by_key_impl_wrapped_configILNS1_25lookback_scan_determinismE0ES3_S9_PlNS6_17constant_iteratorIiNS6_11use_defaultESE_EENS6_10device_ptrIlEESH_PmS8_NS6_8equal_toIlEEEE10hipError_tPvRmT2_T3_mT4_T5_T6_T7_T8_P12ihipStream_tbENKUlT_T0_E_clISt17integral_constantIbLb1EES12_EEDaSX_SY_EUlSX_E_NS1_11comp_targetILNS1_3genE9ELNS1_11target_archE1100ELNS1_3gpuE3ELNS1_3repE0EEENS1_30default_config_static_selectorELNS0_4arch9wavefront6targetE1EEEvT1_ ; -- Begin function _ZN7rocprim17ROCPRIM_400000_NS6detail17trampoline_kernelINS0_14default_configENS1_29reduce_by_key_config_selectorIllN6thrust23THRUST_200600_302600_NS4plusIlEEEEZZNS1_33reduce_by_key_impl_wrapped_configILNS1_25lookback_scan_determinismE0ES3_S9_PlNS6_17constant_iteratorIiNS6_11use_defaultESE_EENS6_10device_ptrIlEESH_PmS8_NS6_8equal_toIlEEEE10hipError_tPvRmT2_T3_mT4_T5_T6_T7_T8_P12ihipStream_tbENKUlT_T0_E_clISt17integral_constantIbLb1EES12_EEDaSX_SY_EUlSX_E_NS1_11comp_targetILNS1_3genE9ELNS1_11target_archE1100ELNS1_3gpuE3ELNS1_3repE0EEENS1_30default_config_static_selectorELNS0_4arch9wavefront6targetE1EEEvT1_
	.globl	_ZN7rocprim17ROCPRIM_400000_NS6detail17trampoline_kernelINS0_14default_configENS1_29reduce_by_key_config_selectorIllN6thrust23THRUST_200600_302600_NS4plusIlEEEEZZNS1_33reduce_by_key_impl_wrapped_configILNS1_25lookback_scan_determinismE0ES3_S9_PlNS6_17constant_iteratorIiNS6_11use_defaultESE_EENS6_10device_ptrIlEESH_PmS8_NS6_8equal_toIlEEEE10hipError_tPvRmT2_T3_mT4_T5_T6_T7_T8_P12ihipStream_tbENKUlT_T0_E_clISt17integral_constantIbLb1EES12_EEDaSX_SY_EUlSX_E_NS1_11comp_targetILNS1_3genE9ELNS1_11target_archE1100ELNS1_3gpuE3ELNS1_3repE0EEENS1_30default_config_static_selectorELNS0_4arch9wavefront6targetE1EEEvT1_
	.p2align	8
	.type	_ZN7rocprim17ROCPRIM_400000_NS6detail17trampoline_kernelINS0_14default_configENS1_29reduce_by_key_config_selectorIllN6thrust23THRUST_200600_302600_NS4plusIlEEEEZZNS1_33reduce_by_key_impl_wrapped_configILNS1_25lookback_scan_determinismE0ES3_S9_PlNS6_17constant_iteratorIiNS6_11use_defaultESE_EENS6_10device_ptrIlEESH_PmS8_NS6_8equal_toIlEEEE10hipError_tPvRmT2_T3_mT4_T5_T6_T7_T8_P12ihipStream_tbENKUlT_T0_E_clISt17integral_constantIbLb1EES12_EEDaSX_SY_EUlSX_E_NS1_11comp_targetILNS1_3genE9ELNS1_11target_archE1100ELNS1_3gpuE3ELNS1_3repE0EEENS1_30default_config_static_selectorELNS0_4arch9wavefront6targetE1EEEvT1_,@function
_ZN7rocprim17ROCPRIM_400000_NS6detail17trampoline_kernelINS0_14default_configENS1_29reduce_by_key_config_selectorIllN6thrust23THRUST_200600_302600_NS4plusIlEEEEZZNS1_33reduce_by_key_impl_wrapped_configILNS1_25lookback_scan_determinismE0ES3_S9_PlNS6_17constant_iteratorIiNS6_11use_defaultESE_EENS6_10device_ptrIlEESH_PmS8_NS6_8equal_toIlEEEE10hipError_tPvRmT2_T3_mT4_T5_T6_T7_T8_P12ihipStream_tbENKUlT_T0_E_clISt17integral_constantIbLb1EES12_EEDaSX_SY_EUlSX_E_NS1_11comp_targetILNS1_3genE9ELNS1_11target_archE1100ELNS1_3gpuE3ELNS1_3repE0EEENS1_30default_config_static_selectorELNS0_4arch9wavefront6targetE1EEEvT1_: ; @_ZN7rocprim17ROCPRIM_400000_NS6detail17trampoline_kernelINS0_14default_configENS1_29reduce_by_key_config_selectorIllN6thrust23THRUST_200600_302600_NS4plusIlEEEEZZNS1_33reduce_by_key_impl_wrapped_configILNS1_25lookback_scan_determinismE0ES3_S9_PlNS6_17constant_iteratorIiNS6_11use_defaultESE_EENS6_10device_ptrIlEESH_PmS8_NS6_8equal_toIlEEEE10hipError_tPvRmT2_T3_mT4_T5_T6_T7_T8_P12ihipStream_tbENKUlT_T0_E_clISt17integral_constantIbLb1EES12_EEDaSX_SY_EUlSX_E_NS1_11comp_targetILNS1_3genE9ELNS1_11target_archE1100ELNS1_3gpuE3ELNS1_3repE0EEENS1_30default_config_static_selectorELNS0_4arch9wavefront6targetE1EEEvT1_
; %bb.0:
	.section	.rodata,"a",@progbits
	.p2align	6, 0x0
	.amdhsa_kernel _ZN7rocprim17ROCPRIM_400000_NS6detail17trampoline_kernelINS0_14default_configENS1_29reduce_by_key_config_selectorIllN6thrust23THRUST_200600_302600_NS4plusIlEEEEZZNS1_33reduce_by_key_impl_wrapped_configILNS1_25lookback_scan_determinismE0ES3_S9_PlNS6_17constant_iteratorIiNS6_11use_defaultESE_EENS6_10device_ptrIlEESH_PmS8_NS6_8equal_toIlEEEE10hipError_tPvRmT2_T3_mT4_T5_T6_T7_T8_P12ihipStream_tbENKUlT_T0_E_clISt17integral_constantIbLb1EES12_EEDaSX_SY_EUlSX_E_NS1_11comp_targetILNS1_3genE9ELNS1_11target_archE1100ELNS1_3gpuE3ELNS1_3repE0EEENS1_30default_config_static_selectorELNS0_4arch9wavefront6targetE1EEEvT1_
		.amdhsa_group_segment_fixed_size 0
		.amdhsa_private_segment_fixed_size 0
		.amdhsa_kernarg_size 144
		.amdhsa_user_sgpr_count 6
		.amdhsa_user_sgpr_private_segment_buffer 1
		.amdhsa_user_sgpr_dispatch_ptr 0
		.amdhsa_user_sgpr_queue_ptr 0
		.amdhsa_user_sgpr_kernarg_segment_ptr 1
		.amdhsa_user_sgpr_dispatch_id 0
		.amdhsa_user_sgpr_flat_scratch_init 0
		.amdhsa_user_sgpr_kernarg_preload_length 0
		.amdhsa_user_sgpr_kernarg_preload_offset 0
		.amdhsa_user_sgpr_private_segment_size 0
		.amdhsa_uses_dynamic_stack 0
		.amdhsa_system_sgpr_private_segment_wavefront_offset 0
		.amdhsa_system_sgpr_workgroup_id_x 1
		.amdhsa_system_sgpr_workgroup_id_y 0
		.amdhsa_system_sgpr_workgroup_id_z 0
		.amdhsa_system_sgpr_workgroup_info 0
		.amdhsa_system_vgpr_workitem_id 0
		.amdhsa_next_free_vgpr 1
		.amdhsa_next_free_sgpr 0
		.amdhsa_accum_offset 4
		.amdhsa_reserve_vcc 0
		.amdhsa_reserve_flat_scratch 0
		.amdhsa_float_round_mode_32 0
		.amdhsa_float_round_mode_16_64 0
		.amdhsa_float_denorm_mode_32 3
		.amdhsa_float_denorm_mode_16_64 3
		.amdhsa_dx10_clamp 1
		.amdhsa_ieee_mode 1
		.amdhsa_fp16_overflow 0
		.amdhsa_tg_split 0
		.amdhsa_exception_fp_ieee_invalid_op 0
		.amdhsa_exception_fp_denorm_src 0
		.amdhsa_exception_fp_ieee_div_zero 0
		.amdhsa_exception_fp_ieee_overflow 0
		.amdhsa_exception_fp_ieee_underflow 0
		.amdhsa_exception_fp_ieee_inexact 0
		.amdhsa_exception_int_div_zero 0
	.end_amdhsa_kernel
	.section	.text._ZN7rocprim17ROCPRIM_400000_NS6detail17trampoline_kernelINS0_14default_configENS1_29reduce_by_key_config_selectorIllN6thrust23THRUST_200600_302600_NS4plusIlEEEEZZNS1_33reduce_by_key_impl_wrapped_configILNS1_25lookback_scan_determinismE0ES3_S9_PlNS6_17constant_iteratorIiNS6_11use_defaultESE_EENS6_10device_ptrIlEESH_PmS8_NS6_8equal_toIlEEEE10hipError_tPvRmT2_T3_mT4_T5_T6_T7_T8_P12ihipStream_tbENKUlT_T0_E_clISt17integral_constantIbLb1EES12_EEDaSX_SY_EUlSX_E_NS1_11comp_targetILNS1_3genE9ELNS1_11target_archE1100ELNS1_3gpuE3ELNS1_3repE0EEENS1_30default_config_static_selectorELNS0_4arch9wavefront6targetE1EEEvT1_,"axG",@progbits,_ZN7rocprim17ROCPRIM_400000_NS6detail17trampoline_kernelINS0_14default_configENS1_29reduce_by_key_config_selectorIllN6thrust23THRUST_200600_302600_NS4plusIlEEEEZZNS1_33reduce_by_key_impl_wrapped_configILNS1_25lookback_scan_determinismE0ES3_S9_PlNS6_17constant_iteratorIiNS6_11use_defaultESE_EENS6_10device_ptrIlEESH_PmS8_NS6_8equal_toIlEEEE10hipError_tPvRmT2_T3_mT4_T5_T6_T7_T8_P12ihipStream_tbENKUlT_T0_E_clISt17integral_constantIbLb1EES12_EEDaSX_SY_EUlSX_E_NS1_11comp_targetILNS1_3genE9ELNS1_11target_archE1100ELNS1_3gpuE3ELNS1_3repE0EEENS1_30default_config_static_selectorELNS0_4arch9wavefront6targetE1EEEvT1_,comdat
.Lfunc_end1220:
	.size	_ZN7rocprim17ROCPRIM_400000_NS6detail17trampoline_kernelINS0_14default_configENS1_29reduce_by_key_config_selectorIllN6thrust23THRUST_200600_302600_NS4plusIlEEEEZZNS1_33reduce_by_key_impl_wrapped_configILNS1_25lookback_scan_determinismE0ES3_S9_PlNS6_17constant_iteratorIiNS6_11use_defaultESE_EENS6_10device_ptrIlEESH_PmS8_NS6_8equal_toIlEEEE10hipError_tPvRmT2_T3_mT4_T5_T6_T7_T8_P12ihipStream_tbENKUlT_T0_E_clISt17integral_constantIbLb1EES12_EEDaSX_SY_EUlSX_E_NS1_11comp_targetILNS1_3genE9ELNS1_11target_archE1100ELNS1_3gpuE3ELNS1_3repE0EEENS1_30default_config_static_selectorELNS0_4arch9wavefront6targetE1EEEvT1_, .Lfunc_end1220-_ZN7rocprim17ROCPRIM_400000_NS6detail17trampoline_kernelINS0_14default_configENS1_29reduce_by_key_config_selectorIllN6thrust23THRUST_200600_302600_NS4plusIlEEEEZZNS1_33reduce_by_key_impl_wrapped_configILNS1_25lookback_scan_determinismE0ES3_S9_PlNS6_17constant_iteratorIiNS6_11use_defaultESE_EENS6_10device_ptrIlEESH_PmS8_NS6_8equal_toIlEEEE10hipError_tPvRmT2_T3_mT4_T5_T6_T7_T8_P12ihipStream_tbENKUlT_T0_E_clISt17integral_constantIbLb1EES12_EEDaSX_SY_EUlSX_E_NS1_11comp_targetILNS1_3genE9ELNS1_11target_archE1100ELNS1_3gpuE3ELNS1_3repE0EEENS1_30default_config_static_selectorELNS0_4arch9wavefront6targetE1EEEvT1_
                                        ; -- End function
	.section	.AMDGPU.csdata,"",@progbits
; Kernel info:
; codeLenInByte = 0
; NumSgprs: 4
; NumVgprs: 0
; NumAgprs: 0
; TotalNumVgprs: 0
; ScratchSize: 0
; MemoryBound: 0
; FloatMode: 240
; IeeeMode: 1
; LDSByteSize: 0 bytes/workgroup (compile time only)
; SGPRBlocks: 0
; VGPRBlocks: 0
; NumSGPRsForWavesPerEU: 4
; NumVGPRsForWavesPerEU: 1
; AccumOffset: 4
; Occupancy: 8
; WaveLimiterHint : 0
; COMPUTE_PGM_RSRC2:SCRATCH_EN: 0
; COMPUTE_PGM_RSRC2:USER_SGPR: 6
; COMPUTE_PGM_RSRC2:TRAP_HANDLER: 0
; COMPUTE_PGM_RSRC2:TGID_X_EN: 1
; COMPUTE_PGM_RSRC2:TGID_Y_EN: 0
; COMPUTE_PGM_RSRC2:TGID_Z_EN: 0
; COMPUTE_PGM_RSRC2:TIDIG_COMP_CNT: 0
; COMPUTE_PGM_RSRC3_GFX90A:ACCUM_OFFSET: 0
; COMPUTE_PGM_RSRC3_GFX90A:TG_SPLIT: 0
	.section	.text._ZN7rocprim17ROCPRIM_400000_NS6detail17trampoline_kernelINS0_14default_configENS1_29reduce_by_key_config_selectorIllN6thrust23THRUST_200600_302600_NS4plusIlEEEEZZNS1_33reduce_by_key_impl_wrapped_configILNS1_25lookback_scan_determinismE0ES3_S9_PlNS6_17constant_iteratorIiNS6_11use_defaultESE_EENS6_10device_ptrIlEESH_PmS8_NS6_8equal_toIlEEEE10hipError_tPvRmT2_T3_mT4_T5_T6_T7_T8_P12ihipStream_tbENKUlT_T0_E_clISt17integral_constantIbLb1EES12_EEDaSX_SY_EUlSX_E_NS1_11comp_targetILNS1_3genE8ELNS1_11target_archE1030ELNS1_3gpuE2ELNS1_3repE0EEENS1_30default_config_static_selectorELNS0_4arch9wavefront6targetE1EEEvT1_,"axG",@progbits,_ZN7rocprim17ROCPRIM_400000_NS6detail17trampoline_kernelINS0_14default_configENS1_29reduce_by_key_config_selectorIllN6thrust23THRUST_200600_302600_NS4plusIlEEEEZZNS1_33reduce_by_key_impl_wrapped_configILNS1_25lookback_scan_determinismE0ES3_S9_PlNS6_17constant_iteratorIiNS6_11use_defaultESE_EENS6_10device_ptrIlEESH_PmS8_NS6_8equal_toIlEEEE10hipError_tPvRmT2_T3_mT4_T5_T6_T7_T8_P12ihipStream_tbENKUlT_T0_E_clISt17integral_constantIbLb1EES12_EEDaSX_SY_EUlSX_E_NS1_11comp_targetILNS1_3genE8ELNS1_11target_archE1030ELNS1_3gpuE2ELNS1_3repE0EEENS1_30default_config_static_selectorELNS0_4arch9wavefront6targetE1EEEvT1_,comdat
	.protected	_ZN7rocprim17ROCPRIM_400000_NS6detail17trampoline_kernelINS0_14default_configENS1_29reduce_by_key_config_selectorIllN6thrust23THRUST_200600_302600_NS4plusIlEEEEZZNS1_33reduce_by_key_impl_wrapped_configILNS1_25lookback_scan_determinismE0ES3_S9_PlNS6_17constant_iteratorIiNS6_11use_defaultESE_EENS6_10device_ptrIlEESH_PmS8_NS6_8equal_toIlEEEE10hipError_tPvRmT2_T3_mT4_T5_T6_T7_T8_P12ihipStream_tbENKUlT_T0_E_clISt17integral_constantIbLb1EES12_EEDaSX_SY_EUlSX_E_NS1_11comp_targetILNS1_3genE8ELNS1_11target_archE1030ELNS1_3gpuE2ELNS1_3repE0EEENS1_30default_config_static_selectorELNS0_4arch9wavefront6targetE1EEEvT1_ ; -- Begin function _ZN7rocprim17ROCPRIM_400000_NS6detail17trampoline_kernelINS0_14default_configENS1_29reduce_by_key_config_selectorIllN6thrust23THRUST_200600_302600_NS4plusIlEEEEZZNS1_33reduce_by_key_impl_wrapped_configILNS1_25lookback_scan_determinismE0ES3_S9_PlNS6_17constant_iteratorIiNS6_11use_defaultESE_EENS6_10device_ptrIlEESH_PmS8_NS6_8equal_toIlEEEE10hipError_tPvRmT2_T3_mT4_T5_T6_T7_T8_P12ihipStream_tbENKUlT_T0_E_clISt17integral_constantIbLb1EES12_EEDaSX_SY_EUlSX_E_NS1_11comp_targetILNS1_3genE8ELNS1_11target_archE1030ELNS1_3gpuE2ELNS1_3repE0EEENS1_30default_config_static_selectorELNS0_4arch9wavefront6targetE1EEEvT1_
	.globl	_ZN7rocprim17ROCPRIM_400000_NS6detail17trampoline_kernelINS0_14default_configENS1_29reduce_by_key_config_selectorIllN6thrust23THRUST_200600_302600_NS4plusIlEEEEZZNS1_33reduce_by_key_impl_wrapped_configILNS1_25lookback_scan_determinismE0ES3_S9_PlNS6_17constant_iteratorIiNS6_11use_defaultESE_EENS6_10device_ptrIlEESH_PmS8_NS6_8equal_toIlEEEE10hipError_tPvRmT2_T3_mT4_T5_T6_T7_T8_P12ihipStream_tbENKUlT_T0_E_clISt17integral_constantIbLb1EES12_EEDaSX_SY_EUlSX_E_NS1_11comp_targetILNS1_3genE8ELNS1_11target_archE1030ELNS1_3gpuE2ELNS1_3repE0EEENS1_30default_config_static_selectorELNS0_4arch9wavefront6targetE1EEEvT1_
	.p2align	8
	.type	_ZN7rocprim17ROCPRIM_400000_NS6detail17trampoline_kernelINS0_14default_configENS1_29reduce_by_key_config_selectorIllN6thrust23THRUST_200600_302600_NS4plusIlEEEEZZNS1_33reduce_by_key_impl_wrapped_configILNS1_25lookback_scan_determinismE0ES3_S9_PlNS6_17constant_iteratorIiNS6_11use_defaultESE_EENS6_10device_ptrIlEESH_PmS8_NS6_8equal_toIlEEEE10hipError_tPvRmT2_T3_mT4_T5_T6_T7_T8_P12ihipStream_tbENKUlT_T0_E_clISt17integral_constantIbLb1EES12_EEDaSX_SY_EUlSX_E_NS1_11comp_targetILNS1_3genE8ELNS1_11target_archE1030ELNS1_3gpuE2ELNS1_3repE0EEENS1_30default_config_static_selectorELNS0_4arch9wavefront6targetE1EEEvT1_,@function
_ZN7rocprim17ROCPRIM_400000_NS6detail17trampoline_kernelINS0_14default_configENS1_29reduce_by_key_config_selectorIllN6thrust23THRUST_200600_302600_NS4plusIlEEEEZZNS1_33reduce_by_key_impl_wrapped_configILNS1_25lookback_scan_determinismE0ES3_S9_PlNS6_17constant_iteratorIiNS6_11use_defaultESE_EENS6_10device_ptrIlEESH_PmS8_NS6_8equal_toIlEEEE10hipError_tPvRmT2_T3_mT4_T5_T6_T7_T8_P12ihipStream_tbENKUlT_T0_E_clISt17integral_constantIbLb1EES12_EEDaSX_SY_EUlSX_E_NS1_11comp_targetILNS1_3genE8ELNS1_11target_archE1030ELNS1_3gpuE2ELNS1_3repE0EEENS1_30default_config_static_selectorELNS0_4arch9wavefront6targetE1EEEvT1_: ; @_ZN7rocprim17ROCPRIM_400000_NS6detail17trampoline_kernelINS0_14default_configENS1_29reduce_by_key_config_selectorIllN6thrust23THRUST_200600_302600_NS4plusIlEEEEZZNS1_33reduce_by_key_impl_wrapped_configILNS1_25lookback_scan_determinismE0ES3_S9_PlNS6_17constant_iteratorIiNS6_11use_defaultESE_EENS6_10device_ptrIlEESH_PmS8_NS6_8equal_toIlEEEE10hipError_tPvRmT2_T3_mT4_T5_T6_T7_T8_P12ihipStream_tbENKUlT_T0_E_clISt17integral_constantIbLb1EES12_EEDaSX_SY_EUlSX_E_NS1_11comp_targetILNS1_3genE8ELNS1_11target_archE1030ELNS1_3gpuE2ELNS1_3repE0EEENS1_30default_config_static_selectorELNS0_4arch9wavefront6targetE1EEEvT1_
; %bb.0:
	.section	.rodata,"a",@progbits
	.p2align	6, 0x0
	.amdhsa_kernel _ZN7rocprim17ROCPRIM_400000_NS6detail17trampoline_kernelINS0_14default_configENS1_29reduce_by_key_config_selectorIllN6thrust23THRUST_200600_302600_NS4plusIlEEEEZZNS1_33reduce_by_key_impl_wrapped_configILNS1_25lookback_scan_determinismE0ES3_S9_PlNS6_17constant_iteratorIiNS6_11use_defaultESE_EENS6_10device_ptrIlEESH_PmS8_NS6_8equal_toIlEEEE10hipError_tPvRmT2_T3_mT4_T5_T6_T7_T8_P12ihipStream_tbENKUlT_T0_E_clISt17integral_constantIbLb1EES12_EEDaSX_SY_EUlSX_E_NS1_11comp_targetILNS1_3genE8ELNS1_11target_archE1030ELNS1_3gpuE2ELNS1_3repE0EEENS1_30default_config_static_selectorELNS0_4arch9wavefront6targetE1EEEvT1_
		.amdhsa_group_segment_fixed_size 0
		.amdhsa_private_segment_fixed_size 0
		.amdhsa_kernarg_size 144
		.amdhsa_user_sgpr_count 6
		.amdhsa_user_sgpr_private_segment_buffer 1
		.amdhsa_user_sgpr_dispatch_ptr 0
		.amdhsa_user_sgpr_queue_ptr 0
		.amdhsa_user_sgpr_kernarg_segment_ptr 1
		.amdhsa_user_sgpr_dispatch_id 0
		.amdhsa_user_sgpr_flat_scratch_init 0
		.amdhsa_user_sgpr_kernarg_preload_length 0
		.amdhsa_user_sgpr_kernarg_preload_offset 0
		.amdhsa_user_sgpr_private_segment_size 0
		.amdhsa_uses_dynamic_stack 0
		.amdhsa_system_sgpr_private_segment_wavefront_offset 0
		.amdhsa_system_sgpr_workgroup_id_x 1
		.amdhsa_system_sgpr_workgroup_id_y 0
		.amdhsa_system_sgpr_workgroup_id_z 0
		.amdhsa_system_sgpr_workgroup_info 0
		.amdhsa_system_vgpr_workitem_id 0
		.amdhsa_next_free_vgpr 1
		.amdhsa_next_free_sgpr 0
		.amdhsa_accum_offset 4
		.amdhsa_reserve_vcc 0
		.amdhsa_reserve_flat_scratch 0
		.amdhsa_float_round_mode_32 0
		.amdhsa_float_round_mode_16_64 0
		.amdhsa_float_denorm_mode_32 3
		.amdhsa_float_denorm_mode_16_64 3
		.amdhsa_dx10_clamp 1
		.amdhsa_ieee_mode 1
		.amdhsa_fp16_overflow 0
		.amdhsa_tg_split 0
		.amdhsa_exception_fp_ieee_invalid_op 0
		.amdhsa_exception_fp_denorm_src 0
		.amdhsa_exception_fp_ieee_div_zero 0
		.amdhsa_exception_fp_ieee_overflow 0
		.amdhsa_exception_fp_ieee_underflow 0
		.amdhsa_exception_fp_ieee_inexact 0
		.amdhsa_exception_int_div_zero 0
	.end_amdhsa_kernel
	.section	.text._ZN7rocprim17ROCPRIM_400000_NS6detail17trampoline_kernelINS0_14default_configENS1_29reduce_by_key_config_selectorIllN6thrust23THRUST_200600_302600_NS4plusIlEEEEZZNS1_33reduce_by_key_impl_wrapped_configILNS1_25lookback_scan_determinismE0ES3_S9_PlNS6_17constant_iteratorIiNS6_11use_defaultESE_EENS6_10device_ptrIlEESH_PmS8_NS6_8equal_toIlEEEE10hipError_tPvRmT2_T3_mT4_T5_T6_T7_T8_P12ihipStream_tbENKUlT_T0_E_clISt17integral_constantIbLb1EES12_EEDaSX_SY_EUlSX_E_NS1_11comp_targetILNS1_3genE8ELNS1_11target_archE1030ELNS1_3gpuE2ELNS1_3repE0EEENS1_30default_config_static_selectorELNS0_4arch9wavefront6targetE1EEEvT1_,"axG",@progbits,_ZN7rocprim17ROCPRIM_400000_NS6detail17trampoline_kernelINS0_14default_configENS1_29reduce_by_key_config_selectorIllN6thrust23THRUST_200600_302600_NS4plusIlEEEEZZNS1_33reduce_by_key_impl_wrapped_configILNS1_25lookback_scan_determinismE0ES3_S9_PlNS6_17constant_iteratorIiNS6_11use_defaultESE_EENS6_10device_ptrIlEESH_PmS8_NS6_8equal_toIlEEEE10hipError_tPvRmT2_T3_mT4_T5_T6_T7_T8_P12ihipStream_tbENKUlT_T0_E_clISt17integral_constantIbLb1EES12_EEDaSX_SY_EUlSX_E_NS1_11comp_targetILNS1_3genE8ELNS1_11target_archE1030ELNS1_3gpuE2ELNS1_3repE0EEENS1_30default_config_static_selectorELNS0_4arch9wavefront6targetE1EEEvT1_,comdat
.Lfunc_end1221:
	.size	_ZN7rocprim17ROCPRIM_400000_NS6detail17trampoline_kernelINS0_14default_configENS1_29reduce_by_key_config_selectorIllN6thrust23THRUST_200600_302600_NS4plusIlEEEEZZNS1_33reduce_by_key_impl_wrapped_configILNS1_25lookback_scan_determinismE0ES3_S9_PlNS6_17constant_iteratorIiNS6_11use_defaultESE_EENS6_10device_ptrIlEESH_PmS8_NS6_8equal_toIlEEEE10hipError_tPvRmT2_T3_mT4_T5_T6_T7_T8_P12ihipStream_tbENKUlT_T0_E_clISt17integral_constantIbLb1EES12_EEDaSX_SY_EUlSX_E_NS1_11comp_targetILNS1_3genE8ELNS1_11target_archE1030ELNS1_3gpuE2ELNS1_3repE0EEENS1_30default_config_static_selectorELNS0_4arch9wavefront6targetE1EEEvT1_, .Lfunc_end1221-_ZN7rocprim17ROCPRIM_400000_NS6detail17trampoline_kernelINS0_14default_configENS1_29reduce_by_key_config_selectorIllN6thrust23THRUST_200600_302600_NS4plusIlEEEEZZNS1_33reduce_by_key_impl_wrapped_configILNS1_25lookback_scan_determinismE0ES3_S9_PlNS6_17constant_iteratorIiNS6_11use_defaultESE_EENS6_10device_ptrIlEESH_PmS8_NS6_8equal_toIlEEEE10hipError_tPvRmT2_T3_mT4_T5_T6_T7_T8_P12ihipStream_tbENKUlT_T0_E_clISt17integral_constantIbLb1EES12_EEDaSX_SY_EUlSX_E_NS1_11comp_targetILNS1_3genE8ELNS1_11target_archE1030ELNS1_3gpuE2ELNS1_3repE0EEENS1_30default_config_static_selectorELNS0_4arch9wavefront6targetE1EEEvT1_
                                        ; -- End function
	.section	.AMDGPU.csdata,"",@progbits
; Kernel info:
; codeLenInByte = 0
; NumSgprs: 4
; NumVgprs: 0
; NumAgprs: 0
; TotalNumVgprs: 0
; ScratchSize: 0
; MemoryBound: 0
; FloatMode: 240
; IeeeMode: 1
; LDSByteSize: 0 bytes/workgroup (compile time only)
; SGPRBlocks: 0
; VGPRBlocks: 0
; NumSGPRsForWavesPerEU: 4
; NumVGPRsForWavesPerEU: 1
; AccumOffset: 4
; Occupancy: 8
; WaveLimiterHint : 0
; COMPUTE_PGM_RSRC2:SCRATCH_EN: 0
; COMPUTE_PGM_RSRC2:USER_SGPR: 6
; COMPUTE_PGM_RSRC2:TRAP_HANDLER: 0
; COMPUTE_PGM_RSRC2:TGID_X_EN: 1
; COMPUTE_PGM_RSRC2:TGID_Y_EN: 0
; COMPUTE_PGM_RSRC2:TGID_Z_EN: 0
; COMPUTE_PGM_RSRC2:TIDIG_COMP_CNT: 0
; COMPUTE_PGM_RSRC3_GFX90A:ACCUM_OFFSET: 0
; COMPUTE_PGM_RSRC3_GFX90A:TG_SPLIT: 0
	.section	.text._ZN7rocprim17ROCPRIM_400000_NS6detail17trampoline_kernelINS0_14default_configENS1_29reduce_by_key_config_selectorIllN6thrust23THRUST_200600_302600_NS4plusIlEEEEZZNS1_33reduce_by_key_impl_wrapped_configILNS1_25lookback_scan_determinismE0ES3_S9_PlNS6_17constant_iteratorIiNS6_11use_defaultESE_EENS6_10device_ptrIlEESH_PmS8_NS6_8equal_toIlEEEE10hipError_tPvRmT2_T3_mT4_T5_T6_T7_T8_P12ihipStream_tbENKUlT_T0_E_clISt17integral_constantIbLb1EES11_IbLb0EEEEDaSX_SY_EUlSX_E_NS1_11comp_targetILNS1_3genE0ELNS1_11target_archE4294967295ELNS1_3gpuE0ELNS1_3repE0EEENS1_30default_config_static_selectorELNS0_4arch9wavefront6targetE1EEEvT1_,"axG",@progbits,_ZN7rocprim17ROCPRIM_400000_NS6detail17trampoline_kernelINS0_14default_configENS1_29reduce_by_key_config_selectorIllN6thrust23THRUST_200600_302600_NS4plusIlEEEEZZNS1_33reduce_by_key_impl_wrapped_configILNS1_25lookback_scan_determinismE0ES3_S9_PlNS6_17constant_iteratorIiNS6_11use_defaultESE_EENS6_10device_ptrIlEESH_PmS8_NS6_8equal_toIlEEEE10hipError_tPvRmT2_T3_mT4_T5_T6_T7_T8_P12ihipStream_tbENKUlT_T0_E_clISt17integral_constantIbLb1EES11_IbLb0EEEEDaSX_SY_EUlSX_E_NS1_11comp_targetILNS1_3genE0ELNS1_11target_archE4294967295ELNS1_3gpuE0ELNS1_3repE0EEENS1_30default_config_static_selectorELNS0_4arch9wavefront6targetE1EEEvT1_,comdat
	.protected	_ZN7rocprim17ROCPRIM_400000_NS6detail17trampoline_kernelINS0_14default_configENS1_29reduce_by_key_config_selectorIllN6thrust23THRUST_200600_302600_NS4plusIlEEEEZZNS1_33reduce_by_key_impl_wrapped_configILNS1_25lookback_scan_determinismE0ES3_S9_PlNS6_17constant_iteratorIiNS6_11use_defaultESE_EENS6_10device_ptrIlEESH_PmS8_NS6_8equal_toIlEEEE10hipError_tPvRmT2_T3_mT4_T5_T6_T7_T8_P12ihipStream_tbENKUlT_T0_E_clISt17integral_constantIbLb1EES11_IbLb0EEEEDaSX_SY_EUlSX_E_NS1_11comp_targetILNS1_3genE0ELNS1_11target_archE4294967295ELNS1_3gpuE0ELNS1_3repE0EEENS1_30default_config_static_selectorELNS0_4arch9wavefront6targetE1EEEvT1_ ; -- Begin function _ZN7rocprim17ROCPRIM_400000_NS6detail17trampoline_kernelINS0_14default_configENS1_29reduce_by_key_config_selectorIllN6thrust23THRUST_200600_302600_NS4plusIlEEEEZZNS1_33reduce_by_key_impl_wrapped_configILNS1_25lookback_scan_determinismE0ES3_S9_PlNS6_17constant_iteratorIiNS6_11use_defaultESE_EENS6_10device_ptrIlEESH_PmS8_NS6_8equal_toIlEEEE10hipError_tPvRmT2_T3_mT4_T5_T6_T7_T8_P12ihipStream_tbENKUlT_T0_E_clISt17integral_constantIbLb1EES11_IbLb0EEEEDaSX_SY_EUlSX_E_NS1_11comp_targetILNS1_3genE0ELNS1_11target_archE4294967295ELNS1_3gpuE0ELNS1_3repE0EEENS1_30default_config_static_selectorELNS0_4arch9wavefront6targetE1EEEvT1_
	.globl	_ZN7rocprim17ROCPRIM_400000_NS6detail17trampoline_kernelINS0_14default_configENS1_29reduce_by_key_config_selectorIllN6thrust23THRUST_200600_302600_NS4plusIlEEEEZZNS1_33reduce_by_key_impl_wrapped_configILNS1_25lookback_scan_determinismE0ES3_S9_PlNS6_17constant_iteratorIiNS6_11use_defaultESE_EENS6_10device_ptrIlEESH_PmS8_NS6_8equal_toIlEEEE10hipError_tPvRmT2_T3_mT4_T5_T6_T7_T8_P12ihipStream_tbENKUlT_T0_E_clISt17integral_constantIbLb1EES11_IbLb0EEEEDaSX_SY_EUlSX_E_NS1_11comp_targetILNS1_3genE0ELNS1_11target_archE4294967295ELNS1_3gpuE0ELNS1_3repE0EEENS1_30default_config_static_selectorELNS0_4arch9wavefront6targetE1EEEvT1_
	.p2align	8
	.type	_ZN7rocprim17ROCPRIM_400000_NS6detail17trampoline_kernelINS0_14default_configENS1_29reduce_by_key_config_selectorIllN6thrust23THRUST_200600_302600_NS4plusIlEEEEZZNS1_33reduce_by_key_impl_wrapped_configILNS1_25lookback_scan_determinismE0ES3_S9_PlNS6_17constant_iteratorIiNS6_11use_defaultESE_EENS6_10device_ptrIlEESH_PmS8_NS6_8equal_toIlEEEE10hipError_tPvRmT2_T3_mT4_T5_T6_T7_T8_P12ihipStream_tbENKUlT_T0_E_clISt17integral_constantIbLb1EES11_IbLb0EEEEDaSX_SY_EUlSX_E_NS1_11comp_targetILNS1_3genE0ELNS1_11target_archE4294967295ELNS1_3gpuE0ELNS1_3repE0EEENS1_30default_config_static_selectorELNS0_4arch9wavefront6targetE1EEEvT1_,@function
_ZN7rocprim17ROCPRIM_400000_NS6detail17trampoline_kernelINS0_14default_configENS1_29reduce_by_key_config_selectorIllN6thrust23THRUST_200600_302600_NS4plusIlEEEEZZNS1_33reduce_by_key_impl_wrapped_configILNS1_25lookback_scan_determinismE0ES3_S9_PlNS6_17constant_iteratorIiNS6_11use_defaultESE_EENS6_10device_ptrIlEESH_PmS8_NS6_8equal_toIlEEEE10hipError_tPvRmT2_T3_mT4_T5_T6_T7_T8_P12ihipStream_tbENKUlT_T0_E_clISt17integral_constantIbLb1EES11_IbLb0EEEEDaSX_SY_EUlSX_E_NS1_11comp_targetILNS1_3genE0ELNS1_11target_archE4294967295ELNS1_3gpuE0ELNS1_3repE0EEENS1_30default_config_static_selectorELNS0_4arch9wavefront6targetE1EEEvT1_: ; @_ZN7rocprim17ROCPRIM_400000_NS6detail17trampoline_kernelINS0_14default_configENS1_29reduce_by_key_config_selectorIllN6thrust23THRUST_200600_302600_NS4plusIlEEEEZZNS1_33reduce_by_key_impl_wrapped_configILNS1_25lookback_scan_determinismE0ES3_S9_PlNS6_17constant_iteratorIiNS6_11use_defaultESE_EENS6_10device_ptrIlEESH_PmS8_NS6_8equal_toIlEEEE10hipError_tPvRmT2_T3_mT4_T5_T6_T7_T8_P12ihipStream_tbENKUlT_T0_E_clISt17integral_constantIbLb1EES11_IbLb0EEEEDaSX_SY_EUlSX_E_NS1_11comp_targetILNS1_3genE0ELNS1_11target_archE4294967295ELNS1_3gpuE0ELNS1_3repE0EEENS1_30default_config_static_selectorELNS0_4arch9wavefront6targetE1EEEvT1_
; %bb.0:
	.section	.rodata,"a",@progbits
	.p2align	6, 0x0
	.amdhsa_kernel _ZN7rocprim17ROCPRIM_400000_NS6detail17trampoline_kernelINS0_14default_configENS1_29reduce_by_key_config_selectorIllN6thrust23THRUST_200600_302600_NS4plusIlEEEEZZNS1_33reduce_by_key_impl_wrapped_configILNS1_25lookback_scan_determinismE0ES3_S9_PlNS6_17constant_iteratorIiNS6_11use_defaultESE_EENS6_10device_ptrIlEESH_PmS8_NS6_8equal_toIlEEEE10hipError_tPvRmT2_T3_mT4_T5_T6_T7_T8_P12ihipStream_tbENKUlT_T0_E_clISt17integral_constantIbLb1EES11_IbLb0EEEEDaSX_SY_EUlSX_E_NS1_11comp_targetILNS1_3genE0ELNS1_11target_archE4294967295ELNS1_3gpuE0ELNS1_3repE0EEENS1_30default_config_static_selectorELNS0_4arch9wavefront6targetE1EEEvT1_
		.amdhsa_group_segment_fixed_size 0
		.amdhsa_private_segment_fixed_size 0
		.amdhsa_kernarg_size 144
		.amdhsa_user_sgpr_count 6
		.amdhsa_user_sgpr_private_segment_buffer 1
		.amdhsa_user_sgpr_dispatch_ptr 0
		.amdhsa_user_sgpr_queue_ptr 0
		.amdhsa_user_sgpr_kernarg_segment_ptr 1
		.amdhsa_user_sgpr_dispatch_id 0
		.amdhsa_user_sgpr_flat_scratch_init 0
		.amdhsa_user_sgpr_kernarg_preload_length 0
		.amdhsa_user_sgpr_kernarg_preload_offset 0
		.amdhsa_user_sgpr_private_segment_size 0
		.amdhsa_uses_dynamic_stack 0
		.amdhsa_system_sgpr_private_segment_wavefront_offset 0
		.amdhsa_system_sgpr_workgroup_id_x 1
		.amdhsa_system_sgpr_workgroup_id_y 0
		.amdhsa_system_sgpr_workgroup_id_z 0
		.amdhsa_system_sgpr_workgroup_info 0
		.amdhsa_system_vgpr_workitem_id 0
		.amdhsa_next_free_vgpr 1
		.amdhsa_next_free_sgpr 0
		.amdhsa_accum_offset 4
		.amdhsa_reserve_vcc 0
		.amdhsa_reserve_flat_scratch 0
		.amdhsa_float_round_mode_32 0
		.amdhsa_float_round_mode_16_64 0
		.amdhsa_float_denorm_mode_32 3
		.amdhsa_float_denorm_mode_16_64 3
		.amdhsa_dx10_clamp 1
		.amdhsa_ieee_mode 1
		.amdhsa_fp16_overflow 0
		.amdhsa_tg_split 0
		.amdhsa_exception_fp_ieee_invalid_op 0
		.amdhsa_exception_fp_denorm_src 0
		.amdhsa_exception_fp_ieee_div_zero 0
		.amdhsa_exception_fp_ieee_overflow 0
		.amdhsa_exception_fp_ieee_underflow 0
		.amdhsa_exception_fp_ieee_inexact 0
		.amdhsa_exception_int_div_zero 0
	.end_amdhsa_kernel
	.section	.text._ZN7rocprim17ROCPRIM_400000_NS6detail17trampoline_kernelINS0_14default_configENS1_29reduce_by_key_config_selectorIllN6thrust23THRUST_200600_302600_NS4plusIlEEEEZZNS1_33reduce_by_key_impl_wrapped_configILNS1_25lookback_scan_determinismE0ES3_S9_PlNS6_17constant_iteratorIiNS6_11use_defaultESE_EENS6_10device_ptrIlEESH_PmS8_NS6_8equal_toIlEEEE10hipError_tPvRmT2_T3_mT4_T5_T6_T7_T8_P12ihipStream_tbENKUlT_T0_E_clISt17integral_constantIbLb1EES11_IbLb0EEEEDaSX_SY_EUlSX_E_NS1_11comp_targetILNS1_3genE0ELNS1_11target_archE4294967295ELNS1_3gpuE0ELNS1_3repE0EEENS1_30default_config_static_selectorELNS0_4arch9wavefront6targetE1EEEvT1_,"axG",@progbits,_ZN7rocprim17ROCPRIM_400000_NS6detail17trampoline_kernelINS0_14default_configENS1_29reduce_by_key_config_selectorIllN6thrust23THRUST_200600_302600_NS4plusIlEEEEZZNS1_33reduce_by_key_impl_wrapped_configILNS1_25lookback_scan_determinismE0ES3_S9_PlNS6_17constant_iteratorIiNS6_11use_defaultESE_EENS6_10device_ptrIlEESH_PmS8_NS6_8equal_toIlEEEE10hipError_tPvRmT2_T3_mT4_T5_T6_T7_T8_P12ihipStream_tbENKUlT_T0_E_clISt17integral_constantIbLb1EES11_IbLb0EEEEDaSX_SY_EUlSX_E_NS1_11comp_targetILNS1_3genE0ELNS1_11target_archE4294967295ELNS1_3gpuE0ELNS1_3repE0EEENS1_30default_config_static_selectorELNS0_4arch9wavefront6targetE1EEEvT1_,comdat
.Lfunc_end1222:
	.size	_ZN7rocprim17ROCPRIM_400000_NS6detail17trampoline_kernelINS0_14default_configENS1_29reduce_by_key_config_selectorIllN6thrust23THRUST_200600_302600_NS4plusIlEEEEZZNS1_33reduce_by_key_impl_wrapped_configILNS1_25lookback_scan_determinismE0ES3_S9_PlNS6_17constant_iteratorIiNS6_11use_defaultESE_EENS6_10device_ptrIlEESH_PmS8_NS6_8equal_toIlEEEE10hipError_tPvRmT2_T3_mT4_T5_T6_T7_T8_P12ihipStream_tbENKUlT_T0_E_clISt17integral_constantIbLb1EES11_IbLb0EEEEDaSX_SY_EUlSX_E_NS1_11comp_targetILNS1_3genE0ELNS1_11target_archE4294967295ELNS1_3gpuE0ELNS1_3repE0EEENS1_30default_config_static_selectorELNS0_4arch9wavefront6targetE1EEEvT1_, .Lfunc_end1222-_ZN7rocprim17ROCPRIM_400000_NS6detail17trampoline_kernelINS0_14default_configENS1_29reduce_by_key_config_selectorIllN6thrust23THRUST_200600_302600_NS4plusIlEEEEZZNS1_33reduce_by_key_impl_wrapped_configILNS1_25lookback_scan_determinismE0ES3_S9_PlNS6_17constant_iteratorIiNS6_11use_defaultESE_EENS6_10device_ptrIlEESH_PmS8_NS6_8equal_toIlEEEE10hipError_tPvRmT2_T3_mT4_T5_T6_T7_T8_P12ihipStream_tbENKUlT_T0_E_clISt17integral_constantIbLb1EES11_IbLb0EEEEDaSX_SY_EUlSX_E_NS1_11comp_targetILNS1_3genE0ELNS1_11target_archE4294967295ELNS1_3gpuE0ELNS1_3repE0EEENS1_30default_config_static_selectorELNS0_4arch9wavefront6targetE1EEEvT1_
                                        ; -- End function
	.section	.AMDGPU.csdata,"",@progbits
; Kernel info:
; codeLenInByte = 0
; NumSgprs: 4
; NumVgprs: 0
; NumAgprs: 0
; TotalNumVgprs: 0
; ScratchSize: 0
; MemoryBound: 0
; FloatMode: 240
; IeeeMode: 1
; LDSByteSize: 0 bytes/workgroup (compile time only)
; SGPRBlocks: 0
; VGPRBlocks: 0
; NumSGPRsForWavesPerEU: 4
; NumVGPRsForWavesPerEU: 1
; AccumOffset: 4
; Occupancy: 8
; WaveLimiterHint : 0
; COMPUTE_PGM_RSRC2:SCRATCH_EN: 0
; COMPUTE_PGM_RSRC2:USER_SGPR: 6
; COMPUTE_PGM_RSRC2:TRAP_HANDLER: 0
; COMPUTE_PGM_RSRC2:TGID_X_EN: 1
; COMPUTE_PGM_RSRC2:TGID_Y_EN: 0
; COMPUTE_PGM_RSRC2:TGID_Z_EN: 0
; COMPUTE_PGM_RSRC2:TIDIG_COMP_CNT: 0
; COMPUTE_PGM_RSRC3_GFX90A:ACCUM_OFFSET: 0
; COMPUTE_PGM_RSRC3_GFX90A:TG_SPLIT: 0
	.section	.text._ZN7rocprim17ROCPRIM_400000_NS6detail17trampoline_kernelINS0_14default_configENS1_29reduce_by_key_config_selectorIllN6thrust23THRUST_200600_302600_NS4plusIlEEEEZZNS1_33reduce_by_key_impl_wrapped_configILNS1_25lookback_scan_determinismE0ES3_S9_PlNS6_17constant_iteratorIiNS6_11use_defaultESE_EENS6_10device_ptrIlEESH_PmS8_NS6_8equal_toIlEEEE10hipError_tPvRmT2_T3_mT4_T5_T6_T7_T8_P12ihipStream_tbENKUlT_T0_E_clISt17integral_constantIbLb1EES11_IbLb0EEEEDaSX_SY_EUlSX_E_NS1_11comp_targetILNS1_3genE5ELNS1_11target_archE942ELNS1_3gpuE9ELNS1_3repE0EEENS1_30default_config_static_selectorELNS0_4arch9wavefront6targetE1EEEvT1_,"axG",@progbits,_ZN7rocprim17ROCPRIM_400000_NS6detail17trampoline_kernelINS0_14default_configENS1_29reduce_by_key_config_selectorIllN6thrust23THRUST_200600_302600_NS4plusIlEEEEZZNS1_33reduce_by_key_impl_wrapped_configILNS1_25lookback_scan_determinismE0ES3_S9_PlNS6_17constant_iteratorIiNS6_11use_defaultESE_EENS6_10device_ptrIlEESH_PmS8_NS6_8equal_toIlEEEE10hipError_tPvRmT2_T3_mT4_T5_T6_T7_T8_P12ihipStream_tbENKUlT_T0_E_clISt17integral_constantIbLb1EES11_IbLb0EEEEDaSX_SY_EUlSX_E_NS1_11comp_targetILNS1_3genE5ELNS1_11target_archE942ELNS1_3gpuE9ELNS1_3repE0EEENS1_30default_config_static_selectorELNS0_4arch9wavefront6targetE1EEEvT1_,comdat
	.protected	_ZN7rocprim17ROCPRIM_400000_NS6detail17trampoline_kernelINS0_14default_configENS1_29reduce_by_key_config_selectorIllN6thrust23THRUST_200600_302600_NS4plusIlEEEEZZNS1_33reduce_by_key_impl_wrapped_configILNS1_25lookback_scan_determinismE0ES3_S9_PlNS6_17constant_iteratorIiNS6_11use_defaultESE_EENS6_10device_ptrIlEESH_PmS8_NS6_8equal_toIlEEEE10hipError_tPvRmT2_T3_mT4_T5_T6_T7_T8_P12ihipStream_tbENKUlT_T0_E_clISt17integral_constantIbLb1EES11_IbLb0EEEEDaSX_SY_EUlSX_E_NS1_11comp_targetILNS1_3genE5ELNS1_11target_archE942ELNS1_3gpuE9ELNS1_3repE0EEENS1_30default_config_static_selectorELNS0_4arch9wavefront6targetE1EEEvT1_ ; -- Begin function _ZN7rocprim17ROCPRIM_400000_NS6detail17trampoline_kernelINS0_14default_configENS1_29reduce_by_key_config_selectorIllN6thrust23THRUST_200600_302600_NS4plusIlEEEEZZNS1_33reduce_by_key_impl_wrapped_configILNS1_25lookback_scan_determinismE0ES3_S9_PlNS6_17constant_iteratorIiNS6_11use_defaultESE_EENS6_10device_ptrIlEESH_PmS8_NS6_8equal_toIlEEEE10hipError_tPvRmT2_T3_mT4_T5_T6_T7_T8_P12ihipStream_tbENKUlT_T0_E_clISt17integral_constantIbLb1EES11_IbLb0EEEEDaSX_SY_EUlSX_E_NS1_11comp_targetILNS1_3genE5ELNS1_11target_archE942ELNS1_3gpuE9ELNS1_3repE0EEENS1_30default_config_static_selectorELNS0_4arch9wavefront6targetE1EEEvT1_
	.globl	_ZN7rocprim17ROCPRIM_400000_NS6detail17trampoline_kernelINS0_14default_configENS1_29reduce_by_key_config_selectorIllN6thrust23THRUST_200600_302600_NS4plusIlEEEEZZNS1_33reduce_by_key_impl_wrapped_configILNS1_25lookback_scan_determinismE0ES3_S9_PlNS6_17constant_iteratorIiNS6_11use_defaultESE_EENS6_10device_ptrIlEESH_PmS8_NS6_8equal_toIlEEEE10hipError_tPvRmT2_T3_mT4_T5_T6_T7_T8_P12ihipStream_tbENKUlT_T0_E_clISt17integral_constantIbLb1EES11_IbLb0EEEEDaSX_SY_EUlSX_E_NS1_11comp_targetILNS1_3genE5ELNS1_11target_archE942ELNS1_3gpuE9ELNS1_3repE0EEENS1_30default_config_static_selectorELNS0_4arch9wavefront6targetE1EEEvT1_
	.p2align	8
	.type	_ZN7rocprim17ROCPRIM_400000_NS6detail17trampoline_kernelINS0_14default_configENS1_29reduce_by_key_config_selectorIllN6thrust23THRUST_200600_302600_NS4plusIlEEEEZZNS1_33reduce_by_key_impl_wrapped_configILNS1_25lookback_scan_determinismE0ES3_S9_PlNS6_17constant_iteratorIiNS6_11use_defaultESE_EENS6_10device_ptrIlEESH_PmS8_NS6_8equal_toIlEEEE10hipError_tPvRmT2_T3_mT4_T5_T6_T7_T8_P12ihipStream_tbENKUlT_T0_E_clISt17integral_constantIbLb1EES11_IbLb0EEEEDaSX_SY_EUlSX_E_NS1_11comp_targetILNS1_3genE5ELNS1_11target_archE942ELNS1_3gpuE9ELNS1_3repE0EEENS1_30default_config_static_selectorELNS0_4arch9wavefront6targetE1EEEvT1_,@function
_ZN7rocprim17ROCPRIM_400000_NS6detail17trampoline_kernelINS0_14default_configENS1_29reduce_by_key_config_selectorIllN6thrust23THRUST_200600_302600_NS4plusIlEEEEZZNS1_33reduce_by_key_impl_wrapped_configILNS1_25lookback_scan_determinismE0ES3_S9_PlNS6_17constant_iteratorIiNS6_11use_defaultESE_EENS6_10device_ptrIlEESH_PmS8_NS6_8equal_toIlEEEE10hipError_tPvRmT2_T3_mT4_T5_T6_T7_T8_P12ihipStream_tbENKUlT_T0_E_clISt17integral_constantIbLb1EES11_IbLb0EEEEDaSX_SY_EUlSX_E_NS1_11comp_targetILNS1_3genE5ELNS1_11target_archE942ELNS1_3gpuE9ELNS1_3repE0EEENS1_30default_config_static_selectorELNS0_4arch9wavefront6targetE1EEEvT1_: ; @_ZN7rocprim17ROCPRIM_400000_NS6detail17trampoline_kernelINS0_14default_configENS1_29reduce_by_key_config_selectorIllN6thrust23THRUST_200600_302600_NS4plusIlEEEEZZNS1_33reduce_by_key_impl_wrapped_configILNS1_25lookback_scan_determinismE0ES3_S9_PlNS6_17constant_iteratorIiNS6_11use_defaultESE_EENS6_10device_ptrIlEESH_PmS8_NS6_8equal_toIlEEEE10hipError_tPvRmT2_T3_mT4_T5_T6_T7_T8_P12ihipStream_tbENKUlT_T0_E_clISt17integral_constantIbLb1EES11_IbLb0EEEEDaSX_SY_EUlSX_E_NS1_11comp_targetILNS1_3genE5ELNS1_11target_archE942ELNS1_3gpuE9ELNS1_3repE0EEENS1_30default_config_static_selectorELNS0_4arch9wavefront6targetE1EEEvT1_
; %bb.0:
	.section	.rodata,"a",@progbits
	.p2align	6, 0x0
	.amdhsa_kernel _ZN7rocprim17ROCPRIM_400000_NS6detail17trampoline_kernelINS0_14default_configENS1_29reduce_by_key_config_selectorIllN6thrust23THRUST_200600_302600_NS4plusIlEEEEZZNS1_33reduce_by_key_impl_wrapped_configILNS1_25lookback_scan_determinismE0ES3_S9_PlNS6_17constant_iteratorIiNS6_11use_defaultESE_EENS6_10device_ptrIlEESH_PmS8_NS6_8equal_toIlEEEE10hipError_tPvRmT2_T3_mT4_T5_T6_T7_T8_P12ihipStream_tbENKUlT_T0_E_clISt17integral_constantIbLb1EES11_IbLb0EEEEDaSX_SY_EUlSX_E_NS1_11comp_targetILNS1_3genE5ELNS1_11target_archE942ELNS1_3gpuE9ELNS1_3repE0EEENS1_30default_config_static_selectorELNS0_4arch9wavefront6targetE1EEEvT1_
		.amdhsa_group_segment_fixed_size 0
		.amdhsa_private_segment_fixed_size 0
		.amdhsa_kernarg_size 144
		.amdhsa_user_sgpr_count 6
		.amdhsa_user_sgpr_private_segment_buffer 1
		.amdhsa_user_sgpr_dispatch_ptr 0
		.amdhsa_user_sgpr_queue_ptr 0
		.amdhsa_user_sgpr_kernarg_segment_ptr 1
		.amdhsa_user_sgpr_dispatch_id 0
		.amdhsa_user_sgpr_flat_scratch_init 0
		.amdhsa_user_sgpr_kernarg_preload_length 0
		.amdhsa_user_sgpr_kernarg_preload_offset 0
		.amdhsa_user_sgpr_private_segment_size 0
		.amdhsa_uses_dynamic_stack 0
		.amdhsa_system_sgpr_private_segment_wavefront_offset 0
		.amdhsa_system_sgpr_workgroup_id_x 1
		.amdhsa_system_sgpr_workgroup_id_y 0
		.amdhsa_system_sgpr_workgroup_id_z 0
		.amdhsa_system_sgpr_workgroup_info 0
		.amdhsa_system_vgpr_workitem_id 0
		.amdhsa_next_free_vgpr 1
		.amdhsa_next_free_sgpr 0
		.amdhsa_accum_offset 4
		.amdhsa_reserve_vcc 0
		.amdhsa_reserve_flat_scratch 0
		.amdhsa_float_round_mode_32 0
		.amdhsa_float_round_mode_16_64 0
		.amdhsa_float_denorm_mode_32 3
		.amdhsa_float_denorm_mode_16_64 3
		.amdhsa_dx10_clamp 1
		.amdhsa_ieee_mode 1
		.amdhsa_fp16_overflow 0
		.amdhsa_tg_split 0
		.amdhsa_exception_fp_ieee_invalid_op 0
		.amdhsa_exception_fp_denorm_src 0
		.amdhsa_exception_fp_ieee_div_zero 0
		.amdhsa_exception_fp_ieee_overflow 0
		.amdhsa_exception_fp_ieee_underflow 0
		.amdhsa_exception_fp_ieee_inexact 0
		.amdhsa_exception_int_div_zero 0
	.end_amdhsa_kernel
	.section	.text._ZN7rocprim17ROCPRIM_400000_NS6detail17trampoline_kernelINS0_14default_configENS1_29reduce_by_key_config_selectorIllN6thrust23THRUST_200600_302600_NS4plusIlEEEEZZNS1_33reduce_by_key_impl_wrapped_configILNS1_25lookback_scan_determinismE0ES3_S9_PlNS6_17constant_iteratorIiNS6_11use_defaultESE_EENS6_10device_ptrIlEESH_PmS8_NS6_8equal_toIlEEEE10hipError_tPvRmT2_T3_mT4_T5_T6_T7_T8_P12ihipStream_tbENKUlT_T0_E_clISt17integral_constantIbLb1EES11_IbLb0EEEEDaSX_SY_EUlSX_E_NS1_11comp_targetILNS1_3genE5ELNS1_11target_archE942ELNS1_3gpuE9ELNS1_3repE0EEENS1_30default_config_static_selectorELNS0_4arch9wavefront6targetE1EEEvT1_,"axG",@progbits,_ZN7rocprim17ROCPRIM_400000_NS6detail17trampoline_kernelINS0_14default_configENS1_29reduce_by_key_config_selectorIllN6thrust23THRUST_200600_302600_NS4plusIlEEEEZZNS1_33reduce_by_key_impl_wrapped_configILNS1_25lookback_scan_determinismE0ES3_S9_PlNS6_17constant_iteratorIiNS6_11use_defaultESE_EENS6_10device_ptrIlEESH_PmS8_NS6_8equal_toIlEEEE10hipError_tPvRmT2_T3_mT4_T5_T6_T7_T8_P12ihipStream_tbENKUlT_T0_E_clISt17integral_constantIbLb1EES11_IbLb0EEEEDaSX_SY_EUlSX_E_NS1_11comp_targetILNS1_3genE5ELNS1_11target_archE942ELNS1_3gpuE9ELNS1_3repE0EEENS1_30default_config_static_selectorELNS0_4arch9wavefront6targetE1EEEvT1_,comdat
.Lfunc_end1223:
	.size	_ZN7rocprim17ROCPRIM_400000_NS6detail17trampoline_kernelINS0_14default_configENS1_29reduce_by_key_config_selectorIllN6thrust23THRUST_200600_302600_NS4plusIlEEEEZZNS1_33reduce_by_key_impl_wrapped_configILNS1_25lookback_scan_determinismE0ES3_S9_PlNS6_17constant_iteratorIiNS6_11use_defaultESE_EENS6_10device_ptrIlEESH_PmS8_NS6_8equal_toIlEEEE10hipError_tPvRmT2_T3_mT4_T5_T6_T7_T8_P12ihipStream_tbENKUlT_T0_E_clISt17integral_constantIbLb1EES11_IbLb0EEEEDaSX_SY_EUlSX_E_NS1_11comp_targetILNS1_3genE5ELNS1_11target_archE942ELNS1_3gpuE9ELNS1_3repE0EEENS1_30default_config_static_selectorELNS0_4arch9wavefront6targetE1EEEvT1_, .Lfunc_end1223-_ZN7rocprim17ROCPRIM_400000_NS6detail17trampoline_kernelINS0_14default_configENS1_29reduce_by_key_config_selectorIllN6thrust23THRUST_200600_302600_NS4plusIlEEEEZZNS1_33reduce_by_key_impl_wrapped_configILNS1_25lookback_scan_determinismE0ES3_S9_PlNS6_17constant_iteratorIiNS6_11use_defaultESE_EENS6_10device_ptrIlEESH_PmS8_NS6_8equal_toIlEEEE10hipError_tPvRmT2_T3_mT4_T5_T6_T7_T8_P12ihipStream_tbENKUlT_T0_E_clISt17integral_constantIbLb1EES11_IbLb0EEEEDaSX_SY_EUlSX_E_NS1_11comp_targetILNS1_3genE5ELNS1_11target_archE942ELNS1_3gpuE9ELNS1_3repE0EEENS1_30default_config_static_selectorELNS0_4arch9wavefront6targetE1EEEvT1_
                                        ; -- End function
	.section	.AMDGPU.csdata,"",@progbits
; Kernel info:
; codeLenInByte = 0
; NumSgprs: 4
; NumVgprs: 0
; NumAgprs: 0
; TotalNumVgprs: 0
; ScratchSize: 0
; MemoryBound: 0
; FloatMode: 240
; IeeeMode: 1
; LDSByteSize: 0 bytes/workgroup (compile time only)
; SGPRBlocks: 0
; VGPRBlocks: 0
; NumSGPRsForWavesPerEU: 4
; NumVGPRsForWavesPerEU: 1
; AccumOffset: 4
; Occupancy: 8
; WaveLimiterHint : 0
; COMPUTE_PGM_RSRC2:SCRATCH_EN: 0
; COMPUTE_PGM_RSRC2:USER_SGPR: 6
; COMPUTE_PGM_RSRC2:TRAP_HANDLER: 0
; COMPUTE_PGM_RSRC2:TGID_X_EN: 1
; COMPUTE_PGM_RSRC2:TGID_Y_EN: 0
; COMPUTE_PGM_RSRC2:TGID_Z_EN: 0
; COMPUTE_PGM_RSRC2:TIDIG_COMP_CNT: 0
; COMPUTE_PGM_RSRC3_GFX90A:ACCUM_OFFSET: 0
; COMPUTE_PGM_RSRC3_GFX90A:TG_SPLIT: 0
	.section	.text._ZN7rocprim17ROCPRIM_400000_NS6detail17trampoline_kernelINS0_14default_configENS1_29reduce_by_key_config_selectorIllN6thrust23THRUST_200600_302600_NS4plusIlEEEEZZNS1_33reduce_by_key_impl_wrapped_configILNS1_25lookback_scan_determinismE0ES3_S9_PlNS6_17constant_iteratorIiNS6_11use_defaultESE_EENS6_10device_ptrIlEESH_PmS8_NS6_8equal_toIlEEEE10hipError_tPvRmT2_T3_mT4_T5_T6_T7_T8_P12ihipStream_tbENKUlT_T0_E_clISt17integral_constantIbLb1EES11_IbLb0EEEEDaSX_SY_EUlSX_E_NS1_11comp_targetILNS1_3genE4ELNS1_11target_archE910ELNS1_3gpuE8ELNS1_3repE0EEENS1_30default_config_static_selectorELNS0_4arch9wavefront6targetE1EEEvT1_,"axG",@progbits,_ZN7rocprim17ROCPRIM_400000_NS6detail17trampoline_kernelINS0_14default_configENS1_29reduce_by_key_config_selectorIllN6thrust23THRUST_200600_302600_NS4plusIlEEEEZZNS1_33reduce_by_key_impl_wrapped_configILNS1_25lookback_scan_determinismE0ES3_S9_PlNS6_17constant_iteratorIiNS6_11use_defaultESE_EENS6_10device_ptrIlEESH_PmS8_NS6_8equal_toIlEEEE10hipError_tPvRmT2_T3_mT4_T5_T6_T7_T8_P12ihipStream_tbENKUlT_T0_E_clISt17integral_constantIbLb1EES11_IbLb0EEEEDaSX_SY_EUlSX_E_NS1_11comp_targetILNS1_3genE4ELNS1_11target_archE910ELNS1_3gpuE8ELNS1_3repE0EEENS1_30default_config_static_selectorELNS0_4arch9wavefront6targetE1EEEvT1_,comdat
	.protected	_ZN7rocprim17ROCPRIM_400000_NS6detail17trampoline_kernelINS0_14default_configENS1_29reduce_by_key_config_selectorIllN6thrust23THRUST_200600_302600_NS4plusIlEEEEZZNS1_33reduce_by_key_impl_wrapped_configILNS1_25lookback_scan_determinismE0ES3_S9_PlNS6_17constant_iteratorIiNS6_11use_defaultESE_EENS6_10device_ptrIlEESH_PmS8_NS6_8equal_toIlEEEE10hipError_tPvRmT2_T3_mT4_T5_T6_T7_T8_P12ihipStream_tbENKUlT_T0_E_clISt17integral_constantIbLb1EES11_IbLb0EEEEDaSX_SY_EUlSX_E_NS1_11comp_targetILNS1_3genE4ELNS1_11target_archE910ELNS1_3gpuE8ELNS1_3repE0EEENS1_30default_config_static_selectorELNS0_4arch9wavefront6targetE1EEEvT1_ ; -- Begin function _ZN7rocprim17ROCPRIM_400000_NS6detail17trampoline_kernelINS0_14default_configENS1_29reduce_by_key_config_selectorIllN6thrust23THRUST_200600_302600_NS4plusIlEEEEZZNS1_33reduce_by_key_impl_wrapped_configILNS1_25lookback_scan_determinismE0ES3_S9_PlNS6_17constant_iteratorIiNS6_11use_defaultESE_EENS6_10device_ptrIlEESH_PmS8_NS6_8equal_toIlEEEE10hipError_tPvRmT2_T3_mT4_T5_T6_T7_T8_P12ihipStream_tbENKUlT_T0_E_clISt17integral_constantIbLb1EES11_IbLb0EEEEDaSX_SY_EUlSX_E_NS1_11comp_targetILNS1_3genE4ELNS1_11target_archE910ELNS1_3gpuE8ELNS1_3repE0EEENS1_30default_config_static_selectorELNS0_4arch9wavefront6targetE1EEEvT1_
	.globl	_ZN7rocprim17ROCPRIM_400000_NS6detail17trampoline_kernelINS0_14default_configENS1_29reduce_by_key_config_selectorIllN6thrust23THRUST_200600_302600_NS4plusIlEEEEZZNS1_33reduce_by_key_impl_wrapped_configILNS1_25lookback_scan_determinismE0ES3_S9_PlNS6_17constant_iteratorIiNS6_11use_defaultESE_EENS6_10device_ptrIlEESH_PmS8_NS6_8equal_toIlEEEE10hipError_tPvRmT2_T3_mT4_T5_T6_T7_T8_P12ihipStream_tbENKUlT_T0_E_clISt17integral_constantIbLb1EES11_IbLb0EEEEDaSX_SY_EUlSX_E_NS1_11comp_targetILNS1_3genE4ELNS1_11target_archE910ELNS1_3gpuE8ELNS1_3repE0EEENS1_30default_config_static_selectorELNS0_4arch9wavefront6targetE1EEEvT1_
	.p2align	8
	.type	_ZN7rocprim17ROCPRIM_400000_NS6detail17trampoline_kernelINS0_14default_configENS1_29reduce_by_key_config_selectorIllN6thrust23THRUST_200600_302600_NS4plusIlEEEEZZNS1_33reduce_by_key_impl_wrapped_configILNS1_25lookback_scan_determinismE0ES3_S9_PlNS6_17constant_iteratorIiNS6_11use_defaultESE_EENS6_10device_ptrIlEESH_PmS8_NS6_8equal_toIlEEEE10hipError_tPvRmT2_T3_mT4_T5_T6_T7_T8_P12ihipStream_tbENKUlT_T0_E_clISt17integral_constantIbLb1EES11_IbLb0EEEEDaSX_SY_EUlSX_E_NS1_11comp_targetILNS1_3genE4ELNS1_11target_archE910ELNS1_3gpuE8ELNS1_3repE0EEENS1_30default_config_static_selectorELNS0_4arch9wavefront6targetE1EEEvT1_,@function
_ZN7rocprim17ROCPRIM_400000_NS6detail17trampoline_kernelINS0_14default_configENS1_29reduce_by_key_config_selectorIllN6thrust23THRUST_200600_302600_NS4plusIlEEEEZZNS1_33reduce_by_key_impl_wrapped_configILNS1_25lookback_scan_determinismE0ES3_S9_PlNS6_17constant_iteratorIiNS6_11use_defaultESE_EENS6_10device_ptrIlEESH_PmS8_NS6_8equal_toIlEEEE10hipError_tPvRmT2_T3_mT4_T5_T6_T7_T8_P12ihipStream_tbENKUlT_T0_E_clISt17integral_constantIbLb1EES11_IbLb0EEEEDaSX_SY_EUlSX_E_NS1_11comp_targetILNS1_3genE4ELNS1_11target_archE910ELNS1_3gpuE8ELNS1_3repE0EEENS1_30default_config_static_selectorELNS0_4arch9wavefront6targetE1EEEvT1_: ; @_ZN7rocprim17ROCPRIM_400000_NS6detail17trampoline_kernelINS0_14default_configENS1_29reduce_by_key_config_selectorIllN6thrust23THRUST_200600_302600_NS4plusIlEEEEZZNS1_33reduce_by_key_impl_wrapped_configILNS1_25lookback_scan_determinismE0ES3_S9_PlNS6_17constant_iteratorIiNS6_11use_defaultESE_EENS6_10device_ptrIlEESH_PmS8_NS6_8equal_toIlEEEE10hipError_tPvRmT2_T3_mT4_T5_T6_T7_T8_P12ihipStream_tbENKUlT_T0_E_clISt17integral_constantIbLb1EES11_IbLb0EEEEDaSX_SY_EUlSX_E_NS1_11comp_targetILNS1_3genE4ELNS1_11target_archE910ELNS1_3gpuE8ELNS1_3repE0EEENS1_30default_config_static_selectorELNS0_4arch9wavefront6targetE1EEEvT1_
; %bb.0:
	s_load_dwordx16 s[36:51], s[4:5], 0x40
	s_load_dwordx4 s[8:11], s[4:5], 0x0
	s_load_dword s2, s[4:5], 0x18
	s_load_dwordx4 s[52:55], s[4:5], 0x20
	s_load_dwordx2 s[34:35], s[4:5], 0x30
	s_waitcnt lgkmcnt(0)
	s_mul_i32 s0, s44, s43
	s_mul_hi_u32 s1, s44, s42
	s_add_i32 s0, s1, s0
	s_mul_i32 s1, s45, s42
	s_add_i32 s3, s0, s1
	s_lshl_b64 s[0:1], s[10:11], 3
	s_add_u32 s8, s8, s0
	s_addc_u32 s9, s9, s1
	s_mul_i32 s0, s6, 0xf00
	s_mov_b32 s1, 0
	s_lshl_b64 s[0:1], s[0:1], 3
	s_add_u32 s56, s8, s0
	s_mul_i32 s7, s44, s42
	s_addc_u32 s57, s9, s1
	s_add_u32 s58, s7, s6
	s_addc_u32 s59, s3, 0
	s_add_u32 s10, s46, -1
	s_addc_u32 s11, s47, -1
	s_cmp_eq_u64 s[58:59], s[10:11]
	s_cselect_b64 s[44:45], -1, 0
	s_cmp_lg_u64 s[58:59], s[10:11]
	s_mov_b64 s[8:9], -1
	s_cselect_b64 s[0:1], -1, 0
	s_mul_i32 s33, s10, 0xfffff100
	s_and_b64 vcc, exec, s[44:45]
	s_cbranch_vccnz .LBB1224_2
; %bb.1:
	v_lshlrev_b32_e32 v38, 3, v0
	v_mov_b32_e32 v1, s57
	v_add_co_u32_e32 v30, vcc, s56, v38
	v_addc_co_u32_e32 v1, vcc, 0, v1, vcc
	v_add_co_u32_e32 v2, vcc, 0x1000, v30
	v_addc_co_u32_e32 v3, vcc, 0, v1, vcc
	global_load_dwordx2 v[4:5], v38, s[56:57]
	global_load_dwordx2 v[6:7], v38, s[56:57] offset:2048
	global_load_dwordx2 v[8:9], v[2:3], off
	global_load_dwordx2 v[10:11], v[2:3], off offset:2048
	v_add_co_u32_e32 v2, vcc, 0x2000, v30
	v_addc_co_u32_e32 v3, vcc, 0, v1, vcc
	v_add_co_u32_e32 v12, vcc, 0x3000, v30
	v_addc_co_u32_e32 v13, vcc, 0, v1, vcc
	global_load_dwordx2 v[14:15], v[2:3], off
	global_load_dwordx2 v[16:17], v[2:3], off offset:2048
	global_load_dwordx2 v[18:19], v[12:13], off
	global_load_dwordx2 v[20:21], v[12:13], off offset:2048
	v_add_co_u32_e32 v2, vcc, 0x4000, v30
	v_addc_co_u32_e32 v3, vcc, 0, v1, vcc
	v_add_co_u32_e32 v12, vcc, 0x5000, v30
	v_addc_co_u32_e32 v13, vcc, 0, v1, vcc
	global_load_dwordx2 v[22:23], v[2:3], off
	global_load_dwordx2 v[24:25], v[2:3], off offset:2048
	;; [unrolled: 8-line block ×3, first 2 shown]
	global_load_dwordx2 v[34:35], v[12:13], off
	s_movk_i32 s7, 0x70
	v_mad_u32_u24 v1, v0, s7, v38
	s_ashr_i32 s3, s2, 31
	v_pk_mov_b32 v[36:37], s[2:3], s[2:3] op_sel:[0,1]
	s_waitcnt vmcnt(13)
	ds_write2st64_b64 v38, v[4:5], v[6:7] offset1:4
	s_waitcnt vmcnt(11)
	ds_write2st64_b64 v38, v[8:9], v[10:11] offset0:8 offset1:12
	s_waitcnt vmcnt(9)
	ds_write2st64_b64 v38, v[14:15], v[16:17] offset0:16 offset1:20
	s_waitcnt vmcnt(7)
	ds_write2st64_b64 v38, v[18:19], v[20:21] offset0:24 offset1:28
	s_waitcnt vmcnt(5)
	ds_write2st64_b64 v38, v[22:23], v[24:25] offset0:32 offset1:36
	s_waitcnt vmcnt(3)
	ds_write2st64_b64 v38, v[26:27], v[28:29] offset0:40 offset1:44
	s_waitcnt vmcnt(1)
	ds_write2st64_b64 v38, v[30:31], v[32:33] offset0:48 offset1:52
	s_waitcnt vmcnt(0)
	ds_write_b64 v38, v[34:35] offset:28672
	s_waitcnt lgkmcnt(0)
	s_barrier
	ds_read2_b64 v[26:29], v1 offset1:1
	ds_read2_b64 v[22:25], v1 offset0:2 offset1:3
	ds_read2_b64 v[18:21], v1 offset0:4 offset1:5
	;; [unrolled: 1-line block ×6, first 2 shown]
	ds_read_b64 v[74:75], v1 offset:112
	s_waitcnt lgkmcnt(7)
	v_mov_b32_e32 v58, v26
	v_mov_b32_e32 v59, v27
	s_waitcnt lgkmcnt(6)
	v_mov_b32_e32 v60, v22
	v_mov_b32_e32 v61, v23
	;; [unrolled: 3-line block ×7, first 2 shown]
	s_waitcnt lgkmcnt(0)
	s_barrier
	ds_write2st64_b64 v38, v[36:37], v[36:37] offset1:4
	ds_write2st64_b64 v38, v[36:37], v[36:37] offset0:8 offset1:12
	ds_write2st64_b64 v38, v[36:37], v[36:37] offset0:16 offset1:20
	;; [unrolled: 1-line block ×6, first 2 shown]
	ds_write_b64 v38, v[36:37] offset:28672
	s_waitcnt lgkmcnt(0)
	s_barrier
	s_load_dwordx2 s[30:31], s[4:5], 0x80
	s_add_i32 s33, s33, s48
	s_cbranch_execz .LBB1224_3
	s_branch .LBB1224_34
.LBB1224_2:
                                        ; implicit-def: $vgpr74_vgpr75
                                        ; implicit-def: $vgpr2_vgpr3
                                        ; implicit-def: $vgpr6_vgpr7
                                        ; implicit-def: $vgpr10_vgpr11
                                        ; implicit-def: $vgpr14_vgpr15
                                        ; implicit-def: $vgpr18_vgpr19
                                        ; implicit-def: $vgpr22_vgpr23
                                        ; implicit-def: $vgpr26_vgpr27
                                        ; implicit-def: $vgpr1
                                        ; implicit-def: $vgpr66_vgpr67_vgpr68_vgpr69
                                        ; implicit-def: $vgpr62_vgpr63_vgpr64_vgpr65
                                        ; implicit-def: $vgpr58_vgpr59_vgpr60_vgpr61
                                        ; implicit-def: $vgpr70_vgpr71_vgpr72_vgpr73
	s_load_dwordx2 s[30:31], s[4:5], 0x80
	s_andn2_b64 vcc, exec, s[8:9]
	s_add_i32 s33, s33, s48
	s_cbranch_vccnz .LBB1224_34
.LBB1224_3:
	v_cmp_gt_u32_e32 vcc, s33, v0
                                        ; implicit-def: $vgpr2_vgpr3
	s_and_saveexec_b64 s[4:5], vcc
	s_cbranch_execz .LBB1224_5
; %bb.4:
	v_lshlrev_b32_e32 v1, 3, v0
	global_load_dwordx2 v[2:3], v1, s[56:57]
.LBB1224_5:
	s_or_b64 exec, exec, s[4:5]
	v_or_b32_e32 v1, 0x100, v0
	v_cmp_gt_u32_e32 vcc, s33, v1
                                        ; implicit-def: $vgpr4_vgpr5
	s_and_saveexec_b64 s[4:5], vcc
	s_cbranch_execz .LBB1224_7
; %bb.6:
	v_lshlrev_b32_e32 v1, 3, v0
	global_load_dwordx2 v[4:5], v1, s[56:57] offset:2048
.LBB1224_7:
	s_or_b64 exec, exec, s[4:5]
	v_or_b32_e32 v1, 0x200, v0
	v_cmp_gt_u32_e32 vcc, s33, v1
                                        ; implicit-def: $vgpr6_vgpr7
	s_and_saveexec_b64 s[4:5], vcc
	s_cbranch_execz .LBB1224_9
; %bb.8:
	v_lshlrev_b32_e32 v1, 3, v1
	global_load_dwordx2 v[6:7], v1, s[56:57]
.LBB1224_9:
	s_or_b64 exec, exec, s[4:5]
	v_or_b32_e32 v1, 0x300, v0
	v_cmp_gt_u32_e32 vcc, s33, v1
                                        ; implicit-def: $vgpr8_vgpr9
	s_and_saveexec_b64 s[4:5], vcc
	s_cbranch_execz .LBB1224_11
; %bb.10:
	v_lshlrev_b32_e32 v1, 3, v1
	global_load_dwordx2 v[8:9], v1, s[56:57]
.LBB1224_11:
	s_or_b64 exec, exec, s[4:5]
	v_or_b32_e32 v1, 0x400, v0
	v_cmp_gt_u32_e32 vcc, s33, v1
                                        ; implicit-def: $vgpr10_vgpr11
	s_and_saveexec_b64 s[4:5], vcc
	s_cbranch_execz .LBB1224_13
; %bb.12:
	v_lshlrev_b32_e32 v1, 3, v1
	global_load_dwordx2 v[10:11], v1, s[56:57]
.LBB1224_13:
	s_or_b64 exec, exec, s[4:5]
	v_or_b32_e32 v1, 0x500, v0
	v_cmp_gt_u32_e32 vcc, s33, v1
                                        ; implicit-def: $vgpr12_vgpr13
	s_and_saveexec_b64 s[4:5], vcc
	s_cbranch_execz .LBB1224_15
; %bb.14:
	v_lshlrev_b32_e32 v1, 3, v1
	global_load_dwordx2 v[12:13], v1, s[56:57]
.LBB1224_15:
	s_or_b64 exec, exec, s[4:5]
	v_or_b32_e32 v1, 0x600, v0
	v_cmp_gt_u32_e32 vcc, s33, v1
                                        ; implicit-def: $vgpr14_vgpr15
	s_and_saveexec_b64 s[4:5], vcc
	s_cbranch_execz .LBB1224_17
; %bb.16:
	v_lshlrev_b32_e32 v1, 3, v1
	global_load_dwordx2 v[14:15], v1, s[56:57]
.LBB1224_17:
	s_or_b64 exec, exec, s[4:5]
	v_or_b32_e32 v1, 0x700, v0
	v_cmp_gt_u32_e32 vcc, s33, v1
                                        ; implicit-def: $vgpr16_vgpr17
	s_and_saveexec_b64 s[4:5], vcc
	s_cbranch_execz .LBB1224_19
; %bb.18:
	v_lshlrev_b32_e32 v1, 3, v1
	global_load_dwordx2 v[16:17], v1, s[56:57]
.LBB1224_19:
	s_or_b64 exec, exec, s[4:5]
	v_or_b32_e32 v1, 0x800, v0
	v_cmp_gt_u32_e32 vcc, s33, v1
                                        ; implicit-def: $vgpr18_vgpr19
	s_and_saveexec_b64 s[4:5], vcc
	s_cbranch_execz .LBB1224_21
; %bb.20:
	v_lshlrev_b32_e32 v1, 3, v1
	global_load_dwordx2 v[18:19], v1, s[56:57]
.LBB1224_21:
	s_or_b64 exec, exec, s[4:5]
	v_or_b32_e32 v1, 0x900, v0
	v_cmp_gt_u32_e32 vcc, s33, v1
                                        ; implicit-def: $vgpr20_vgpr21
	s_and_saveexec_b64 s[4:5], vcc
	s_cbranch_execz .LBB1224_23
; %bb.22:
	v_lshlrev_b32_e32 v1, 3, v1
	global_load_dwordx2 v[20:21], v1, s[56:57]
.LBB1224_23:
	s_or_b64 exec, exec, s[4:5]
	v_or_b32_e32 v1, 0xa00, v0
	v_cmp_gt_u32_e32 vcc, s33, v1
                                        ; implicit-def: $vgpr22_vgpr23
	s_and_saveexec_b64 s[4:5], vcc
	s_cbranch_execz .LBB1224_25
; %bb.24:
	v_lshlrev_b32_e32 v1, 3, v1
	global_load_dwordx2 v[22:23], v1, s[56:57]
.LBB1224_25:
	s_or_b64 exec, exec, s[4:5]
	v_or_b32_e32 v1, 0xb00, v0
	v_cmp_gt_u32_e32 vcc, s33, v1
                                        ; implicit-def: $vgpr24_vgpr25
	s_and_saveexec_b64 s[4:5], vcc
	s_cbranch_execz .LBB1224_27
; %bb.26:
	v_lshlrev_b32_e32 v1, 3, v1
	global_load_dwordx2 v[24:25], v1, s[56:57]
.LBB1224_27:
	s_or_b64 exec, exec, s[4:5]
	v_or_b32_e32 v1, 0xc00, v0
	v_cmp_gt_u32_e32 vcc, s33, v1
                                        ; implicit-def: $vgpr26_vgpr27
	s_and_saveexec_b64 s[4:5], vcc
	s_cbranch_execz .LBB1224_29
; %bb.28:
	v_lshlrev_b32_e32 v1, 3, v1
	global_load_dwordx2 v[26:27], v1, s[56:57]
.LBB1224_29:
	s_or_b64 exec, exec, s[4:5]
	v_or_b32_e32 v1, 0xd00, v0
	v_cmp_gt_u32_e32 vcc, s33, v1
                                        ; implicit-def: $vgpr28_vgpr29
	s_and_saveexec_b64 s[4:5], vcc
	s_cbranch_execz .LBB1224_31
; %bb.30:
	v_lshlrev_b32_e32 v1, 3, v1
	global_load_dwordx2 v[28:29], v1, s[56:57]
.LBB1224_31:
	s_or_b64 exec, exec, s[4:5]
	v_or_b32_e32 v1, 0xe00, v0
	v_cmp_gt_u32_e32 vcc, s33, v1
                                        ; implicit-def: $vgpr30_vgpr31
	s_and_saveexec_b64 s[4:5], vcc
	s_cbranch_execz .LBB1224_33
; %bb.32:
	v_lshlrev_b32_e32 v1, 3, v1
	global_load_dwordx2 v[30:31], v1, s[56:57]
.LBB1224_33:
	s_or_b64 exec, exec, s[4:5]
	v_lshlrev_b32_e32 v32, 3, v0
	s_movk_i32 s3, 0x70
	v_mad_u32_u24 v1, v0, s3, v32
	s_waitcnt vmcnt(0)
	ds_write2st64_b64 v32, v[2:3], v[4:5] offset1:4
	ds_write2st64_b64 v32, v[6:7], v[8:9] offset0:8 offset1:12
	ds_write2st64_b64 v32, v[10:11], v[12:13] offset0:16 offset1:20
	;; [unrolled: 1-line block ×6, first 2 shown]
	ds_write_b64 v32, v[30:31] offset:28672
	s_waitcnt lgkmcnt(0)
	s_barrier
	ds_read2_b64 v[26:29], v1 offset1:1
	ds_read2_b64 v[22:25], v1 offset0:2 offset1:3
	ds_read2_b64 v[18:21], v1 offset0:4 offset1:5
	;; [unrolled: 1-line block ×6, first 2 shown]
	ds_read_b64 v[74:75], v1 offset:112
	s_ashr_i32 s3, s2, 31
	v_pk_mov_b32 v[30:31], s[2:3], s[2:3] op_sel:[0,1]
	s_waitcnt lgkmcnt(7)
	v_mov_b32_e32 v58, v26
	v_mov_b32_e32 v59, v27
	s_waitcnt lgkmcnt(6)
	v_mov_b32_e32 v60, v22
	v_mov_b32_e32 v61, v23
	;; [unrolled: 3-line block ×7, first 2 shown]
	s_waitcnt lgkmcnt(0)
	s_barrier
	ds_write2st64_b64 v32, v[30:31], v[30:31] offset1:4
	ds_write2st64_b64 v32, v[30:31], v[30:31] offset0:8 offset1:12
	ds_write2st64_b64 v32, v[30:31], v[30:31] offset0:16 offset1:20
	;; [unrolled: 1-line block ×6, first 2 shown]
	ds_write_b64 v32, v[30:31] offset:28672
	s_waitcnt lgkmcnt(0)
	s_barrier
.LBB1224_34:
	s_waitcnt lgkmcnt(0)
	ds_read2_b64 v[54:57], v1 offset1:1
	ds_read2_b64 v[50:53], v1 offset0:2 offset1:3
	ds_read2_b64 v[46:49], v1 offset0:4 offset1:5
	;; [unrolled: 1-line block ×6, first 2 shown]
	ds_read_b64 v[72:73], v1 offset:112
	s_cmp_eq_u64 s[58:59], 0
	s_cselect_b64 s[46:47], -1, 0
	s_cmp_lg_u64 s[58:59], 0
	s_mov_b64 s[2:3], 0
	s_cselect_b64 s[60:61], -1, 0
	s_and_b64 vcc, exec, s[0:1]
	s_waitcnt lgkmcnt(0)
	s_barrier
	s_cbranch_vccz .LBB1224_40
; %bb.35:
	s_and_b64 vcc, exec, s[60:61]
	s_cbranch_vccz .LBB1224_41
; %bb.36:
	s_add_u32 s0, s56, -8
	s_addc_u32 s1, s57, -1
	s_load_dwordx2 s[62:63], s[0:1], 0x0
	v_lshlrev_b32_e32 v1, 3, v0
	v_cmp_ne_u64_e32 vcc, v[4:5], v[74:75]
	v_cmp_ne_u64_e64 s[0:1], v[2:3], v[4:5]
	v_cmp_ne_u64_e64 s[2:3], v[8:9], v[2:3]
	;; [unrolled: 1-line block ×13, first 2 shown]
	v_cmp_ne_u32_e64 s[28:29], 0, v0
	s_waitcnt lgkmcnt(0)
	v_pk_mov_b32 v[76:77], s[62:63], s[62:63] op_sel:[0,1]
	ds_write_b64 v1, v[74:75]
	s_waitcnt lgkmcnt(0)
	s_barrier
	s_and_saveexec_b64 s[62:63], s[28:29]
	s_cbranch_execz .LBB1224_38
; %bb.37:
	v_add_u32_e32 v1, -8, v1
	ds_read_b64 v[76:77], v1
.LBB1224_38:
	s_or_b64 exec, exec, s[62:63]
	v_cndmask_b32_e64 v1, 0, 1, vcc
	v_cndmask_b32_e64 v100, 0, 1, s[0:1]
	v_cndmask_b32_e64 v101, 0, 1, s[2:3]
	;; [unrolled: 1-line block ×13, first 2 shown]
	s_waitcnt lgkmcnt(0)
	v_cmp_ne_u64_e64 s[0:1], v[76:77], v[26:27]
	s_mov_b64 s[2:3], -1
.LBB1224_39:
                                        ; implicit-def: $sgpr7
	s_branch .LBB1224_53
.LBB1224_40:
                                        ; implicit-def: $sgpr0_sgpr1
                                        ; implicit-def: $vgpr1
                                        ; implicit-def: $vgpr100
                                        ; implicit-def: $vgpr101
                                        ; implicit-def: $vgpr102
                                        ; implicit-def: $vgpr103
                                        ; implicit-def: $vgpr104
                                        ; implicit-def: $vgpr105
                                        ; implicit-def: $vgpr106
                                        ; implicit-def: $vgpr107
                                        ; implicit-def: $vgpr108
                                        ; implicit-def: $vgpr109
                                        ; implicit-def: $vgpr110
                                        ; implicit-def: $vgpr111
                                        ; implicit-def: $vgpr112
                                        ; implicit-def: $sgpr7
	s_cbranch_execnz .LBB1224_45
	s_branch .LBB1224_53
.LBB1224_41:
                                        ; implicit-def: $sgpr0_sgpr1
                                        ; implicit-def: $vgpr1
                                        ; implicit-def: $vgpr100
                                        ; implicit-def: $vgpr101
                                        ; implicit-def: $vgpr102
                                        ; implicit-def: $vgpr103
                                        ; implicit-def: $vgpr104
                                        ; implicit-def: $vgpr105
                                        ; implicit-def: $vgpr106
                                        ; implicit-def: $vgpr107
                                        ; implicit-def: $vgpr108
                                        ; implicit-def: $vgpr109
                                        ; implicit-def: $vgpr110
                                        ; implicit-def: $vgpr111
                                        ; implicit-def: $vgpr112
	s_cbranch_execz .LBB1224_39
; %bb.42:
	v_cmp_ne_u64_e32 vcc, v[28:29], v[58:59]
	v_cndmask_b32_e64 v112, 0, 1, vcc
	v_cmp_ne_u64_e32 vcc, v[28:29], v[60:61]
	v_cndmask_b32_e64 v111, 0, 1, vcc
	v_cmp_ne_u64_e32 vcc, v[60:61], v[24:25]
	v_cndmask_b32_e64 v110, 0, 1, vcc
	v_cmp_ne_u64_e32 vcc, v[62:63], v[24:25]
	v_cndmask_b32_e64 v109, 0, 1, vcc
	v_cmp_ne_u64_e32 vcc, v[20:21], v[62:63]
	v_cndmask_b32_e64 v108, 0, 1, vcc
	v_cmp_ne_u64_e32 vcc, v[20:21], v[64:65]
	v_cndmask_b32_e64 v107, 0, 1, vcc
	v_cmp_ne_u64_e32 vcc, v[64:65], v[16:17]
	v_cndmask_b32_e64 v106, 0, 1, vcc
	v_cmp_ne_u64_e32 vcc, v[66:67], v[16:17]
	v_cndmask_b32_e64 v105, 0, 1, vcc
	v_cmp_ne_u64_e32 vcc, v[12:13], v[66:67]
	v_cndmask_b32_e64 v104, 0, 1, vcc
	v_cmp_ne_u64_e32 vcc, v[12:13], v[68:69]
	v_cndmask_b32_e64 v103, 0, 1, vcc
	v_cmp_ne_u64_e32 vcc, v[68:69], v[8:9]
	v_cndmask_b32_e64 v102, 0, 1, vcc
	v_cmp_ne_u64_e32 vcc, v[70:71], v[8:9]
	v_cndmask_b32_e64 v101, 0, 1, vcc
	v_cmp_ne_u64_e32 vcc, v[4:5], v[70:71]
	v_cndmask_b32_e64 v100, 0, 1, vcc
	v_cmp_ne_u64_e32 vcc, v[4:5], v[74:75]
	v_lshlrev_b32_e32 v76, 3, v0
	v_cndmask_b32_e64 v1, 0, 1, vcc
	v_cmp_ne_u32_e32 vcc, 0, v0
	ds_write_b64 v76, v[74:75]
	s_waitcnt lgkmcnt(0)
	s_barrier
	s_waitcnt lgkmcnt(0)
                                        ; implicit-def: $sgpr0_sgpr1
	s_and_saveexec_b64 s[4:5], vcc
	s_xor_b64 s[4:5], exec, s[4:5]
	s_cbranch_execz .LBB1224_44
; %bb.43:
	v_add_u32_e32 v58, -8, v76
	ds_read_b64 v[58:59], v58
	s_or_b64 s[2:3], s[2:3], exec
	s_waitcnt lgkmcnt(0)
	v_cmp_ne_u64_e32 vcc, v[58:59], v[26:27]
	s_and_b64 s[0:1], vcc, exec
.LBB1224_44:
	s_or_b64 exec, exec, s[4:5]
	s_mov_b32 s7, 1
	s_branch .LBB1224_53
.LBB1224_45:
	s_mul_hi_u32 s1, s58, 0xfffff100
	s_mul_i32 s0, s59, 0xfffff100
	s_sub_i32 s1, s1, s58
	s_add_i32 s1, s1, s0
	s_mul_i32 s0, s58, 0xfffff100
	s_add_u32 s4, s0, s48
	s_addc_u32 s5, s1, s49
	s_and_b64 vcc, exec, s[60:61]
	s_cbranch_vccz .LBB1224_50
; %bb.46:
	s_add_u32 s0, s56, -8
	s_addc_u32 s1, s57, -1
	v_mad_u32_u24 v60, v0, 15, 14
	v_mov_b32_e32 v61, 0
	s_load_dwordx2 s[56:57], s[0:1], 0x0
	v_cmp_gt_u64_e32 vcc, s[4:5], v[60:61]
	v_cmp_ne_u64_e64 s[0:1], v[4:5], v[74:75]
	v_mad_u32_u24 v60, v0, 15, 13
	s_and_b64 s[2:3], vcc, s[0:1]
	v_cmp_gt_u64_e32 vcc, s[4:5], v[60:61]
	v_cmp_ne_u64_e64 s[0:1], v[2:3], v[4:5]
	v_mad_u32_u24 v60, v0, 15, 12
	s_and_b64 s[8:9], vcc, s[0:1]
	v_cmp_gt_u64_e32 vcc, s[4:5], v[60:61]
	v_cmp_ne_u64_e64 s[0:1], v[8:9], v[2:3]
	v_mad_u32_u24 v60, v0, 15, 11
	s_and_b64 s[10:11], vcc, s[0:1]
	v_cmp_gt_u64_e32 vcc, s[4:5], v[60:61]
	v_cmp_ne_u64_e64 s[0:1], v[6:7], v[8:9]
	v_mad_u32_u24 v60, v0, 15, 10
	s_and_b64 s[12:13], vcc, s[0:1]
	v_cmp_gt_u64_e32 vcc, s[4:5], v[60:61]
	v_cmp_ne_u64_e64 s[0:1], v[12:13], v[6:7]
	v_mad_u32_u24 v60, v0, 15, 9
	s_and_b64 s[14:15], vcc, s[0:1]
	v_cmp_gt_u64_e32 vcc, s[4:5], v[60:61]
	v_cmp_ne_u64_e64 s[0:1], v[10:11], v[12:13]
	v_mad_u32_u24 v60, v0, 15, 8
	s_and_b64 s[16:17], vcc, s[0:1]
	v_cmp_gt_u64_e32 vcc, s[4:5], v[60:61]
	v_cmp_ne_u64_e64 s[0:1], v[16:17], v[10:11]
	v_mad_u32_u24 v60, v0, 15, 7
	s_and_b64 s[18:19], vcc, s[0:1]
	v_cmp_gt_u64_e32 vcc, s[4:5], v[60:61]
	v_cmp_ne_u64_e64 s[0:1], v[14:15], v[16:17]
	v_mad_u32_u24 v60, v0, 15, 6
	s_and_b64 s[20:21], vcc, s[0:1]
	v_cmp_gt_u64_e32 vcc, s[4:5], v[60:61]
	v_cmp_ne_u64_e64 s[0:1], v[20:21], v[14:15]
	v_mad_u32_u24 v60, v0, 15, 5
	s_and_b64 s[22:23], vcc, s[0:1]
	v_cmp_gt_u64_e32 vcc, s[4:5], v[60:61]
	v_cmp_ne_u64_e64 s[0:1], v[18:19], v[20:21]
	v_mad_u32_u24 v60, v0, 15, 4
	s_and_b64 s[24:25], vcc, s[0:1]
	v_cmp_gt_u64_e32 vcc, s[4:5], v[60:61]
	v_cmp_ne_u64_e64 s[0:1], v[24:25], v[18:19]
	v_mad_u32_u24 v60, v0, 15, 3
	s_and_b64 s[26:27], vcc, s[0:1]
	v_cmp_gt_u64_e32 vcc, s[4:5], v[60:61]
	v_cmp_ne_u64_e64 s[0:1], v[22:23], v[24:25]
	v_mad_u32_u24 v60, v0, 15, 2
	s_and_b64 s[28:29], vcc, s[0:1]
	v_cmp_gt_u64_e32 vcc, s[4:5], v[60:61]
	v_cmp_ne_u64_e64 s[0:1], v[28:29], v[22:23]
	v_mad_u32_u24 v60, v0, 15, 1
	s_and_b64 s[48:49], vcc, s[0:1]
	v_cmp_gt_u64_e32 vcc, s[4:5], v[60:61]
	v_cmp_ne_u64_e64 s[0:1], v[26:27], v[28:29]
	v_lshlrev_b32_e32 v1, 3, v0
	v_mul_u32_u24_e32 v58, 15, v0
	s_and_b64 s[0:1], vcc, s[0:1]
	v_cmp_ne_u32_e32 vcc, 0, v0
	s_waitcnt lgkmcnt(0)
	v_pk_mov_b32 v[62:63], s[56:57], s[56:57] op_sel:[0,1]
	ds_write_b64 v1, v[74:75]
	s_waitcnt lgkmcnt(0)
	s_barrier
	s_and_saveexec_b64 s[56:57], vcc
	s_cbranch_execz .LBB1224_48
; %bb.47:
	v_add_u32_e32 v1, -8, v1
	ds_read_b64 v[62:63], v1
.LBB1224_48:
	s_or_b64 exec, exec, s[56:57]
	v_mov_b32_e32 v59, v61
	v_cndmask_b32_e64 v112, 0, 1, s[0:1]
	v_cmp_gt_u64_e32 vcc, s[4:5], v[58:59]
	s_waitcnt lgkmcnt(0)
	v_cmp_ne_u64_e64 s[0:1], v[62:63], v[26:27]
	v_cndmask_b32_e64 v1, 0, 1, s[2:3]
	v_cndmask_b32_e64 v100, 0, 1, s[8:9]
	;; [unrolled: 1-line block ×13, first 2 shown]
	s_and_b64 s[0:1], vcc, s[0:1]
	s_mov_b64 s[2:3], -1
.LBB1224_49:
                                        ; implicit-def: $sgpr7
	v_mov_b32_e32 v113, s7
	s_and_saveexec_b64 s[4:5], s[2:3]
	s_cbranch_execnz .LBB1224_54
	s_branch .LBB1224_55
.LBB1224_50:
                                        ; implicit-def: $sgpr0_sgpr1
                                        ; implicit-def: $vgpr1
                                        ; implicit-def: $vgpr100
                                        ; implicit-def: $vgpr101
                                        ; implicit-def: $vgpr102
                                        ; implicit-def: $vgpr103
                                        ; implicit-def: $vgpr104
                                        ; implicit-def: $vgpr105
                                        ; implicit-def: $vgpr106
                                        ; implicit-def: $vgpr107
                                        ; implicit-def: $vgpr108
                                        ; implicit-def: $vgpr109
                                        ; implicit-def: $vgpr110
                                        ; implicit-def: $vgpr111
                                        ; implicit-def: $vgpr112
	s_cbranch_execz .LBB1224_49
; %bb.51:
	v_mad_u32_u24 v58, v0, 15, 14
	v_mov_b32_e32 v59, 0
	v_cmp_gt_u64_e32 vcc, s[4:5], v[58:59]
	v_cmp_ne_u64_e64 s[0:1], v[4:5], v[74:75]
	s_and_b64 s[0:1], vcc, s[0:1]
	v_mad_u32_u24 v58, v0, 15, 13
	v_cndmask_b32_e64 v1, 0, 1, s[0:1]
	v_cmp_gt_u64_e32 vcc, s[4:5], v[58:59]
	v_cmp_ne_u64_e64 s[0:1], v[2:3], v[4:5]
	s_and_b64 s[0:1], vcc, s[0:1]
	v_mad_u32_u24 v58, v0, 15, 12
	v_cndmask_b32_e64 v100, 0, 1, s[0:1]
	;; [unrolled: 5-line block ×13, first 2 shown]
	v_cmp_gt_u64_e32 vcc, s[4:5], v[58:59]
	v_cmp_ne_u64_e64 s[0:1], v[26:27], v[28:29]
	s_and_b64 s[0:1], vcc, s[0:1]
	v_lshlrev_b32_e32 v60, 3, v0
	s_mov_b32 s7, 1
	v_cndmask_b32_e64 v112, 0, 1, s[0:1]
	v_cmp_ne_u32_e32 vcc, 0, v0
	ds_write_b64 v60, v[74:75]
	s_waitcnt lgkmcnt(0)
	s_barrier
	s_waitcnt lgkmcnt(0)
                                        ; implicit-def: $sgpr0_sgpr1
	s_and_saveexec_b64 s[8:9], vcc
	s_cbranch_execz .LBB1224_194
; %bb.52:
	v_add_u32_e32 v58, -8, v60
	ds_read_b64 v[60:61], v58
	v_mul_u32_u24_e32 v58, 15, v0
	v_cmp_gt_u64_e32 vcc, s[4:5], v[58:59]
	s_or_b64 s[2:3], s[2:3], exec
	s_waitcnt lgkmcnt(0)
	v_cmp_ne_u64_e64 s[0:1], v[60:61], v[26:27]
	s_and_b64 s[0:1], vcc, s[0:1]
	s_and_b64 s[0:1], s[0:1], exec
	s_or_b64 exec, exec, s[8:9]
.LBB1224_53:
	v_mov_b32_e32 v113, s7
	s_and_saveexec_b64 s[4:5], s[2:3]
.LBB1224_54:
	v_cndmask_b32_e64 v113, 0, 1, s[0:1]
.LBB1224_55:
	s_or_b64 exec, exec, s[4:5]
	s_cmp_eq_u64 s[42:43], 0
	v_add3_u32 v58, v112, v113, v111
	v_mov_b32_e32 v64, v54
	v_mov_b32_e32 v65, v55
	s_cselect_b64 s[42:43], -1, 0
	s_cmp_lg_u32 s6, 0
	v_cmp_eq_u32_e64 s[24:25], 0, v112
	v_cmp_eq_u32_e64 s[22:23], 0, v111
	;; [unrolled: 1-line block ×3, first 2 shown]
	v_add3_u32 v115, v58, v110, v109
	v_cmp_eq_u32_e64 s[18:19], 0, v109
	v_cmp_eq_u32_e64 s[16:17], 0, v108
	;; [unrolled: 1-line block ×10, first 2 shown]
	v_cmp_eq_u32_e32 vcc, 0, v1
	v_mbcnt_lo_u32_b32 v114, -1, 0
	s_cbranch_scc0 .LBB1224_126
; %bb.56:
	v_cndmask_b32_e64 v59, 0, v54, s[24:25]
	v_cndmask_b32_e64 v58, 0, v55, s[24:25]
	v_add_co_u32_e64 v59, s[26:27], v59, v56
	v_addc_co_u32_e64 v58, s[26:27], v58, v57, s[26:27]
	v_cndmask_b32_e64 v59, 0, v59, s[22:23]
	v_cndmask_b32_e64 v58, 0, v58, s[22:23]
	v_add_co_u32_e64 v59, s[26:27], v59, v50
	v_addc_co_u32_e64 v58, s[26:27], v58, v51, s[26:27]
	;; [unrolled: 4-line block ×11, first 2 shown]
	v_cndmask_b32_e64 v59, 0, v59, s[2:3]
	v_add3_u32 v60, v115, v108, v107
	v_cndmask_b32_e64 v58, 0, v58, s[2:3]
	v_add_co_u32_e64 v59, s[26:27], v59, v30
	v_add3_u32 v60, v60, v106, v105
	v_addc_co_u32_e64 v58, s[26:27], v58, v31, s[26:27]
	v_cndmask_b32_e64 v59, 0, v59, s[0:1]
	v_add3_u32 v60, v60, v104, v103
	v_cndmask_b32_e64 v58, 0, v58, s[0:1]
	v_add_co_u32_e64 v59, s[26:27], v59, v32
	v_add3_u32 v60, v60, v102, v101
	v_addc_co_u32_e64 v58, s[26:27], v58, v33, s[26:27]
	v_cndmask_b32_e32 v59, 0, v59, vcc
	v_add3_u32 v62, v60, v100, v1
	v_cndmask_b32_e32 v58, 0, v58, vcc
	v_add_co_u32_e32 v60, vcc, v59, v72
	v_mbcnt_hi_u32_b32 v63, -1, v114
	v_addc_co_u32_e32 v61, vcc, v58, v73, vcc
	v_and_b32_e32 v58, 15, v63
	v_mov_b32_dpp v66, v62 row_shr:1 row_mask:0xf bank_mask:0xf
	v_mov_b32_dpp v59, v60 row_shr:1 row_mask:0xf bank_mask:0xf
	;; [unrolled: 1-line block ×3, first 2 shown]
	v_cmp_ne_u32_e32 vcc, 0, v58
	s_and_saveexec_b64 s[26:27], vcc
; %bb.57:
	v_cmp_eq_u32_e32 vcc, 0, v62
	v_cndmask_b32_e32 v59, 0, v59, vcc
	v_add_u32_e32 v66, v66, v62
	v_cndmask_b32_e32 v62, 0, v67, vcc
	v_add_co_u32_e32 v60, vcc, v59, v60
	v_addc_co_u32_e32 v61, vcc, v62, v61, vcc
	v_mov_b32_e32 v62, v66
; %bb.58:
	s_or_b64 exec, exec, s[26:27]
	s_nop 0
	v_mov_b32_dpp v66, v62 row_shr:2 row_mask:0xf bank_mask:0xf
	v_mov_b32_dpp v59, v60 row_shr:2 row_mask:0xf bank_mask:0xf
	v_mov_b32_dpp v67, v61 row_shr:2 row_mask:0xf bank_mask:0xf
	v_cmp_lt_u32_e32 vcc, 1, v58
	s_and_saveexec_b64 s[26:27], vcc
; %bb.59:
	v_cmp_eq_u32_e32 vcc, 0, v62
	v_cndmask_b32_e32 v59, 0, v59, vcc
	v_add_u32_e32 v66, v66, v62
	v_cndmask_b32_e32 v62, 0, v67, vcc
	v_add_co_u32_e32 v60, vcc, v59, v60
	v_addc_co_u32_e32 v61, vcc, v62, v61, vcc
	v_mov_b32_e32 v62, v66
; %bb.60:
	s_or_b64 exec, exec, s[26:27]
	s_nop 0
	v_mov_b32_dpp v66, v62 row_shr:4 row_mask:0xf bank_mask:0xf
	v_mov_b32_dpp v59, v60 row_shr:4 row_mask:0xf bank_mask:0xf
	v_mov_b32_dpp v67, v61 row_shr:4 row_mask:0xf bank_mask:0xf
	v_cmp_lt_u32_e32 vcc, 3, v58
	;; [unrolled: 16-line block ×3, first 2 shown]
	s_and_saveexec_b64 s[26:27], vcc
; %bb.63:
	v_cmp_eq_u32_e32 vcc, 0, v62
	v_cndmask_b32_e32 v59, 0, v59, vcc
	v_add_u32_e32 v58, v66, v62
	v_cndmask_b32_e32 v62, 0, v67, vcc
	v_add_co_u32_e32 v60, vcc, v59, v60
	v_addc_co_u32_e32 v61, vcc, v62, v61, vcc
	v_mov_b32_e32 v62, v58
; %bb.64:
	s_or_b64 exec, exec, s[26:27]
	v_and_b32_e32 v67, 16, v63
	v_mov_b32_dpp v59, v62 row_bcast:15 row_mask:0xf bank_mask:0xf
	v_mov_b32_dpp v58, v60 row_bcast:15 row_mask:0xf bank_mask:0xf
	;; [unrolled: 1-line block ×3, first 2 shown]
	v_cmp_ne_u32_e32 vcc, 0, v67
	s_and_saveexec_b64 s[26:27], vcc
; %bb.65:
	v_cmp_eq_u32_e32 vcc, 0, v62
	v_cndmask_b32_e32 v58, 0, v58, vcc
	v_add_u32_e32 v59, v59, v62
	v_cndmask_b32_e32 v62, 0, v66, vcc
	v_add_co_u32_e32 v60, vcc, v58, v60
	v_addc_co_u32_e32 v61, vcc, v62, v61, vcc
	v_mov_b32_e32 v62, v59
; %bb.66:
	s_or_b64 exec, exec, s[26:27]
	s_nop 0
	v_mov_b32_dpp v59, v62 row_bcast:31 row_mask:0xf bank_mask:0xf
	v_mov_b32_dpp v58, v60 row_bcast:31 row_mask:0xf bank_mask:0xf
	;; [unrolled: 1-line block ×3, first 2 shown]
	v_cmp_lt_u32_e32 vcc, 31, v63
	s_and_saveexec_b64 s[26:27], vcc
; %bb.67:
	v_cmp_eq_u32_e32 vcc, 0, v62
	v_cndmask_b32_e32 v58, 0, v58, vcc
	v_add_u32_e32 v59, v59, v62
	v_cndmask_b32_e32 v62, 0, v66, vcc
	v_add_co_u32_e32 v60, vcc, v58, v60
	v_addc_co_u32_e32 v61, vcc, v62, v61, vcc
	v_mov_b32_e32 v62, v59
; %bb.68:
	s_or_b64 exec, exec, s[26:27]
	v_lshrrev_b32_e32 v58, 6, v0
	v_or_b32_e32 v59, 63, v0
	v_cmp_eq_u32_e32 vcc, v59, v0
	v_lshlrev_b32_e32 v66, 4, v58
	s_and_saveexec_b64 s[26:27], vcc
	s_cbranch_execz .LBB1224_70
; %bb.69:
	ds_write_b32 v66, v62 offset:4128
	ds_write_b64 v66, v[60:61] offset:4136
.LBB1224_70:
	s_or_b64 exec, exec, s[26:27]
	v_cmp_gt_u32_e32 vcc, 4, v0
	s_waitcnt lgkmcnt(0)
	s_barrier
	s_and_saveexec_b64 s[26:27], vcc
	s_cbranch_execz .LBB1224_76
; %bb.71:
	v_lshlrev_b32_e32 v67, 4, v0
	ds_read_b32 v68, v67 offset:4128
	ds_read_b64 v[58:59], v67 offset:4136
	v_and_b32_e32 v69, 3, v63
	v_cmp_ne_u32_e32 vcc, 0, v69
	s_waitcnt lgkmcnt(1)
	v_mov_b32_dpp v71, v68 row_shr:1 row_mask:0xf bank_mask:0xf
	s_waitcnt lgkmcnt(0)
	v_mov_b32_dpp v70, v58 row_shr:1 row_mask:0xf bank_mask:0xf
	v_mov_b32_dpp v76, v59 row_shr:1 row_mask:0xf bank_mask:0xf
	s_and_saveexec_b64 s[48:49], vcc
; %bb.72:
	v_cmp_eq_u32_e32 vcc, 0, v68
	v_cndmask_b32_e32 v70, 0, v70, vcc
	v_add_u32_e32 v71, v71, v68
	v_cndmask_b32_e32 v68, 0, v76, vcc
	v_add_co_u32_e32 v58, vcc, v70, v58
	v_addc_co_u32_e32 v59, vcc, v68, v59, vcc
	v_mov_b32_e32 v68, v71
; %bb.73:
	s_or_b64 exec, exec, s[48:49]
	s_nop 0
	v_mov_b32_dpp v71, v68 row_shr:2 row_mask:0xf bank_mask:0xf
	v_mov_b32_dpp v70, v58 row_shr:2 row_mask:0xf bank_mask:0xf
	;; [unrolled: 1-line block ×3, first 2 shown]
	v_cmp_lt_u32_e32 vcc, 1, v69
	s_and_saveexec_b64 s[48:49], vcc
; %bb.74:
	v_cmp_eq_u32_e32 vcc, 0, v68
	v_cndmask_b32_e32 v70, 0, v70, vcc
	v_add_u32_e32 v69, v71, v68
	v_cndmask_b32_e32 v68, 0, v76, vcc
	v_add_co_u32_e32 v58, vcc, v70, v58
	v_addc_co_u32_e32 v59, vcc, v68, v59, vcc
	v_mov_b32_e32 v68, v69
; %bb.75:
	s_or_b64 exec, exec, s[48:49]
	ds_write_b32 v67, v68 offset:4128
	ds_write_b64 v67, v[58:59] offset:4136
.LBB1224_76:
	s_or_b64 exec, exec, s[26:27]
	v_cmp_gt_u32_e32 vcc, 64, v0
	v_cmp_lt_u32_e64 s[26:27], 63, v0
	v_pk_mov_b32 v[58:59], 0, 0
	v_mov_b32_e32 v76, 0
	s_waitcnt lgkmcnt(0)
	s_barrier
	s_and_saveexec_b64 s[48:49], s[26:27]
	s_cbranch_execz .LBB1224_78
; %bb.77:
	ds_read_b32 v76, v66 offset:4112
	ds_read_b64 v[58:59], v66 offset:4120
	v_cmp_eq_u32_e64 s[26:27], 0, v62
	s_waitcnt lgkmcnt(1)
	v_add_u32_e32 v66, v76, v62
	s_waitcnt lgkmcnt(0)
	v_cndmask_b32_e64 v67, 0, v58, s[26:27]
	v_cndmask_b32_e64 v62, 0, v59, s[26:27]
	v_add_co_u32_e64 v60, s[26:27], v67, v60
	v_addc_co_u32_e64 v61, s[26:27], v62, v61, s[26:27]
	v_mov_b32_e32 v62, v66
.LBB1224_78:
	s_or_b64 exec, exec, s[48:49]
	v_add_u32_e32 v66, -1, v63
	v_and_b32_e32 v67, 64, v63
	v_cmp_lt_i32_e64 s[26:27], v66, v67
	v_cndmask_b32_e64 v66, v66, v63, s[26:27]
	v_lshlrev_b32_e32 v66, 2, v66
	ds_bpermute_b32 v77, v66, v62
	ds_bpermute_b32 v78, v66, v60
	;; [unrolled: 1-line block ×3, first 2 shown]
	v_cmp_eq_u32_e64 s[26:27], 0, v63
	s_and_saveexec_b64 s[48:49], vcc
	s_cbranch_execz .LBB1224_125
; %bb.79:
	v_mov_b32_e32 v67, 0
	ds_read_b32 v80, v67 offset:4176
	ds_read_b64 v[60:61], v67 offset:4184
	s_and_saveexec_b64 s[56:57], s[26:27]
	s_cbranch_execz .LBB1224_81
; %bb.80:
	s_add_i32 s58, s6, 64
	s_mov_b32 s59, 0
	s_lshl_b64 s[60:61], s[58:59], 4
	s_add_u32 s60, s36, s60
	s_addc_u32 s61, s37, s61
	v_mov_b32_e32 v62, s58
	v_mov_b32_e32 v66, 1
	s_waitcnt lgkmcnt(1)
	global_store_dword v67, v80, s[60:61]
	s_waitcnt lgkmcnt(0)
	global_store_dwordx2 v67, v[60:61], s[60:61] offset:8
	s_waitcnt vmcnt(0)
	buffer_wbinvl1_vol
	global_store_byte v62, v66, s[40:41]
.LBB1224_81:
	s_or_b64 exec, exec, s[56:57]
	v_xad_u32 v62, v63, -1, s6
	v_add_u32_e32 v66, 64, v62
	global_load_ubyte v81, v66, s[40:41] glc
	s_waitcnt vmcnt(0)
	v_cmp_eq_u16_e32 vcc, 0, v81
	s_and_saveexec_b64 s[56:57], vcc
	s_cbranch_execz .LBB1224_87
; %bb.82:
	v_mov_b32_e32 v69, s41
	v_add_co_u32_e32 v68, vcc, s40, v66
	v_addc_co_u32_e32 v69, vcc, 0, v69, vcc
	s_mov_b32 s7, 1
	s_mov_b64 s[58:59], 0
.LBB1224_83:                            ; =>This Loop Header: Depth=1
                                        ;     Child Loop BB1224_84 Depth 2
	s_max_u32 s60, s7, 1
.LBB1224_84:                            ;   Parent Loop BB1224_83 Depth=1
                                        ; =>  This Inner Loop Header: Depth=2
	s_add_i32 s60, s60, -1
	s_cmp_eq_u32 s60, 0
	s_sleep 1
	s_cbranch_scc0 .LBB1224_84
; %bb.85:                               ;   in Loop: Header=BB1224_83 Depth=1
	global_load_ubyte v81, v[68:69], off glc
	s_cmp_lt_u32 s7, 32
	s_cselect_b64 s[60:61], -1, 0
	s_cmp_lg_u64 s[60:61], 0
	s_addc_u32 s7, s7, 0
	s_waitcnt vmcnt(0)
	v_cmp_ne_u16_e32 vcc, 0, v81
	s_or_b64 s[58:59], vcc, s[58:59]
	s_andn2_b64 exec, exec, s[58:59]
	s_cbranch_execnz .LBB1224_83
; %bb.86:
	s_or_b64 exec, exec, s[58:59]
.LBB1224_87:
	s_or_b64 exec, exec, s[56:57]
	v_mov_b32_e32 v68, s39
	v_mov_b32_e32 v69, s37
	v_cmp_eq_u16_e32 vcc, 1, v81
	v_cndmask_b32_e32 v68, v68, v69, vcc
	v_mov_b32_e32 v69, s38
	v_mov_b32_e32 v70, s36
	v_cndmask_b32_e32 v69, v69, v70, vcc
	v_lshlrev_b64 v[66:67], 4, v[66:67]
	v_add_co_u32_e32 v66, vcc, v69, v66
	v_addc_co_u32_e32 v67, vcc, v68, v67, vcc
	s_waitcnt lgkmcnt(0)
	buffer_wbinvl1_vol
	global_load_dword v96, v[66:67], off
	global_load_dwordx2 v[70:71], v[66:67], off offset:8
	v_cmp_eq_u16_e32 vcc, 2, v81
	v_lshlrev_b64 v[66:67], v63, -1
	v_and_b32_e32 v82, 63, v63
	v_and_b32_e32 v68, vcc_hi, v67
	v_and_b32_e32 v86, vcc_lo, v66
	v_cmp_ne_u32_e32 vcc, 63, v82
	v_addc_co_u32_e32 v69, vcc, 0, v63, vcc
	v_lshlrev_b32_e32 v83, 2, v69
	v_or_b32_e32 v68, 0x80000000, v68
	v_ffbl_b32_e32 v68, v68
	v_add_u32_e32 v68, 32, v68
	v_ffbl_b32_e32 v86, v86
	v_min_u32_e32 v68, v86, v68
	v_cmp_lt_u32_e32 vcc, v82, v68
	s_waitcnt vmcnt(1)
	ds_bpermute_b32 v84, v83, v96
	s_waitcnt vmcnt(0)
	ds_bpermute_b32 v69, v83, v70
	ds_bpermute_b32 v85, v83, v71
	s_and_saveexec_b64 s[56:57], vcc
	s_cbranch_execz .LBB1224_89
; %bb.88:
	v_cmp_eq_u32_e32 vcc, 0, v96
	s_waitcnt lgkmcnt(1)
	v_cndmask_b32_e32 v69, 0, v69, vcc
	v_add_u32_e32 v84, v84, v96
	s_waitcnt lgkmcnt(0)
	v_cndmask_b32_e32 v85, 0, v85, vcc
	v_add_co_u32_e32 v70, vcc, v69, v70
	v_addc_co_u32_e32 v71, vcc, v85, v71, vcc
	v_mov_b32_e32 v96, v84
.LBB1224_89:
	s_or_b64 exec, exec, s[56:57]
	v_cmp_gt_u32_e32 vcc, 62, v82
	s_waitcnt lgkmcnt(1)
	v_cndmask_b32_e64 v69, 0, 1, vcc
	v_lshlrev_b32_e32 v69, 1, v69
	v_add_lshl_u32 v84, v69, v63, 2
	ds_bpermute_b32 v86, v84, v96
	ds_bpermute_b32 v69, v84, v70
	ds_bpermute_b32 v87, v84, v71
	s_waitcnt lgkmcnt(3)
	v_add_u32_e32 v85, 2, v82
	v_cmp_le_u32_e32 vcc, v85, v68
	s_and_saveexec_b64 s[56:57], vcc
	s_cbranch_execz .LBB1224_91
; %bb.90:
	v_cmp_eq_u32_e32 vcc, 0, v96
	s_waitcnt lgkmcnt(1)
	v_cndmask_b32_e32 v69, 0, v69, vcc
	v_add_u32_e32 v86, v86, v96
	s_waitcnt lgkmcnt(0)
	v_cndmask_b32_e32 v87, 0, v87, vcc
	v_add_co_u32_e32 v70, vcc, v69, v70
	v_addc_co_u32_e32 v71, vcc, v87, v71, vcc
	v_mov_b32_e32 v96, v86
.LBB1224_91:
	s_or_b64 exec, exec, s[56:57]
	v_cmp_gt_u32_e32 vcc, 60, v82
	s_waitcnt lgkmcnt(1)
	v_cndmask_b32_e64 v69, 0, 1, vcc
	v_lshlrev_b32_e32 v69, 2, v69
	v_add_lshl_u32 v86, v69, v63, 2
	ds_bpermute_b32 v88, v86, v96
	ds_bpermute_b32 v69, v86, v70
	ds_bpermute_b32 v89, v86, v71
	s_waitcnt lgkmcnt(3)
	v_add_u32_e32 v87, 4, v82
	v_cmp_le_u32_e32 vcc, v87, v68
	s_and_saveexec_b64 s[56:57], vcc
	s_cbranch_execz .LBB1224_93
; %bb.92:
	v_cmp_eq_u32_e32 vcc, 0, v96
	s_waitcnt lgkmcnt(1)
	v_cndmask_b32_e32 v69, 0, v69, vcc
	v_add_u32_e32 v88, v88, v96
	s_waitcnt lgkmcnt(0)
	v_cndmask_b32_e32 v89, 0, v89, vcc
	v_add_co_u32_e32 v70, vcc, v69, v70
	v_addc_co_u32_e32 v71, vcc, v89, v71, vcc
	v_mov_b32_e32 v96, v88
.LBB1224_93:
	s_or_b64 exec, exec, s[56:57]
	v_cmp_gt_u32_e32 vcc, 56, v82
	s_waitcnt lgkmcnt(1)
	v_cndmask_b32_e64 v69, 0, 1, vcc
	v_lshlrev_b32_e32 v69, 3, v69
	v_add_lshl_u32 v88, v69, v63, 2
	ds_bpermute_b32 v90, v88, v96
	ds_bpermute_b32 v69, v88, v70
	ds_bpermute_b32 v91, v88, v71
	s_waitcnt lgkmcnt(3)
	v_add_u32_e32 v89, 8, v82
	v_cmp_le_u32_e32 vcc, v89, v68
	s_and_saveexec_b64 s[56:57], vcc
	s_cbranch_execz .LBB1224_95
; %bb.94:
	v_cmp_eq_u32_e32 vcc, 0, v96
	s_waitcnt lgkmcnt(1)
	v_cndmask_b32_e32 v69, 0, v69, vcc
	v_add_u32_e32 v90, v90, v96
	s_waitcnt lgkmcnt(0)
	v_cndmask_b32_e32 v91, 0, v91, vcc
	v_add_co_u32_e32 v70, vcc, v69, v70
	v_addc_co_u32_e32 v71, vcc, v91, v71, vcc
	v_mov_b32_e32 v96, v90
.LBB1224_95:
	s_or_b64 exec, exec, s[56:57]
	v_cmp_gt_u32_e32 vcc, 48, v82
	s_waitcnt lgkmcnt(1)
	v_cndmask_b32_e64 v69, 0, 1, vcc
	v_lshlrev_b32_e32 v69, 4, v69
	v_add_lshl_u32 v90, v69, v63, 2
	ds_bpermute_b32 v92, v90, v96
	ds_bpermute_b32 v69, v90, v70
	ds_bpermute_b32 v93, v90, v71
	s_waitcnt lgkmcnt(3)
	v_add_u32_e32 v91, 16, v82
	v_cmp_le_u32_e32 vcc, v91, v68
	s_and_saveexec_b64 s[56:57], vcc
	s_cbranch_execz .LBB1224_97
; %bb.96:
	v_cmp_eq_u32_e32 vcc, 0, v96
	s_waitcnt lgkmcnt(1)
	v_cndmask_b32_e32 v69, 0, v69, vcc
	v_add_u32_e32 v92, v92, v96
	s_waitcnt lgkmcnt(0)
	v_cndmask_b32_e32 v93, 0, v93, vcc
	v_add_co_u32_e32 v70, vcc, v69, v70
	v_addc_co_u32_e32 v71, vcc, v93, v71, vcc
	v_mov_b32_e32 v96, v92
.LBB1224_97:
	s_or_b64 exec, exec, s[56:57]
	v_cmp_gt_u32_e32 vcc, 32, v82
	s_waitcnt lgkmcnt(1)
	v_cndmask_b32_e64 v69, 0, 1, vcc
	v_lshlrev_b32_e32 v69, 5, v69
	v_add_lshl_u32 v92, v69, v63, 2
	ds_bpermute_b32 v69, v92, v96
	ds_bpermute_b32 v63, v92, v70
	s_waitcnt lgkmcnt(2)
	ds_bpermute_b32 v93, v92, v71
	v_add_u32_e32 v94, 32, v82
	v_cmp_le_u32_e32 vcc, v94, v68
	s_and_saveexec_b64 s[56:57], vcc
	s_cbranch_execz .LBB1224_99
; %bb.98:
	v_cmp_eq_u32_e32 vcc, 0, v96
	s_waitcnt lgkmcnt(1)
	v_cndmask_b32_e32 v63, 0, v63, vcc
	v_add_u32_e32 v68, v69, v96
	s_waitcnt lgkmcnt(0)
	v_cndmask_b32_e32 v69, 0, v93, vcc
	v_add_co_u32_e32 v70, vcc, v63, v70
	v_addc_co_u32_e32 v71, vcc, v69, v71, vcc
	v_mov_b32_e32 v96, v68
.LBB1224_99:
	s_or_b64 exec, exec, s[56:57]
	s_waitcnt lgkmcnt(1)
	v_mov_b32_e32 v63, 0
	v_mov_b32_e32 v95, 2
	s_branch .LBB1224_101
.LBB1224_100:                           ;   in Loop: Header=BB1224_101 Depth=1
	s_or_b64 exec, exec, s[56:57]
	v_cmp_eq_u32_e32 vcc, 0, v93
	v_cndmask_b32_e32 v70, 0, v70, vcc
	v_cndmask_b32_e32 v71, 0, v71, vcc
	v_add_co_u32_e32 v70, vcc, v70, v68
	v_subrev_u32_e32 v62, 64, v62
	v_add_u32_e32 v96, v97, v93
	v_addc_co_u32_e32 v71, vcc, v71, v69, vcc
.LBB1224_101:                           ; =>This Loop Header: Depth=1
                                        ;     Child Loop BB1224_104 Depth 2
                                        ;       Child Loop BB1224_105 Depth 3
	v_cmp_ne_u16_sdwa s[56:57], v81, v95 src0_sel:BYTE_0 src1_sel:DWORD
	v_pk_mov_b32 v[68:69], v[70:71], v[70:71] op_sel:[0,1]
	v_cndmask_b32_e64 v70, 0, 1, s[56:57]
	;;#ASMSTART
	;;#ASMEND
	v_cmp_ne_u32_e32 vcc, 0, v70
	s_cmp_lg_u64 vcc, exec
	s_waitcnt lgkmcnt(0)
	v_mov_b32_e32 v93, v96
	s_cbranch_scc1 .LBB1224_120
; %bb.102:                              ;   in Loop: Header=BB1224_101 Depth=1
	global_load_ubyte v81, v62, s[40:41] glc
	s_waitcnt vmcnt(0)
	v_cmp_eq_u16_e32 vcc, 0, v81
	s_and_saveexec_b64 s[56:57], vcc
	s_cbranch_execz .LBB1224_108
; %bb.103:                              ;   in Loop: Header=BB1224_101 Depth=1
	v_mov_b32_e32 v71, s41
	v_add_co_u32_e32 v70, vcc, s40, v62
	v_addc_co_u32_e32 v71, vcc, 0, v71, vcc
	s_mov_b32 s7, 1
	s_mov_b64 s[58:59], 0
.LBB1224_104:                           ;   Parent Loop BB1224_101 Depth=1
                                        ; =>  This Loop Header: Depth=2
                                        ;       Child Loop BB1224_105 Depth 3
	s_max_u32 s60, s7, 1
.LBB1224_105:                           ;   Parent Loop BB1224_101 Depth=1
                                        ;     Parent Loop BB1224_104 Depth=2
                                        ; =>    This Inner Loop Header: Depth=3
	s_add_i32 s60, s60, -1
	s_cmp_eq_u32 s60, 0
	s_sleep 1
	s_cbranch_scc0 .LBB1224_105
; %bb.106:                              ;   in Loop: Header=BB1224_104 Depth=2
	global_load_ubyte v81, v[70:71], off glc
	s_cmp_lt_u32 s7, 32
	s_cselect_b64 s[60:61], -1, 0
	s_cmp_lg_u64 s[60:61], 0
	s_addc_u32 s7, s7, 0
	s_waitcnt vmcnt(0)
	v_cmp_ne_u16_e32 vcc, 0, v81
	s_or_b64 s[58:59], vcc, s[58:59]
	s_andn2_b64 exec, exec, s[58:59]
	s_cbranch_execnz .LBB1224_104
; %bb.107:                              ;   in Loop: Header=BB1224_101 Depth=1
	s_or_b64 exec, exec, s[58:59]
.LBB1224_108:                           ;   in Loop: Header=BB1224_101 Depth=1
	s_or_b64 exec, exec, s[56:57]
	v_mov_b32_e32 v70, s39
	v_mov_b32_e32 v71, s37
	v_cmp_eq_u16_e32 vcc, 1, v81
	v_cndmask_b32_e32 v96, v70, v71, vcc
	v_mov_b32_e32 v70, s38
	v_mov_b32_e32 v71, s36
	v_cndmask_b32_e32 v97, v70, v71, vcc
	v_lshlrev_b64 v[70:71], 4, v[62:63]
	v_add_co_u32_e32 v70, vcc, v97, v70
	v_addc_co_u32_e32 v71, vcc, v96, v71, vcc
	buffer_wbinvl1_vol
	global_load_dword v97, v[70:71], off
	s_nop 0
	global_load_dwordx2 v[70:71], v[70:71], off offset:8
	v_cmp_eq_u16_e32 vcc, 2, v81
	v_and_b32_e32 v96, vcc_hi, v67
	v_or_b32_e32 v96, 0x80000000, v96
	v_and_b32_e32 v117, vcc_lo, v66
	v_ffbl_b32_e32 v96, v96
	v_add_u32_e32 v96, 32, v96
	v_ffbl_b32_e32 v117, v117
	v_min_u32_e32 v96, v117, v96
	v_cmp_lt_u32_e32 vcc, v82, v96
	s_waitcnt vmcnt(1)
	ds_bpermute_b32 v99, v83, v97
	s_waitcnt vmcnt(0)
	ds_bpermute_b32 v98, v83, v70
	ds_bpermute_b32 v116, v83, v71
	s_and_saveexec_b64 s[56:57], vcc
	s_cbranch_execz .LBB1224_110
; %bb.109:                              ;   in Loop: Header=BB1224_101 Depth=1
	v_cmp_eq_u32_e32 vcc, 0, v97
	s_waitcnt lgkmcnt(1)
	v_cndmask_b32_e32 v98, 0, v98, vcc
	v_add_u32_e32 v99, v99, v97
	s_waitcnt lgkmcnt(0)
	v_cndmask_b32_e32 v97, 0, v116, vcc
	v_add_co_u32_e32 v70, vcc, v98, v70
	v_addc_co_u32_e32 v71, vcc, v97, v71, vcc
	v_mov_b32_e32 v97, v99
.LBB1224_110:                           ;   in Loop: Header=BB1224_101 Depth=1
	s_or_b64 exec, exec, s[56:57]
	s_waitcnt lgkmcnt(2)
	ds_bpermute_b32 v99, v84, v97
	s_waitcnt lgkmcnt(2)
	ds_bpermute_b32 v98, v84, v70
	s_waitcnt lgkmcnt(2)
	ds_bpermute_b32 v116, v84, v71
	v_cmp_le_u32_e32 vcc, v85, v96
	s_and_saveexec_b64 s[56:57], vcc
	s_cbranch_execz .LBB1224_112
; %bb.111:                              ;   in Loop: Header=BB1224_101 Depth=1
	v_cmp_eq_u32_e32 vcc, 0, v97
	s_waitcnt lgkmcnt(1)
	v_cndmask_b32_e32 v98, 0, v98, vcc
	v_add_u32_e32 v99, v99, v97
	s_waitcnt lgkmcnt(0)
	v_cndmask_b32_e32 v97, 0, v116, vcc
	v_add_co_u32_e32 v70, vcc, v98, v70
	v_addc_co_u32_e32 v71, vcc, v97, v71, vcc
	v_mov_b32_e32 v97, v99
.LBB1224_112:                           ;   in Loop: Header=BB1224_101 Depth=1
	s_or_b64 exec, exec, s[56:57]
	s_waitcnt lgkmcnt(2)
	ds_bpermute_b32 v99, v86, v97
	s_waitcnt lgkmcnt(2)
	ds_bpermute_b32 v98, v86, v70
	s_waitcnt lgkmcnt(2)
	ds_bpermute_b32 v116, v86, v71
	v_cmp_le_u32_e32 vcc, v87, v96
	s_and_saveexec_b64 s[56:57], vcc
	s_cbranch_execz .LBB1224_114
; %bb.113:                              ;   in Loop: Header=BB1224_101 Depth=1
	v_cmp_eq_u32_e32 vcc, 0, v97
	s_waitcnt lgkmcnt(1)
	v_cndmask_b32_e32 v98, 0, v98, vcc
	v_add_u32_e32 v99, v99, v97
	s_waitcnt lgkmcnt(0)
	v_cndmask_b32_e32 v97, 0, v116, vcc
	v_add_co_u32_e32 v70, vcc, v98, v70
	v_addc_co_u32_e32 v71, vcc, v97, v71, vcc
	v_mov_b32_e32 v97, v99
.LBB1224_114:                           ;   in Loop: Header=BB1224_101 Depth=1
	s_or_b64 exec, exec, s[56:57]
	s_waitcnt lgkmcnt(2)
	ds_bpermute_b32 v99, v88, v97
	s_waitcnt lgkmcnt(2)
	ds_bpermute_b32 v98, v88, v70
	s_waitcnt lgkmcnt(2)
	ds_bpermute_b32 v116, v88, v71
	v_cmp_le_u32_e32 vcc, v89, v96
	s_and_saveexec_b64 s[56:57], vcc
	s_cbranch_execz .LBB1224_116
; %bb.115:                              ;   in Loop: Header=BB1224_101 Depth=1
	v_cmp_eq_u32_e32 vcc, 0, v97
	s_waitcnt lgkmcnt(1)
	v_cndmask_b32_e32 v98, 0, v98, vcc
	v_add_u32_e32 v99, v99, v97
	s_waitcnt lgkmcnt(0)
	v_cndmask_b32_e32 v97, 0, v116, vcc
	v_add_co_u32_e32 v70, vcc, v98, v70
	v_addc_co_u32_e32 v71, vcc, v97, v71, vcc
	v_mov_b32_e32 v97, v99
.LBB1224_116:                           ;   in Loop: Header=BB1224_101 Depth=1
	s_or_b64 exec, exec, s[56:57]
	s_waitcnt lgkmcnt(2)
	ds_bpermute_b32 v99, v90, v97
	s_waitcnt lgkmcnt(2)
	ds_bpermute_b32 v98, v90, v70
	s_waitcnt lgkmcnt(2)
	ds_bpermute_b32 v116, v90, v71
	v_cmp_le_u32_e32 vcc, v91, v96
	s_and_saveexec_b64 s[56:57], vcc
	s_cbranch_execz .LBB1224_118
; %bb.117:                              ;   in Loop: Header=BB1224_101 Depth=1
	v_cmp_eq_u32_e32 vcc, 0, v97
	s_waitcnt lgkmcnt(1)
	v_cndmask_b32_e32 v98, 0, v98, vcc
	v_add_u32_e32 v99, v99, v97
	s_waitcnt lgkmcnt(0)
	v_cndmask_b32_e32 v97, 0, v116, vcc
	v_add_co_u32_e32 v70, vcc, v98, v70
	v_addc_co_u32_e32 v71, vcc, v97, v71, vcc
	v_mov_b32_e32 v97, v99
.LBB1224_118:                           ;   in Loop: Header=BB1224_101 Depth=1
	s_or_b64 exec, exec, s[56:57]
	s_waitcnt lgkmcnt(2)
	ds_bpermute_b32 v99, v92, v97
	s_waitcnt lgkmcnt(2)
	ds_bpermute_b32 v98, v92, v70
	s_waitcnt lgkmcnt(2)
	ds_bpermute_b32 v116, v92, v71
	v_cmp_le_u32_e32 vcc, v94, v96
	s_and_saveexec_b64 s[56:57], vcc
	s_cbranch_execz .LBB1224_100
; %bb.119:                              ;   in Loop: Header=BB1224_101 Depth=1
	v_cmp_eq_u32_e32 vcc, 0, v97
	s_waitcnt lgkmcnt(1)
	v_cndmask_b32_e32 v98, 0, v98, vcc
	v_add_u32_e32 v96, v99, v97
	s_waitcnt lgkmcnt(0)
	v_cndmask_b32_e32 v97, 0, v116, vcc
	v_add_co_u32_e32 v70, vcc, v98, v70
	v_addc_co_u32_e32 v71, vcc, v97, v71, vcc
	v_mov_b32_e32 v97, v96
	s_branch .LBB1224_100
.LBB1224_120:                           ;   in Loop: Header=BB1224_101 Depth=1
                                        ; implicit-def: $vgpr70_vgpr71
                                        ; implicit-def: $vgpr96
                                        ; implicit-def: $vgpr81
	s_cbranch_execz .LBB1224_101
; %bb.121:
	s_and_saveexec_b64 s[36:37], s[26:27]
	s_cbranch_execz .LBB1224_123
; %bb.122:
	s_mov_b32 s7, 0
	v_cmp_eq_u32_e32 vcc, 0, v80
	s_add_i32 s6, s6, 64
	v_cndmask_b32_e32 v62, 0, v68, vcc
	s_lshl_b64 s[56:57], s[6:7], 4
	v_cndmask_b32_e32 v63, 0, v69, vcc
	v_add_co_u32_e32 v62, vcc, v62, v60
	s_add_u32 s56, s38, s56
	v_add_u32_e32 v66, v93, v80
	v_addc_co_u32_e32 v63, vcc, v63, v61, vcc
	s_addc_u32 s57, s39, s57
	v_mov_b32_e32 v67, 0
	global_store_dword v67, v66, s[56:57]
	global_store_dwordx2 v67, v[62:63], s[56:57] offset:8
	v_mov_b32_e32 v62, s6
	v_mov_b32_e32 v63, 2
	s_waitcnt vmcnt(0) lgkmcnt(0)
	buffer_wbinvl1_vol
	global_store_byte v62, v63, s[40:41]
	ds_write_b32 v67, v80 offset:4096
	ds_write_b64 v67, v[60:61] offset:4104
	ds_write_b32 v67, v93 offset:4112
	ds_write_b64 v67, v[68:69] offset:4120
.LBB1224_123:
	s_or_b64 exec, exec, s[36:37]
	v_cmp_eq_u32_e32 vcc, 0, v0
	s_and_b64 exec, exec, vcc
	s_cbranch_execz .LBB1224_125
; %bb.124:
	v_mov_b32_e32 v60, 0
	ds_write_b32 v60, v93 offset:4176
	ds_write_b64 v60, v[68:69] offset:4184
.LBB1224_125:
	s_or_b64 exec, exec, s[48:49]
	v_mov_b32_e32 v63, 0
	s_waitcnt lgkmcnt(0)
	s_barrier
	ds_read_b32 v62, v63 offset:4176
	ds_read_b64 v[60:61], v63 offset:4184
	v_cndmask_b32_e64 v66, v77, v76, s[26:27]
	v_cmp_eq_u32_e32 vcc, 0, v66
	v_cndmask_b32_e64 v58, v78, v58, s[26:27]
	v_cndmask_b32_e64 v59, v79, v59, s[26:27]
	s_waitcnt lgkmcnt(0)
	v_cndmask_b32_e32 v68, 0, v60, vcc
	v_cndmask_b32_e32 v67, 0, v61, vcc
	v_add_co_u32_e32 v58, vcc, v68, v58
	v_addc_co_u32_e32 v67, vcc, v67, v59, vcc
	v_cmp_eq_u32_e32 vcc, 0, v0
	v_cndmask_b32_e64 v59, v66, 0, vcc
	v_cndmask_b32_e32 v95, v67, v61, vcc
	v_cndmask_b32_e32 v94, v58, v60, vcc
	v_cmp_eq_u32_e32 vcc, 0, v113
	v_cndmask_b32_e32 v60, 0, v94, vcc
	v_cndmask_b32_e32 v58, 0, v95, vcc
	v_add_co_u32_e32 v66, vcc, v60, v54
	v_addc_co_u32_e32 v67, vcc, v58, v55, vcc
	v_cndmask_b32_e64 v60, 0, v66, s[24:25]
	v_cndmask_b32_e64 v58, 0, v67, s[24:25]
	v_add_co_u32_e32 v68, vcc, v60, v56
	v_addc_co_u32_e32 v69, vcc, v58, v57, vcc
	v_cndmask_b32_e64 v60, 0, v68, s[22:23]
	v_cndmask_b32_e64 v58, 0, v69, s[22:23]
	;; [unrolled: 4-line block ×11, first 2 shown]
	v_add_co_u32_e32 v92, vcc, v60, v36
	v_add_u32_e32 v59, v62, v59
	v_addc_co_u32_e32 v93, vcc, v58, v37, vcc
	s_barrier
	ds_read_b32 v58, v63 offset:4096
	ds_read_b64 v[60:61], v63 offset:4104
	ds_read_b32 v62, v63 offset:4112
	ds_read_b64 v[116:117], v63 offset:4120
	v_cndmask_b32_e64 v96, 0, v92, s[2:3]
	v_cndmask_b32_e64 v97, 0, v93, s[2:3]
	v_add_co_u32_e32 v96, vcc, v96, v30
	v_addc_co_u32_e32 v97, vcc, v97, v31, vcc
	s_waitcnt lgkmcnt(3)
	v_cmp_eq_u32_e32 vcc, 0, v58
	s_waitcnt lgkmcnt(0)
	v_cndmask_b32_e32 v116, 0, v116, vcc
	v_cndmask_b32_e32 v63, 0, v117, vcc
	v_add_co_u32_e32 v60, vcc, v116, v60
	v_cndmask_b32_e64 v99, 0, v97, s[0:1]
	v_cndmask_b32_e64 v98, 0, v96, s[0:1]
	v_addc_co_u32_e32 v61, vcc, v63, v61, vcc
	s_branch .LBB1224_154
.LBB1224_126:
                                        ; implicit-def: $vgpr58
                                        ; implicit-def: $vgpr60_vgpr61
                                        ; implicit-def: $vgpr62
                                        ; implicit-def: $vgpr94_vgpr95
                                        ; implicit-def: $vgpr66_vgpr67
                                        ; implicit-def: $vgpr68_vgpr69
                                        ; implicit-def: $vgpr70_vgpr71
                                        ; implicit-def: $vgpr76_vgpr77
                                        ; implicit-def: $vgpr78_vgpr79
                                        ; implicit-def: $vgpr80_vgpr81
                                        ; implicit-def: $vgpr82_vgpr83
                                        ; implicit-def: $vgpr84_vgpr85
                                        ; implicit-def: $vgpr86_vgpr87
                                        ; implicit-def: $vgpr88_vgpr89
                                        ; implicit-def: $vgpr90_vgpr91
                                        ; implicit-def: $vgpr92_vgpr93
                                        ; implicit-def: $vgpr96_vgpr97
                                        ; implicit-def: $vgpr98_vgpr99
                                        ; implicit-def: $vgpr59
	s_cbranch_execz .LBB1224_154
; %bb.127:
	s_and_b64 s[0:1], s[42:43], exec
	s_cselect_b32 s1, 0, s31
	s_cselect_b32 s0, 0, s30
	s_cmp_eq_u64 s[0:1], 0
	s_cbranch_scc1 .LBB1224_129
; %bb.128:
	v_mov_b32_e32 v58, 0
	global_load_dwordx2 v[64:65], v58, s[0:1]
.LBB1224_129:
	v_cmp_eq_u32_e64 s[22:23], 0, v112
	v_cndmask_b32_e64 v59, 0, v54, s[22:23]
	v_cndmask_b32_e64 v58, 0, v55, s[22:23]
	v_add_co_u32_e32 v59, vcc, v59, v56
	v_cmp_eq_u32_e64 s[20:21], 0, v111
	v_addc_co_u32_e32 v58, vcc, v58, v57, vcc
	v_cndmask_b32_e64 v59, 0, v59, s[20:21]
	v_cndmask_b32_e64 v58, 0, v58, s[20:21]
	v_add_co_u32_e32 v59, vcc, v59, v50
	v_cmp_eq_u32_e64 s[18:19], 0, v110
	v_addc_co_u32_e32 v58, vcc, v58, v51, vcc
	;; [unrolled: 5-line block ×11, first 2 shown]
	v_cndmask_b32_e64 v59, 0, v59, s[2:3]
	v_cndmask_b32_e64 v58, 0, v58, s[2:3]
	v_add_co_u32_e32 v59, vcc, v59, v30
	v_addc_co_u32_e32 v58, vcc, v58, v31, vcc
	v_cmp_eq_u32_e32 vcc, 0, v100
	v_add3_u32 v60, v115, v108, v107
	v_cndmask_b32_e32 v59, 0, v59, vcc
	v_add3_u32 v60, v60, v106, v105
	v_cndmask_b32_e32 v58, 0, v58, vcc
	v_add_co_u32_e64 v59, s[24:25], v59, v32
	v_add3_u32 v60, v60, v104, v103
	v_addc_co_u32_e64 v58, s[24:25], v58, v33, s[24:25]
	v_add3_u32 v60, v60, v102, v101
	v_cmp_eq_u32_e64 s[24:25], 0, v1
	v_add3_u32 v63, v60, v100, v1
	v_cndmask_b32_e64 v60, 0, v58, s[24:25]
	v_cndmask_b32_e64 v58, 0, v59, s[24:25]
	v_add_co_u32_e64 v58, s[24:25], v58, v72
	v_mbcnt_hi_u32_b32 v62, -1, v114
	v_addc_co_u32_e64 v59, s[24:25], v60, v73, s[24:25]
	v_and_b32_e32 v60, 15, v62
	v_mov_b32_dpp v66, v63 row_shr:1 row_mask:0xf bank_mask:0xf
	v_mov_b32_dpp v61, v58 row_shr:1 row_mask:0xf bank_mask:0xf
	;; [unrolled: 1-line block ×3, first 2 shown]
	v_cmp_ne_u32_e64 s[24:25], 0, v60
	s_and_saveexec_b64 s[26:27], s[24:25]
; %bb.130:
	v_cmp_eq_u32_e64 s[24:25], 0, v63
	v_cndmask_b32_e64 v61, 0, v61, s[24:25]
	v_add_u32_e32 v66, v66, v63
	v_cndmask_b32_e64 v63, 0, v67, s[24:25]
	v_add_co_u32_e64 v58, s[24:25], v61, v58
	v_addc_co_u32_e64 v59, s[24:25], v63, v59, s[24:25]
	v_mov_b32_e32 v63, v66
; %bb.131:
	s_or_b64 exec, exec, s[26:27]
	s_nop 0
	v_mov_b32_dpp v66, v63 row_shr:2 row_mask:0xf bank_mask:0xf
	v_mov_b32_dpp v61, v58 row_shr:2 row_mask:0xf bank_mask:0xf
	v_mov_b32_dpp v67, v59 row_shr:2 row_mask:0xf bank_mask:0xf
	v_cmp_lt_u32_e64 s[24:25], 1, v60
	s_and_saveexec_b64 s[26:27], s[24:25]
; %bb.132:
	v_cmp_eq_u32_e64 s[24:25], 0, v63
	v_cndmask_b32_e64 v61, 0, v61, s[24:25]
	v_add_u32_e32 v66, v66, v63
	v_cndmask_b32_e64 v63, 0, v67, s[24:25]
	v_add_co_u32_e64 v58, s[24:25], v61, v58
	v_addc_co_u32_e64 v59, s[24:25], v63, v59, s[24:25]
	v_mov_b32_e32 v63, v66
; %bb.133:
	s_or_b64 exec, exec, s[26:27]
	s_nop 0
	v_mov_b32_dpp v66, v63 row_shr:4 row_mask:0xf bank_mask:0xf
	v_mov_b32_dpp v61, v58 row_shr:4 row_mask:0xf bank_mask:0xf
	v_mov_b32_dpp v67, v59 row_shr:4 row_mask:0xf bank_mask:0xf
	v_cmp_lt_u32_e64 s[24:25], 3, v60
	;; [unrolled: 16-line block ×3, first 2 shown]
	s_and_saveexec_b64 s[26:27], s[24:25]
; %bb.136:
	v_cmp_eq_u32_e64 s[24:25], 0, v63
	v_cndmask_b32_e64 v61, 0, v61, s[24:25]
	v_add_u32_e32 v60, v66, v63
	v_cndmask_b32_e64 v63, 0, v67, s[24:25]
	v_add_co_u32_e64 v58, s[24:25], v61, v58
	v_addc_co_u32_e64 v59, s[24:25], v63, v59, s[24:25]
	v_mov_b32_e32 v63, v60
; %bb.137:
	s_or_b64 exec, exec, s[26:27]
	v_and_b32_e32 v67, 16, v62
	v_mov_b32_dpp v61, v63 row_bcast:15 row_mask:0xf bank_mask:0xf
	v_mov_b32_dpp v60, v58 row_bcast:15 row_mask:0xf bank_mask:0xf
	;; [unrolled: 1-line block ×3, first 2 shown]
	v_cmp_ne_u32_e64 s[24:25], 0, v67
	s_and_saveexec_b64 s[26:27], s[24:25]
; %bb.138:
	v_cmp_eq_u32_e64 s[24:25], 0, v63
	v_cndmask_b32_e64 v60, 0, v60, s[24:25]
	v_add_u32_e32 v61, v61, v63
	v_cndmask_b32_e64 v63, 0, v66, s[24:25]
	v_add_co_u32_e64 v58, s[24:25], v60, v58
	v_addc_co_u32_e64 v59, s[24:25], v63, v59, s[24:25]
	v_mov_b32_e32 v63, v61
; %bb.139:
	s_or_b64 exec, exec, s[26:27]
	s_nop 0
	v_mov_b32_dpp v61, v63 row_bcast:31 row_mask:0xf bank_mask:0xf
	v_mov_b32_dpp v60, v58 row_bcast:31 row_mask:0xf bank_mask:0xf
	;; [unrolled: 1-line block ×3, first 2 shown]
	v_cmp_lt_u32_e64 s[24:25], 31, v62
	s_and_saveexec_b64 s[26:27], s[24:25]
; %bb.140:
	v_cmp_eq_u32_e64 s[24:25], 0, v63
	v_cndmask_b32_e64 v60, 0, v60, s[24:25]
	v_add_u32_e32 v61, v61, v63
	v_cndmask_b32_e64 v63, 0, v66, s[24:25]
	v_add_co_u32_e64 v58, s[24:25], v60, v58
	v_addc_co_u32_e64 v59, s[24:25], v63, v59, s[24:25]
	v_mov_b32_e32 v63, v61
; %bb.141:
	s_or_b64 exec, exec, s[26:27]
	v_or_b32_e32 v60, 63, v0
	v_lshrrev_b32_e32 v66, 6, v0
	v_cmp_eq_u32_e64 s[24:25], v60, v0
	s_and_saveexec_b64 s[26:27], s[24:25]
	s_cbranch_execz .LBB1224_143
; %bb.142:
	v_lshlrev_b32_e32 v60, 4, v66
	ds_write_b32 v60, v63 offset:4128
	ds_write_b64 v60, v[58:59] offset:4136
.LBB1224_143:
	s_or_b64 exec, exec, s[26:27]
	v_cmp_gt_u32_e64 s[24:25], 4, v0
	s_waitcnt lgkmcnt(0)
	s_barrier
	s_and_saveexec_b64 s[26:27], s[24:25]
	s_cbranch_execz .LBB1224_149
; %bb.144:
	v_lshlrev_b32_e32 v67, 4, v0
	ds_read_b32 v68, v67 offset:4128
	ds_read_b64 v[60:61], v67 offset:4136
	v_and_b32_e32 v69, 3, v62
	v_cmp_ne_u32_e64 s[24:25], 0, v69
	s_waitcnt lgkmcnt(1)
	v_mov_b32_dpp v71, v68 row_shr:1 row_mask:0xf bank_mask:0xf
	s_waitcnt lgkmcnt(0)
	v_mov_b32_dpp v70, v60 row_shr:1 row_mask:0xf bank_mask:0xf
	v_mov_b32_dpp v72, v61 row_shr:1 row_mask:0xf bank_mask:0xf
	s_and_saveexec_b64 s[28:29], s[24:25]
; %bb.145:
	v_cmp_eq_u32_e64 s[24:25], 0, v68
	v_cndmask_b32_e64 v70, 0, v70, s[24:25]
	v_add_u32_e32 v71, v71, v68
	v_cndmask_b32_e64 v68, 0, v72, s[24:25]
	v_add_co_u32_e64 v60, s[24:25], v70, v60
	v_addc_co_u32_e64 v61, s[24:25], v68, v61, s[24:25]
	v_mov_b32_e32 v68, v71
; %bb.146:
	s_or_b64 exec, exec, s[28:29]
	s_nop 0
	v_mov_b32_dpp v71, v68 row_shr:2 row_mask:0xf bank_mask:0xf
	v_mov_b32_dpp v70, v60 row_shr:2 row_mask:0xf bank_mask:0xf
	;; [unrolled: 1-line block ×3, first 2 shown]
	v_cmp_lt_u32_e64 s[24:25], 1, v69
	s_and_saveexec_b64 s[28:29], s[24:25]
; %bb.147:
	v_cmp_eq_u32_e64 s[24:25], 0, v68
	v_cndmask_b32_e64 v70, 0, v70, s[24:25]
	v_add_u32_e32 v69, v71, v68
	v_cndmask_b32_e64 v68, 0, v72, s[24:25]
	v_add_co_u32_e64 v60, s[24:25], v70, v60
	v_addc_co_u32_e64 v61, s[24:25], v68, v61, s[24:25]
	v_mov_b32_e32 v68, v69
; %bb.148:
	s_or_b64 exec, exec, s[28:29]
	ds_write_b32 v67, v68 offset:4128
	ds_write_b64 v67, v[60:61] offset:4136
.LBB1224_149:
	s_or_b64 exec, exec, s[26:27]
	v_cmp_lt_u32_e64 s[24:25], 63, v0
	v_mov_b32_e32 v72, 0
	v_mov_b32_e32 v67, 0
	s_waitcnt vmcnt(0)
	v_pk_mov_b32 v[60:61], v[64:65], v[64:65] op_sel:[0,1]
	s_waitcnt lgkmcnt(0)
	s_barrier
	s_and_saveexec_b64 s[26:27], s[24:25]
	s_cbranch_execz .LBB1224_151
; %bb.150:
	v_lshlrev_b32_e32 v60, 4, v66
	ds_read_b32 v67, v60 offset:4112
	ds_read_b64 v[60:61], v60 offset:4120
	s_waitcnt lgkmcnt(1)
	v_cmp_eq_u32_e64 s[24:25], 0, v67
	v_cndmask_b32_e64 v68, 0, v64, s[24:25]
	v_cndmask_b32_e64 v66, 0, v65, s[24:25]
	s_waitcnt lgkmcnt(0)
	v_add_co_u32_e64 v60, s[24:25], v68, v60
	v_addc_co_u32_e64 v61, s[24:25], v66, v61, s[24:25]
.LBB1224_151:
	s_or_b64 exec, exec, s[26:27]
	v_cmp_eq_u32_e64 s[24:25], 0, v63
	v_cndmask_b32_e64 v68, 0, v60, s[24:25]
	v_add_u32_e32 v66, v67, v63
	v_cndmask_b32_e64 v63, 0, v61, s[24:25]
	v_add_co_u32_e64 v58, s[24:25], v68, v58
	v_addc_co_u32_e64 v59, s[24:25], v63, v59, s[24:25]
	v_add_u32_e32 v63, -1, v62
	v_and_b32_e32 v68, 64, v62
	v_cmp_lt_i32_e64 s[24:25], v63, v68
	v_cndmask_b32_e64 v63, v63, v62, s[24:25]
	v_lshlrev_b32_e32 v63, 2, v63
	ds_bpermute_b32 v66, v63, v66
	ds_bpermute_b32 v68, v63, v59
	;; [unrolled: 1-line block ×3, first 2 shown]
	v_cmp_eq_u32_e64 s[24:25], 0, v62
	v_cmp_eq_u32_e64 s[26:27], 0, v113
	s_waitcnt lgkmcnt(2)
	v_cndmask_b32_e64 v59, v66, v67, s[24:25]
	s_waitcnt lgkmcnt(1)
	v_cndmask_b32_e64 v95, v68, v61, s[24:25]
	;; [unrolled: 2-line block ×3, first 2 shown]
	v_cmp_eq_u32_e64 s[24:25], 0, v0
	v_cndmask_b32_e64 v58, v94, v64, s[24:25]
	v_cndmask_b32_e64 v60, v95, v65, s[24:25]
	;; [unrolled: 1-line block ×4, first 2 shown]
	v_add_co_u32_e64 v66, s[26:27], v58, v54
	v_addc_co_u32_e64 v67, s[26:27], v60, v55, s[26:27]
	v_cndmask_b32_e64 v55, 0, v66, s[22:23]
	v_cndmask_b32_e64 v54, 0, v67, s[22:23]
	v_add_co_u32_e64 v68, s[22:23], v55, v56
	v_addc_co_u32_e64 v69, s[22:23], v54, v57, s[22:23]
	v_cndmask_b32_e64 v55, 0, v68, s[20:21]
	v_cndmask_b32_e64 v54, 0, v69, s[20:21]
	;; [unrolled: 4-line block ×11, first 2 shown]
	v_add_co_u32_e64 v92, s[0:1], v35, v36
	v_addc_co_u32_e64 v93, s[0:1], v34, v37, s[0:1]
	v_cndmask_b32_e64 v35, 0, v92, s[2:3]
	ds_read_b32 v58, v72 offset:4176
	v_cndmask_b32_e64 v34, 0, v93, s[2:3]
	v_add_co_u32_e64 v96, s[0:1], v35, v30
	v_addc_co_u32_e64 v97, s[0:1], v34, v31, s[0:1]
	ds_read_b64 v[30:31], v72 offset:4184
	v_cndmask_b32_e32 v99, 0, v97, vcc
	v_cndmask_b32_e32 v98, 0, v96, vcc
	s_waitcnt lgkmcnt(1)
	v_cmp_eq_u32_e32 vcc, 0, v58
	v_cndmask_b32_e32 v35, 0, v64, vcc
	v_cndmask_b32_e32 v34, 0, v65, vcc
	s_waitcnt lgkmcnt(0)
	v_add_co_u32_e32 v60, vcc, v35, v30
	v_addc_co_u32_e32 v61, vcc, v34, v31, vcc
	s_and_saveexec_b64 s[0:1], s[24:25]
	s_cbranch_execz .LBB1224_153
; %bb.152:
	v_mov_b32_e32 v59, 0
	v_mov_b32_e32 v30, 2
	v_pk_mov_b32 v[94:95], v[64:65], v[64:65] op_sel:[0,1]
	global_store_dword v59, v58, s[38:39] offset:1024
	global_store_dwordx2 v59, v[60:61], s[38:39] offset:1032
	s_waitcnt vmcnt(0)
	buffer_wbinvl1_vol
	global_store_byte v59, v30, s[40:41] offset:64
.LBB1224_153:
	s_or_b64 exec, exec, s[0:1]
	v_mov_b32_e32 v62, 0
.LBB1224_154:
	s_and_b64 s[0:1], s[42:43], exec
	s_cselect_b32 s1, 0, s51
	s_cselect_b32 s0, 0, s50
	s_cmp_eq_u64 s[0:1], 0
	v_pk_mov_b32 v[30:31], 0, 0
	s_barrier
	s_cbranch_scc1 .LBB1224_156
; %bb.155:
	v_mov_b32_e32 v30, 0
	global_load_dwordx2 v[30:31], v30, s[0:1]
.LBB1224_156:
	s_waitcnt vmcnt(0)
	v_lshlrev_b64 v[34:35], 3, v[30:31]
	v_mov_b32_e32 v36, s53
	v_add_co_u32_e32 v52, vcc, s52, v34
	v_mov_b32_e32 v63, 0
	v_addc_co_u32_e32 v53, vcc, v36, v35, vcc
	v_lshlrev_b64 v[36:37], 3, v[62:63]
	v_add_co_u32_e32 v52, vcc, v52, v36
	v_addc_co_u32_e32 v53, vcc, v53, v37, vcc
	v_cmp_eq_u32_e32 vcc, 0, v113
	v_cndmask_b32_e64 v54, 1, 2, vcc
	v_cmp_eq_u32_e32 vcc, 0, v112
	v_cndmask_b32_e64 v55, 1, 2, vcc
	v_cmp_eq_u32_e32 vcc, 0, v111
	v_and_b32_e32 v54, v55, v54
	v_cndmask_b32_e64 v55, 1, 2, vcc
	v_cmp_eq_u32_e32 vcc, 0, v110
	v_add_u32_e32 v51, v59, v113
	v_and_b32_e32 v54, v54, v55
	v_cndmask_b32_e64 v55, 1, 2, vcc
	v_cmp_eq_u32_e32 vcc, 0, v109
	v_add_u32_e32 v50, v51, v112
	;; [unrolled: 4-line block ×12, first 2 shown]
	v_and_b32_e32 v54, v54, v55
	v_cndmask_b32_e64 v55, 1, 2, vcc
	s_movk_i32 s30, 0x100
	v_add_u32_e32 v39, v40, v101
	v_and_b32_e32 v54, v54, v55
	v_cmp_gt_u32_e32 vcc, s30, v58
	v_add_u32_e32 v38, v39, v100
	v_cmp_ne_u32_e64 s[28:29], 0, v113
	v_cmp_ne_u32_e64 s[26:27], 0, v112
	;; [unrolled: 1-line block ×15, first 2 shown]
	s_mov_b64 s[36:37], -1
	v_cmp_gt_i16_e64 s[30:31], 2, v54
	s_cbranch_vccz .LBB1224_163
; %bb.157:
	s_and_saveexec_b64 s[36:37], s[30:31]
	s_cbranch_execz .LBB1224_162
; %bb.158:
	v_cmp_ne_u16_e32 vcc, 1, v54
	s_mov_b64 s[38:39], 0
	s_and_saveexec_b64 s[30:31], vcc
	s_xor_b64 s[30:31], exec, s[30:31]
	s_cbranch_execnz .LBB1224_195
; %bb.159:
	s_andn2_saveexec_b64 s[30:31], s[30:31]
	s_cbranch_execnz .LBB1224_211
.LBB1224_160:
	s_or_b64 exec, exec, s[30:31]
	s_and_b64 exec, exec, s[38:39]
	s_cbranch_execz .LBB1224_162
.LBB1224_161:
	v_sub_u32_e32 v56, v38, v62
	v_mov_b32_e32 v57, 0
	v_lshlrev_b64 v[56:57], 3, v[56:57]
	v_add_co_u32_e32 v56, vcc, v52, v56
	v_addc_co_u32_e32 v57, vcc, v53, v57, vcc
	global_store_dwordx2 v[56:57], v[74:75], off
.LBB1224_162:
	s_or_b64 exec, exec, s[36:37]
	s_mov_b64 s[36:37], 0
.LBB1224_163:
	s_and_b64 vcc, exec, s[36:37]
	s_cbranch_vccz .LBB1224_173
; %bb.164:
	v_cmp_gt_i16_e32 vcc, 2, v54
	s_and_saveexec_b64 s[30:31], vcc
	s_cbranch_execz .LBB1224_169
; %bb.165:
	v_cmp_ne_u16_e32 vcc, 1, v54
	s_mov_b64 s[38:39], 0
	s_and_saveexec_b64 s[36:37], vcc
	s_xor_b64 s[36:37], exec, s[36:37]
	s_cbranch_execnz .LBB1224_212
; %bb.166:
	s_andn2_saveexec_b64 s[0:1], s[36:37]
	s_cbranch_execnz .LBB1224_228
.LBB1224_167:
	s_or_b64 exec, exec, s[0:1]
	s_and_b64 exec, exec, s[38:39]
	s_cbranch_execz .LBB1224_169
.LBB1224_168:
	v_sub_u32_e32 v2, v38, v62
	v_lshlrev_b32_e32 v2, 3, v2
	ds_write_b64 v2, v[74:75]
.LBB1224_169:
	s_or_b64 exec, exec, s[30:31]
	v_cmp_lt_u32_e32 vcc, v0, v58
	s_waitcnt lgkmcnt(0)
	s_barrier
	s_and_saveexec_b64 s[0:1], vcc
	s_cbranch_execz .LBB1224_172
; %bb.170:
	v_lshlrev_b32_e32 v4, 3, v0
	s_mov_b64 s[2:3], 0
	v_mov_b32_e32 v3, 0
	v_mov_b32_e32 v2, v0
.LBB1224_171:                           ; =>This Inner Loop Header: Depth=1
	v_lshlrev_b64 v[6:7], 3, v[2:3]
	ds_read_b64 v[8:9], v4
	v_add_co_u32_e32 v6, vcc, v52, v6
	v_add_u32_e32 v2, 0x100, v2
	v_addc_co_u32_e32 v7, vcc, v53, v7, vcc
	v_cmp_ge_u32_e32 vcc, v2, v58
	v_add_u32_e32 v4, 0x800, v4
	s_or_b64 s[2:3], vcc, s[2:3]
	s_waitcnt lgkmcnt(0)
	global_store_dwordx2 v[6:7], v[8:9], off
	s_andn2_b64 exec, exec, s[2:3]
	s_cbranch_execnz .LBB1224_171
.LBB1224_172:
	s_or_b64 exec, exec, s[0:1]
.LBB1224_173:
	v_add_co_u32_e32 v2, vcc, v98, v32
	s_cmpk_lg_i32 s33, 0xf00
	v_addc_co_u32_e32 v3, vcc, v99, v33, vcc
	s_cselect_b64 s[0:1], -1, 0
	v_cndmask_b32_e64 v8, 0, 1, s[46:47]
	s_and_b64 s[0:1], s[44:45], s[0:1]
	v_cmp_eq_u32_e32 vcc, 0, v0
	v_sub_u32_e32 v4, v58, v8
	v_cndmask_b32_e64 v5, 0, 1, s[0:1]
	s_and_b64 s[0:1], vcc, s[46:47]
	v_add_u32_e32 v4, v4, v5
	v_cndmask_b32_e64 v5, v113, 0, s[0:1]
	s_mul_hi_u32 s0, s33, 0x88888889
	s_lshr_b32 s0, s0, 3
	v_mad_i32_i24 v6, v0, -15, s33
	v_cmp_eq_u32_e32 vcc, s0, v0
	v_cmp_ne_u32_e64 s[0:1], 0, v6
	v_cndmask_b32_e64 v7, 1, v5, s[0:1]
	v_cmp_ne_u32_e64 s[0:1], 1, v6
	v_cndmask_b32_e64 v9, 1, v112, s[0:1]
	;; [unrolled: 2-line block ×15, first 2 shown]
	s_and_b64 vcc, s[44:45], vcc
	v_cndmask_b32_e32 v22, v1, v6, vcc
	v_cndmask_b32_e32 v21, v100, v21, vcc
	;; [unrolled: 1-line block ×15, first 2 shown]
	v_mov_b32_e32 v1, s55
	v_add_co_u32_e32 v5, vcc, s54, v34
	v_addc_co_u32_e32 v6, vcc, v1, v35, vcc
	v_add_co_u32_e32 v1, vcc, v5, v36
	v_addc_co_u32_e32 v5, vcc, v6, v37, vcc
	v_lshlrev_b32_e32 v6, 3, v8
	v_add_co_u32_e32 v6, vcc, v6, v1
	v_addc_co_u32_e32 v7, vcc, 0, v5, vcc
	v_add_co_u32_e32 v6, vcc, -8, v6
	v_addc_co_u32_e32 v7, vcc, -1, v7, vcc
	v_cmp_eq_u32_e32 vcc, 0, v23
	v_cmp_ne_u32_e64 s[28:29], 0, v23
	v_cndmask_b32_e64 v23, 1, 2, vcc
	v_cmp_eq_u32_e32 vcc, 0, v9
	v_cmp_ne_u32_e64 s[26:27], 0, v9
	v_cndmask_b32_e64 v9, 1, 2, vcc
	v_cmp_eq_u32_e32 vcc, 0, v10
	v_and_b32_e32 v9, v9, v23
	v_cmp_ne_u32_e64 s[24:25], 0, v10
	v_cndmask_b32_e64 v10, 1, 2, vcc
	v_cmp_eq_u32_e32 vcc, 0, v11
	v_and_b32_e32 v9, v9, v10
	v_cndmask_b32_e64 v10, 1, 2, vcc
	v_cmp_eq_u32_e32 vcc, 0, v12
	v_and_b32_e32 v9, v9, v10
	;; [unrolled: 3-line block ×12, first 2 shown]
	v_cndmask_b32_e64 v10, 1, 2, vcc
	s_movk_i32 s30, 0x100
	v_and_b32_e32 v9, v9, v10
	v_cmp_gt_u32_e32 vcc, s30, v4
	v_add_u32_e32 v8, v62, v8
	v_cmp_ne_u32_e64 s[22:23], 0, v11
	v_cmp_ne_u32_e64 s[20:21], 0, v12
	;; [unrolled: 1-line block ×12, first 2 shown]
	s_mov_b64 s[36:37], -1
	v_cmp_gt_i16_e64 s[30:31], 2, v9
	s_barrier
	s_cbranch_vccz .LBB1224_180
; %bb.174:
	s_and_saveexec_b64 s[36:37], s[30:31]
	s_cbranch_execz .LBB1224_179
; %bb.175:
	v_cmp_ne_u16_e32 vcc, 1, v9
	s_mov_b64 s[38:39], 0
	s_and_saveexec_b64 s[30:31], vcc
	s_xor_b64 s[30:31], exec, s[30:31]
	s_cbranch_execnz .LBB1224_229
; %bb.176:
	s_andn2_saveexec_b64 s[30:31], s[30:31]
	s_cbranch_execnz .LBB1224_245
.LBB1224_177:
	s_or_b64 exec, exec, s[30:31]
	s_and_b64 exec, exec, s[38:39]
	s_cbranch_execz .LBB1224_179
.LBB1224_178:
	v_sub_u32_e32 v10, v38, v8
	v_mov_b32_e32 v11, 0
	v_lshlrev_b64 v[10:11], 3, v[10:11]
	v_add_co_u32_e32 v10, vcc, v6, v10
	v_addc_co_u32_e32 v11, vcc, v7, v11, vcc
	global_store_dwordx2 v[10:11], v[2:3], off
.LBB1224_179:
	s_or_b64 exec, exec, s[36:37]
	s_mov_b64 s[36:37], 0
.LBB1224_180:
	s_and_b64 vcc, exec, s[36:37]
	s_cbranch_vccz .LBB1224_190
; %bb.181:
	v_cmp_gt_i16_e32 vcc, 2, v9
	s_and_saveexec_b64 s[30:31], vcc
	s_cbranch_execz .LBB1224_186
; %bb.182:
	v_cmp_ne_u16_e32 vcc, 1, v9
	s_mov_b64 s[38:39], 0
	s_and_saveexec_b64 s[36:37], vcc
	s_xor_b64 s[36:37], exec, s[36:37]
	s_cbranch_execnz .LBB1224_246
; %bb.183:
	s_andn2_saveexec_b64 s[0:1], s[36:37]
	s_cbranch_execnz .LBB1224_262
.LBB1224_184:
	s_or_b64 exec, exec, s[0:1]
	s_and_b64 exec, exec, s[38:39]
	s_cbranch_execz .LBB1224_186
.LBB1224_185:
	v_sub_u32_e32 v8, v38, v8
	v_lshlrev_b32_e32 v8, 3, v8
	ds_write_b64 v8, v[2:3]
.LBB1224_186:
	s_or_b64 exec, exec, s[30:31]
	v_cmp_lt_u32_e32 vcc, v0, v4
	s_waitcnt lgkmcnt(0)
	s_barrier
	s_and_saveexec_b64 s[0:1], vcc
	s_cbranch_execz .LBB1224_189
; %bb.187:
	v_lshlrev_b32_e32 v8, 3, v0
	s_mov_b64 s[2:3], 0
	v_mov_b32_e32 v3, 0
	v_mov_b32_e32 v2, v0
.LBB1224_188:                           ; =>This Inner Loop Header: Depth=1
	v_lshlrev_b64 v[10:11], 3, v[2:3]
	ds_read_b64 v[12:13], v8
	v_add_co_u32_e32 v10, vcc, v6, v10
	v_add_u32_e32 v2, 0x100, v2
	v_addc_co_u32_e32 v11, vcc, v7, v11, vcc
	v_cmp_ge_u32_e32 vcc, v2, v4
	v_add_u32_e32 v8, 0x800, v8
	s_or_b64 s[2:3], vcc, s[2:3]
	s_waitcnt lgkmcnt(0)
	global_store_dwordx2 v[10:11], v[12:13], off
	s_andn2_b64 exec, exec, s[2:3]
	s_cbranch_execnz .LBB1224_188
.LBB1224_189:
	s_or_b64 exec, exec, s[0:1]
.LBB1224_190:
	s_movk_i32 s0, 0xff
	v_cmp_eq_u32_e32 vcc, s0, v0
	s_and_b64 s[0:1], vcc, s[44:45]
	s_and_saveexec_b64 s[2:3], s[0:1]
	s_cbranch_execz .LBB1224_193
; %bb.191:
	v_add_co_u32_e32 v0, vcc, v58, v62
	v_addc_co_u32_e64 v3, s[0:1], 0, 0, vcc
	v_add_co_u32_e32 v2, vcc, v0, v30
	v_mov_b32_e32 v59, 0
	v_addc_co_u32_e32 v3, vcc, v3, v31, vcc
	s_cmpk_lg_i32 s33, 0xf00
	global_store_dwordx2 v59, v[2:3], s[34:35]
	s_cbranch_scc1 .LBB1224_193
; %bb.192:
	v_lshlrev_b64 v[2:3], 3, v[58:59]
	v_add_co_u32_e32 v0, vcc, v1, v2
	v_addc_co_u32_e32 v1, vcc, v5, v3, vcc
	global_store_dwordx2 v[0:1], v[60:61], off offset:-8
.LBB1224_193:
	s_endpgm
.LBB1224_194:
	s_or_b64 exec, exec, s[8:9]
	v_mov_b32_e32 v113, s7
	s_and_saveexec_b64 s[4:5], s[2:3]
	s_cbranch_execnz .LBB1224_54
	s_branch .LBB1224_55
.LBB1224_195:
	s_and_saveexec_b64 s[38:39], s[28:29]
	s_cbranch_execnz .LBB1224_263
; %bb.196:
	s_or_b64 exec, exec, s[38:39]
	s_and_saveexec_b64 s[38:39], s[26:27]
	s_cbranch_execnz .LBB1224_264
.LBB1224_197:
	s_or_b64 exec, exec, s[38:39]
	s_and_saveexec_b64 s[38:39], s[24:25]
	s_cbranch_execnz .LBB1224_265
.LBB1224_198:
	s_or_b64 exec, exec, s[38:39]
	s_and_saveexec_b64 s[38:39], s[22:23]
	s_cbranch_execnz .LBB1224_266
.LBB1224_199:
	s_or_b64 exec, exec, s[38:39]
	s_and_saveexec_b64 s[38:39], s[20:21]
	s_cbranch_execnz .LBB1224_267
.LBB1224_200:
	s_or_b64 exec, exec, s[38:39]
	s_and_saveexec_b64 s[38:39], s[18:19]
	s_cbranch_execnz .LBB1224_268
.LBB1224_201:
	s_or_b64 exec, exec, s[38:39]
	s_and_saveexec_b64 s[38:39], s[16:17]
	s_cbranch_execnz .LBB1224_269
.LBB1224_202:
	s_or_b64 exec, exec, s[38:39]
	s_and_saveexec_b64 s[38:39], s[14:15]
	s_cbranch_execnz .LBB1224_270
.LBB1224_203:
	s_or_b64 exec, exec, s[38:39]
	s_and_saveexec_b64 s[38:39], s[12:13]
	s_cbranch_execnz .LBB1224_271
.LBB1224_204:
	s_or_b64 exec, exec, s[38:39]
	s_and_saveexec_b64 s[38:39], s[10:11]
	s_cbranch_execnz .LBB1224_272
.LBB1224_205:
	s_or_b64 exec, exec, s[38:39]
	s_and_saveexec_b64 s[38:39], s[8:9]
	s_cbranch_execnz .LBB1224_273
.LBB1224_206:
	s_or_b64 exec, exec, s[38:39]
	s_and_saveexec_b64 s[38:39], s[6:7]
	s_cbranch_execnz .LBB1224_274
.LBB1224_207:
	s_or_b64 exec, exec, s[38:39]
	s_and_saveexec_b64 s[38:39], s[4:5]
	s_cbranch_execnz .LBB1224_275
.LBB1224_208:
	s_or_b64 exec, exec, s[38:39]
	s_and_saveexec_b64 s[38:39], s[2:3]
	s_cbranch_execz .LBB1224_210
.LBB1224_209:
	v_sub_u32_e32 v56, v39, v62
	v_mov_b32_e32 v57, 0
	v_lshlrev_b64 v[56:57], 3, v[56:57]
	v_add_co_u32_e32 v56, vcc, v52, v56
	v_addc_co_u32_e32 v57, vcc, v53, v57, vcc
	global_store_dwordx2 v[56:57], v[4:5], off
.LBB1224_210:
	s_or_b64 exec, exec, s[38:39]
	s_and_b64 s[38:39], s[0:1], exec
	s_andn2_saveexec_b64 s[30:31], s[30:31]
	s_cbranch_execz .LBB1224_160
.LBB1224_211:
	v_sub_u32_e32 v56, v59, v62
	v_mov_b32_e32 v57, 0
	v_lshlrev_b64 v[64:65], 3, v[56:57]
	v_add_co_u32_e32 v64, vcc, v52, v64
	v_addc_co_u32_e32 v65, vcc, v53, v65, vcc
	v_sub_u32_e32 v56, v51, v62
	global_store_dwordx2 v[64:65], v[26:27], off
	v_lshlrev_b64 v[64:65], 3, v[56:57]
	v_add_co_u32_e32 v64, vcc, v52, v64
	v_addc_co_u32_e32 v65, vcc, v53, v65, vcc
	v_sub_u32_e32 v56, v50, v62
	global_store_dwordx2 v[64:65], v[28:29], off
	;; [unrolled: 5-line block ×12, first 2 shown]
	v_lshlrev_b64 v[64:65], 3, v[56:57]
	v_add_co_u32_e32 v64, vcc, v52, v64
	v_sub_u32_e32 v56, v39, v62
	v_addc_co_u32_e32 v65, vcc, v53, v65, vcc
	v_lshlrev_b64 v[56:57], 3, v[56:57]
	v_add_co_u32_e32 v56, vcc, v52, v56
	v_addc_co_u32_e32 v57, vcc, v53, v57, vcc
	s_or_b64 s[38:39], s[38:39], exec
	global_store_dwordx2 v[64:65], v[2:3], off
	global_store_dwordx2 v[56:57], v[4:5], off
	s_or_b64 exec, exec, s[30:31]
	s_and_b64 exec, exec, s[38:39]
	s_cbranch_execnz .LBB1224_161
	s_branch .LBB1224_162
.LBB1224_212:
	s_and_saveexec_b64 s[38:39], s[28:29]
	s_cbranch_execnz .LBB1224_276
; %bb.213:
	s_or_b64 exec, exec, s[38:39]
	s_and_saveexec_b64 s[28:29], s[26:27]
	s_cbranch_execnz .LBB1224_277
.LBB1224_214:
	s_or_b64 exec, exec, s[28:29]
	s_and_saveexec_b64 s[26:27], s[24:25]
	s_cbranch_execnz .LBB1224_278
.LBB1224_215:
	s_or_b64 exec, exec, s[26:27]
	s_and_saveexec_b64 s[24:25], s[22:23]
	s_cbranch_execnz .LBB1224_279
.LBB1224_216:
	s_or_b64 exec, exec, s[24:25]
	s_and_saveexec_b64 s[22:23], s[20:21]
	s_cbranch_execnz .LBB1224_280
.LBB1224_217:
	s_or_b64 exec, exec, s[22:23]
	s_and_saveexec_b64 s[20:21], s[18:19]
	s_cbranch_execnz .LBB1224_281
.LBB1224_218:
	s_or_b64 exec, exec, s[20:21]
	s_and_saveexec_b64 s[18:19], s[16:17]
	s_cbranch_execnz .LBB1224_282
.LBB1224_219:
	s_or_b64 exec, exec, s[18:19]
	s_and_saveexec_b64 s[16:17], s[14:15]
	s_cbranch_execnz .LBB1224_283
.LBB1224_220:
	s_or_b64 exec, exec, s[16:17]
	s_and_saveexec_b64 s[14:15], s[12:13]
	s_cbranch_execnz .LBB1224_284
.LBB1224_221:
	s_or_b64 exec, exec, s[14:15]
	s_and_saveexec_b64 s[12:13], s[10:11]
	s_cbranch_execnz .LBB1224_285
.LBB1224_222:
	s_or_b64 exec, exec, s[12:13]
	s_and_saveexec_b64 s[10:11], s[8:9]
	s_cbranch_execnz .LBB1224_286
.LBB1224_223:
	s_or_b64 exec, exec, s[10:11]
	s_and_saveexec_b64 s[8:9], s[6:7]
	s_cbranch_execnz .LBB1224_287
.LBB1224_224:
	s_or_b64 exec, exec, s[8:9]
	s_and_saveexec_b64 s[6:7], s[4:5]
	s_cbranch_execnz .LBB1224_288
.LBB1224_225:
	s_or_b64 exec, exec, s[6:7]
	s_and_saveexec_b64 s[4:5], s[2:3]
	s_cbranch_execz .LBB1224_227
.LBB1224_226:
	v_sub_u32_e32 v2, v39, v62
	v_lshlrev_b32_e32 v2, 3, v2
	ds_write_b64 v2, v[4:5]
.LBB1224_227:
	s_or_b64 exec, exec, s[4:5]
	s_and_b64 s[38:39], s[0:1], exec
                                        ; implicit-def: $vgpr2_vgpr3
                                        ; implicit-def: $vgpr6_vgpr7
                                        ; implicit-def: $vgpr10_vgpr11
                                        ; implicit-def: $vgpr14_vgpr15
                                        ; implicit-def: $vgpr18_vgpr19
                                        ; implicit-def: $vgpr22_vgpr23
                                        ; implicit-def: $vgpr26_vgpr27
	s_andn2_saveexec_b64 s[0:1], s[36:37]
	s_cbranch_execz .LBB1224_167
.LBB1224_228:
	v_sub_u32_e32 v54, v59, v62
	v_lshlrev_b32_e32 v54, 3, v54
	ds_write_b64 v54, v[26:27]
	v_sub_u32_e32 v26, v51, v62
	v_lshlrev_b32_e32 v26, 3, v26
	ds_write_b64 v26, v[28:29]
	v_sub_u32_e32 v26, v50, v62
	v_lshlrev_b32_e32 v26, 3, v26
	ds_write_b64 v26, v[22:23]
	v_sub_u32_e32 v22, v49, v62
	v_lshlrev_b32_e32 v22, 3, v22
	ds_write_b64 v22, v[24:25]
	v_sub_u32_e32 v22, v48, v62
	v_lshlrev_b32_e32 v22, 3, v22
	ds_write_b64 v22, v[18:19]
	v_sub_u32_e32 v18, v47, v62
	v_lshlrev_b32_e32 v18, 3, v18
	ds_write_b64 v18, v[20:21]
	v_sub_u32_e32 v18, v46, v62
	v_lshlrev_b32_e32 v18, 3, v18
	ds_write_b64 v18, v[14:15]
	v_sub_u32_e32 v14, v45, v62
	v_lshlrev_b32_e32 v14, 3, v14
	ds_write_b64 v14, v[16:17]
	v_sub_u32_e32 v14, v44, v62
	v_lshlrev_b32_e32 v14, 3, v14
	ds_write_b64 v14, v[10:11]
	v_sub_u32_e32 v10, v43, v62
	v_lshlrev_b32_e32 v10, 3, v10
	ds_write_b64 v10, v[12:13]
	v_sub_u32_e32 v10, v42, v62
	v_lshlrev_b32_e32 v10, 3, v10
	ds_write_b64 v10, v[6:7]
	v_sub_u32_e32 v6, v41, v62
	v_lshlrev_b32_e32 v6, 3, v6
	ds_write_b64 v6, v[8:9]
	v_sub_u32_e32 v6, v40, v62
	v_lshlrev_b32_e32 v6, 3, v6
	ds_write_b64 v6, v[2:3]
	v_sub_u32_e32 v2, v39, v62
	v_lshlrev_b32_e32 v2, 3, v2
	s_or_b64 s[38:39], s[38:39], exec
	ds_write_b64 v2, v[4:5]
	s_or_b64 exec, exec, s[0:1]
	s_and_b64 exec, exec, s[38:39]
	s_cbranch_execnz .LBB1224_168
	s_branch .LBB1224_169
.LBB1224_229:
	s_and_saveexec_b64 s[38:39], s[28:29]
	s_cbranch_execnz .LBB1224_289
; %bb.230:
	s_or_b64 exec, exec, s[38:39]
	s_and_saveexec_b64 s[38:39], s[26:27]
	s_cbranch_execnz .LBB1224_290
.LBB1224_231:
	s_or_b64 exec, exec, s[38:39]
	s_and_saveexec_b64 s[38:39], s[24:25]
	s_cbranch_execnz .LBB1224_291
.LBB1224_232:
	s_or_b64 exec, exec, s[38:39]
	s_and_saveexec_b64 s[38:39], s[22:23]
	s_cbranch_execnz .LBB1224_292
.LBB1224_233:
	s_or_b64 exec, exec, s[38:39]
	s_and_saveexec_b64 s[38:39], s[20:21]
	s_cbranch_execnz .LBB1224_293
.LBB1224_234:
	s_or_b64 exec, exec, s[38:39]
	s_and_saveexec_b64 s[38:39], s[18:19]
	s_cbranch_execnz .LBB1224_294
.LBB1224_235:
	s_or_b64 exec, exec, s[38:39]
	s_and_saveexec_b64 s[38:39], s[16:17]
	s_cbranch_execnz .LBB1224_295
.LBB1224_236:
	s_or_b64 exec, exec, s[38:39]
	s_and_saveexec_b64 s[38:39], s[14:15]
	s_cbranch_execnz .LBB1224_296
.LBB1224_237:
	s_or_b64 exec, exec, s[38:39]
	s_and_saveexec_b64 s[38:39], s[12:13]
	s_cbranch_execnz .LBB1224_297
.LBB1224_238:
	s_or_b64 exec, exec, s[38:39]
	s_and_saveexec_b64 s[38:39], s[10:11]
	s_cbranch_execnz .LBB1224_298
.LBB1224_239:
	s_or_b64 exec, exec, s[38:39]
	s_and_saveexec_b64 s[38:39], s[8:9]
	s_cbranch_execnz .LBB1224_299
.LBB1224_240:
	s_or_b64 exec, exec, s[38:39]
	s_and_saveexec_b64 s[38:39], s[6:7]
	s_cbranch_execnz .LBB1224_300
.LBB1224_241:
	s_or_b64 exec, exec, s[38:39]
	s_and_saveexec_b64 s[38:39], s[4:5]
	s_cbranch_execnz .LBB1224_301
.LBB1224_242:
	s_or_b64 exec, exec, s[38:39]
	s_and_saveexec_b64 s[38:39], s[2:3]
	s_cbranch_execz .LBB1224_244
.LBB1224_243:
	v_sub_u32_e32 v10, v39, v8
	v_mov_b32_e32 v11, 0
	v_lshlrev_b64 v[10:11], 3, v[10:11]
	v_add_co_u32_e32 v10, vcc, v6, v10
	v_addc_co_u32_e32 v11, vcc, v7, v11, vcc
	global_store_dwordx2 v[10:11], v[96:97], off
.LBB1224_244:
	s_or_b64 exec, exec, s[38:39]
	s_and_b64 s[38:39], s[0:1], exec
	s_andn2_saveexec_b64 s[30:31], s[30:31]
	s_cbranch_execz .LBB1224_177
.LBB1224_245:
	v_sub_u32_e32 v10, v59, v8
	v_mov_b32_e32 v11, 0
	v_lshlrev_b64 v[12:13], 3, v[10:11]
	v_add_co_u32_e32 v12, vcc, v6, v12
	v_addc_co_u32_e32 v13, vcc, v7, v13, vcc
	v_sub_u32_e32 v10, v51, v8
	global_store_dwordx2 v[12:13], v[94:95], off
	v_lshlrev_b64 v[12:13], 3, v[10:11]
	v_add_co_u32_e32 v12, vcc, v6, v12
	v_addc_co_u32_e32 v13, vcc, v7, v13, vcc
	v_sub_u32_e32 v10, v50, v8
	global_store_dwordx2 v[12:13], v[66:67], off
	;; [unrolled: 5-line block ×12, first 2 shown]
	v_lshlrev_b64 v[12:13], 3, v[10:11]
	v_add_co_u32_e32 v12, vcc, v6, v12
	v_sub_u32_e32 v10, v39, v8
	v_addc_co_u32_e32 v13, vcc, v7, v13, vcc
	v_lshlrev_b64 v[10:11], 3, v[10:11]
	v_add_co_u32_e32 v10, vcc, v6, v10
	v_addc_co_u32_e32 v11, vcc, v7, v11, vcc
	s_or_b64 s[38:39], s[38:39], exec
	global_store_dwordx2 v[12:13], v[92:93], off
	global_store_dwordx2 v[10:11], v[96:97], off
	s_or_b64 exec, exec, s[30:31]
	s_and_b64 exec, exec, s[38:39]
	s_cbranch_execnz .LBB1224_178
	s_branch .LBB1224_179
.LBB1224_246:
	s_and_saveexec_b64 s[38:39], s[28:29]
	s_cbranch_execnz .LBB1224_302
; %bb.247:
	s_or_b64 exec, exec, s[38:39]
	s_and_saveexec_b64 s[28:29], s[26:27]
	s_cbranch_execnz .LBB1224_303
.LBB1224_248:
	s_or_b64 exec, exec, s[28:29]
	s_and_saveexec_b64 s[26:27], s[24:25]
	s_cbranch_execnz .LBB1224_304
.LBB1224_249:
	s_or_b64 exec, exec, s[26:27]
	s_and_saveexec_b64 s[24:25], s[22:23]
	s_cbranch_execnz .LBB1224_305
.LBB1224_250:
	s_or_b64 exec, exec, s[24:25]
	s_and_saveexec_b64 s[22:23], s[20:21]
	s_cbranch_execnz .LBB1224_306
.LBB1224_251:
	s_or_b64 exec, exec, s[22:23]
	s_and_saveexec_b64 s[20:21], s[18:19]
	s_cbranch_execnz .LBB1224_307
.LBB1224_252:
	s_or_b64 exec, exec, s[20:21]
	s_and_saveexec_b64 s[18:19], s[16:17]
	s_cbranch_execnz .LBB1224_308
.LBB1224_253:
	s_or_b64 exec, exec, s[18:19]
	s_and_saveexec_b64 s[16:17], s[14:15]
	s_cbranch_execnz .LBB1224_309
.LBB1224_254:
	s_or_b64 exec, exec, s[16:17]
	s_and_saveexec_b64 s[14:15], s[12:13]
	s_cbranch_execnz .LBB1224_310
.LBB1224_255:
	s_or_b64 exec, exec, s[14:15]
	s_and_saveexec_b64 s[12:13], s[10:11]
	s_cbranch_execnz .LBB1224_311
.LBB1224_256:
	s_or_b64 exec, exec, s[12:13]
	s_and_saveexec_b64 s[10:11], s[8:9]
	s_cbranch_execnz .LBB1224_312
.LBB1224_257:
	s_or_b64 exec, exec, s[10:11]
	s_and_saveexec_b64 s[8:9], s[6:7]
	s_cbranch_execnz .LBB1224_313
.LBB1224_258:
	s_or_b64 exec, exec, s[8:9]
	s_and_saveexec_b64 s[6:7], s[4:5]
	s_cbranch_execnz .LBB1224_314
.LBB1224_259:
	s_or_b64 exec, exec, s[6:7]
	s_and_saveexec_b64 s[4:5], s[2:3]
	s_cbranch_execz .LBB1224_261
.LBB1224_260:
	v_sub_u32_e32 v9, v39, v8
	v_lshlrev_b32_e32 v9, 3, v9
	ds_write_b64 v9, v[96:97]
.LBB1224_261:
	s_or_b64 exec, exec, s[4:5]
	s_and_b64 s[38:39], s[0:1], exec
                                        ; implicit-def: $vgpr94_vgpr95
                                        ; implicit-def: $vgpr66_vgpr67
                                        ; implicit-def: $vgpr68_vgpr69
                                        ; implicit-def: $vgpr70_vgpr71
                                        ; implicit-def: $vgpr76_vgpr77
                                        ; implicit-def: $vgpr78_vgpr79
                                        ; implicit-def: $vgpr80_vgpr81
                                        ; implicit-def: $vgpr82_vgpr83
                                        ; implicit-def: $vgpr84_vgpr85
                                        ; implicit-def: $vgpr86_vgpr87
                                        ; implicit-def: $vgpr88_vgpr89
                                        ; implicit-def: $vgpr90_vgpr91
                                        ; implicit-def: $vgpr92_vgpr93
                                        ; implicit-def: $vgpr96_vgpr97
                                        ; implicit-def: $vgpr59
                                        ; implicit-def: $vgpr51
                                        ; implicit-def: $vgpr50
                                        ; implicit-def: $vgpr49
                                        ; implicit-def: $vgpr48
                                        ; implicit-def: $vgpr47
                                        ; implicit-def: $vgpr46
                                        ; implicit-def: $vgpr45
                                        ; implicit-def: $vgpr44
                                        ; implicit-def: $vgpr43
                                        ; implicit-def: $vgpr42
                                        ; implicit-def: $vgpr41
                                        ; implicit-def: $vgpr40
                                        ; implicit-def: $vgpr39
	s_andn2_saveexec_b64 s[0:1], s[36:37]
	s_cbranch_execz .LBB1224_184
.LBB1224_262:
	v_sub_u32_e32 v9, v59, v8
	v_lshlrev_b32_e32 v9, 3, v9
	ds_write_b64 v9, v[94:95]
	v_sub_u32_e32 v9, v51, v8
	v_lshlrev_b32_e32 v9, 3, v9
	ds_write_b64 v9, v[66:67]
	;; [unrolled: 3-line block ×13, first 2 shown]
	v_sub_u32_e32 v9, v39, v8
	v_lshlrev_b32_e32 v9, 3, v9
	s_or_b64 s[38:39], s[38:39], exec
	ds_write_b64 v9, v[96:97]
	s_or_b64 exec, exec, s[0:1]
	s_and_b64 exec, exec, s[38:39]
	s_cbranch_execnz .LBB1224_185
	s_branch .LBB1224_186
.LBB1224_263:
	v_sub_u32_e32 v56, v59, v62
	v_mov_b32_e32 v57, 0
	v_lshlrev_b64 v[56:57], 3, v[56:57]
	v_add_co_u32_e32 v56, vcc, v52, v56
	v_addc_co_u32_e32 v57, vcc, v53, v57, vcc
	global_store_dwordx2 v[56:57], v[26:27], off
	s_or_b64 exec, exec, s[38:39]
	s_and_saveexec_b64 s[38:39], s[26:27]
	s_cbranch_execz .LBB1224_197
.LBB1224_264:
	v_sub_u32_e32 v56, v51, v62
	v_mov_b32_e32 v57, 0
	v_lshlrev_b64 v[56:57], 3, v[56:57]
	v_add_co_u32_e32 v56, vcc, v52, v56
	v_addc_co_u32_e32 v57, vcc, v53, v57, vcc
	global_store_dwordx2 v[56:57], v[28:29], off
	s_or_b64 exec, exec, s[38:39]
	s_and_saveexec_b64 s[38:39], s[24:25]
	s_cbranch_execz .LBB1224_198
.LBB1224_265:
	v_sub_u32_e32 v56, v50, v62
	v_mov_b32_e32 v57, 0
	v_lshlrev_b64 v[56:57], 3, v[56:57]
	v_add_co_u32_e32 v56, vcc, v52, v56
	v_addc_co_u32_e32 v57, vcc, v53, v57, vcc
	global_store_dwordx2 v[56:57], v[22:23], off
	s_or_b64 exec, exec, s[38:39]
	s_and_saveexec_b64 s[38:39], s[22:23]
	s_cbranch_execz .LBB1224_199
.LBB1224_266:
	v_sub_u32_e32 v56, v49, v62
	v_mov_b32_e32 v57, 0
	v_lshlrev_b64 v[56:57], 3, v[56:57]
	v_add_co_u32_e32 v56, vcc, v52, v56
	v_addc_co_u32_e32 v57, vcc, v53, v57, vcc
	global_store_dwordx2 v[56:57], v[24:25], off
	s_or_b64 exec, exec, s[38:39]
	s_and_saveexec_b64 s[38:39], s[20:21]
	s_cbranch_execz .LBB1224_200
.LBB1224_267:
	v_sub_u32_e32 v56, v48, v62
	v_mov_b32_e32 v57, 0
	v_lshlrev_b64 v[56:57], 3, v[56:57]
	v_add_co_u32_e32 v56, vcc, v52, v56
	v_addc_co_u32_e32 v57, vcc, v53, v57, vcc
	global_store_dwordx2 v[56:57], v[18:19], off
	s_or_b64 exec, exec, s[38:39]
	s_and_saveexec_b64 s[38:39], s[18:19]
	s_cbranch_execz .LBB1224_201
.LBB1224_268:
	v_sub_u32_e32 v56, v47, v62
	v_mov_b32_e32 v57, 0
	v_lshlrev_b64 v[56:57], 3, v[56:57]
	v_add_co_u32_e32 v56, vcc, v52, v56
	v_addc_co_u32_e32 v57, vcc, v53, v57, vcc
	global_store_dwordx2 v[56:57], v[20:21], off
	s_or_b64 exec, exec, s[38:39]
	s_and_saveexec_b64 s[38:39], s[16:17]
	s_cbranch_execz .LBB1224_202
.LBB1224_269:
	v_sub_u32_e32 v56, v46, v62
	v_mov_b32_e32 v57, 0
	v_lshlrev_b64 v[56:57], 3, v[56:57]
	v_add_co_u32_e32 v56, vcc, v52, v56
	v_addc_co_u32_e32 v57, vcc, v53, v57, vcc
	global_store_dwordx2 v[56:57], v[14:15], off
	s_or_b64 exec, exec, s[38:39]
	s_and_saveexec_b64 s[38:39], s[14:15]
	s_cbranch_execz .LBB1224_203
.LBB1224_270:
	v_sub_u32_e32 v56, v45, v62
	v_mov_b32_e32 v57, 0
	v_lshlrev_b64 v[56:57], 3, v[56:57]
	v_add_co_u32_e32 v56, vcc, v52, v56
	v_addc_co_u32_e32 v57, vcc, v53, v57, vcc
	global_store_dwordx2 v[56:57], v[16:17], off
	s_or_b64 exec, exec, s[38:39]
	s_and_saveexec_b64 s[38:39], s[12:13]
	s_cbranch_execz .LBB1224_204
.LBB1224_271:
	v_sub_u32_e32 v56, v44, v62
	v_mov_b32_e32 v57, 0
	v_lshlrev_b64 v[56:57], 3, v[56:57]
	v_add_co_u32_e32 v56, vcc, v52, v56
	v_addc_co_u32_e32 v57, vcc, v53, v57, vcc
	global_store_dwordx2 v[56:57], v[10:11], off
	s_or_b64 exec, exec, s[38:39]
	s_and_saveexec_b64 s[38:39], s[10:11]
	s_cbranch_execz .LBB1224_205
.LBB1224_272:
	v_sub_u32_e32 v56, v43, v62
	v_mov_b32_e32 v57, 0
	v_lshlrev_b64 v[56:57], 3, v[56:57]
	v_add_co_u32_e32 v56, vcc, v52, v56
	v_addc_co_u32_e32 v57, vcc, v53, v57, vcc
	global_store_dwordx2 v[56:57], v[12:13], off
	s_or_b64 exec, exec, s[38:39]
	s_and_saveexec_b64 s[38:39], s[8:9]
	s_cbranch_execz .LBB1224_206
.LBB1224_273:
	v_sub_u32_e32 v56, v42, v62
	v_mov_b32_e32 v57, 0
	v_lshlrev_b64 v[56:57], 3, v[56:57]
	v_add_co_u32_e32 v56, vcc, v52, v56
	v_addc_co_u32_e32 v57, vcc, v53, v57, vcc
	global_store_dwordx2 v[56:57], v[6:7], off
	s_or_b64 exec, exec, s[38:39]
	s_and_saveexec_b64 s[38:39], s[6:7]
	s_cbranch_execz .LBB1224_207
.LBB1224_274:
	v_sub_u32_e32 v56, v41, v62
	v_mov_b32_e32 v57, 0
	v_lshlrev_b64 v[56:57], 3, v[56:57]
	v_add_co_u32_e32 v56, vcc, v52, v56
	v_addc_co_u32_e32 v57, vcc, v53, v57, vcc
	global_store_dwordx2 v[56:57], v[8:9], off
	s_or_b64 exec, exec, s[38:39]
	s_and_saveexec_b64 s[38:39], s[4:5]
	s_cbranch_execz .LBB1224_208
.LBB1224_275:
	v_sub_u32_e32 v56, v40, v62
	v_mov_b32_e32 v57, 0
	v_lshlrev_b64 v[56:57], 3, v[56:57]
	v_add_co_u32_e32 v56, vcc, v52, v56
	v_addc_co_u32_e32 v57, vcc, v53, v57, vcc
	global_store_dwordx2 v[56:57], v[2:3], off
	s_or_b64 exec, exec, s[38:39]
	s_and_saveexec_b64 s[38:39], s[2:3]
	s_cbranch_execnz .LBB1224_209
	s_branch .LBB1224_210
.LBB1224_276:
	v_sub_u32_e32 v54, v59, v62
	v_lshlrev_b32_e32 v54, 3, v54
	ds_write_b64 v54, v[26:27]
	s_or_b64 exec, exec, s[38:39]
	s_and_saveexec_b64 s[28:29], s[26:27]
	s_cbranch_execz .LBB1224_214
.LBB1224_277:
	v_sub_u32_e32 v26, v51, v62
	v_lshlrev_b32_e32 v26, 3, v26
	ds_write_b64 v26, v[28:29]
	s_or_b64 exec, exec, s[28:29]
	s_and_saveexec_b64 s[26:27], s[24:25]
	s_cbranch_execz .LBB1224_215
.LBB1224_278:
	v_sub_u32_e32 v26, v50, v62
	v_lshlrev_b32_e32 v26, 3, v26
	ds_write_b64 v26, v[22:23]
	s_or_b64 exec, exec, s[26:27]
	s_and_saveexec_b64 s[24:25], s[22:23]
	s_cbranch_execz .LBB1224_216
.LBB1224_279:
	v_sub_u32_e32 v22, v49, v62
	v_lshlrev_b32_e32 v22, 3, v22
	ds_write_b64 v22, v[24:25]
	s_or_b64 exec, exec, s[24:25]
	s_and_saveexec_b64 s[22:23], s[20:21]
	s_cbranch_execz .LBB1224_217
.LBB1224_280:
	v_sub_u32_e32 v22, v48, v62
	v_lshlrev_b32_e32 v22, 3, v22
	ds_write_b64 v22, v[18:19]
	s_or_b64 exec, exec, s[22:23]
	s_and_saveexec_b64 s[20:21], s[18:19]
	s_cbranch_execz .LBB1224_218
.LBB1224_281:
	v_sub_u32_e32 v18, v47, v62
	v_lshlrev_b32_e32 v18, 3, v18
	ds_write_b64 v18, v[20:21]
	s_or_b64 exec, exec, s[20:21]
	s_and_saveexec_b64 s[18:19], s[16:17]
	s_cbranch_execz .LBB1224_219
.LBB1224_282:
	v_sub_u32_e32 v18, v46, v62
	v_lshlrev_b32_e32 v18, 3, v18
	ds_write_b64 v18, v[14:15]
	s_or_b64 exec, exec, s[18:19]
	s_and_saveexec_b64 s[16:17], s[14:15]
	s_cbranch_execz .LBB1224_220
.LBB1224_283:
	v_sub_u32_e32 v14, v45, v62
	v_lshlrev_b32_e32 v14, 3, v14
	ds_write_b64 v14, v[16:17]
	s_or_b64 exec, exec, s[16:17]
	s_and_saveexec_b64 s[14:15], s[12:13]
	s_cbranch_execz .LBB1224_221
.LBB1224_284:
	v_sub_u32_e32 v14, v44, v62
	v_lshlrev_b32_e32 v14, 3, v14
	ds_write_b64 v14, v[10:11]
	s_or_b64 exec, exec, s[14:15]
	s_and_saveexec_b64 s[12:13], s[10:11]
	s_cbranch_execz .LBB1224_222
.LBB1224_285:
	v_sub_u32_e32 v10, v43, v62
	v_lshlrev_b32_e32 v10, 3, v10
	ds_write_b64 v10, v[12:13]
	s_or_b64 exec, exec, s[12:13]
	s_and_saveexec_b64 s[10:11], s[8:9]
	s_cbranch_execz .LBB1224_223
.LBB1224_286:
	v_sub_u32_e32 v10, v42, v62
	v_lshlrev_b32_e32 v10, 3, v10
	ds_write_b64 v10, v[6:7]
	s_or_b64 exec, exec, s[10:11]
	s_and_saveexec_b64 s[8:9], s[6:7]
	s_cbranch_execz .LBB1224_224
.LBB1224_287:
	v_sub_u32_e32 v6, v41, v62
	v_lshlrev_b32_e32 v6, 3, v6
	ds_write_b64 v6, v[8:9]
	s_or_b64 exec, exec, s[8:9]
	s_and_saveexec_b64 s[6:7], s[4:5]
	s_cbranch_execz .LBB1224_225
.LBB1224_288:
	v_sub_u32_e32 v6, v40, v62
	v_lshlrev_b32_e32 v6, 3, v6
	ds_write_b64 v6, v[2:3]
	s_or_b64 exec, exec, s[6:7]
	s_and_saveexec_b64 s[4:5], s[2:3]
	s_cbranch_execnz .LBB1224_226
	s_branch .LBB1224_227
.LBB1224_289:
	v_sub_u32_e32 v10, v59, v8
	v_mov_b32_e32 v11, 0
	v_lshlrev_b64 v[10:11], 3, v[10:11]
	v_add_co_u32_e32 v10, vcc, v6, v10
	v_addc_co_u32_e32 v11, vcc, v7, v11, vcc
	global_store_dwordx2 v[10:11], v[94:95], off
	s_or_b64 exec, exec, s[38:39]
	s_and_saveexec_b64 s[38:39], s[26:27]
	s_cbranch_execz .LBB1224_231
.LBB1224_290:
	v_sub_u32_e32 v10, v51, v8
	v_mov_b32_e32 v11, 0
	v_lshlrev_b64 v[10:11], 3, v[10:11]
	v_add_co_u32_e32 v10, vcc, v6, v10
	v_addc_co_u32_e32 v11, vcc, v7, v11, vcc
	global_store_dwordx2 v[10:11], v[66:67], off
	s_or_b64 exec, exec, s[38:39]
	s_and_saveexec_b64 s[38:39], s[24:25]
	s_cbranch_execz .LBB1224_232
.LBB1224_291:
	v_sub_u32_e32 v10, v50, v8
	v_mov_b32_e32 v11, 0
	v_lshlrev_b64 v[10:11], 3, v[10:11]
	v_add_co_u32_e32 v10, vcc, v6, v10
	v_addc_co_u32_e32 v11, vcc, v7, v11, vcc
	global_store_dwordx2 v[10:11], v[68:69], off
	s_or_b64 exec, exec, s[38:39]
	s_and_saveexec_b64 s[38:39], s[22:23]
	s_cbranch_execz .LBB1224_233
.LBB1224_292:
	v_sub_u32_e32 v10, v49, v8
	v_mov_b32_e32 v11, 0
	v_lshlrev_b64 v[10:11], 3, v[10:11]
	v_add_co_u32_e32 v10, vcc, v6, v10
	v_addc_co_u32_e32 v11, vcc, v7, v11, vcc
	global_store_dwordx2 v[10:11], v[70:71], off
	s_or_b64 exec, exec, s[38:39]
	s_and_saveexec_b64 s[38:39], s[20:21]
	s_cbranch_execz .LBB1224_234
.LBB1224_293:
	v_sub_u32_e32 v10, v48, v8
	v_mov_b32_e32 v11, 0
	v_lshlrev_b64 v[10:11], 3, v[10:11]
	v_add_co_u32_e32 v10, vcc, v6, v10
	v_addc_co_u32_e32 v11, vcc, v7, v11, vcc
	global_store_dwordx2 v[10:11], v[76:77], off
	s_or_b64 exec, exec, s[38:39]
	s_and_saveexec_b64 s[38:39], s[18:19]
	s_cbranch_execz .LBB1224_235
.LBB1224_294:
	v_sub_u32_e32 v10, v47, v8
	v_mov_b32_e32 v11, 0
	v_lshlrev_b64 v[10:11], 3, v[10:11]
	v_add_co_u32_e32 v10, vcc, v6, v10
	v_addc_co_u32_e32 v11, vcc, v7, v11, vcc
	global_store_dwordx2 v[10:11], v[78:79], off
	s_or_b64 exec, exec, s[38:39]
	s_and_saveexec_b64 s[38:39], s[16:17]
	s_cbranch_execz .LBB1224_236
.LBB1224_295:
	v_sub_u32_e32 v10, v46, v8
	v_mov_b32_e32 v11, 0
	v_lshlrev_b64 v[10:11], 3, v[10:11]
	v_add_co_u32_e32 v10, vcc, v6, v10
	v_addc_co_u32_e32 v11, vcc, v7, v11, vcc
	global_store_dwordx2 v[10:11], v[80:81], off
	s_or_b64 exec, exec, s[38:39]
	s_and_saveexec_b64 s[38:39], s[14:15]
	s_cbranch_execz .LBB1224_237
.LBB1224_296:
	v_sub_u32_e32 v10, v45, v8
	v_mov_b32_e32 v11, 0
	v_lshlrev_b64 v[10:11], 3, v[10:11]
	v_add_co_u32_e32 v10, vcc, v6, v10
	v_addc_co_u32_e32 v11, vcc, v7, v11, vcc
	global_store_dwordx2 v[10:11], v[82:83], off
	s_or_b64 exec, exec, s[38:39]
	s_and_saveexec_b64 s[38:39], s[12:13]
	s_cbranch_execz .LBB1224_238
.LBB1224_297:
	v_sub_u32_e32 v10, v44, v8
	v_mov_b32_e32 v11, 0
	v_lshlrev_b64 v[10:11], 3, v[10:11]
	v_add_co_u32_e32 v10, vcc, v6, v10
	v_addc_co_u32_e32 v11, vcc, v7, v11, vcc
	global_store_dwordx2 v[10:11], v[84:85], off
	s_or_b64 exec, exec, s[38:39]
	s_and_saveexec_b64 s[38:39], s[10:11]
	s_cbranch_execz .LBB1224_239
.LBB1224_298:
	v_sub_u32_e32 v10, v43, v8
	v_mov_b32_e32 v11, 0
	v_lshlrev_b64 v[10:11], 3, v[10:11]
	v_add_co_u32_e32 v10, vcc, v6, v10
	v_addc_co_u32_e32 v11, vcc, v7, v11, vcc
	global_store_dwordx2 v[10:11], v[86:87], off
	s_or_b64 exec, exec, s[38:39]
	s_and_saveexec_b64 s[38:39], s[8:9]
	s_cbranch_execz .LBB1224_240
.LBB1224_299:
	v_sub_u32_e32 v10, v42, v8
	v_mov_b32_e32 v11, 0
	v_lshlrev_b64 v[10:11], 3, v[10:11]
	v_add_co_u32_e32 v10, vcc, v6, v10
	v_addc_co_u32_e32 v11, vcc, v7, v11, vcc
	global_store_dwordx2 v[10:11], v[88:89], off
	s_or_b64 exec, exec, s[38:39]
	s_and_saveexec_b64 s[38:39], s[6:7]
	s_cbranch_execz .LBB1224_241
.LBB1224_300:
	v_sub_u32_e32 v10, v41, v8
	v_mov_b32_e32 v11, 0
	v_lshlrev_b64 v[10:11], 3, v[10:11]
	v_add_co_u32_e32 v10, vcc, v6, v10
	v_addc_co_u32_e32 v11, vcc, v7, v11, vcc
	global_store_dwordx2 v[10:11], v[90:91], off
	s_or_b64 exec, exec, s[38:39]
	s_and_saveexec_b64 s[38:39], s[4:5]
	s_cbranch_execz .LBB1224_242
.LBB1224_301:
	v_sub_u32_e32 v10, v40, v8
	v_mov_b32_e32 v11, 0
	v_lshlrev_b64 v[10:11], 3, v[10:11]
	v_add_co_u32_e32 v10, vcc, v6, v10
	v_addc_co_u32_e32 v11, vcc, v7, v11, vcc
	global_store_dwordx2 v[10:11], v[92:93], off
	s_or_b64 exec, exec, s[38:39]
	s_and_saveexec_b64 s[38:39], s[2:3]
	s_cbranch_execnz .LBB1224_243
	s_branch .LBB1224_244
.LBB1224_302:
	v_sub_u32_e32 v9, v59, v8
	v_lshlrev_b32_e32 v9, 3, v9
	ds_write_b64 v9, v[94:95]
	s_or_b64 exec, exec, s[38:39]
	s_and_saveexec_b64 s[28:29], s[26:27]
	s_cbranch_execz .LBB1224_248
.LBB1224_303:
	v_sub_u32_e32 v9, v51, v8
	v_lshlrev_b32_e32 v9, 3, v9
	ds_write_b64 v9, v[66:67]
	s_or_b64 exec, exec, s[28:29]
	s_and_saveexec_b64 s[26:27], s[24:25]
	s_cbranch_execz .LBB1224_249
.LBB1224_304:
	v_sub_u32_e32 v9, v50, v8
	v_lshlrev_b32_e32 v9, 3, v9
	ds_write_b64 v9, v[68:69]
	s_or_b64 exec, exec, s[26:27]
	s_and_saveexec_b64 s[24:25], s[22:23]
	s_cbranch_execz .LBB1224_250
.LBB1224_305:
	v_sub_u32_e32 v9, v49, v8
	v_lshlrev_b32_e32 v9, 3, v9
	ds_write_b64 v9, v[70:71]
	s_or_b64 exec, exec, s[24:25]
	s_and_saveexec_b64 s[22:23], s[20:21]
	s_cbranch_execz .LBB1224_251
.LBB1224_306:
	v_sub_u32_e32 v9, v48, v8
	v_lshlrev_b32_e32 v9, 3, v9
	ds_write_b64 v9, v[76:77]
	s_or_b64 exec, exec, s[22:23]
	s_and_saveexec_b64 s[20:21], s[18:19]
	s_cbranch_execz .LBB1224_252
.LBB1224_307:
	v_sub_u32_e32 v9, v47, v8
	v_lshlrev_b32_e32 v9, 3, v9
	ds_write_b64 v9, v[78:79]
	s_or_b64 exec, exec, s[20:21]
	s_and_saveexec_b64 s[18:19], s[16:17]
	s_cbranch_execz .LBB1224_253
.LBB1224_308:
	v_sub_u32_e32 v9, v46, v8
	v_lshlrev_b32_e32 v9, 3, v9
	ds_write_b64 v9, v[80:81]
	s_or_b64 exec, exec, s[18:19]
	s_and_saveexec_b64 s[16:17], s[14:15]
	s_cbranch_execz .LBB1224_254
.LBB1224_309:
	v_sub_u32_e32 v9, v45, v8
	v_lshlrev_b32_e32 v9, 3, v9
	ds_write_b64 v9, v[82:83]
	s_or_b64 exec, exec, s[16:17]
	s_and_saveexec_b64 s[14:15], s[12:13]
	s_cbranch_execz .LBB1224_255
.LBB1224_310:
	v_sub_u32_e32 v9, v44, v8
	v_lshlrev_b32_e32 v9, 3, v9
	ds_write_b64 v9, v[84:85]
	s_or_b64 exec, exec, s[14:15]
	s_and_saveexec_b64 s[12:13], s[10:11]
	s_cbranch_execz .LBB1224_256
.LBB1224_311:
	v_sub_u32_e32 v9, v43, v8
	v_lshlrev_b32_e32 v9, 3, v9
	ds_write_b64 v9, v[86:87]
	s_or_b64 exec, exec, s[12:13]
	s_and_saveexec_b64 s[10:11], s[8:9]
	s_cbranch_execz .LBB1224_257
.LBB1224_312:
	v_sub_u32_e32 v9, v42, v8
	v_lshlrev_b32_e32 v9, 3, v9
	ds_write_b64 v9, v[88:89]
	s_or_b64 exec, exec, s[10:11]
	s_and_saveexec_b64 s[8:9], s[6:7]
	s_cbranch_execz .LBB1224_258
.LBB1224_313:
	v_sub_u32_e32 v9, v41, v8
	v_lshlrev_b32_e32 v9, 3, v9
	ds_write_b64 v9, v[90:91]
	s_or_b64 exec, exec, s[8:9]
	s_and_saveexec_b64 s[6:7], s[4:5]
	s_cbranch_execz .LBB1224_259
.LBB1224_314:
	v_sub_u32_e32 v9, v40, v8
	v_lshlrev_b32_e32 v9, 3, v9
	ds_write_b64 v9, v[92:93]
	s_or_b64 exec, exec, s[6:7]
	s_and_saveexec_b64 s[4:5], s[2:3]
	s_cbranch_execnz .LBB1224_260
	s_branch .LBB1224_261
	.section	.rodata,"a",@progbits
	.p2align	6, 0x0
	.amdhsa_kernel _ZN7rocprim17ROCPRIM_400000_NS6detail17trampoline_kernelINS0_14default_configENS1_29reduce_by_key_config_selectorIllN6thrust23THRUST_200600_302600_NS4plusIlEEEEZZNS1_33reduce_by_key_impl_wrapped_configILNS1_25lookback_scan_determinismE0ES3_S9_PlNS6_17constant_iteratorIiNS6_11use_defaultESE_EENS6_10device_ptrIlEESH_PmS8_NS6_8equal_toIlEEEE10hipError_tPvRmT2_T3_mT4_T5_T6_T7_T8_P12ihipStream_tbENKUlT_T0_E_clISt17integral_constantIbLb1EES11_IbLb0EEEEDaSX_SY_EUlSX_E_NS1_11comp_targetILNS1_3genE4ELNS1_11target_archE910ELNS1_3gpuE8ELNS1_3repE0EEENS1_30default_config_static_selectorELNS0_4arch9wavefront6targetE1EEEvT1_
		.amdhsa_group_segment_fixed_size 30720
		.amdhsa_private_segment_fixed_size 0
		.amdhsa_kernarg_size 144
		.amdhsa_user_sgpr_count 6
		.amdhsa_user_sgpr_private_segment_buffer 1
		.amdhsa_user_sgpr_dispatch_ptr 0
		.amdhsa_user_sgpr_queue_ptr 0
		.amdhsa_user_sgpr_kernarg_segment_ptr 1
		.amdhsa_user_sgpr_dispatch_id 0
		.amdhsa_user_sgpr_flat_scratch_init 0
		.amdhsa_user_sgpr_kernarg_preload_length 0
		.amdhsa_user_sgpr_kernarg_preload_offset 0
		.amdhsa_user_sgpr_private_segment_size 0
		.amdhsa_uses_dynamic_stack 0
		.amdhsa_system_sgpr_private_segment_wavefront_offset 0
		.amdhsa_system_sgpr_workgroup_id_x 1
		.amdhsa_system_sgpr_workgroup_id_y 0
		.amdhsa_system_sgpr_workgroup_id_z 0
		.amdhsa_system_sgpr_workgroup_info 0
		.amdhsa_system_vgpr_workitem_id 0
		.amdhsa_next_free_vgpr 118
		.amdhsa_next_free_sgpr 64
		.amdhsa_accum_offset 120
		.amdhsa_reserve_vcc 1
		.amdhsa_reserve_flat_scratch 0
		.amdhsa_float_round_mode_32 0
		.amdhsa_float_round_mode_16_64 0
		.amdhsa_float_denorm_mode_32 3
		.amdhsa_float_denorm_mode_16_64 3
		.amdhsa_dx10_clamp 1
		.amdhsa_ieee_mode 1
		.amdhsa_fp16_overflow 0
		.amdhsa_tg_split 0
		.amdhsa_exception_fp_ieee_invalid_op 0
		.amdhsa_exception_fp_denorm_src 0
		.amdhsa_exception_fp_ieee_div_zero 0
		.amdhsa_exception_fp_ieee_overflow 0
		.amdhsa_exception_fp_ieee_underflow 0
		.amdhsa_exception_fp_ieee_inexact 0
		.amdhsa_exception_int_div_zero 0
	.end_amdhsa_kernel
	.section	.text._ZN7rocprim17ROCPRIM_400000_NS6detail17trampoline_kernelINS0_14default_configENS1_29reduce_by_key_config_selectorIllN6thrust23THRUST_200600_302600_NS4plusIlEEEEZZNS1_33reduce_by_key_impl_wrapped_configILNS1_25lookback_scan_determinismE0ES3_S9_PlNS6_17constant_iteratorIiNS6_11use_defaultESE_EENS6_10device_ptrIlEESH_PmS8_NS6_8equal_toIlEEEE10hipError_tPvRmT2_T3_mT4_T5_T6_T7_T8_P12ihipStream_tbENKUlT_T0_E_clISt17integral_constantIbLb1EES11_IbLb0EEEEDaSX_SY_EUlSX_E_NS1_11comp_targetILNS1_3genE4ELNS1_11target_archE910ELNS1_3gpuE8ELNS1_3repE0EEENS1_30default_config_static_selectorELNS0_4arch9wavefront6targetE1EEEvT1_,"axG",@progbits,_ZN7rocprim17ROCPRIM_400000_NS6detail17trampoline_kernelINS0_14default_configENS1_29reduce_by_key_config_selectorIllN6thrust23THRUST_200600_302600_NS4plusIlEEEEZZNS1_33reduce_by_key_impl_wrapped_configILNS1_25lookback_scan_determinismE0ES3_S9_PlNS6_17constant_iteratorIiNS6_11use_defaultESE_EENS6_10device_ptrIlEESH_PmS8_NS6_8equal_toIlEEEE10hipError_tPvRmT2_T3_mT4_T5_T6_T7_T8_P12ihipStream_tbENKUlT_T0_E_clISt17integral_constantIbLb1EES11_IbLb0EEEEDaSX_SY_EUlSX_E_NS1_11comp_targetILNS1_3genE4ELNS1_11target_archE910ELNS1_3gpuE8ELNS1_3repE0EEENS1_30default_config_static_selectorELNS0_4arch9wavefront6targetE1EEEvT1_,comdat
.Lfunc_end1224:
	.size	_ZN7rocprim17ROCPRIM_400000_NS6detail17trampoline_kernelINS0_14default_configENS1_29reduce_by_key_config_selectorIllN6thrust23THRUST_200600_302600_NS4plusIlEEEEZZNS1_33reduce_by_key_impl_wrapped_configILNS1_25lookback_scan_determinismE0ES3_S9_PlNS6_17constant_iteratorIiNS6_11use_defaultESE_EENS6_10device_ptrIlEESH_PmS8_NS6_8equal_toIlEEEE10hipError_tPvRmT2_T3_mT4_T5_T6_T7_T8_P12ihipStream_tbENKUlT_T0_E_clISt17integral_constantIbLb1EES11_IbLb0EEEEDaSX_SY_EUlSX_E_NS1_11comp_targetILNS1_3genE4ELNS1_11target_archE910ELNS1_3gpuE8ELNS1_3repE0EEENS1_30default_config_static_selectorELNS0_4arch9wavefront6targetE1EEEvT1_, .Lfunc_end1224-_ZN7rocprim17ROCPRIM_400000_NS6detail17trampoline_kernelINS0_14default_configENS1_29reduce_by_key_config_selectorIllN6thrust23THRUST_200600_302600_NS4plusIlEEEEZZNS1_33reduce_by_key_impl_wrapped_configILNS1_25lookback_scan_determinismE0ES3_S9_PlNS6_17constant_iteratorIiNS6_11use_defaultESE_EENS6_10device_ptrIlEESH_PmS8_NS6_8equal_toIlEEEE10hipError_tPvRmT2_T3_mT4_T5_T6_T7_T8_P12ihipStream_tbENKUlT_T0_E_clISt17integral_constantIbLb1EES11_IbLb0EEEEDaSX_SY_EUlSX_E_NS1_11comp_targetILNS1_3genE4ELNS1_11target_archE910ELNS1_3gpuE8ELNS1_3repE0EEENS1_30default_config_static_selectorELNS0_4arch9wavefront6targetE1EEEvT1_
                                        ; -- End function
	.section	.AMDGPU.csdata,"",@progbits
; Kernel info:
; codeLenInByte = 15748
; NumSgprs: 68
; NumVgprs: 118
; NumAgprs: 0
; TotalNumVgprs: 118
; ScratchSize: 0
; MemoryBound: 0
; FloatMode: 240
; IeeeMode: 1
; LDSByteSize: 30720 bytes/workgroup (compile time only)
; SGPRBlocks: 8
; VGPRBlocks: 14
; NumSGPRsForWavesPerEU: 68
; NumVGPRsForWavesPerEU: 118
; AccumOffset: 120
; Occupancy: 2
; WaveLimiterHint : 1
; COMPUTE_PGM_RSRC2:SCRATCH_EN: 0
; COMPUTE_PGM_RSRC2:USER_SGPR: 6
; COMPUTE_PGM_RSRC2:TRAP_HANDLER: 0
; COMPUTE_PGM_RSRC2:TGID_X_EN: 1
; COMPUTE_PGM_RSRC2:TGID_Y_EN: 0
; COMPUTE_PGM_RSRC2:TGID_Z_EN: 0
; COMPUTE_PGM_RSRC2:TIDIG_COMP_CNT: 0
; COMPUTE_PGM_RSRC3_GFX90A:ACCUM_OFFSET: 29
; COMPUTE_PGM_RSRC3_GFX90A:TG_SPLIT: 0
	.section	.text._ZN7rocprim17ROCPRIM_400000_NS6detail17trampoline_kernelINS0_14default_configENS1_29reduce_by_key_config_selectorIllN6thrust23THRUST_200600_302600_NS4plusIlEEEEZZNS1_33reduce_by_key_impl_wrapped_configILNS1_25lookback_scan_determinismE0ES3_S9_PlNS6_17constant_iteratorIiNS6_11use_defaultESE_EENS6_10device_ptrIlEESH_PmS8_NS6_8equal_toIlEEEE10hipError_tPvRmT2_T3_mT4_T5_T6_T7_T8_P12ihipStream_tbENKUlT_T0_E_clISt17integral_constantIbLb1EES11_IbLb0EEEEDaSX_SY_EUlSX_E_NS1_11comp_targetILNS1_3genE3ELNS1_11target_archE908ELNS1_3gpuE7ELNS1_3repE0EEENS1_30default_config_static_selectorELNS0_4arch9wavefront6targetE1EEEvT1_,"axG",@progbits,_ZN7rocprim17ROCPRIM_400000_NS6detail17trampoline_kernelINS0_14default_configENS1_29reduce_by_key_config_selectorIllN6thrust23THRUST_200600_302600_NS4plusIlEEEEZZNS1_33reduce_by_key_impl_wrapped_configILNS1_25lookback_scan_determinismE0ES3_S9_PlNS6_17constant_iteratorIiNS6_11use_defaultESE_EENS6_10device_ptrIlEESH_PmS8_NS6_8equal_toIlEEEE10hipError_tPvRmT2_T3_mT4_T5_T6_T7_T8_P12ihipStream_tbENKUlT_T0_E_clISt17integral_constantIbLb1EES11_IbLb0EEEEDaSX_SY_EUlSX_E_NS1_11comp_targetILNS1_3genE3ELNS1_11target_archE908ELNS1_3gpuE7ELNS1_3repE0EEENS1_30default_config_static_selectorELNS0_4arch9wavefront6targetE1EEEvT1_,comdat
	.protected	_ZN7rocprim17ROCPRIM_400000_NS6detail17trampoline_kernelINS0_14default_configENS1_29reduce_by_key_config_selectorIllN6thrust23THRUST_200600_302600_NS4plusIlEEEEZZNS1_33reduce_by_key_impl_wrapped_configILNS1_25lookback_scan_determinismE0ES3_S9_PlNS6_17constant_iteratorIiNS6_11use_defaultESE_EENS6_10device_ptrIlEESH_PmS8_NS6_8equal_toIlEEEE10hipError_tPvRmT2_T3_mT4_T5_T6_T7_T8_P12ihipStream_tbENKUlT_T0_E_clISt17integral_constantIbLb1EES11_IbLb0EEEEDaSX_SY_EUlSX_E_NS1_11comp_targetILNS1_3genE3ELNS1_11target_archE908ELNS1_3gpuE7ELNS1_3repE0EEENS1_30default_config_static_selectorELNS0_4arch9wavefront6targetE1EEEvT1_ ; -- Begin function _ZN7rocprim17ROCPRIM_400000_NS6detail17trampoline_kernelINS0_14default_configENS1_29reduce_by_key_config_selectorIllN6thrust23THRUST_200600_302600_NS4plusIlEEEEZZNS1_33reduce_by_key_impl_wrapped_configILNS1_25lookback_scan_determinismE0ES3_S9_PlNS6_17constant_iteratorIiNS6_11use_defaultESE_EENS6_10device_ptrIlEESH_PmS8_NS6_8equal_toIlEEEE10hipError_tPvRmT2_T3_mT4_T5_T6_T7_T8_P12ihipStream_tbENKUlT_T0_E_clISt17integral_constantIbLb1EES11_IbLb0EEEEDaSX_SY_EUlSX_E_NS1_11comp_targetILNS1_3genE3ELNS1_11target_archE908ELNS1_3gpuE7ELNS1_3repE0EEENS1_30default_config_static_selectorELNS0_4arch9wavefront6targetE1EEEvT1_
	.globl	_ZN7rocprim17ROCPRIM_400000_NS6detail17trampoline_kernelINS0_14default_configENS1_29reduce_by_key_config_selectorIllN6thrust23THRUST_200600_302600_NS4plusIlEEEEZZNS1_33reduce_by_key_impl_wrapped_configILNS1_25lookback_scan_determinismE0ES3_S9_PlNS6_17constant_iteratorIiNS6_11use_defaultESE_EENS6_10device_ptrIlEESH_PmS8_NS6_8equal_toIlEEEE10hipError_tPvRmT2_T3_mT4_T5_T6_T7_T8_P12ihipStream_tbENKUlT_T0_E_clISt17integral_constantIbLb1EES11_IbLb0EEEEDaSX_SY_EUlSX_E_NS1_11comp_targetILNS1_3genE3ELNS1_11target_archE908ELNS1_3gpuE7ELNS1_3repE0EEENS1_30default_config_static_selectorELNS0_4arch9wavefront6targetE1EEEvT1_
	.p2align	8
	.type	_ZN7rocprim17ROCPRIM_400000_NS6detail17trampoline_kernelINS0_14default_configENS1_29reduce_by_key_config_selectorIllN6thrust23THRUST_200600_302600_NS4plusIlEEEEZZNS1_33reduce_by_key_impl_wrapped_configILNS1_25lookback_scan_determinismE0ES3_S9_PlNS6_17constant_iteratorIiNS6_11use_defaultESE_EENS6_10device_ptrIlEESH_PmS8_NS6_8equal_toIlEEEE10hipError_tPvRmT2_T3_mT4_T5_T6_T7_T8_P12ihipStream_tbENKUlT_T0_E_clISt17integral_constantIbLb1EES11_IbLb0EEEEDaSX_SY_EUlSX_E_NS1_11comp_targetILNS1_3genE3ELNS1_11target_archE908ELNS1_3gpuE7ELNS1_3repE0EEENS1_30default_config_static_selectorELNS0_4arch9wavefront6targetE1EEEvT1_,@function
_ZN7rocprim17ROCPRIM_400000_NS6detail17trampoline_kernelINS0_14default_configENS1_29reduce_by_key_config_selectorIllN6thrust23THRUST_200600_302600_NS4plusIlEEEEZZNS1_33reduce_by_key_impl_wrapped_configILNS1_25lookback_scan_determinismE0ES3_S9_PlNS6_17constant_iteratorIiNS6_11use_defaultESE_EENS6_10device_ptrIlEESH_PmS8_NS6_8equal_toIlEEEE10hipError_tPvRmT2_T3_mT4_T5_T6_T7_T8_P12ihipStream_tbENKUlT_T0_E_clISt17integral_constantIbLb1EES11_IbLb0EEEEDaSX_SY_EUlSX_E_NS1_11comp_targetILNS1_3genE3ELNS1_11target_archE908ELNS1_3gpuE7ELNS1_3repE0EEENS1_30default_config_static_selectorELNS0_4arch9wavefront6targetE1EEEvT1_: ; @_ZN7rocprim17ROCPRIM_400000_NS6detail17trampoline_kernelINS0_14default_configENS1_29reduce_by_key_config_selectorIllN6thrust23THRUST_200600_302600_NS4plusIlEEEEZZNS1_33reduce_by_key_impl_wrapped_configILNS1_25lookback_scan_determinismE0ES3_S9_PlNS6_17constant_iteratorIiNS6_11use_defaultESE_EENS6_10device_ptrIlEESH_PmS8_NS6_8equal_toIlEEEE10hipError_tPvRmT2_T3_mT4_T5_T6_T7_T8_P12ihipStream_tbENKUlT_T0_E_clISt17integral_constantIbLb1EES11_IbLb0EEEEDaSX_SY_EUlSX_E_NS1_11comp_targetILNS1_3genE3ELNS1_11target_archE908ELNS1_3gpuE7ELNS1_3repE0EEENS1_30default_config_static_selectorELNS0_4arch9wavefront6targetE1EEEvT1_
; %bb.0:
	.section	.rodata,"a",@progbits
	.p2align	6, 0x0
	.amdhsa_kernel _ZN7rocprim17ROCPRIM_400000_NS6detail17trampoline_kernelINS0_14default_configENS1_29reduce_by_key_config_selectorIllN6thrust23THRUST_200600_302600_NS4plusIlEEEEZZNS1_33reduce_by_key_impl_wrapped_configILNS1_25lookback_scan_determinismE0ES3_S9_PlNS6_17constant_iteratorIiNS6_11use_defaultESE_EENS6_10device_ptrIlEESH_PmS8_NS6_8equal_toIlEEEE10hipError_tPvRmT2_T3_mT4_T5_T6_T7_T8_P12ihipStream_tbENKUlT_T0_E_clISt17integral_constantIbLb1EES11_IbLb0EEEEDaSX_SY_EUlSX_E_NS1_11comp_targetILNS1_3genE3ELNS1_11target_archE908ELNS1_3gpuE7ELNS1_3repE0EEENS1_30default_config_static_selectorELNS0_4arch9wavefront6targetE1EEEvT1_
		.amdhsa_group_segment_fixed_size 0
		.amdhsa_private_segment_fixed_size 0
		.amdhsa_kernarg_size 144
		.amdhsa_user_sgpr_count 6
		.amdhsa_user_sgpr_private_segment_buffer 1
		.amdhsa_user_sgpr_dispatch_ptr 0
		.amdhsa_user_sgpr_queue_ptr 0
		.amdhsa_user_sgpr_kernarg_segment_ptr 1
		.amdhsa_user_sgpr_dispatch_id 0
		.amdhsa_user_sgpr_flat_scratch_init 0
		.amdhsa_user_sgpr_kernarg_preload_length 0
		.amdhsa_user_sgpr_kernarg_preload_offset 0
		.amdhsa_user_sgpr_private_segment_size 0
		.amdhsa_uses_dynamic_stack 0
		.amdhsa_system_sgpr_private_segment_wavefront_offset 0
		.amdhsa_system_sgpr_workgroup_id_x 1
		.amdhsa_system_sgpr_workgroup_id_y 0
		.amdhsa_system_sgpr_workgroup_id_z 0
		.amdhsa_system_sgpr_workgroup_info 0
		.amdhsa_system_vgpr_workitem_id 0
		.amdhsa_next_free_vgpr 1
		.amdhsa_next_free_sgpr 0
		.amdhsa_accum_offset 4
		.amdhsa_reserve_vcc 0
		.amdhsa_reserve_flat_scratch 0
		.amdhsa_float_round_mode_32 0
		.amdhsa_float_round_mode_16_64 0
		.amdhsa_float_denorm_mode_32 3
		.amdhsa_float_denorm_mode_16_64 3
		.amdhsa_dx10_clamp 1
		.amdhsa_ieee_mode 1
		.amdhsa_fp16_overflow 0
		.amdhsa_tg_split 0
		.amdhsa_exception_fp_ieee_invalid_op 0
		.amdhsa_exception_fp_denorm_src 0
		.amdhsa_exception_fp_ieee_div_zero 0
		.amdhsa_exception_fp_ieee_overflow 0
		.amdhsa_exception_fp_ieee_underflow 0
		.amdhsa_exception_fp_ieee_inexact 0
		.amdhsa_exception_int_div_zero 0
	.end_amdhsa_kernel
	.section	.text._ZN7rocprim17ROCPRIM_400000_NS6detail17trampoline_kernelINS0_14default_configENS1_29reduce_by_key_config_selectorIllN6thrust23THRUST_200600_302600_NS4plusIlEEEEZZNS1_33reduce_by_key_impl_wrapped_configILNS1_25lookback_scan_determinismE0ES3_S9_PlNS6_17constant_iteratorIiNS6_11use_defaultESE_EENS6_10device_ptrIlEESH_PmS8_NS6_8equal_toIlEEEE10hipError_tPvRmT2_T3_mT4_T5_T6_T7_T8_P12ihipStream_tbENKUlT_T0_E_clISt17integral_constantIbLb1EES11_IbLb0EEEEDaSX_SY_EUlSX_E_NS1_11comp_targetILNS1_3genE3ELNS1_11target_archE908ELNS1_3gpuE7ELNS1_3repE0EEENS1_30default_config_static_selectorELNS0_4arch9wavefront6targetE1EEEvT1_,"axG",@progbits,_ZN7rocprim17ROCPRIM_400000_NS6detail17trampoline_kernelINS0_14default_configENS1_29reduce_by_key_config_selectorIllN6thrust23THRUST_200600_302600_NS4plusIlEEEEZZNS1_33reduce_by_key_impl_wrapped_configILNS1_25lookback_scan_determinismE0ES3_S9_PlNS6_17constant_iteratorIiNS6_11use_defaultESE_EENS6_10device_ptrIlEESH_PmS8_NS6_8equal_toIlEEEE10hipError_tPvRmT2_T3_mT4_T5_T6_T7_T8_P12ihipStream_tbENKUlT_T0_E_clISt17integral_constantIbLb1EES11_IbLb0EEEEDaSX_SY_EUlSX_E_NS1_11comp_targetILNS1_3genE3ELNS1_11target_archE908ELNS1_3gpuE7ELNS1_3repE0EEENS1_30default_config_static_selectorELNS0_4arch9wavefront6targetE1EEEvT1_,comdat
.Lfunc_end1225:
	.size	_ZN7rocprim17ROCPRIM_400000_NS6detail17trampoline_kernelINS0_14default_configENS1_29reduce_by_key_config_selectorIllN6thrust23THRUST_200600_302600_NS4plusIlEEEEZZNS1_33reduce_by_key_impl_wrapped_configILNS1_25lookback_scan_determinismE0ES3_S9_PlNS6_17constant_iteratorIiNS6_11use_defaultESE_EENS6_10device_ptrIlEESH_PmS8_NS6_8equal_toIlEEEE10hipError_tPvRmT2_T3_mT4_T5_T6_T7_T8_P12ihipStream_tbENKUlT_T0_E_clISt17integral_constantIbLb1EES11_IbLb0EEEEDaSX_SY_EUlSX_E_NS1_11comp_targetILNS1_3genE3ELNS1_11target_archE908ELNS1_3gpuE7ELNS1_3repE0EEENS1_30default_config_static_selectorELNS0_4arch9wavefront6targetE1EEEvT1_, .Lfunc_end1225-_ZN7rocprim17ROCPRIM_400000_NS6detail17trampoline_kernelINS0_14default_configENS1_29reduce_by_key_config_selectorIllN6thrust23THRUST_200600_302600_NS4plusIlEEEEZZNS1_33reduce_by_key_impl_wrapped_configILNS1_25lookback_scan_determinismE0ES3_S9_PlNS6_17constant_iteratorIiNS6_11use_defaultESE_EENS6_10device_ptrIlEESH_PmS8_NS6_8equal_toIlEEEE10hipError_tPvRmT2_T3_mT4_T5_T6_T7_T8_P12ihipStream_tbENKUlT_T0_E_clISt17integral_constantIbLb1EES11_IbLb0EEEEDaSX_SY_EUlSX_E_NS1_11comp_targetILNS1_3genE3ELNS1_11target_archE908ELNS1_3gpuE7ELNS1_3repE0EEENS1_30default_config_static_selectorELNS0_4arch9wavefront6targetE1EEEvT1_
                                        ; -- End function
	.section	.AMDGPU.csdata,"",@progbits
; Kernel info:
; codeLenInByte = 0
; NumSgprs: 4
; NumVgprs: 0
; NumAgprs: 0
; TotalNumVgprs: 0
; ScratchSize: 0
; MemoryBound: 0
; FloatMode: 240
; IeeeMode: 1
; LDSByteSize: 0 bytes/workgroup (compile time only)
; SGPRBlocks: 0
; VGPRBlocks: 0
; NumSGPRsForWavesPerEU: 4
; NumVGPRsForWavesPerEU: 1
; AccumOffset: 4
; Occupancy: 8
; WaveLimiterHint : 0
; COMPUTE_PGM_RSRC2:SCRATCH_EN: 0
; COMPUTE_PGM_RSRC2:USER_SGPR: 6
; COMPUTE_PGM_RSRC2:TRAP_HANDLER: 0
; COMPUTE_PGM_RSRC2:TGID_X_EN: 1
; COMPUTE_PGM_RSRC2:TGID_Y_EN: 0
; COMPUTE_PGM_RSRC2:TGID_Z_EN: 0
; COMPUTE_PGM_RSRC2:TIDIG_COMP_CNT: 0
; COMPUTE_PGM_RSRC3_GFX90A:ACCUM_OFFSET: 0
; COMPUTE_PGM_RSRC3_GFX90A:TG_SPLIT: 0
	.section	.text._ZN7rocprim17ROCPRIM_400000_NS6detail17trampoline_kernelINS0_14default_configENS1_29reduce_by_key_config_selectorIllN6thrust23THRUST_200600_302600_NS4plusIlEEEEZZNS1_33reduce_by_key_impl_wrapped_configILNS1_25lookback_scan_determinismE0ES3_S9_PlNS6_17constant_iteratorIiNS6_11use_defaultESE_EENS6_10device_ptrIlEESH_PmS8_NS6_8equal_toIlEEEE10hipError_tPvRmT2_T3_mT4_T5_T6_T7_T8_P12ihipStream_tbENKUlT_T0_E_clISt17integral_constantIbLb1EES11_IbLb0EEEEDaSX_SY_EUlSX_E_NS1_11comp_targetILNS1_3genE2ELNS1_11target_archE906ELNS1_3gpuE6ELNS1_3repE0EEENS1_30default_config_static_selectorELNS0_4arch9wavefront6targetE1EEEvT1_,"axG",@progbits,_ZN7rocprim17ROCPRIM_400000_NS6detail17trampoline_kernelINS0_14default_configENS1_29reduce_by_key_config_selectorIllN6thrust23THRUST_200600_302600_NS4plusIlEEEEZZNS1_33reduce_by_key_impl_wrapped_configILNS1_25lookback_scan_determinismE0ES3_S9_PlNS6_17constant_iteratorIiNS6_11use_defaultESE_EENS6_10device_ptrIlEESH_PmS8_NS6_8equal_toIlEEEE10hipError_tPvRmT2_T3_mT4_T5_T6_T7_T8_P12ihipStream_tbENKUlT_T0_E_clISt17integral_constantIbLb1EES11_IbLb0EEEEDaSX_SY_EUlSX_E_NS1_11comp_targetILNS1_3genE2ELNS1_11target_archE906ELNS1_3gpuE6ELNS1_3repE0EEENS1_30default_config_static_selectorELNS0_4arch9wavefront6targetE1EEEvT1_,comdat
	.protected	_ZN7rocprim17ROCPRIM_400000_NS6detail17trampoline_kernelINS0_14default_configENS1_29reduce_by_key_config_selectorIllN6thrust23THRUST_200600_302600_NS4plusIlEEEEZZNS1_33reduce_by_key_impl_wrapped_configILNS1_25lookback_scan_determinismE0ES3_S9_PlNS6_17constant_iteratorIiNS6_11use_defaultESE_EENS6_10device_ptrIlEESH_PmS8_NS6_8equal_toIlEEEE10hipError_tPvRmT2_T3_mT4_T5_T6_T7_T8_P12ihipStream_tbENKUlT_T0_E_clISt17integral_constantIbLb1EES11_IbLb0EEEEDaSX_SY_EUlSX_E_NS1_11comp_targetILNS1_3genE2ELNS1_11target_archE906ELNS1_3gpuE6ELNS1_3repE0EEENS1_30default_config_static_selectorELNS0_4arch9wavefront6targetE1EEEvT1_ ; -- Begin function _ZN7rocprim17ROCPRIM_400000_NS6detail17trampoline_kernelINS0_14default_configENS1_29reduce_by_key_config_selectorIllN6thrust23THRUST_200600_302600_NS4plusIlEEEEZZNS1_33reduce_by_key_impl_wrapped_configILNS1_25lookback_scan_determinismE0ES3_S9_PlNS6_17constant_iteratorIiNS6_11use_defaultESE_EENS6_10device_ptrIlEESH_PmS8_NS6_8equal_toIlEEEE10hipError_tPvRmT2_T3_mT4_T5_T6_T7_T8_P12ihipStream_tbENKUlT_T0_E_clISt17integral_constantIbLb1EES11_IbLb0EEEEDaSX_SY_EUlSX_E_NS1_11comp_targetILNS1_3genE2ELNS1_11target_archE906ELNS1_3gpuE6ELNS1_3repE0EEENS1_30default_config_static_selectorELNS0_4arch9wavefront6targetE1EEEvT1_
	.globl	_ZN7rocprim17ROCPRIM_400000_NS6detail17trampoline_kernelINS0_14default_configENS1_29reduce_by_key_config_selectorIllN6thrust23THRUST_200600_302600_NS4plusIlEEEEZZNS1_33reduce_by_key_impl_wrapped_configILNS1_25lookback_scan_determinismE0ES3_S9_PlNS6_17constant_iteratorIiNS6_11use_defaultESE_EENS6_10device_ptrIlEESH_PmS8_NS6_8equal_toIlEEEE10hipError_tPvRmT2_T3_mT4_T5_T6_T7_T8_P12ihipStream_tbENKUlT_T0_E_clISt17integral_constantIbLb1EES11_IbLb0EEEEDaSX_SY_EUlSX_E_NS1_11comp_targetILNS1_3genE2ELNS1_11target_archE906ELNS1_3gpuE6ELNS1_3repE0EEENS1_30default_config_static_selectorELNS0_4arch9wavefront6targetE1EEEvT1_
	.p2align	8
	.type	_ZN7rocprim17ROCPRIM_400000_NS6detail17trampoline_kernelINS0_14default_configENS1_29reduce_by_key_config_selectorIllN6thrust23THRUST_200600_302600_NS4plusIlEEEEZZNS1_33reduce_by_key_impl_wrapped_configILNS1_25lookback_scan_determinismE0ES3_S9_PlNS6_17constant_iteratorIiNS6_11use_defaultESE_EENS6_10device_ptrIlEESH_PmS8_NS6_8equal_toIlEEEE10hipError_tPvRmT2_T3_mT4_T5_T6_T7_T8_P12ihipStream_tbENKUlT_T0_E_clISt17integral_constantIbLb1EES11_IbLb0EEEEDaSX_SY_EUlSX_E_NS1_11comp_targetILNS1_3genE2ELNS1_11target_archE906ELNS1_3gpuE6ELNS1_3repE0EEENS1_30default_config_static_selectorELNS0_4arch9wavefront6targetE1EEEvT1_,@function
_ZN7rocprim17ROCPRIM_400000_NS6detail17trampoline_kernelINS0_14default_configENS1_29reduce_by_key_config_selectorIllN6thrust23THRUST_200600_302600_NS4plusIlEEEEZZNS1_33reduce_by_key_impl_wrapped_configILNS1_25lookback_scan_determinismE0ES3_S9_PlNS6_17constant_iteratorIiNS6_11use_defaultESE_EENS6_10device_ptrIlEESH_PmS8_NS6_8equal_toIlEEEE10hipError_tPvRmT2_T3_mT4_T5_T6_T7_T8_P12ihipStream_tbENKUlT_T0_E_clISt17integral_constantIbLb1EES11_IbLb0EEEEDaSX_SY_EUlSX_E_NS1_11comp_targetILNS1_3genE2ELNS1_11target_archE906ELNS1_3gpuE6ELNS1_3repE0EEENS1_30default_config_static_selectorELNS0_4arch9wavefront6targetE1EEEvT1_: ; @_ZN7rocprim17ROCPRIM_400000_NS6detail17trampoline_kernelINS0_14default_configENS1_29reduce_by_key_config_selectorIllN6thrust23THRUST_200600_302600_NS4plusIlEEEEZZNS1_33reduce_by_key_impl_wrapped_configILNS1_25lookback_scan_determinismE0ES3_S9_PlNS6_17constant_iteratorIiNS6_11use_defaultESE_EENS6_10device_ptrIlEESH_PmS8_NS6_8equal_toIlEEEE10hipError_tPvRmT2_T3_mT4_T5_T6_T7_T8_P12ihipStream_tbENKUlT_T0_E_clISt17integral_constantIbLb1EES11_IbLb0EEEEDaSX_SY_EUlSX_E_NS1_11comp_targetILNS1_3genE2ELNS1_11target_archE906ELNS1_3gpuE6ELNS1_3repE0EEENS1_30default_config_static_selectorELNS0_4arch9wavefront6targetE1EEEvT1_
; %bb.0:
	.section	.rodata,"a",@progbits
	.p2align	6, 0x0
	.amdhsa_kernel _ZN7rocprim17ROCPRIM_400000_NS6detail17trampoline_kernelINS0_14default_configENS1_29reduce_by_key_config_selectorIllN6thrust23THRUST_200600_302600_NS4plusIlEEEEZZNS1_33reduce_by_key_impl_wrapped_configILNS1_25lookback_scan_determinismE0ES3_S9_PlNS6_17constant_iteratorIiNS6_11use_defaultESE_EENS6_10device_ptrIlEESH_PmS8_NS6_8equal_toIlEEEE10hipError_tPvRmT2_T3_mT4_T5_T6_T7_T8_P12ihipStream_tbENKUlT_T0_E_clISt17integral_constantIbLb1EES11_IbLb0EEEEDaSX_SY_EUlSX_E_NS1_11comp_targetILNS1_3genE2ELNS1_11target_archE906ELNS1_3gpuE6ELNS1_3repE0EEENS1_30default_config_static_selectorELNS0_4arch9wavefront6targetE1EEEvT1_
		.amdhsa_group_segment_fixed_size 0
		.amdhsa_private_segment_fixed_size 0
		.amdhsa_kernarg_size 144
		.amdhsa_user_sgpr_count 6
		.amdhsa_user_sgpr_private_segment_buffer 1
		.amdhsa_user_sgpr_dispatch_ptr 0
		.amdhsa_user_sgpr_queue_ptr 0
		.amdhsa_user_sgpr_kernarg_segment_ptr 1
		.amdhsa_user_sgpr_dispatch_id 0
		.amdhsa_user_sgpr_flat_scratch_init 0
		.amdhsa_user_sgpr_kernarg_preload_length 0
		.amdhsa_user_sgpr_kernarg_preload_offset 0
		.amdhsa_user_sgpr_private_segment_size 0
		.amdhsa_uses_dynamic_stack 0
		.amdhsa_system_sgpr_private_segment_wavefront_offset 0
		.amdhsa_system_sgpr_workgroup_id_x 1
		.amdhsa_system_sgpr_workgroup_id_y 0
		.amdhsa_system_sgpr_workgroup_id_z 0
		.amdhsa_system_sgpr_workgroup_info 0
		.amdhsa_system_vgpr_workitem_id 0
		.amdhsa_next_free_vgpr 1
		.amdhsa_next_free_sgpr 0
		.amdhsa_accum_offset 4
		.amdhsa_reserve_vcc 0
		.amdhsa_reserve_flat_scratch 0
		.amdhsa_float_round_mode_32 0
		.amdhsa_float_round_mode_16_64 0
		.amdhsa_float_denorm_mode_32 3
		.amdhsa_float_denorm_mode_16_64 3
		.amdhsa_dx10_clamp 1
		.amdhsa_ieee_mode 1
		.amdhsa_fp16_overflow 0
		.amdhsa_tg_split 0
		.amdhsa_exception_fp_ieee_invalid_op 0
		.amdhsa_exception_fp_denorm_src 0
		.amdhsa_exception_fp_ieee_div_zero 0
		.amdhsa_exception_fp_ieee_overflow 0
		.amdhsa_exception_fp_ieee_underflow 0
		.amdhsa_exception_fp_ieee_inexact 0
		.amdhsa_exception_int_div_zero 0
	.end_amdhsa_kernel
	.section	.text._ZN7rocprim17ROCPRIM_400000_NS6detail17trampoline_kernelINS0_14default_configENS1_29reduce_by_key_config_selectorIllN6thrust23THRUST_200600_302600_NS4plusIlEEEEZZNS1_33reduce_by_key_impl_wrapped_configILNS1_25lookback_scan_determinismE0ES3_S9_PlNS6_17constant_iteratorIiNS6_11use_defaultESE_EENS6_10device_ptrIlEESH_PmS8_NS6_8equal_toIlEEEE10hipError_tPvRmT2_T3_mT4_T5_T6_T7_T8_P12ihipStream_tbENKUlT_T0_E_clISt17integral_constantIbLb1EES11_IbLb0EEEEDaSX_SY_EUlSX_E_NS1_11comp_targetILNS1_3genE2ELNS1_11target_archE906ELNS1_3gpuE6ELNS1_3repE0EEENS1_30default_config_static_selectorELNS0_4arch9wavefront6targetE1EEEvT1_,"axG",@progbits,_ZN7rocprim17ROCPRIM_400000_NS6detail17trampoline_kernelINS0_14default_configENS1_29reduce_by_key_config_selectorIllN6thrust23THRUST_200600_302600_NS4plusIlEEEEZZNS1_33reduce_by_key_impl_wrapped_configILNS1_25lookback_scan_determinismE0ES3_S9_PlNS6_17constant_iteratorIiNS6_11use_defaultESE_EENS6_10device_ptrIlEESH_PmS8_NS6_8equal_toIlEEEE10hipError_tPvRmT2_T3_mT4_T5_T6_T7_T8_P12ihipStream_tbENKUlT_T0_E_clISt17integral_constantIbLb1EES11_IbLb0EEEEDaSX_SY_EUlSX_E_NS1_11comp_targetILNS1_3genE2ELNS1_11target_archE906ELNS1_3gpuE6ELNS1_3repE0EEENS1_30default_config_static_selectorELNS0_4arch9wavefront6targetE1EEEvT1_,comdat
.Lfunc_end1226:
	.size	_ZN7rocprim17ROCPRIM_400000_NS6detail17trampoline_kernelINS0_14default_configENS1_29reduce_by_key_config_selectorIllN6thrust23THRUST_200600_302600_NS4plusIlEEEEZZNS1_33reduce_by_key_impl_wrapped_configILNS1_25lookback_scan_determinismE0ES3_S9_PlNS6_17constant_iteratorIiNS6_11use_defaultESE_EENS6_10device_ptrIlEESH_PmS8_NS6_8equal_toIlEEEE10hipError_tPvRmT2_T3_mT4_T5_T6_T7_T8_P12ihipStream_tbENKUlT_T0_E_clISt17integral_constantIbLb1EES11_IbLb0EEEEDaSX_SY_EUlSX_E_NS1_11comp_targetILNS1_3genE2ELNS1_11target_archE906ELNS1_3gpuE6ELNS1_3repE0EEENS1_30default_config_static_selectorELNS0_4arch9wavefront6targetE1EEEvT1_, .Lfunc_end1226-_ZN7rocprim17ROCPRIM_400000_NS6detail17trampoline_kernelINS0_14default_configENS1_29reduce_by_key_config_selectorIllN6thrust23THRUST_200600_302600_NS4plusIlEEEEZZNS1_33reduce_by_key_impl_wrapped_configILNS1_25lookback_scan_determinismE0ES3_S9_PlNS6_17constant_iteratorIiNS6_11use_defaultESE_EENS6_10device_ptrIlEESH_PmS8_NS6_8equal_toIlEEEE10hipError_tPvRmT2_T3_mT4_T5_T6_T7_T8_P12ihipStream_tbENKUlT_T0_E_clISt17integral_constantIbLb1EES11_IbLb0EEEEDaSX_SY_EUlSX_E_NS1_11comp_targetILNS1_3genE2ELNS1_11target_archE906ELNS1_3gpuE6ELNS1_3repE0EEENS1_30default_config_static_selectorELNS0_4arch9wavefront6targetE1EEEvT1_
                                        ; -- End function
	.section	.AMDGPU.csdata,"",@progbits
; Kernel info:
; codeLenInByte = 0
; NumSgprs: 4
; NumVgprs: 0
; NumAgprs: 0
; TotalNumVgprs: 0
; ScratchSize: 0
; MemoryBound: 0
; FloatMode: 240
; IeeeMode: 1
; LDSByteSize: 0 bytes/workgroup (compile time only)
; SGPRBlocks: 0
; VGPRBlocks: 0
; NumSGPRsForWavesPerEU: 4
; NumVGPRsForWavesPerEU: 1
; AccumOffset: 4
; Occupancy: 8
; WaveLimiterHint : 0
; COMPUTE_PGM_RSRC2:SCRATCH_EN: 0
; COMPUTE_PGM_RSRC2:USER_SGPR: 6
; COMPUTE_PGM_RSRC2:TRAP_HANDLER: 0
; COMPUTE_PGM_RSRC2:TGID_X_EN: 1
; COMPUTE_PGM_RSRC2:TGID_Y_EN: 0
; COMPUTE_PGM_RSRC2:TGID_Z_EN: 0
; COMPUTE_PGM_RSRC2:TIDIG_COMP_CNT: 0
; COMPUTE_PGM_RSRC3_GFX90A:ACCUM_OFFSET: 0
; COMPUTE_PGM_RSRC3_GFX90A:TG_SPLIT: 0
	.section	.text._ZN7rocprim17ROCPRIM_400000_NS6detail17trampoline_kernelINS0_14default_configENS1_29reduce_by_key_config_selectorIllN6thrust23THRUST_200600_302600_NS4plusIlEEEEZZNS1_33reduce_by_key_impl_wrapped_configILNS1_25lookback_scan_determinismE0ES3_S9_PlNS6_17constant_iteratorIiNS6_11use_defaultESE_EENS6_10device_ptrIlEESH_PmS8_NS6_8equal_toIlEEEE10hipError_tPvRmT2_T3_mT4_T5_T6_T7_T8_P12ihipStream_tbENKUlT_T0_E_clISt17integral_constantIbLb1EES11_IbLb0EEEEDaSX_SY_EUlSX_E_NS1_11comp_targetILNS1_3genE10ELNS1_11target_archE1201ELNS1_3gpuE5ELNS1_3repE0EEENS1_30default_config_static_selectorELNS0_4arch9wavefront6targetE1EEEvT1_,"axG",@progbits,_ZN7rocprim17ROCPRIM_400000_NS6detail17trampoline_kernelINS0_14default_configENS1_29reduce_by_key_config_selectorIllN6thrust23THRUST_200600_302600_NS4plusIlEEEEZZNS1_33reduce_by_key_impl_wrapped_configILNS1_25lookback_scan_determinismE0ES3_S9_PlNS6_17constant_iteratorIiNS6_11use_defaultESE_EENS6_10device_ptrIlEESH_PmS8_NS6_8equal_toIlEEEE10hipError_tPvRmT2_T3_mT4_T5_T6_T7_T8_P12ihipStream_tbENKUlT_T0_E_clISt17integral_constantIbLb1EES11_IbLb0EEEEDaSX_SY_EUlSX_E_NS1_11comp_targetILNS1_3genE10ELNS1_11target_archE1201ELNS1_3gpuE5ELNS1_3repE0EEENS1_30default_config_static_selectorELNS0_4arch9wavefront6targetE1EEEvT1_,comdat
	.protected	_ZN7rocprim17ROCPRIM_400000_NS6detail17trampoline_kernelINS0_14default_configENS1_29reduce_by_key_config_selectorIllN6thrust23THRUST_200600_302600_NS4plusIlEEEEZZNS1_33reduce_by_key_impl_wrapped_configILNS1_25lookback_scan_determinismE0ES3_S9_PlNS6_17constant_iteratorIiNS6_11use_defaultESE_EENS6_10device_ptrIlEESH_PmS8_NS6_8equal_toIlEEEE10hipError_tPvRmT2_T3_mT4_T5_T6_T7_T8_P12ihipStream_tbENKUlT_T0_E_clISt17integral_constantIbLb1EES11_IbLb0EEEEDaSX_SY_EUlSX_E_NS1_11comp_targetILNS1_3genE10ELNS1_11target_archE1201ELNS1_3gpuE5ELNS1_3repE0EEENS1_30default_config_static_selectorELNS0_4arch9wavefront6targetE1EEEvT1_ ; -- Begin function _ZN7rocprim17ROCPRIM_400000_NS6detail17trampoline_kernelINS0_14default_configENS1_29reduce_by_key_config_selectorIllN6thrust23THRUST_200600_302600_NS4plusIlEEEEZZNS1_33reduce_by_key_impl_wrapped_configILNS1_25lookback_scan_determinismE0ES3_S9_PlNS6_17constant_iteratorIiNS6_11use_defaultESE_EENS6_10device_ptrIlEESH_PmS8_NS6_8equal_toIlEEEE10hipError_tPvRmT2_T3_mT4_T5_T6_T7_T8_P12ihipStream_tbENKUlT_T0_E_clISt17integral_constantIbLb1EES11_IbLb0EEEEDaSX_SY_EUlSX_E_NS1_11comp_targetILNS1_3genE10ELNS1_11target_archE1201ELNS1_3gpuE5ELNS1_3repE0EEENS1_30default_config_static_selectorELNS0_4arch9wavefront6targetE1EEEvT1_
	.globl	_ZN7rocprim17ROCPRIM_400000_NS6detail17trampoline_kernelINS0_14default_configENS1_29reduce_by_key_config_selectorIllN6thrust23THRUST_200600_302600_NS4plusIlEEEEZZNS1_33reduce_by_key_impl_wrapped_configILNS1_25lookback_scan_determinismE0ES3_S9_PlNS6_17constant_iteratorIiNS6_11use_defaultESE_EENS6_10device_ptrIlEESH_PmS8_NS6_8equal_toIlEEEE10hipError_tPvRmT2_T3_mT4_T5_T6_T7_T8_P12ihipStream_tbENKUlT_T0_E_clISt17integral_constantIbLb1EES11_IbLb0EEEEDaSX_SY_EUlSX_E_NS1_11comp_targetILNS1_3genE10ELNS1_11target_archE1201ELNS1_3gpuE5ELNS1_3repE0EEENS1_30default_config_static_selectorELNS0_4arch9wavefront6targetE1EEEvT1_
	.p2align	8
	.type	_ZN7rocprim17ROCPRIM_400000_NS6detail17trampoline_kernelINS0_14default_configENS1_29reduce_by_key_config_selectorIllN6thrust23THRUST_200600_302600_NS4plusIlEEEEZZNS1_33reduce_by_key_impl_wrapped_configILNS1_25lookback_scan_determinismE0ES3_S9_PlNS6_17constant_iteratorIiNS6_11use_defaultESE_EENS6_10device_ptrIlEESH_PmS8_NS6_8equal_toIlEEEE10hipError_tPvRmT2_T3_mT4_T5_T6_T7_T8_P12ihipStream_tbENKUlT_T0_E_clISt17integral_constantIbLb1EES11_IbLb0EEEEDaSX_SY_EUlSX_E_NS1_11comp_targetILNS1_3genE10ELNS1_11target_archE1201ELNS1_3gpuE5ELNS1_3repE0EEENS1_30default_config_static_selectorELNS0_4arch9wavefront6targetE1EEEvT1_,@function
_ZN7rocprim17ROCPRIM_400000_NS6detail17trampoline_kernelINS0_14default_configENS1_29reduce_by_key_config_selectorIllN6thrust23THRUST_200600_302600_NS4plusIlEEEEZZNS1_33reduce_by_key_impl_wrapped_configILNS1_25lookback_scan_determinismE0ES3_S9_PlNS6_17constant_iteratorIiNS6_11use_defaultESE_EENS6_10device_ptrIlEESH_PmS8_NS6_8equal_toIlEEEE10hipError_tPvRmT2_T3_mT4_T5_T6_T7_T8_P12ihipStream_tbENKUlT_T0_E_clISt17integral_constantIbLb1EES11_IbLb0EEEEDaSX_SY_EUlSX_E_NS1_11comp_targetILNS1_3genE10ELNS1_11target_archE1201ELNS1_3gpuE5ELNS1_3repE0EEENS1_30default_config_static_selectorELNS0_4arch9wavefront6targetE1EEEvT1_: ; @_ZN7rocprim17ROCPRIM_400000_NS6detail17trampoline_kernelINS0_14default_configENS1_29reduce_by_key_config_selectorIllN6thrust23THRUST_200600_302600_NS4plusIlEEEEZZNS1_33reduce_by_key_impl_wrapped_configILNS1_25lookback_scan_determinismE0ES3_S9_PlNS6_17constant_iteratorIiNS6_11use_defaultESE_EENS6_10device_ptrIlEESH_PmS8_NS6_8equal_toIlEEEE10hipError_tPvRmT2_T3_mT4_T5_T6_T7_T8_P12ihipStream_tbENKUlT_T0_E_clISt17integral_constantIbLb1EES11_IbLb0EEEEDaSX_SY_EUlSX_E_NS1_11comp_targetILNS1_3genE10ELNS1_11target_archE1201ELNS1_3gpuE5ELNS1_3repE0EEENS1_30default_config_static_selectorELNS0_4arch9wavefront6targetE1EEEvT1_
; %bb.0:
	.section	.rodata,"a",@progbits
	.p2align	6, 0x0
	.amdhsa_kernel _ZN7rocprim17ROCPRIM_400000_NS6detail17trampoline_kernelINS0_14default_configENS1_29reduce_by_key_config_selectorIllN6thrust23THRUST_200600_302600_NS4plusIlEEEEZZNS1_33reduce_by_key_impl_wrapped_configILNS1_25lookback_scan_determinismE0ES3_S9_PlNS6_17constant_iteratorIiNS6_11use_defaultESE_EENS6_10device_ptrIlEESH_PmS8_NS6_8equal_toIlEEEE10hipError_tPvRmT2_T3_mT4_T5_T6_T7_T8_P12ihipStream_tbENKUlT_T0_E_clISt17integral_constantIbLb1EES11_IbLb0EEEEDaSX_SY_EUlSX_E_NS1_11comp_targetILNS1_3genE10ELNS1_11target_archE1201ELNS1_3gpuE5ELNS1_3repE0EEENS1_30default_config_static_selectorELNS0_4arch9wavefront6targetE1EEEvT1_
		.amdhsa_group_segment_fixed_size 0
		.amdhsa_private_segment_fixed_size 0
		.amdhsa_kernarg_size 144
		.amdhsa_user_sgpr_count 6
		.amdhsa_user_sgpr_private_segment_buffer 1
		.amdhsa_user_sgpr_dispatch_ptr 0
		.amdhsa_user_sgpr_queue_ptr 0
		.amdhsa_user_sgpr_kernarg_segment_ptr 1
		.amdhsa_user_sgpr_dispatch_id 0
		.amdhsa_user_sgpr_flat_scratch_init 0
		.amdhsa_user_sgpr_kernarg_preload_length 0
		.amdhsa_user_sgpr_kernarg_preload_offset 0
		.amdhsa_user_sgpr_private_segment_size 0
		.amdhsa_uses_dynamic_stack 0
		.amdhsa_system_sgpr_private_segment_wavefront_offset 0
		.amdhsa_system_sgpr_workgroup_id_x 1
		.amdhsa_system_sgpr_workgroup_id_y 0
		.amdhsa_system_sgpr_workgroup_id_z 0
		.amdhsa_system_sgpr_workgroup_info 0
		.amdhsa_system_vgpr_workitem_id 0
		.amdhsa_next_free_vgpr 1
		.amdhsa_next_free_sgpr 0
		.amdhsa_accum_offset 4
		.amdhsa_reserve_vcc 0
		.amdhsa_reserve_flat_scratch 0
		.amdhsa_float_round_mode_32 0
		.amdhsa_float_round_mode_16_64 0
		.amdhsa_float_denorm_mode_32 3
		.amdhsa_float_denorm_mode_16_64 3
		.amdhsa_dx10_clamp 1
		.amdhsa_ieee_mode 1
		.amdhsa_fp16_overflow 0
		.amdhsa_tg_split 0
		.amdhsa_exception_fp_ieee_invalid_op 0
		.amdhsa_exception_fp_denorm_src 0
		.amdhsa_exception_fp_ieee_div_zero 0
		.amdhsa_exception_fp_ieee_overflow 0
		.amdhsa_exception_fp_ieee_underflow 0
		.amdhsa_exception_fp_ieee_inexact 0
		.amdhsa_exception_int_div_zero 0
	.end_amdhsa_kernel
	.section	.text._ZN7rocprim17ROCPRIM_400000_NS6detail17trampoline_kernelINS0_14default_configENS1_29reduce_by_key_config_selectorIllN6thrust23THRUST_200600_302600_NS4plusIlEEEEZZNS1_33reduce_by_key_impl_wrapped_configILNS1_25lookback_scan_determinismE0ES3_S9_PlNS6_17constant_iteratorIiNS6_11use_defaultESE_EENS6_10device_ptrIlEESH_PmS8_NS6_8equal_toIlEEEE10hipError_tPvRmT2_T3_mT4_T5_T6_T7_T8_P12ihipStream_tbENKUlT_T0_E_clISt17integral_constantIbLb1EES11_IbLb0EEEEDaSX_SY_EUlSX_E_NS1_11comp_targetILNS1_3genE10ELNS1_11target_archE1201ELNS1_3gpuE5ELNS1_3repE0EEENS1_30default_config_static_selectorELNS0_4arch9wavefront6targetE1EEEvT1_,"axG",@progbits,_ZN7rocprim17ROCPRIM_400000_NS6detail17trampoline_kernelINS0_14default_configENS1_29reduce_by_key_config_selectorIllN6thrust23THRUST_200600_302600_NS4plusIlEEEEZZNS1_33reduce_by_key_impl_wrapped_configILNS1_25lookback_scan_determinismE0ES3_S9_PlNS6_17constant_iteratorIiNS6_11use_defaultESE_EENS6_10device_ptrIlEESH_PmS8_NS6_8equal_toIlEEEE10hipError_tPvRmT2_T3_mT4_T5_T6_T7_T8_P12ihipStream_tbENKUlT_T0_E_clISt17integral_constantIbLb1EES11_IbLb0EEEEDaSX_SY_EUlSX_E_NS1_11comp_targetILNS1_3genE10ELNS1_11target_archE1201ELNS1_3gpuE5ELNS1_3repE0EEENS1_30default_config_static_selectorELNS0_4arch9wavefront6targetE1EEEvT1_,comdat
.Lfunc_end1227:
	.size	_ZN7rocprim17ROCPRIM_400000_NS6detail17trampoline_kernelINS0_14default_configENS1_29reduce_by_key_config_selectorIllN6thrust23THRUST_200600_302600_NS4plusIlEEEEZZNS1_33reduce_by_key_impl_wrapped_configILNS1_25lookback_scan_determinismE0ES3_S9_PlNS6_17constant_iteratorIiNS6_11use_defaultESE_EENS6_10device_ptrIlEESH_PmS8_NS6_8equal_toIlEEEE10hipError_tPvRmT2_T3_mT4_T5_T6_T7_T8_P12ihipStream_tbENKUlT_T0_E_clISt17integral_constantIbLb1EES11_IbLb0EEEEDaSX_SY_EUlSX_E_NS1_11comp_targetILNS1_3genE10ELNS1_11target_archE1201ELNS1_3gpuE5ELNS1_3repE0EEENS1_30default_config_static_selectorELNS0_4arch9wavefront6targetE1EEEvT1_, .Lfunc_end1227-_ZN7rocprim17ROCPRIM_400000_NS6detail17trampoline_kernelINS0_14default_configENS1_29reduce_by_key_config_selectorIllN6thrust23THRUST_200600_302600_NS4plusIlEEEEZZNS1_33reduce_by_key_impl_wrapped_configILNS1_25lookback_scan_determinismE0ES3_S9_PlNS6_17constant_iteratorIiNS6_11use_defaultESE_EENS6_10device_ptrIlEESH_PmS8_NS6_8equal_toIlEEEE10hipError_tPvRmT2_T3_mT4_T5_T6_T7_T8_P12ihipStream_tbENKUlT_T0_E_clISt17integral_constantIbLb1EES11_IbLb0EEEEDaSX_SY_EUlSX_E_NS1_11comp_targetILNS1_3genE10ELNS1_11target_archE1201ELNS1_3gpuE5ELNS1_3repE0EEENS1_30default_config_static_selectorELNS0_4arch9wavefront6targetE1EEEvT1_
                                        ; -- End function
	.section	.AMDGPU.csdata,"",@progbits
; Kernel info:
; codeLenInByte = 0
; NumSgprs: 4
; NumVgprs: 0
; NumAgprs: 0
; TotalNumVgprs: 0
; ScratchSize: 0
; MemoryBound: 0
; FloatMode: 240
; IeeeMode: 1
; LDSByteSize: 0 bytes/workgroup (compile time only)
; SGPRBlocks: 0
; VGPRBlocks: 0
; NumSGPRsForWavesPerEU: 4
; NumVGPRsForWavesPerEU: 1
; AccumOffset: 4
; Occupancy: 8
; WaveLimiterHint : 0
; COMPUTE_PGM_RSRC2:SCRATCH_EN: 0
; COMPUTE_PGM_RSRC2:USER_SGPR: 6
; COMPUTE_PGM_RSRC2:TRAP_HANDLER: 0
; COMPUTE_PGM_RSRC2:TGID_X_EN: 1
; COMPUTE_PGM_RSRC2:TGID_Y_EN: 0
; COMPUTE_PGM_RSRC2:TGID_Z_EN: 0
; COMPUTE_PGM_RSRC2:TIDIG_COMP_CNT: 0
; COMPUTE_PGM_RSRC3_GFX90A:ACCUM_OFFSET: 0
; COMPUTE_PGM_RSRC3_GFX90A:TG_SPLIT: 0
	.section	.text._ZN7rocprim17ROCPRIM_400000_NS6detail17trampoline_kernelINS0_14default_configENS1_29reduce_by_key_config_selectorIllN6thrust23THRUST_200600_302600_NS4plusIlEEEEZZNS1_33reduce_by_key_impl_wrapped_configILNS1_25lookback_scan_determinismE0ES3_S9_PlNS6_17constant_iteratorIiNS6_11use_defaultESE_EENS6_10device_ptrIlEESH_PmS8_NS6_8equal_toIlEEEE10hipError_tPvRmT2_T3_mT4_T5_T6_T7_T8_P12ihipStream_tbENKUlT_T0_E_clISt17integral_constantIbLb1EES11_IbLb0EEEEDaSX_SY_EUlSX_E_NS1_11comp_targetILNS1_3genE10ELNS1_11target_archE1200ELNS1_3gpuE4ELNS1_3repE0EEENS1_30default_config_static_selectorELNS0_4arch9wavefront6targetE1EEEvT1_,"axG",@progbits,_ZN7rocprim17ROCPRIM_400000_NS6detail17trampoline_kernelINS0_14default_configENS1_29reduce_by_key_config_selectorIllN6thrust23THRUST_200600_302600_NS4plusIlEEEEZZNS1_33reduce_by_key_impl_wrapped_configILNS1_25lookback_scan_determinismE0ES3_S9_PlNS6_17constant_iteratorIiNS6_11use_defaultESE_EENS6_10device_ptrIlEESH_PmS8_NS6_8equal_toIlEEEE10hipError_tPvRmT2_T3_mT4_T5_T6_T7_T8_P12ihipStream_tbENKUlT_T0_E_clISt17integral_constantIbLb1EES11_IbLb0EEEEDaSX_SY_EUlSX_E_NS1_11comp_targetILNS1_3genE10ELNS1_11target_archE1200ELNS1_3gpuE4ELNS1_3repE0EEENS1_30default_config_static_selectorELNS0_4arch9wavefront6targetE1EEEvT1_,comdat
	.protected	_ZN7rocprim17ROCPRIM_400000_NS6detail17trampoline_kernelINS0_14default_configENS1_29reduce_by_key_config_selectorIllN6thrust23THRUST_200600_302600_NS4plusIlEEEEZZNS1_33reduce_by_key_impl_wrapped_configILNS1_25lookback_scan_determinismE0ES3_S9_PlNS6_17constant_iteratorIiNS6_11use_defaultESE_EENS6_10device_ptrIlEESH_PmS8_NS6_8equal_toIlEEEE10hipError_tPvRmT2_T3_mT4_T5_T6_T7_T8_P12ihipStream_tbENKUlT_T0_E_clISt17integral_constantIbLb1EES11_IbLb0EEEEDaSX_SY_EUlSX_E_NS1_11comp_targetILNS1_3genE10ELNS1_11target_archE1200ELNS1_3gpuE4ELNS1_3repE0EEENS1_30default_config_static_selectorELNS0_4arch9wavefront6targetE1EEEvT1_ ; -- Begin function _ZN7rocprim17ROCPRIM_400000_NS6detail17trampoline_kernelINS0_14default_configENS1_29reduce_by_key_config_selectorIllN6thrust23THRUST_200600_302600_NS4plusIlEEEEZZNS1_33reduce_by_key_impl_wrapped_configILNS1_25lookback_scan_determinismE0ES3_S9_PlNS6_17constant_iteratorIiNS6_11use_defaultESE_EENS6_10device_ptrIlEESH_PmS8_NS6_8equal_toIlEEEE10hipError_tPvRmT2_T3_mT4_T5_T6_T7_T8_P12ihipStream_tbENKUlT_T0_E_clISt17integral_constantIbLb1EES11_IbLb0EEEEDaSX_SY_EUlSX_E_NS1_11comp_targetILNS1_3genE10ELNS1_11target_archE1200ELNS1_3gpuE4ELNS1_3repE0EEENS1_30default_config_static_selectorELNS0_4arch9wavefront6targetE1EEEvT1_
	.globl	_ZN7rocprim17ROCPRIM_400000_NS6detail17trampoline_kernelINS0_14default_configENS1_29reduce_by_key_config_selectorIllN6thrust23THRUST_200600_302600_NS4plusIlEEEEZZNS1_33reduce_by_key_impl_wrapped_configILNS1_25lookback_scan_determinismE0ES3_S9_PlNS6_17constant_iteratorIiNS6_11use_defaultESE_EENS6_10device_ptrIlEESH_PmS8_NS6_8equal_toIlEEEE10hipError_tPvRmT2_T3_mT4_T5_T6_T7_T8_P12ihipStream_tbENKUlT_T0_E_clISt17integral_constantIbLb1EES11_IbLb0EEEEDaSX_SY_EUlSX_E_NS1_11comp_targetILNS1_3genE10ELNS1_11target_archE1200ELNS1_3gpuE4ELNS1_3repE0EEENS1_30default_config_static_selectorELNS0_4arch9wavefront6targetE1EEEvT1_
	.p2align	8
	.type	_ZN7rocprim17ROCPRIM_400000_NS6detail17trampoline_kernelINS0_14default_configENS1_29reduce_by_key_config_selectorIllN6thrust23THRUST_200600_302600_NS4plusIlEEEEZZNS1_33reduce_by_key_impl_wrapped_configILNS1_25lookback_scan_determinismE0ES3_S9_PlNS6_17constant_iteratorIiNS6_11use_defaultESE_EENS6_10device_ptrIlEESH_PmS8_NS6_8equal_toIlEEEE10hipError_tPvRmT2_T3_mT4_T5_T6_T7_T8_P12ihipStream_tbENKUlT_T0_E_clISt17integral_constantIbLb1EES11_IbLb0EEEEDaSX_SY_EUlSX_E_NS1_11comp_targetILNS1_3genE10ELNS1_11target_archE1200ELNS1_3gpuE4ELNS1_3repE0EEENS1_30default_config_static_selectorELNS0_4arch9wavefront6targetE1EEEvT1_,@function
_ZN7rocprim17ROCPRIM_400000_NS6detail17trampoline_kernelINS0_14default_configENS1_29reduce_by_key_config_selectorIllN6thrust23THRUST_200600_302600_NS4plusIlEEEEZZNS1_33reduce_by_key_impl_wrapped_configILNS1_25lookback_scan_determinismE0ES3_S9_PlNS6_17constant_iteratorIiNS6_11use_defaultESE_EENS6_10device_ptrIlEESH_PmS8_NS6_8equal_toIlEEEE10hipError_tPvRmT2_T3_mT4_T5_T6_T7_T8_P12ihipStream_tbENKUlT_T0_E_clISt17integral_constantIbLb1EES11_IbLb0EEEEDaSX_SY_EUlSX_E_NS1_11comp_targetILNS1_3genE10ELNS1_11target_archE1200ELNS1_3gpuE4ELNS1_3repE0EEENS1_30default_config_static_selectorELNS0_4arch9wavefront6targetE1EEEvT1_: ; @_ZN7rocprim17ROCPRIM_400000_NS6detail17trampoline_kernelINS0_14default_configENS1_29reduce_by_key_config_selectorIllN6thrust23THRUST_200600_302600_NS4plusIlEEEEZZNS1_33reduce_by_key_impl_wrapped_configILNS1_25lookback_scan_determinismE0ES3_S9_PlNS6_17constant_iteratorIiNS6_11use_defaultESE_EENS6_10device_ptrIlEESH_PmS8_NS6_8equal_toIlEEEE10hipError_tPvRmT2_T3_mT4_T5_T6_T7_T8_P12ihipStream_tbENKUlT_T0_E_clISt17integral_constantIbLb1EES11_IbLb0EEEEDaSX_SY_EUlSX_E_NS1_11comp_targetILNS1_3genE10ELNS1_11target_archE1200ELNS1_3gpuE4ELNS1_3repE0EEENS1_30default_config_static_selectorELNS0_4arch9wavefront6targetE1EEEvT1_
; %bb.0:
	.section	.rodata,"a",@progbits
	.p2align	6, 0x0
	.amdhsa_kernel _ZN7rocprim17ROCPRIM_400000_NS6detail17trampoline_kernelINS0_14default_configENS1_29reduce_by_key_config_selectorIllN6thrust23THRUST_200600_302600_NS4plusIlEEEEZZNS1_33reduce_by_key_impl_wrapped_configILNS1_25lookback_scan_determinismE0ES3_S9_PlNS6_17constant_iteratorIiNS6_11use_defaultESE_EENS6_10device_ptrIlEESH_PmS8_NS6_8equal_toIlEEEE10hipError_tPvRmT2_T3_mT4_T5_T6_T7_T8_P12ihipStream_tbENKUlT_T0_E_clISt17integral_constantIbLb1EES11_IbLb0EEEEDaSX_SY_EUlSX_E_NS1_11comp_targetILNS1_3genE10ELNS1_11target_archE1200ELNS1_3gpuE4ELNS1_3repE0EEENS1_30default_config_static_selectorELNS0_4arch9wavefront6targetE1EEEvT1_
		.amdhsa_group_segment_fixed_size 0
		.amdhsa_private_segment_fixed_size 0
		.amdhsa_kernarg_size 144
		.amdhsa_user_sgpr_count 6
		.amdhsa_user_sgpr_private_segment_buffer 1
		.amdhsa_user_sgpr_dispatch_ptr 0
		.amdhsa_user_sgpr_queue_ptr 0
		.amdhsa_user_sgpr_kernarg_segment_ptr 1
		.amdhsa_user_sgpr_dispatch_id 0
		.amdhsa_user_sgpr_flat_scratch_init 0
		.amdhsa_user_sgpr_kernarg_preload_length 0
		.amdhsa_user_sgpr_kernarg_preload_offset 0
		.amdhsa_user_sgpr_private_segment_size 0
		.amdhsa_uses_dynamic_stack 0
		.amdhsa_system_sgpr_private_segment_wavefront_offset 0
		.amdhsa_system_sgpr_workgroup_id_x 1
		.amdhsa_system_sgpr_workgroup_id_y 0
		.amdhsa_system_sgpr_workgroup_id_z 0
		.amdhsa_system_sgpr_workgroup_info 0
		.amdhsa_system_vgpr_workitem_id 0
		.amdhsa_next_free_vgpr 1
		.amdhsa_next_free_sgpr 0
		.amdhsa_accum_offset 4
		.amdhsa_reserve_vcc 0
		.amdhsa_reserve_flat_scratch 0
		.amdhsa_float_round_mode_32 0
		.amdhsa_float_round_mode_16_64 0
		.amdhsa_float_denorm_mode_32 3
		.amdhsa_float_denorm_mode_16_64 3
		.amdhsa_dx10_clamp 1
		.amdhsa_ieee_mode 1
		.amdhsa_fp16_overflow 0
		.amdhsa_tg_split 0
		.amdhsa_exception_fp_ieee_invalid_op 0
		.amdhsa_exception_fp_denorm_src 0
		.amdhsa_exception_fp_ieee_div_zero 0
		.amdhsa_exception_fp_ieee_overflow 0
		.amdhsa_exception_fp_ieee_underflow 0
		.amdhsa_exception_fp_ieee_inexact 0
		.amdhsa_exception_int_div_zero 0
	.end_amdhsa_kernel
	.section	.text._ZN7rocprim17ROCPRIM_400000_NS6detail17trampoline_kernelINS0_14default_configENS1_29reduce_by_key_config_selectorIllN6thrust23THRUST_200600_302600_NS4plusIlEEEEZZNS1_33reduce_by_key_impl_wrapped_configILNS1_25lookback_scan_determinismE0ES3_S9_PlNS6_17constant_iteratorIiNS6_11use_defaultESE_EENS6_10device_ptrIlEESH_PmS8_NS6_8equal_toIlEEEE10hipError_tPvRmT2_T3_mT4_T5_T6_T7_T8_P12ihipStream_tbENKUlT_T0_E_clISt17integral_constantIbLb1EES11_IbLb0EEEEDaSX_SY_EUlSX_E_NS1_11comp_targetILNS1_3genE10ELNS1_11target_archE1200ELNS1_3gpuE4ELNS1_3repE0EEENS1_30default_config_static_selectorELNS0_4arch9wavefront6targetE1EEEvT1_,"axG",@progbits,_ZN7rocprim17ROCPRIM_400000_NS6detail17trampoline_kernelINS0_14default_configENS1_29reduce_by_key_config_selectorIllN6thrust23THRUST_200600_302600_NS4plusIlEEEEZZNS1_33reduce_by_key_impl_wrapped_configILNS1_25lookback_scan_determinismE0ES3_S9_PlNS6_17constant_iteratorIiNS6_11use_defaultESE_EENS6_10device_ptrIlEESH_PmS8_NS6_8equal_toIlEEEE10hipError_tPvRmT2_T3_mT4_T5_T6_T7_T8_P12ihipStream_tbENKUlT_T0_E_clISt17integral_constantIbLb1EES11_IbLb0EEEEDaSX_SY_EUlSX_E_NS1_11comp_targetILNS1_3genE10ELNS1_11target_archE1200ELNS1_3gpuE4ELNS1_3repE0EEENS1_30default_config_static_selectorELNS0_4arch9wavefront6targetE1EEEvT1_,comdat
.Lfunc_end1228:
	.size	_ZN7rocprim17ROCPRIM_400000_NS6detail17trampoline_kernelINS0_14default_configENS1_29reduce_by_key_config_selectorIllN6thrust23THRUST_200600_302600_NS4plusIlEEEEZZNS1_33reduce_by_key_impl_wrapped_configILNS1_25lookback_scan_determinismE0ES3_S9_PlNS6_17constant_iteratorIiNS6_11use_defaultESE_EENS6_10device_ptrIlEESH_PmS8_NS6_8equal_toIlEEEE10hipError_tPvRmT2_T3_mT4_T5_T6_T7_T8_P12ihipStream_tbENKUlT_T0_E_clISt17integral_constantIbLb1EES11_IbLb0EEEEDaSX_SY_EUlSX_E_NS1_11comp_targetILNS1_3genE10ELNS1_11target_archE1200ELNS1_3gpuE4ELNS1_3repE0EEENS1_30default_config_static_selectorELNS0_4arch9wavefront6targetE1EEEvT1_, .Lfunc_end1228-_ZN7rocprim17ROCPRIM_400000_NS6detail17trampoline_kernelINS0_14default_configENS1_29reduce_by_key_config_selectorIllN6thrust23THRUST_200600_302600_NS4plusIlEEEEZZNS1_33reduce_by_key_impl_wrapped_configILNS1_25lookback_scan_determinismE0ES3_S9_PlNS6_17constant_iteratorIiNS6_11use_defaultESE_EENS6_10device_ptrIlEESH_PmS8_NS6_8equal_toIlEEEE10hipError_tPvRmT2_T3_mT4_T5_T6_T7_T8_P12ihipStream_tbENKUlT_T0_E_clISt17integral_constantIbLb1EES11_IbLb0EEEEDaSX_SY_EUlSX_E_NS1_11comp_targetILNS1_3genE10ELNS1_11target_archE1200ELNS1_3gpuE4ELNS1_3repE0EEENS1_30default_config_static_selectorELNS0_4arch9wavefront6targetE1EEEvT1_
                                        ; -- End function
	.section	.AMDGPU.csdata,"",@progbits
; Kernel info:
; codeLenInByte = 0
; NumSgprs: 4
; NumVgprs: 0
; NumAgprs: 0
; TotalNumVgprs: 0
; ScratchSize: 0
; MemoryBound: 0
; FloatMode: 240
; IeeeMode: 1
; LDSByteSize: 0 bytes/workgroup (compile time only)
; SGPRBlocks: 0
; VGPRBlocks: 0
; NumSGPRsForWavesPerEU: 4
; NumVGPRsForWavesPerEU: 1
; AccumOffset: 4
; Occupancy: 8
; WaveLimiterHint : 0
; COMPUTE_PGM_RSRC2:SCRATCH_EN: 0
; COMPUTE_PGM_RSRC2:USER_SGPR: 6
; COMPUTE_PGM_RSRC2:TRAP_HANDLER: 0
; COMPUTE_PGM_RSRC2:TGID_X_EN: 1
; COMPUTE_PGM_RSRC2:TGID_Y_EN: 0
; COMPUTE_PGM_RSRC2:TGID_Z_EN: 0
; COMPUTE_PGM_RSRC2:TIDIG_COMP_CNT: 0
; COMPUTE_PGM_RSRC3_GFX90A:ACCUM_OFFSET: 0
; COMPUTE_PGM_RSRC3_GFX90A:TG_SPLIT: 0
	.section	.text._ZN7rocprim17ROCPRIM_400000_NS6detail17trampoline_kernelINS0_14default_configENS1_29reduce_by_key_config_selectorIllN6thrust23THRUST_200600_302600_NS4plusIlEEEEZZNS1_33reduce_by_key_impl_wrapped_configILNS1_25lookback_scan_determinismE0ES3_S9_PlNS6_17constant_iteratorIiNS6_11use_defaultESE_EENS6_10device_ptrIlEESH_PmS8_NS6_8equal_toIlEEEE10hipError_tPvRmT2_T3_mT4_T5_T6_T7_T8_P12ihipStream_tbENKUlT_T0_E_clISt17integral_constantIbLb1EES11_IbLb0EEEEDaSX_SY_EUlSX_E_NS1_11comp_targetILNS1_3genE9ELNS1_11target_archE1100ELNS1_3gpuE3ELNS1_3repE0EEENS1_30default_config_static_selectorELNS0_4arch9wavefront6targetE1EEEvT1_,"axG",@progbits,_ZN7rocprim17ROCPRIM_400000_NS6detail17trampoline_kernelINS0_14default_configENS1_29reduce_by_key_config_selectorIllN6thrust23THRUST_200600_302600_NS4plusIlEEEEZZNS1_33reduce_by_key_impl_wrapped_configILNS1_25lookback_scan_determinismE0ES3_S9_PlNS6_17constant_iteratorIiNS6_11use_defaultESE_EENS6_10device_ptrIlEESH_PmS8_NS6_8equal_toIlEEEE10hipError_tPvRmT2_T3_mT4_T5_T6_T7_T8_P12ihipStream_tbENKUlT_T0_E_clISt17integral_constantIbLb1EES11_IbLb0EEEEDaSX_SY_EUlSX_E_NS1_11comp_targetILNS1_3genE9ELNS1_11target_archE1100ELNS1_3gpuE3ELNS1_3repE0EEENS1_30default_config_static_selectorELNS0_4arch9wavefront6targetE1EEEvT1_,comdat
	.protected	_ZN7rocprim17ROCPRIM_400000_NS6detail17trampoline_kernelINS0_14default_configENS1_29reduce_by_key_config_selectorIllN6thrust23THRUST_200600_302600_NS4plusIlEEEEZZNS1_33reduce_by_key_impl_wrapped_configILNS1_25lookback_scan_determinismE0ES3_S9_PlNS6_17constant_iteratorIiNS6_11use_defaultESE_EENS6_10device_ptrIlEESH_PmS8_NS6_8equal_toIlEEEE10hipError_tPvRmT2_T3_mT4_T5_T6_T7_T8_P12ihipStream_tbENKUlT_T0_E_clISt17integral_constantIbLb1EES11_IbLb0EEEEDaSX_SY_EUlSX_E_NS1_11comp_targetILNS1_3genE9ELNS1_11target_archE1100ELNS1_3gpuE3ELNS1_3repE0EEENS1_30default_config_static_selectorELNS0_4arch9wavefront6targetE1EEEvT1_ ; -- Begin function _ZN7rocprim17ROCPRIM_400000_NS6detail17trampoline_kernelINS0_14default_configENS1_29reduce_by_key_config_selectorIllN6thrust23THRUST_200600_302600_NS4plusIlEEEEZZNS1_33reduce_by_key_impl_wrapped_configILNS1_25lookback_scan_determinismE0ES3_S9_PlNS6_17constant_iteratorIiNS6_11use_defaultESE_EENS6_10device_ptrIlEESH_PmS8_NS6_8equal_toIlEEEE10hipError_tPvRmT2_T3_mT4_T5_T6_T7_T8_P12ihipStream_tbENKUlT_T0_E_clISt17integral_constantIbLb1EES11_IbLb0EEEEDaSX_SY_EUlSX_E_NS1_11comp_targetILNS1_3genE9ELNS1_11target_archE1100ELNS1_3gpuE3ELNS1_3repE0EEENS1_30default_config_static_selectorELNS0_4arch9wavefront6targetE1EEEvT1_
	.globl	_ZN7rocprim17ROCPRIM_400000_NS6detail17trampoline_kernelINS0_14default_configENS1_29reduce_by_key_config_selectorIllN6thrust23THRUST_200600_302600_NS4plusIlEEEEZZNS1_33reduce_by_key_impl_wrapped_configILNS1_25lookback_scan_determinismE0ES3_S9_PlNS6_17constant_iteratorIiNS6_11use_defaultESE_EENS6_10device_ptrIlEESH_PmS8_NS6_8equal_toIlEEEE10hipError_tPvRmT2_T3_mT4_T5_T6_T7_T8_P12ihipStream_tbENKUlT_T0_E_clISt17integral_constantIbLb1EES11_IbLb0EEEEDaSX_SY_EUlSX_E_NS1_11comp_targetILNS1_3genE9ELNS1_11target_archE1100ELNS1_3gpuE3ELNS1_3repE0EEENS1_30default_config_static_selectorELNS0_4arch9wavefront6targetE1EEEvT1_
	.p2align	8
	.type	_ZN7rocprim17ROCPRIM_400000_NS6detail17trampoline_kernelINS0_14default_configENS1_29reduce_by_key_config_selectorIllN6thrust23THRUST_200600_302600_NS4plusIlEEEEZZNS1_33reduce_by_key_impl_wrapped_configILNS1_25lookback_scan_determinismE0ES3_S9_PlNS6_17constant_iteratorIiNS6_11use_defaultESE_EENS6_10device_ptrIlEESH_PmS8_NS6_8equal_toIlEEEE10hipError_tPvRmT2_T3_mT4_T5_T6_T7_T8_P12ihipStream_tbENKUlT_T0_E_clISt17integral_constantIbLb1EES11_IbLb0EEEEDaSX_SY_EUlSX_E_NS1_11comp_targetILNS1_3genE9ELNS1_11target_archE1100ELNS1_3gpuE3ELNS1_3repE0EEENS1_30default_config_static_selectorELNS0_4arch9wavefront6targetE1EEEvT1_,@function
_ZN7rocprim17ROCPRIM_400000_NS6detail17trampoline_kernelINS0_14default_configENS1_29reduce_by_key_config_selectorIllN6thrust23THRUST_200600_302600_NS4plusIlEEEEZZNS1_33reduce_by_key_impl_wrapped_configILNS1_25lookback_scan_determinismE0ES3_S9_PlNS6_17constant_iteratorIiNS6_11use_defaultESE_EENS6_10device_ptrIlEESH_PmS8_NS6_8equal_toIlEEEE10hipError_tPvRmT2_T3_mT4_T5_T6_T7_T8_P12ihipStream_tbENKUlT_T0_E_clISt17integral_constantIbLb1EES11_IbLb0EEEEDaSX_SY_EUlSX_E_NS1_11comp_targetILNS1_3genE9ELNS1_11target_archE1100ELNS1_3gpuE3ELNS1_3repE0EEENS1_30default_config_static_selectorELNS0_4arch9wavefront6targetE1EEEvT1_: ; @_ZN7rocprim17ROCPRIM_400000_NS6detail17trampoline_kernelINS0_14default_configENS1_29reduce_by_key_config_selectorIllN6thrust23THRUST_200600_302600_NS4plusIlEEEEZZNS1_33reduce_by_key_impl_wrapped_configILNS1_25lookback_scan_determinismE0ES3_S9_PlNS6_17constant_iteratorIiNS6_11use_defaultESE_EENS6_10device_ptrIlEESH_PmS8_NS6_8equal_toIlEEEE10hipError_tPvRmT2_T3_mT4_T5_T6_T7_T8_P12ihipStream_tbENKUlT_T0_E_clISt17integral_constantIbLb1EES11_IbLb0EEEEDaSX_SY_EUlSX_E_NS1_11comp_targetILNS1_3genE9ELNS1_11target_archE1100ELNS1_3gpuE3ELNS1_3repE0EEENS1_30default_config_static_selectorELNS0_4arch9wavefront6targetE1EEEvT1_
; %bb.0:
	.section	.rodata,"a",@progbits
	.p2align	6, 0x0
	.amdhsa_kernel _ZN7rocprim17ROCPRIM_400000_NS6detail17trampoline_kernelINS0_14default_configENS1_29reduce_by_key_config_selectorIllN6thrust23THRUST_200600_302600_NS4plusIlEEEEZZNS1_33reduce_by_key_impl_wrapped_configILNS1_25lookback_scan_determinismE0ES3_S9_PlNS6_17constant_iteratorIiNS6_11use_defaultESE_EENS6_10device_ptrIlEESH_PmS8_NS6_8equal_toIlEEEE10hipError_tPvRmT2_T3_mT4_T5_T6_T7_T8_P12ihipStream_tbENKUlT_T0_E_clISt17integral_constantIbLb1EES11_IbLb0EEEEDaSX_SY_EUlSX_E_NS1_11comp_targetILNS1_3genE9ELNS1_11target_archE1100ELNS1_3gpuE3ELNS1_3repE0EEENS1_30default_config_static_selectorELNS0_4arch9wavefront6targetE1EEEvT1_
		.amdhsa_group_segment_fixed_size 0
		.amdhsa_private_segment_fixed_size 0
		.amdhsa_kernarg_size 144
		.amdhsa_user_sgpr_count 6
		.amdhsa_user_sgpr_private_segment_buffer 1
		.amdhsa_user_sgpr_dispatch_ptr 0
		.amdhsa_user_sgpr_queue_ptr 0
		.amdhsa_user_sgpr_kernarg_segment_ptr 1
		.amdhsa_user_sgpr_dispatch_id 0
		.amdhsa_user_sgpr_flat_scratch_init 0
		.amdhsa_user_sgpr_kernarg_preload_length 0
		.amdhsa_user_sgpr_kernarg_preload_offset 0
		.amdhsa_user_sgpr_private_segment_size 0
		.amdhsa_uses_dynamic_stack 0
		.amdhsa_system_sgpr_private_segment_wavefront_offset 0
		.amdhsa_system_sgpr_workgroup_id_x 1
		.amdhsa_system_sgpr_workgroup_id_y 0
		.amdhsa_system_sgpr_workgroup_id_z 0
		.amdhsa_system_sgpr_workgroup_info 0
		.amdhsa_system_vgpr_workitem_id 0
		.amdhsa_next_free_vgpr 1
		.amdhsa_next_free_sgpr 0
		.amdhsa_accum_offset 4
		.amdhsa_reserve_vcc 0
		.amdhsa_reserve_flat_scratch 0
		.amdhsa_float_round_mode_32 0
		.amdhsa_float_round_mode_16_64 0
		.amdhsa_float_denorm_mode_32 3
		.amdhsa_float_denorm_mode_16_64 3
		.amdhsa_dx10_clamp 1
		.amdhsa_ieee_mode 1
		.amdhsa_fp16_overflow 0
		.amdhsa_tg_split 0
		.amdhsa_exception_fp_ieee_invalid_op 0
		.amdhsa_exception_fp_denorm_src 0
		.amdhsa_exception_fp_ieee_div_zero 0
		.amdhsa_exception_fp_ieee_overflow 0
		.amdhsa_exception_fp_ieee_underflow 0
		.amdhsa_exception_fp_ieee_inexact 0
		.amdhsa_exception_int_div_zero 0
	.end_amdhsa_kernel
	.section	.text._ZN7rocprim17ROCPRIM_400000_NS6detail17trampoline_kernelINS0_14default_configENS1_29reduce_by_key_config_selectorIllN6thrust23THRUST_200600_302600_NS4plusIlEEEEZZNS1_33reduce_by_key_impl_wrapped_configILNS1_25lookback_scan_determinismE0ES3_S9_PlNS6_17constant_iteratorIiNS6_11use_defaultESE_EENS6_10device_ptrIlEESH_PmS8_NS6_8equal_toIlEEEE10hipError_tPvRmT2_T3_mT4_T5_T6_T7_T8_P12ihipStream_tbENKUlT_T0_E_clISt17integral_constantIbLb1EES11_IbLb0EEEEDaSX_SY_EUlSX_E_NS1_11comp_targetILNS1_3genE9ELNS1_11target_archE1100ELNS1_3gpuE3ELNS1_3repE0EEENS1_30default_config_static_selectorELNS0_4arch9wavefront6targetE1EEEvT1_,"axG",@progbits,_ZN7rocprim17ROCPRIM_400000_NS6detail17trampoline_kernelINS0_14default_configENS1_29reduce_by_key_config_selectorIllN6thrust23THRUST_200600_302600_NS4plusIlEEEEZZNS1_33reduce_by_key_impl_wrapped_configILNS1_25lookback_scan_determinismE0ES3_S9_PlNS6_17constant_iteratorIiNS6_11use_defaultESE_EENS6_10device_ptrIlEESH_PmS8_NS6_8equal_toIlEEEE10hipError_tPvRmT2_T3_mT4_T5_T6_T7_T8_P12ihipStream_tbENKUlT_T0_E_clISt17integral_constantIbLb1EES11_IbLb0EEEEDaSX_SY_EUlSX_E_NS1_11comp_targetILNS1_3genE9ELNS1_11target_archE1100ELNS1_3gpuE3ELNS1_3repE0EEENS1_30default_config_static_selectorELNS0_4arch9wavefront6targetE1EEEvT1_,comdat
.Lfunc_end1229:
	.size	_ZN7rocprim17ROCPRIM_400000_NS6detail17trampoline_kernelINS0_14default_configENS1_29reduce_by_key_config_selectorIllN6thrust23THRUST_200600_302600_NS4plusIlEEEEZZNS1_33reduce_by_key_impl_wrapped_configILNS1_25lookback_scan_determinismE0ES3_S9_PlNS6_17constant_iteratorIiNS6_11use_defaultESE_EENS6_10device_ptrIlEESH_PmS8_NS6_8equal_toIlEEEE10hipError_tPvRmT2_T3_mT4_T5_T6_T7_T8_P12ihipStream_tbENKUlT_T0_E_clISt17integral_constantIbLb1EES11_IbLb0EEEEDaSX_SY_EUlSX_E_NS1_11comp_targetILNS1_3genE9ELNS1_11target_archE1100ELNS1_3gpuE3ELNS1_3repE0EEENS1_30default_config_static_selectorELNS0_4arch9wavefront6targetE1EEEvT1_, .Lfunc_end1229-_ZN7rocprim17ROCPRIM_400000_NS6detail17trampoline_kernelINS0_14default_configENS1_29reduce_by_key_config_selectorIllN6thrust23THRUST_200600_302600_NS4plusIlEEEEZZNS1_33reduce_by_key_impl_wrapped_configILNS1_25lookback_scan_determinismE0ES3_S9_PlNS6_17constant_iteratorIiNS6_11use_defaultESE_EENS6_10device_ptrIlEESH_PmS8_NS6_8equal_toIlEEEE10hipError_tPvRmT2_T3_mT4_T5_T6_T7_T8_P12ihipStream_tbENKUlT_T0_E_clISt17integral_constantIbLb1EES11_IbLb0EEEEDaSX_SY_EUlSX_E_NS1_11comp_targetILNS1_3genE9ELNS1_11target_archE1100ELNS1_3gpuE3ELNS1_3repE0EEENS1_30default_config_static_selectorELNS0_4arch9wavefront6targetE1EEEvT1_
                                        ; -- End function
	.section	.AMDGPU.csdata,"",@progbits
; Kernel info:
; codeLenInByte = 0
; NumSgprs: 4
; NumVgprs: 0
; NumAgprs: 0
; TotalNumVgprs: 0
; ScratchSize: 0
; MemoryBound: 0
; FloatMode: 240
; IeeeMode: 1
; LDSByteSize: 0 bytes/workgroup (compile time only)
; SGPRBlocks: 0
; VGPRBlocks: 0
; NumSGPRsForWavesPerEU: 4
; NumVGPRsForWavesPerEU: 1
; AccumOffset: 4
; Occupancy: 8
; WaveLimiterHint : 0
; COMPUTE_PGM_RSRC2:SCRATCH_EN: 0
; COMPUTE_PGM_RSRC2:USER_SGPR: 6
; COMPUTE_PGM_RSRC2:TRAP_HANDLER: 0
; COMPUTE_PGM_RSRC2:TGID_X_EN: 1
; COMPUTE_PGM_RSRC2:TGID_Y_EN: 0
; COMPUTE_PGM_RSRC2:TGID_Z_EN: 0
; COMPUTE_PGM_RSRC2:TIDIG_COMP_CNT: 0
; COMPUTE_PGM_RSRC3_GFX90A:ACCUM_OFFSET: 0
; COMPUTE_PGM_RSRC3_GFX90A:TG_SPLIT: 0
	.section	.text._ZN7rocprim17ROCPRIM_400000_NS6detail17trampoline_kernelINS0_14default_configENS1_29reduce_by_key_config_selectorIllN6thrust23THRUST_200600_302600_NS4plusIlEEEEZZNS1_33reduce_by_key_impl_wrapped_configILNS1_25lookback_scan_determinismE0ES3_S9_PlNS6_17constant_iteratorIiNS6_11use_defaultESE_EENS6_10device_ptrIlEESH_PmS8_NS6_8equal_toIlEEEE10hipError_tPvRmT2_T3_mT4_T5_T6_T7_T8_P12ihipStream_tbENKUlT_T0_E_clISt17integral_constantIbLb1EES11_IbLb0EEEEDaSX_SY_EUlSX_E_NS1_11comp_targetILNS1_3genE8ELNS1_11target_archE1030ELNS1_3gpuE2ELNS1_3repE0EEENS1_30default_config_static_selectorELNS0_4arch9wavefront6targetE1EEEvT1_,"axG",@progbits,_ZN7rocprim17ROCPRIM_400000_NS6detail17trampoline_kernelINS0_14default_configENS1_29reduce_by_key_config_selectorIllN6thrust23THRUST_200600_302600_NS4plusIlEEEEZZNS1_33reduce_by_key_impl_wrapped_configILNS1_25lookback_scan_determinismE0ES3_S9_PlNS6_17constant_iteratorIiNS6_11use_defaultESE_EENS6_10device_ptrIlEESH_PmS8_NS6_8equal_toIlEEEE10hipError_tPvRmT2_T3_mT4_T5_T6_T7_T8_P12ihipStream_tbENKUlT_T0_E_clISt17integral_constantIbLb1EES11_IbLb0EEEEDaSX_SY_EUlSX_E_NS1_11comp_targetILNS1_3genE8ELNS1_11target_archE1030ELNS1_3gpuE2ELNS1_3repE0EEENS1_30default_config_static_selectorELNS0_4arch9wavefront6targetE1EEEvT1_,comdat
	.protected	_ZN7rocprim17ROCPRIM_400000_NS6detail17trampoline_kernelINS0_14default_configENS1_29reduce_by_key_config_selectorIllN6thrust23THRUST_200600_302600_NS4plusIlEEEEZZNS1_33reduce_by_key_impl_wrapped_configILNS1_25lookback_scan_determinismE0ES3_S9_PlNS6_17constant_iteratorIiNS6_11use_defaultESE_EENS6_10device_ptrIlEESH_PmS8_NS6_8equal_toIlEEEE10hipError_tPvRmT2_T3_mT4_T5_T6_T7_T8_P12ihipStream_tbENKUlT_T0_E_clISt17integral_constantIbLb1EES11_IbLb0EEEEDaSX_SY_EUlSX_E_NS1_11comp_targetILNS1_3genE8ELNS1_11target_archE1030ELNS1_3gpuE2ELNS1_3repE0EEENS1_30default_config_static_selectorELNS0_4arch9wavefront6targetE1EEEvT1_ ; -- Begin function _ZN7rocprim17ROCPRIM_400000_NS6detail17trampoline_kernelINS0_14default_configENS1_29reduce_by_key_config_selectorIllN6thrust23THRUST_200600_302600_NS4plusIlEEEEZZNS1_33reduce_by_key_impl_wrapped_configILNS1_25lookback_scan_determinismE0ES3_S9_PlNS6_17constant_iteratorIiNS6_11use_defaultESE_EENS6_10device_ptrIlEESH_PmS8_NS6_8equal_toIlEEEE10hipError_tPvRmT2_T3_mT4_T5_T6_T7_T8_P12ihipStream_tbENKUlT_T0_E_clISt17integral_constantIbLb1EES11_IbLb0EEEEDaSX_SY_EUlSX_E_NS1_11comp_targetILNS1_3genE8ELNS1_11target_archE1030ELNS1_3gpuE2ELNS1_3repE0EEENS1_30default_config_static_selectorELNS0_4arch9wavefront6targetE1EEEvT1_
	.globl	_ZN7rocprim17ROCPRIM_400000_NS6detail17trampoline_kernelINS0_14default_configENS1_29reduce_by_key_config_selectorIllN6thrust23THRUST_200600_302600_NS4plusIlEEEEZZNS1_33reduce_by_key_impl_wrapped_configILNS1_25lookback_scan_determinismE0ES3_S9_PlNS6_17constant_iteratorIiNS6_11use_defaultESE_EENS6_10device_ptrIlEESH_PmS8_NS6_8equal_toIlEEEE10hipError_tPvRmT2_T3_mT4_T5_T6_T7_T8_P12ihipStream_tbENKUlT_T0_E_clISt17integral_constantIbLb1EES11_IbLb0EEEEDaSX_SY_EUlSX_E_NS1_11comp_targetILNS1_3genE8ELNS1_11target_archE1030ELNS1_3gpuE2ELNS1_3repE0EEENS1_30default_config_static_selectorELNS0_4arch9wavefront6targetE1EEEvT1_
	.p2align	8
	.type	_ZN7rocprim17ROCPRIM_400000_NS6detail17trampoline_kernelINS0_14default_configENS1_29reduce_by_key_config_selectorIllN6thrust23THRUST_200600_302600_NS4plusIlEEEEZZNS1_33reduce_by_key_impl_wrapped_configILNS1_25lookback_scan_determinismE0ES3_S9_PlNS6_17constant_iteratorIiNS6_11use_defaultESE_EENS6_10device_ptrIlEESH_PmS8_NS6_8equal_toIlEEEE10hipError_tPvRmT2_T3_mT4_T5_T6_T7_T8_P12ihipStream_tbENKUlT_T0_E_clISt17integral_constantIbLb1EES11_IbLb0EEEEDaSX_SY_EUlSX_E_NS1_11comp_targetILNS1_3genE8ELNS1_11target_archE1030ELNS1_3gpuE2ELNS1_3repE0EEENS1_30default_config_static_selectorELNS0_4arch9wavefront6targetE1EEEvT1_,@function
_ZN7rocprim17ROCPRIM_400000_NS6detail17trampoline_kernelINS0_14default_configENS1_29reduce_by_key_config_selectorIllN6thrust23THRUST_200600_302600_NS4plusIlEEEEZZNS1_33reduce_by_key_impl_wrapped_configILNS1_25lookback_scan_determinismE0ES3_S9_PlNS6_17constant_iteratorIiNS6_11use_defaultESE_EENS6_10device_ptrIlEESH_PmS8_NS6_8equal_toIlEEEE10hipError_tPvRmT2_T3_mT4_T5_T6_T7_T8_P12ihipStream_tbENKUlT_T0_E_clISt17integral_constantIbLb1EES11_IbLb0EEEEDaSX_SY_EUlSX_E_NS1_11comp_targetILNS1_3genE8ELNS1_11target_archE1030ELNS1_3gpuE2ELNS1_3repE0EEENS1_30default_config_static_selectorELNS0_4arch9wavefront6targetE1EEEvT1_: ; @_ZN7rocprim17ROCPRIM_400000_NS6detail17trampoline_kernelINS0_14default_configENS1_29reduce_by_key_config_selectorIllN6thrust23THRUST_200600_302600_NS4plusIlEEEEZZNS1_33reduce_by_key_impl_wrapped_configILNS1_25lookback_scan_determinismE0ES3_S9_PlNS6_17constant_iteratorIiNS6_11use_defaultESE_EENS6_10device_ptrIlEESH_PmS8_NS6_8equal_toIlEEEE10hipError_tPvRmT2_T3_mT4_T5_T6_T7_T8_P12ihipStream_tbENKUlT_T0_E_clISt17integral_constantIbLb1EES11_IbLb0EEEEDaSX_SY_EUlSX_E_NS1_11comp_targetILNS1_3genE8ELNS1_11target_archE1030ELNS1_3gpuE2ELNS1_3repE0EEENS1_30default_config_static_selectorELNS0_4arch9wavefront6targetE1EEEvT1_
; %bb.0:
	.section	.rodata,"a",@progbits
	.p2align	6, 0x0
	.amdhsa_kernel _ZN7rocprim17ROCPRIM_400000_NS6detail17trampoline_kernelINS0_14default_configENS1_29reduce_by_key_config_selectorIllN6thrust23THRUST_200600_302600_NS4plusIlEEEEZZNS1_33reduce_by_key_impl_wrapped_configILNS1_25lookback_scan_determinismE0ES3_S9_PlNS6_17constant_iteratorIiNS6_11use_defaultESE_EENS6_10device_ptrIlEESH_PmS8_NS6_8equal_toIlEEEE10hipError_tPvRmT2_T3_mT4_T5_T6_T7_T8_P12ihipStream_tbENKUlT_T0_E_clISt17integral_constantIbLb1EES11_IbLb0EEEEDaSX_SY_EUlSX_E_NS1_11comp_targetILNS1_3genE8ELNS1_11target_archE1030ELNS1_3gpuE2ELNS1_3repE0EEENS1_30default_config_static_selectorELNS0_4arch9wavefront6targetE1EEEvT1_
		.amdhsa_group_segment_fixed_size 0
		.amdhsa_private_segment_fixed_size 0
		.amdhsa_kernarg_size 144
		.amdhsa_user_sgpr_count 6
		.amdhsa_user_sgpr_private_segment_buffer 1
		.amdhsa_user_sgpr_dispatch_ptr 0
		.amdhsa_user_sgpr_queue_ptr 0
		.amdhsa_user_sgpr_kernarg_segment_ptr 1
		.amdhsa_user_sgpr_dispatch_id 0
		.amdhsa_user_sgpr_flat_scratch_init 0
		.amdhsa_user_sgpr_kernarg_preload_length 0
		.amdhsa_user_sgpr_kernarg_preload_offset 0
		.amdhsa_user_sgpr_private_segment_size 0
		.amdhsa_uses_dynamic_stack 0
		.amdhsa_system_sgpr_private_segment_wavefront_offset 0
		.amdhsa_system_sgpr_workgroup_id_x 1
		.amdhsa_system_sgpr_workgroup_id_y 0
		.amdhsa_system_sgpr_workgroup_id_z 0
		.amdhsa_system_sgpr_workgroup_info 0
		.amdhsa_system_vgpr_workitem_id 0
		.amdhsa_next_free_vgpr 1
		.amdhsa_next_free_sgpr 0
		.amdhsa_accum_offset 4
		.amdhsa_reserve_vcc 0
		.amdhsa_reserve_flat_scratch 0
		.amdhsa_float_round_mode_32 0
		.amdhsa_float_round_mode_16_64 0
		.amdhsa_float_denorm_mode_32 3
		.amdhsa_float_denorm_mode_16_64 3
		.amdhsa_dx10_clamp 1
		.amdhsa_ieee_mode 1
		.amdhsa_fp16_overflow 0
		.amdhsa_tg_split 0
		.amdhsa_exception_fp_ieee_invalid_op 0
		.amdhsa_exception_fp_denorm_src 0
		.amdhsa_exception_fp_ieee_div_zero 0
		.amdhsa_exception_fp_ieee_overflow 0
		.amdhsa_exception_fp_ieee_underflow 0
		.amdhsa_exception_fp_ieee_inexact 0
		.amdhsa_exception_int_div_zero 0
	.end_amdhsa_kernel
	.section	.text._ZN7rocprim17ROCPRIM_400000_NS6detail17trampoline_kernelINS0_14default_configENS1_29reduce_by_key_config_selectorIllN6thrust23THRUST_200600_302600_NS4plusIlEEEEZZNS1_33reduce_by_key_impl_wrapped_configILNS1_25lookback_scan_determinismE0ES3_S9_PlNS6_17constant_iteratorIiNS6_11use_defaultESE_EENS6_10device_ptrIlEESH_PmS8_NS6_8equal_toIlEEEE10hipError_tPvRmT2_T3_mT4_T5_T6_T7_T8_P12ihipStream_tbENKUlT_T0_E_clISt17integral_constantIbLb1EES11_IbLb0EEEEDaSX_SY_EUlSX_E_NS1_11comp_targetILNS1_3genE8ELNS1_11target_archE1030ELNS1_3gpuE2ELNS1_3repE0EEENS1_30default_config_static_selectorELNS0_4arch9wavefront6targetE1EEEvT1_,"axG",@progbits,_ZN7rocprim17ROCPRIM_400000_NS6detail17trampoline_kernelINS0_14default_configENS1_29reduce_by_key_config_selectorIllN6thrust23THRUST_200600_302600_NS4plusIlEEEEZZNS1_33reduce_by_key_impl_wrapped_configILNS1_25lookback_scan_determinismE0ES3_S9_PlNS6_17constant_iteratorIiNS6_11use_defaultESE_EENS6_10device_ptrIlEESH_PmS8_NS6_8equal_toIlEEEE10hipError_tPvRmT2_T3_mT4_T5_T6_T7_T8_P12ihipStream_tbENKUlT_T0_E_clISt17integral_constantIbLb1EES11_IbLb0EEEEDaSX_SY_EUlSX_E_NS1_11comp_targetILNS1_3genE8ELNS1_11target_archE1030ELNS1_3gpuE2ELNS1_3repE0EEENS1_30default_config_static_selectorELNS0_4arch9wavefront6targetE1EEEvT1_,comdat
.Lfunc_end1230:
	.size	_ZN7rocprim17ROCPRIM_400000_NS6detail17trampoline_kernelINS0_14default_configENS1_29reduce_by_key_config_selectorIllN6thrust23THRUST_200600_302600_NS4plusIlEEEEZZNS1_33reduce_by_key_impl_wrapped_configILNS1_25lookback_scan_determinismE0ES3_S9_PlNS6_17constant_iteratorIiNS6_11use_defaultESE_EENS6_10device_ptrIlEESH_PmS8_NS6_8equal_toIlEEEE10hipError_tPvRmT2_T3_mT4_T5_T6_T7_T8_P12ihipStream_tbENKUlT_T0_E_clISt17integral_constantIbLb1EES11_IbLb0EEEEDaSX_SY_EUlSX_E_NS1_11comp_targetILNS1_3genE8ELNS1_11target_archE1030ELNS1_3gpuE2ELNS1_3repE0EEENS1_30default_config_static_selectorELNS0_4arch9wavefront6targetE1EEEvT1_, .Lfunc_end1230-_ZN7rocprim17ROCPRIM_400000_NS6detail17trampoline_kernelINS0_14default_configENS1_29reduce_by_key_config_selectorIllN6thrust23THRUST_200600_302600_NS4plusIlEEEEZZNS1_33reduce_by_key_impl_wrapped_configILNS1_25lookback_scan_determinismE0ES3_S9_PlNS6_17constant_iteratorIiNS6_11use_defaultESE_EENS6_10device_ptrIlEESH_PmS8_NS6_8equal_toIlEEEE10hipError_tPvRmT2_T3_mT4_T5_T6_T7_T8_P12ihipStream_tbENKUlT_T0_E_clISt17integral_constantIbLb1EES11_IbLb0EEEEDaSX_SY_EUlSX_E_NS1_11comp_targetILNS1_3genE8ELNS1_11target_archE1030ELNS1_3gpuE2ELNS1_3repE0EEENS1_30default_config_static_selectorELNS0_4arch9wavefront6targetE1EEEvT1_
                                        ; -- End function
	.section	.AMDGPU.csdata,"",@progbits
; Kernel info:
; codeLenInByte = 0
; NumSgprs: 4
; NumVgprs: 0
; NumAgprs: 0
; TotalNumVgprs: 0
; ScratchSize: 0
; MemoryBound: 0
; FloatMode: 240
; IeeeMode: 1
; LDSByteSize: 0 bytes/workgroup (compile time only)
; SGPRBlocks: 0
; VGPRBlocks: 0
; NumSGPRsForWavesPerEU: 4
; NumVGPRsForWavesPerEU: 1
; AccumOffset: 4
; Occupancy: 8
; WaveLimiterHint : 0
; COMPUTE_PGM_RSRC2:SCRATCH_EN: 0
; COMPUTE_PGM_RSRC2:USER_SGPR: 6
; COMPUTE_PGM_RSRC2:TRAP_HANDLER: 0
; COMPUTE_PGM_RSRC2:TGID_X_EN: 1
; COMPUTE_PGM_RSRC2:TGID_Y_EN: 0
; COMPUTE_PGM_RSRC2:TGID_Z_EN: 0
; COMPUTE_PGM_RSRC2:TIDIG_COMP_CNT: 0
; COMPUTE_PGM_RSRC3_GFX90A:ACCUM_OFFSET: 0
; COMPUTE_PGM_RSRC3_GFX90A:TG_SPLIT: 0
	.section	.text._ZN7rocprim17ROCPRIM_400000_NS6detail17trampoline_kernelINS0_14default_configENS1_29reduce_by_key_config_selectorIllN6thrust23THRUST_200600_302600_NS4plusIlEEEEZZNS1_33reduce_by_key_impl_wrapped_configILNS1_25lookback_scan_determinismE0ES3_S9_PlNS6_17constant_iteratorIiNS6_11use_defaultESE_EENS6_10device_ptrIlEESH_PmS8_NS6_8equal_toIlEEEE10hipError_tPvRmT2_T3_mT4_T5_T6_T7_T8_P12ihipStream_tbENKUlT_T0_E_clISt17integral_constantIbLb0EES11_IbLb1EEEEDaSX_SY_EUlSX_E_NS1_11comp_targetILNS1_3genE0ELNS1_11target_archE4294967295ELNS1_3gpuE0ELNS1_3repE0EEENS1_30default_config_static_selectorELNS0_4arch9wavefront6targetE1EEEvT1_,"axG",@progbits,_ZN7rocprim17ROCPRIM_400000_NS6detail17trampoline_kernelINS0_14default_configENS1_29reduce_by_key_config_selectorIllN6thrust23THRUST_200600_302600_NS4plusIlEEEEZZNS1_33reduce_by_key_impl_wrapped_configILNS1_25lookback_scan_determinismE0ES3_S9_PlNS6_17constant_iteratorIiNS6_11use_defaultESE_EENS6_10device_ptrIlEESH_PmS8_NS6_8equal_toIlEEEE10hipError_tPvRmT2_T3_mT4_T5_T6_T7_T8_P12ihipStream_tbENKUlT_T0_E_clISt17integral_constantIbLb0EES11_IbLb1EEEEDaSX_SY_EUlSX_E_NS1_11comp_targetILNS1_3genE0ELNS1_11target_archE4294967295ELNS1_3gpuE0ELNS1_3repE0EEENS1_30default_config_static_selectorELNS0_4arch9wavefront6targetE1EEEvT1_,comdat
	.protected	_ZN7rocprim17ROCPRIM_400000_NS6detail17trampoline_kernelINS0_14default_configENS1_29reduce_by_key_config_selectorIllN6thrust23THRUST_200600_302600_NS4plusIlEEEEZZNS1_33reduce_by_key_impl_wrapped_configILNS1_25lookback_scan_determinismE0ES3_S9_PlNS6_17constant_iteratorIiNS6_11use_defaultESE_EENS6_10device_ptrIlEESH_PmS8_NS6_8equal_toIlEEEE10hipError_tPvRmT2_T3_mT4_T5_T6_T7_T8_P12ihipStream_tbENKUlT_T0_E_clISt17integral_constantIbLb0EES11_IbLb1EEEEDaSX_SY_EUlSX_E_NS1_11comp_targetILNS1_3genE0ELNS1_11target_archE4294967295ELNS1_3gpuE0ELNS1_3repE0EEENS1_30default_config_static_selectorELNS0_4arch9wavefront6targetE1EEEvT1_ ; -- Begin function _ZN7rocprim17ROCPRIM_400000_NS6detail17trampoline_kernelINS0_14default_configENS1_29reduce_by_key_config_selectorIllN6thrust23THRUST_200600_302600_NS4plusIlEEEEZZNS1_33reduce_by_key_impl_wrapped_configILNS1_25lookback_scan_determinismE0ES3_S9_PlNS6_17constant_iteratorIiNS6_11use_defaultESE_EENS6_10device_ptrIlEESH_PmS8_NS6_8equal_toIlEEEE10hipError_tPvRmT2_T3_mT4_T5_T6_T7_T8_P12ihipStream_tbENKUlT_T0_E_clISt17integral_constantIbLb0EES11_IbLb1EEEEDaSX_SY_EUlSX_E_NS1_11comp_targetILNS1_3genE0ELNS1_11target_archE4294967295ELNS1_3gpuE0ELNS1_3repE0EEENS1_30default_config_static_selectorELNS0_4arch9wavefront6targetE1EEEvT1_
	.globl	_ZN7rocprim17ROCPRIM_400000_NS6detail17trampoline_kernelINS0_14default_configENS1_29reduce_by_key_config_selectorIllN6thrust23THRUST_200600_302600_NS4plusIlEEEEZZNS1_33reduce_by_key_impl_wrapped_configILNS1_25lookback_scan_determinismE0ES3_S9_PlNS6_17constant_iteratorIiNS6_11use_defaultESE_EENS6_10device_ptrIlEESH_PmS8_NS6_8equal_toIlEEEE10hipError_tPvRmT2_T3_mT4_T5_T6_T7_T8_P12ihipStream_tbENKUlT_T0_E_clISt17integral_constantIbLb0EES11_IbLb1EEEEDaSX_SY_EUlSX_E_NS1_11comp_targetILNS1_3genE0ELNS1_11target_archE4294967295ELNS1_3gpuE0ELNS1_3repE0EEENS1_30default_config_static_selectorELNS0_4arch9wavefront6targetE1EEEvT1_
	.p2align	8
	.type	_ZN7rocprim17ROCPRIM_400000_NS6detail17trampoline_kernelINS0_14default_configENS1_29reduce_by_key_config_selectorIllN6thrust23THRUST_200600_302600_NS4plusIlEEEEZZNS1_33reduce_by_key_impl_wrapped_configILNS1_25lookback_scan_determinismE0ES3_S9_PlNS6_17constant_iteratorIiNS6_11use_defaultESE_EENS6_10device_ptrIlEESH_PmS8_NS6_8equal_toIlEEEE10hipError_tPvRmT2_T3_mT4_T5_T6_T7_T8_P12ihipStream_tbENKUlT_T0_E_clISt17integral_constantIbLb0EES11_IbLb1EEEEDaSX_SY_EUlSX_E_NS1_11comp_targetILNS1_3genE0ELNS1_11target_archE4294967295ELNS1_3gpuE0ELNS1_3repE0EEENS1_30default_config_static_selectorELNS0_4arch9wavefront6targetE1EEEvT1_,@function
_ZN7rocprim17ROCPRIM_400000_NS6detail17trampoline_kernelINS0_14default_configENS1_29reduce_by_key_config_selectorIllN6thrust23THRUST_200600_302600_NS4plusIlEEEEZZNS1_33reduce_by_key_impl_wrapped_configILNS1_25lookback_scan_determinismE0ES3_S9_PlNS6_17constant_iteratorIiNS6_11use_defaultESE_EENS6_10device_ptrIlEESH_PmS8_NS6_8equal_toIlEEEE10hipError_tPvRmT2_T3_mT4_T5_T6_T7_T8_P12ihipStream_tbENKUlT_T0_E_clISt17integral_constantIbLb0EES11_IbLb1EEEEDaSX_SY_EUlSX_E_NS1_11comp_targetILNS1_3genE0ELNS1_11target_archE4294967295ELNS1_3gpuE0ELNS1_3repE0EEENS1_30default_config_static_selectorELNS0_4arch9wavefront6targetE1EEEvT1_: ; @_ZN7rocprim17ROCPRIM_400000_NS6detail17trampoline_kernelINS0_14default_configENS1_29reduce_by_key_config_selectorIllN6thrust23THRUST_200600_302600_NS4plusIlEEEEZZNS1_33reduce_by_key_impl_wrapped_configILNS1_25lookback_scan_determinismE0ES3_S9_PlNS6_17constant_iteratorIiNS6_11use_defaultESE_EENS6_10device_ptrIlEESH_PmS8_NS6_8equal_toIlEEEE10hipError_tPvRmT2_T3_mT4_T5_T6_T7_T8_P12ihipStream_tbENKUlT_T0_E_clISt17integral_constantIbLb0EES11_IbLb1EEEEDaSX_SY_EUlSX_E_NS1_11comp_targetILNS1_3genE0ELNS1_11target_archE4294967295ELNS1_3gpuE0ELNS1_3repE0EEENS1_30default_config_static_selectorELNS0_4arch9wavefront6targetE1EEEvT1_
; %bb.0:
	.section	.rodata,"a",@progbits
	.p2align	6, 0x0
	.amdhsa_kernel _ZN7rocprim17ROCPRIM_400000_NS6detail17trampoline_kernelINS0_14default_configENS1_29reduce_by_key_config_selectorIllN6thrust23THRUST_200600_302600_NS4plusIlEEEEZZNS1_33reduce_by_key_impl_wrapped_configILNS1_25lookback_scan_determinismE0ES3_S9_PlNS6_17constant_iteratorIiNS6_11use_defaultESE_EENS6_10device_ptrIlEESH_PmS8_NS6_8equal_toIlEEEE10hipError_tPvRmT2_T3_mT4_T5_T6_T7_T8_P12ihipStream_tbENKUlT_T0_E_clISt17integral_constantIbLb0EES11_IbLb1EEEEDaSX_SY_EUlSX_E_NS1_11comp_targetILNS1_3genE0ELNS1_11target_archE4294967295ELNS1_3gpuE0ELNS1_3repE0EEENS1_30default_config_static_selectorELNS0_4arch9wavefront6targetE1EEEvT1_
		.amdhsa_group_segment_fixed_size 0
		.amdhsa_private_segment_fixed_size 0
		.amdhsa_kernarg_size 144
		.amdhsa_user_sgpr_count 6
		.amdhsa_user_sgpr_private_segment_buffer 1
		.amdhsa_user_sgpr_dispatch_ptr 0
		.amdhsa_user_sgpr_queue_ptr 0
		.amdhsa_user_sgpr_kernarg_segment_ptr 1
		.amdhsa_user_sgpr_dispatch_id 0
		.amdhsa_user_sgpr_flat_scratch_init 0
		.amdhsa_user_sgpr_kernarg_preload_length 0
		.amdhsa_user_sgpr_kernarg_preload_offset 0
		.amdhsa_user_sgpr_private_segment_size 0
		.amdhsa_uses_dynamic_stack 0
		.amdhsa_system_sgpr_private_segment_wavefront_offset 0
		.amdhsa_system_sgpr_workgroup_id_x 1
		.amdhsa_system_sgpr_workgroup_id_y 0
		.amdhsa_system_sgpr_workgroup_id_z 0
		.amdhsa_system_sgpr_workgroup_info 0
		.amdhsa_system_vgpr_workitem_id 0
		.amdhsa_next_free_vgpr 1
		.amdhsa_next_free_sgpr 0
		.amdhsa_accum_offset 4
		.amdhsa_reserve_vcc 0
		.amdhsa_reserve_flat_scratch 0
		.amdhsa_float_round_mode_32 0
		.amdhsa_float_round_mode_16_64 0
		.amdhsa_float_denorm_mode_32 3
		.amdhsa_float_denorm_mode_16_64 3
		.amdhsa_dx10_clamp 1
		.amdhsa_ieee_mode 1
		.amdhsa_fp16_overflow 0
		.amdhsa_tg_split 0
		.amdhsa_exception_fp_ieee_invalid_op 0
		.amdhsa_exception_fp_denorm_src 0
		.amdhsa_exception_fp_ieee_div_zero 0
		.amdhsa_exception_fp_ieee_overflow 0
		.amdhsa_exception_fp_ieee_underflow 0
		.amdhsa_exception_fp_ieee_inexact 0
		.amdhsa_exception_int_div_zero 0
	.end_amdhsa_kernel
	.section	.text._ZN7rocprim17ROCPRIM_400000_NS6detail17trampoline_kernelINS0_14default_configENS1_29reduce_by_key_config_selectorIllN6thrust23THRUST_200600_302600_NS4plusIlEEEEZZNS1_33reduce_by_key_impl_wrapped_configILNS1_25lookback_scan_determinismE0ES3_S9_PlNS6_17constant_iteratorIiNS6_11use_defaultESE_EENS6_10device_ptrIlEESH_PmS8_NS6_8equal_toIlEEEE10hipError_tPvRmT2_T3_mT4_T5_T6_T7_T8_P12ihipStream_tbENKUlT_T0_E_clISt17integral_constantIbLb0EES11_IbLb1EEEEDaSX_SY_EUlSX_E_NS1_11comp_targetILNS1_3genE0ELNS1_11target_archE4294967295ELNS1_3gpuE0ELNS1_3repE0EEENS1_30default_config_static_selectorELNS0_4arch9wavefront6targetE1EEEvT1_,"axG",@progbits,_ZN7rocprim17ROCPRIM_400000_NS6detail17trampoline_kernelINS0_14default_configENS1_29reduce_by_key_config_selectorIllN6thrust23THRUST_200600_302600_NS4plusIlEEEEZZNS1_33reduce_by_key_impl_wrapped_configILNS1_25lookback_scan_determinismE0ES3_S9_PlNS6_17constant_iteratorIiNS6_11use_defaultESE_EENS6_10device_ptrIlEESH_PmS8_NS6_8equal_toIlEEEE10hipError_tPvRmT2_T3_mT4_T5_T6_T7_T8_P12ihipStream_tbENKUlT_T0_E_clISt17integral_constantIbLb0EES11_IbLb1EEEEDaSX_SY_EUlSX_E_NS1_11comp_targetILNS1_3genE0ELNS1_11target_archE4294967295ELNS1_3gpuE0ELNS1_3repE0EEENS1_30default_config_static_selectorELNS0_4arch9wavefront6targetE1EEEvT1_,comdat
.Lfunc_end1231:
	.size	_ZN7rocprim17ROCPRIM_400000_NS6detail17trampoline_kernelINS0_14default_configENS1_29reduce_by_key_config_selectorIllN6thrust23THRUST_200600_302600_NS4plusIlEEEEZZNS1_33reduce_by_key_impl_wrapped_configILNS1_25lookback_scan_determinismE0ES3_S9_PlNS6_17constant_iteratorIiNS6_11use_defaultESE_EENS6_10device_ptrIlEESH_PmS8_NS6_8equal_toIlEEEE10hipError_tPvRmT2_T3_mT4_T5_T6_T7_T8_P12ihipStream_tbENKUlT_T0_E_clISt17integral_constantIbLb0EES11_IbLb1EEEEDaSX_SY_EUlSX_E_NS1_11comp_targetILNS1_3genE0ELNS1_11target_archE4294967295ELNS1_3gpuE0ELNS1_3repE0EEENS1_30default_config_static_selectorELNS0_4arch9wavefront6targetE1EEEvT1_, .Lfunc_end1231-_ZN7rocprim17ROCPRIM_400000_NS6detail17trampoline_kernelINS0_14default_configENS1_29reduce_by_key_config_selectorIllN6thrust23THRUST_200600_302600_NS4plusIlEEEEZZNS1_33reduce_by_key_impl_wrapped_configILNS1_25lookback_scan_determinismE0ES3_S9_PlNS6_17constant_iteratorIiNS6_11use_defaultESE_EENS6_10device_ptrIlEESH_PmS8_NS6_8equal_toIlEEEE10hipError_tPvRmT2_T3_mT4_T5_T6_T7_T8_P12ihipStream_tbENKUlT_T0_E_clISt17integral_constantIbLb0EES11_IbLb1EEEEDaSX_SY_EUlSX_E_NS1_11comp_targetILNS1_3genE0ELNS1_11target_archE4294967295ELNS1_3gpuE0ELNS1_3repE0EEENS1_30default_config_static_selectorELNS0_4arch9wavefront6targetE1EEEvT1_
                                        ; -- End function
	.section	.AMDGPU.csdata,"",@progbits
; Kernel info:
; codeLenInByte = 0
; NumSgprs: 4
; NumVgprs: 0
; NumAgprs: 0
; TotalNumVgprs: 0
; ScratchSize: 0
; MemoryBound: 0
; FloatMode: 240
; IeeeMode: 1
; LDSByteSize: 0 bytes/workgroup (compile time only)
; SGPRBlocks: 0
; VGPRBlocks: 0
; NumSGPRsForWavesPerEU: 4
; NumVGPRsForWavesPerEU: 1
; AccumOffset: 4
; Occupancy: 8
; WaveLimiterHint : 0
; COMPUTE_PGM_RSRC2:SCRATCH_EN: 0
; COMPUTE_PGM_RSRC2:USER_SGPR: 6
; COMPUTE_PGM_RSRC2:TRAP_HANDLER: 0
; COMPUTE_PGM_RSRC2:TGID_X_EN: 1
; COMPUTE_PGM_RSRC2:TGID_Y_EN: 0
; COMPUTE_PGM_RSRC2:TGID_Z_EN: 0
; COMPUTE_PGM_RSRC2:TIDIG_COMP_CNT: 0
; COMPUTE_PGM_RSRC3_GFX90A:ACCUM_OFFSET: 0
; COMPUTE_PGM_RSRC3_GFX90A:TG_SPLIT: 0
	.section	.text._ZN7rocprim17ROCPRIM_400000_NS6detail17trampoline_kernelINS0_14default_configENS1_29reduce_by_key_config_selectorIllN6thrust23THRUST_200600_302600_NS4plusIlEEEEZZNS1_33reduce_by_key_impl_wrapped_configILNS1_25lookback_scan_determinismE0ES3_S9_PlNS6_17constant_iteratorIiNS6_11use_defaultESE_EENS6_10device_ptrIlEESH_PmS8_NS6_8equal_toIlEEEE10hipError_tPvRmT2_T3_mT4_T5_T6_T7_T8_P12ihipStream_tbENKUlT_T0_E_clISt17integral_constantIbLb0EES11_IbLb1EEEEDaSX_SY_EUlSX_E_NS1_11comp_targetILNS1_3genE5ELNS1_11target_archE942ELNS1_3gpuE9ELNS1_3repE0EEENS1_30default_config_static_selectorELNS0_4arch9wavefront6targetE1EEEvT1_,"axG",@progbits,_ZN7rocprim17ROCPRIM_400000_NS6detail17trampoline_kernelINS0_14default_configENS1_29reduce_by_key_config_selectorIllN6thrust23THRUST_200600_302600_NS4plusIlEEEEZZNS1_33reduce_by_key_impl_wrapped_configILNS1_25lookback_scan_determinismE0ES3_S9_PlNS6_17constant_iteratorIiNS6_11use_defaultESE_EENS6_10device_ptrIlEESH_PmS8_NS6_8equal_toIlEEEE10hipError_tPvRmT2_T3_mT4_T5_T6_T7_T8_P12ihipStream_tbENKUlT_T0_E_clISt17integral_constantIbLb0EES11_IbLb1EEEEDaSX_SY_EUlSX_E_NS1_11comp_targetILNS1_3genE5ELNS1_11target_archE942ELNS1_3gpuE9ELNS1_3repE0EEENS1_30default_config_static_selectorELNS0_4arch9wavefront6targetE1EEEvT1_,comdat
	.protected	_ZN7rocprim17ROCPRIM_400000_NS6detail17trampoline_kernelINS0_14default_configENS1_29reduce_by_key_config_selectorIllN6thrust23THRUST_200600_302600_NS4plusIlEEEEZZNS1_33reduce_by_key_impl_wrapped_configILNS1_25lookback_scan_determinismE0ES3_S9_PlNS6_17constant_iteratorIiNS6_11use_defaultESE_EENS6_10device_ptrIlEESH_PmS8_NS6_8equal_toIlEEEE10hipError_tPvRmT2_T3_mT4_T5_T6_T7_T8_P12ihipStream_tbENKUlT_T0_E_clISt17integral_constantIbLb0EES11_IbLb1EEEEDaSX_SY_EUlSX_E_NS1_11comp_targetILNS1_3genE5ELNS1_11target_archE942ELNS1_3gpuE9ELNS1_3repE0EEENS1_30default_config_static_selectorELNS0_4arch9wavefront6targetE1EEEvT1_ ; -- Begin function _ZN7rocprim17ROCPRIM_400000_NS6detail17trampoline_kernelINS0_14default_configENS1_29reduce_by_key_config_selectorIllN6thrust23THRUST_200600_302600_NS4plusIlEEEEZZNS1_33reduce_by_key_impl_wrapped_configILNS1_25lookback_scan_determinismE0ES3_S9_PlNS6_17constant_iteratorIiNS6_11use_defaultESE_EENS6_10device_ptrIlEESH_PmS8_NS6_8equal_toIlEEEE10hipError_tPvRmT2_T3_mT4_T5_T6_T7_T8_P12ihipStream_tbENKUlT_T0_E_clISt17integral_constantIbLb0EES11_IbLb1EEEEDaSX_SY_EUlSX_E_NS1_11comp_targetILNS1_3genE5ELNS1_11target_archE942ELNS1_3gpuE9ELNS1_3repE0EEENS1_30default_config_static_selectorELNS0_4arch9wavefront6targetE1EEEvT1_
	.globl	_ZN7rocprim17ROCPRIM_400000_NS6detail17trampoline_kernelINS0_14default_configENS1_29reduce_by_key_config_selectorIllN6thrust23THRUST_200600_302600_NS4plusIlEEEEZZNS1_33reduce_by_key_impl_wrapped_configILNS1_25lookback_scan_determinismE0ES3_S9_PlNS6_17constant_iteratorIiNS6_11use_defaultESE_EENS6_10device_ptrIlEESH_PmS8_NS6_8equal_toIlEEEE10hipError_tPvRmT2_T3_mT4_T5_T6_T7_T8_P12ihipStream_tbENKUlT_T0_E_clISt17integral_constantIbLb0EES11_IbLb1EEEEDaSX_SY_EUlSX_E_NS1_11comp_targetILNS1_3genE5ELNS1_11target_archE942ELNS1_3gpuE9ELNS1_3repE0EEENS1_30default_config_static_selectorELNS0_4arch9wavefront6targetE1EEEvT1_
	.p2align	8
	.type	_ZN7rocprim17ROCPRIM_400000_NS6detail17trampoline_kernelINS0_14default_configENS1_29reduce_by_key_config_selectorIllN6thrust23THRUST_200600_302600_NS4plusIlEEEEZZNS1_33reduce_by_key_impl_wrapped_configILNS1_25lookback_scan_determinismE0ES3_S9_PlNS6_17constant_iteratorIiNS6_11use_defaultESE_EENS6_10device_ptrIlEESH_PmS8_NS6_8equal_toIlEEEE10hipError_tPvRmT2_T3_mT4_T5_T6_T7_T8_P12ihipStream_tbENKUlT_T0_E_clISt17integral_constantIbLb0EES11_IbLb1EEEEDaSX_SY_EUlSX_E_NS1_11comp_targetILNS1_3genE5ELNS1_11target_archE942ELNS1_3gpuE9ELNS1_3repE0EEENS1_30default_config_static_selectorELNS0_4arch9wavefront6targetE1EEEvT1_,@function
_ZN7rocprim17ROCPRIM_400000_NS6detail17trampoline_kernelINS0_14default_configENS1_29reduce_by_key_config_selectorIllN6thrust23THRUST_200600_302600_NS4plusIlEEEEZZNS1_33reduce_by_key_impl_wrapped_configILNS1_25lookback_scan_determinismE0ES3_S9_PlNS6_17constant_iteratorIiNS6_11use_defaultESE_EENS6_10device_ptrIlEESH_PmS8_NS6_8equal_toIlEEEE10hipError_tPvRmT2_T3_mT4_T5_T6_T7_T8_P12ihipStream_tbENKUlT_T0_E_clISt17integral_constantIbLb0EES11_IbLb1EEEEDaSX_SY_EUlSX_E_NS1_11comp_targetILNS1_3genE5ELNS1_11target_archE942ELNS1_3gpuE9ELNS1_3repE0EEENS1_30default_config_static_selectorELNS0_4arch9wavefront6targetE1EEEvT1_: ; @_ZN7rocprim17ROCPRIM_400000_NS6detail17trampoline_kernelINS0_14default_configENS1_29reduce_by_key_config_selectorIllN6thrust23THRUST_200600_302600_NS4plusIlEEEEZZNS1_33reduce_by_key_impl_wrapped_configILNS1_25lookback_scan_determinismE0ES3_S9_PlNS6_17constant_iteratorIiNS6_11use_defaultESE_EENS6_10device_ptrIlEESH_PmS8_NS6_8equal_toIlEEEE10hipError_tPvRmT2_T3_mT4_T5_T6_T7_T8_P12ihipStream_tbENKUlT_T0_E_clISt17integral_constantIbLb0EES11_IbLb1EEEEDaSX_SY_EUlSX_E_NS1_11comp_targetILNS1_3genE5ELNS1_11target_archE942ELNS1_3gpuE9ELNS1_3repE0EEENS1_30default_config_static_selectorELNS0_4arch9wavefront6targetE1EEEvT1_
; %bb.0:
	.section	.rodata,"a",@progbits
	.p2align	6, 0x0
	.amdhsa_kernel _ZN7rocprim17ROCPRIM_400000_NS6detail17trampoline_kernelINS0_14default_configENS1_29reduce_by_key_config_selectorIllN6thrust23THRUST_200600_302600_NS4plusIlEEEEZZNS1_33reduce_by_key_impl_wrapped_configILNS1_25lookback_scan_determinismE0ES3_S9_PlNS6_17constant_iteratorIiNS6_11use_defaultESE_EENS6_10device_ptrIlEESH_PmS8_NS6_8equal_toIlEEEE10hipError_tPvRmT2_T3_mT4_T5_T6_T7_T8_P12ihipStream_tbENKUlT_T0_E_clISt17integral_constantIbLb0EES11_IbLb1EEEEDaSX_SY_EUlSX_E_NS1_11comp_targetILNS1_3genE5ELNS1_11target_archE942ELNS1_3gpuE9ELNS1_3repE0EEENS1_30default_config_static_selectorELNS0_4arch9wavefront6targetE1EEEvT1_
		.amdhsa_group_segment_fixed_size 0
		.amdhsa_private_segment_fixed_size 0
		.amdhsa_kernarg_size 144
		.amdhsa_user_sgpr_count 6
		.amdhsa_user_sgpr_private_segment_buffer 1
		.amdhsa_user_sgpr_dispatch_ptr 0
		.amdhsa_user_sgpr_queue_ptr 0
		.amdhsa_user_sgpr_kernarg_segment_ptr 1
		.amdhsa_user_sgpr_dispatch_id 0
		.amdhsa_user_sgpr_flat_scratch_init 0
		.amdhsa_user_sgpr_kernarg_preload_length 0
		.amdhsa_user_sgpr_kernarg_preload_offset 0
		.amdhsa_user_sgpr_private_segment_size 0
		.amdhsa_uses_dynamic_stack 0
		.amdhsa_system_sgpr_private_segment_wavefront_offset 0
		.amdhsa_system_sgpr_workgroup_id_x 1
		.amdhsa_system_sgpr_workgroup_id_y 0
		.amdhsa_system_sgpr_workgroup_id_z 0
		.amdhsa_system_sgpr_workgroup_info 0
		.amdhsa_system_vgpr_workitem_id 0
		.amdhsa_next_free_vgpr 1
		.amdhsa_next_free_sgpr 0
		.amdhsa_accum_offset 4
		.amdhsa_reserve_vcc 0
		.amdhsa_reserve_flat_scratch 0
		.amdhsa_float_round_mode_32 0
		.amdhsa_float_round_mode_16_64 0
		.amdhsa_float_denorm_mode_32 3
		.amdhsa_float_denorm_mode_16_64 3
		.amdhsa_dx10_clamp 1
		.amdhsa_ieee_mode 1
		.amdhsa_fp16_overflow 0
		.amdhsa_tg_split 0
		.amdhsa_exception_fp_ieee_invalid_op 0
		.amdhsa_exception_fp_denorm_src 0
		.amdhsa_exception_fp_ieee_div_zero 0
		.amdhsa_exception_fp_ieee_overflow 0
		.amdhsa_exception_fp_ieee_underflow 0
		.amdhsa_exception_fp_ieee_inexact 0
		.amdhsa_exception_int_div_zero 0
	.end_amdhsa_kernel
	.section	.text._ZN7rocprim17ROCPRIM_400000_NS6detail17trampoline_kernelINS0_14default_configENS1_29reduce_by_key_config_selectorIllN6thrust23THRUST_200600_302600_NS4plusIlEEEEZZNS1_33reduce_by_key_impl_wrapped_configILNS1_25lookback_scan_determinismE0ES3_S9_PlNS6_17constant_iteratorIiNS6_11use_defaultESE_EENS6_10device_ptrIlEESH_PmS8_NS6_8equal_toIlEEEE10hipError_tPvRmT2_T3_mT4_T5_T6_T7_T8_P12ihipStream_tbENKUlT_T0_E_clISt17integral_constantIbLb0EES11_IbLb1EEEEDaSX_SY_EUlSX_E_NS1_11comp_targetILNS1_3genE5ELNS1_11target_archE942ELNS1_3gpuE9ELNS1_3repE0EEENS1_30default_config_static_selectorELNS0_4arch9wavefront6targetE1EEEvT1_,"axG",@progbits,_ZN7rocprim17ROCPRIM_400000_NS6detail17trampoline_kernelINS0_14default_configENS1_29reduce_by_key_config_selectorIllN6thrust23THRUST_200600_302600_NS4plusIlEEEEZZNS1_33reduce_by_key_impl_wrapped_configILNS1_25lookback_scan_determinismE0ES3_S9_PlNS6_17constant_iteratorIiNS6_11use_defaultESE_EENS6_10device_ptrIlEESH_PmS8_NS6_8equal_toIlEEEE10hipError_tPvRmT2_T3_mT4_T5_T6_T7_T8_P12ihipStream_tbENKUlT_T0_E_clISt17integral_constantIbLb0EES11_IbLb1EEEEDaSX_SY_EUlSX_E_NS1_11comp_targetILNS1_3genE5ELNS1_11target_archE942ELNS1_3gpuE9ELNS1_3repE0EEENS1_30default_config_static_selectorELNS0_4arch9wavefront6targetE1EEEvT1_,comdat
.Lfunc_end1232:
	.size	_ZN7rocprim17ROCPRIM_400000_NS6detail17trampoline_kernelINS0_14default_configENS1_29reduce_by_key_config_selectorIllN6thrust23THRUST_200600_302600_NS4plusIlEEEEZZNS1_33reduce_by_key_impl_wrapped_configILNS1_25lookback_scan_determinismE0ES3_S9_PlNS6_17constant_iteratorIiNS6_11use_defaultESE_EENS6_10device_ptrIlEESH_PmS8_NS6_8equal_toIlEEEE10hipError_tPvRmT2_T3_mT4_T5_T6_T7_T8_P12ihipStream_tbENKUlT_T0_E_clISt17integral_constantIbLb0EES11_IbLb1EEEEDaSX_SY_EUlSX_E_NS1_11comp_targetILNS1_3genE5ELNS1_11target_archE942ELNS1_3gpuE9ELNS1_3repE0EEENS1_30default_config_static_selectorELNS0_4arch9wavefront6targetE1EEEvT1_, .Lfunc_end1232-_ZN7rocprim17ROCPRIM_400000_NS6detail17trampoline_kernelINS0_14default_configENS1_29reduce_by_key_config_selectorIllN6thrust23THRUST_200600_302600_NS4plusIlEEEEZZNS1_33reduce_by_key_impl_wrapped_configILNS1_25lookback_scan_determinismE0ES3_S9_PlNS6_17constant_iteratorIiNS6_11use_defaultESE_EENS6_10device_ptrIlEESH_PmS8_NS6_8equal_toIlEEEE10hipError_tPvRmT2_T3_mT4_T5_T6_T7_T8_P12ihipStream_tbENKUlT_T0_E_clISt17integral_constantIbLb0EES11_IbLb1EEEEDaSX_SY_EUlSX_E_NS1_11comp_targetILNS1_3genE5ELNS1_11target_archE942ELNS1_3gpuE9ELNS1_3repE0EEENS1_30default_config_static_selectorELNS0_4arch9wavefront6targetE1EEEvT1_
                                        ; -- End function
	.section	.AMDGPU.csdata,"",@progbits
; Kernel info:
; codeLenInByte = 0
; NumSgprs: 4
; NumVgprs: 0
; NumAgprs: 0
; TotalNumVgprs: 0
; ScratchSize: 0
; MemoryBound: 0
; FloatMode: 240
; IeeeMode: 1
; LDSByteSize: 0 bytes/workgroup (compile time only)
; SGPRBlocks: 0
; VGPRBlocks: 0
; NumSGPRsForWavesPerEU: 4
; NumVGPRsForWavesPerEU: 1
; AccumOffset: 4
; Occupancy: 8
; WaveLimiterHint : 0
; COMPUTE_PGM_RSRC2:SCRATCH_EN: 0
; COMPUTE_PGM_RSRC2:USER_SGPR: 6
; COMPUTE_PGM_RSRC2:TRAP_HANDLER: 0
; COMPUTE_PGM_RSRC2:TGID_X_EN: 1
; COMPUTE_PGM_RSRC2:TGID_Y_EN: 0
; COMPUTE_PGM_RSRC2:TGID_Z_EN: 0
; COMPUTE_PGM_RSRC2:TIDIG_COMP_CNT: 0
; COMPUTE_PGM_RSRC3_GFX90A:ACCUM_OFFSET: 0
; COMPUTE_PGM_RSRC3_GFX90A:TG_SPLIT: 0
	.section	.text._ZN7rocprim17ROCPRIM_400000_NS6detail17trampoline_kernelINS0_14default_configENS1_29reduce_by_key_config_selectorIllN6thrust23THRUST_200600_302600_NS4plusIlEEEEZZNS1_33reduce_by_key_impl_wrapped_configILNS1_25lookback_scan_determinismE0ES3_S9_PlNS6_17constant_iteratorIiNS6_11use_defaultESE_EENS6_10device_ptrIlEESH_PmS8_NS6_8equal_toIlEEEE10hipError_tPvRmT2_T3_mT4_T5_T6_T7_T8_P12ihipStream_tbENKUlT_T0_E_clISt17integral_constantIbLb0EES11_IbLb1EEEEDaSX_SY_EUlSX_E_NS1_11comp_targetILNS1_3genE4ELNS1_11target_archE910ELNS1_3gpuE8ELNS1_3repE0EEENS1_30default_config_static_selectorELNS0_4arch9wavefront6targetE1EEEvT1_,"axG",@progbits,_ZN7rocprim17ROCPRIM_400000_NS6detail17trampoline_kernelINS0_14default_configENS1_29reduce_by_key_config_selectorIllN6thrust23THRUST_200600_302600_NS4plusIlEEEEZZNS1_33reduce_by_key_impl_wrapped_configILNS1_25lookback_scan_determinismE0ES3_S9_PlNS6_17constant_iteratorIiNS6_11use_defaultESE_EENS6_10device_ptrIlEESH_PmS8_NS6_8equal_toIlEEEE10hipError_tPvRmT2_T3_mT4_T5_T6_T7_T8_P12ihipStream_tbENKUlT_T0_E_clISt17integral_constantIbLb0EES11_IbLb1EEEEDaSX_SY_EUlSX_E_NS1_11comp_targetILNS1_3genE4ELNS1_11target_archE910ELNS1_3gpuE8ELNS1_3repE0EEENS1_30default_config_static_selectorELNS0_4arch9wavefront6targetE1EEEvT1_,comdat
	.protected	_ZN7rocprim17ROCPRIM_400000_NS6detail17trampoline_kernelINS0_14default_configENS1_29reduce_by_key_config_selectorIllN6thrust23THRUST_200600_302600_NS4plusIlEEEEZZNS1_33reduce_by_key_impl_wrapped_configILNS1_25lookback_scan_determinismE0ES3_S9_PlNS6_17constant_iteratorIiNS6_11use_defaultESE_EENS6_10device_ptrIlEESH_PmS8_NS6_8equal_toIlEEEE10hipError_tPvRmT2_T3_mT4_T5_T6_T7_T8_P12ihipStream_tbENKUlT_T0_E_clISt17integral_constantIbLb0EES11_IbLb1EEEEDaSX_SY_EUlSX_E_NS1_11comp_targetILNS1_3genE4ELNS1_11target_archE910ELNS1_3gpuE8ELNS1_3repE0EEENS1_30default_config_static_selectorELNS0_4arch9wavefront6targetE1EEEvT1_ ; -- Begin function _ZN7rocprim17ROCPRIM_400000_NS6detail17trampoline_kernelINS0_14default_configENS1_29reduce_by_key_config_selectorIllN6thrust23THRUST_200600_302600_NS4plusIlEEEEZZNS1_33reduce_by_key_impl_wrapped_configILNS1_25lookback_scan_determinismE0ES3_S9_PlNS6_17constant_iteratorIiNS6_11use_defaultESE_EENS6_10device_ptrIlEESH_PmS8_NS6_8equal_toIlEEEE10hipError_tPvRmT2_T3_mT4_T5_T6_T7_T8_P12ihipStream_tbENKUlT_T0_E_clISt17integral_constantIbLb0EES11_IbLb1EEEEDaSX_SY_EUlSX_E_NS1_11comp_targetILNS1_3genE4ELNS1_11target_archE910ELNS1_3gpuE8ELNS1_3repE0EEENS1_30default_config_static_selectorELNS0_4arch9wavefront6targetE1EEEvT1_
	.globl	_ZN7rocprim17ROCPRIM_400000_NS6detail17trampoline_kernelINS0_14default_configENS1_29reduce_by_key_config_selectorIllN6thrust23THRUST_200600_302600_NS4plusIlEEEEZZNS1_33reduce_by_key_impl_wrapped_configILNS1_25lookback_scan_determinismE0ES3_S9_PlNS6_17constant_iteratorIiNS6_11use_defaultESE_EENS6_10device_ptrIlEESH_PmS8_NS6_8equal_toIlEEEE10hipError_tPvRmT2_T3_mT4_T5_T6_T7_T8_P12ihipStream_tbENKUlT_T0_E_clISt17integral_constantIbLb0EES11_IbLb1EEEEDaSX_SY_EUlSX_E_NS1_11comp_targetILNS1_3genE4ELNS1_11target_archE910ELNS1_3gpuE8ELNS1_3repE0EEENS1_30default_config_static_selectorELNS0_4arch9wavefront6targetE1EEEvT1_
	.p2align	8
	.type	_ZN7rocprim17ROCPRIM_400000_NS6detail17trampoline_kernelINS0_14default_configENS1_29reduce_by_key_config_selectorIllN6thrust23THRUST_200600_302600_NS4plusIlEEEEZZNS1_33reduce_by_key_impl_wrapped_configILNS1_25lookback_scan_determinismE0ES3_S9_PlNS6_17constant_iteratorIiNS6_11use_defaultESE_EENS6_10device_ptrIlEESH_PmS8_NS6_8equal_toIlEEEE10hipError_tPvRmT2_T3_mT4_T5_T6_T7_T8_P12ihipStream_tbENKUlT_T0_E_clISt17integral_constantIbLb0EES11_IbLb1EEEEDaSX_SY_EUlSX_E_NS1_11comp_targetILNS1_3genE4ELNS1_11target_archE910ELNS1_3gpuE8ELNS1_3repE0EEENS1_30default_config_static_selectorELNS0_4arch9wavefront6targetE1EEEvT1_,@function
_ZN7rocprim17ROCPRIM_400000_NS6detail17trampoline_kernelINS0_14default_configENS1_29reduce_by_key_config_selectorIllN6thrust23THRUST_200600_302600_NS4plusIlEEEEZZNS1_33reduce_by_key_impl_wrapped_configILNS1_25lookback_scan_determinismE0ES3_S9_PlNS6_17constant_iteratorIiNS6_11use_defaultESE_EENS6_10device_ptrIlEESH_PmS8_NS6_8equal_toIlEEEE10hipError_tPvRmT2_T3_mT4_T5_T6_T7_T8_P12ihipStream_tbENKUlT_T0_E_clISt17integral_constantIbLb0EES11_IbLb1EEEEDaSX_SY_EUlSX_E_NS1_11comp_targetILNS1_3genE4ELNS1_11target_archE910ELNS1_3gpuE8ELNS1_3repE0EEENS1_30default_config_static_selectorELNS0_4arch9wavefront6targetE1EEEvT1_: ; @_ZN7rocprim17ROCPRIM_400000_NS6detail17trampoline_kernelINS0_14default_configENS1_29reduce_by_key_config_selectorIllN6thrust23THRUST_200600_302600_NS4plusIlEEEEZZNS1_33reduce_by_key_impl_wrapped_configILNS1_25lookback_scan_determinismE0ES3_S9_PlNS6_17constant_iteratorIiNS6_11use_defaultESE_EENS6_10device_ptrIlEESH_PmS8_NS6_8equal_toIlEEEE10hipError_tPvRmT2_T3_mT4_T5_T6_T7_T8_P12ihipStream_tbENKUlT_T0_E_clISt17integral_constantIbLb0EES11_IbLb1EEEEDaSX_SY_EUlSX_E_NS1_11comp_targetILNS1_3genE4ELNS1_11target_archE910ELNS1_3gpuE8ELNS1_3repE0EEENS1_30default_config_static_selectorELNS0_4arch9wavefront6targetE1EEEvT1_
; %bb.0:
	s_load_dwordx4 s[52:55], s[4:5], 0x20
	s_load_dwordx2 s[56:57], s[4:5], 0x30
	s_load_dwordx2 s[34:35], s[4:5], 0x80
	v_cmp_ne_u32_e64 s[2:3], 0, v0
	v_cmp_eq_u32_e64 s[0:1], 0, v0
	s_and_saveexec_b64 s[6:7], s[0:1]
	s_cbranch_execz .LBB1233_4
; %bb.1:
	s_mov_b64 s[10:11], exec
	v_mbcnt_lo_u32_b32 v1, s10, 0
	v_mbcnt_hi_u32_b32 v1, s11, v1
	v_cmp_eq_u32_e32 vcc, 0, v1
                                        ; implicit-def: $vgpr2
	s_and_saveexec_b64 s[8:9], vcc
	s_cbranch_execz .LBB1233_3
; %bb.2:
	s_load_dwordx2 s[12:13], s[4:5], 0x88
	s_bcnt1_i32_b64 s10, s[10:11]
	v_mov_b32_e32 v2, 0
	v_mov_b32_e32 v3, s10
	s_waitcnt lgkmcnt(0)
	global_atomic_add v2, v2, v3, s[12:13] glc
.LBB1233_3:
	s_or_b64 exec, exec, s[8:9]
	s_waitcnt vmcnt(0)
	v_readfirstlane_b32 s8, v2
	v_add_u32_e32 v1, s8, v1
	v_mov_b32_e32 v2, 0
	ds_write_b32 v2, v1
.LBB1233_4:
	s_or_b64 exec, exec, s[6:7]
	s_load_dwordx4 s[8:11], s[4:5], 0x0
	s_load_dword s6, s[4:5], 0x18
	s_load_dwordx16 s[36:51], s[4:5], 0x40
	v_mov_b32_e32 v3, 0
	s_waitcnt lgkmcnt(0)
	s_barrier
	ds_read_b32 v1, v3
	s_mul_i32 s4, s44, s43
	s_mul_hi_u32 s5, s44, s42
	s_add_i32 s4, s5, s4
	s_mul_i32 s5, s45, s42
	s_add_i32 s7, s4, s5
	s_lshl_b64 s[4:5], s[10:11], 3
	s_add_u32 s4, s8, s4
	s_mul_i32 s12, s44, s42
	s_addc_u32 s5, s9, s5
	s_waitcnt lgkmcnt(0)
	v_readfirstlane_b32 s62, v1
	s_add_u32 s30, s12, s62
	s_movk_i32 s8, 0xf00
	s_addc_u32 s31, s7, 0
	v_mul_lo_u32 v2, v1, s8
	s_add_u32 s10, s46, -1
	v_lshlrev_b64 v[2:3], 3, v[2:3]
	s_addc_u32 s11, s47, -1
	v_mov_b32_e32 v1, s5
	v_add_co_u32_e32 v76, vcc, s4, v2
	s_cmp_eq_u64 s[30:31], s[10:11]
	v_addc_co_u32_e32 v77, vcc, v1, v3, vcc
	s_cselect_b64 s[44:45], -1, 0
	s_cmp_lg_u64 s[30:31], s[10:11]
	s_mov_b64 s[8:9], -1
	s_cselect_b64 s[4:5], -1, 0
	s_mul_i32 s33, s10, 0xfffff100
	s_and_b64 vcc, exec, s[44:45]
	s_barrier
	s_cbranch_vccnz .LBB1233_6
; %bb.5:
	v_lshlrev_b32_e32 v38, 3, v0
	v_add_co_u32_e32 v1, vcc, v76, v38
	v_addc_co_u32_e32 v30, vcc, 0, v77, vcc
	v_add_co_u32_e32 v2, vcc, 0x1000, v1
	v_readfirstlane_b32 s8, v76
	v_readfirstlane_b32 s9, v77
	v_addc_co_u32_e32 v3, vcc, 0, v30, vcc
	s_nop 3
	global_load_dwordx2 v[4:5], v38, s[8:9]
	global_load_dwordx2 v[6:7], v38, s[8:9] offset:2048
	global_load_dwordx2 v[8:9], v[2:3], off
	global_load_dwordx2 v[10:11], v[2:3], off offset:2048
	v_add_co_u32_e32 v2, vcc, 0x2000, v1
	v_addc_co_u32_e32 v3, vcc, 0, v30, vcc
	v_add_co_u32_e32 v12, vcc, 0x3000, v1
	v_addc_co_u32_e32 v13, vcc, 0, v30, vcc
	global_load_dwordx2 v[14:15], v[2:3], off
	global_load_dwordx2 v[16:17], v[2:3], off offset:2048
	global_load_dwordx2 v[18:19], v[12:13], off
	global_load_dwordx2 v[20:21], v[12:13], off offset:2048
	v_add_co_u32_e32 v2, vcc, 0x4000, v1
	v_addc_co_u32_e32 v3, vcc, 0, v30, vcc
	v_add_co_u32_e32 v12, vcc, 0x5000, v1
	v_addc_co_u32_e32 v13, vcc, 0, v30, vcc
	global_load_dwordx2 v[22:23], v[2:3], off
	global_load_dwordx2 v[24:25], v[2:3], off offset:2048
	;; [unrolled: 8-line block ×3, first 2 shown]
	global_load_dwordx2 v[34:35], v[12:13], off
	s_movk_i32 s8, 0x70
	v_mad_u32_u24 v1, v0, s8, v38
	s_ashr_i32 s7, s6, 31
	v_pk_mov_b32 v[36:37], s[6:7], s[6:7] op_sel:[0,1]
	s_waitcnt vmcnt(13)
	ds_write2st64_b64 v38, v[4:5], v[6:7] offset1:4
	s_waitcnt vmcnt(11)
	ds_write2st64_b64 v38, v[8:9], v[10:11] offset0:8 offset1:12
	s_waitcnt vmcnt(9)
	ds_write2st64_b64 v38, v[14:15], v[16:17] offset0:16 offset1:20
	;; [unrolled: 2-line block ×6, first 2 shown]
	s_waitcnt vmcnt(0)
	ds_write_b64 v38, v[34:35] offset:28672
	s_waitcnt lgkmcnt(0)
	s_barrier
	ds_read2_b64 v[26:29], v1 offset1:1
	ds_read2_b64 v[22:25], v1 offset0:2 offset1:3
	ds_read2_b64 v[18:21], v1 offset0:4 offset1:5
	;; [unrolled: 1-line block ×6, first 2 shown]
	ds_read_b64 v[74:75], v1 offset:112
	s_waitcnt lgkmcnt(7)
	v_mov_b32_e32 v58, v26
	v_mov_b32_e32 v59, v27
	s_waitcnt lgkmcnt(6)
	v_mov_b32_e32 v60, v22
	v_mov_b32_e32 v61, v23
	;; [unrolled: 3-line block ×7, first 2 shown]
	s_waitcnt lgkmcnt(0)
	s_barrier
	ds_write2st64_b64 v38, v[36:37], v[36:37] offset1:4
	ds_write2st64_b64 v38, v[36:37], v[36:37] offset0:8 offset1:12
	ds_write2st64_b64 v38, v[36:37], v[36:37] offset0:16 offset1:20
	ds_write2st64_b64 v38, v[36:37], v[36:37] offset0:24 offset1:28
	ds_write2st64_b64 v38, v[36:37], v[36:37] offset0:32 offset1:36
	ds_write2st64_b64 v38, v[36:37], v[36:37] offset0:40 offset1:44
	ds_write2st64_b64 v38, v[36:37], v[36:37] offset0:48 offset1:52
	ds_write_b64 v38, v[36:37] offset:28672
	s_waitcnt lgkmcnt(0)
	s_barrier
	s_add_i32 s33, s33, s48
	s_cbranch_execz .LBB1233_7
	s_branch .LBB1233_38
.LBB1233_6:
                                        ; implicit-def: $vgpr74_vgpr75
                                        ; implicit-def: $vgpr2_vgpr3
                                        ; implicit-def: $vgpr6_vgpr7
                                        ; implicit-def: $vgpr10_vgpr11
                                        ; implicit-def: $vgpr14_vgpr15
                                        ; implicit-def: $vgpr18_vgpr19
                                        ; implicit-def: $vgpr22_vgpr23
                                        ; implicit-def: $vgpr26_vgpr27
                                        ; implicit-def: $vgpr1
                                        ; implicit-def: $vgpr66_vgpr67_vgpr68_vgpr69
                                        ; implicit-def: $vgpr62_vgpr63_vgpr64_vgpr65
                                        ; implicit-def: $vgpr58_vgpr59_vgpr60_vgpr61
                                        ; implicit-def: $vgpr70_vgpr71_vgpr72_vgpr73
	s_andn2_b64 vcc, exec, s[8:9]
	s_add_i32 s33, s33, s48
	s_cbranch_vccnz .LBB1233_38
.LBB1233_7:
	v_cmp_gt_u32_e32 vcc, s33, v0
                                        ; implicit-def: $vgpr2_vgpr3
	s_and_saveexec_b64 s[8:9], vcc
	s_cbranch_execz .LBB1233_9
; %bb.8:
	v_lshlrev_b32_e32 v1, 3, v0
	v_readfirstlane_b32 s10, v76
	v_readfirstlane_b32 s11, v77
	s_nop 4
	global_load_dwordx2 v[2:3], v1, s[10:11]
.LBB1233_9:
	s_or_b64 exec, exec, s[8:9]
	v_or_b32_e32 v1, 0x100, v0
	v_cmp_gt_u32_e32 vcc, s33, v1
                                        ; implicit-def: $vgpr4_vgpr5
	s_and_saveexec_b64 s[8:9], vcc
	s_cbranch_execz .LBB1233_11
; %bb.10:
	v_lshlrev_b32_e32 v1, 3, v0
	v_readfirstlane_b32 s10, v76
	v_readfirstlane_b32 s11, v77
	s_nop 4
	global_load_dwordx2 v[4:5], v1, s[10:11] offset:2048
.LBB1233_11:
	s_or_b64 exec, exec, s[8:9]
	v_or_b32_e32 v1, 0x200, v0
	v_cmp_gt_u32_e32 vcc, s33, v1
                                        ; implicit-def: $vgpr6_vgpr7
	s_and_saveexec_b64 s[8:9], vcc
	s_cbranch_execz .LBB1233_13
; %bb.12:
	v_lshlrev_b32_e32 v1, 3, v1
	v_readfirstlane_b32 s10, v76
	v_readfirstlane_b32 s11, v77
	s_nop 4
	global_load_dwordx2 v[6:7], v1, s[10:11]
.LBB1233_13:
	s_or_b64 exec, exec, s[8:9]
	v_or_b32_e32 v1, 0x300, v0
	v_cmp_gt_u32_e32 vcc, s33, v1
                                        ; implicit-def: $vgpr8_vgpr9
	s_and_saveexec_b64 s[8:9], vcc
	s_cbranch_execz .LBB1233_15
; %bb.14:
	v_lshlrev_b32_e32 v1, 3, v1
	v_readfirstlane_b32 s10, v76
	v_readfirstlane_b32 s11, v77
	s_nop 4
	global_load_dwordx2 v[8:9], v1, s[10:11]
.LBB1233_15:
	s_or_b64 exec, exec, s[8:9]
	v_or_b32_e32 v1, 0x400, v0
	v_cmp_gt_u32_e32 vcc, s33, v1
                                        ; implicit-def: $vgpr10_vgpr11
	s_and_saveexec_b64 s[8:9], vcc
	s_cbranch_execz .LBB1233_17
; %bb.16:
	v_lshlrev_b32_e32 v1, 3, v1
	v_readfirstlane_b32 s10, v76
	v_readfirstlane_b32 s11, v77
	s_nop 4
	global_load_dwordx2 v[10:11], v1, s[10:11]
.LBB1233_17:
	s_or_b64 exec, exec, s[8:9]
	v_or_b32_e32 v1, 0x500, v0
	v_cmp_gt_u32_e32 vcc, s33, v1
                                        ; implicit-def: $vgpr12_vgpr13
	s_and_saveexec_b64 s[8:9], vcc
	s_cbranch_execz .LBB1233_19
; %bb.18:
	v_lshlrev_b32_e32 v1, 3, v1
	v_readfirstlane_b32 s10, v76
	v_readfirstlane_b32 s11, v77
	s_nop 4
	global_load_dwordx2 v[12:13], v1, s[10:11]
.LBB1233_19:
	s_or_b64 exec, exec, s[8:9]
	v_or_b32_e32 v1, 0x600, v0
	v_cmp_gt_u32_e32 vcc, s33, v1
                                        ; implicit-def: $vgpr14_vgpr15
	s_and_saveexec_b64 s[8:9], vcc
	s_cbranch_execz .LBB1233_21
; %bb.20:
	v_lshlrev_b32_e32 v1, 3, v1
	v_readfirstlane_b32 s10, v76
	v_readfirstlane_b32 s11, v77
	s_nop 4
	global_load_dwordx2 v[14:15], v1, s[10:11]
.LBB1233_21:
	s_or_b64 exec, exec, s[8:9]
	v_or_b32_e32 v1, 0x700, v0
	v_cmp_gt_u32_e32 vcc, s33, v1
                                        ; implicit-def: $vgpr16_vgpr17
	s_and_saveexec_b64 s[8:9], vcc
	s_cbranch_execz .LBB1233_23
; %bb.22:
	v_lshlrev_b32_e32 v1, 3, v1
	v_readfirstlane_b32 s10, v76
	v_readfirstlane_b32 s11, v77
	s_nop 4
	global_load_dwordx2 v[16:17], v1, s[10:11]
.LBB1233_23:
	s_or_b64 exec, exec, s[8:9]
	v_or_b32_e32 v1, 0x800, v0
	v_cmp_gt_u32_e32 vcc, s33, v1
                                        ; implicit-def: $vgpr18_vgpr19
	s_and_saveexec_b64 s[8:9], vcc
	s_cbranch_execz .LBB1233_25
; %bb.24:
	v_lshlrev_b32_e32 v1, 3, v1
	v_readfirstlane_b32 s10, v76
	v_readfirstlane_b32 s11, v77
	s_nop 4
	global_load_dwordx2 v[18:19], v1, s[10:11]
.LBB1233_25:
	s_or_b64 exec, exec, s[8:9]
	v_or_b32_e32 v1, 0x900, v0
	v_cmp_gt_u32_e32 vcc, s33, v1
                                        ; implicit-def: $vgpr20_vgpr21
	s_and_saveexec_b64 s[8:9], vcc
	s_cbranch_execz .LBB1233_27
; %bb.26:
	v_lshlrev_b32_e32 v1, 3, v1
	v_readfirstlane_b32 s10, v76
	v_readfirstlane_b32 s11, v77
	s_nop 4
	global_load_dwordx2 v[20:21], v1, s[10:11]
.LBB1233_27:
	s_or_b64 exec, exec, s[8:9]
	v_or_b32_e32 v1, 0xa00, v0
	v_cmp_gt_u32_e32 vcc, s33, v1
                                        ; implicit-def: $vgpr22_vgpr23
	s_and_saveexec_b64 s[8:9], vcc
	s_cbranch_execz .LBB1233_29
; %bb.28:
	v_lshlrev_b32_e32 v1, 3, v1
	v_readfirstlane_b32 s10, v76
	v_readfirstlane_b32 s11, v77
	s_nop 4
	global_load_dwordx2 v[22:23], v1, s[10:11]
.LBB1233_29:
	s_or_b64 exec, exec, s[8:9]
	v_or_b32_e32 v1, 0xb00, v0
	v_cmp_gt_u32_e32 vcc, s33, v1
                                        ; implicit-def: $vgpr24_vgpr25
	s_and_saveexec_b64 s[8:9], vcc
	s_cbranch_execz .LBB1233_31
; %bb.30:
	v_lshlrev_b32_e32 v1, 3, v1
	v_readfirstlane_b32 s10, v76
	v_readfirstlane_b32 s11, v77
	s_nop 4
	global_load_dwordx2 v[24:25], v1, s[10:11]
.LBB1233_31:
	s_or_b64 exec, exec, s[8:9]
	v_or_b32_e32 v1, 0xc00, v0
	v_cmp_gt_u32_e32 vcc, s33, v1
                                        ; implicit-def: $vgpr26_vgpr27
	s_and_saveexec_b64 s[8:9], vcc
	s_cbranch_execz .LBB1233_33
; %bb.32:
	v_lshlrev_b32_e32 v1, 3, v1
	v_readfirstlane_b32 s10, v76
	v_readfirstlane_b32 s11, v77
	s_nop 4
	global_load_dwordx2 v[26:27], v1, s[10:11]
.LBB1233_33:
	s_or_b64 exec, exec, s[8:9]
	v_or_b32_e32 v1, 0xd00, v0
	v_cmp_gt_u32_e32 vcc, s33, v1
                                        ; implicit-def: $vgpr28_vgpr29
	s_and_saveexec_b64 s[8:9], vcc
	s_cbranch_execz .LBB1233_35
; %bb.34:
	v_lshlrev_b32_e32 v1, 3, v1
	v_readfirstlane_b32 s10, v76
	v_readfirstlane_b32 s11, v77
	s_nop 4
	global_load_dwordx2 v[28:29], v1, s[10:11]
.LBB1233_35:
	s_or_b64 exec, exec, s[8:9]
	v_or_b32_e32 v1, 0xe00, v0
	v_cmp_gt_u32_e32 vcc, s33, v1
                                        ; implicit-def: $vgpr30_vgpr31
	s_and_saveexec_b64 s[8:9], vcc
	s_cbranch_execz .LBB1233_37
; %bb.36:
	v_lshlrev_b32_e32 v1, 3, v1
	v_readfirstlane_b32 s10, v76
	v_readfirstlane_b32 s11, v77
	s_nop 4
	global_load_dwordx2 v[30:31], v1, s[10:11]
.LBB1233_37:
	s_or_b64 exec, exec, s[8:9]
	v_lshlrev_b32_e32 v32, 3, v0
	s_movk_i32 s7, 0x70
	v_mad_u32_u24 v1, v0, s7, v32
	s_waitcnt vmcnt(0)
	ds_write2st64_b64 v32, v[2:3], v[4:5] offset1:4
	ds_write2st64_b64 v32, v[6:7], v[8:9] offset0:8 offset1:12
	ds_write2st64_b64 v32, v[10:11], v[12:13] offset0:16 offset1:20
	ds_write2st64_b64 v32, v[14:15], v[16:17] offset0:24 offset1:28
	ds_write2st64_b64 v32, v[18:19], v[20:21] offset0:32 offset1:36
	ds_write2st64_b64 v32, v[22:23], v[24:25] offset0:40 offset1:44
	ds_write2st64_b64 v32, v[26:27], v[28:29] offset0:48 offset1:52
	ds_write_b64 v32, v[30:31] offset:28672
	s_waitcnt lgkmcnt(0)
	s_barrier
	ds_read2_b64 v[26:29], v1 offset1:1
	ds_read2_b64 v[22:25], v1 offset0:2 offset1:3
	ds_read2_b64 v[18:21], v1 offset0:4 offset1:5
	;; [unrolled: 1-line block ×6, first 2 shown]
	ds_read_b64 v[74:75], v1 offset:112
	s_ashr_i32 s7, s6, 31
	v_pk_mov_b32 v[30:31], s[6:7], s[6:7] op_sel:[0,1]
	s_waitcnt lgkmcnt(7)
	v_mov_b32_e32 v58, v26
	v_mov_b32_e32 v59, v27
	s_waitcnt lgkmcnt(6)
	v_mov_b32_e32 v60, v22
	v_mov_b32_e32 v61, v23
	;; [unrolled: 3-line block ×7, first 2 shown]
	s_waitcnt lgkmcnt(0)
	s_barrier
	ds_write2st64_b64 v32, v[30:31], v[30:31] offset1:4
	ds_write2st64_b64 v32, v[30:31], v[30:31] offset0:8 offset1:12
	ds_write2st64_b64 v32, v[30:31], v[30:31] offset0:16 offset1:20
	;; [unrolled: 1-line block ×6, first 2 shown]
	ds_write_b64 v32, v[30:31] offset:28672
	s_waitcnt lgkmcnt(0)
	s_barrier
.LBB1233_38:
	ds_read2_b64 v[54:57], v1 offset1:1
	ds_read2_b64 v[50:53], v1 offset0:2 offset1:3
	ds_read2_b64 v[46:49], v1 offset0:4 offset1:5
	;; [unrolled: 1-line block ×6, first 2 shown]
	ds_read_b64 v[72:73], v1 offset:112
	s_cmp_eq_u64 s[30:31], 0
	s_cselect_b64 s[46:47], -1, 0
	s_cmp_lg_u64 s[30:31], 0
	s_mov_b64 s[58:59], 0
	s_cselect_b64 s[60:61], -1, 0
	s_and_b64 vcc, exec, s[4:5]
	s_waitcnt lgkmcnt(0)
	s_barrier
	s_cbranch_vccz .LBB1233_44
; %bb.39:
	s_and_b64 vcc, exec, s[60:61]
	s_cbranch_vccz .LBB1233_45
; %bb.40:
	global_load_dwordx2 v[78:79], v[76:77], off offset:-8
	v_lshlrev_b32_e32 v1, 3, v0
	v_cmp_ne_u64_e32 vcc, v[4:5], v[74:75]
	v_cmp_ne_u64_e64 s[4:5], v[2:3], v[4:5]
	v_cmp_ne_u64_e64 s[6:7], v[8:9], v[2:3]
	;; [unrolled: 1-line block ×13, first 2 shown]
	ds_write_b64 v1, v[74:75]
	s_waitcnt lgkmcnt(0)
	s_barrier
	s_and_saveexec_b64 s[58:59], s[2:3]
	s_cbranch_execz .LBB1233_42
; %bb.41:
	v_add_u32_e32 v1, -8, v1
	s_waitcnt vmcnt(0)
	ds_read_b64 v[78:79], v1
.LBB1233_42:
	s_or_b64 exec, exec, s[58:59]
	v_cndmask_b32_e64 v1, 0, 1, vcc
	v_cndmask_b32_e64 v100, 0, 1, s[4:5]
	v_cndmask_b32_e64 v101, 0, 1, s[6:7]
	;; [unrolled: 1-line block ×13, first 2 shown]
	s_waitcnt vmcnt(0) lgkmcnt(0)
	v_cmp_ne_u64_e64 s[4:5], v[78:79], v[26:27]
	s_mov_b64 s[58:59], -1
.LBB1233_43:
                                        ; implicit-def: $sgpr8
	s_branch .LBB1233_57
.LBB1233_44:
                                        ; implicit-def: $sgpr4_sgpr5
                                        ; implicit-def: $vgpr1
                                        ; implicit-def: $vgpr100
                                        ; implicit-def: $vgpr101
                                        ; implicit-def: $vgpr102
                                        ; implicit-def: $vgpr103
                                        ; implicit-def: $vgpr104
                                        ; implicit-def: $vgpr105
                                        ; implicit-def: $vgpr106
                                        ; implicit-def: $vgpr107
                                        ; implicit-def: $vgpr108
                                        ; implicit-def: $vgpr109
                                        ; implicit-def: $vgpr110
                                        ; implicit-def: $vgpr111
                                        ; implicit-def: $vgpr112
                                        ; implicit-def: $sgpr8
	s_cbranch_execnz .LBB1233_49
	s_branch .LBB1233_57
.LBB1233_45:
                                        ; implicit-def: $sgpr4_sgpr5
                                        ; implicit-def: $vgpr1
                                        ; implicit-def: $vgpr100
                                        ; implicit-def: $vgpr101
                                        ; implicit-def: $vgpr102
                                        ; implicit-def: $vgpr103
                                        ; implicit-def: $vgpr104
                                        ; implicit-def: $vgpr105
                                        ; implicit-def: $vgpr106
                                        ; implicit-def: $vgpr107
                                        ; implicit-def: $vgpr108
                                        ; implicit-def: $vgpr109
                                        ; implicit-def: $vgpr110
                                        ; implicit-def: $vgpr111
                                        ; implicit-def: $vgpr112
	s_cbranch_execz .LBB1233_43
; %bb.46:
	v_cmp_ne_u64_e32 vcc, v[28:29], v[58:59]
	v_cndmask_b32_e64 v112, 0, 1, vcc
	v_cmp_ne_u64_e32 vcc, v[28:29], v[60:61]
	v_cndmask_b32_e64 v111, 0, 1, vcc
	;; [unrolled: 2-line block ×13, first 2 shown]
	v_cmp_ne_u64_e32 vcc, v[4:5], v[74:75]
	v_lshlrev_b32_e32 v78, 3, v0
	v_cndmask_b32_e64 v1, 0, 1, vcc
	ds_write_b64 v78, v[74:75]
	s_waitcnt lgkmcnt(0)
	s_barrier
	s_waitcnt lgkmcnt(0)
                                        ; implicit-def: $sgpr4_sgpr5
	s_and_saveexec_b64 s[6:7], s[2:3]
	s_xor_b64 s[6:7], exec, s[6:7]
	s_cbranch_execz .LBB1233_48
; %bb.47:
	v_add_u32_e32 v58, -8, v78
	ds_read_b64 v[58:59], v58
	s_or_b64 s[58:59], s[58:59], exec
	s_waitcnt lgkmcnt(0)
	v_cmp_ne_u64_e32 vcc, v[58:59], v[26:27]
	s_and_b64 s[4:5], vcc, exec
.LBB1233_48:
	s_or_b64 exec, exec, s[6:7]
	s_mov_b32 s8, 1
	s_branch .LBB1233_57
.LBB1233_49:
	s_mul_hi_u32 s5, s30, 0xfffff100
	s_mul_i32 s4, s31, 0xfffff100
	s_sub_i32 s5, s5, s30
	s_add_i32 s5, s5, s4
	s_mul_i32 s4, s30, 0xfffff100
	s_add_u32 s48, s4, s48
	s_addc_u32 s49, s5, s49
	s_and_b64 vcc, exec, s[60:61]
	v_cmp_ne_u64_e64 s[30:31], v[4:5], v[74:75]
	v_cmp_ne_u64_e64 s[28:29], v[2:3], v[4:5]
	;; [unrolled: 1-line block ×14, first 2 shown]
	v_mad_u32_u24 v58, v0, 15, 14
	v_mad_u32_u24 v90, v0, 15, 13
	;; [unrolled: 1-line block ×14, first 2 shown]
	s_cbranch_vccz .LBB1233_54
; %bb.50:
	global_load_dwordx2 v[76:77], v[76:77], off offset:-8
	v_mov_b32_e32 v59, 0
	v_cmp_gt_u64_e32 vcc, s[48:49], v[58:59]
	v_mov_b32_e32 v91, v59
	s_and_b64 s[30:31], vcc, s[30:31]
	v_cmp_gt_u64_e32 vcc, s[48:49], v[90:91]
	v_mov_b32_e32 v89, v59
	s_and_b64 s[28:29], vcc, s[28:29]
	v_cmp_gt_u64_e32 vcc, s[48:49], v[88:89]
	v_mov_b32_e32 v87, v59
	s_and_b64 s[26:27], vcc, s[26:27]
	v_cmp_gt_u64_e32 vcc, s[48:49], v[86:87]
	v_mov_b32_e32 v85, v59
	s_and_b64 s[24:25], vcc, s[24:25]
	v_cmp_gt_u64_e32 vcc, s[48:49], v[84:85]
	v_mov_b32_e32 v83, v59
	s_and_b64 s[22:23], vcc, s[22:23]
	v_cmp_gt_u64_e32 vcc, s[48:49], v[82:83]
	v_mov_b32_e32 v81, v59
	s_and_b64 s[20:21], vcc, s[20:21]
	v_cmp_gt_u64_e32 vcc, s[48:49], v[80:81]
	v_mov_b32_e32 v79, v59
	s_and_b64 s[18:19], vcc, s[18:19]
	v_cmp_gt_u64_e32 vcc, s[48:49], v[78:79]
	v_mov_b32_e32 v71, v59
	s_and_b64 s[16:17], vcc, s[16:17]
	v_cmp_gt_u64_e32 vcc, s[48:49], v[70:71]
	v_mov_b32_e32 v69, v59
	s_and_b64 s[14:15], vcc, s[14:15]
	v_cmp_gt_u64_e32 vcc, s[48:49], v[68:69]
	v_mov_b32_e32 v67, v59
	s_and_b64 s[12:13], vcc, s[12:13]
	v_cmp_gt_u64_e32 vcc, s[48:49], v[66:67]
	v_mov_b32_e32 v65, v59
	s_and_b64 s[10:11], vcc, s[10:11]
	v_cmp_gt_u64_e32 vcc, s[48:49], v[64:65]
	v_mov_b32_e32 v63, v59
	s_and_b64 s[8:9], vcc, s[8:9]
	v_cmp_gt_u64_e32 vcc, s[48:49], v[62:63]
	v_mov_b32_e32 v61, v59
	s_and_b64 s[6:7], vcc, s[6:7]
	v_cmp_gt_u64_e32 vcc, s[48:49], v[60:61]
	v_lshlrev_b32_e32 v1, 3, v0
	v_mul_u32_u24_e32 v92, 15, v0
	s_and_b64 s[4:5], vcc, s[4:5]
	ds_write_b64 v1, v[74:75]
	s_waitcnt lgkmcnt(0)
	s_barrier
	s_and_saveexec_b64 s[58:59], s[2:3]
	s_cbranch_execz .LBB1233_52
; %bb.51:
	v_add_u32_e32 v1, -8, v1
	s_waitcnt vmcnt(0)
	ds_read_b64 v[76:77], v1
.LBB1233_52:
	s_or_b64 exec, exec, s[58:59]
	v_mov_b32_e32 v93, v59
	v_cndmask_b32_e64 v112, 0, 1, s[4:5]
	v_cmp_gt_u64_e32 vcc, s[48:49], v[92:93]
	s_waitcnt vmcnt(0) lgkmcnt(0)
	v_cmp_ne_u64_e64 s[4:5], v[76:77], v[26:27]
	v_cndmask_b32_e64 v1, 0, 1, s[30:31]
	v_cndmask_b32_e64 v100, 0, 1, s[28:29]
	;; [unrolled: 1-line block ×13, first 2 shown]
	s_and_b64 s[4:5], vcc, s[4:5]
	s_mov_b64 s[58:59], -1
.LBB1233_53:
                                        ; implicit-def: $sgpr8
	v_mov_b32_e32 v113, s8
	s_and_saveexec_b64 s[2:3], s[58:59]
	s_cbranch_execnz .LBB1233_58
	s_branch .LBB1233_59
.LBB1233_54:
                                        ; implicit-def: $sgpr4_sgpr5
                                        ; implicit-def: $vgpr1
                                        ; implicit-def: $vgpr100
                                        ; implicit-def: $vgpr101
                                        ; implicit-def: $vgpr102
                                        ; implicit-def: $vgpr103
                                        ; implicit-def: $vgpr104
                                        ; implicit-def: $vgpr105
                                        ; implicit-def: $vgpr106
                                        ; implicit-def: $vgpr107
                                        ; implicit-def: $vgpr108
                                        ; implicit-def: $vgpr109
                                        ; implicit-def: $vgpr110
                                        ; implicit-def: $vgpr111
                                        ; implicit-def: $vgpr112
	s_cbranch_execz .LBB1233_53
; %bb.55:
	v_mov_b32_e32 v59, 0
	v_cmp_gt_u64_e32 vcc, s[48:49], v[58:59]
	v_cmp_ne_u64_e64 s[4:5], v[4:5], v[74:75]
	s_and_b64 s[4:5], vcc, s[4:5]
	v_mov_b32_e32 v91, v59
	v_cndmask_b32_e64 v1, 0, 1, s[4:5]
	v_cmp_gt_u64_e32 vcc, s[48:49], v[90:91]
	v_cmp_ne_u64_e64 s[4:5], v[2:3], v[4:5]
	s_and_b64 s[4:5], vcc, s[4:5]
	v_mov_b32_e32 v89, v59
	v_cndmask_b32_e64 v100, 0, 1, s[4:5]
	;; [unrolled: 5-line block ×13, first 2 shown]
	v_cmp_gt_u64_e32 vcc, s[48:49], v[60:61]
	v_cmp_ne_u64_e64 s[4:5], v[26:27], v[28:29]
	s_and_b64 s[4:5], vcc, s[4:5]
	v_lshlrev_b32_e32 v76, 3, v0
	s_mov_b32 s8, 1
	v_cndmask_b32_e64 v112, 0, 1, s[4:5]
	ds_write_b64 v76, v[74:75]
	s_waitcnt lgkmcnt(0)
	s_barrier
	s_waitcnt lgkmcnt(0)
                                        ; implicit-def: $sgpr4_sgpr5
	s_and_saveexec_b64 s[6:7], s[2:3]
	s_cbranch_execz .LBB1233_194
; %bb.56:
	v_add_u32_e32 v58, -8, v76
	ds_read_b64 v[60:61], v58
	v_mul_u32_u24_e32 v58, 15, v0
	v_cmp_gt_u64_e32 vcc, s[48:49], v[58:59]
	s_or_b64 s[58:59], s[58:59], exec
	s_waitcnt lgkmcnt(0)
	v_cmp_ne_u64_e64 s[2:3], v[60:61], v[26:27]
	s_and_b64 s[2:3], vcc, s[2:3]
	s_and_b64 s[4:5], s[2:3], exec
	s_or_b64 exec, exec, s[6:7]
.LBB1233_57:
	v_mov_b32_e32 v113, s8
	s_and_saveexec_b64 s[2:3], s[58:59]
.LBB1233_58:
	v_cndmask_b32_e64 v113, 0, 1, s[4:5]
.LBB1233_59:
	s_or_b64 exec, exec, s[2:3]
	s_cmp_eq_u64 s[42:43], 0
	v_add3_u32 v58, v112, v113, v111
	v_mov_b32_e32 v96, v54
	v_mov_b32_e32 v97, v55
	s_cselect_b64 s[30:31], -1, 0
	s_cmp_lg_u32 s62, 0
	v_cmp_eq_u32_e64 s[26:27], 0, v112
	v_cmp_eq_u32_e64 s[24:25], 0, v111
	;; [unrolled: 1-line block ×3, first 2 shown]
	v_add3_u32 v115, v58, v110, v109
	v_cmp_eq_u32_e64 s[20:21], 0, v109
	v_cmp_eq_u32_e64 s[18:19], 0, v108
	;; [unrolled: 1-line block ×10, first 2 shown]
	v_cmp_eq_u32_e32 vcc, 0, v1
	v_mbcnt_lo_u32_b32 v114, -1, 0
	s_cbranch_scc0 .LBB1233_126
; %bb.60:
	v_cndmask_b32_e64 v59, 0, v54, s[26:27]
	v_cndmask_b32_e64 v58, 0, v55, s[26:27]
	v_add_co_u32_e64 v59, s[28:29], v59, v56
	v_addc_co_u32_e64 v58, s[28:29], v58, v57, s[28:29]
	v_cndmask_b32_e64 v59, 0, v59, s[24:25]
	v_cndmask_b32_e64 v58, 0, v58, s[24:25]
	v_add_co_u32_e64 v59, s[28:29], v59, v50
	v_addc_co_u32_e64 v58, s[28:29], v58, v51, s[28:29]
	;; [unrolled: 4-line block ×11, first 2 shown]
	v_cndmask_b32_e64 v59, 0, v59, s[4:5]
	v_add3_u32 v60, v115, v108, v107
	v_cndmask_b32_e64 v58, 0, v58, s[4:5]
	v_add_co_u32_e64 v59, s[28:29], v59, v30
	v_add3_u32 v60, v60, v106, v105
	v_addc_co_u32_e64 v58, s[28:29], v58, v31, s[28:29]
	v_cndmask_b32_e64 v59, 0, v59, s[2:3]
	v_add3_u32 v60, v60, v104, v103
	v_cndmask_b32_e64 v58, 0, v58, s[2:3]
	v_add_co_u32_e64 v59, s[28:29], v59, v32
	v_add3_u32 v60, v60, v102, v101
	v_addc_co_u32_e64 v58, s[28:29], v58, v33, s[28:29]
	v_cndmask_b32_e32 v59, 0, v59, vcc
	v_add3_u32 v62, v60, v100, v1
	v_cndmask_b32_e32 v58, 0, v58, vcc
	v_add_co_u32_e32 v60, vcc, v59, v72
	v_mbcnt_hi_u32_b32 v63, -1, v114
	v_addc_co_u32_e32 v61, vcc, v58, v73, vcc
	v_and_b32_e32 v58, 15, v63
	v_mov_b32_dpp v64, v62 row_shr:1 row_mask:0xf bank_mask:0xf
	v_mov_b32_dpp v59, v60 row_shr:1 row_mask:0xf bank_mask:0xf
	;; [unrolled: 1-line block ×3, first 2 shown]
	v_cmp_ne_u32_e32 vcc, 0, v58
	s_and_saveexec_b64 s[28:29], vcc
; %bb.61:
	v_cmp_eq_u32_e32 vcc, 0, v62
	v_cndmask_b32_e32 v59, 0, v59, vcc
	v_add_u32_e32 v64, v64, v62
	v_cndmask_b32_e32 v62, 0, v65, vcc
	v_add_co_u32_e32 v60, vcc, v59, v60
	v_addc_co_u32_e32 v61, vcc, v62, v61, vcc
	v_mov_b32_e32 v62, v64
; %bb.62:
	s_or_b64 exec, exec, s[28:29]
	s_nop 0
	v_mov_b32_dpp v64, v62 row_shr:2 row_mask:0xf bank_mask:0xf
	v_mov_b32_dpp v59, v60 row_shr:2 row_mask:0xf bank_mask:0xf
	v_mov_b32_dpp v65, v61 row_shr:2 row_mask:0xf bank_mask:0xf
	v_cmp_lt_u32_e32 vcc, 1, v58
	s_and_saveexec_b64 s[28:29], vcc
; %bb.63:
	v_cmp_eq_u32_e32 vcc, 0, v62
	v_cndmask_b32_e32 v59, 0, v59, vcc
	v_add_u32_e32 v64, v64, v62
	v_cndmask_b32_e32 v62, 0, v65, vcc
	v_add_co_u32_e32 v60, vcc, v59, v60
	v_addc_co_u32_e32 v61, vcc, v62, v61, vcc
	v_mov_b32_e32 v62, v64
; %bb.64:
	s_or_b64 exec, exec, s[28:29]
	s_nop 0
	v_mov_b32_dpp v64, v62 row_shr:4 row_mask:0xf bank_mask:0xf
	v_mov_b32_dpp v59, v60 row_shr:4 row_mask:0xf bank_mask:0xf
	v_mov_b32_dpp v65, v61 row_shr:4 row_mask:0xf bank_mask:0xf
	v_cmp_lt_u32_e32 vcc, 3, v58
	;; [unrolled: 16-line block ×3, first 2 shown]
	s_and_saveexec_b64 s[28:29], vcc
; %bb.67:
	v_cmp_eq_u32_e32 vcc, 0, v62
	v_cndmask_b32_e32 v59, 0, v59, vcc
	v_add_u32_e32 v58, v64, v62
	v_cndmask_b32_e32 v62, 0, v65, vcc
	v_add_co_u32_e32 v60, vcc, v59, v60
	v_addc_co_u32_e32 v61, vcc, v62, v61, vcc
	v_mov_b32_e32 v62, v58
; %bb.68:
	s_or_b64 exec, exec, s[28:29]
	v_and_b32_e32 v65, 16, v63
	v_mov_b32_dpp v59, v62 row_bcast:15 row_mask:0xf bank_mask:0xf
	v_mov_b32_dpp v58, v60 row_bcast:15 row_mask:0xf bank_mask:0xf
	;; [unrolled: 1-line block ×3, first 2 shown]
	v_cmp_ne_u32_e32 vcc, 0, v65
	s_and_saveexec_b64 s[28:29], vcc
; %bb.69:
	v_cmp_eq_u32_e32 vcc, 0, v62
	v_cndmask_b32_e32 v58, 0, v58, vcc
	v_add_u32_e32 v59, v59, v62
	v_cndmask_b32_e32 v62, 0, v64, vcc
	v_add_co_u32_e32 v60, vcc, v58, v60
	v_addc_co_u32_e32 v61, vcc, v62, v61, vcc
	v_mov_b32_e32 v62, v59
; %bb.70:
	s_or_b64 exec, exec, s[28:29]
	s_nop 0
	v_mov_b32_dpp v59, v62 row_bcast:31 row_mask:0xf bank_mask:0xf
	v_mov_b32_dpp v58, v60 row_bcast:31 row_mask:0xf bank_mask:0xf
	v_mov_b32_dpp v64, v61 row_bcast:31 row_mask:0xf bank_mask:0xf
	v_cmp_lt_u32_e32 vcc, 31, v63
	s_and_saveexec_b64 s[28:29], vcc
; %bb.71:
	v_cmp_eq_u32_e32 vcc, 0, v62
	v_cndmask_b32_e32 v58, 0, v58, vcc
	v_add_u32_e32 v59, v59, v62
	v_cndmask_b32_e32 v62, 0, v64, vcc
	v_add_co_u32_e32 v60, vcc, v58, v60
	v_addc_co_u32_e32 v61, vcc, v62, v61, vcc
	v_mov_b32_e32 v62, v59
; %bb.72:
	s_or_b64 exec, exec, s[28:29]
	v_lshrrev_b32_e32 v58, 6, v0
	v_or_b32_e32 v59, 63, v0
	v_cmp_eq_u32_e32 vcc, v59, v0
	v_lshlrev_b32_e32 v64, 4, v58
	s_and_saveexec_b64 s[28:29], vcc
	s_cbranch_execz .LBB1233_74
; %bb.73:
	ds_write_b32 v64, v62 offset:4128
	ds_write_b64 v64, v[60:61] offset:4136
.LBB1233_74:
	s_or_b64 exec, exec, s[28:29]
	v_cmp_gt_u32_e32 vcc, 4, v0
	s_waitcnt lgkmcnt(0)
	s_barrier
	s_and_saveexec_b64 s[28:29], vcc
	s_cbranch_execz .LBB1233_80
; %bb.75:
	v_lshlrev_b32_e32 v65, 4, v0
	ds_read_b32 v66, v65 offset:4128
	ds_read_b64 v[58:59], v65 offset:4136
	v_and_b32_e32 v67, 3, v63
	v_cmp_ne_u32_e32 vcc, 0, v67
	s_waitcnt lgkmcnt(1)
	v_mov_b32_dpp v69, v66 row_shr:1 row_mask:0xf bank_mask:0xf
	s_waitcnt lgkmcnt(0)
	v_mov_b32_dpp v68, v58 row_shr:1 row_mask:0xf bank_mask:0xf
	v_mov_b32_dpp v70, v59 row_shr:1 row_mask:0xf bank_mask:0xf
	s_and_saveexec_b64 s[42:43], vcc
; %bb.76:
	v_cmp_eq_u32_e32 vcc, 0, v66
	v_cndmask_b32_e32 v68, 0, v68, vcc
	v_add_u32_e32 v69, v69, v66
	v_cndmask_b32_e32 v66, 0, v70, vcc
	v_add_co_u32_e32 v58, vcc, v68, v58
	v_addc_co_u32_e32 v59, vcc, v66, v59, vcc
	v_mov_b32_e32 v66, v69
; %bb.77:
	s_or_b64 exec, exec, s[42:43]
	s_nop 0
	v_mov_b32_dpp v69, v66 row_shr:2 row_mask:0xf bank_mask:0xf
	v_mov_b32_dpp v68, v58 row_shr:2 row_mask:0xf bank_mask:0xf
	;; [unrolled: 1-line block ×3, first 2 shown]
	v_cmp_lt_u32_e32 vcc, 1, v67
	s_and_saveexec_b64 s[42:43], vcc
; %bb.78:
	v_cmp_eq_u32_e32 vcc, 0, v66
	v_cndmask_b32_e32 v68, 0, v68, vcc
	v_add_u32_e32 v67, v69, v66
	v_cndmask_b32_e32 v66, 0, v70, vcc
	v_add_co_u32_e32 v58, vcc, v68, v58
	v_addc_co_u32_e32 v59, vcc, v66, v59, vcc
	v_mov_b32_e32 v66, v67
; %bb.79:
	s_or_b64 exec, exec, s[42:43]
	ds_write_b32 v65, v66 offset:4128
	ds_write_b64 v65, v[58:59] offset:4136
.LBB1233_80:
	s_or_b64 exec, exec, s[28:29]
	v_cmp_gt_u32_e32 vcc, 64, v0
	v_cmp_lt_u32_e64 s[28:29], 63, v0
	v_pk_mov_b32 v[58:59], 0, 0
	v_mov_b32_e32 v70, 0
	s_waitcnt lgkmcnt(0)
	s_barrier
	s_and_saveexec_b64 s[42:43], s[28:29]
	s_cbranch_execz .LBB1233_82
; %bb.81:
	ds_read_b32 v70, v64 offset:4112
	ds_read_b64 v[58:59], v64 offset:4120
	v_cmp_eq_u32_e64 s[28:29], 0, v62
	s_waitcnt lgkmcnt(1)
	v_add_u32_e32 v64, v70, v62
	s_waitcnt lgkmcnt(0)
	v_cndmask_b32_e64 v65, 0, v58, s[28:29]
	v_cndmask_b32_e64 v62, 0, v59, s[28:29]
	v_add_co_u32_e64 v60, s[28:29], v65, v60
	v_addc_co_u32_e64 v61, s[28:29], v62, v61, s[28:29]
	v_mov_b32_e32 v62, v64
.LBB1233_82:
	s_or_b64 exec, exec, s[42:43]
	v_add_u32_e32 v64, -1, v63
	v_and_b32_e32 v65, 64, v63
	v_cmp_lt_i32_e64 s[28:29], v64, v65
	v_cndmask_b32_e64 v64, v64, v63, s[28:29]
	v_lshlrev_b32_e32 v64, 2, v64
	ds_bpermute_b32 v71, v64, v62
	ds_bpermute_b32 v76, v64, v60
	;; [unrolled: 1-line block ×3, first 2 shown]
	v_cmp_eq_u32_e64 s[28:29], 0, v63
	s_and_saveexec_b64 s[42:43], vcc
	s_cbranch_execz .LBB1233_125
; %bb.83:
	v_mov_b32_e32 v65, 0
	ds_read_b32 v78, v65 offset:4176
	ds_read_b64 v[60:61], v65 offset:4184
	s_and_saveexec_b64 s[48:49], s[28:29]
	s_cbranch_execz .LBB1233_85
; %bb.84:
	s_add_i32 s58, s62, 64
	s_mov_b32 s59, 0
	s_lshl_b64 s[60:61], s[58:59], 4
	s_add_u32 s60, s36, s60
	s_addc_u32 s61, s37, s61
	v_mov_b32_e32 v62, s58
	v_mov_b32_e32 v64, 1
	s_waitcnt lgkmcnt(1)
	global_store_dword v65, v78, s[60:61]
	s_waitcnt lgkmcnt(0)
	global_store_dwordx2 v65, v[60:61], s[60:61] offset:8
	s_waitcnt vmcnt(0)
	buffer_wbinvl1_vol
	global_store_byte v62, v64, s[40:41]
.LBB1233_85:
	s_or_b64 exec, exec, s[48:49]
	v_xad_u32 v62, v63, -1, s62
	v_add_u32_e32 v64, 64, v62
	global_load_ubyte v79, v64, s[40:41] glc
	s_waitcnt vmcnt(0)
	v_cmp_eq_u16_e32 vcc, 0, v79
	s_and_saveexec_b64 s[48:49], vcc
	s_cbranch_execz .LBB1233_89
; %bb.86:
	v_mov_b32_e32 v67, s41
	v_add_co_u32_e32 v66, vcc, s40, v64
	v_addc_co_u32_e32 v67, vcc, 0, v67, vcc
	s_mov_b64 s[58:59], 0
.LBB1233_87:                            ; =>This Inner Loop Header: Depth=1
	global_load_ubyte v79, v[66:67], off glc
	s_waitcnt vmcnt(0)
	v_cmp_ne_u16_e32 vcc, 0, v79
	s_or_b64 s[58:59], vcc, s[58:59]
	s_andn2_b64 exec, exec, s[58:59]
	s_cbranch_execnz .LBB1233_87
; %bb.88:
	s_or_b64 exec, exec, s[58:59]
.LBB1233_89:
	s_or_b64 exec, exec, s[48:49]
	v_mov_b32_e32 v66, s39
	v_mov_b32_e32 v67, s37
	v_cmp_eq_u16_e32 vcc, 1, v79
	v_cndmask_b32_e32 v66, v66, v67, vcc
	v_mov_b32_e32 v67, s38
	v_mov_b32_e32 v68, s36
	v_cndmask_b32_e32 v67, v67, v68, vcc
	v_lshlrev_b64 v[64:65], 4, v[64:65]
	v_add_co_u32_e32 v64, vcc, v67, v64
	v_addc_co_u32_e32 v65, vcc, v66, v65, vcc
	s_waitcnt lgkmcnt(0)
	buffer_wbinvl1_vol
	global_load_dword v94, v[64:65], off
	global_load_dwordx2 v[68:69], v[64:65], off offset:8
	v_cmp_eq_u16_e32 vcc, 2, v79
	v_lshlrev_b64 v[64:65], v63, -1
	v_and_b32_e32 v80, 63, v63
	v_and_b32_e32 v66, vcc_hi, v65
	v_and_b32_e32 v84, vcc_lo, v64
	v_cmp_ne_u32_e32 vcc, 63, v80
	v_addc_co_u32_e32 v67, vcc, 0, v63, vcc
	v_lshlrev_b32_e32 v81, 2, v67
	v_or_b32_e32 v66, 0x80000000, v66
	v_ffbl_b32_e32 v66, v66
	v_add_u32_e32 v66, 32, v66
	v_ffbl_b32_e32 v84, v84
	v_min_u32_e32 v66, v84, v66
	v_cmp_lt_u32_e32 vcc, v80, v66
	s_waitcnt vmcnt(1)
	ds_bpermute_b32 v82, v81, v94
	s_waitcnt vmcnt(0)
	ds_bpermute_b32 v67, v81, v68
	ds_bpermute_b32 v83, v81, v69
	s_and_saveexec_b64 s[48:49], vcc
	s_cbranch_execz .LBB1233_91
; %bb.90:
	v_cmp_eq_u32_e32 vcc, 0, v94
	s_waitcnt lgkmcnt(1)
	v_cndmask_b32_e32 v67, 0, v67, vcc
	v_add_u32_e32 v82, v82, v94
	s_waitcnt lgkmcnt(0)
	v_cndmask_b32_e32 v83, 0, v83, vcc
	v_add_co_u32_e32 v68, vcc, v67, v68
	v_addc_co_u32_e32 v69, vcc, v83, v69, vcc
	v_mov_b32_e32 v94, v82
.LBB1233_91:
	s_or_b64 exec, exec, s[48:49]
	v_cmp_gt_u32_e32 vcc, 62, v80
	s_waitcnt lgkmcnt(1)
	v_cndmask_b32_e64 v67, 0, 1, vcc
	v_lshlrev_b32_e32 v67, 1, v67
	v_add_lshl_u32 v82, v67, v63, 2
	ds_bpermute_b32 v84, v82, v94
	ds_bpermute_b32 v67, v82, v68
	ds_bpermute_b32 v85, v82, v69
	s_waitcnt lgkmcnt(3)
	v_add_u32_e32 v83, 2, v80
	v_cmp_le_u32_e32 vcc, v83, v66
	s_and_saveexec_b64 s[48:49], vcc
	s_cbranch_execz .LBB1233_93
; %bb.92:
	v_cmp_eq_u32_e32 vcc, 0, v94
	s_waitcnt lgkmcnt(1)
	v_cndmask_b32_e32 v67, 0, v67, vcc
	v_add_u32_e32 v84, v84, v94
	s_waitcnt lgkmcnt(0)
	v_cndmask_b32_e32 v85, 0, v85, vcc
	v_add_co_u32_e32 v68, vcc, v67, v68
	v_addc_co_u32_e32 v69, vcc, v85, v69, vcc
	v_mov_b32_e32 v94, v84
.LBB1233_93:
	s_or_b64 exec, exec, s[48:49]
	v_cmp_gt_u32_e32 vcc, 60, v80
	s_waitcnt lgkmcnt(1)
	v_cndmask_b32_e64 v67, 0, 1, vcc
	v_lshlrev_b32_e32 v67, 2, v67
	v_add_lshl_u32 v84, v67, v63, 2
	ds_bpermute_b32 v86, v84, v94
	ds_bpermute_b32 v67, v84, v68
	ds_bpermute_b32 v87, v84, v69
	s_waitcnt lgkmcnt(3)
	v_add_u32_e32 v85, 4, v80
	v_cmp_le_u32_e32 vcc, v85, v66
	;; [unrolled: 25-line block ×4, first 2 shown]
	s_and_saveexec_b64 s[48:49], vcc
	s_cbranch_execz .LBB1233_99
; %bb.98:
	v_cmp_eq_u32_e32 vcc, 0, v94
	s_waitcnt lgkmcnt(1)
	v_cndmask_b32_e32 v67, 0, v67, vcc
	v_add_u32_e32 v90, v90, v94
	s_waitcnt lgkmcnt(0)
	v_cndmask_b32_e32 v91, 0, v91, vcc
	v_add_co_u32_e32 v68, vcc, v67, v68
	v_addc_co_u32_e32 v69, vcc, v91, v69, vcc
	v_mov_b32_e32 v94, v90
.LBB1233_99:
	s_or_b64 exec, exec, s[48:49]
	v_cmp_gt_u32_e32 vcc, 32, v80
	s_waitcnt lgkmcnt(1)
	v_cndmask_b32_e64 v67, 0, 1, vcc
	v_lshlrev_b32_e32 v67, 5, v67
	v_add_lshl_u32 v90, v67, v63, 2
	ds_bpermute_b32 v67, v90, v94
	ds_bpermute_b32 v63, v90, v68
	s_waitcnt lgkmcnt(2)
	ds_bpermute_b32 v91, v90, v69
	v_add_u32_e32 v92, 32, v80
	v_cmp_le_u32_e32 vcc, v92, v66
	s_and_saveexec_b64 s[48:49], vcc
	s_cbranch_execz .LBB1233_101
; %bb.100:
	v_cmp_eq_u32_e32 vcc, 0, v94
	s_waitcnt lgkmcnt(1)
	v_cndmask_b32_e32 v63, 0, v63, vcc
	v_add_u32_e32 v66, v67, v94
	s_waitcnt lgkmcnt(0)
	v_cndmask_b32_e32 v67, 0, v91, vcc
	v_add_co_u32_e32 v68, vcc, v63, v68
	v_addc_co_u32_e32 v69, vcc, v67, v69, vcc
	v_mov_b32_e32 v94, v66
.LBB1233_101:
	s_or_b64 exec, exec, s[48:49]
	s_waitcnt lgkmcnt(1)
	v_mov_b32_e32 v63, 0
	v_mov_b32_e32 v93, 2
	s_branch .LBB1233_103
.LBB1233_102:                           ;   in Loop: Header=BB1233_103 Depth=1
	s_or_b64 exec, exec, s[48:49]
	v_cmp_eq_u32_e32 vcc, 0, v91
	v_cndmask_b32_e32 v68, 0, v68, vcc
	v_cndmask_b32_e32 v69, 0, v69, vcc
	v_add_co_u32_e32 v68, vcc, v68, v66
	v_subrev_u32_e32 v62, 64, v62
	v_add_u32_e32 v94, v95, v91
	v_addc_co_u32_e32 v69, vcc, v69, v67, vcc
.LBB1233_103:                           ; =>This Loop Header: Depth=1
                                        ;     Child Loop BB1233_106 Depth 2
	v_cmp_ne_u16_sdwa s[48:49], v79, v93 src0_sel:BYTE_0 src1_sel:DWORD
	v_pk_mov_b32 v[66:67], v[68:69], v[68:69] op_sel:[0,1]
	v_cndmask_b32_e64 v68, 0, 1, s[48:49]
	;;#ASMSTART
	;;#ASMEND
	v_cmp_ne_u32_e32 vcc, 0, v68
	s_cmp_lg_u64 vcc, exec
	s_waitcnt lgkmcnt(0)
	v_mov_b32_e32 v91, v94
	s_cbranch_scc1 .LBB1233_120
; %bb.104:                              ;   in Loop: Header=BB1233_103 Depth=1
	global_load_ubyte v79, v62, s[40:41] glc
	s_waitcnt vmcnt(0)
	v_cmp_eq_u16_e32 vcc, 0, v79
	s_and_saveexec_b64 s[48:49], vcc
	s_cbranch_execz .LBB1233_108
; %bb.105:                              ;   in Loop: Header=BB1233_103 Depth=1
	v_mov_b32_e32 v69, s41
	v_add_co_u32_e32 v68, vcc, s40, v62
	v_addc_co_u32_e32 v69, vcc, 0, v69, vcc
	s_mov_b64 s[58:59], 0
.LBB1233_106:                           ;   Parent Loop BB1233_103 Depth=1
                                        ; =>  This Inner Loop Header: Depth=2
	global_load_ubyte v79, v[68:69], off glc
	s_waitcnt vmcnt(0)
	v_cmp_ne_u16_e32 vcc, 0, v79
	s_or_b64 s[58:59], vcc, s[58:59]
	s_andn2_b64 exec, exec, s[58:59]
	s_cbranch_execnz .LBB1233_106
; %bb.107:                              ;   in Loop: Header=BB1233_103 Depth=1
	s_or_b64 exec, exec, s[58:59]
.LBB1233_108:                           ;   in Loop: Header=BB1233_103 Depth=1
	s_or_b64 exec, exec, s[48:49]
	v_mov_b32_e32 v68, s39
	v_mov_b32_e32 v69, s37
	v_cmp_eq_u16_e32 vcc, 1, v79
	v_cndmask_b32_e32 v94, v68, v69, vcc
	v_mov_b32_e32 v68, s38
	v_mov_b32_e32 v69, s36
	v_cndmask_b32_e32 v95, v68, v69, vcc
	v_lshlrev_b64 v[68:69], 4, v[62:63]
	v_add_co_u32_e32 v68, vcc, v95, v68
	v_addc_co_u32_e32 v69, vcc, v94, v69, vcc
	buffer_wbinvl1_vol
	global_load_dword v95, v[68:69], off
	s_nop 0
	global_load_dwordx2 v[68:69], v[68:69], off offset:8
	v_cmp_eq_u16_e32 vcc, 2, v79
	v_and_b32_e32 v94, vcc_hi, v65
	v_or_b32_e32 v94, 0x80000000, v94
	v_and_b32_e32 v117, vcc_lo, v64
	v_ffbl_b32_e32 v94, v94
	v_add_u32_e32 v94, 32, v94
	v_ffbl_b32_e32 v117, v117
	v_min_u32_e32 v94, v117, v94
	v_cmp_lt_u32_e32 vcc, v80, v94
	s_waitcnt vmcnt(1)
	ds_bpermute_b32 v99, v81, v95
	s_waitcnt vmcnt(0)
	ds_bpermute_b32 v98, v81, v68
	ds_bpermute_b32 v116, v81, v69
	s_and_saveexec_b64 s[48:49], vcc
	s_cbranch_execz .LBB1233_110
; %bb.109:                              ;   in Loop: Header=BB1233_103 Depth=1
	v_cmp_eq_u32_e32 vcc, 0, v95
	s_waitcnt lgkmcnt(1)
	v_cndmask_b32_e32 v98, 0, v98, vcc
	v_add_u32_e32 v99, v99, v95
	s_waitcnt lgkmcnt(0)
	v_cndmask_b32_e32 v95, 0, v116, vcc
	v_add_co_u32_e32 v68, vcc, v98, v68
	v_addc_co_u32_e32 v69, vcc, v95, v69, vcc
	v_mov_b32_e32 v95, v99
.LBB1233_110:                           ;   in Loop: Header=BB1233_103 Depth=1
	s_or_b64 exec, exec, s[48:49]
	s_waitcnt lgkmcnt(2)
	ds_bpermute_b32 v99, v82, v95
	s_waitcnt lgkmcnt(2)
	ds_bpermute_b32 v98, v82, v68
	s_waitcnt lgkmcnt(2)
	ds_bpermute_b32 v116, v82, v69
	v_cmp_le_u32_e32 vcc, v83, v94
	s_and_saveexec_b64 s[48:49], vcc
	s_cbranch_execz .LBB1233_112
; %bb.111:                              ;   in Loop: Header=BB1233_103 Depth=1
	v_cmp_eq_u32_e32 vcc, 0, v95
	s_waitcnt lgkmcnt(1)
	v_cndmask_b32_e32 v98, 0, v98, vcc
	v_add_u32_e32 v99, v99, v95
	s_waitcnt lgkmcnt(0)
	v_cndmask_b32_e32 v95, 0, v116, vcc
	v_add_co_u32_e32 v68, vcc, v98, v68
	v_addc_co_u32_e32 v69, vcc, v95, v69, vcc
	v_mov_b32_e32 v95, v99
.LBB1233_112:                           ;   in Loop: Header=BB1233_103 Depth=1
	s_or_b64 exec, exec, s[48:49]
	s_waitcnt lgkmcnt(2)
	ds_bpermute_b32 v99, v84, v95
	s_waitcnt lgkmcnt(2)
	ds_bpermute_b32 v98, v84, v68
	s_waitcnt lgkmcnt(2)
	ds_bpermute_b32 v116, v84, v69
	v_cmp_le_u32_e32 vcc, v85, v94
	;; [unrolled: 21-line block ×5, first 2 shown]
	s_and_saveexec_b64 s[48:49], vcc
	s_cbranch_execz .LBB1233_102
; %bb.119:                              ;   in Loop: Header=BB1233_103 Depth=1
	v_cmp_eq_u32_e32 vcc, 0, v95
	s_waitcnt lgkmcnt(1)
	v_cndmask_b32_e32 v98, 0, v98, vcc
	v_add_u32_e32 v94, v99, v95
	s_waitcnt lgkmcnt(0)
	v_cndmask_b32_e32 v95, 0, v116, vcc
	v_add_co_u32_e32 v68, vcc, v98, v68
	v_addc_co_u32_e32 v69, vcc, v95, v69, vcc
	v_mov_b32_e32 v95, v94
	s_branch .LBB1233_102
.LBB1233_120:                           ;   in Loop: Header=BB1233_103 Depth=1
                                        ; implicit-def: $vgpr68_vgpr69
                                        ; implicit-def: $vgpr94
                                        ; implicit-def: $vgpr79
	s_cbranch_execz .LBB1233_103
; %bb.121:
	s_and_saveexec_b64 s[36:37], s[28:29]
	s_cbranch_execz .LBB1233_123
; %bb.122:
	s_mov_b32 s49, 0
	v_cmp_eq_u32_e32 vcc, 0, v78
	s_add_i32 s48, s62, 64
	v_cndmask_b32_e32 v62, 0, v66, vcc
	s_lshl_b64 s[58:59], s[48:49], 4
	v_cndmask_b32_e32 v63, 0, v67, vcc
	v_add_co_u32_e32 v62, vcc, v62, v60
	s_add_u32 s58, s38, s58
	v_add_u32_e32 v64, v91, v78
	v_addc_co_u32_e32 v63, vcc, v63, v61, vcc
	s_addc_u32 s59, s39, s59
	v_mov_b32_e32 v65, 0
	global_store_dword v65, v64, s[58:59]
	global_store_dwordx2 v65, v[62:63], s[58:59] offset:8
	v_mov_b32_e32 v62, s48
	v_mov_b32_e32 v63, 2
	s_waitcnt vmcnt(0) lgkmcnt(0)
	buffer_wbinvl1_vol
	global_store_byte v62, v63, s[40:41]
	ds_write_b32 v65, v78 offset:4096
	ds_write_b64 v65, v[60:61] offset:4104
	ds_write_b32 v65, v91 offset:4112
	ds_write_b64 v65, v[66:67] offset:4120
.LBB1233_123:
	s_or_b64 exec, exec, s[36:37]
	s_and_b64 exec, exec, s[0:1]
	s_cbranch_execz .LBB1233_125
; %bb.124:
	v_mov_b32_e32 v60, 0
	ds_write_b32 v60, v91 offset:4176
	ds_write_b64 v60, v[66:67] offset:4184
.LBB1233_125:
	s_or_b64 exec, exec, s[42:43]
	v_mov_b32_e32 v63, 0
	s_waitcnt lgkmcnt(0)
	s_barrier
	ds_read_b32 v62, v63 offset:4176
	ds_read_b64 v[60:61], v63 offset:4184
	v_cndmask_b32_e64 v64, v71, v70, s[28:29]
	v_cmp_eq_u32_e32 vcc, 0, v64
	v_cndmask_b32_e64 v58, v76, v58, s[28:29]
	v_cndmask_b32_e64 v59, v77, v59, s[28:29]
	s_waitcnt lgkmcnt(0)
	v_cndmask_b32_e32 v66, 0, v60, vcc
	v_cndmask_b32_e32 v65, 0, v61, vcc
	v_add_co_u32_e32 v58, vcc, v66, v58
	v_addc_co_u32_e32 v65, vcc, v65, v59, vcc
	v_cndmask_b32_e64 v92, v58, v60, s[0:1]
	v_cmp_eq_u32_e32 vcc, 0, v113
	v_cndmask_b32_e64 v93, v65, v61, s[0:1]
	v_cndmask_b32_e32 v60, 0, v92, vcc
	v_cndmask_b32_e64 v59, v64, 0, s[0:1]
	v_cndmask_b32_e32 v58, 0, v93, vcc
	v_add_co_u32_e32 v64, vcc, v60, v54
	v_addc_co_u32_e32 v65, vcc, v58, v55, vcc
	v_cndmask_b32_e64 v60, 0, v64, s[26:27]
	v_cndmask_b32_e64 v58, 0, v65, s[26:27]
	v_add_co_u32_e32 v66, vcc, v60, v56
	v_addc_co_u32_e32 v67, vcc, v58, v57, vcc
	v_cndmask_b32_e64 v60, 0, v66, s[24:25]
	v_cndmask_b32_e64 v58, 0, v67, s[24:25]
	;; [unrolled: 4-line block ×11, first 2 shown]
	v_add_co_u32_e32 v90, vcc, v60, v36
	v_add_u32_e32 v59, v62, v59
	v_addc_co_u32_e32 v91, vcc, v58, v37, vcc
	s_barrier
	ds_read_b32 v58, v63 offset:4096
	ds_read_b64 v[60:61], v63 offset:4104
	ds_read_b32 v62, v63 offset:4112
	ds_read_b64 v[116:117], v63 offset:4120
	v_cndmask_b32_e64 v94, 0, v90, s[4:5]
	v_cndmask_b32_e64 v95, 0, v91, s[4:5]
	v_add_co_u32_e32 v94, vcc, v94, v30
	v_addc_co_u32_e32 v95, vcc, v95, v31, vcc
	s_waitcnt lgkmcnt(3)
	v_cmp_eq_u32_e32 vcc, 0, v58
	s_waitcnt lgkmcnt(0)
	v_cndmask_b32_e32 v116, 0, v116, vcc
	v_cndmask_b32_e32 v63, 0, v117, vcc
	v_add_co_u32_e32 v60, vcc, v116, v60
	v_cndmask_b32_e64 v99, 0, v95, s[2:3]
	v_cndmask_b32_e64 v98, 0, v94, s[2:3]
	v_addc_co_u32_e32 v61, vcc, v63, v61, vcc
	s_branch .LBB1233_154
.LBB1233_126:
                                        ; implicit-def: $vgpr58
                                        ; implicit-def: $vgpr60_vgpr61
                                        ; implicit-def: $vgpr62
                                        ; implicit-def: $vgpr92_vgpr93
                                        ; implicit-def: $vgpr64_vgpr65
                                        ; implicit-def: $vgpr66_vgpr67
                                        ; implicit-def: $vgpr68_vgpr69
                                        ; implicit-def: $vgpr70_vgpr71
                                        ; implicit-def: $vgpr76_vgpr77
                                        ; implicit-def: $vgpr78_vgpr79
                                        ; implicit-def: $vgpr80_vgpr81
                                        ; implicit-def: $vgpr82_vgpr83
                                        ; implicit-def: $vgpr84_vgpr85
                                        ; implicit-def: $vgpr86_vgpr87
                                        ; implicit-def: $vgpr88_vgpr89
                                        ; implicit-def: $vgpr90_vgpr91
                                        ; implicit-def: $vgpr94_vgpr95
                                        ; implicit-def: $vgpr98_vgpr99
                                        ; implicit-def: $vgpr59
	s_cbranch_execz .LBB1233_154
; %bb.127:
	s_and_b64 s[2:3], s[30:31], exec
	s_cselect_b32 s3, 0, s35
	s_cselect_b32 s2, 0, s34
	s_cmp_eq_u64 s[2:3], 0
	s_cbranch_scc1 .LBB1233_129
; %bb.128:
	v_mov_b32_e32 v58, 0
	global_load_dwordx2 v[96:97], v58, s[2:3]
.LBB1233_129:
	v_cmp_eq_u32_e64 s[24:25], 0, v112
	v_cndmask_b32_e64 v59, 0, v54, s[24:25]
	v_cndmask_b32_e64 v58, 0, v55, s[24:25]
	v_add_co_u32_e32 v59, vcc, v59, v56
	v_cmp_eq_u32_e64 s[22:23], 0, v111
	v_addc_co_u32_e32 v58, vcc, v58, v57, vcc
	v_cndmask_b32_e64 v59, 0, v59, s[22:23]
	v_cndmask_b32_e64 v58, 0, v58, s[22:23]
	v_add_co_u32_e32 v59, vcc, v59, v50
	v_cmp_eq_u32_e64 s[20:21], 0, v110
	v_addc_co_u32_e32 v58, vcc, v58, v51, vcc
	;; [unrolled: 5-line block ×11, first 2 shown]
	v_cndmask_b32_e64 v59, 0, v59, s[4:5]
	v_cndmask_b32_e64 v58, 0, v58, s[4:5]
	v_add_co_u32_e32 v59, vcc, v59, v30
	v_addc_co_u32_e32 v58, vcc, v58, v31, vcc
	v_cmp_eq_u32_e32 vcc, 0, v100
	v_add3_u32 v60, v115, v108, v107
	v_cndmask_b32_e32 v59, 0, v59, vcc
	v_add3_u32 v60, v60, v106, v105
	v_cndmask_b32_e32 v58, 0, v58, vcc
	v_add_co_u32_e64 v59, s[26:27], v59, v32
	v_add3_u32 v60, v60, v104, v103
	v_addc_co_u32_e64 v58, s[26:27], v58, v33, s[26:27]
	v_add3_u32 v60, v60, v102, v101
	v_cmp_eq_u32_e64 s[26:27], 0, v1
	v_add3_u32 v63, v60, v100, v1
	v_cndmask_b32_e64 v60, 0, v58, s[26:27]
	v_cndmask_b32_e64 v58, 0, v59, s[26:27]
	v_add_co_u32_e64 v58, s[26:27], v58, v72
	v_mbcnt_hi_u32_b32 v62, -1, v114
	v_addc_co_u32_e64 v59, s[26:27], v60, v73, s[26:27]
	v_and_b32_e32 v60, 15, v62
	v_mov_b32_dpp v64, v63 row_shr:1 row_mask:0xf bank_mask:0xf
	v_mov_b32_dpp v61, v58 row_shr:1 row_mask:0xf bank_mask:0xf
	;; [unrolled: 1-line block ×3, first 2 shown]
	v_cmp_ne_u32_e64 s[26:27], 0, v60
	s_and_saveexec_b64 s[28:29], s[26:27]
; %bb.130:
	v_cmp_eq_u32_e64 s[26:27], 0, v63
	v_cndmask_b32_e64 v61, 0, v61, s[26:27]
	v_add_u32_e32 v64, v64, v63
	v_cndmask_b32_e64 v63, 0, v65, s[26:27]
	v_add_co_u32_e64 v58, s[26:27], v61, v58
	v_addc_co_u32_e64 v59, s[26:27], v63, v59, s[26:27]
	v_mov_b32_e32 v63, v64
; %bb.131:
	s_or_b64 exec, exec, s[28:29]
	s_nop 0
	v_mov_b32_dpp v64, v63 row_shr:2 row_mask:0xf bank_mask:0xf
	v_mov_b32_dpp v61, v58 row_shr:2 row_mask:0xf bank_mask:0xf
	v_mov_b32_dpp v65, v59 row_shr:2 row_mask:0xf bank_mask:0xf
	v_cmp_lt_u32_e64 s[26:27], 1, v60
	s_and_saveexec_b64 s[28:29], s[26:27]
; %bb.132:
	v_cmp_eq_u32_e64 s[26:27], 0, v63
	v_cndmask_b32_e64 v61, 0, v61, s[26:27]
	v_add_u32_e32 v64, v64, v63
	v_cndmask_b32_e64 v63, 0, v65, s[26:27]
	v_add_co_u32_e64 v58, s[26:27], v61, v58
	v_addc_co_u32_e64 v59, s[26:27], v63, v59, s[26:27]
	v_mov_b32_e32 v63, v64
; %bb.133:
	s_or_b64 exec, exec, s[28:29]
	s_nop 0
	v_mov_b32_dpp v64, v63 row_shr:4 row_mask:0xf bank_mask:0xf
	v_mov_b32_dpp v61, v58 row_shr:4 row_mask:0xf bank_mask:0xf
	v_mov_b32_dpp v65, v59 row_shr:4 row_mask:0xf bank_mask:0xf
	v_cmp_lt_u32_e64 s[26:27], 3, v60
	;; [unrolled: 16-line block ×3, first 2 shown]
	s_and_saveexec_b64 s[28:29], s[26:27]
; %bb.136:
	v_cmp_eq_u32_e64 s[26:27], 0, v63
	v_cndmask_b32_e64 v61, 0, v61, s[26:27]
	v_add_u32_e32 v60, v64, v63
	v_cndmask_b32_e64 v63, 0, v65, s[26:27]
	v_add_co_u32_e64 v58, s[26:27], v61, v58
	v_addc_co_u32_e64 v59, s[26:27], v63, v59, s[26:27]
	v_mov_b32_e32 v63, v60
; %bb.137:
	s_or_b64 exec, exec, s[28:29]
	v_and_b32_e32 v65, 16, v62
	v_mov_b32_dpp v61, v63 row_bcast:15 row_mask:0xf bank_mask:0xf
	v_mov_b32_dpp v60, v58 row_bcast:15 row_mask:0xf bank_mask:0xf
	;; [unrolled: 1-line block ×3, first 2 shown]
	v_cmp_ne_u32_e64 s[26:27], 0, v65
	s_and_saveexec_b64 s[28:29], s[26:27]
; %bb.138:
	v_cmp_eq_u32_e64 s[26:27], 0, v63
	v_cndmask_b32_e64 v60, 0, v60, s[26:27]
	v_add_u32_e32 v61, v61, v63
	v_cndmask_b32_e64 v63, 0, v64, s[26:27]
	v_add_co_u32_e64 v58, s[26:27], v60, v58
	v_addc_co_u32_e64 v59, s[26:27], v63, v59, s[26:27]
	v_mov_b32_e32 v63, v61
; %bb.139:
	s_or_b64 exec, exec, s[28:29]
	s_nop 0
	v_mov_b32_dpp v61, v63 row_bcast:31 row_mask:0xf bank_mask:0xf
	v_mov_b32_dpp v60, v58 row_bcast:31 row_mask:0xf bank_mask:0xf
	;; [unrolled: 1-line block ×3, first 2 shown]
	v_cmp_lt_u32_e64 s[26:27], 31, v62
	s_and_saveexec_b64 s[28:29], s[26:27]
; %bb.140:
	v_cmp_eq_u32_e64 s[26:27], 0, v63
	v_cndmask_b32_e64 v60, 0, v60, s[26:27]
	v_add_u32_e32 v61, v61, v63
	v_cndmask_b32_e64 v63, 0, v64, s[26:27]
	v_add_co_u32_e64 v58, s[26:27], v60, v58
	v_addc_co_u32_e64 v59, s[26:27], v63, v59, s[26:27]
	v_mov_b32_e32 v63, v61
; %bb.141:
	s_or_b64 exec, exec, s[28:29]
	v_lshrrev_b32_e32 v60, 6, v0
	v_or_b32_e32 v61, 63, v0
	v_cmp_eq_u32_e64 s[26:27], v61, v0
	v_lshlrev_b32_e32 v64, 4, v60
	s_and_saveexec_b64 s[28:29], s[26:27]
	s_cbranch_execz .LBB1233_143
; %bb.142:
	ds_write_b32 v64, v63 offset:4128
	ds_write_b64 v64, v[58:59] offset:4136
.LBB1233_143:
	s_or_b64 exec, exec, s[28:29]
	v_cmp_gt_u32_e64 s[26:27], 4, v0
	s_waitcnt lgkmcnt(0)
	s_barrier
	s_and_saveexec_b64 s[28:29], s[26:27]
	s_cbranch_execz .LBB1233_149
; %bb.144:
	v_lshlrev_b32_e32 v65, 4, v0
	ds_read_b32 v66, v65 offset:4128
	ds_read_b64 v[60:61], v65 offset:4136
	v_and_b32_e32 v67, 3, v62
	v_cmp_ne_u32_e64 s[26:27], 0, v67
	s_waitcnt lgkmcnt(1)
	v_mov_b32_dpp v69, v66 row_shr:1 row_mask:0xf bank_mask:0xf
	s_waitcnt lgkmcnt(0)
	v_mov_b32_dpp v68, v60 row_shr:1 row_mask:0xf bank_mask:0xf
	v_mov_b32_dpp v70, v61 row_shr:1 row_mask:0xf bank_mask:0xf
	s_and_saveexec_b64 s[34:35], s[26:27]
; %bb.145:
	v_cmp_eq_u32_e64 s[26:27], 0, v66
	v_cndmask_b32_e64 v68, 0, v68, s[26:27]
	v_add_u32_e32 v69, v69, v66
	v_cndmask_b32_e64 v66, 0, v70, s[26:27]
	v_add_co_u32_e64 v60, s[26:27], v68, v60
	v_addc_co_u32_e64 v61, s[26:27], v66, v61, s[26:27]
	v_mov_b32_e32 v66, v69
; %bb.146:
	s_or_b64 exec, exec, s[34:35]
	s_nop 0
	v_mov_b32_dpp v69, v66 row_shr:2 row_mask:0xf bank_mask:0xf
	v_mov_b32_dpp v68, v60 row_shr:2 row_mask:0xf bank_mask:0xf
	;; [unrolled: 1-line block ×3, first 2 shown]
	v_cmp_lt_u32_e64 s[26:27], 1, v67
	s_and_saveexec_b64 s[34:35], s[26:27]
; %bb.147:
	v_cmp_eq_u32_e64 s[26:27], 0, v66
	v_cndmask_b32_e64 v68, 0, v68, s[26:27]
	v_add_u32_e32 v67, v69, v66
	v_cndmask_b32_e64 v66, 0, v70, s[26:27]
	v_add_co_u32_e64 v60, s[26:27], v68, v60
	v_addc_co_u32_e64 v61, s[26:27], v66, v61, s[26:27]
	v_mov_b32_e32 v66, v67
; %bb.148:
	s_or_b64 exec, exec, s[34:35]
	ds_write_b32 v65, v66 offset:4128
	ds_write_b64 v65, v[60:61] offset:4136
.LBB1233_149:
	s_or_b64 exec, exec, s[28:29]
	v_cmp_lt_u32_e64 s[26:27], 63, v0
	v_mov_b32_e32 v72, 0
	v_mov_b32_e32 v65, 0
	s_waitcnt vmcnt(0)
	v_pk_mov_b32 v[60:61], v[96:97], v[96:97] op_sel:[0,1]
	s_waitcnt lgkmcnt(0)
	s_barrier
	s_and_saveexec_b64 s[28:29], s[26:27]
	s_cbranch_execz .LBB1233_151
; %bb.150:
	ds_read_b32 v65, v64 offset:4112
	ds_read_b64 v[60:61], v64 offset:4120
	s_waitcnt lgkmcnt(1)
	v_cmp_eq_u32_e64 s[26:27], 0, v65
	v_cndmask_b32_e64 v66, 0, v96, s[26:27]
	v_cndmask_b32_e64 v64, 0, v97, s[26:27]
	s_waitcnt lgkmcnt(0)
	v_add_co_u32_e64 v60, s[26:27], v66, v60
	v_addc_co_u32_e64 v61, s[26:27], v64, v61, s[26:27]
.LBB1233_151:
	s_or_b64 exec, exec, s[28:29]
	v_cmp_eq_u32_e64 s[26:27], 0, v63
	v_cndmask_b32_e64 v66, 0, v60, s[26:27]
	v_add_u32_e32 v64, v65, v63
	v_cndmask_b32_e64 v63, 0, v61, s[26:27]
	v_add_co_u32_e64 v58, s[26:27], v66, v58
	v_addc_co_u32_e64 v59, s[26:27], v63, v59, s[26:27]
	v_add_u32_e32 v63, -1, v62
	v_and_b32_e32 v66, 64, v62
	v_cmp_lt_i32_e64 s[26:27], v63, v66
	v_cndmask_b32_e64 v63, v63, v62, s[26:27]
	v_lshlrev_b32_e32 v63, 2, v63
	ds_bpermute_b32 v58, v63, v58
	ds_bpermute_b32 v64, v63, v64
	;; [unrolled: 1-line block ×3, first 2 shown]
	v_cmp_eq_u32_e64 s[26:27], 0, v62
	s_waitcnt lgkmcnt(2)
	v_cndmask_b32_e64 v92, v58, v60, s[26:27]
	s_waitcnt lgkmcnt(1)
	v_cndmask_b32_e64 v59, v64, v65, s[26:27]
	;; [unrolled: 2-line block ×3, first 2 shown]
	v_cndmask_b32_e64 v58, v92, v96, s[0:1]
	v_cmp_eq_u32_e64 s[26:27], 0, v113
	v_cndmask_b32_e64 v60, v93, v97, s[0:1]
	v_cndmask_b32_e64 v58, 0, v58, s[26:27]
	v_cndmask_b32_e64 v60, 0, v60, s[26:27]
	v_add_co_u32_e64 v64, s[26:27], v58, v54
	v_addc_co_u32_e64 v65, s[26:27], v60, v55, s[26:27]
	v_cndmask_b32_e64 v55, 0, v64, s[24:25]
	v_cndmask_b32_e64 v54, 0, v65, s[24:25]
	v_add_co_u32_e64 v66, s[24:25], v55, v56
	v_addc_co_u32_e64 v67, s[24:25], v54, v57, s[24:25]
	v_cndmask_b32_e64 v55, 0, v66, s[22:23]
	v_cndmask_b32_e64 v54, 0, v67, s[22:23]
	;; [unrolled: 4-line block ×11, first 2 shown]
	v_add_co_u32_e64 v90, s[2:3], v35, v36
	v_addc_co_u32_e64 v91, s[2:3], v34, v37, s[2:3]
	v_cndmask_b32_e64 v35, 0, v90, s[4:5]
	ds_read_b32 v58, v72 offset:4176
	v_cndmask_b32_e64 v34, 0, v91, s[4:5]
	v_add_co_u32_e64 v94, s[2:3], v35, v30
	v_addc_co_u32_e64 v95, s[2:3], v34, v31, s[2:3]
	ds_read_b64 v[30:31], v72 offset:4184
	v_cndmask_b32_e32 v99, 0, v95, vcc
	v_cndmask_b32_e32 v98, 0, v94, vcc
	s_waitcnt lgkmcnt(1)
	v_cmp_eq_u32_e32 vcc, 0, v58
	v_cndmask_b32_e32 v35, 0, v96, vcc
	v_cndmask_b32_e32 v34, 0, v97, vcc
	s_waitcnt lgkmcnt(0)
	v_add_co_u32_e32 v60, vcc, v35, v30
	v_addc_co_u32_e32 v61, vcc, v34, v31, vcc
	s_and_saveexec_b64 s[2:3], s[0:1]
	s_cbranch_execz .LBB1233_153
; %bb.152:
	v_mov_b32_e32 v59, 0
	v_mov_b32_e32 v30, 2
	v_pk_mov_b32 v[92:93], v[96:97], v[96:97] op_sel:[0,1]
	global_store_dword v59, v58, s[38:39] offset:1024
	global_store_dwordx2 v59, v[60:61], s[38:39] offset:1032
	s_waitcnt vmcnt(0)
	buffer_wbinvl1_vol
	global_store_byte v59, v30, s[40:41] offset:64
.LBB1233_153:
	s_or_b64 exec, exec, s[2:3]
	v_mov_b32_e32 v62, 0
.LBB1233_154:
	s_and_b64 s[2:3], s[30:31], exec
	s_cselect_b32 s3, 0, s51
	s_cselect_b32 s2, 0, s50
	s_cmp_eq_u64 s[2:3], 0
	v_pk_mov_b32 v[30:31], 0, 0
	s_barrier
	s_cbranch_scc1 .LBB1233_156
; %bb.155:
	v_mov_b32_e32 v30, 0
	global_load_dwordx2 v[30:31], v30, s[2:3]
.LBB1233_156:
	s_waitcnt vmcnt(0)
	v_lshlrev_b64 v[34:35], 3, v[30:31]
	v_mov_b32_e32 v36, s53
	v_add_co_u32_e32 v52, vcc, s52, v34
	v_mov_b32_e32 v63, 0
	v_addc_co_u32_e32 v53, vcc, v36, v35, vcc
	v_lshlrev_b64 v[36:37], 3, v[62:63]
	v_add_co_u32_e32 v52, vcc, v52, v36
	v_addc_co_u32_e32 v53, vcc, v53, v37, vcc
	v_cmp_eq_u32_e32 vcc, 0, v113
	v_cndmask_b32_e64 v54, 1, 2, vcc
	v_cmp_eq_u32_e32 vcc, 0, v112
	v_cndmask_b32_e64 v55, 1, 2, vcc
	v_cmp_eq_u32_e32 vcc, 0, v111
	v_and_b32_e32 v54, v55, v54
	v_cndmask_b32_e64 v55, 1, 2, vcc
	v_cmp_eq_u32_e32 vcc, 0, v110
	v_add_u32_e32 v51, v59, v113
	v_and_b32_e32 v54, v54, v55
	v_cndmask_b32_e64 v55, 1, 2, vcc
	v_cmp_eq_u32_e32 vcc, 0, v109
	v_add_u32_e32 v50, v51, v112
	v_and_b32_e32 v54, v54, v55
	v_cndmask_b32_e64 v55, 1, 2, vcc
	v_cmp_eq_u32_e32 vcc, 0, v108
	v_add_u32_e32 v49, v50, v111
	v_and_b32_e32 v54, v54, v55
	v_cndmask_b32_e64 v55, 1, 2, vcc
	v_cmp_eq_u32_e32 vcc, 0, v107
	v_add_u32_e32 v48, v49, v110
	v_and_b32_e32 v54, v54, v55
	v_cndmask_b32_e64 v55, 1, 2, vcc
	v_cmp_eq_u32_e32 vcc, 0, v106
	v_add_u32_e32 v47, v48, v109
	v_and_b32_e32 v54, v54, v55
	v_cndmask_b32_e64 v55, 1, 2, vcc
	v_cmp_eq_u32_e32 vcc, 0, v105
	v_add_u32_e32 v46, v47, v108
	v_and_b32_e32 v54, v54, v55
	v_cndmask_b32_e64 v55, 1, 2, vcc
	v_cmp_eq_u32_e32 vcc, 0, v104
	v_add_u32_e32 v45, v46, v107
	v_and_b32_e32 v54, v54, v55
	v_cndmask_b32_e64 v55, 1, 2, vcc
	v_cmp_eq_u32_e32 vcc, 0, v103
	v_add_u32_e32 v44, v45, v106
	v_and_b32_e32 v54, v54, v55
	v_cndmask_b32_e64 v55, 1, 2, vcc
	v_cmp_eq_u32_e32 vcc, 0, v102
	v_add_u32_e32 v43, v44, v105
	v_and_b32_e32 v54, v54, v55
	v_cndmask_b32_e64 v55, 1, 2, vcc
	v_cmp_eq_u32_e32 vcc, 0, v101
	v_add_u32_e32 v42, v43, v104
	v_and_b32_e32 v54, v54, v55
	v_cndmask_b32_e64 v55, 1, 2, vcc
	v_cmp_eq_u32_e32 vcc, 0, v100
	v_add_u32_e32 v41, v42, v103
	v_and_b32_e32 v54, v54, v55
	v_cndmask_b32_e64 v55, 1, 2, vcc
	v_cmp_eq_u32_e32 vcc, 0, v1
	v_add_u32_e32 v40, v41, v102
	v_and_b32_e32 v54, v54, v55
	v_cndmask_b32_e64 v55, 1, 2, vcc
	s_movk_i32 s34, 0x100
	v_add_u32_e32 v39, v40, v101
	v_and_b32_e32 v54, v54, v55
	v_cmp_gt_u32_e32 vcc, s34, v58
	v_add_u32_e32 v38, v39, v100
	v_cmp_ne_u32_e64 s[30:31], 0, v113
	v_cmp_ne_u32_e64 s[28:29], 0, v112
	;; [unrolled: 1-line block ×15, first 2 shown]
	s_mov_b64 s[36:37], -1
	v_cmp_gt_i16_e64 s[34:35], 2, v54
	s_cbranch_vccz .LBB1233_163
; %bb.157:
	s_and_saveexec_b64 s[36:37], s[34:35]
	s_cbranch_execz .LBB1233_162
; %bb.158:
	v_cmp_ne_u16_e32 vcc, 1, v54
	s_mov_b64 s[38:39], 0
	s_and_saveexec_b64 s[34:35], vcc
	s_xor_b64 s[34:35], exec, s[34:35]
	s_cbranch_execnz .LBB1233_195
; %bb.159:
	s_andn2_saveexec_b64 s[34:35], s[34:35]
	s_cbranch_execnz .LBB1233_211
.LBB1233_160:
	s_or_b64 exec, exec, s[34:35]
	s_and_b64 exec, exec, s[38:39]
	s_cbranch_execz .LBB1233_162
.LBB1233_161:
	v_sub_u32_e32 v56, v38, v62
	v_mov_b32_e32 v57, 0
	v_lshlrev_b64 v[56:57], 3, v[56:57]
	v_add_co_u32_e32 v56, vcc, v52, v56
	v_addc_co_u32_e32 v57, vcc, v53, v57, vcc
	global_store_dwordx2 v[56:57], v[74:75], off
.LBB1233_162:
	s_or_b64 exec, exec, s[36:37]
	s_mov_b64 s[36:37], 0
.LBB1233_163:
	s_and_b64 vcc, exec, s[36:37]
	s_cbranch_vccz .LBB1233_173
; %bb.164:
	v_cmp_gt_i16_e32 vcc, 2, v54
	s_and_saveexec_b64 s[34:35], vcc
	s_cbranch_execz .LBB1233_169
; %bb.165:
	v_cmp_ne_u16_e32 vcc, 1, v54
	s_mov_b64 s[38:39], 0
	s_and_saveexec_b64 s[36:37], vcc
	s_xor_b64 s[36:37], exec, s[36:37]
	s_cbranch_execnz .LBB1233_212
; %bb.166:
	s_andn2_saveexec_b64 s[2:3], s[36:37]
	s_cbranch_execnz .LBB1233_228
.LBB1233_167:
	s_or_b64 exec, exec, s[2:3]
	s_and_b64 exec, exec, s[38:39]
	s_cbranch_execz .LBB1233_169
.LBB1233_168:
	v_sub_u32_e32 v2, v38, v62
	v_lshlrev_b32_e32 v2, 3, v2
	ds_write_b64 v2, v[74:75]
.LBB1233_169:
	s_or_b64 exec, exec, s[34:35]
	v_cmp_lt_u32_e32 vcc, v0, v58
	s_waitcnt lgkmcnt(0)
	s_barrier
	s_and_saveexec_b64 s[2:3], vcc
	s_cbranch_execz .LBB1233_172
; %bb.170:
	v_lshlrev_b32_e32 v4, 3, v0
	s_mov_b64 s[4:5], 0
	v_mov_b32_e32 v3, 0
	v_mov_b32_e32 v2, v0
.LBB1233_171:                           ; =>This Inner Loop Header: Depth=1
	v_lshlrev_b64 v[6:7], 3, v[2:3]
	ds_read_b64 v[8:9], v4
	v_add_co_u32_e32 v6, vcc, v52, v6
	v_add_u32_e32 v2, 0x100, v2
	v_addc_co_u32_e32 v7, vcc, v53, v7, vcc
	v_cmp_ge_u32_e32 vcc, v2, v58
	v_add_u32_e32 v4, 0x800, v4
	s_or_b64 s[4:5], vcc, s[4:5]
	s_waitcnt lgkmcnt(0)
	global_store_dwordx2 v[6:7], v[8:9], off
	s_andn2_b64 exec, exec, s[4:5]
	s_cbranch_execnz .LBB1233_171
.LBB1233_172:
	s_or_b64 exec, exec, s[2:3]
.LBB1233_173:
	s_cmpk_lg_i32 s33, 0xf00
	s_cselect_b64 s[2:3], -1, 0
	v_cndmask_b32_e64 v8, 0, 1, s[46:47]
	s_and_b64 s[2:3], s[2:3], s[44:45]
	v_sub_u32_e32 v4, v58, v8
	v_cndmask_b32_e64 v5, 0, 1, s[2:3]
	s_and_b64 s[0:1], s[0:1], s[46:47]
	v_add_co_u32_e32 v2, vcc, v98, v32
	v_add_u32_e32 v4, v4, v5
	v_cndmask_b32_e64 v5, v113, 0, s[0:1]
	s_mul_hi_u32 s0, s33, 0x88888889
	v_addc_co_u32_e32 v3, vcc, v99, v33, vcc
	s_lshr_b32 s0, s0, 3
	v_mad_i32_i24 v6, v0, -15, s33
	v_cmp_eq_u32_e32 vcc, s0, v0
	v_cmp_ne_u32_e64 s[0:1], 0, v6
	v_cndmask_b32_e64 v7, 1, v5, s[0:1]
	v_cmp_ne_u32_e64 s[0:1], 1, v6
	v_cndmask_b32_e64 v9, 1, v112, s[0:1]
	;; [unrolled: 2-line block ×15, first 2 shown]
	s_and_b64 vcc, vcc, s[44:45]
	v_cndmask_b32_e32 v22, v1, v6, vcc
	v_cndmask_b32_e32 v21, v100, v21, vcc
	;; [unrolled: 1-line block ×15, first 2 shown]
	v_mov_b32_e32 v1, s55
	v_add_co_u32_e32 v5, vcc, s54, v34
	v_addc_co_u32_e32 v6, vcc, v1, v35, vcc
	v_add_co_u32_e32 v1, vcc, v5, v36
	v_addc_co_u32_e32 v5, vcc, v6, v37, vcc
	v_lshlrev_b32_e32 v6, 3, v8
	v_add_co_u32_e32 v6, vcc, v6, v1
	v_addc_co_u32_e32 v7, vcc, 0, v5, vcc
	v_add_co_u32_e32 v6, vcc, -8, v6
	v_addc_co_u32_e32 v7, vcc, -1, v7, vcc
	v_cmp_eq_u32_e32 vcc, 0, v23
	v_cmp_ne_u32_e64 s[28:29], 0, v23
	v_cndmask_b32_e64 v23, 1, 2, vcc
	v_cmp_eq_u32_e32 vcc, 0, v9
	v_cmp_ne_u32_e64 s[26:27], 0, v9
	v_cndmask_b32_e64 v9, 1, 2, vcc
	v_cmp_eq_u32_e32 vcc, 0, v10
	v_and_b32_e32 v9, v9, v23
	v_cmp_ne_u32_e64 s[24:25], 0, v10
	v_cndmask_b32_e64 v10, 1, 2, vcc
	v_cmp_eq_u32_e32 vcc, 0, v11
	v_and_b32_e32 v9, v9, v10
	v_cndmask_b32_e64 v10, 1, 2, vcc
	v_cmp_eq_u32_e32 vcc, 0, v12
	v_and_b32_e32 v9, v9, v10
	;; [unrolled: 3-line block ×12, first 2 shown]
	v_cndmask_b32_e64 v10, 1, 2, vcc
	s_movk_i32 s30, 0x100
	v_and_b32_e32 v9, v9, v10
	v_cmp_gt_u32_e32 vcc, s30, v4
	v_add_u32_e32 v8, v62, v8
	v_cmp_ne_u32_e64 s[22:23], 0, v11
	v_cmp_ne_u32_e64 s[20:21], 0, v12
	;; [unrolled: 1-line block ×12, first 2 shown]
	s_mov_b64 s[34:35], -1
	v_cmp_gt_i16_e64 s[30:31], 2, v9
	s_barrier
	s_cbranch_vccz .LBB1233_180
; %bb.174:
	s_and_saveexec_b64 s[34:35], s[30:31]
	s_cbranch_execz .LBB1233_179
; %bb.175:
	v_cmp_ne_u16_e32 vcc, 1, v9
	s_mov_b64 s[36:37], 0
	s_and_saveexec_b64 s[30:31], vcc
	s_xor_b64 s[30:31], exec, s[30:31]
	s_cbranch_execnz .LBB1233_229
; %bb.176:
	s_andn2_saveexec_b64 s[30:31], s[30:31]
	s_cbranch_execnz .LBB1233_245
.LBB1233_177:
	s_or_b64 exec, exec, s[30:31]
	s_and_b64 exec, exec, s[36:37]
	s_cbranch_execz .LBB1233_179
.LBB1233_178:
	v_sub_u32_e32 v10, v38, v8
	v_mov_b32_e32 v11, 0
	v_lshlrev_b64 v[10:11], 3, v[10:11]
	v_add_co_u32_e32 v10, vcc, v6, v10
	v_addc_co_u32_e32 v11, vcc, v7, v11, vcc
	global_store_dwordx2 v[10:11], v[2:3], off
.LBB1233_179:
	s_or_b64 exec, exec, s[34:35]
	s_mov_b64 s[34:35], 0
.LBB1233_180:
	s_and_b64 vcc, exec, s[34:35]
	s_cbranch_vccz .LBB1233_190
; %bb.181:
	v_cmp_gt_i16_e32 vcc, 2, v9
	s_and_saveexec_b64 s[30:31], vcc
	s_cbranch_execz .LBB1233_186
; %bb.182:
	v_cmp_ne_u16_e32 vcc, 1, v9
	s_mov_b64 s[36:37], 0
	s_and_saveexec_b64 s[34:35], vcc
	s_xor_b64 s[34:35], exec, s[34:35]
	s_cbranch_execnz .LBB1233_246
; %bb.183:
	s_andn2_saveexec_b64 s[0:1], s[34:35]
	s_cbranch_execnz .LBB1233_262
.LBB1233_184:
	s_or_b64 exec, exec, s[0:1]
	s_and_b64 exec, exec, s[36:37]
	s_cbranch_execz .LBB1233_186
.LBB1233_185:
	v_sub_u32_e32 v8, v38, v8
	v_lshlrev_b32_e32 v8, 3, v8
	ds_write_b64 v8, v[2:3]
.LBB1233_186:
	s_or_b64 exec, exec, s[30:31]
	v_cmp_lt_u32_e32 vcc, v0, v4
	s_waitcnt lgkmcnt(0)
	s_barrier
	s_and_saveexec_b64 s[0:1], vcc
	s_cbranch_execz .LBB1233_189
; %bb.187:
	v_lshlrev_b32_e32 v8, 3, v0
	s_mov_b64 s[2:3], 0
	v_mov_b32_e32 v3, 0
	v_mov_b32_e32 v2, v0
.LBB1233_188:                           ; =>This Inner Loop Header: Depth=1
	v_lshlrev_b64 v[10:11], 3, v[2:3]
	ds_read_b64 v[12:13], v8
	v_add_co_u32_e32 v10, vcc, v6, v10
	v_add_u32_e32 v2, 0x100, v2
	v_addc_co_u32_e32 v11, vcc, v7, v11, vcc
	v_cmp_ge_u32_e32 vcc, v2, v4
	v_add_u32_e32 v8, 0x800, v8
	s_or_b64 s[2:3], vcc, s[2:3]
	s_waitcnt lgkmcnt(0)
	global_store_dwordx2 v[10:11], v[12:13], off
	s_andn2_b64 exec, exec, s[2:3]
	s_cbranch_execnz .LBB1233_188
.LBB1233_189:
	s_or_b64 exec, exec, s[0:1]
.LBB1233_190:
	s_movk_i32 s0, 0xff
	v_cmp_eq_u32_e32 vcc, s0, v0
	s_and_b64 s[0:1], vcc, s[44:45]
	s_and_saveexec_b64 s[2:3], s[0:1]
	s_cbranch_execz .LBB1233_193
; %bb.191:
	v_add_co_u32_e32 v0, vcc, v58, v62
	v_addc_co_u32_e64 v3, s[0:1], 0, 0, vcc
	v_add_co_u32_e32 v2, vcc, v0, v30
	v_mov_b32_e32 v59, 0
	v_addc_co_u32_e32 v3, vcc, v3, v31, vcc
	s_cmpk_lg_i32 s33, 0xf00
	global_store_dwordx2 v59, v[2:3], s[56:57]
	s_cbranch_scc1 .LBB1233_193
; %bb.192:
	v_lshlrev_b64 v[2:3], 3, v[58:59]
	v_add_co_u32_e32 v0, vcc, v1, v2
	v_addc_co_u32_e32 v1, vcc, v5, v3, vcc
	global_store_dwordx2 v[0:1], v[60:61], off offset:-8
.LBB1233_193:
	s_endpgm
.LBB1233_194:
	s_or_b64 exec, exec, s[6:7]
	v_mov_b32_e32 v113, s8
	s_and_saveexec_b64 s[2:3], s[58:59]
	s_cbranch_execnz .LBB1233_58
	s_branch .LBB1233_59
.LBB1233_195:
	s_and_saveexec_b64 s[38:39], s[30:31]
	s_cbranch_execnz .LBB1233_263
; %bb.196:
	s_or_b64 exec, exec, s[38:39]
	s_and_saveexec_b64 s[38:39], s[28:29]
	s_cbranch_execnz .LBB1233_264
.LBB1233_197:
	s_or_b64 exec, exec, s[38:39]
	s_and_saveexec_b64 s[38:39], s[26:27]
	s_cbranch_execnz .LBB1233_265
.LBB1233_198:
	s_or_b64 exec, exec, s[38:39]
	s_and_saveexec_b64 s[38:39], s[24:25]
	s_cbranch_execnz .LBB1233_266
.LBB1233_199:
	s_or_b64 exec, exec, s[38:39]
	s_and_saveexec_b64 s[38:39], s[22:23]
	s_cbranch_execnz .LBB1233_267
.LBB1233_200:
	s_or_b64 exec, exec, s[38:39]
	s_and_saveexec_b64 s[38:39], s[20:21]
	s_cbranch_execnz .LBB1233_268
.LBB1233_201:
	s_or_b64 exec, exec, s[38:39]
	s_and_saveexec_b64 s[38:39], s[18:19]
	s_cbranch_execnz .LBB1233_269
.LBB1233_202:
	s_or_b64 exec, exec, s[38:39]
	s_and_saveexec_b64 s[38:39], s[16:17]
	s_cbranch_execnz .LBB1233_270
.LBB1233_203:
	s_or_b64 exec, exec, s[38:39]
	s_and_saveexec_b64 s[38:39], s[14:15]
	s_cbranch_execnz .LBB1233_271
.LBB1233_204:
	s_or_b64 exec, exec, s[38:39]
	s_and_saveexec_b64 s[38:39], s[12:13]
	s_cbranch_execnz .LBB1233_272
.LBB1233_205:
	s_or_b64 exec, exec, s[38:39]
	s_and_saveexec_b64 s[38:39], s[10:11]
	s_cbranch_execnz .LBB1233_273
.LBB1233_206:
	s_or_b64 exec, exec, s[38:39]
	s_and_saveexec_b64 s[38:39], s[8:9]
	s_cbranch_execnz .LBB1233_274
.LBB1233_207:
	s_or_b64 exec, exec, s[38:39]
	s_and_saveexec_b64 s[38:39], s[6:7]
	s_cbranch_execnz .LBB1233_275
.LBB1233_208:
	s_or_b64 exec, exec, s[38:39]
	s_and_saveexec_b64 s[38:39], s[4:5]
	s_cbranch_execz .LBB1233_210
.LBB1233_209:
	v_sub_u32_e32 v56, v39, v62
	v_mov_b32_e32 v57, 0
	v_lshlrev_b64 v[56:57], 3, v[56:57]
	v_add_co_u32_e32 v56, vcc, v52, v56
	v_addc_co_u32_e32 v57, vcc, v53, v57, vcc
	global_store_dwordx2 v[56:57], v[4:5], off
.LBB1233_210:
	s_or_b64 exec, exec, s[38:39]
	s_and_b64 s[38:39], s[2:3], exec
	s_andn2_saveexec_b64 s[34:35], s[34:35]
	s_cbranch_execz .LBB1233_160
.LBB1233_211:
	v_sub_u32_e32 v56, v59, v62
	v_mov_b32_e32 v57, 0
	v_lshlrev_b64 v[72:73], 3, v[56:57]
	v_add_co_u32_e32 v72, vcc, v52, v72
	v_addc_co_u32_e32 v73, vcc, v53, v73, vcc
	v_sub_u32_e32 v56, v51, v62
	global_store_dwordx2 v[72:73], v[26:27], off
	v_lshlrev_b64 v[72:73], 3, v[56:57]
	v_add_co_u32_e32 v72, vcc, v52, v72
	v_addc_co_u32_e32 v73, vcc, v53, v73, vcc
	v_sub_u32_e32 v56, v50, v62
	global_store_dwordx2 v[72:73], v[28:29], off
	;; [unrolled: 5-line block ×12, first 2 shown]
	v_lshlrev_b64 v[72:73], 3, v[56:57]
	v_add_co_u32_e32 v72, vcc, v52, v72
	v_sub_u32_e32 v56, v39, v62
	v_addc_co_u32_e32 v73, vcc, v53, v73, vcc
	v_lshlrev_b64 v[56:57], 3, v[56:57]
	v_add_co_u32_e32 v56, vcc, v52, v56
	v_addc_co_u32_e32 v57, vcc, v53, v57, vcc
	s_or_b64 s[38:39], s[38:39], exec
	global_store_dwordx2 v[72:73], v[2:3], off
	global_store_dwordx2 v[56:57], v[4:5], off
	s_or_b64 exec, exec, s[34:35]
	s_and_b64 exec, exec, s[38:39]
	s_cbranch_execnz .LBB1233_161
	s_branch .LBB1233_162
.LBB1233_212:
	s_and_saveexec_b64 s[38:39], s[30:31]
	s_cbranch_execnz .LBB1233_276
; %bb.213:
	s_or_b64 exec, exec, s[38:39]
	s_and_saveexec_b64 s[30:31], s[28:29]
	s_cbranch_execnz .LBB1233_277
.LBB1233_214:
	s_or_b64 exec, exec, s[30:31]
	s_and_saveexec_b64 s[28:29], s[26:27]
	s_cbranch_execnz .LBB1233_278
.LBB1233_215:
	s_or_b64 exec, exec, s[28:29]
	s_and_saveexec_b64 s[26:27], s[24:25]
	s_cbranch_execnz .LBB1233_279
.LBB1233_216:
	s_or_b64 exec, exec, s[26:27]
	s_and_saveexec_b64 s[24:25], s[22:23]
	s_cbranch_execnz .LBB1233_280
.LBB1233_217:
	s_or_b64 exec, exec, s[24:25]
	s_and_saveexec_b64 s[22:23], s[20:21]
	s_cbranch_execnz .LBB1233_281
.LBB1233_218:
	s_or_b64 exec, exec, s[22:23]
	s_and_saveexec_b64 s[20:21], s[18:19]
	s_cbranch_execnz .LBB1233_282
.LBB1233_219:
	s_or_b64 exec, exec, s[20:21]
	s_and_saveexec_b64 s[18:19], s[16:17]
	s_cbranch_execnz .LBB1233_283
.LBB1233_220:
	s_or_b64 exec, exec, s[18:19]
	s_and_saveexec_b64 s[16:17], s[14:15]
	s_cbranch_execnz .LBB1233_284
.LBB1233_221:
	s_or_b64 exec, exec, s[16:17]
	s_and_saveexec_b64 s[14:15], s[12:13]
	s_cbranch_execnz .LBB1233_285
.LBB1233_222:
	s_or_b64 exec, exec, s[14:15]
	s_and_saveexec_b64 s[12:13], s[10:11]
	s_cbranch_execnz .LBB1233_286
.LBB1233_223:
	s_or_b64 exec, exec, s[12:13]
	s_and_saveexec_b64 s[10:11], s[8:9]
	s_cbranch_execnz .LBB1233_287
.LBB1233_224:
	s_or_b64 exec, exec, s[10:11]
	s_and_saveexec_b64 s[8:9], s[6:7]
	s_cbranch_execnz .LBB1233_288
.LBB1233_225:
	s_or_b64 exec, exec, s[8:9]
	s_and_saveexec_b64 s[6:7], s[4:5]
	s_cbranch_execz .LBB1233_227
.LBB1233_226:
	v_sub_u32_e32 v2, v39, v62
	v_lshlrev_b32_e32 v2, 3, v2
	ds_write_b64 v2, v[4:5]
.LBB1233_227:
	s_or_b64 exec, exec, s[6:7]
	s_and_b64 s[38:39], s[2:3], exec
                                        ; implicit-def: $vgpr2_vgpr3
                                        ; implicit-def: $vgpr6_vgpr7
                                        ; implicit-def: $vgpr10_vgpr11
                                        ; implicit-def: $vgpr14_vgpr15
                                        ; implicit-def: $vgpr18_vgpr19
                                        ; implicit-def: $vgpr22_vgpr23
                                        ; implicit-def: $vgpr26_vgpr27
	s_andn2_saveexec_b64 s[2:3], s[36:37]
	s_cbranch_execz .LBB1233_167
.LBB1233_228:
	v_sub_u32_e32 v54, v59, v62
	v_lshlrev_b32_e32 v54, 3, v54
	ds_write_b64 v54, v[26:27]
	v_sub_u32_e32 v26, v51, v62
	v_lshlrev_b32_e32 v26, 3, v26
	ds_write_b64 v26, v[28:29]
	;; [unrolled: 3-line block ×13, first 2 shown]
	v_sub_u32_e32 v2, v39, v62
	v_lshlrev_b32_e32 v2, 3, v2
	s_or_b64 s[38:39], s[38:39], exec
	ds_write_b64 v2, v[4:5]
	s_or_b64 exec, exec, s[2:3]
	s_and_b64 exec, exec, s[38:39]
	s_cbranch_execnz .LBB1233_168
	s_branch .LBB1233_169
.LBB1233_229:
	s_and_saveexec_b64 s[36:37], s[28:29]
	s_cbranch_execnz .LBB1233_289
; %bb.230:
	s_or_b64 exec, exec, s[36:37]
	s_and_saveexec_b64 s[36:37], s[26:27]
	s_cbranch_execnz .LBB1233_290
.LBB1233_231:
	s_or_b64 exec, exec, s[36:37]
	s_and_saveexec_b64 s[36:37], s[24:25]
	s_cbranch_execnz .LBB1233_291
.LBB1233_232:
	s_or_b64 exec, exec, s[36:37]
	s_and_saveexec_b64 s[36:37], s[22:23]
	s_cbranch_execnz .LBB1233_292
.LBB1233_233:
	s_or_b64 exec, exec, s[36:37]
	s_and_saveexec_b64 s[36:37], s[20:21]
	s_cbranch_execnz .LBB1233_293
.LBB1233_234:
	s_or_b64 exec, exec, s[36:37]
	s_and_saveexec_b64 s[36:37], s[18:19]
	s_cbranch_execnz .LBB1233_294
.LBB1233_235:
	s_or_b64 exec, exec, s[36:37]
	s_and_saveexec_b64 s[36:37], s[16:17]
	s_cbranch_execnz .LBB1233_295
.LBB1233_236:
	s_or_b64 exec, exec, s[36:37]
	s_and_saveexec_b64 s[36:37], s[14:15]
	s_cbranch_execnz .LBB1233_296
.LBB1233_237:
	s_or_b64 exec, exec, s[36:37]
	s_and_saveexec_b64 s[36:37], s[12:13]
	s_cbranch_execnz .LBB1233_297
.LBB1233_238:
	s_or_b64 exec, exec, s[36:37]
	s_and_saveexec_b64 s[36:37], s[10:11]
	s_cbranch_execnz .LBB1233_298
.LBB1233_239:
	s_or_b64 exec, exec, s[36:37]
	s_and_saveexec_b64 s[36:37], s[8:9]
	s_cbranch_execnz .LBB1233_299
.LBB1233_240:
	s_or_b64 exec, exec, s[36:37]
	s_and_saveexec_b64 s[36:37], s[6:7]
	s_cbranch_execnz .LBB1233_300
.LBB1233_241:
	s_or_b64 exec, exec, s[36:37]
	s_and_saveexec_b64 s[36:37], s[4:5]
	s_cbranch_execnz .LBB1233_301
.LBB1233_242:
	s_or_b64 exec, exec, s[36:37]
	s_and_saveexec_b64 s[36:37], s[2:3]
	s_cbranch_execz .LBB1233_244
.LBB1233_243:
	v_sub_u32_e32 v10, v39, v8
	v_mov_b32_e32 v11, 0
	v_lshlrev_b64 v[10:11], 3, v[10:11]
	v_add_co_u32_e32 v10, vcc, v6, v10
	v_addc_co_u32_e32 v11, vcc, v7, v11, vcc
	global_store_dwordx2 v[10:11], v[94:95], off
.LBB1233_244:
	s_or_b64 exec, exec, s[36:37]
	s_and_b64 s[36:37], s[0:1], exec
	s_andn2_saveexec_b64 s[30:31], s[30:31]
	s_cbranch_execz .LBB1233_177
.LBB1233_245:
	v_sub_u32_e32 v10, v59, v8
	v_mov_b32_e32 v11, 0
	v_lshlrev_b64 v[12:13], 3, v[10:11]
	v_add_co_u32_e32 v12, vcc, v6, v12
	v_addc_co_u32_e32 v13, vcc, v7, v13, vcc
	v_sub_u32_e32 v10, v51, v8
	global_store_dwordx2 v[12:13], v[92:93], off
	v_lshlrev_b64 v[12:13], 3, v[10:11]
	v_add_co_u32_e32 v12, vcc, v6, v12
	v_addc_co_u32_e32 v13, vcc, v7, v13, vcc
	v_sub_u32_e32 v10, v50, v8
	global_store_dwordx2 v[12:13], v[64:65], off
	;; [unrolled: 5-line block ×12, first 2 shown]
	v_lshlrev_b64 v[12:13], 3, v[10:11]
	v_add_co_u32_e32 v12, vcc, v6, v12
	v_sub_u32_e32 v10, v39, v8
	v_addc_co_u32_e32 v13, vcc, v7, v13, vcc
	v_lshlrev_b64 v[10:11], 3, v[10:11]
	v_add_co_u32_e32 v10, vcc, v6, v10
	v_addc_co_u32_e32 v11, vcc, v7, v11, vcc
	s_or_b64 s[36:37], s[36:37], exec
	global_store_dwordx2 v[12:13], v[90:91], off
	global_store_dwordx2 v[10:11], v[94:95], off
	s_or_b64 exec, exec, s[30:31]
	s_and_b64 exec, exec, s[36:37]
	s_cbranch_execnz .LBB1233_178
	s_branch .LBB1233_179
.LBB1233_246:
	s_and_saveexec_b64 s[36:37], s[28:29]
	s_cbranch_execnz .LBB1233_302
; %bb.247:
	s_or_b64 exec, exec, s[36:37]
	s_and_saveexec_b64 s[28:29], s[26:27]
	s_cbranch_execnz .LBB1233_303
.LBB1233_248:
	s_or_b64 exec, exec, s[28:29]
	s_and_saveexec_b64 s[26:27], s[24:25]
	s_cbranch_execnz .LBB1233_304
.LBB1233_249:
	s_or_b64 exec, exec, s[26:27]
	s_and_saveexec_b64 s[24:25], s[22:23]
	s_cbranch_execnz .LBB1233_305
.LBB1233_250:
	s_or_b64 exec, exec, s[24:25]
	s_and_saveexec_b64 s[22:23], s[20:21]
	s_cbranch_execnz .LBB1233_306
.LBB1233_251:
	s_or_b64 exec, exec, s[22:23]
	s_and_saveexec_b64 s[20:21], s[18:19]
	s_cbranch_execnz .LBB1233_307
.LBB1233_252:
	s_or_b64 exec, exec, s[20:21]
	s_and_saveexec_b64 s[18:19], s[16:17]
	s_cbranch_execnz .LBB1233_308
.LBB1233_253:
	s_or_b64 exec, exec, s[18:19]
	s_and_saveexec_b64 s[16:17], s[14:15]
	s_cbranch_execnz .LBB1233_309
.LBB1233_254:
	s_or_b64 exec, exec, s[16:17]
	s_and_saveexec_b64 s[14:15], s[12:13]
	s_cbranch_execnz .LBB1233_310
.LBB1233_255:
	s_or_b64 exec, exec, s[14:15]
	s_and_saveexec_b64 s[12:13], s[10:11]
	s_cbranch_execnz .LBB1233_311
.LBB1233_256:
	s_or_b64 exec, exec, s[12:13]
	s_and_saveexec_b64 s[10:11], s[8:9]
	s_cbranch_execnz .LBB1233_312
.LBB1233_257:
	s_or_b64 exec, exec, s[10:11]
	s_and_saveexec_b64 s[8:9], s[6:7]
	s_cbranch_execnz .LBB1233_313
.LBB1233_258:
	s_or_b64 exec, exec, s[8:9]
	s_and_saveexec_b64 s[6:7], s[4:5]
	s_cbranch_execnz .LBB1233_314
.LBB1233_259:
	s_or_b64 exec, exec, s[6:7]
	s_and_saveexec_b64 s[4:5], s[2:3]
	s_cbranch_execz .LBB1233_261
.LBB1233_260:
	v_sub_u32_e32 v9, v39, v8
	v_lshlrev_b32_e32 v9, 3, v9
	ds_write_b64 v9, v[94:95]
.LBB1233_261:
	s_or_b64 exec, exec, s[4:5]
	s_and_b64 s[36:37], s[0:1], exec
                                        ; implicit-def: $vgpr92_vgpr93
                                        ; implicit-def: $vgpr64_vgpr65
                                        ; implicit-def: $vgpr66_vgpr67
                                        ; implicit-def: $vgpr68_vgpr69
                                        ; implicit-def: $vgpr70_vgpr71
                                        ; implicit-def: $vgpr76_vgpr77
                                        ; implicit-def: $vgpr78_vgpr79
                                        ; implicit-def: $vgpr80_vgpr81
                                        ; implicit-def: $vgpr82_vgpr83
                                        ; implicit-def: $vgpr84_vgpr85
                                        ; implicit-def: $vgpr86_vgpr87
                                        ; implicit-def: $vgpr88_vgpr89
                                        ; implicit-def: $vgpr90_vgpr91
                                        ; implicit-def: $vgpr94_vgpr95
                                        ; implicit-def: $vgpr59
                                        ; implicit-def: $vgpr51
                                        ; implicit-def: $vgpr50
                                        ; implicit-def: $vgpr49
                                        ; implicit-def: $vgpr48
                                        ; implicit-def: $vgpr47
                                        ; implicit-def: $vgpr46
                                        ; implicit-def: $vgpr45
                                        ; implicit-def: $vgpr44
                                        ; implicit-def: $vgpr43
                                        ; implicit-def: $vgpr42
                                        ; implicit-def: $vgpr41
                                        ; implicit-def: $vgpr40
                                        ; implicit-def: $vgpr39
	s_andn2_saveexec_b64 s[0:1], s[34:35]
	s_cbranch_execz .LBB1233_184
.LBB1233_262:
	v_sub_u32_e32 v9, v59, v8
	v_lshlrev_b32_e32 v9, 3, v9
	ds_write_b64 v9, v[92:93]
	v_sub_u32_e32 v9, v51, v8
	v_lshlrev_b32_e32 v9, 3, v9
	ds_write_b64 v9, v[64:65]
	;; [unrolled: 3-line block ×13, first 2 shown]
	v_sub_u32_e32 v9, v39, v8
	v_lshlrev_b32_e32 v9, 3, v9
	s_or_b64 s[36:37], s[36:37], exec
	ds_write_b64 v9, v[94:95]
	s_or_b64 exec, exec, s[0:1]
	s_and_b64 exec, exec, s[36:37]
	s_cbranch_execnz .LBB1233_185
	s_branch .LBB1233_186
.LBB1233_263:
	v_sub_u32_e32 v56, v59, v62
	v_mov_b32_e32 v57, 0
	v_lshlrev_b64 v[56:57], 3, v[56:57]
	v_add_co_u32_e32 v56, vcc, v52, v56
	v_addc_co_u32_e32 v57, vcc, v53, v57, vcc
	global_store_dwordx2 v[56:57], v[26:27], off
	s_or_b64 exec, exec, s[38:39]
	s_and_saveexec_b64 s[38:39], s[28:29]
	s_cbranch_execz .LBB1233_197
.LBB1233_264:
	v_sub_u32_e32 v56, v51, v62
	v_mov_b32_e32 v57, 0
	v_lshlrev_b64 v[56:57], 3, v[56:57]
	v_add_co_u32_e32 v56, vcc, v52, v56
	v_addc_co_u32_e32 v57, vcc, v53, v57, vcc
	global_store_dwordx2 v[56:57], v[28:29], off
	s_or_b64 exec, exec, s[38:39]
	s_and_saveexec_b64 s[38:39], s[26:27]
	s_cbranch_execz .LBB1233_198
.LBB1233_265:
	v_sub_u32_e32 v56, v50, v62
	v_mov_b32_e32 v57, 0
	v_lshlrev_b64 v[56:57], 3, v[56:57]
	v_add_co_u32_e32 v56, vcc, v52, v56
	v_addc_co_u32_e32 v57, vcc, v53, v57, vcc
	global_store_dwordx2 v[56:57], v[22:23], off
	s_or_b64 exec, exec, s[38:39]
	s_and_saveexec_b64 s[38:39], s[24:25]
	s_cbranch_execz .LBB1233_199
.LBB1233_266:
	v_sub_u32_e32 v56, v49, v62
	v_mov_b32_e32 v57, 0
	v_lshlrev_b64 v[56:57], 3, v[56:57]
	v_add_co_u32_e32 v56, vcc, v52, v56
	v_addc_co_u32_e32 v57, vcc, v53, v57, vcc
	global_store_dwordx2 v[56:57], v[24:25], off
	s_or_b64 exec, exec, s[38:39]
	s_and_saveexec_b64 s[38:39], s[22:23]
	s_cbranch_execz .LBB1233_200
.LBB1233_267:
	v_sub_u32_e32 v56, v48, v62
	v_mov_b32_e32 v57, 0
	v_lshlrev_b64 v[56:57], 3, v[56:57]
	v_add_co_u32_e32 v56, vcc, v52, v56
	v_addc_co_u32_e32 v57, vcc, v53, v57, vcc
	global_store_dwordx2 v[56:57], v[18:19], off
	s_or_b64 exec, exec, s[38:39]
	s_and_saveexec_b64 s[38:39], s[20:21]
	s_cbranch_execz .LBB1233_201
.LBB1233_268:
	v_sub_u32_e32 v56, v47, v62
	v_mov_b32_e32 v57, 0
	v_lshlrev_b64 v[56:57], 3, v[56:57]
	v_add_co_u32_e32 v56, vcc, v52, v56
	v_addc_co_u32_e32 v57, vcc, v53, v57, vcc
	global_store_dwordx2 v[56:57], v[20:21], off
	s_or_b64 exec, exec, s[38:39]
	s_and_saveexec_b64 s[38:39], s[18:19]
	s_cbranch_execz .LBB1233_202
.LBB1233_269:
	v_sub_u32_e32 v56, v46, v62
	v_mov_b32_e32 v57, 0
	v_lshlrev_b64 v[56:57], 3, v[56:57]
	v_add_co_u32_e32 v56, vcc, v52, v56
	v_addc_co_u32_e32 v57, vcc, v53, v57, vcc
	global_store_dwordx2 v[56:57], v[14:15], off
	s_or_b64 exec, exec, s[38:39]
	s_and_saveexec_b64 s[38:39], s[16:17]
	s_cbranch_execz .LBB1233_203
.LBB1233_270:
	v_sub_u32_e32 v56, v45, v62
	v_mov_b32_e32 v57, 0
	v_lshlrev_b64 v[56:57], 3, v[56:57]
	v_add_co_u32_e32 v56, vcc, v52, v56
	v_addc_co_u32_e32 v57, vcc, v53, v57, vcc
	global_store_dwordx2 v[56:57], v[16:17], off
	s_or_b64 exec, exec, s[38:39]
	s_and_saveexec_b64 s[38:39], s[14:15]
	s_cbranch_execz .LBB1233_204
.LBB1233_271:
	v_sub_u32_e32 v56, v44, v62
	v_mov_b32_e32 v57, 0
	v_lshlrev_b64 v[56:57], 3, v[56:57]
	v_add_co_u32_e32 v56, vcc, v52, v56
	v_addc_co_u32_e32 v57, vcc, v53, v57, vcc
	global_store_dwordx2 v[56:57], v[10:11], off
	s_or_b64 exec, exec, s[38:39]
	s_and_saveexec_b64 s[38:39], s[12:13]
	s_cbranch_execz .LBB1233_205
.LBB1233_272:
	v_sub_u32_e32 v56, v43, v62
	v_mov_b32_e32 v57, 0
	v_lshlrev_b64 v[56:57], 3, v[56:57]
	v_add_co_u32_e32 v56, vcc, v52, v56
	v_addc_co_u32_e32 v57, vcc, v53, v57, vcc
	global_store_dwordx2 v[56:57], v[12:13], off
	s_or_b64 exec, exec, s[38:39]
	s_and_saveexec_b64 s[38:39], s[10:11]
	s_cbranch_execz .LBB1233_206
.LBB1233_273:
	v_sub_u32_e32 v56, v42, v62
	v_mov_b32_e32 v57, 0
	v_lshlrev_b64 v[56:57], 3, v[56:57]
	v_add_co_u32_e32 v56, vcc, v52, v56
	v_addc_co_u32_e32 v57, vcc, v53, v57, vcc
	global_store_dwordx2 v[56:57], v[6:7], off
	s_or_b64 exec, exec, s[38:39]
	s_and_saveexec_b64 s[38:39], s[8:9]
	s_cbranch_execz .LBB1233_207
.LBB1233_274:
	v_sub_u32_e32 v56, v41, v62
	v_mov_b32_e32 v57, 0
	v_lshlrev_b64 v[56:57], 3, v[56:57]
	v_add_co_u32_e32 v56, vcc, v52, v56
	v_addc_co_u32_e32 v57, vcc, v53, v57, vcc
	global_store_dwordx2 v[56:57], v[8:9], off
	s_or_b64 exec, exec, s[38:39]
	s_and_saveexec_b64 s[38:39], s[6:7]
	s_cbranch_execz .LBB1233_208
.LBB1233_275:
	v_sub_u32_e32 v56, v40, v62
	v_mov_b32_e32 v57, 0
	v_lshlrev_b64 v[56:57], 3, v[56:57]
	v_add_co_u32_e32 v56, vcc, v52, v56
	v_addc_co_u32_e32 v57, vcc, v53, v57, vcc
	global_store_dwordx2 v[56:57], v[2:3], off
	s_or_b64 exec, exec, s[38:39]
	s_and_saveexec_b64 s[38:39], s[4:5]
	s_cbranch_execnz .LBB1233_209
	s_branch .LBB1233_210
.LBB1233_276:
	v_sub_u32_e32 v54, v59, v62
	v_lshlrev_b32_e32 v54, 3, v54
	ds_write_b64 v54, v[26:27]
	s_or_b64 exec, exec, s[38:39]
	s_and_saveexec_b64 s[30:31], s[28:29]
	s_cbranch_execz .LBB1233_214
.LBB1233_277:
	v_sub_u32_e32 v26, v51, v62
	v_lshlrev_b32_e32 v26, 3, v26
	ds_write_b64 v26, v[28:29]
	s_or_b64 exec, exec, s[30:31]
	s_and_saveexec_b64 s[28:29], s[26:27]
	s_cbranch_execz .LBB1233_215
.LBB1233_278:
	v_sub_u32_e32 v26, v50, v62
	v_lshlrev_b32_e32 v26, 3, v26
	ds_write_b64 v26, v[22:23]
	s_or_b64 exec, exec, s[28:29]
	s_and_saveexec_b64 s[26:27], s[24:25]
	s_cbranch_execz .LBB1233_216
.LBB1233_279:
	v_sub_u32_e32 v22, v49, v62
	v_lshlrev_b32_e32 v22, 3, v22
	ds_write_b64 v22, v[24:25]
	s_or_b64 exec, exec, s[26:27]
	s_and_saveexec_b64 s[24:25], s[22:23]
	s_cbranch_execz .LBB1233_217
.LBB1233_280:
	v_sub_u32_e32 v22, v48, v62
	v_lshlrev_b32_e32 v22, 3, v22
	ds_write_b64 v22, v[18:19]
	s_or_b64 exec, exec, s[24:25]
	s_and_saveexec_b64 s[22:23], s[20:21]
	s_cbranch_execz .LBB1233_218
.LBB1233_281:
	v_sub_u32_e32 v18, v47, v62
	v_lshlrev_b32_e32 v18, 3, v18
	ds_write_b64 v18, v[20:21]
	s_or_b64 exec, exec, s[22:23]
	s_and_saveexec_b64 s[20:21], s[18:19]
	s_cbranch_execz .LBB1233_219
.LBB1233_282:
	v_sub_u32_e32 v18, v46, v62
	v_lshlrev_b32_e32 v18, 3, v18
	ds_write_b64 v18, v[14:15]
	s_or_b64 exec, exec, s[20:21]
	s_and_saveexec_b64 s[18:19], s[16:17]
	s_cbranch_execz .LBB1233_220
.LBB1233_283:
	v_sub_u32_e32 v14, v45, v62
	v_lshlrev_b32_e32 v14, 3, v14
	ds_write_b64 v14, v[16:17]
	s_or_b64 exec, exec, s[18:19]
	s_and_saveexec_b64 s[16:17], s[14:15]
	s_cbranch_execz .LBB1233_221
.LBB1233_284:
	v_sub_u32_e32 v14, v44, v62
	v_lshlrev_b32_e32 v14, 3, v14
	ds_write_b64 v14, v[10:11]
	s_or_b64 exec, exec, s[16:17]
	s_and_saveexec_b64 s[14:15], s[12:13]
	s_cbranch_execz .LBB1233_222
.LBB1233_285:
	v_sub_u32_e32 v10, v43, v62
	v_lshlrev_b32_e32 v10, 3, v10
	ds_write_b64 v10, v[12:13]
	s_or_b64 exec, exec, s[14:15]
	s_and_saveexec_b64 s[12:13], s[10:11]
	s_cbranch_execz .LBB1233_223
.LBB1233_286:
	v_sub_u32_e32 v10, v42, v62
	v_lshlrev_b32_e32 v10, 3, v10
	ds_write_b64 v10, v[6:7]
	s_or_b64 exec, exec, s[12:13]
	s_and_saveexec_b64 s[10:11], s[8:9]
	s_cbranch_execz .LBB1233_224
.LBB1233_287:
	v_sub_u32_e32 v6, v41, v62
	v_lshlrev_b32_e32 v6, 3, v6
	ds_write_b64 v6, v[8:9]
	s_or_b64 exec, exec, s[10:11]
	s_and_saveexec_b64 s[8:9], s[6:7]
	s_cbranch_execz .LBB1233_225
.LBB1233_288:
	v_sub_u32_e32 v6, v40, v62
	v_lshlrev_b32_e32 v6, 3, v6
	ds_write_b64 v6, v[2:3]
	s_or_b64 exec, exec, s[8:9]
	s_and_saveexec_b64 s[6:7], s[4:5]
	s_cbranch_execnz .LBB1233_226
	s_branch .LBB1233_227
.LBB1233_289:
	v_sub_u32_e32 v10, v59, v8
	v_mov_b32_e32 v11, 0
	v_lshlrev_b64 v[10:11], 3, v[10:11]
	v_add_co_u32_e32 v10, vcc, v6, v10
	v_addc_co_u32_e32 v11, vcc, v7, v11, vcc
	global_store_dwordx2 v[10:11], v[92:93], off
	s_or_b64 exec, exec, s[36:37]
	s_and_saveexec_b64 s[36:37], s[26:27]
	s_cbranch_execz .LBB1233_231
.LBB1233_290:
	v_sub_u32_e32 v10, v51, v8
	v_mov_b32_e32 v11, 0
	v_lshlrev_b64 v[10:11], 3, v[10:11]
	v_add_co_u32_e32 v10, vcc, v6, v10
	v_addc_co_u32_e32 v11, vcc, v7, v11, vcc
	global_store_dwordx2 v[10:11], v[64:65], off
	s_or_b64 exec, exec, s[36:37]
	s_and_saveexec_b64 s[36:37], s[24:25]
	s_cbranch_execz .LBB1233_232
.LBB1233_291:
	v_sub_u32_e32 v10, v50, v8
	v_mov_b32_e32 v11, 0
	v_lshlrev_b64 v[10:11], 3, v[10:11]
	v_add_co_u32_e32 v10, vcc, v6, v10
	v_addc_co_u32_e32 v11, vcc, v7, v11, vcc
	global_store_dwordx2 v[10:11], v[66:67], off
	s_or_b64 exec, exec, s[36:37]
	s_and_saveexec_b64 s[36:37], s[22:23]
	s_cbranch_execz .LBB1233_233
.LBB1233_292:
	v_sub_u32_e32 v10, v49, v8
	v_mov_b32_e32 v11, 0
	v_lshlrev_b64 v[10:11], 3, v[10:11]
	v_add_co_u32_e32 v10, vcc, v6, v10
	v_addc_co_u32_e32 v11, vcc, v7, v11, vcc
	global_store_dwordx2 v[10:11], v[68:69], off
	s_or_b64 exec, exec, s[36:37]
	s_and_saveexec_b64 s[36:37], s[20:21]
	s_cbranch_execz .LBB1233_234
.LBB1233_293:
	v_sub_u32_e32 v10, v48, v8
	v_mov_b32_e32 v11, 0
	v_lshlrev_b64 v[10:11], 3, v[10:11]
	v_add_co_u32_e32 v10, vcc, v6, v10
	v_addc_co_u32_e32 v11, vcc, v7, v11, vcc
	global_store_dwordx2 v[10:11], v[70:71], off
	s_or_b64 exec, exec, s[36:37]
	s_and_saveexec_b64 s[36:37], s[18:19]
	s_cbranch_execz .LBB1233_235
.LBB1233_294:
	v_sub_u32_e32 v10, v47, v8
	v_mov_b32_e32 v11, 0
	v_lshlrev_b64 v[10:11], 3, v[10:11]
	v_add_co_u32_e32 v10, vcc, v6, v10
	v_addc_co_u32_e32 v11, vcc, v7, v11, vcc
	global_store_dwordx2 v[10:11], v[76:77], off
	s_or_b64 exec, exec, s[36:37]
	s_and_saveexec_b64 s[36:37], s[16:17]
	s_cbranch_execz .LBB1233_236
.LBB1233_295:
	v_sub_u32_e32 v10, v46, v8
	v_mov_b32_e32 v11, 0
	v_lshlrev_b64 v[10:11], 3, v[10:11]
	v_add_co_u32_e32 v10, vcc, v6, v10
	v_addc_co_u32_e32 v11, vcc, v7, v11, vcc
	global_store_dwordx2 v[10:11], v[78:79], off
	s_or_b64 exec, exec, s[36:37]
	s_and_saveexec_b64 s[36:37], s[14:15]
	s_cbranch_execz .LBB1233_237
.LBB1233_296:
	v_sub_u32_e32 v10, v45, v8
	v_mov_b32_e32 v11, 0
	v_lshlrev_b64 v[10:11], 3, v[10:11]
	v_add_co_u32_e32 v10, vcc, v6, v10
	v_addc_co_u32_e32 v11, vcc, v7, v11, vcc
	global_store_dwordx2 v[10:11], v[80:81], off
	s_or_b64 exec, exec, s[36:37]
	s_and_saveexec_b64 s[36:37], s[12:13]
	s_cbranch_execz .LBB1233_238
.LBB1233_297:
	v_sub_u32_e32 v10, v44, v8
	v_mov_b32_e32 v11, 0
	v_lshlrev_b64 v[10:11], 3, v[10:11]
	v_add_co_u32_e32 v10, vcc, v6, v10
	v_addc_co_u32_e32 v11, vcc, v7, v11, vcc
	global_store_dwordx2 v[10:11], v[82:83], off
	s_or_b64 exec, exec, s[36:37]
	s_and_saveexec_b64 s[36:37], s[10:11]
	s_cbranch_execz .LBB1233_239
.LBB1233_298:
	v_sub_u32_e32 v10, v43, v8
	v_mov_b32_e32 v11, 0
	v_lshlrev_b64 v[10:11], 3, v[10:11]
	v_add_co_u32_e32 v10, vcc, v6, v10
	v_addc_co_u32_e32 v11, vcc, v7, v11, vcc
	global_store_dwordx2 v[10:11], v[84:85], off
	s_or_b64 exec, exec, s[36:37]
	s_and_saveexec_b64 s[36:37], s[8:9]
	s_cbranch_execz .LBB1233_240
.LBB1233_299:
	v_sub_u32_e32 v10, v42, v8
	v_mov_b32_e32 v11, 0
	v_lshlrev_b64 v[10:11], 3, v[10:11]
	v_add_co_u32_e32 v10, vcc, v6, v10
	v_addc_co_u32_e32 v11, vcc, v7, v11, vcc
	global_store_dwordx2 v[10:11], v[86:87], off
	s_or_b64 exec, exec, s[36:37]
	s_and_saveexec_b64 s[36:37], s[6:7]
	s_cbranch_execz .LBB1233_241
.LBB1233_300:
	v_sub_u32_e32 v10, v41, v8
	v_mov_b32_e32 v11, 0
	v_lshlrev_b64 v[10:11], 3, v[10:11]
	v_add_co_u32_e32 v10, vcc, v6, v10
	v_addc_co_u32_e32 v11, vcc, v7, v11, vcc
	global_store_dwordx2 v[10:11], v[88:89], off
	s_or_b64 exec, exec, s[36:37]
	s_and_saveexec_b64 s[36:37], s[4:5]
	s_cbranch_execz .LBB1233_242
.LBB1233_301:
	v_sub_u32_e32 v10, v40, v8
	v_mov_b32_e32 v11, 0
	v_lshlrev_b64 v[10:11], 3, v[10:11]
	v_add_co_u32_e32 v10, vcc, v6, v10
	v_addc_co_u32_e32 v11, vcc, v7, v11, vcc
	global_store_dwordx2 v[10:11], v[90:91], off
	s_or_b64 exec, exec, s[36:37]
	s_and_saveexec_b64 s[36:37], s[2:3]
	s_cbranch_execnz .LBB1233_243
	s_branch .LBB1233_244
.LBB1233_302:
	v_sub_u32_e32 v9, v59, v8
	v_lshlrev_b32_e32 v9, 3, v9
	ds_write_b64 v9, v[92:93]
	s_or_b64 exec, exec, s[36:37]
	s_and_saveexec_b64 s[28:29], s[26:27]
	s_cbranch_execz .LBB1233_248
.LBB1233_303:
	v_sub_u32_e32 v9, v51, v8
	v_lshlrev_b32_e32 v9, 3, v9
	ds_write_b64 v9, v[64:65]
	s_or_b64 exec, exec, s[28:29]
	s_and_saveexec_b64 s[26:27], s[24:25]
	s_cbranch_execz .LBB1233_249
.LBB1233_304:
	v_sub_u32_e32 v9, v50, v8
	v_lshlrev_b32_e32 v9, 3, v9
	ds_write_b64 v9, v[66:67]
	s_or_b64 exec, exec, s[26:27]
	s_and_saveexec_b64 s[24:25], s[22:23]
	s_cbranch_execz .LBB1233_250
.LBB1233_305:
	v_sub_u32_e32 v9, v49, v8
	v_lshlrev_b32_e32 v9, 3, v9
	ds_write_b64 v9, v[68:69]
	s_or_b64 exec, exec, s[24:25]
	s_and_saveexec_b64 s[22:23], s[20:21]
	s_cbranch_execz .LBB1233_251
.LBB1233_306:
	v_sub_u32_e32 v9, v48, v8
	v_lshlrev_b32_e32 v9, 3, v9
	ds_write_b64 v9, v[70:71]
	s_or_b64 exec, exec, s[22:23]
	s_and_saveexec_b64 s[20:21], s[18:19]
	s_cbranch_execz .LBB1233_252
.LBB1233_307:
	v_sub_u32_e32 v9, v47, v8
	v_lshlrev_b32_e32 v9, 3, v9
	ds_write_b64 v9, v[76:77]
	s_or_b64 exec, exec, s[20:21]
	s_and_saveexec_b64 s[18:19], s[16:17]
	s_cbranch_execz .LBB1233_253
.LBB1233_308:
	v_sub_u32_e32 v9, v46, v8
	v_lshlrev_b32_e32 v9, 3, v9
	ds_write_b64 v9, v[78:79]
	s_or_b64 exec, exec, s[18:19]
	s_and_saveexec_b64 s[16:17], s[14:15]
	s_cbranch_execz .LBB1233_254
.LBB1233_309:
	v_sub_u32_e32 v9, v45, v8
	v_lshlrev_b32_e32 v9, 3, v9
	ds_write_b64 v9, v[80:81]
	s_or_b64 exec, exec, s[16:17]
	s_and_saveexec_b64 s[14:15], s[12:13]
	s_cbranch_execz .LBB1233_255
.LBB1233_310:
	v_sub_u32_e32 v9, v44, v8
	v_lshlrev_b32_e32 v9, 3, v9
	ds_write_b64 v9, v[82:83]
	s_or_b64 exec, exec, s[14:15]
	s_and_saveexec_b64 s[12:13], s[10:11]
	s_cbranch_execz .LBB1233_256
.LBB1233_311:
	v_sub_u32_e32 v9, v43, v8
	v_lshlrev_b32_e32 v9, 3, v9
	ds_write_b64 v9, v[84:85]
	s_or_b64 exec, exec, s[12:13]
	s_and_saveexec_b64 s[10:11], s[8:9]
	s_cbranch_execz .LBB1233_257
.LBB1233_312:
	v_sub_u32_e32 v9, v42, v8
	v_lshlrev_b32_e32 v9, 3, v9
	ds_write_b64 v9, v[86:87]
	s_or_b64 exec, exec, s[10:11]
	s_and_saveexec_b64 s[8:9], s[6:7]
	s_cbranch_execz .LBB1233_258
.LBB1233_313:
	v_sub_u32_e32 v9, v41, v8
	v_lshlrev_b32_e32 v9, 3, v9
	ds_write_b64 v9, v[88:89]
	s_or_b64 exec, exec, s[8:9]
	s_and_saveexec_b64 s[6:7], s[4:5]
	s_cbranch_execz .LBB1233_259
.LBB1233_314:
	v_sub_u32_e32 v9, v40, v8
	v_lshlrev_b32_e32 v9, 3, v9
	ds_write_b64 v9, v[90:91]
	s_or_b64 exec, exec, s[6:7]
	s_and_saveexec_b64 s[4:5], s[2:3]
	s_cbranch_execnz .LBB1233_260
	s_branch .LBB1233_261
	.section	.rodata,"a",@progbits
	.p2align	6, 0x0
	.amdhsa_kernel _ZN7rocprim17ROCPRIM_400000_NS6detail17trampoline_kernelINS0_14default_configENS1_29reduce_by_key_config_selectorIllN6thrust23THRUST_200600_302600_NS4plusIlEEEEZZNS1_33reduce_by_key_impl_wrapped_configILNS1_25lookback_scan_determinismE0ES3_S9_PlNS6_17constant_iteratorIiNS6_11use_defaultESE_EENS6_10device_ptrIlEESH_PmS8_NS6_8equal_toIlEEEE10hipError_tPvRmT2_T3_mT4_T5_T6_T7_T8_P12ihipStream_tbENKUlT_T0_E_clISt17integral_constantIbLb0EES11_IbLb1EEEEDaSX_SY_EUlSX_E_NS1_11comp_targetILNS1_3genE4ELNS1_11target_archE910ELNS1_3gpuE8ELNS1_3repE0EEENS1_30default_config_static_selectorELNS0_4arch9wavefront6targetE1EEEvT1_
		.amdhsa_group_segment_fixed_size 30720
		.amdhsa_private_segment_fixed_size 0
		.amdhsa_kernarg_size 144
		.amdhsa_user_sgpr_count 6
		.amdhsa_user_sgpr_private_segment_buffer 1
		.amdhsa_user_sgpr_dispatch_ptr 0
		.amdhsa_user_sgpr_queue_ptr 0
		.amdhsa_user_sgpr_kernarg_segment_ptr 1
		.amdhsa_user_sgpr_dispatch_id 0
		.amdhsa_user_sgpr_flat_scratch_init 0
		.amdhsa_user_sgpr_kernarg_preload_length 0
		.amdhsa_user_sgpr_kernarg_preload_offset 0
		.amdhsa_user_sgpr_private_segment_size 0
		.amdhsa_uses_dynamic_stack 0
		.amdhsa_system_sgpr_private_segment_wavefront_offset 0
		.amdhsa_system_sgpr_workgroup_id_x 1
		.amdhsa_system_sgpr_workgroup_id_y 0
		.amdhsa_system_sgpr_workgroup_id_z 0
		.amdhsa_system_sgpr_workgroup_info 0
		.amdhsa_system_vgpr_workitem_id 0
		.amdhsa_next_free_vgpr 118
		.amdhsa_next_free_sgpr 63
		.amdhsa_accum_offset 120
		.amdhsa_reserve_vcc 1
		.amdhsa_reserve_flat_scratch 0
		.amdhsa_float_round_mode_32 0
		.amdhsa_float_round_mode_16_64 0
		.amdhsa_float_denorm_mode_32 3
		.amdhsa_float_denorm_mode_16_64 3
		.amdhsa_dx10_clamp 1
		.amdhsa_ieee_mode 1
		.amdhsa_fp16_overflow 0
		.amdhsa_tg_split 0
		.amdhsa_exception_fp_ieee_invalid_op 0
		.amdhsa_exception_fp_denorm_src 0
		.amdhsa_exception_fp_ieee_div_zero 0
		.amdhsa_exception_fp_ieee_overflow 0
		.amdhsa_exception_fp_ieee_underflow 0
		.amdhsa_exception_fp_ieee_inexact 0
		.amdhsa_exception_int_div_zero 0
	.end_amdhsa_kernel
	.section	.text._ZN7rocprim17ROCPRIM_400000_NS6detail17trampoline_kernelINS0_14default_configENS1_29reduce_by_key_config_selectorIllN6thrust23THRUST_200600_302600_NS4plusIlEEEEZZNS1_33reduce_by_key_impl_wrapped_configILNS1_25lookback_scan_determinismE0ES3_S9_PlNS6_17constant_iteratorIiNS6_11use_defaultESE_EENS6_10device_ptrIlEESH_PmS8_NS6_8equal_toIlEEEE10hipError_tPvRmT2_T3_mT4_T5_T6_T7_T8_P12ihipStream_tbENKUlT_T0_E_clISt17integral_constantIbLb0EES11_IbLb1EEEEDaSX_SY_EUlSX_E_NS1_11comp_targetILNS1_3genE4ELNS1_11target_archE910ELNS1_3gpuE8ELNS1_3repE0EEENS1_30default_config_static_selectorELNS0_4arch9wavefront6targetE1EEEvT1_,"axG",@progbits,_ZN7rocprim17ROCPRIM_400000_NS6detail17trampoline_kernelINS0_14default_configENS1_29reduce_by_key_config_selectorIllN6thrust23THRUST_200600_302600_NS4plusIlEEEEZZNS1_33reduce_by_key_impl_wrapped_configILNS1_25lookback_scan_determinismE0ES3_S9_PlNS6_17constant_iteratorIiNS6_11use_defaultESE_EENS6_10device_ptrIlEESH_PmS8_NS6_8equal_toIlEEEE10hipError_tPvRmT2_T3_mT4_T5_T6_T7_T8_P12ihipStream_tbENKUlT_T0_E_clISt17integral_constantIbLb0EES11_IbLb1EEEEDaSX_SY_EUlSX_E_NS1_11comp_targetILNS1_3genE4ELNS1_11target_archE910ELNS1_3gpuE8ELNS1_3repE0EEENS1_30default_config_static_selectorELNS0_4arch9wavefront6targetE1EEEvT1_,comdat
.Lfunc_end1233:
	.size	_ZN7rocprim17ROCPRIM_400000_NS6detail17trampoline_kernelINS0_14default_configENS1_29reduce_by_key_config_selectorIllN6thrust23THRUST_200600_302600_NS4plusIlEEEEZZNS1_33reduce_by_key_impl_wrapped_configILNS1_25lookback_scan_determinismE0ES3_S9_PlNS6_17constant_iteratorIiNS6_11use_defaultESE_EENS6_10device_ptrIlEESH_PmS8_NS6_8equal_toIlEEEE10hipError_tPvRmT2_T3_mT4_T5_T6_T7_T8_P12ihipStream_tbENKUlT_T0_E_clISt17integral_constantIbLb0EES11_IbLb1EEEEDaSX_SY_EUlSX_E_NS1_11comp_targetILNS1_3genE4ELNS1_11target_archE910ELNS1_3gpuE8ELNS1_3repE0EEENS1_30default_config_static_selectorELNS0_4arch9wavefront6targetE1EEEvT1_, .Lfunc_end1233-_ZN7rocprim17ROCPRIM_400000_NS6detail17trampoline_kernelINS0_14default_configENS1_29reduce_by_key_config_selectorIllN6thrust23THRUST_200600_302600_NS4plusIlEEEEZZNS1_33reduce_by_key_impl_wrapped_configILNS1_25lookback_scan_determinismE0ES3_S9_PlNS6_17constant_iteratorIiNS6_11use_defaultESE_EENS6_10device_ptrIlEESH_PmS8_NS6_8equal_toIlEEEE10hipError_tPvRmT2_T3_mT4_T5_T6_T7_T8_P12ihipStream_tbENKUlT_T0_E_clISt17integral_constantIbLb0EES11_IbLb1EEEEDaSX_SY_EUlSX_E_NS1_11comp_targetILNS1_3genE4ELNS1_11target_archE910ELNS1_3gpuE8ELNS1_3repE0EEENS1_30default_config_static_selectorELNS0_4arch9wavefront6targetE1EEEvT1_
                                        ; -- End function
	.section	.AMDGPU.csdata,"",@progbits
; Kernel info:
; codeLenInByte = 15924
; NumSgprs: 67
; NumVgprs: 118
; NumAgprs: 0
; TotalNumVgprs: 118
; ScratchSize: 0
; MemoryBound: 0
; FloatMode: 240
; IeeeMode: 1
; LDSByteSize: 30720 bytes/workgroup (compile time only)
; SGPRBlocks: 8
; VGPRBlocks: 14
; NumSGPRsForWavesPerEU: 67
; NumVGPRsForWavesPerEU: 118
; AccumOffset: 120
; Occupancy: 2
; WaveLimiterHint : 1
; COMPUTE_PGM_RSRC2:SCRATCH_EN: 0
; COMPUTE_PGM_RSRC2:USER_SGPR: 6
; COMPUTE_PGM_RSRC2:TRAP_HANDLER: 0
; COMPUTE_PGM_RSRC2:TGID_X_EN: 1
; COMPUTE_PGM_RSRC2:TGID_Y_EN: 0
; COMPUTE_PGM_RSRC2:TGID_Z_EN: 0
; COMPUTE_PGM_RSRC2:TIDIG_COMP_CNT: 0
; COMPUTE_PGM_RSRC3_GFX90A:ACCUM_OFFSET: 29
; COMPUTE_PGM_RSRC3_GFX90A:TG_SPLIT: 0
	.section	.text._ZN7rocprim17ROCPRIM_400000_NS6detail17trampoline_kernelINS0_14default_configENS1_29reduce_by_key_config_selectorIllN6thrust23THRUST_200600_302600_NS4plusIlEEEEZZNS1_33reduce_by_key_impl_wrapped_configILNS1_25lookback_scan_determinismE0ES3_S9_PlNS6_17constant_iteratorIiNS6_11use_defaultESE_EENS6_10device_ptrIlEESH_PmS8_NS6_8equal_toIlEEEE10hipError_tPvRmT2_T3_mT4_T5_T6_T7_T8_P12ihipStream_tbENKUlT_T0_E_clISt17integral_constantIbLb0EES11_IbLb1EEEEDaSX_SY_EUlSX_E_NS1_11comp_targetILNS1_3genE3ELNS1_11target_archE908ELNS1_3gpuE7ELNS1_3repE0EEENS1_30default_config_static_selectorELNS0_4arch9wavefront6targetE1EEEvT1_,"axG",@progbits,_ZN7rocprim17ROCPRIM_400000_NS6detail17trampoline_kernelINS0_14default_configENS1_29reduce_by_key_config_selectorIllN6thrust23THRUST_200600_302600_NS4plusIlEEEEZZNS1_33reduce_by_key_impl_wrapped_configILNS1_25lookback_scan_determinismE0ES3_S9_PlNS6_17constant_iteratorIiNS6_11use_defaultESE_EENS6_10device_ptrIlEESH_PmS8_NS6_8equal_toIlEEEE10hipError_tPvRmT2_T3_mT4_T5_T6_T7_T8_P12ihipStream_tbENKUlT_T0_E_clISt17integral_constantIbLb0EES11_IbLb1EEEEDaSX_SY_EUlSX_E_NS1_11comp_targetILNS1_3genE3ELNS1_11target_archE908ELNS1_3gpuE7ELNS1_3repE0EEENS1_30default_config_static_selectorELNS0_4arch9wavefront6targetE1EEEvT1_,comdat
	.protected	_ZN7rocprim17ROCPRIM_400000_NS6detail17trampoline_kernelINS0_14default_configENS1_29reduce_by_key_config_selectorIllN6thrust23THRUST_200600_302600_NS4plusIlEEEEZZNS1_33reduce_by_key_impl_wrapped_configILNS1_25lookback_scan_determinismE0ES3_S9_PlNS6_17constant_iteratorIiNS6_11use_defaultESE_EENS6_10device_ptrIlEESH_PmS8_NS6_8equal_toIlEEEE10hipError_tPvRmT2_T3_mT4_T5_T6_T7_T8_P12ihipStream_tbENKUlT_T0_E_clISt17integral_constantIbLb0EES11_IbLb1EEEEDaSX_SY_EUlSX_E_NS1_11comp_targetILNS1_3genE3ELNS1_11target_archE908ELNS1_3gpuE7ELNS1_3repE0EEENS1_30default_config_static_selectorELNS0_4arch9wavefront6targetE1EEEvT1_ ; -- Begin function _ZN7rocprim17ROCPRIM_400000_NS6detail17trampoline_kernelINS0_14default_configENS1_29reduce_by_key_config_selectorIllN6thrust23THRUST_200600_302600_NS4plusIlEEEEZZNS1_33reduce_by_key_impl_wrapped_configILNS1_25lookback_scan_determinismE0ES3_S9_PlNS6_17constant_iteratorIiNS6_11use_defaultESE_EENS6_10device_ptrIlEESH_PmS8_NS6_8equal_toIlEEEE10hipError_tPvRmT2_T3_mT4_T5_T6_T7_T8_P12ihipStream_tbENKUlT_T0_E_clISt17integral_constantIbLb0EES11_IbLb1EEEEDaSX_SY_EUlSX_E_NS1_11comp_targetILNS1_3genE3ELNS1_11target_archE908ELNS1_3gpuE7ELNS1_3repE0EEENS1_30default_config_static_selectorELNS0_4arch9wavefront6targetE1EEEvT1_
	.globl	_ZN7rocprim17ROCPRIM_400000_NS6detail17trampoline_kernelINS0_14default_configENS1_29reduce_by_key_config_selectorIllN6thrust23THRUST_200600_302600_NS4plusIlEEEEZZNS1_33reduce_by_key_impl_wrapped_configILNS1_25lookback_scan_determinismE0ES3_S9_PlNS6_17constant_iteratorIiNS6_11use_defaultESE_EENS6_10device_ptrIlEESH_PmS8_NS6_8equal_toIlEEEE10hipError_tPvRmT2_T3_mT4_T5_T6_T7_T8_P12ihipStream_tbENKUlT_T0_E_clISt17integral_constantIbLb0EES11_IbLb1EEEEDaSX_SY_EUlSX_E_NS1_11comp_targetILNS1_3genE3ELNS1_11target_archE908ELNS1_3gpuE7ELNS1_3repE0EEENS1_30default_config_static_selectorELNS0_4arch9wavefront6targetE1EEEvT1_
	.p2align	8
	.type	_ZN7rocprim17ROCPRIM_400000_NS6detail17trampoline_kernelINS0_14default_configENS1_29reduce_by_key_config_selectorIllN6thrust23THRUST_200600_302600_NS4plusIlEEEEZZNS1_33reduce_by_key_impl_wrapped_configILNS1_25lookback_scan_determinismE0ES3_S9_PlNS6_17constant_iteratorIiNS6_11use_defaultESE_EENS6_10device_ptrIlEESH_PmS8_NS6_8equal_toIlEEEE10hipError_tPvRmT2_T3_mT4_T5_T6_T7_T8_P12ihipStream_tbENKUlT_T0_E_clISt17integral_constantIbLb0EES11_IbLb1EEEEDaSX_SY_EUlSX_E_NS1_11comp_targetILNS1_3genE3ELNS1_11target_archE908ELNS1_3gpuE7ELNS1_3repE0EEENS1_30default_config_static_selectorELNS0_4arch9wavefront6targetE1EEEvT1_,@function
_ZN7rocprim17ROCPRIM_400000_NS6detail17trampoline_kernelINS0_14default_configENS1_29reduce_by_key_config_selectorIllN6thrust23THRUST_200600_302600_NS4plusIlEEEEZZNS1_33reduce_by_key_impl_wrapped_configILNS1_25lookback_scan_determinismE0ES3_S9_PlNS6_17constant_iteratorIiNS6_11use_defaultESE_EENS6_10device_ptrIlEESH_PmS8_NS6_8equal_toIlEEEE10hipError_tPvRmT2_T3_mT4_T5_T6_T7_T8_P12ihipStream_tbENKUlT_T0_E_clISt17integral_constantIbLb0EES11_IbLb1EEEEDaSX_SY_EUlSX_E_NS1_11comp_targetILNS1_3genE3ELNS1_11target_archE908ELNS1_3gpuE7ELNS1_3repE0EEENS1_30default_config_static_selectorELNS0_4arch9wavefront6targetE1EEEvT1_: ; @_ZN7rocprim17ROCPRIM_400000_NS6detail17trampoline_kernelINS0_14default_configENS1_29reduce_by_key_config_selectorIllN6thrust23THRUST_200600_302600_NS4plusIlEEEEZZNS1_33reduce_by_key_impl_wrapped_configILNS1_25lookback_scan_determinismE0ES3_S9_PlNS6_17constant_iteratorIiNS6_11use_defaultESE_EENS6_10device_ptrIlEESH_PmS8_NS6_8equal_toIlEEEE10hipError_tPvRmT2_T3_mT4_T5_T6_T7_T8_P12ihipStream_tbENKUlT_T0_E_clISt17integral_constantIbLb0EES11_IbLb1EEEEDaSX_SY_EUlSX_E_NS1_11comp_targetILNS1_3genE3ELNS1_11target_archE908ELNS1_3gpuE7ELNS1_3repE0EEENS1_30default_config_static_selectorELNS0_4arch9wavefront6targetE1EEEvT1_
; %bb.0:
	.section	.rodata,"a",@progbits
	.p2align	6, 0x0
	.amdhsa_kernel _ZN7rocprim17ROCPRIM_400000_NS6detail17trampoline_kernelINS0_14default_configENS1_29reduce_by_key_config_selectorIllN6thrust23THRUST_200600_302600_NS4plusIlEEEEZZNS1_33reduce_by_key_impl_wrapped_configILNS1_25lookback_scan_determinismE0ES3_S9_PlNS6_17constant_iteratorIiNS6_11use_defaultESE_EENS6_10device_ptrIlEESH_PmS8_NS6_8equal_toIlEEEE10hipError_tPvRmT2_T3_mT4_T5_T6_T7_T8_P12ihipStream_tbENKUlT_T0_E_clISt17integral_constantIbLb0EES11_IbLb1EEEEDaSX_SY_EUlSX_E_NS1_11comp_targetILNS1_3genE3ELNS1_11target_archE908ELNS1_3gpuE7ELNS1_3repE0EEENS1_30default_config_static_selectorELNS0_4arch9wavefront6targetE1EEEvT1_
		.amdhsa_group_segment_fixed_size 0
		.amdhsa_private_segment_fixed_size 0
		.amdhsa_kernarg_size 144
		.amdhsa_user_sgpr_count 6
		.amdhsa_user_sgpr_private_segment_buffer 1
		.amdhsa_user_sgpr_dispatch_ptr 0
		.amdhsa_user_sgpr_queue_ptr 0
		.amdhsa_user_sgpr_kernarg_segment_ptr 1
		.amdhsa_user_sgpr_dispatch_id 0
		.amdhsa_user_sgpr_flat_scratch_init 0
		.amdhsa_user_sgpr_kernarg_preload_length 0
		.amdhsa_user_sgpr_kernarg_preload_offset 0
		.amdhsa_user_sgpr_private_segment_size 0
		.amdhsa_uses_dynamic_stack 0
		.amdhsa_system_sgpr_private_segment_wavefront_offset 0
		.amdhsa_system_sgpr_workgroup_id_x 1
		.amdhsa_system_sgpr_workgroup_id_y 0
		.amdhsa_system_sgpr_workgroup_id_z 0
		.amdhsa_system_sgpr_workgroup_info 0
		.amdhsa_system_vgpr_workitem_id 0
		.amdhsa_next_free_vgpr 1
		.amdhsa_next_free_sgpr 0
		.amdhsa_accum_offset 4
		.amdhsa_reserve_vcc 0
		.amdhsa_reserve_flat_scratch 0
		.amdhsa_float_round_mode_32 0
		.amdhsa_float_round_mode_16_64 0
		.amdhsa_float_denorm_mode_32 3
		.amdhsa_float_denorm_mode_16_64 3
		.amdhsa_dx10_clamp 1
		.amdhsa_ieee_mode 1
		.amdhsa_fp16_overflow 0
		.amdhsa_tg_split 0
		.amdhsa_exception_fp_ieee_invalid_op 0
		.amdhsa_exception_fp_denorm_src 0
		.amdhsa_exception_fp_ieee_div_zero 0
		.amdhsa_exception_fp_ieee_overflow 0
		.amdhsa_exception_fp_ieee_underflow 0
		.amdhsa_exception_fp_ieee_inexact 0
		.amdhsa_exception_int_div_zero 0
	.end_amdhsa_kernel
	.section	.text._ZN7rocprim17ROCPRIM_400000_NS6detail17trampoline_kernelINS0_14default_configENS1_29reduce_by_key_config_selectorIllN6thrust23THRUST_200600_302600_NS4plusIlEEEEZZNS1_33reduce_by_key_impl_wrapped_configILNS1_25lookback_scan_determinismE0ES3_S9_PlNS6_17constant_iteratorIiNS6_11use_defaultESE_EENS6_10device_ptrIlEESH_PmS8_NS6_8equal_toIlEEEE10hipError_tPvRmT2_T3_mT4_T5_T6_T7_T8_P12ihipStream_tbENKUlT_T0_E_clISt17integral_constantIbLb0EES11_IbLb1EEEEDaSX_SY_EUlSX_E_NS1_11comp_targetILNS1_3genE3ELNS1_11target_archE908ELNS1_3gpuE7ELNS1_3repE0EEENS1_30default_config_static_selectorELNS0_4arch9wavefront6targetE1EEEvT1_,"axG",@progbits,_ZN7rocprim17ROCPRIM_400000_NS6detail17trampoline_kernelINS0_14default_configENS1_29reduce_by_key_config_selectorIllN6thrust23THRUST_200600_302600_NS4plusIlEEEEZZNS1_33reduce_by_key_impl_wrapped_configILNS1_25lookback_scan_determinismE0ES3_S9_PlNS6_17constant_iteratorIiNS6_11use_defaultESE_EENS6_10device_ptrIlEESH_PmS8_NS6_8equal_toIlEEEE10hipError_tPvRmT2_T3_mT4_T5_T6_T7_T8_P12ihipStream_tbENKUlT_T0_E_clISt17integral_constantIbLb0EES11_IbLb1EEEEDaSX_SY_EUlSX_E_NS1_11comp_targetILNS1_3genE3ELNS1_11target_archE908ELNS1_3gpuE7ELNS1_3repE0EEENS1_30default_config_static_selectorELNS0_4arch9wavefront6targetE1EEEvT1_,comdat
.Lfunc_end1234:
	.size	_ZN7rocprim17ROCPRIM_400000_NS6detail17trampoline_kernelINS0_14default_configENS1_29reduce_by_key_config_selectorIllN6thrust23THRUST_200600_302600_NS4plusIlEEEEZZNS1_33reduce_by_key_impl_wrapped_configILNS1_25lookback_scan_determinismE0ES3_S9_PlNS6_17constant_iteratorIiNS6_11use_defaultESE_EENS6_10device_ptrIlEESH_PmS8_NS6_8equal_toIlEEEE10hipError_tPvRmT2_T3_mT4_T5_T6_T7_T8_P12ihipStream_tbENKUlT_T0_E_clISt17integral_constantIbLb0EES11_IbLb1EEEEDaSX_SY_EUlSX_E_NS1_11comp_targetILNS1_3genE3ELNS1_11target_archE908ELNS1_3gpuE7ELNS1_3repE0EEENS1_30default_config_static_selectorELNS0_4arch9wavefront6targetE1EEEvT1_, .Lfunc_end1234-_ZN7rocprim17ROCPRIM_400000_NS6detail17trampoline_kernelINS0_14default_configENS1_29reduce_by_key_config_selectorIllN6thrust23THRUST_200600_302600_NS4plusIlEEEEZZNS1_33reduce_by_key_impl_wrapped_configILNS1_25lookback_scan_determinismE0ES3_S9_PlNS6_17constant_iteratorIiNS6_11use_defaultESE_EENS6_10device_ptrIlEESH_PmS8_NS6_8equal_toIlEEEE10hipError_tPvRmT2_T3_mT4_T5_T6_T7_T8_P12ihipStream_tbENKUlT_T0_E_clISt17integral_constantIbLb0EES11_IbLb1EEEEDaSX_SY_EUlSX_E_NS1_11comp_targetILNS1_3genE3ELNS1_11target_archE908ELNS1_3gpuE7ELNS1_3repE0EEENS1_30default_config_static_selectorELNS0_4arch9wavefront6targetE1EEEvT1_
                                        ; -- End function
	.section	.AMDGPU.csdata,"",@progbits
; Kernel info:
; codeLenInByte = 0
; NumSgprs: 4
; NumVgprs: 0
; NumAgprs: 0
; TotalNumVgprs: 0
; ScratchSize: 0
; MemoryBound: 0
; FloatMode: 240
; IeeeMode: 1
; LDSByteSize: 0 bytes/workgroup (compile time only)
; SGPRBlocks: 0
; VGPRBlocks: 0
; NumSGPRsForWavesPerEU: 4
; NumVGPRsForWavesPerEU: 1
; AccumOffset: 4
; Occupancy: 8
; WaveLimiterHint : 0
; COMPUTE_PGM_RSRC2:SCRATCH_EN: 0
; COMPUTE_PGM_RSRC2:USER_SGPR: 6
; COMPUTE_PGM_RSRC2:TRAP_HANDLER: 0
; COMPUTE_PGM_RSRC2:TGID_X_EN: 1
; COMPUTE_PGM_RSRC2:TGID_Y_EN: 0
; COMPUTE_PGM_RSRC2:TGID_Z_EN: 0
; COMPUTE_PGM_RSRC2:TIDIG_COMP_CNT: 0
; COMPUTE_PGM_RSRC3_GFX90A:ACCUM_OFFSET: 0
; COMPUTE_PGM_RSRC3_GFX90A:TG_SPLIT: 0
	.section	.text._ZN7rocprim17ROCPRIM_400000_NS6detail17trampoline_kernelINS0_14default_configENS1_29reduce_by_key_config_selectorIllN6thrust23THRUST_200600_302600_NS4plusIlEEEEZZNS1_33reduce_by_key_impl_wrapped_configILNS1_25lookback_scan_determinismE0ES3_S9_PlNS6_17constant_iteratorIiNS6_11use_defaultESE_EENS6_10device_ptrIlEESH_PmS8_NS6_8equal_toIlEEEE10hipError_tPvRmT2_T3_mT4_T5_T6_T7_T8_P12ihipStream_tbENKUlT_T0_E_clISt17integral_constantIbLb0EES11_IbLb1EEEEDaSX_SY_EUlSX_E_NS1_11comp_targetILNS1_3genE2ELNS1_11target_archE906ELNS1_3gpuE6ELNS1_3repE0EEENS1_30default_config_static_selectorELNS0_4arch9wavefront6targetE1EEEvT1_,"axG",@progbits,_ZN7rocprim17ROCPRIM_400000_NS6detail17trampoline_kernelINS0_14default_configENS1_29reduce_by_key_config_selectorIllN6thrust23THRUST_200600_302600_NS4plusIlEEEEZZNS1_33reduce_by_key_impl_wrapped_configILNS1_25lookback_scan_determinismE0ES3_S9_PlNS6_17constant_iteratorIiNS6_11use_defaultESE_EENS6_10device_ptrIlEESH_PmS8_NS6_8equal_toIlEEEE10hipError_tPvRmT2_T3_mT4_T5_T6_T7_T8_P12ihipStream_tbENKUlT_T0_E_clISt17integral_constantIbLb0EES11_IbLb1EEEEDaSX_SY_EUlSX_E_NS1_11comp_targetILNS1_3genE2ELNS1_11target_archE906ELNS1_3gpuE6ELNS1_3repE0EEENS1_30default_config_static_selectorELNS0_4arch9wavefront6targetE1EEEvT1_,comdat
	.protected	_ZN7rocprim17ROCPRIM_400000_NS6detail17trampoline_kernelINS0_14default_configENS1_29reduce_by_key_config_selectorIllN6thrust23THRUST_200600_302600_NS4plusIlEEEEZZNS1_33reduce_by_key_impl_wrapped_configILNS1_25lookback_scan_determinismE0ES3_S9_PlNS6_17constant_iteratorIiNS6_11use_defaultESE_EENS6_10device_ptrIlEESH_PmS8_NS6_8equal_toIlEEEE10hipError_tPvRmT2_T3_mT4_T5_T6_T7_T8_P12ihipStream_tbENKUlT_T0_E_clISt17integral_constantIbLb0EES11_IbLb1EEEEDaSX_SY_EUlSX_E_NS1_11comp_targetILNS1_3genE2ELNS1_11target_archE906ELNS1_3gpuE6ELNS1_3repE0EEENS1_30default_config_static_selectorELNS0_4arch9wavefront6targetE1EEEvT1_ ; -- Begin function _ZN7rocprim17ROCPRIM_400000_NS6detail17trampoline_kernelINS0_14default_configENS1_29reduce_by_key_config_selectorIllN6thrust23THRUST_200600_302600_NS4plusIlEEEEZZNS1_33reduce_by_key_impl_wrapped_configILNS1_25lookback_scan_determinismE0ES3_S9_PlNS6_17constant_iteratorIiNS6_11use_defaultESE_EENS6_10device_ptrIlEESH_PmS8_NS6_8equal_toIlEEEE10hipError_tPvRmT2_T3_mT4_T5_T6_T7_T8_P12ihipStream_tbENKUlT_T0_E_clISt17integral_constantIbLb0EES11_IbLb1EEEEDaSX_SY_EUlSX_E_NS1_11comp_targetILNS1_3genE2ELNS1_11target_archE906ELNS1_3gpuE6ELNS1_3repE0EEENS1_30default_config_static_selectorELNS0_4arch9wavefront6targetE1EEEvT1_
	.globl	_ZN7rocprim17ROCPRIM_400000_NS6detail17trampoline_kernelINS0_14default_configENS1_29reduce_by_key_config_selectorIllN6thrust23THRUST_200600_302600_NS4plusIlEEEEZZNS1_33reduce_by_key_impl_wrapped_configILNS1_25lookback_scan_determinismE0ES3_S9_PlNS6_17constant_iteratorIiNS6_11use_defaultESE_EENS6_10device_ptrIlEESH_PmS8_NS6_8equal_toIlEEEE10hipError_tPvRmT2_T3_mT4_T5_T6_T7_T8_P12ihipStream_tbENKUlT_T0_E_clISt17integral_constantIbLb0EES11_IbLb1EEEEDaSX_SY_EUlSX_E_NS1_11comp_targetILNS1_3genE2ELNS1_11target_archE906ELNS1_3gpuE6ELNS1_3repE0EEENS1_30default_config_static_selectorELNS0_4arch9wavefront6targetE1EEEvT1_
	.p2align	8
	.type	_ZN7rocprim17ROCPRIM_400000_NS6detail17trampoline_kernelINS0_14default_configENS1_29reduce_by_key_config_selectorIllN6thrust23THRUST_200600_302600_NS4plusIlEEEEZZNS1_33reduce_by_key_impl_wrapped_configILNS1_25lookback_scan_determinismE0ES3_S9_PlNS6_17constant_iteratorIiNS6_11use_defaultESE_EENS6_10device_ptrIlEESH_PmS8_NS6_8equal_toIlEEEE10hipError_tPvRmT2_T3_mT4_T5_T6_T7_T8_P12ihipStream_tbENKUlT_T0_E_clISt17integral_constantIbLb0EES11_IbLb1EEEEDaSX_SY_EUlSX_E_NS1_11comp_targetILNS1_3genE2ELNS1_11target_archE906ELNS1_3gpuE6ELNS1_3repE0EEENS1_30default_config_static_selectorELNS0_4arch9wavefront6targetE1EEEvT1_,@function
_ZN7rocprim17ROCPRIM_400000_NS6detail17trampoline_kernelINS0_14default_configENS1_29reduce_by_key_config_selectorIllN6thrust23THRUST_200600_302600_NS4plusIlEEEEZZNS1_33reduce_by_key_impl_wrapped_configILNS1_25lookback_scan_determinismE0ES3_S9_PlNS6_17constant_iteratorIiNS6_11use_defaultESE_EENS6_10device_ptrIlEESH_PmS8_NS6_8equal_toIlEEEE10hipError_tPvRmT2_T3_mT4_T5_T6_T7_T8_P12ihipStream_tbENKUlT_T0_E_clISt17integral_constantIbLb0EES11_IbLb1EEEEDaSX_SY_EUlSX_E_NS1_11comp_targetILNS1_3genE2ELNS1_11target_archE906ELNS1_3gpuE6ELNS1_3repE0EEENS1_30default_config_static_selectorELNS0_4arch9wavefront6targetE1EEEvT1_: ; @_ZN7rocprim17ROCPRIM_400000_NS6detail17trampoline_kernelINS0_14default_configENS1_29reduce_by_key_config_selectorIllN6thrust23THRUST_200600_302600_NS4plusIlEEEEZZNS1_33reduce_by_key_impl_wrapped_configILNS1_25lookback_scan_determinismE0ES3_S9_PlNS6_17constant_iteratorIiNS6_11use_defaultESE_EENS6_10device_ptrIlEESH_PmS8_NS6_8equal_toIlEEEE10hipError_tPvRmT2_T3_mT4_T5_T6_T7_T8_P12ihipStream_tbENKUlT_T0_E_clISt17integral_constantIbLb0EES11_IbLb1EEEEDaSX_SY_EUlSX_E_NS1_11comp_targetILNS1_3genE2ELNS1_11target_archE906ELNS1_3gpuE6ELNS1_3repE0EEENS1_30default_config_static_selectorELNS0_4arch9wavefront6targetE1EEEvT1_
; %bb.0:
	.section	.rodata,"a",@progbits
	.p2align	6, 0x0
	.amdhsa_kernel _ZN7rocprim17ROCPRIM_400000_NS6detail17trampoline_kernelINS0_14default_configENS1_29reduce_by_key_config_selectorIllN6thrust23THRUST_200600_302600_NS4plusIlEEEEZZNS1_33reduce_by_key_impl_wrapped_configILNS1_25lookback_scan_determinismE0ES3_S9_PlNS6_17constant_iteratorIiNS6_11use_defaultESE_EENS6_10device_ptrIlEESH_PmS8_NS6_8equal_toIlEEEE10hipError_tPvRmT2_T3_mT4_T5_T6_T7_T8_P12ihipStream_tbENKUlT_T0_E_clISt17integral_constantIbLb0EES11_IbLb1EEEEDaSX_SY_EUlSX_E_NS1_11comp_targetILNS1_3genE2ELNS1_11target_archE906ELNS1_3gpuE6ELNS1_3repE0EEENS1_30default_config_static_selectorELNS0_4arch9wavefront6targetE1EEEvT1_
		.amdhsa_group_segment_fixed_size 0
		.amdhsa_private_segment_fixed_size 0
		.amdhsa_kernarg_size 144
		.amdhsa_user_sgpr_count 6
		.amdhsa_user_sgpr_private_segment_buffer 1
		.amdhsa_user_sgpr_dispatch_ptr 0
		.amdhsa_user_sgpr_queue_ptr 0
		.amdhsa_user_sgpr_kernarg_segment_ptr 1
		.amdhsa_user_sgpr_dispatch_id 0
		.amdhsa_user_sgpr_flat_scratch_init 0
		.amdhsa_user_sgpr_kernarg_preload_length 0
		.amdhsa_user_sgpr_kernarg_preload_offset 0
		.amdhsa_user_sgpr_private_segment_size 0
		.amdhsa_uses_dynamic_stack 0
		.amdhsa_system_sgpr_private_segment_wavefront_offset 0
		.amdhsa_system_sgpr_workgroup_id_x 1
		.amdhsa_system_sgpr_workgroup_id_y 0
		.amdhsa_system_sgpr_workgroup_id_z 0
		.amdhsa_system_sgpr_workgroup_info 0
		.amdhsa_system_vgpr_workitem_id 0
		.amdhsa_next_free_vgpr 1
		.amdhsa_next_free_sgpr 0
		.amdhsa_accum_offset 4
		.amdhsa_reserve_vcc 0
		.amdhsa_reserve_flat_scratch 0
		.amdhsa_float_round_mode_32 0
		.amdhsa_float_round_mode_16_64 0
		.amdhsa_float_denorm_mode_32 3
		.amdhsa_float_denorm_mode_16_64 3
		.amdhsa_dx10_clamp 1
		.amdhsa_ieee_mode 1
		.amdhsa_fp16_overflow 0
		.amdhsa_tg_split 0
		.amdhsa_exception_fp_ieee_invalid_op 0
		.amdhsa_exception_fp_denorm_src 0
		.amdhsa_exception_fp_ieee_div_zero 0
		.amdhsa_exception_fp_ieee_overflow 0
		.amdhsa_exception_fp_ieee_underflow 0
		.amdhsa_exception_fp_ieee_inexact 0
		.amdhsa_exception_int_div_zero 0
	.end_amdhsa_kernel
	.section	.text._ZN7rocprim17ROCPRIM_400000_NS6detail17trampoline_kernelINS0_14default_configENS1_29reduce_by_key_config_selectorIllN6thrust23THRUST_200600_302600_NS4plusIlEEEEZZNS1_33reduce_by_key_impl_wrapped_configILNS1_25lookback_scan_determinismE0ES3_S9_PlNS6_17constant_iteratorIiNS6_11use_defaultESE_EENS6_10device_ptrIlEESH_PmS8_NS6_8equal_toIlEEEE10hipError_tPvRmT2_T3_mT4_T5_T6_T7_T8_P12ihipStream_tbENKUlT_T0_E_clISt17integral_constantIbLb0EES11_IbLb1EEEEDaSX_SY_EUlSX_E_NS1_11comp_targetILNS1_3genE2ELNS1_11target_archE906ELNS1_3gpuE6ELNS1_3repE0EEENS1_30default_config_static_selectorELNS0_4arch9wavefront6targetE1EEEvT1_,"axG",@progbits,_ZN7rocprim17ROCPRIM_400000_NS6detail17trampoline_kernelINS0_14default_configENS1_29reduce_by_key_config_selectorIllN6thrust23THRUST_200600_302600_NS4plusIlEEEEZZNS1_33reduce_by_key_impl_wrapped_configILNS1_25lookback_scan_determinismE0ES3_S9_PlNS6_17constant_iteratorIiNS6_11use_defaultESE_EENS6_10device_ptrIlEESH_PmS8_NS6_8equal_toIlEEEE10hipError_tPvRmT2_T3_mT4_T5_T6_T7_T8_P12ihipStream_tbENKUlT_T0_E_clISt17integral_constantIbLb0EES11_IbLb1EEEEDaSX_SY_EUlSX_E_NS1_11comp_targetILNS1_3genE2ELNS1_11target_archE906ELNS1_3gpuE6ELNS1_3repE0EEENS1_30default_config_static_selectorELNS0_4arch9wavefront6targetE1EEEvT1_,comdat
.Lfunc_end1235:
	.size	_ZN7rocprim17ROCPRIM_400000_NS6detail17trampoline_kernelINS0_14default_configENS1_29reduce_by_key_config_selectorIllN6thrust23THRUST_200600_302600_NS4plusIlEEEEZZNS1_33reduce_by_key_impl_wrapped_configILNS1_25lookback_scan_determinismE0ES3_S9_PlNS6_17constant_iteratorIiNS6_11use_defaultESE_EENS6_10device_ptrIlEESH_PmS8_NS6_8equal_toIlEEEE10hipError_tPvRmT2_T3_mT4_T5_T6_T7_T8_P12ihipStream_tbENKUlT_T0_E_clISt17integral_constantIbLb0EES11_IbLb1EEEEDaSX_SY_EUlSX_E_NS1_11comp_targetILNS1_3genE2ELNS1_11target_archE906ELNS1_3gpuE6ELNS1_3repE0EEENS1_30default_config_static_selectorELNS0_4arch9wavefront6targetE1EEEvT1_, .Lfunc_end1235-_ZN7rocprim17ROCPRIM_400000_NS6detail17trampoline_kernelINS0_14default_configENS1_29reduce_by_key_config_selectorIllN6thrust23THRUST_200600_302600_NS4plusIlEEEEZZNS1_33reduce_by_key_impl_wrapped_configILNS1_25lookback_scan_determinismE0ES3_S9_PlNS6_17constant_iteratorIiNS6_11use_defaultESE_EENS6_10device_ptrIlEESH_PmS8_NS6_8equal_toIlEEEE10hipError_tPvRmT2_T3_mT4_T5_T6_T7_T8_P12ihipStream_tbENKUlT_T0_E_clISt17integral_constantIbLb0EES11_IbLb1EEEEDaSX_SY_EUlSX_E_NS1_11comp_targetILNS1_3genE2ELNS1_11target_archE906ELNS1_3gpuE6ELNS1_3repE0EEENS1_30default_config_static_selectorELNS0_4arch9wavefront6targetE1EEEvT1_
                                        ; -- End function
	.section	.AMDGPU.csdata,"",@progbits
; Kernel info:
; codeLenInByte = 0
; NumSgprs: 4
; NumVgprs: 0
; NumAgprs: 0
; TotalNumVgprs: 0
; ScratchSize: 0
; MemoryBound: 0
; FloatMode: 240
; IeeeMode: 1
; LDSByteSize: 0 bytes/workgroup (compile time only)
; SGPRBlocks: 0
; VGPRBlocks: 0
; NumSGPRsForWavesPerEU: 4
; NumVGPRsForWavesPerEU: 1
; AccumOffset: 4
; Occupancy: 8
; WaveLimiterHint : 0
; COMPUTE_PGM_RSRC2:SCRATCH_EN: 0
; COMPUTE_PGM_RSRC2:USER_SGPR: 6
; COMPUTE_PGM_RSRC2:TRAP_HANDLER: 0
; COMPUTE_PGM_RSRC2:TGID_X_EN: 1
; COMPUTE_PGM_RSRC2:TGID_Y_EN: 0
; COMPUTE_PGM_RSRC2:TGID_Z_EN: 0
; COMPUTE_PGM_RSRC2:TIDIG_COMP_CNT: 0
; COMPUTE_PGM_RSRC3_GFX90A:ACCUM_OFFSET: 0
; COMPUTE_PGM_RSRC3_GFX90A:TG_SPLIT: 0
	.section	.text._ZN7rocprim17ROCPRIM_400000_NS6detail17trampoline_kernelINS0_14default_configENS1_29reduce_by_key_config_selectorIllN6thrust23THRUST_200600_302600_NS4plusIlEEEEZZNS1_33reduce_by_key_impl_wrapped_configILNS1_25lookback_scan_determinismE0ES3_S9_PlNS6_17constant_iteratorIiNS6_11use_defaultESE_EENS6_10device_ptrIlEESH_PmS8_NS6_8equal_toIlEEEE10hipError_tPvRmT2_T3_mT4_T5_T6_T7_T8_P12ihipStream_tbENKUlT_T0_E_clISt17integral_constantIbLb0EES11_IbLb1EEEEDaSX_SY_EUlSX_E_NS1_11comp_targetILNS1_3genE10ELNS1_11target_archE1201ELNS1_3gpuE5ELNS1_3repE0EEENS1_30default_config_static_selectorELNS0_4arch9wavefront6targetE1EEEvT1_,"axG",@progbits,_ZN7rocprim17ROCPRIM_400000_NS6detail17trampoline_kernelINS0_14default_configENS1_29reduce_by_key_config_selectorIllN6thrust23THRUST_200600_302600_NS4plusIlEEEEZZNS1_33reduce_by_key_impl_wrapped_configILNS1_25lookback_scan_determinismE0ES3_S9_PlNS6_17constant_iteratorIiNS6_11use_defaultESE_EENS6_10device_ptrIlEESH_PmS8_NS6_8equal_toIlEEEE10hipError_tPvRmT2_T3_mT4_T5_T6_T7_T8_P12ihipStream_tbENKUlT_T0_E_clISt17integral_constantIbLb0EES11_IbLb1EEEEDaSX_SY_EUlSX_E_NS1_11comp_targetILNS1_3genE10ELNS1_11target_archE1201ELNS1_3gpuE5ELNS1_3repE0EEENS1_30default_config_static_selectorELNS0_4arch9wavefront6targetE1EEEvT1_,comdat
	.protected	_ZN7rocprim17ROCPRIM_400000_NS6detail17trampoline_kernelINS0_14default_configENS1_29reduce_by_key_config_selectorIllN6thrust23THRUST_200600_302600_NS4plusIlEEEEZZNS1_33reduce_by_key_impl_wrapped_configILNS1_25lookback_scan_determinismE0ES3_S9_PlNS6_17constant_iteratorIiNS6_11use_defaultESE_EENS6_10device_ptrIlEESH_PmS8_NS6_8equal_toIlEEEE10hipError_tPvRmT2_T3_mT4_T5_T6_T7_T8_P12ihipStream_tbENKUlT_T0_E_clISt17integral_constantIbLb0EES11_IbLb1EEEEDaSX_SY_EUlSX_E_NS1_11comp_targetILNS1_3genE10ELNS1_11target_archE1201ELNS1_3gpuE5ELNS1_3repE0EEENS1_30default_config_static_selectorELNS0_4arch9wavefront6targetE1EEEvT1_ ; -- Begin function _ZN7rocprim17ROCPRIM_400000_NS6detail17trampoline_kernelINS0_14default_configENS1_29reduce_by_key_config_selectorIllN6thrust23THRUST_200600_302600_NS4plusIlEEEEZZNS1_33reduce_by_key_impl_wrapped_configILNS1_25lookback_scan_determinismE0ES3_S9_PlNS6_17constant_iteratorIiNS6_11use_defaultESE_EENS6_10device_ptrIlEESH_PmS8_NS6_8equal_toIlEEEE10hipError_tPvRmT2_T3_mT4_T5_T6_T7_T8_P12ihipStream_tbENKUlT_T0_E_clISt17integral_constantIbLb0EES11_IbLb1EEEEDaSX_SY_EUlSX_E_NS1_11comp_targetILNS1_3genE10ELNS1_11target_archE1201ELNS1_3gpuE5ELNS1_3repE0EEENS1_30default_config_static_selectorELNS0_4arch9wavefront6targetE1EEEvT1_
	.globl	_ZN7rocprim17ROCPRIM_400000_NS6detail17trampoline_kernelINS0_14default_configENS1_29reduce_by_key_config_selectorIllN6thrust23THRUST_200600_302600_NS4plusIlEEEEZZNS1_33reduce_by_key_impl_wrapped_configILNS1_25lookback_scan_determinismE0ES3_S9_PlNS6_17constant_iteratorIiNS6_11use_defaultESE_EENS6_10device_ptrIlEESH_PmS8_NS6_8equal_toIlEEEE10hipError_tPvRmT2_T3_mT4_T5_T6_T7_T8_P12ihipStream_tbENKUlT_T0_E_clISt17integral_constantIbLb0EES11_IbLb1EEEEDaSX_SY_EUlSX_E_NS1_11comp_targetILNS1_3genE10ELNS1_11target_archE1201ELNS1_3gpuE5ELNS1_3repE0EEENS1_30default_config_static_selectorELNS0_4arch9wavefront6targetE1EEEvT1_
	.p2align	8
	.type	_ZN7rocprim17ROCPRIM_400000_NS6detail17trampoline_kernelINS0_14default_configENS1_29reduce_by_key_config_selectorIllN6thrust23THRUST_200600_302600_NS4plusIlEEEEZZNS1_33reduce_by_key_impl_wrapped_configILNS1_25lookback_scan_determinismE0ES3_S9_PlNS6_17constant_iteratorIiNS6_11use_defaultESE_EENS6_10device_ptrIlEESH_PmS8_NS6_8equal_toIlEEEE10hipError_tPvRmT2_T3_mT4_T5_T6_T7_T8_P12ihipStream_tbENKUlT_T0_E_clISt17integral_constantIbLb0EES11_IbLb1EEEEDaSX_SY_EUlSX_E_NS1_11comp_targetILNS1_3genE10ELNS1_11target_archE1201ELNS1_3gpuE5ELNS1_3repE0EEENS1_30default_config_static_selectorELNS0_4arch9wavefront6targetE1EEEvT1_,@function
_ZN7rocprim17ROCPRIM_400000_NS6detail17trampoline_kernelINS0_14default_configENS1_29reduce_by_key_config_selectorIllN6thrust23THRUST_200600_302600_NS4plusIlEEEEZZNS1_33reduce_by_key_impl_wrapped_configILNS1_25lookback_scan_determinismE0ES3_S9_PlNS6_17constant_iteratorIiNS6_11use_defaultESE_EENS6_10device_ptrIlEESH_PmS8_NS6_8equal_toIlEEEE10hipError_tPvRmT2_T3_mT4_T5_T6_T7_T8_P12ihipStream_tbENKUlT_T0_E_clISt17integral_constantIbLb0EES11_IbLb1EEEEDaSX_SY_EUlSX_E_NS1_11comp_targetILNS1_3genE10ELNS1_11target_archE1201ELNS1_3gpuE5ELNS1_3repE0EEENS1_30default_config_static_selectorELNS0_4arch9wavefront6targetE1EEEvT1_: ; @_ZN7rocprim17ROCPRIM_400000_NS6detail17trampoline_kernelINS0_14default_configENS1_29reduce_by_key_config_selectorIllN6thrust23THRUST_200600_302600_NS4plusIlEEEEZZNS1_33reduce_by_key_impl_wrapped_configILNS1_25lookback_scan_determinismE0ES3_S9_PlNS6_17constant_iteratorIiNS6_11use_defaultESE_EENS6_10device_ptrIlEESH_PmS8_NS6_8equal_toIlEEEE10hipError_tPvRmT2_T3_mT4_T5_T6_T7_T8_P12ihipStream_tbENKUlT_T0_E_clISt17integral_constantIbLb0EES11_IbLb1EEEEDaSX_SY_EUlSX_E_NS1_11comp_targetILNS1_3genE10ELNS1_11target_archE1201ELNS1_3gpuE5ELNS1_3repE0EEENS1_30default_config_static_selectorELNS0_4arch9wavefront6targetE1EEEvT1_
; %bb.0:
	.section	.rodata,"a",@progbits
	.p2align	6, 0x0
	.amdhsa_kernel _ZN7rocprim17ROCPRIM_400000_NS6detail17trampoline_kernelINS0_14default_configENS1_29reduce_by_key_config_selectorIllN6thrust23THRUST_200600_302600_NS4plusIlEEEEZZNS1_33reduce_by_key_impl_wrapped_configILNS1_25lookback_scan_determinismE0ES3_S9_PlNS6_17constant_iteratorIiNS6_11use_defaultESE_EENS6_10device_ptrIlEESH_PmS8_NS6_8equal_toIlEEEE10hipError_tPvRmT2_T3_mT4_T5_T6_T7_T8_P12ihipStream_tbENKUlT_T0_E_clISt17integral_constantIbLb0EES11_IbLb1EEEEDaSX_SY_EUlSX_E_NS1_11comp_targetILNS1_3genE10ELNS1_11target_archE1201ELNS1_3gpuE5ELNS1_3repE0EEENS1_30default_config_static_selectorELNS0_4arch9wavefront6targetE1EEEvT1_
		.amdhsa_group_segment_fixed_size 0
		.amdhsa_private_segment_fixed_size 0
		.amdhsa_kernarg_size 144
		.amdhsa_user_sgpr_count 6
		.amdhsa_user_sgpr_private_segment_buffer 1
		.amdhsa_user_sgpr_dispatch_ptr 0
		.amdhsa_user_sgpr_queue_ptr 0
		.amdhsa_user_sgpr_kernarg_segment_ptr 1
		.amdhsa_user_sgpr_dispatch_id 0
		.amdhsa_user_sgpr_flat_scratch_init 0
		.amdhsa_user_sgpr_kernarg_preload_length 0
		.amdhsa_user_sgpr_kernarg_preload_offset 0
		.amdhsa_user_sgpr_private_segment_size 0
		.amdhsa_uses_dynamic_stack 0
		.amdhsa_system_sgpr_private_segment_wavefront_offset 0
		.amdhsa_system_sgpr_workgroup_id_x 1
		.amdhsa_system_sgpr_workgroup_id_y 0
		.amdhsa_system_sgpr_workgroup_id_z 0
		.amdhsa_system_sgpr_workgroup_info 0
		.amdhsa_system_vgpr_workitem_id 0
		.amdhsa_next_free_vgpr 1
		.amdhsa_next_free_sgpr 0
		.amdhsa_accum_offset 4
		.amdhsa_reserve_vcc 0
		.amdhsa_reserve_flat_scratch 0
		.amdhsa_float_round_mode_32 0
		.amdhsa_float_round_mode_16_64 0
		.amdhsa_float_denorm_mode_32 3
		.amdhsa_float_denorm_mode_16_64 3
		.amdhsa_dx10_clamp 1
		.amdhsa_ieee_mode 1
		.amdhsa_fp16_overflow 0
		.amdhsa_tg_split 0
		.amdhsa_exception_fp_ieee_invalid_op 0
		.amdhsa_exception_fp_denorm_src 0
		.amdhsa_exception_fp_ieee_div_zero 0
		.amdhsa_exception_fp_ieee_overflow 0
		.amdhsa_exception_fp_ieee_underflow 0
		.amdhsa_exception_fp_ieee_inexact 0
		.amdhsa_exception_int_div_zero 0
	.end_amdhsa_kernel
	.section	.text._ZN7rocprim17ROCPRIM_400000_NS6detail17trampoline_kernelINS0_14default_configENS1_29reduce_by_key_config_selectorIllN6thrust23THRUST_200600_302600_NS4plusIlEEEEZZNS1_33reduce_by_key_impl_wrapped_configILNS1_25lookback_scan_determinismE0ES3_S9_PlNS6_17constant_iteratorIiNS6_11use_defaultESE_EENS6_10device_ptrIlEESH_PmS8_NS6_8equal_toIlEEEE10hipError_tPvRmT2_T3_mT4_T5_T6_T7_T8_P12ihipStream_tbENKUlT_T0_E_clISt17integral_constantIbLb0EES11_IbLb1EEEEDaSX_SY_EUlSX_E_NS1_11comp_targetILNS1_3genE10ELNS1_11target_archE1201ELNS1_3gpuE5ELNS1_3repE0EEENS1_30default_config_static_selectorELNS0_4arch9wavefront6targetE1EEEvT1_,"axG",@progbits,_ZN7rocprim17ROCPRIM_400000_NS6detail17trampoline_kernelINS0_14default_configENS1_29reduce_by_key_config_selectorIllN6thrust23THRUST_200600_302600_NS4plusIlEEEEZZNS1_33reduce_by_key_impl_wrapped_configILNS1_25lookback_scan_determinismE0ES3_S9_PlNS6_17constant_iteratorIiNS6_11use_defaultESE_EENS6_10device_ptrIlEESH_PmS8_NS6_8equal_toIlEEEE10hipError_tPvRmT2_T3_mT4_T5_T6_T7_T8_P12ihipStream_tbENKUlT_T0_E_clISt17integral_constantIbLb0EES11_IbLb1EEEEDaSX_SY_EUlSX_E_NS1_11comp_targetILNS1_3genE10ELNS1_11target_archE1201ELNS1_3gpuE5ELNS1_3repE0EEENS1_30default_config_static_selectorELNS0_4arch9wavefront6targetE1EEEvT1_,comdat
.Lfunc_end1236:
	.size	_ZN7rocprim17ROCPRIM_400000_NS6detail17trampoline_kernelINS0_14default_configENS1_29reduce_by_key_config_selectorIllN6thrust23THRUST_200600_302600_NS4plusIlEEEEZZNS1_33reduce_by_key_impl_wrapped_configILNS1_25lookback_scan_determinismE0ES3_S9_PlNS6_17constant_iteratorIiNS6_11use_defaultESE_EENS6_10device_ptrIlEESH_PmS8_NS6_8equal_toIlEEEE10hipError_tPvRmT2_T3_mT4_T5_T6_T7_T8_P12ihipStream_tbENKUlT_T0_E_clISt17integral_constantIbLb0EES11_IbLb1EEEEDaSX_SY_EUlSX_E_NS1_11comp_targetILNS1_3genE10ELNS1_11target_archE1201ELNS1_3gpuE5ELNS1_3repE0EEENS1_30default_config_static_selectorELNS0_4arch9wavefront6targetE1EEEvT1_, .Lfunc_end1236-_ZN7rocprim17ROCPRIM_400000_NS6detail17trampoline_kernelINS0_14default_configENS1_29reduce_by_key_config_selectorIllN6thrust23THRUST_200600_302600_NS4plusIlEEEEZZNS1_33reduce_by_key_impl_wrapped_configILNS1_25lookback_scan_determinismE0ES3_S9_PlNS6_17constant_iteratorIiNS6_11use_defaultESE_EENS6_10device_ptrIlEESH_PmS8_NS6_8equal_toIlEEEE10hipError_tPvRmT2_T3_mT4_T5_T6_T7_T8_P12ihipStream_tbENKUlT_T0_E_clISt17integral_constantIbLb0EES11_IbLb1EEEEDaSX_SY_EUlSX_E_NS1_11comp_targetILNS1_3genE10ELNS1_11target_archE1201ELNS1_3gpuE5ELNS1_3repE0EEENS1_30default_config_static_selectorELNS0_4arch9wavefront6targetE1EEEvT1_
                                        ; -- End function
	.section	.AMDGPU.csdata,"",@progbits
; Kernel info:
; codeLenInByte = 0
; NumSgprs: 4
; NumVgprs: 0
; NumAgprs: 0
; TotalNumVgprs: 0
; ScratchSize: 0
; MemoryBound: 0
; FloatMode: 240
; IeeeMode: 1
; LDSByteSize: 0 bytes/workgroup (compile time only)
; SGPRBlocks: 0
; VGPRBlocks: 0
; NumSGPRsForWavesPerEU: 4
; NumVGPRsForWavesPerEU: 1
; AccumOffset: 4
; Occupancy: 8
; WaveLimiterHint : 0
; COMPUTE_PGM_RSRC2:SCRATCH_EN: 0
; COMPUTE_PGM_RSRC2:USER_SGPR: 6
; COMPUTE_PGM_RSRC2:TRAP_HANDLER: 0
; COMPUTE_PGM_RSRC2:TGID_X_EN: 1
; COMPUTE_PGM_RSRC2:TGID_Y_EN: 0
; COMPUTE_PGM_RSRC2:TGID_Z_EN: 0
; COMPUTE_PGM_RSRC2:TIDIG_COMP_CNT: 0
; COMPUTE_PGM_RSRC3_GFX90A:ACCUM_OFFSET: 0
; COMPUTE_PGM_RSRC3_GFX90A:TG_SPLIT: 0
	.section	.text._ZN7rocprim17ROCPRIM_400000_NS6detail17trampoline_kernelINS0_14default_configENS1_29reduce_by_key_config_selectorIllN6thrust23THRUST_200600_302600_NS4plusIlEEEEZZNS1_33reduce_by_key_impl_wrapped_configILNS1_25lookback_scan_determinismE0ES3_S9_PlNS6_17constant_iteratorIiNS6_11use_defaultESE_EENS6_10device_ptrIlEESH_PmS8_NS6_8equal_toIlEEEE10hipError_tPvRmT2_T3_mT4_T5_T6_T7_T8_P12ihipStream_tbENKUlT_T0_E_clISt17integral_constantIbLb0EES11_IbLb1EEEEDaSX_SY_EUlSX_E_NS1_11comp_targetILNS1_3genE10ELNS1_11target_archE1200ELNS1_3gpuE4ELNS1_3repE0EEENS1_30default_config_static_selectorELNS0_4arch9wavefront6targetE1EEEvT1_,"axG",@progbits,_ZN7rocprim17ROCPRIM_400000_NS6detail17trampoline_kernelINS0_14default_configENS1_29reduce_by_key_config_selectorIllN6thrust23THRUST_200600_302600_NS4plusIlEEEEZZNS1_33reduce_by_key_impl_wrapped_configILNS1_25lookback_scan_determinismE0ES3_S9_PlNS6_17constant_iteratorIiNS6_11use_defaultESE_EENS6_10device_ptrIlEESH_PmS8_NS6_8equal_toIlEEEE10hipError_tPvRmT2_T3_mT4_T5_T6_T7_T8_P12ihipStream_tbENKUlT_T0_E_clISt17integral_constantIbLb0EES11_IbLb1EEEEDaSX_SY_EUlSX_E_NS1_11comp_targetILNS1_3genE10ELNS1_11target_archE1200ELNS1_3gpuE4ELNS1_3repE0EEENS1_30default_config_static_selectorELNS0_4arch9wavefront6targetE1EEEvT1_,comdat
	.protected	_ZN7rocprim17ROCPRIM_400000_NS6detail17trampoline_kernelINS0_14default_configENS1_29reduce_by_key_config_selectorIllN6thrust23THRUST_200600_302600_NS4plusIlEEEEZZNS1_33reduce_by_key_impl_wrapped_configILNS1_25lookback_scan_determinismE0ES3_S9_PlNS6_17constant_iteratorIiNS6_11use_defaultESE_EENS6_10device_ptrIlEESH_PmS8_NS6_8equal_toIlEEEE10hipError_tPvRmT2_T3_mT4_T5_T6_T7_T8_P12ihipStream_tbENKUlT_T0_E_clISt17integral_constantIbLb0EES11_IbLb1EEEEDaSX_SY_EUlSX_E_NS1_11comp_targetILNS1_3genE10ELNS1_11target_archE1200ELNS1_3gpuE4ELNS1_3repE0EEENS1_30default_config_static_selectorELNS0_4arch9wavefront6targetE1EEEvT1_ ; -- Begin function _ZN7rocprim17ROCPRIM_400000_NS6detail17trampoline_kernelINS0_14default_configENS1_29reduce_by_key_config_selectorIllN6thrust23THRUST_200600_302600_NS4plusIlEEEEZZNS1_33reduce_by_key_impl_wrapped_configILNS1_25lookback_scan_determinismE0ES3_S9_PlNS6_17constant_iteratorIiNS6_11use_defaultESE_EENS6_10device_ptrIlEESH_PmS8_NS6_8equal_toIlEEEE10hipError_tPvRmT2_T3_mT4_T5_T6_T7_T8_P12ihipStream_tbENKUlT_T0_E_clISt17integral_constantIbLb0EES11_IbLb1EEEEDaSX_SY_EUlSX_E_NS1_11comp_targetILNS1_3genE10ELNS1_11target_archE1200ELNS1_3gpuE4ELNS1_3repE0EEENS1_30default_config_static_selectorELNS0_4arch9wavefront6targetE1EEEvT1_
	.globl	_ZN7rocprim17ROCPRIM_400000_NS6detail17trampoline_kernelINS0_14default_configENS1_29reduce_by_key_config_selectorIllN6thrust23THRUST_200600_302600_NS4plusIlEEEEZZNS1_33reduce_by_key_impl_wrapped_configILNS1_25lookback_scan_determinismE0ES3_S9_PlNS6_17constant_iteratorIiNS6_11use_defaultESE_EENS6_10device_ptrIlEESH_PmS8_NS6_8equal_toIlEEEE10hipError_tPvRmT2_T3_mT4_T5_T6_T7_T8_P12ihipStream_tbENKUlT_T0_E_clISt17integral_constantIbLb0EES11_IbLb1EEEEDaSX_SY_EUlSX_E_NS1_11comp_targetILNS1_3genE10ELNS1_11target_archE1200ELNS1_3gpuE4ELNS1_3repE0EEENS1_30default_config_static_selectorELNS0_4arch9wavefront6targetE1EEEvT1_
	.p2align	8
	.type	_ZN7rocprim17ROCPRIM_400000_NS6detail17trampoline_kernelINS0_14default_configENS1_29reduce_by_key_config_selectorIllN6thrust23THRUST_200600_302600_NS4plusIlEEEEZZNS1_33reduce_by_key_impl_wrapped_configILNS1_25lookback_scan_determinismE0ES3_S9_PlNS6_17constant_iteratorIiNS6_11use_defaultESE_EENS6_10device_ptrIlEESH_PmS8_NS6_8equal_toIlEEEE10hipError_tPvRmT2_T3_mT4_T5_T6_T7_T8_P12ihipStream_tbENKUlT_T0_E_clISt17integral_constantIbLb0EES11_IbLb1EEEEDaSX_SY_EUlSX_E_NS1_11comp_targetILNS1_3genE10ELNS1_11target_archE1200ELNS1_3gpuE4ELNS1_3repE0EEENS1_30default_config_static_selectorELNS0_4arch9wavefront6targetE1EEEvT1_,@function
_ZN7rocprim17ROCPRIM_400000_NS6detail17trampoline_kernelINS0_14default_configENS1_29reduce_by_key_config_selectorIllN6thrust23THRUST_200600_302600_NS4plusIlEEEEZZNS1_33reduce_by_key_impl_wrapped_configILNS1_25lookback_scan_determinismE0ES3_S9_PlNS6_17constant_iteratorIiNS6_11use_defaultESE_EENS6_10device_ptrIlEESH_PmS8_NS6_8equal_toIlEEEE10hipError_tPvRmT2_T3_mT4_T5_T6_T7_T8_P12ihipStream_tbENKUlT_T0_E_clISt17integral_constantIbLb0EES11_IbLb1EEEEDaSX_SY_EUlSX_E_NS1_11comp_targetILNS1_3genE10ELNS1_11target_archE1200ELNS1_3gpuE4ELNS1_3repE0EEENS1_30default_config_static_selectorELNS0_4arch9wavefront6targetE1EEEvT1_: ; @_ZN7rocprim17ROCPRIM_400000_NS6detail17trampoline_kernelINS0_14default_configENS1_29reduce_by_key_config_selectorIllN6thrust23THRUST_200600_302600_NS4plusIlEEEEZZNS1_33reduce_by_key_impl_wrapped_configILNS1_25lookback_scan_determinismE0ES3_S9_PlNS6_17constant_iteratorIiNS6_11use_defaultESE_EENS6_10device_ptrIlEESH_PmS8_NS6_8equal_toIlEEEE10hipError_tPvRmT2_T3_mT4_T5_T6_T7_T8_P12ihipStream_tbENKUlT_T0_E_clISt17integral_constantIbLb0EES11_IbLb1EEEEDaSX_SY_EUlSX_E_NS1_11comp_targetILNS1_3genE10ELNS1_11target_archE1200ELNS1_3gpuE4ELNS1_3repE0EEENS1_30default_config_static_selectorELNS0_4arch9wavefront6targetE1EEEvT1_
; %bb.0:
	.section	.rodata,"a",@progbits
	.p2align	6, 0x0
	.amdhsa_kernel _ZN7rocprim17ROCPRIM_400000_NS6detail17trampoline_kernelINS0_14default_configENS1_29reduce_by_key_config_selectorIllN6thrust23THRUST_200600_302600_NS4plusIlEEEEZZNS1_33reduce_by_key_impl_wrapped_configILNS1_25lookback_scan_determinismE0ES3_S9_PlNS6_17constant_iteratorIiNS6_11use_defaultESE_EENS6_10device_ptrIlEESH_PmS8_NS6_8equal_toIlEEEE10hipError_tPvRmT2_T3_mT4_T5_T6_T7_T8_P12ihipStream_tbENKUlT_T0_E_clISt17integral_constantIbLb0EES11_IbLb1EEEEDaSX_SY_EUlSX_E_NS1_11comp_targetILNS1_3genE10ELNS1_11target_archE1200ELNS1_3gpuE4ELNS1_3repE0EEENS1_30default_config_static_selectorELNS0_4arch9wavefront6targetE1EEEvT1_
		.amdhsa_group_segment_fixed_size 0
		.amdhsa_private_segment_fixed_size 0
		.amdhsa_kernarg_size 144
		.amdhsa_user_sgpr_count 6
		.amdhsa_user_sgpr_private_segment_buffer 1
		.amdhsa_user_sgpr_dispatch_ptr 0
		.amdhsa_user_sgpr_queue_ptr 0
		.amdhsa_user_sgpr_kernarg_segment_ptr 1
		.amdhsa_user_sgpr_dispatch_id 0
		.amdhsa_user_sgpr_flat_scratch_init 0
		.amdhsa_user_sgpr_kernarg_preload_length 0
		.amdhsa_user_sgpr_kernarg_preload_offset 0
		.amdhsa_user_sgpr_private_segment_size 0
		.amdhsa_uses_dynamic_stack 0
		.amdhsa_system_sgpr_private_segment_wavefront_offset 0
		.amdhsa_system_sgpr_workgroup_id_x 1
		.amdhsa_system_sgpr_workgroup_id_y 0
		.amdhsa_system_sgpr_workgroup_id_z 0
		.amdhsa_system_sgpr_workgroup_info 0
		.amdhsa_system_vgpr_workitem_id 0
		.amdhsa_next_free_vgpr 1
		.amdhsa_next_free_sgpr 0
		.amdhsa_accum_offset 4
		.amdhsa_reserve_vcc 0
		.amdhsa_reserve_flat_scratch 0
		.amdhsa_float_round_mode_32 0
		.amdhsa_float_round_mode_16_64 0
		.amdhsa_float_denorm_mode_32 3
		.amdhsa_float_denorm_mode_16_64 3
		.amdhsa_dx10_clamp 1
		.amdhsa_ieee_mode 1
		.amdhsa_fp16_overflow 0
		.amdhsa_tg_split 0
		.amdhsa_exception_fp_ieee_invalid_op 0
		.amdhsa_exception_fp_denorm_src 0
		.amdhsa_exception_fp_ieee_div_zero 0
		.amdhsa_exception_fp_ieee_overflow 0
		.amdhsa_exception_fp_ieee_underflow 0
		.amdhsa_exception_fp_ieee_inexact 0
		.amdhsa_exception_int_div_zero 0
	.end_amdhsa_kernel
	.section	.text._ZN7rocprim17ROCPRIM_400000_NS6detail17trampoline_kernelINS0_14default_configENS1_29reduce_by_key_config_selectorIllN6thrust23THRUST_200600_302600_NS4plusIlEEEEZZNS1_33reduce_by_key_impl_wrapped_configILNS1_25lookback_scan_determinismE0ES3_S9_PlNS6_17constant_iteratorIiNS6_11use_defaultESE_EENS6_10device_ptrIlEESH_PmS8_NS6_8equal_toIlEEEE10hipError_tPvRmT2_T3_mT4_T5_T6_T7_T8_P12ihipStream_tbENKUlT_T0_E_clISt17integral_constantIbLb0EES11_IbLb1EEEEDaSX_SY_EUlSX_E_NS1_11comp_targetILNS1_3genE10ELNS1_11target_archE1200ELNS1_3gpuE4ELNS1_3repE0EEENS1_30default_config_static_selectorELNS0_4arch9wavefront6targetE1EEEvT1_,"axG",@progbits,_ZN7rocprim17ROCPRIM_400000_NS6detail17trampoline_kernelINS0_14default_configENS1_29reduce_by_key_config_selectorIllN6thrust23THRUST_200600_302600_NS4plusIlEEEEZZNS1_33reduce_by_key_impl_wrapped_configILNS1_25lookback_scan_determinismE0ES3_S9_PlNS6_17constant_iteratorIiNS6_11use_defaultESE_EENS6_10device_ptrIlEESH_PmS8_NS6_8equal_toIlEEEE10hipError_tPvRmT2_T3_mT4_T5_T6_T7_T8_P12ihipStream_tbENKUlT_T0_E_clISt17integral_constantIbLb0EES11_IbLb1EEEEDaSX_SY_EUlSX_E_NS1_11comp_targetILNS1_3genE10ELNS1_11target_archE1200ELNS1_3gpuE4ELNS1_3repE0EEENS1_30default_config_static_selectorELNS0_4arch9wavefront6targetE1EEEvT1_,comdat
.Lfunc_end1237:
	.size	_ZN7rocprim17ROCPRIM_400000_NS6detail17trampoline_kernelINS0_14default_configENS1_29reduce_by_key_config_selectorIllN6thrust23THRUST_200600_302600_NS4plusIlEEEEZZNS1_33reduce_by_key_impl_wrapped_configILNS1_25lookback_scan_determinismE0ES3_S9_PlNS6_17constant_iteratorIiNS6_11use_defaultESE_EENS6_10device_ptrIlEESH_PmS8_NS6_8equal_toIlEEEE10hipError_tPvRmT2_T3_mT4_T5_T6_T7_T8_P12ihipStream_tbENKUlT_T0_E_clISt17integral_constantIbLb0EES11_IbLb1EEEEDaSX_SY_EUlSX_E_NS1_11comp_targetILNS1_3genE10ELNS1_11target_archE1200ELNS1_3gpuE4ELNS1_3repE0EEENS1_30default_config_static_selectorELNS0_4arch9wavefront6targetE1EEEvT1_, .Lfunc_end1237-_ZN7rocprim17ROCPRIM_400000_NS6detail17trampoline_kernelINS0_14default_configENS1_29reduce_by_key_config_selectorIllN6thrust23THRUST_200600_302600_NS4plusIlEEEEZZNS1_33reduce_by_key_impl_wrapped_configILNS1_25lookback_scan_determinismE0ES3_S9_PlNS6_17constant_iteratorIiNS6_11use_defaultESE_EENS6_10device_ptrIlEESH_PmS8_NS6_8equal_toIlEEEE10hipError_tPvRmT2_T3_mT4_T5_T6_T7_T8_P12ihipStream_tbENKUlT_T0_E_clISt17integral_constantIbLb0EES11_IbLb1EEEEDaSX_SY_EUlSX_E_NS1_11comp_targetILNS1_3genE10ELNS1_11target_archE1200ELNS1_3gpuE4ELNS1_3repE0EEENS1_30default_config_static_selectorELNS0_4arch9wavefront6targetE1EEEvT1_
                                        ; -- End function
	.section	.AMDGPU.csdata,"",@progbits
; Kernel info:
; codeLenInByte = 0
; NumSgprs: 4
; NumVgprs: 0
; NumAgprs: 0
; TotalNumVgprs: 0
; ScratchSize: 0
; MemoryBound: 0
; FloatMode: 240
; IeeeMode: 1
; LDSByteSize: 0 bytes/workgroup (compile time only)
; SGPRBlocks: 0
; VGPRBlocks: 0
; NumSGPRsForWavesPerEU: 4
; NumVGPRsForWavesPerEU: 1
; AccumOffset: 4
; Occupancy: 8
; WaveLimiterHint : 0
; COMPUTE_PGM_RSRC2:SCRATCH_EN: 0
; COMPUTE_PGM_RSRC2:USER_SGPR: 6
; COMPUTE_PGM_RSRC2:TRAP_HANDLER: 0
; COMPUTE_PGM_RSRC2:TGID_X_EN: 1
; COMPUTE_PGM_RSRC2:TGID_Y_EN: 0
; COMPUTE_PGM_RSRC2:TGID_Z_EN: 0
; COMPUTE_PGM_RSRC2:TIDIG_COMP_CNT: 0
; COMPUTE_PGM_RSRC3_GFX90A:ACCUM_OFFSET: 0
; COMPUTE_PGM_RSRC3_GFX90A:TG_SPLIT: 0
	.section	.text._ZN7rocprim17ROCPRIM_400000_NS6detail17trampoline_kernelINS0_14default_configENS1_29reduce_by_key_config_selectorIllN6thrust23THRUST_200600_302600_NS4plusIlEEEEZZNS1_33reduce_by_key_impl_wrapped_configILNS1_25lookback_scan_determinismE0ES3_S9_PlNS6_17constant_iteratorIiNS6_11use_defaultESE_EENS6_10device_ptrIlEESH_PmS8_NS6_8equal_toIlEEEE10hipError_tPvRmT2_T3_mT4_T5_T6_T7_T8_P12ihipStream_tbENKUlT_T0_E_clISt17integral_constantIbLb0EES11_IbLb1EEEEDaSX_SY_EUlSX_E_NS1_11comp_targetILNS1_3genE9ELNS1_11target_archE1100ELNS1_3gpuE3ELNS1_3repE0EEENS1_30default_config_static_selectorELNS0_4arch9wavefront6targetE1EEEvT1_,"axG",@progbits,_ZN7rocprim17ROCPRIM_400000_NS6detail17trampoline_kernelINS0_14default_configENS1_29reduce_by_key_config_selectorIllN6thrust23THRUST_200600_302600_NS4plusIlEEEEZZNS1_33reduce_by_key_impl_wrapped_configILNS1_25lookback_scan_determinismE0ES3_S9_PlNS6_17constant_iteratorIiNS6_11use_defaultESE_EENS6_10device_ptrIlEESH_PmS8_NS6_8equal_toIlEEEE10hipError_tPvRmT2_T3_mT4_T5_T6_T7_T8_P12ihipStream_tbENKUlT_T0_E_clISt17integral_constantIbLb0EES11_IbLb1EEEEDaSX_SY_EUlSX_E_NS1_11comp_targetILNS1_3genE9ELNS1_11target_archE1100ELNS1_3gpuE3ELNS1_3repE0EEENS1_30default_config_static_selectorELNS0_4arch9wavefront6targetE1EEEvT1_,comdat
	.protected	_ZN7rocprim17ROCPRIM_400000_NS6detail17trampoline_kernelINS0_14default_configENS1_29reduce_by_key_config_selectorIllN6thrust23THRUST_200600_302600_NS4plusIlEEEEZZNS1_33reduce_by_key_impl_wrapped_configILNS1_25lookback_scan_determinismE0ES3_S9_PlNS6_17constant_iteratorIiNS6_11use_defaultESE_EENS6_10device_ptrIlEESH_PmS8_NS6_8equal_toIlEEEE10hipError_tPvRmT2_T3_mT4_T5_T6_T7_T8_P12ihipStream_tbENKUlT_T0_E_clISt17integral_constantIbLb0EES11_IbLb1EEEEDaSX_SY_EUlSX_E_NS1_11comp_targetILNS1_3genE9ELNS1_11target_archE1100ELNS1_3gpuE3ELNS1_3repE0EEENS1_30default_config_static_selectorELNS0_4arch9wavefront6targetE1EEEvT1_ ; -- Begin function _ZN7rocprim17ROCPRIM_400000_NS6detail17trampoline_kernelINS0_14default_configENS1_29reduce_by_key_config_selectorIllN6thrust23THRUST_200600_302600_NS4plusIlEEEEZZNS1_33reduce_by_key_impl_wrapped_configILNS1_25lookback_scan_determinismE0ES3_S9_PlNS6_17constant_iteratorIiNS6_11use_defaultESE_EENS6_10device_ptrIlEESH_PmS8_NS6_8equal_toIlEEEE10hipError_tPvRmT2_T3_mT4_T5_T6_T7_T8_P12ihipStream_tbENKUlT_T0_E_clISt17integral_constantIbLb0EES11_IbLb1EEEEDaSX_SY_EUlSX_E_NS1_11comp_targetILNS1_3genE9ELNS1_11target_archE1100ELNS1_3gpuE3ELNS1_3repE0EEENS1_30default_config_static_selectorELNS0_4arch9wavefront6targetE1EEEvT1_
	.globl	_ZN7rocprim17ROCPRIM_400000_NS6detail17trampoline_kernelINS0_14default_configENS1_29reduce_by_key_config_selectorIllN6thrust23THRUST_200600_302600_NS4plusIlEEEEZZNS1_33reduce_by_key_impl_wrapped_configILNS1_25lookback_scan_determinismE0ES3_S9_PlNS6_17constant_iteratorIiNS6_11use_defaultESE_EENS6_10device_ptrIlEESH_PmS8_NS6_8equal_toIlEEEE10hipError_tPvRmT2_T3_mT4_T5_T6_T7_T8_P12ihipStream_tbENKUlT_T0_E_clISt17integral_constantIbLb0EES11_IbLb1EEEEDaSX_SY_EUlSX_E_NS1_11comp_targetILNS1_3genE9ELNS1_11target_archE1100ELNS1_3gpuE3ELNS1_3repE0EEENS1_30default_config_static_selectorELNS0_4arch9wavefront6targetE1EEEvT1_
	.p2align	8
	.type	_ZN7rocprim17ROCPRIM_400000_NS6detail17trampoline_kernelINS0_14default_configENS1_29reduce_by_key_config_selectorIllN6thrust23THRUST_200600_302600_NS4plusIlEEEEZZNS1_33reduce_by_key_impl_wrapped_configILNS1_25lookback_scan_determinismE0ES3_S9_PlNS6_17constant_iteratorIiNS6_11use_defaultESE_EENS6_10device_ptrIlEESH_PmS8_NS6_8equal_toIlEEEE10hipError_tPvRmT2_T3_mT4_T5_T6_T7_T8_P12ihipStream_tbENKUlT_T0_E_clISt17integral_constantIbLb0EES11_IbLb1EEEEDaSX_SY_EUlSX_E_NS1_11comp_targetILNS1_3genE9ELNS1_11target_archE1100ELNS1_3gpuE3ELNS1_3repE0EEENS1_30default_config_static_selectorELNS0_4arch9wavefront6targetE1EEEvT1_,@function
_ZN7rocprim17ROCPRIM_400000_NS6detail17trampoline_kernelINS0_14default_configENS1_29reduce_by_key_config_selectorIllN6thrust23THRUST_200600_302600_NS4plusIlEEEEZZNS1_33reduce_by_key_impl_wrapped_configILNS1_25lookback_scan_determinismE0ES3_S9_PlNS6_17constant_iteratorIiNS6_11use_defaultESE_EENS6_10device_ptrIlEESH_PmS8_NS6_8equal_toIlEEEE10hipError_tPvRmT2_T3_mT4_T5_T6_T7_T8_P12ihipStream_tbENKUlT_T0_E_clISt17integral_constantIbLb0EES11_IbLb1EEEEDaSX_SY_EUlSX_E_NS1_11comp_targetILNS1_3genE9ELNS1_11target_archE1100ELNS1_3gpuE3ELNS1_3repE0EEENS1_30default_config_static_selectorELNS0_4arch9wavefront6targetE1EEEvT1_: ; @_ZN7rocprim17ROCPRIM_400000_NS6detail17trampoline_kernelINS0_14default_configENS1_29reduce_by_key_config_selectorIllN6thrust23THRUST_200600_302600_NS4plusIlEEEEZZNS1_33reduce_by_key_impl_wrapped_configILNS1_25lookback_scan_determinismE0ES3_S9_PlNS6_17constant_iteratorIiNS6_11use_defaultESE_EENS6_10device_ptrIlEESH_PmS8_NS6_8equal_toIlEEEE10hipError_tPvRmT2_T3_mT4_T5_T6_T7_T8_P12ihipStream_tbENKUlT_T0_E_clISt17integral_constantIbLb0EES11_IbLb1EEEEDaSX_SY_EUlSX_E_NS1_11comp_targetILNS1_3genE9ELNS1_11target_archE1100ELNS1_3gpuE3ELNS1_3repE0EEENS1_30default_config_static_selectorELNS0_4arch9wavefront6targetE1EEEvT1_
; %bb.0:
	.section	.rodata,"a",@progbits
	.p2align	6, 0x0
	.amdhsa_kernel _ZN7rocprim17ROCPRIM_400000_NS6detail17trampoline_kernelINS0_14default_configENS1_29reduce_by_key_config_selectorIllN6thrust23THRUST_200600_302600_NS4plusIlEEEEZZNS1_33reduce_by_key_impl_wrapped_configILNS1_25lookback_scan_determinismE0ES3_S9_PlNS6_17constant_iteratorIiNS6_11use_defaultESE_EENS6_10device_ptrIlEESH_PmS8_NS6_8equal_toIlEEEE10hipError_tPvRmT2_T3_mT4_T5_T6_T7_T8_P12ihipStream_tbENKUlT_T0_E_clISt17integral_constantIbLb0EES11_IbLb1EEEEDaSX_SY_EUlSX_E_NS1_11comp_targetILNS1_3genE9ELNS1_11target_archE1100ELNS1_3gpuE3ELNS1_3repE0EEENS1_30default_config_static_selectorELNS0_4arch9wavefront6targetE1EEEvT1_
		.amdhsa_group_segment_fixed_size 0
		.amdhsa_private_segment_fixed_size 0
		.amdhsa_kernarg_size 144
		.amdhsa_user_sgpr_count 6
		.amdhsa_user_sgpr_private_segment_buffer 1
		.amdhsa_user_sgpr_dispatch_ptr 0
		.amdhsa_user_sgpr_queue_ptr 0
		.amdhsa_user_sgpr_kernarg_segment_ptr 1
		.amdhsa_user_sgpr_dispatch_id 0
		.amdhsa_user_sgpr_flat_scratch_init 0
		.amdhsa_user_sgpr_kernarg_preload_length 0
		.amdhsa_user_sgpr_kernarg_preload_offset 0
		.amdhsa_user_sgpr_private_segment_size 0
		.amdhsa_uses_dynamic_stack 0
		.amdhsa_system_sgpr_private_segment_wavefront_offset 0
		.amdhsa_system_sgpr_workgroup_id_x 1
		.amdhsa_system_sgpr_workgroup_id_y 0
		.amdhsa_system_sgpr_workgroup_id_z 0
		.amdhsa_system_sgpr_workgroup_info 0
		.amdhsa_system_vgpr_workitem_id 0
		.amdhsa_next_free_vgpr 1
		.amdhsa_next_free_sgpr 0
		.amdhsa_accum_offset 4
		.amdhsa_reserve_vcc 0
		.amdhsa_reserve_flat_scratch 0
		.amdhsa_float_round_mode_32 0
		.amdhsa_float_round_mode_16_64 0
		.amdhsa_float_denorm_mode_32 3
		.amdhsa_float_denorm_mode_16_64 3
		.amdhsa_dx10_clamp 1
		.amdhsa_ieee_mode 1
		.amdhsa_fp16_overflow 0
		.amdhsa_tg_split 0
		.amdhsa_exception_fp_ieee_invalid_op 0
		.amdhsa_exception_fp_denorm_src 0
		.amdhsa_exception_fp_ieee_div_zero 0
		.amdhsa_exception_fp_ieee_overflow 0
		.amdhsa_exception_fp_ieee_underflow 0
		.amdhsa_exception_fp_ieee_inexact 0
		.amdhsa_exception_int_div_zero 0
	.end_amdhsa_kernel
	.section	.text._ZN7rocprim17ROCPRIM_400000_NS6detail17trampoline_kernelINS0_14default_configENS1_29reduce_by_key_config_selectorIllN6thrust23THRUST_200600_302600_NS4plusIlEEEEZZNS1_33reduce_by_key_impl_wrapped_configILNS1_25lookback_scan_determinismE0ES3_S9_PlNS6_17constant_iteratorIiNS6_11use_defaultESE_EENS6_10device_ptrIlEESH_PmS8_NS6_8equal_toIlEEEE10hipError_tPvRmT2_T3_mT4_T5_T6_T7_T8_P12ihipStream_tbENKUlT_T0_E_clISt17integral_constantIbLb0EES11_IbLb1EEEEDaSX_SY_EUlSX_E_NS1_11comp_targetILNS1_3genE9ELNS1_11target_archE1100ELNS1_3gpuE3ELNS1_3repE0EEENS1_30default_config_static_selectorELNS0_4arch9wavefront6targetE1EEEvT1_,"axG",@progbits,_ZN7rocprim17ROCPRIM_400000_NS6detail17trampoline_kernelINS0_14default_configENS1_29reduce_by_key_config_selectorIllN6thrust23THRUST_200600_302600_NS4plusIlEEEEZZNS1_33reduce_by_key_impl_wrapped_configILNS1_25lookback_scan_determinismE0ES3_S9_PlNS6_17constant_iteratorIiNS6_11use_defaultESE_EENS6_10device_ptrIlEESH_PmS8_NS6_8equal_toIlEEEE10hipError_tPvRmT2_T3_mT4_T5_T6_T7_T8_P12ihipStream_tbENKUlT_T0_E_clISt17integral_constantIbLb0EES11_IbLb1EEEEDaSX_SY_EUlSX_E_NS1_11comp_targetILNS1_3genE9ELNS1_11target_archE1100ELNS1_3gpuE3ELNS1_3repE0EEENS1_30default_config_static_selectorELNS0_4arch9wavefront6targetE1EEEvT1_,comdat
.Lfunc_end1238:
	.size	_ZN7rocprim17ROCPRIM_400000_NS6detail17trampoline_kernelINS0_14default_configENS1_29reduce_by_key_config_selectorIllN6thrust23THRUST_200600_302600_NS4plusIlEEEEZZNS1_33reduce_by_key_impl_wrapped_configILNS1_25lookback_scan_determinismE0ES3_S9_PlNS6_17constant_iteratorIiNS6_11use_defaultESE_EENS6_10device_ptrIlEESH_PmS8_NS6_8equal_toIlEEEE10hipError_tPvRmT2_T3_mT4_T5_T6_T7_T8_P12ihipStream_tbENKUlT_T0_E_clISt17integral_constantIbLb0EES11_IbLb1EEEEDaSX_SY_EUlSX_E_NS1_11comp_targetILNS1_3genE9ELNS1_11target_archE1100ELNS1_3gpuE3ELNS1_3repE0EEENS1_30default_config_static_selectorELNS0_4arch9wavefront6targetE1EEEvT1_, .Lfunc_end1238-_ZN7rocprim17ROCPRIM_400000_NS6detail17trampoline_kernelINS0_14default_configENS1_29reduce_by_key_config_selectorIllN6thrust23THRUST_200600_302600_NS4plusIlEEEEZZNS1_33reduce_by_key_impl_wrapped_configILNS1_25lookback_scan_determinismE0ES3_S9_PlNS6_17constant_iteratorIiNS6_11use_defaultESE_EENS6_10device_ptrIlEESH_PmS8_NS6_8equal_toIlEEEE10hipError_tPvRmT2_T3_mT4_T5_T6_T7_T8_P12ihipStream_tbENKUlT_T0_E_clISt17integral_constantIbLb0EES11_IbLb1EEEEDaSX_SY_EUlSX_E_NS1_11comp_targetILNS1_3genE9ELNS1_11target_archE1100ELNS1_3gpuE3ELNS1_3repE0EEENS1_30default_config_static_selectorELNS0_4arch9wavefront6targetE1EEEvT1_
                                        ; -- End function
	.section	.AMDGPU.csdata,"",@progbits
; Kernel info:
; codeLenInByte = 0
; NumSgprs: 4
; NumVgprs: 0
; NumAgprs: 0
; TotalNumVgprs: 0
; ScratchSize: 0
; MemoryBound: 0
; FloatMode: 240
; IeeeMode: 1
; LDSByteSize: 0 bytes/workgroup (compile time only)
; SGPRBlocks: 0
; VGPRBlocks: 0
; NumSGPRsForWavesPerEU: 4
; NumVGPRsForWavesPerEU: 1
; AccumOffset: 4
; Occupancy: 8
; WaveLimiterHint : 0
; COMPUTE_PGM_RSRC2:SCRATCH_EN: 0
; COMPUTE_PGM_RSRC2:USER_SGPR: 6
; COMPUTE_PGM_RSRC2:TRAP_HANDLER: 0
; COMPUTE_PGM_RSRC2:TGID_X_EN: 1
; COMPUTE_PGM_RSRC2:TGID_Y_EN: 0
; COMPUTE_PGM_RSRC2:TGID_Z_EN: 0
; COMPUTE_PGM_RSRC2:TIDIG_COMP_CNT: 0
; COMPUTE_PGM_RSRC3_GFX90A:ACCUM_OFFSET: 0
; COMPUTE_PGM_RSRC3_GFX90A:TG_SPLIT: 0
	.section	.text._ZN7rocprim17ROCPRIM_400000_NS6detail17trampoline_kernelINS0_14default_configENS1_29reduce_by_key_config_selectorIllN6thrust23THRUST_200600_302600_NS4plusIlEEEEZZNS1_33reduce_by_key_impl_wrapped_configILNS1_25lookback_scan_determinismE0ES3_S9_PlNS6_17constant_iteratorIiNS6_11use_defaultESE_EENS6_10device_ptrIlEESH_PmS8_NS6_8equal_toIlEEEE10hipError_tPvRmT2_T3_mT4_T5_T6_T7_T8_P12ihipStream_tbENKUlT_T0_E_clISt17integral_constantIbLb0EES11_IbLb1EEEEDaSX_SY_EUlSX_E_NS1_11comp_targetILNS1_3genE8ELNS1_11target_archE1030ELNS1_3gpuE2ELNS1_3repE0EEENS1_30default_config_static_selectorELNS0_4arch9wavefront6targetE1EEEvT1_,"axG",@progbits,_ZN7rocprim17ROCPRIM_400000_NS6detail17trampoline_kernelINS0_14default_configENS1_29reduce_by_key_config_selectorIllN6thrust23THRUST_200600_302600_NS4plusIlEEEEZZNS1_33reduce_by_key_impl_wrapped_configILNS1_25lookback_scan_determinismE0ES3_S9_PlNS6_17constant_iteratorIiNS6_11use_defaultESE_EENS6_10device_ptrIlEESH_PmS8_NS6_8equal_toIlEEEE10hipError_tPvRmT2_T3_mT4_T5_T6_T7_T8_P12ihipStream_tbENKUlT_T0_E_clISt17integral_constantIbLb0EES11_IbLb1EEEEDaSX_SY_EUlSX_E_NS1_11comp_targetILNS1_3genE8ELNS1_11target_archE1030ELNS1_3gpuE2ELNS1_3repE0EEENS1_30default_config_static_selectorELNS0_4arch9wavefront6targetE1EEEvT1_,comdat
	.protected	_ZN7rocprim17ROCPRIM_400000_NS6detail17trampoline_kernelINS0_14default_configENS1_29reduce_by_key_config_selectorIllN6thrust23THRUST_200600_302600_NS4plusIlEEEEZZNS1_33reduce_by_key_impl_wrapped_configILNS1_25lookback_scan_determinismE0ES3_S9_PlNS6_17constant_iteratorIiNS6_11use_defaultESE_EENS6_10device_ptrIlEESH_PmS8_NS6_8equal_toIlEEEE10hipError_tPvRmT2_T3_mT4_T5_T6_T7_T8_P12ihipStream_tbENKUlT_T0_E_clISt17integral_constantIbLb0EES11_IbLb1EEEEDaSX_SY_EUlSX_E_NS1_11comp_targetILNS1_3genE8ELNS1_11target_archE1030ELNS1_3gpuE2ELNS1_3repE0EEENS1_30default_config_static_selectorELNS0_4arch9wavefront6targetE1EEEvT1_ ; -- Begin function _ZN7rocprim17ROCPRIM_400000_NS6detail17trampoline_kernelINS0_14default_configENS1_29reduce_by_key_config_selectorIllN6thrust23THRUST_200600_302600_NS4plusIlEEEEZZNS1_33reduce_by_key_impl_wrapped_configILNS1_25lookback_scan_determinismE0ES3_S9_PlNS6_17constant_iteratorIiNS6_11use_defaultESE_EENS6_10device_ptrIlEESH_PmS8_NS6_8equal_toIlEEEE10hipError_tPvRmT2_T3_mT4_T5_T6_T7_T8_P12ihipStream_tbENKUlT_T0_E_clISt17integral_constantIbLb0EES11_IbLb1EEEEDaSX_SY_EUlSX_E_NS1_11comp_targetILNS1_3genE8ELNS1_11target_archE1030ELNS1_3gpuE2ELNS1_3repE0EEENS1_30default_config_static_selectorELNS0_4arch9wavefront6targetE1EEEvT1_
	.globl	_ZN7rocprim17ROCPRIM_400000_NS6detail17trampoline_kernelINS0_14default_configENS1_29reduce_by_key_config_selectorIllN6thrust23THRUST_200600_302600_NS4plusIlEEEEZZNS1_33reduce_by_key_impl_wrapped_configILNS1_25lookback_scan_determinismE0ES3_S9_PlNS6_17constant_iteratorIiNS6_11use_defaultESE_EENS6_10device_ptrIlEESH_PmS8_NS6_8equal_toIlEEEE10hipError_tPvRmT2_T3_mT4_T5_T6_T7_T8_P12ihipStream_tbENKUlT_T0_E_clISt17integral_constantIbLb0EES11_IbLb1EEEEDaSX_SY_EUlSX_E_NS1_11comp_targetILNS1_3genE8ELNS1_11target_archE1030ELNS1_3gpuE2ELNS1_3repE0EEENS1_30default_config_static_selectorELNS0_4arch9wavefront6targetE1EEEvT1_
	.p2align	8
	.type	_ZN7rocprim17ROCPRIM_400000_NS6detail17trampoline_kernelINS0_14default_configENS1_29reduce_by_key_config_selectorIllN6thrust23THRUST_200600_302600_NS4plusIlEEEEZZNS1_33reduce_by_key_impl_wrapped_configILNS1_25lookback_scan_determinismE0ES3_S9_PlNS6_17constant_iteratorIiNS6_11use_defaultESE_EENS6_10device_ptrIlEESH_PmS8_NS6_8equal_toIlEEEE10hipError_tPvRmT2_T3_mT4_T5_T6_T7_T8_P12ihipStream_tbENKUlT_T0_E_clISt17integral_constantIbLb0EES11_IbLb1EEEEDaSX_SY_EUlSX_E_NS1_11comp_targetILNS1_3genE8ELNS1_11target_archE1030ELNS1_3gpuE2ELNS1_3repE0EEENS1_30default_config_static_selectorELNS0_4arch9wavefront6targetE1EEEvT1_,@function
_ZN7rocprim17ROCPRIM_400000_NS6detail17trampoline_kernelINS0_14default_configENS1_29reduce_by_key_config_selectorIllN6thrust23THRUST_200600_302600_NS4plusIlEEEEZZNS1_33reduce_by_key_impl_wrapped_configILNS1_25lookback_scan_determinismE0ES3_S9_PlNS6_17constant_iteratorIiNS6_11use_defaultESE_EENS6_10device_ptrIlEESH_PmS8_NS6_8equal_toIlEEEE10hipError_tPvRmT2_T3_mT4_T5_T6_T7_T8_P12ihipStream_tbENKUlT_T0_E_clISt17integral_constantIbLb0EES11_IbLb1EEEEDaSX_SY_EUlSX_E_NS1_11comp_targetILNS1_3genE8ELNS1_11target_archE1030ELNS1_3gpuE2ELNS1_3repE0EEENS1_30default_config_static_selectorELNS0_4arch9wavefront6targetE1EEEvT1_: ; @_ZN7rocprim17ROCPRIM_400000_NS6detail17trampoline_kernelINS0_14default_configENS1_29reduce_by_key_config_selectorIllN6thrust23THRUST_200600_302600_NS4plusIlEEEEZZNS1_33reduce_by_key_impl_wrapped_configILNS1_25lookback_scan_determinismE0ES3_S9_PlNS6_17constant_iteratorIiNS6_11use_defaultESE_EENS6_10device_ptrIlEESH_PmS8_NS6_8equal_toIlEEEE10hipError_tPvRmT2_T3_mT4_T5_T6_T7_T8_P12ihipStream_tbENKUlT_T0_E_clISt17integral_constantIbLb0EES11_IbLb1EEEEDaSX_SY_EUlSX_E_NS1_11comp_targetILNS1_3genE8ELNS1_11target_archE1030ELNS1_3gpuE2ELNS1_3repE0EEENS1_30default_config_static_selectorELNS0_4arch9wavefront6targetE1EEEvT1_
; %bb.0:
	.section	.rodata,"a",@progbits
	.p2align	6, 0x0
	.amdhsa_kernel _ZN7rocprim17ROCPRIM_400000_NS6detail17trampoline_kernelINS0_14default_configENS1_29reduce_by_key_config_selectorIllN6thrust23THRUST_200600_302600_NS4plusIlEEEEZZNS1_33reduce_by_key_impl_wrapped_configILNS1_25lookback_scan_determinismE0ES3_S9_PlNS6_17constant_iteratorIiNS6_11use_defaultESE_EENS6_10device_ptrIlEESH_PmS8_NS6_8equal_toIlEEEE10hipError_tPvRmT2_T3_mT4_T5_T6_T7_T8_P12ihipStream_tbENKUlT_T0_E_clISt17integral_constantIbLb0EES11_IbLb1EEEEDaSX_SY_EUlSX_E_NS1_11comp_targetILNS1_3genE8ELNS1_11target_archE1030ELNS1_3gpuE2ELNS1_3repE0EEENS1_30default_config_static_selectorELNS0_4arch9wavefront6targetE1EEEvT1_
		.amdhsa_group_segment_fixed_size 0
		.amdhsa_private_segment_fixed_size 0
		.amdhsa_kernarg_size 144
		.amdhsa_user_sgpr_count 6
		.amdhsa_user_sgpr_private_segment_buffer 1
		.amdhsa_user_sgpr_dispatch_ptr 0
		.amdhsa_user_sgpr_queue_ptr 0
		.amdhsa_user_sgpr_kernarg_segment_ptr 1
		.amdhsa_user_sgpr_dispatch_id 0
		.amdhsa_user_sgpr_flat_scratch_init 0
		.amdhsa_user_sgpr_kernarg_preload_length 0
		.amdhsa_user_sgpr_kernarg_preload_offset 0
		.amdhsa_user_sgpr_private_segment_size 0
		.amdhsa_uses_dynamic_stack 0
		.amdhsa_system_sgpr_private_segment_wavefront_offset 0
		.amdhsa_system_sgpr_workgroup_id_x 1
		.amdhsa_system_sgpr_workgroup_id_y 0
		.amdhsa_system_sgpr_workgroup_id_z 0
		.amdhsa_system_sgpr_workgroup_info 0
		.amdhsa_system_vgpr_workitem_id 0
		.amdhsa_next_free_vgpr 1
		.amdhsa_next_free_sgpr 0
		.amdhsa_accum_offset 4
		.amdhsa_reserve_vcc 0
		.amdhsa_reserve_flat_scratch 0
		.amdhsa_float_round_mode_32 0
		.amdhsa_float_round_mode_16_64 0
		.amdhsa_float_denorm_mode_32 3
		.amdhsa_float_denorm_mode_16_64 3
		.amdhsa_dx10_clamp 1
		.amdhsa_ieee_mode 1
		.amdhsa_fp16_overflow 0
		.amdhsa_tg_split 0
		.amdhsa_exception_fp_ieee_invalid_op 0
		.amdhsa_exception_fp_denorm_src 0
		.amdhsa_exception_fp_ieee_div_zero 0
		.amdhsa_exception_fp_ieee_overflow 0
		.amdhsa_exception_fp_ieee_underflow 0
		.amdhsa_exception_fp_ieee_inexact 0
		.amdhsa_exception_int_div_zero 0
	.end_amdhsa_kernel
	.section	.text._ZN7rocprim17ROCPRIM_400000_NS6detail17trampoline_kernelINS0_14default_configENS1_29reduce_by_key_config_selectorIllN6thrust23THRUST_200600_302600_NS4plusIlEEEEZZNS1_33reduce_by_key_impl_wrapped_configILNS1_25lookback_scan_determinismE0ES3_S9_PlNS6_17constant_iteratorIiNS6_11use_defaultESE_EENS6_10device_ptrIlEESH_PmS8_NS6_8equal_toIlEEEE10hipError_tPvRmT2_T3_mT4_T5_T6_T7_T8_P12ihipStream_tbENKUlT_T0_E_clISt17integral_constantIbLb0EES11_IbLb1EEEEDaSX_SY_EUlSX_E_NS1_11comp_targetILNS1_3genE8ELNS1_11target_archE1030ELNS1_3gpuE2ELNS1_3repE0EEENS1_30default_config_static_selectorELNS0_4arch9wavefront6targetE1EEEvT1_,"axG",@progbits,_ZN7rocprim17ROCPRIM_400000_NS6detail17trampoline_kernelINS0_14default_configENS1_29reduce_by_key_config_selectorIllN6thrust23THRUST_200600_302600_NS4plusIlEEEEZZNS1_33reduce_by_key_impl_wrapped_configILNS1_25lookback_scan_determinismE0ES3_S9_PlNS6_17constant_iteratorIiNS6_11use_defaultESE_EENS6_10device_ptrIlEESH_PmS8_NS6_8equal_toIlEEEE10hipError_tPvRmT2_T3_mT4_T5_T6_T7_T8_P12ihipStream_tbENKUlT_T0_E_clISt17integral_constantIbLb0EES11_IbLb1EEEEDaSX_SY_EUlSX_E_NS1_11comp_targetILNS1_3genE8ELNS1_11target_archE1030ELNS1_3gpuE2ELNS1_3repE0EEENS1_30default_config_static_selectorELNS0_4arch9wavefront6targetE1EEEvT1_,comdat
.Lfunc_end1239:
	.size	_ZN7rocprim17ROCPRIM_400000_NS6detail17trampoline_kernelINS0_14default_configENS1_29reduce_by_key_config_selectorIllN6thrust23THRUST_200600_302600_NS4plusIlEEEEZZNS1_33reduce_by_key_impl_wrapped_configILNS1_25lookback_scan_determinismE0ES3_S9_PlNS6_17constant_iteratorIiNS6_11use_defaultESE_EENS6_10device_ptrIlEESH_PmS8_NS6_8equal_toIlEEEE10hipError_tPvRmT2_T3_mT4_T5_T6_T7_T8_P12ihipStream_tbENKUlT_T0_E_clISt17integral_constantIbLb0EES11_IbLb1EEEEDaSX_SY_EUlSX_E_NS1_11comp_targetILNS1_3genE8ELNS1_11target_archE1030ELNS1_3gpuE2ELNS1_3repE0EEENS1_30default_config_static_selectorELNS0_4arch9wavefront6targetE1EEEvT1_, .Lfunc_end1239-_ZN7rocprim17ROCPRIM_400000_NS6detail17trampoline_kernelINS0_14default_configENS1_29reduce_by_key_config_selectorIllN6thrust23THRUST_200600_302600_NS4plusIlEEEEZZNS1_33reduce_by_key_impl_wrapped_configILNS1_25lookback_scan_determinismE0ES3_S9_PlNS6_17constant_iteratorIiNS6_11use_defaultESE_EENS6_10device_ptrIlEESH_PmS8_NS6_8equal_toIlEEEE10hipError_tPvRmT2_T3_mT4_T5_T6_T7_T8_P12ihipStream_tbENKUlT_T0_E_clISt17integral_constantIbLb0EES11_IbLb1EEEEDaSX_SY_EUlSX_E_NS1_11comp_targetILNS1_3genE8ELNS1_11target_archE1030ELNS1_3gpuE2ELNS1_3repE0EEENS1_30default_config_static_selectorELNS0_4arch9wavefront6targetE1EEEvT1_
                                        ; -- End function
	.section	.AMDGPU.csdata,"",@progbits
; Kernel info:
; codeLenInByte = 0
; NumSgprs: 4
; NumVgprs: 0
; NumAgprs: 0
; TotalNumVgprs: 0
; ScratchSize: 0
; MemoryBound: 0
; FloatMode: 240
; IeeeMode: 1
; LDSByteSize: 0 bytes/workgroup (compile time only)
; SGPRBlocks: 0
; VGPRBlocks: 0
; NumSGPRsForWavesPerEU: 4
; NumVGPRsForWavesPerEU: 1
; AccumOffset: 4
; Occupancy: 8
; WaveLimiterHint : 0
; COMPUTE_PGM_RSRC2:SCRATCH_EN: 0
; COMPUTE_PGM_RSRC2:USER_SGPR: 6
; COMPUTE_PGM_RSRC2:TRAP_HANDLER: 0
; COMPUTE_PGM_RSRC2:TGID_X_EN: 1
; COMPUTE_PGM_RSRC2:TGID_Y_EN: 0
; COMPUTE_PGM_RSRC2:TGID_Z_EN: 0
; COMPUTE_PGM_RSRC2:TIDIG_COMP_CNT: 0
; COMPUTE_PGM_RSRC3_GFX90A:ACCUM_OFFSET: 0
; COMPUTE_PGM_RSRC3_GFX90A:TG_SPLIT: 0
	.section	.text._ZN7rocprim17ROCPRIM_400000_NS6detail17trampoline_kernelINS0_14default_configENS1_22reduce_config_selectorIN6thrust23THRUST_200600_302600_NS5tupleIblNS6_9null_typeES8_S8_S8_S8_S8_S8_S8_EEEEZNS1_11reduce_implILb1ES3_NS6_12zip_iteratorINS7_INS6_11hip_rocprim26transform_input_iterator_tIbPlNS6_6detail10functional5actorINSH_9compositeIJNSH_27transparent_binary_operatorINS6_8equal_toIvEEEENSI_INSH_8argumentILj0EEEEENSH_5valueIlEEEEEEEEENSD_19counting_iterator_tIlEES8_S8_S8_S8_S8_S8_S8_S8_EEEEPS9_S9_NSD_9__find_if7functorIS9_EEEE10hipError_tPvRmT1_T2_T3_mT4_P12ihipStream_tbEUlT_E0_NS1_11comp_targetILNS1_3genE0ELNS1_11target_archE4294967295ELNS1_3gpuE0ELNS1_3repE0EEENS1_30default_config_static_selectorELNS0_4arch9wavefront6targetE1EEEvS17_,"axG",@progbits,_ZN7rocprim17ROCPRIM_400000_NS6detail17trampoline_kernelINS0_14default_configENS1_22reduce_config_selectorIN6thrust23THRUST_200600_302600_NS5tupleIblNS6_9null_typeES8_S8_S8_S8_S8_S8_S8_EEEEZNS1_11reduce_implILb1ES3_NS6_12zip_iteratorINS7_INS6_11hip_rocprim26transform_input_iterator_tIbPlNS6_6detail10functional5actorINSH_9compositeIJNSH_27transparent_binary_operatorINS6_8equal_toIvEEEENSI_INSH_8argumentILj0EEEEENSH_5valueIlEEEEEEEEENSD_19counting_iterator_tIlEES8_S8_S8_S8_S8_S8_S8_S8_EEEEPS9_S9_NSD_9__find_if7functorIS9_EEEE10hipError_tPvRmT1_T2_T3_mT4_P12ihipStream_tbEUlT_E0_NS1_11comp_targetILNS1_3genE0ELNS1_11target_archE4294967295ELNS1_3gpuE0ELNS1_3repE0EEENS1_30default_config_static_selectorELNS0_4arch9wavefront6targetE1EEEvS17_,comdat
	.protected	_ZN7rocprim17ROCPRIM_400000_NS6detail17trampoline_kernelINS0_14default_configENS1_22reduce_config_selectorIN6thrust23THRUST_200600_302600_NS5tupleIblNS6_9null_typeES8_S8_S8_S8_S8_S8_S8_EEEEZNS1_11reduce_implILb1ES3_NS6_12zip_iteratorINS7_INS6_11hip_rocprim26transform_input_iterator_tIbPlNS6_6detail10functional5actorINSH_9compositeIJNSH_27transparent_binary_operatorINS6_8equal_toIvEEEENSI_INSH_8argumentILj0EEEEENSH_5valueIlEEEEEEEEENSD_19counting_iterator_tIlEES8_S8_S8_S8_S8_S8_S8_S8_EEEEPS9_S9_NSD_9__find_if7functorIS9_EEEE10hipError_tPvRmT1_T2_T3_mT4_P12ihipStream_tbEUlT_E0_NS1_11comp_targetILNS1_3genE0ELNS1_11target_archE4294967295ELNS1_3gpuE0ELNS1_3repE0EEENS1_30default_config_static_selectorELNS0_4arch9wavefront6targetE1EEEvS17_ ; -- Begin function _ZN7rocprim17ROCPRIM_400000_NS6detail17trampoline_kernelINS0_14default_configENS1_22reduce_config_selectorIN6thrust23THRUST_200600_302600_NS5tupleIblNS6_9null_typeES8_S8_S8_S8_S8_S8_S8_EEEEZNS1_11reduce_implILb1ES3_NS6_12zip_iteratorINS7_INS6_11hip_rocprim26transform_input_iterator_tIbPlNS6_6detail10functional5actorINSH_9compositeIJNSH_27transparent_binary_operatorINS6_8equal_toIvEEEENSI_INSH_8argumentILj0EEEEENSH_5valueIlEEEEEEEEENSD_19counting_iterator_tIlEES8_S8_S8_S8_S8_S8_S8_S8_EEEEPS9_S9_NSD_9__find_if7functorIS9_EEEE10hipError_tPvRmT1_T2_T3_mT4_P12ihipStream_tbEUlT_E0_NS1_11comp_targetILNS1_3genE0ELNS1_11target_archE4294967295ELNS1_3gpuE0ELNS1_3repE0EEENS1_30default_config_static_selectorELNS0_4arch9wavefront6targetE1EEEvS17_
	.globl	_ZN7rocprim17ROCPRIM_400000_NS6detail17trampoline_kernelINS0_14default_configENS1_22reduce_config_selectorIN6thrust23THRUST_200600_302600_NS5tupleIblNS6_9null_typeES8_S8_S8_S8_S8_S8_S8_EEEEZNS1_11reduce_implILb1ES3_NS6_12zip_iteratorINS7_INS6_11hip_rocprim26transform_input_iterator_tIbPlNS6_6detail10functional5actorINSH_9compositeIJNSH_27transparent_binary_operatorINS6_8equal_toIvEEEENSI_INSH_8argumentILj0EEEEENSH_5valueIlEEEEEEEEENSD_19counting_iterator_tIlEES8_S8_S8_S8_S8_S8_S8_S8_EEEEPS9_S9_NSD_9__find_if7functorIS9_EEEE10hipError_tPvRmT1_T2_T3_mT4_P12ihipStream_tbEUlT_E0_NS1_11comp_targetILNS1_3genE0ELNS1_11target_archE4294967295ELNS1_3gpuE0ELNS1_3repE0EEENS1_30default_config_static_selectorELNS0_4arch9wavefront6targetE1EEEvS17_
	.p2align	8
	.type	_ZN7rocprim17ROCPRIM_400000_NS6detail17trampoline_kernelINS0_14default_configENS1_22reduce_config_selectorIN6thrust23THRUST_200600_302600_NS5tupleIblNS6_9null_typeES8_S8_S8_S8_S8_S8_S8_EEEEZNS1_11reduce_implILb1ES3_NS6_12zip_iteratorINS7_INS6_11hip_rocprim26transform_input_iterator_tIbPlNS6_6detail10functional5actorINSH_9compositeIJNSH_27transparent_binary_operatorINS6_8equal_toIvEEEENSI_INSH_8argumentILj0EEEEENSH_5valueIlEEEEEEEEENSD_19counting_iterator_tIlEES8_S8_S8_S8_S8_S8_S8_S8_EEEEPS9_S9_NSD_9__find_if7functorIS9_EEEE10hipError_tPvRmT1_T2_T3_mT4_P12ihipStream_tbEUlT_E0_NS1_11comp_targetILNS1_3genE0ELNS1_11target_archE4294967295ELNS1_3gpuE0ELNS1_3repE0EEENS1_30default_config_static_selectorELNS0_4arch9wavefront6targetE1EEEvS17_,@function
_ZN7rocprim17ROCPRIM_400000_NS6detail17trampoline_kernelINS0_14default_configENS1_22reduce_config_selectorIN6thrust23THRUST_200600_302600_NS5tupleIblNS6_9null_typeES8_S8_S8_S8_S8_S8_S8_EEEEZNS1_11reduce_implILb1ES3_NS6_12zip_iteratorINS7_INS6_11hip_rocprim26transform_input_iterator_tIbPlNS6_6detail10functional5actorINSH_9compositeIJNSH_27transparent_binary_operatorINS6_8equal_toIvEEEENSI_INSH_8argumentILj0EEEEENSH_5valueIlEEEEEEEEENSD_19counting_iterator_tIlEES8_S8_S8_S8_S8_S8_S8_S8_EEEEPS9_S9_NSD_9__find_if7functorIS9_EEEE10hipError_tPvRmT1_T2_T3_mT4_P12ihipStream_tbEUlT_E0_NS1_11comp_targetILNS1_3genE0ELNS1_11target_archE4294967295ELNS1_3gpuE0ELNS1_3repE0EEENS1_30default_config_static_selectorELNS0_4arch9wavefront6targetE1EEEvS17_: ; @_ZN7rocprim17ROCPRIM_400000_NS6detail17trampoline_kernelINS0_14default_configENS1_22reduce_config_selectorIN6thrust23THRUST_200600_302600_NS5tupleIblNS6_9null_typeES8_S8_S8_S8_S8_S8_S8_EEEEZNS1_11reduce_implILb1ES3_NS6_12zip_iteratorINS7_INS6_11hip_rocprim26transform_input_iterator_tIbPlNS6_6detail10functional5actorINSH_9compositeIJNSH_27transparent_binary_operatorINS6_8equal_toIvEEEENSI_INSH_8argumentILj0EEEEENSH_5valueIlEEEEEEEEENSD_19counting_iterator_tIlEES8_S8_S8_S8_S8_S8_S8_S8_EEEEPS9_S9_NSD_9__find_if7functorIS9_EEEE10hipError_tPvRmT1_T2_T3_mT4_P12ihipStream_tbEUlT_E0_NS1_11comp_targetILNS1_3genE0ELNS1_11target_archE4294967295ELNS1_3gpuE0ELNS1_3repE0EEENS1_30default_config_static_selectorELNS0_4arch9wavefront6targetE1EEEvS17_
; %bb.0:
	.section	.rodata,"a",@progbits
	.p2align	6, 0x0
	.amdhsa_kernel _ZN7rocprim17ROCPRIM_400000_NS6detail17trampoline_kernelINS0_14default_configENS1_22reduce_config_selectorIN6thrust23THRUST_200600_302600_NS5tupleIblNS6_9null_typeES8_S8_S8_S8_S8_S8_S8_EEEEZNS1_11reduce_implILb1ES3_NS6_12zip_iteratorINS7_INS6_11hip_rocprim26transform_input_iterator_tIbPlNS6_6detail10functional5actorINSH_9compositeIJNSH_27transparent_binary_operatorINS6_8equal_toIvEEEENSI_INSH_8argumentILj0EEEEENSH_5valueIlEEEEEEEEENSD_19counting_iterator_tIlEES8_S8_S8_S8_S8_S8_S8_S8_EEEEPS9_S9_NSD_9__find_if7functorIS9_EEEE10hipError_tPvRmT1_T2_T3_mT4_P12ihipStream_tbEUlT_E0_NS1_11comp_targetILNS1_3genE0ELNS1_11target_archE4294967295ELNS1_3gpuE0ELNS1_3repE0EEENS1_30default_config_static_selectorELNS0_4arch9wavefront6targetE1EEEvS17_
		.amdhsa_group_segment_fixed_size 0
		.amdhsa_private_segment_fixed_size 0
		.amdhsa_kernarg_size 96
		.amdhsa_user_sgpr_count 6
		.amdhsa_user_sgpr_private_segment_buffer 1
		.amdhsa_user_sgpr_dispatch_ptr 0
		.amdhsa_user_sgpr_queue_ptr 0
		.amdhsa_user_sgpr_kernarg_segment_ptr 1
		.amdhsa_user_sgpr_dispatch_id 0
		.amdhsa_user_sgpr_flat_scratch_init 0
		.amdhsa_user_sgpr_kernarg_preload_length 0
		.amdhsa_user_sgpr_kernarg_preload_offset 0
		.amdhsa_user_sgpr_private_segment_size 0
		.amdhsa_uses_dynamic_stack 0
		.amdhsa_system_sgpr_private_segment_wavefront_offset 0
		.amdhsa_system_sgpr_workgroup_id_x 1
		.amdhsa_system_sgpr_workgroup_id_y 0
		.amdhsa_system_sgpr_workgroup_id_z 0
		.amdhsa_system_sgpr_workgroup_info 0
		.amdhsa_system_vgpr_workitem_id 0
		.amdhsa_next_free_vgpr 1
		.amdhsa_next_free_sgpr 0
		.amdhsa_accum_offset 4
		.amdhsa_reserve_vcc 0
		.amdhsa_reserve_flat_scratch 0
		.amdhsa_float_round_mode_32 0
		.amdhsa_float_round_mode_16_64 0
		.amdhsa_float_denorm_mode_32 3
		.amdhsa_float_denorm_mode_16_64 3
		.amdhsa_dx10_clamp 1
		.amdhsa_ieee_mode 1
		.amdhsa_fp16_overflow 0
		.amdhsa_tg_split 0
		.amdhsa_exception_fp_ieee_invalid_op 0
		.amdhsa_exception_fp_denorm_src 0
		.amdhsa_exception_fp_ieee_div_zero 0
		.amdhsa_exception_fp_ieee_overflow 0
		.amdhsa_exception_fp_ieee_underflow 0
		.amdhsa_exception_fp_ieee_inexact 0
		.amdhsa_exception_int_div_zero 0
	.end_amdhsa_kernel
	.section	.text._ZN7rocprim17ROCPRIM_400000_NS6detail17trampoline_kernelINS0_14default_configENS1_22reduce_config_selectorIN6thrust23THRUST_200600_302600_NS5tupleIblNS6_9null_typeES8_S8_S8_S8_S8_S8_S8_EEEEZNS1_11reduce_implILb1ES3_NS6_12zip_iteratorINS7_INS6_11hip_rocprim26transform_input_iterator_tIbPlNS6_6detail10functional5actorINSH_9compositeIJNSH_27transparent_binary_operatorINS6_8equal_toIvEEEENSI_INSH_8argumentILj0EEEEENSH_5valueIlEEEEEEEEENSD_19counting_iterator_tIlEES8_S8_S8_S8_S8_S8_S8_S8_EEEEPS9_S9_NSD_9__find_if7functorIS9_EEEE10hipError_tPvRmT1_T2_T3_mT4_P12ihipStream_tbEUlT_E0_NS1_11comp_targetILNS1_3genE0ELNS1_11target_archE4294967295ELNS1_3gpuE0ELNS1_3repE0EEENS1_30default_config_static_selectorELNS0_4arch9wavefront6targetE1EEEvS17_,"axG",@progbits,_ZN7rocprim17ROCPRIM_400000_NS6detail17trampoline_kernelINS0_14default_configENS1_22reduce_config_selectorIN6thrust23THRUST_200600_302600_NS5tupleIblNS6_9null_typeES8_S8_S8_S8_S8_S8_S8_EEEEZNS1_11reduce_implILb1ES3_NS6_12zip_iteratorINS7_INS6_11hip_rocprim26transform_input_iterator_tIbPlNS6_6detail10functional5actorINSH_9compositeIJNSH_27transparent_binary_operatorINS6_8equal_toIvEEEENSI_INSH_8argumentILj0EEEEENSH_5valueIlEEEEEEEEENSD_19counting_iterator_tIlEES8_S8_S8_S8_S8_S8_S8_S8_EEEEPS9_S9_NSD_9__find_if7functorIS9_EEEE10hipError_tPvRmT1_T2_T3_mT4_P12ihipStream_tbEUlT_E0_NS1_11comp_targetILNS1_3genE0ELNS1_11target_archE4294967295ELNS1_3gpuE0ELNS1_3repE0EEENS1_30default_config_static_selectorELNS0_4arch9wavefront6targetE1EEEvS17_,comdat
.Lfunc_end1240:
	.size	_ZN7rocprim17ROCPRIM_400000_NS6detail17trampoline_kernelINS0_14default_configENS1_22reduce_config_selectorIN6thrust23THRUST_200600_302600_NS5tupleIblNS6_9null_typeES8_S8_S8_S8_S8_S8_S8_EEEEZNS1_11reduce_implILb1ES3_NS6_12zip_iteratorINS7_INS6_11hip_rocprim26transform_input_iterator_tIbPlNS6_6detail10functional5actorINSH_9compositeIJNSH_27transparent_binary_operatorINS6_8equal_toIvEEEENSI_INSH_8argumentILj0EEEEENSH_5valueIlEEEEEEEEENSD_19counting_iterator_tIlEES8_S8_S8_S8_S8_S8_S8_S8_EEEEPS9_S9_NSD_9__find_if7functorIS9_EEEE10hipError_tPvRmT1_T2_T3_mT4_P12ihipStream_tbEUlT_E0_NS1_11comp_targetILNS1_3genE0ELNS1_11target_archE4294967295ELNS1_3gpuE0ELNS1_3repE0EEENS1_30default_config_static_selectorELNS0_4arch9wavefront6targetE1EEEvS17_, .Lfunc_end1240-_ZN7rocprim17ROCPRIM_400000_NS6detail17trampoline_kernelINS0_14default_configENS1_22reduce_config_selectorIN6thrust23THRUST_200600_302600_NS5tupleIblNS6_9null_typeES8_S8_S8_S8_S8_S8_S8_EEEEZNS1_11reduce_implILb1ES3_NS6_12zip_iteratorINS7_INS6_11hip_rocprim26transform_input_iterator_tIbPlNS6_6detail10functional5actorINSH_9compositeIJNSH_27transparent_binary_operatorINS6_8equal_toIvEEEENSI_INSH_8argumentILj0EEEEENSH_5valueIlEEEEEEEEENSD_19counting_iterator_tIlEES8_S8_S8_S8_S8_S8_S8_S8_EEEEPS9_S9_NSD_9__find_if7functorIS9_EEEE10hipError_tPvRmT1_T2_T3_mT4_P12ihipStream_tbEUlT_E0_NS1_11comp_targetILNS1_3genE0ELNS1_11target_archE4294967295ELNS1_3gpuE0ELNS1_3repE0EEENS1_30default_config_static_selectorELNS0_4arch9wavefront6targetE1EEEvS17_
                                        ; -- End function
	.section	.AMDGPU.csdata,"",@progbits
; Kernel info:
; codeLenInByte = 0
; NumSgprs: 4
; NumVgprs: 0
; NumAgprs: 0
; TotalNumVgprs: 0
; ScratchSize: 0
; MemoryBound: 0
; FloatMode: 240
; IeeeMode: 1
; LDSByteSize: 0 bytes/workgroup (compile time only)
; SGPRBlocks: 0
; VGPRBlocks: 0
; NumSGPRsForWavesPerEU: 4
; NumVGPRsForWavesPerEU: 1
; AccumOffset: 4
; Occupancy: 8
; WaveLimiterHint : 0
; COMPUTE_PGM_RSRC2:SCRATCH_EN: 0
; COMPUTE_PGM_RSRC2:USER_SGPR: 6
; COMPUTE_PGM_RSRC2:TRAP_HANDLER: 0
; COMPUTE_PGM_RSRC2:TGID_X_EN: 1
; COMPUTE_PGM_RSRC2:TGID_Y_EN: 0
; COMPUTE_PGM_RSRC2:TGID_Z_EN: 0
; COMPUTE_PGM_RSRC2:TIDIG_COMP_CNT: 0
; COMPUTE_PGM_RSRC3_GFX90A:ACCUM_OFFSET: 0
; COMPUTE_PGM_RSRC3_GFX90A:TG_SPLIT: 0
	.section	.text._ZN7rocprim17ROCPRIM_400000_NS6detail17trampoline_kernelINS0_14default_configENS1_22reduce_config_selectorIN6thrust23THRUST_200600_302600_NS5tupleIblNS6_9null_typeES8_S8_S8_S8_S8_S8_S8_EEEEZNS1_11reduce_implILb1ES3_NS6_12zip_iteratorINS7_INS6_11hip_rocprim26transform_input_iterator_tIbPlNS6_6detail10functional5actorINSH_9compositeIJNSH_27transparent_binary_operatorINS6_8equal_toIvEEEENSI_INSH_8argumentILj0EEEEENSH_5valueIlEEEEEEEEENSD_19counting_iterator_tIlEES8_S8_S8_S8_S8_S8_S8_S8_EEEEPS9_S9_NSD_9__find_if7functorIS9_EEEE10hipError_tPvRmT1_T2_T3_mT4_P12ihipStream_tbEUlT_E0_NS1_11comp_targetILNS1_3genE5ELNS1_11target_archE942ELNS1_3gpuE9ELNS1_3repE0EEENS1_30default_config_static_selectorELNS0_4arch9wavefront6targetE1EEEvS17_,"axG",@progbits,_ZN7rocprim17ROCPRIM_400000_NS6detail17trampoline_kernelINS0_14default_configENS1_22reduce_config_selectorIN6thrust23THRUST_200600_302600_NS5tupleIblNS6_9null_typeES8_S8_S8_S8_S8_S8_S8_EEEEZNS1_11reduce_implILb1ES3_NS6_12zip_iteratorINS7_INS6_11hip_rocprim26transform_input_iterator_tIbPlNS6_6detail10functional5actorINSH_9compositeIJNSH_27transparent_binary_operatorINS6_8equal_toIvEEEENSI_INSH_8argumentILj0EEEEENSH_5valueIlEEEEEEEEENSD_19counting_iterator_tIlEES8_S8_S8_S8_S8_S8_S8_S8_EEEEPS9_S9_NSD_9__find_if7functorIS9_EEEE10hipError_tPvRmT1_T2_T3_mT4_P12ihipStream_tbEUlT_E0_NS1_11comp_targetILNS1_3genE5ELNS1_11target_archE942ELNS1_3gpuE9ELNS1_3repE0EEENS1_30default_config_static_selectorELNS0_4arch9wavefront6targetE1EEEvS17_,comdat
	.protected	_ZN7rocprim17ROCPRIM_400000_NS6detail17trampoline_kernelINS0_14default_configENS1_22reduce_config_selectorIN6thrust23THRUST_200600_302600_NS5tupleIblNS6_9null_typeES8_S8_S8_S8_S8_S8_S8_EEEEZNS1_11reduce_implILb1ES3_NS6_12zip_iteratorINS7_INS6_11hip_rocprim26transform_input_iterator_tIbPlNS6_6detail10functional5actorINSH_9compositeIJNSH_27transparent_binary_operatorINS6_8equal_toIvEEEENSI_INSH_8argumentILj0EEEEENSH_5valueIlEEEEEEEEENSD_19counting_iterator_tIlEES8_S8_S8_S8_S8_S8_S8_S8_EEEEPS9_S9_NSD_9__find_if7functorIS9_EEEE10hipError_tPvRmT1_T2_T3_mT4_P12ihipStream_tbEUlT_E0_NS1_11comp_targetILNS1_3genE5ELNS1_11target_archE942ELNS1_3gpuE9ELNS1_3repE0EEENS1_30default_config_static_selectorELNS0_4arch9wavefront6targetE1EEEvS17_ ; -- Begin function _ZN7rocprim17ROCPRIM_400000_NS6detail17trampoline_kernelINS0_14default_configENS1_22reduce_config_selectorIN6thrust23THRUST_200600_302600_NS5tupleIblNS6_9null_typeES8_S8_S8_S8_S8_S8_S8_EEEEZNS1_11reduce_implILb1ES3_NS6_12zip_iteratorINS7_INS6_11hip_rocprim26transform_input_iterator_tIbPlNS6_6detail10functional5actorINSH_9compositeIJNSH_27transparent_binary_operatorINS6_8equal_toIvEEEENSI_INSH_8argumentILj0EEEEENSH_5valueIlEEEEEEEEENSD_19counting_iterator_tIlEES8_S8_S8_S8_S8_S8_S8_S8_EEEEPS9_S9_NSD_9__find_if7functorIS9_EEEE10hipError_tPvRmT1_T2_T3_mT4_P12ihipStream_tbEUlT_E0_NS1_11comp_targetILNS1_3genE5ELNS1_11target_archE942ELNS1_3gpuE9ELNS1_3repE0EEENS1_30default_config_static_selectorELNS0_4arch9wavefront6targetE1EEEvS17_
	.globl	_ZN7rocprim17ROCPRIM_400000_NS6detail17trampoline_kernelINS0_14default_configENS1_22reduce_config_selectorIN6thrust23THRUST_200600_302600_NS5tupleIblNS6_9null_typeES8_S8_S8_S8_S8_S8_S8_EEEEZNS1_11reduce_implILb1ES3_NS6_12zip_iteratorINS7_INS6_11hip_rocprim26transform_input_iterator_tIbPlNS6_6detail10functional5actorINSH_9compositeIJNSH_27transparent_binary_operatorINS6_8equal_toIvEEEENSI_INSH_8argumentILj0EEEEENSH_5valueIlEEEEEEEEENSD_19counting_iterator_tIlEES8_S8_S8_S8_S8_S8_S8_S8_EEEEPS9_S9_NSD_9__find_if7functorIS9_EEEE10hipError_tPvRmT1_T2_T3_mT4_P12ihipStream_tbEUlT_E0_NS1_11comp_targetILNS1_3genE5ELNS1_11target_archE942ELNS1_3gpuE9ELNS1_3repE0EEENS1_30default_config_static_selectorELNS0_4arch9wavefront6targetE1EEEvS17_
	.p2align	8
	.type	_ZN7rocprim17ROCPRIM_400000_NS6detail17trampoline_kernelINS0_14default_configENS1_22reduce_config_selectorIN6thrust23THRUST_200600_302600_NS5tupleIblNS6_9null_typeES8_S8_S8_S8_S8_S8_S8_EEEEZNS1_11reduce_implILb1ES3_NS6_12zip_iteratorINS7_INS6_11hip_rocprim26transform_input_iterator_tIbPlNS6_6detail10functional5actorINSH_9compositeIJNSH_27transparent_binary_operatorINS6_8equal_toIvEEEENSI_INSH_8argumentILj0EEEEENSH_5valueIlEEEEEEEEENSD_19counting_iterator_tIlEES8_S8_S8_S8_S8_S8_S8_S8_EEEEPS9_S9_NSD_9__find_if7functorIS9_EEEE10hipError_tPvRmT1_T2_T3_mT4_P12ihipStream_tbEUlT_E0_NS1_11comp_targetILNS1_3genE5ELNS1_11target_archE942ELNS1_3gpuE9ELNS1_3repE0EEENS1_30default_config_static_selectorELNS0_4arch9wavefront6targetE1EEEvS17_,@function
_ZN7rocprim17ROCPRIM_400000_NS6detail17trampoline_kernelINS0_14default_configENS1_22reduce_config_selectorIN6thrust23THRUST_200600_302600_NS5tupleIblNS6_9null_typeES8_S8_S8_S8_S8_S8_S8_EEEEZNS1_11reduce_implILb1ES3_NS6_12zip_iteratorINS7_INS6_11hip_rocprim26transform_input_iterator_tIbPlNS6_6detail10functional5actorINSH_9compositeIJNSH_27transparent_binary_operatorINS6_8equal_toIvEEEENSI_INSH_8argumentILj0EEEEENSH_5valueIlEEEEEEEEENSD_19counting_iterator_tIlEES8_S8_S8_S8_S8_S8_S8_S8_EEEEPS9_S9_NSD_9__find_if7functorIS9_EEEE10hipError_tPvRmT1_T2_T3_mT4_P12ihipStream_tbEUlT_E0_NS1_11comp_targetILNS1_3genE5ELNS1_11target_archE942ELNS1_3gpuE9ELNS1_3repE0EEENS1_30default_config_static_selectorELNS0_4arch9wavefront6targetE1EEEvS17_: ; @_ZN7rocprim17ROCPRIM_400000_NS6detail17trampoline_kernelINS0_14default_configENS1_22reduce_config_selectorIN6thrust23THRUST_200600_302600_NS5tupleIblNS6_9null_typeES8_S8_S8_S8_S8_S8_S8_EEEEZNS1_11reduce_implILb1ES3_NS6_12zip_iteratorINS7_INS6_11hip_rocprim26transform_input_iterator_tIbPlNS6_6detail10functional5actorINSH_9compositeIJNSH_27transparent_binary_operatorINS6_8equal_toIvEEEENSI_INSH_8argumentILj0EEEEENSH_5valueIlEEEEEEEEENSD_19counting_iterator_tIlEES8_S8_S8_S8_S8_S8_S8_S8_EEEEPS9_S9_NSD_9__find_if7functorIS9_EEEE10hipError_tPvRmT1_T2_T3_mT4_P12ihipStream_tbEUlT_E0_NS1_11comp_targetILNS1_3genE5ELNS1_11target_archE942ELNS1_3gpuE9ELNS1_3repE0EEENS1_30default_config_static_selectorELNS0_4arch9wavefront6targetE1EEEvS17_
; %bb.0:
	.section	.rodata,"a",@progbits
	.p2align	6, 0x0
	.amdhsa_kernel _ZN7rocprim17ROCPRIM_400000_NS6detail17trampoline_kernelINS0_14default_configENS1_22reduce_config_selectorIN6thrust23THRUST_200600_302600_NS5tupleIblNS6_9null_typeES8_S8_S8_S8_S8_S8_S8_EEEEZNS1_11reduce_implILb1ES3_NS6_12zip_iteratorINS7_INS6_11hip_rocprim26transform_input_iterator_tIbPlNS6_6detail10functional5actorINSH_9compositeIJNSH_27transparent_binary_operatorINS6_8equal_toIvEEEENSI_INSH_8argumentILj0EEEEENSH_5valueIlEEEEEEEEENSD_19counting_iterator_tIlEES8_S8_S8_S8_S8_S8_S8_S8_EEEEPS9_S9_NSD_9__find_if7functorIS9_EEEE10hipError_tPvRmT1_T2_T3_mT4_P12ihipStream_tbEUlT_E0_NS1_11comp_targetILNS1_3genE5ELNS1_11target_archE942ELNS1_3gpuE9ELNS1_3repE0EEENS1_30default_config_static_selectorELNS0_4arch9wavefront6targetE1EEEvS17_
		.amdhsa_group_segment_fixed_size 0
		.amdhsa_private_segment_fixed_size 0
		.amdhsa_kernarg_size 96
		.amdhsa_user_sgpr_count 6
		.amdhsa_user_sgpr_private_segment_buffer 1
		.amdhsa_user_sgpr_dispatch_ptr 0
		.amdhsa_user_sgpr_queue_ptr 0
		.amdhsa_user_sgpr_kernarg_segment_ptr 1
		.amdhsa_user_sgpr_dispatch_id 0
		.amdhsa_user_sgpr_flat_scratch_init 0
		.amdhsa_user_sgpr_kernarg_preload_length 0
		.amdhsa_user_sgpr_kernarg_preload_offset 0
		.amdhsa_user_sgpr_private_segment_size 0
		.amdhsa_uses_dynamic_stack 0
		.amdhsa_system_sgpr_private_segment_wavefront_offset 0
		.amdhsa_system_sgpr_workgroup_id_x 1
		.amdhsa_system_sgpr_workgroup_id_y 0
		.amdhsa_system_sgpr_workgroup_id_z 0
		.amdhsa_system_sgpr_workgroup_info 0
		.amdhsa_system_vgpr_workitem_id 0
		.amdhsa_next_free_vgpr 1
		.amdhsa_next_free_sgpr 0
		.amdhsa_accum_offset 4
		.amdhsa_reserve_vcc 0
		.amdhsa_reserve_flat_scratch 0
		.amdhsa_float_round_mode_32 0
		.amdhsa_float_round_mode_16_64 0
		.amdhsa_float_denorm_mode_32 3
		.amdhsa_float_denorm_mode_16_64 3
		.amdhsa_dx10_clamp 1
		.amdhsa_ieee_mode 1
		.amdhsa_fp16_overflow 0
		.amdhsa_tg_split 0
		.amdhsa_exception_fp_ieee_invalid_op 0
		.amdhsa_exception_fp_denorm_src 0
		.amdhsa_exception_fp_ieee_div_zero 0
		.amdhsa_exception_fp_ieee_overflow 0
		.amdhsa_exception_fp_ieee_underflow 0
		.amdhsa_exception_fp_ieee_inexact 0
		.amdhsa_exception_int_div_zero 0
	.end_amdhsa_kernel
	.section	.text._ZN7rocprim17ROCPRIM_400000_NS6detail17trampoline_kernelINS0_14default_configENS1_22reduce_config_selectorIN6thrust23THRUST_200600_302600_NS5tupleIblNS6_9null_typeES8_S8_S8_S8_S8_S8_S8_EEEEZNS1_11reduce_implILb1ES3_NS6_12zip_iteratorINS7_INS6_11hip_rocprim26transform_input_iterator_tIbPlNS6_6detail10functional5actorINSH_9compositeIJNSH_27transparent_binary_operatorINS6_8equal_toIvEEEENSI_INSH_8argumentILj0EEEEENSH_5valueIlEEEEEEEEENSD_19counting_iterator_tIlEES8_S8_S8_S8_S8_S8_S8_S8_EEEEPS9_S9_NSD_9__find_if7functorIS9_EEEE10hipError_tPvRmT1_T2_T3_mT4_P12ihipStream_tbEUlT_E0_NS1_11comp_targetILNS1_3genE5ELNS1_11target_archE942ELNS1_3gpuE9ELNS1_3repE0EEENS1_30default_config_static_selectorELNS0_4arch9wavefront6targetE1EEEvS17_,"axG",@progbits,_ZN7rocprim17ROCPRIM_400000_NS6detail17trampoline_kernelINS0_14default_configENS1_22reduce_config_selectorIN6thrust23THRUST_200600_302600_NS5tupleIblNS6_9null_typeES8_S8_S8_S8_S8_S8_S8_EEEEZNS1_11reduce_implILb1ES3_NS6_12zip_iteratorINS7_INS6_11hip_rocprim26transform_input_iterator_tIbPlNS6_6detail10functional5actorINSH_9compositeIJNSH_27transparent_binary_operatorINS6_8equal_toIvEEEENSI_INSH_8argumentILj0EEEEENSH_5valueIlEEEEEEEEENSD_19counting_iterator_tIlEES8_S8_S8_S8_S8_S8_S8_S8_EEEEPS9_S9_NSD_9__find_if7functorIS9_EEEE10hipError_tPvRmT1_T2_T3_mT4_P12ihipStream_tbEUlT_E0_NS1_11comp_targetILNS1_3genE5ELNS1_11target_archE942ELNS1_3gpuE9ELNS1_3repE0EEENS1_30default_config_static_selectorELNS0_4arch9wavefront6targetE1EEEvS17_,comdat
.Lfunc_end1241:
	.size	_ZN7rocprim17ROCPRIM_400000_NS6detail17trampoline_kernelINS0_14default_configENS1_22reduce_config_selectorIN6thrust23THRUST_200600_302600_NS5tupleIblNS6_9null_typeES8_S8_S8_S8_S8_S8_S8_EEEEZNS1_11reduce_implILb1ES3_NS6_12zip_iteratorINS7_INS6_11hip_rocprim26transform_input_iterator_tIbPlNS6_6detail10functional5actorINSH_9compositeIJNSH_27transparent_binary_operatorINS6_8equal_toIvEEEENSI_INSH_8argumentILj0EEEEENSH_5valueIlEEEEEEEEENSD_19counting_iterator_tIlEES8_S8_S8_S8_S8_S8_S8_S8_EEEEPS9_S9_NSD_9__find_if7functorIS9_EEEE10hipError_tPvRmT1_T2_T3_mT4_P12ihipStream_tbEUlT_E0_NS1_11comp_targetILNS1_3genE5ELNS1_11target_archE942ELNS1_3gpuE9ELNS1_3repE0EEENS1_30default_config_static_selectorELNS0_4arch9wavefront6targetE1EEEvS17_, .Lfunc_end1241-_ZN7rocprim17ROCPRIM_400000_NS6detail17trampoline_kernelINS0_14default_configENS1_22reduce_config_selectorIN6thrust23THRUST_200600_302600_NS5tupleIblNS6_9null_typeES8_S8_S8_S8_S8_S8_S8_EEEEZNS1_11reduce_implILb1ES3_NS6_12zip_iteratorINS7_INS6_11hip_rocprim26transform_input_iterator_tIbPlNS6_6detail10functional5actorINSH_9compositeIJNSH_27transparent_binary_operatorINS6_8equal_toIvEEEENSI_INSH_8argumentILj0EEEEENSH_5valueIlEEEEEEEEENSD_19counting_iterator_tIlEES8_S8_S8_S8_S8_S8_S8_S8_EEEEPS9_S9_NSD_9__find_if7functorIS9_EEEE10hipError_tPvRmT1_T2_T3_mT4_P12ihipStream_tbEUlT_E0_NS1_11comp_targetILNS1_3genE5ELNS1_11target_archE942ELNS1_3gpuE9ELNS1_3repE0EEENS1_30default_config_static_selectorELNS0_4arch9wavefront6targetE1EEEvS17_
                                        ; -- End function
	.section	.AMDGPU.csdata,"",@progbits
; Kernel info:
; codeLenInByte = 0
; NumSgprs: 4
; NumVgprs: 0
; NumAgprs: 0
; TotalNumVgprs: 0
; ScratchSize: 0
; MemoryBound: 0
; FloatMode: 240
; IeeeMode: 1
; LDSByteSize: 0 bytes/workgroup (compile time only)
; SGPRBlocks: 0
; VGPRBlocks: 0
; NumSGPRsForWavesPerEU: 4
; NumVGPRsForWavesPerEU: 1
; AccumOffset: 4
; Occupancy: 8
; WaveLimiterHint : 0
; COMPUTE_PGM_RSRC2:SCRATCH_EN: 0
; COMPUTE_PGM_RSRC2:USER_SGPR: 6
; COMPUTE_PGM_RSRC2:TRAP_HANDLER: 0
; COMPUTE_PGM_RSRC2:TGID_X_EN: 1
; COMPUTE_PGM_RSRC2:TGID_Y_EN: 0
; COMPUTE_PGM_RSRC2:TGID_Z_EN: 0
; COMPUTE_PGM_RSRC2:TIDIG_COMP_CNT: 0
; COMPUTE_PGM_RSRC3_GFX90A:ACCUM_OFFSET: 0
; COMPUTE_PGM_RSRC3_GFX90A:TG_SPLIT: 0
	.section	.text._ZN7rocprim17ROCPRIM_400000_NS6detail17trampoline_kernelINS0_14default_configENS1_22reduce_config_selectorIN6thrust23THRUST_200600_302600_NS5tupleIblNS6_9null_typeES8_S8_S8_S8_S8_S8_S8_EEEEZNS1_11reduce_implILb1ES3_NS6_12zip_iteratorINS7_INS6_11hip_rocprim26transform_input_iterator_tIbPlNS6_6detail10functional5actorINSH_9compositeIJNSH_27transparent_binary_operatorINS6_8equal_toIvEEEENSI_INSH_8argumentILj0EEEEENSH_5valueIlEEEEEEEEENSD_19counting_iterator_tIlEES8_S8_S8_S8_S8_S8_S8_S8_EEEEPS9_S9_NSD_9__find_if7functorIS9_EEEE10hipError_tPvRmT1_T2_T3_mT4_P12ihipStream_tbEUlT_E0_NS1_11comp_targetILNS1_3genE4ELNS1_11target_archE910ELNS1_3gpuE8ELNS1_3repE0EEENS1_30default_config_static_selectorELNS0_4arch9wavefront6targetE1EEEvS17_,"axG",@progbits,_ZN7rocprim17ROCPRIM_400000_NS6detail17trampoline_kernelINS0_14default_configENS1_22reduce_config_selectorIN6thrust23THRUST_200600_302600_NS5tupleIblNS6_9null_typeES8_S8_S8_S8_S8_S8_S8_EEEEZNS1_11reduce_implILb1ES3_NS6_12zip_iteratorINS7_INS6_11hip_rocprim26transform_input_iterator_tIbPlNS6_6detail10functional5actorINSH_9compositeIJNSH_27transparent_binary_operatorINS6_8equal_toIvEEEENSI_INSH_8argumentILj0EEEEENSH_5valueIlEEEEEEEEENSD_19counting_iterator_tIlEES8_S8_S8_S8_S8_S8_S8_S8_EEEEPS9_S9_NSD_9__find_if7functorIS9_EEEE10hipError_tPvRmT1_T2_T3_mT4_P12ihipStream_tbEUlT_E0_NS1_11comp_targetILNS1_3genE4ELNS1_11target_archE910ELNS1_3gpuE8ELNS1_3repE0EEENS1_30default_config_static_selectorELNS0_4arch9wavefront6targetE1EEEvS17_,comdat
	.protected	_ZN7rocprim17ROCPRIM_400000_NS6detail17trampoline_kernelINS0_14default_configENS1_22reduce_config_selectorIN6thrust23THRUST_200600_302600_NS5tupleIblNS6_9null_typeES8_S8_S8_S8_S8_S8_S8_EEEEZNS1_11reduce_implILb1ES3_NS6_12zip_iteratorINS7_INS6_11hip_rocprim26transform_input_iterator_tIbPlNS6_6detail10functional5actorINSH_9compositeIJNSH_27transparent_binary_operatorINS6_8equal_toIvEEEENSI_INSH_8argumentILj0EEEEENSH_5valueIlEEEEEEEEENSD_19counting_iterator_tIlEES8_S8_S8_S8_S8_S8_S8_S8_EEEEPS9_S9_NSD_9__find_if7functorIS9_EEEE10hipError_tPvRmT1_T2_T3_mT4_P12ihipStream_tbEUlT_E0_NS1_11comp_targetILNS1_3genE4ELNS1_11target_archE910ELNS1_3gpuE8ELNS1_3repE0EEENS1_30default_config_static_selectorELNS0_4arch9wavefront6targetE1EEEvS17_ ; -- Begin function _ZN7rocprim17ROCPRIM_400000_NS6detail17trampoline_kernelINS0_14default_configENS1_22reduce_config_selectorIN6thrust23THRUST_200600_302600_NS5tupleIblNS6_9null_typeES8_S8_S8_S8_S8_S8_S8_EEEEZNS1_11reduce_implILb1ES3_NS6_12zip_iteratorINS7_INS6_11hip_rocprim26transform_input_iterator_tIbPlNS6_6detail10functional5actorINSH_9compositeIJNSH_27transparent_binary_operatorINS6_8equal_toIvEEEENSI_INSH_8argumentILj0EEEEENSH_5valueIlEEEEEEEEENSD_19counting_iterator_tIlEES8_S8_S8_S8_S8_S8_S8_S8_EEEEPS9_S9_NSD_9__find_if7functorIS9_EEEE10hipError_tPvRmT1_T2_T3_mT4_P12ihipStream_tbEUlT_E0_NS1_11comp_targetILNS1_3genE4ELNS1_11target_archE910ELNS1_3gpuE8ELNS1_3repE0EEENS1_30default_config_static_selectorELNS0_4arch9wavefront6targetE1EEEvS17_
	.globl	_ZN7rocprim17ROCPRIM_400000_NS6detail17trampoline_kernelINS0_14default_configENS1_22reduce_config_selectorIN6thrust23THRUST_200600_302600_NS5tupleIblNS6_9null_typeES8_S8_S8_S8_S8_S8_S8_EEEEZNS1_11reduce_implILb1ES3_NS6_12zip_iteratorINS7_INS6_11hip_rocprim26transform_input_iterator_tIbPlNS6_6detail10functional5actorINSH_9compositeIJNSH_27transparent_binary_operatorINS6_8equal_toIvEEEENSI_INSH_8argumentILj0EEEEENSH_5valueIlEEEEEEEEENSD_19counting_iterator_tIlEES8_S8_S8_S8_S8_S8_S8_S8_EEEEPS9_S9_NSD_9__find_if7functorIS9_EEEE10hipError_tPvRmT1_T2_T3_mT4_P12ihipStream_tbEUlT_E0_NS1_11comp_targetILNS1_3genE4ELNS1_11target_archE910ELNS1_3gpuE8ELNS1_3repE0EEENS1_30default_config_static_selectorELNS0_4arch9wavefront6targetE1EEEvS17_
	.p2align	8
	.type	_ZN7rocprim17ROCPRIM_400000_NS6detail17trampoline_kernelINS0_14default_configENS1_22reduce_config_selectorIN6thrust23THRUST_200600_302600_NS5tupleIblNS6_9null_typeES8_S8_S8_S8_S8_S8_S8_EEEEZNS1_11reduce_implILb1ES3_NS6_12zip_iteratorINS7_INS6_11hip_rocprim26transform_input_iterator_tIbPlNS6_6detail10functional5actorINSH_9compositeIJNSH_27transparent_binary_operatorINS6_8equal_toIvEEEENSI_INSH_8argumentILj0EEEEENSH_5valueIlEEEEEEEEENSD_19counting_iterator_tIlEES8_S8_S8_S8_S8_S8_S8_S8_EEEEPS9_S9_NSD_9__find_if7functorIS9_EEEE10hipError_tPvRmT1_T2_T3_mT4_P12ihipStream_tbEUlT_E0_NS1_11comp_targetILNS1_3genE4ELNS1_11target_archE910ELNS1_3gpuE8ELNS1_3repE0EEENS1_30default_config_static_selectorELNS0_4arch9wavefront6targetE1EEEvS17_,@function
_ZN7rocprim17ROCPRIM_400000_NS6detail17trampoline_kernelINS0_14default_configENS1_22reduce_config_selectorIN6thrust23THRUST_200600_302600_NS5tupleIblNS6_9null_typeES8_S8_S8_S8_S8_S8_S8_EEEEZNS1_11reduce_implILb1ES3_NS6_12zip_iteratorINS7_INS6_11hip_rocprim26transform_input_iterator_tIbPlNS6_6detail10functional5actorINSH_9compositeIJNSH_27transparent_binary_operatorINS6_8equal_toIvEEEENSI_INSH_8argumentILj0EEEEENSH_5valueIlEEEEEEEEENSD_19counting_iterator_tIlEES8_S8_S8_S8_S8_S8_S8_S8_EEEEPS9_S9_NSD_9__find_if7functorIS9_EEEE10hipError_tPvRmT1_T2_T3_mT4_P12ihipStream_tbEUlT_E0_NS1_11comp_targetILNS1_3genE4ELNS1_11target_archE910ELNS1_3gpuE8ELNS1_3repE0EEENS1_30default_config_static_selectorELNS0_4arch9wavefront6targetE1EEEvS17_: ; @_ZN7rocprim17ROCPRIM_400000_NS6detail17trampoline_kernelINS0_14default_configENS1_22reduce_config_selectorIN6thrust23THRUST_200600_302600_NS5tupleIblNS6_9null_typeES8_S8_S8_S8_S8_S8_S8_EEEEZNS1_11reduce_implILb1ES3_NS6_12zip_iteratorINS7_INS6_11hip_rocprim26transform_input_iterator_tIbPlNS6_6detail10functional5actorINSH_9compositeIJNSH_27transparent_binary_operatorINS6_8equal_toIvEEEENSI_INSH_8argumentILj0EEEEENSH_5valueIlEEEEEEEEENSD_19counting_iterator_tIlEES8_S8_S8_S8_S8_S8_S8_S8_EEEEPS9_S9_NSD_9__find_if7functorIS9_EEEE10hipError_tPvRmT1_T2_T3_mT4_P12ihipStream_tbEUlT_E0_NS1_11comp_targetILNS1_3genE4ELNS1_11target_archE910ELNS1_3gpuE8ELNS1_3repE0EEENS1_30default_config_static_selectorELNS0_4arch9wavefront6targetE1EEEvS17_
; %bb.0:
	s_load_dwordx8 s[8:15], s[4:5], 0x10
	s_load_dwordx2 s[0:1], s[4:5], 0x0
	s_load_dwordx2 s[2:3], s[4:5], 0x40
	s_load_dwordx4 s[16:19], s[4:5], 0x30
	s_mov_b32 s23, 0
	s_waitcnt lgkmcnt(0)
	s_lshl_b64 s[20:21], s[12:13], 3
	s_add_u32 s24, s0, s20
	s_addc_u32 s25, s1, s21
	s_lshl_b32 s22, s6, 9
	s_lshr_b64 s[0:1], s[14:15], 9
	s_lshl_b64 s[20:21], s[22:23], 3
	s_add_u32 s20, s24, s20
	s_addc_u32 s21, s25, s21
	s_add_u32 s10, s10, s22
	s_addc_u32 s11, s11, 0
	s_mov_b32 s7, s23
	s_add_u32 s23, s10, s12
	s_addc_u32 s13, s11, s13
	s_cmp_lg_u64 s[0:1], s[6:7]
	v_lshlrev_b32_e32 v1, 3, v0
	s_cbranch_scc0 .LBB1242_18
; %bb.1:
	global_load_dwordx2 v[2:3], v1, s[20:21] offset:2048
	global_load_dwordx2 v[4:5], v1, s[20:21]
	v_mov_b32_e32 v6, s13
	v_add_co_u32_e32 v7, vcc, s23, v0
	v_addc_co_u32_e32 v6, vcc, 0, v6, vcc
	v_add_co_u32_e32 v8, vcc, 0x100, v7
	v_addc_co_u32_e32 v9, vcc, 0, v6, vcc
	s_waitcnt vmcnt(1)
	v_cmp_eq_u64_e32 vcc, s[8:9], v[2:3]
	s_waitcnt vmcnt(0)
	v_cmp_eq_u64_e64 s[0:1], s[8:9], v[4:5]
	v_cndmask_b32_e64 v3, v9, v6, s[0:1]
	v_cndmask_b32_e64 v2, v8, v7, s[0:1]
	s_or_b64 s[0:1], s[0:1], vcc
	v_cndmask_b32_e64 v6, 0, 1, s[0:1]
	v_mov_b32_dpp v4, v2 quad_perm:[1,0,3,2] row_mask:0xf bank_mask:0xf bound_ctrl:1
	v_mov_b32_dpp v5, v3 quad_perm:[1,0,3,2] row_mask:0xf bank_mask:0xf bound_ctrl:1
	;; [unrolled: 1-line block ×3, first 2 shown]
	v_and_b32_e32 v8, 1, v7
	v_cmp_eq_u32_e32 vcc, 1, v8
	s_and_saveexec_b64 s[10:11], vcc
; %bb.2:
	v_cmp_lt_i64_e32 vcc, v[2:3], v[4:5]
	v_cndmask_b32_e64 v7, v7, 1, s[0:1]
	s_and_b64 vcc, s[0:1], vcc
	v_cndmask_b32_e32 v2, v4, v2, vcc
	v_and_b32_e32 v4, 1, v7
	v_cndmask_b32_e32 v3, v5, v3, vcc
	v_cmp_eq_u32_e32 vcc, 1, v4
	s_andn2_b64 s[0:1], s[0:1], exec
	s_and_b64 s[24:25], vcc, exec
	v_and_b32_e32 v6, 0xff, v7
	s_or_b64 s[0:1], s[0:1], s[24:25]
; %bb.3:
	s_or_b64 exec, exec, s[10:11]
	v_mov_b32_dpp v7, v6 quad_perm:[2,3,0,1] row_mask:0xf bank_mask:0xf bound_ctrl:1
	v_and_b32_e32 v8, 1, v7
	v_mov_b32_dpp v4, v2 quad_perm:[2,3,0,1] row_mask:0xf bank_mask:0xf bound_ctrl:1
	v_mov_b32_dpp v5, v3 quad_perm:[2,3,0,1] row_mask:0xf bank_mask:0xf bound_ctrl:1
	v_cmp_eq_u32_e32 vcc, 1, v8
	s_and_saveexec_b64 s[10:11], vcc
; %bb.4:
	v_cmp_lt_i64_e32 vcc, v[2:3], v[4:5]
	v_cndmask_b32_e64 v7, v7, 1, s[0:1]
	s_and_b64 vcc, s[0:1], vcc
	v_cndmask_b32_e32 v2, v4, v2, vcc
	v_and_b32_e32 v4, 1, v7
	v_cndmask_b32_e32 v3, v5, v3, vcc
	v_cmp_eq_u32_e32 vcc, 1, v4
	s_andn2_b64 s[0:1], s[0:1], exec
	s_and_b64 s[24:25], vcc, exec
	v_and_b32_e32 v6, 0xff, v7
	s_or_b64 s[0:1], s[0:1], s[24:25]
; %bb.5:
	s_or_b64 exec, exec, s[10:11]
	v_mov_b32_dpp v7, v6 row_ror:4 row_mask:0xf bank_mask:0xf bound_ctrl:1
	v_and_b32_e32 v8, 1, v7
	v_mov_b32_dpp v4, v2 row_ror:4 row_mask:0xf bank_mask:0xf bound_ctrl:1
	v_mov_b32_dpp v5, v3 row_ror:4 row_mask:0xf bank_mask:0xf bound_ctrl:1
	v_cmp_eq_u32_e32 vcc, 1, v8
	s_and_saveexec_b64 s[10:11], vcc
; %bb.6:
	v_cmp_lt_i64_e32 vcc, v[2:3], v[4:5]
	v_cndmask_b32_e64 v7, v7, 1, s[0:1]
	s_and_b64 vcc, s[0:1], vcc
	v_cndmask_b32_e32 v2, v4, v2, vcc
	v_and_b32_e32 v4, 1, v7
	v_cndmask_b32_e32 v3, v5, v3, vcc
	v_cmp_eq_u32_e32 vcc, 1, v4
	s_andn2_b64 s[0:1], s[0:1], exec
	s_and_b64 s[24:25], vcc, exec
	v_and_b32_e32 v6, 0xff, v7
	s_or_b64 s[0:1], s[0:1], s[24:25]
; %bb.7:
	s_or_b64 exec, exec, s[10:11]
	v_mov_b32_dpp v7, v6 row_ror:8 row_mask:0xf bank_mask:0xf bound_ctrl:1
	v_and_b32_e32 v8, 1, v7
	v_mov_b32_dpp v4, v2 row_ror:8 row_mask:0xf bank_mask:0xf bound_ctrl:1
	v_mov_b32_dpp v5, v3 row_ror:8 row_mask:0xf bank_mask:0xf bound_ctrl:1
	v_cmp_eq_u32_e32 vcc, 1, v8
	s_and_saveexec_b64 s[10:11], vcc
; %bb.8:
	v_cmp_lt_i64_e32 vcc, v[2:3], v[4:5]
	v_cndmask_b32_e64 v7, v7, 1, s[0:1]
	s_and_b64 vcc, s[0:1], vcc
	v_cndmask_b32_e32 v2, v4, v2, vcc
	v_and_b32_e32 v4, 1, v7
	v_cndmask_b32_e32 v3, v5, v3, vcc
	v_cmp_eq_u32_e32 vcc, 1, v4
	s_andn2_b64 s[0:1], s[0:1], exec
	s_and_b64 s[24:25], vcc, exec
	v_and_b32_e32 v6, 0xff, v7
	s_or_b64 s[0:1], s[0:1], s[24:25]
; %bb.9:
	s_or_b64 exec, exec, s[10:11]
	v_mov_b32_dpp v7, v6 row_bcast:15 row_mask:0xf bank_mask:0xf bound_ctrl:1
	v_and_b32_e32 v8, 1, v7
	v_mov_b32_dpp v4, v2 row_bcast:15 row_mask:0xf bank_mask:0xf bound_ctrl:1
	v_mov_b32_dpp v5, v3 row_bcast:15 row_mask:0xf bank_mask:0xf bound_ctrl:1
	v_cmp_eq_u32_e32 vcc, 1, v8
	s_and_saveexec_b64 s[10:11], vcc
; %bb.10:
	v_cmp_lt_i64_e32 vcc, v[2:3], v[4:5]
	v_cndmask_b32_e64 v7, v7, 1, s[0:1]
	s_and_b64 vcc, s[0:1], vcc
	v_cndmask_b32_e32 v2, v4, v2, vcc
	v_and_b32_e32 v4, 1, v7
	v_cndmask_b32_e32 v3, v5, v3, vcc
	v_cmp_eq_u32_e32 vcc, 1, v4
	s_andn2_b64 s[0:1], s[0:1], exec
	s_and_b64 s[24:25], vcc, exec
	v_and_b32_e32 v6, 0xff, v7
	s_or_b64 s[0:1], s[0:1], s[24:25]
; %bb.11:
	s_or_b64 exec, exec, s[10:11]
	v_mov_b32_dpp v7, v6 row_bcast:31 row_mask:0xf bank_mask:0xf bound_ctrl:1
	v_and_b32_e32 v8, 1, v7
	v_mov_b32_dpp v4, v2 row_bcast:31 row_mask:0xf bank_mask:0xf bound_ctrl:1
	v_mov_b32_dpp v5, v3 row_bcast:31 row_mask:0xf bank_mask:0xf bound_ctrl:1
	v_cmp_eq_u32_e32 vcc, 1, v8
	s_and_saveexec_b64 s[10:11], vcc
; %bb.12:
	v_cmp_lt_i64_e32 vcc, v[2:3], v[4:5]
	v_and_b32_e32 v6, 0xff, v7
	s_and_b64 vcc, s[0:1], vcc
	v_cndmask_b32_e32 v2, v4, v2, vcc
	v_cndmask_b32_e32 v3, v5, v3, vcc
	v_cndmask_b32_e64 v6, v6, 1, s[0:1]
; %bb.13:
	s_or_b64 exec, exec, s[10:11]
	v_mbcnt_lo_u32_b32 v4, -1, 0
	v_mbcnt_hi_u32_b32 v4, -1, v4
	v_bfrev_b32_e32 v5, 0.5
	v_lshl_or_b32 v5, v4, 2, v5
	ds_bpermute_b32 v6, v5, v6
	ds_bpermute_b32 v2, v5, v2
	;; [unrolled: 1-line block ×3, first 2 shown]
	v_cmp_eq_u32_e32 vcc, 0, v4
	s_and_saveexec_b64 s[0:1], vcc
	s_cbranch_execz .LBB1242_15
; %bb.14:
	v_lshrrev_b32_e32 v5, 2, v0
	v_and_b32_e32 v5, 48, v5
	s_waitcnt lgkmcnt(2)
	ds_write_b8 v5, v6
	s_waitcnt lgkmcnt(1)
	ds_write_b64 v5, v[2:3] offset:8
.LBB1242_15:
	s_or_b64 exec, exec, s[0:1]
	v_cmp_gt_u32_e32 vcc, 64, v0
	s_waitcnt lgkmcnt(0)
	s_barrier
	s_and_saveexec_b64 s[10:11], vcc
	s_cbranch_execz .LBB1242_17
; %bb.16:
	v_and_b32_e32 v5, 3, v4
	v_lshlrev_b32_e32 v2, 4, v5
	ds_read_u8 v8, v2
	ds_read_b64 v[2:3], v2 offset:8
	v_cmp_ne_u32_e32 vcc, 3, v5
	v_addc_co_u32_e32 v6, vcc, 0, v4, vcc
	s_waitcnt lgkmcnt(1)
	v_and_b32_e32 v7, 0xff, v8
	v_lshlrev_b32_e32 v9, 2, v6
	ds_bpermute_b32 v10, v9, v7
	s_waitcnt lgkmcnt(1)
	ds_bpermute_b32 v6, v9, v2
	ds_bpermute_b32 v7, v9, v3
	v_and_b32_e32 v9, 1, v8
	s_waitcnt lgkmcnt(2)
	v_and_b32_e32 v11, 1, v10
	v_cmp_eq_u32_e64 s[0:1], 1, v11
	s_waitcnt lgkmcnt(0)
	v_cmp_lt_i64_e32 vcc, v[6:7], v[2:3]
	s_and_b64 vcc, s[0:1], vcc
	v_cndmask_b32_e64 v8, v8, 1, s[0:1]
	v_cndmask_b32_e32 v2, v2, v6, vcc
	v_cndmask_b32_e32 v3, v3, v7, vcc
	v_cmp_eq_u32_e32 vcc, 1, v9
	v_cndmask_b32_e32 v8, v10, v8, vcc
	v_cndmask_b32_e32 v3, v7, v3, vcc
	;; [unrolled: 1-line block ×3, first 2 shown]
	v_cmp_gt_u32_e32 vcc, 2, v5
	v_cndmask_b32_e64 v5, 0, 1, vcc
	v_lshlrev_b32_e32 v5, 1, v5
	v_and_b32_e32 v6, 0xff, v8
	v_add_lshl_u32 v5, v5, v4, 2
	ds_bpermute_b32 v6, v5, v6
	ds_bpermute_b32 v4, v5, v2
	;; [unrolled: 1-line block ×3, first 2 shown]
	v_and_b32_e32 v7, 1, v8
	s_waitcnt lgkmcnt(2)
	v_and_b32_e32 v9, 1, v6
	v_cmp_eq_u32_e64 s[0:1], 1, v9
	s_waitcnt lgkmcnt(0)
	v_cmp_lt_i64_e32 vcc, v[4:5], v[2:3]
	s_and_b64 vcc, s[0:1], vcc
	v_cndmask_b32_e64 v8, v8, 1, s[0:1]
	v_cndmask_b32_e32 v2, v2, v4, vcc
	v_cndmask_b32_e32 v3, v3, v5, vcc
	v_cmp_eq_u32_e32 vcc, 1, v7
	v_cndmask_b32_e32 v6, v6, v8, vcc
	v_cndmask_b32_e32 v3, v5, v3, vcc
	;; [unrolled: 1-line block ×3, first 2 shown]
	v_and_b32_e32 v6, 0xff, v6
.LBB1242_17:
	s_or_b64 exec, exec, s[10:11]
	s_load_dword s12, s[4:5], 0x48
	s_load_dwordx2 s[10:11], s[4:5], 0x50
	s_branch .LBB1242_46
.LBB1242_18:
                                        ; implicit-def: $vgpr2_vgpr3
                                        ; implicit-def: $vgpr6
	s_load_dword s12, s[4:5], 0x48
	s_load_dwordx2 s[10:11], s[4:5], 0x50
	s_cbranch_execz .LBB1242_46
; %bb.19:
	s_sub_i32 s22, s14, s22
	v_pk_mov_b32 v[4:5], 0, 0
	v_cmp_gt_u32_e32 vcc, s22, v0
	v_mov_b32_e32 v6, 0
	v_pk_mov_b32 v[2:3], v[4:5], v[4:5] op_sel:[0,1]
	v_mov_b32_e32 v7, 0
	s_and_saveexec_b64 s[0:1], vcc
	s_cbranch_execz .LBB1242_21
; %bb.20:
	global_load_dwordx2 v[8:9], v1, s[20:21]
	v_mov_b32_e32 v3, s13
	v_add_co_u32_e32 v2, vcc, s23, v0
	v_addc_co_u32_e32 v3, vcc, 0, v3, vcc
	s_waitcnt vmcnt(0)
	v_cmp_eq_u64_e32 vcc, s[8:9], v[8:9]
	v_cndmask_b32_e64 v7, 0, 1, vcc
.LBB1242_21:
	s_or_b64 exec, exec, s[0:1]
	v_or_b32_e32 v8, 0x100, v0
	v_cmp_gt_u32_e32 vcc, s22, v8
	s_and_saveexec_b64 s[4:5], vcc
	s_cbranch_execz .LBB1242_23
; %bb.22:
	global_load_dwordx2 v[10:11], v1, s[20:21] offset:2048
	v_mov_b32_e32 v1, s13
	v_add_co_u32_e64 v4, s[0:1], s23, v8
	v_addc_co_u32_e64 v5, s[0:1], 0, v1, s[0:1]
	s_waitcnt vmcnt(0)
	v_cmp_eq_u64_e64 s[0:1], s[8:9], v[10:11]
	v_cndmask_b32_e64 v6, 0, 1, s[0:1]
.LBB1242_23:
	s_or_b64 exec, exec, s[4:5]
	s_and_saveexec_b64 s[4:5], vcc
	s_cbranch_execz .LBB1242_25
; %bb.24:
	v_and_b32_e32 v8, 1, v6
	v_cmp_lt_i64_e32 vcc, v[4:5], v[2:3]
	v_cmp_eq_u32_e64 s[0:1], 1, v8
	v_and_b32_e32 v1, 1, v7
	s_and_b64 vcc, s[0:1], vcc
	v_cndmask_b32_e64 v7, v7, 1, s[0:1]
	v_cndmask_b32_e32 v2, v2, v4, vcc
	v_cndmask_b32_e32 v3, v3, v5, vcc
	v_cmp_eq_u32_e32 vcc, 1, v1
	v_cndmask_b32_e32 v7, v6, v7, vcc
	v_cndmask_b32_e32 v3, v5, v3, vcc
	;; [unrolled: 1-line block ×3, first 2 shown]
.LBB1242_25:
	s_or_b64 exec, exec, s[4:5]
	v_mbcnt_lo_u32_b32 v1, -1, 0
	v_mbcnt_hi_u32_b32 v1, -1, v1
	v_and_b32_e32 v8, 63, v1
	v_cmp_ne_u32_e32 vcc, 63, v8
	v_addc_co_u32_e32 v4, vcc, 0, v1, vcc
	v_and_b32_e32 v6, 0xffff, v7
	v_lshlrev_b32_e32 v5, 2, v4
	ds_bpermute_b32 v10, v5, v6
	ds_bpermute_b32 v4, v5, v2
	;; [unrolled: 1-line block ×3, first 2 shown]
	s_min_u32 s8, s22, 0x100
	v_and_b32_e32 v9, 0xc0, v0
	v_sub_u32_e64 v9, s8, v9 clamp
	v_add_u32_e32 v11, 1, v8
	v_cmp_lt_u32_e32 vcc, v11, v9
	s_and_saveexec_b64 s[4:5], vcc
	s_cbranch_execz .LBB1242_27
; %bb.26:
	s_waitcnt lgkmcnt(0)
	v_and_b32_e32 v11, 1, v10
	v_cmp_lt_i64_e32 vcc, v[4:5], v[2:3]
	v_cmp_eq_u32_e64 s[0:1], 1, v11
	v_and_b32_e32 v6, 1, v7
	s_and_b64 vcc, s[0:1], vcc
	v_cndmask_b32_e64 v7, v7, 1, s[0:1]
	v_cndmask_b32_e32 v2, v2, v4, vcc
	v_cndmask_b32_e32 v3, v3, v5, vcc
	v_cmp_eq_u32_e32 vcc, 1, v6
	v_cndmask_b32_e32 v7, v10, v7, vcc
	v_cndmask_b32_e32 v3, v5, v3, vcc
	;; [unrolled: 1-line block ×3, first 2 shown]
	v_and_b32_e32 v6, 0xff, v7
.LBB1242_27:
	s_or_b64 exec, exec, s[4:5]
	v_cmp_gt_u32_e32 vcc, 62, v8
	s_waitcnt lgkmcnt(0)
	v_cndmask_b32_e64 v4, 0, 1, vcc
	v_lshlrev_b32_e32 v4, 1, v4
	v_add_lshl_u32 v5, v4, v1, 2
	ds_bpermute_b32 v10, v5, v6
	ds_bpermute_b32 v4, v5, v2
	ds_bpermute_b32 v5, v5, v3
	v_add_u32_e32 v11, 2, v8
	v_cmp_lt_u32_e32 vcc, v11, v9
	s_and_saveexec_b64 s[4:5], vcc
	s_cbranch_execz .LBB1242_29
; %bb.28:
	s_waitcnt lgkmcnt(2)
	v_and_b32_e32 v11, 1, v10
	s_waitcnt lgkmcnt(0)
	v_cmp_lt_i64_e32 vcc, v[4:5], v[2:3]
	v_cmp_eq_u32_e64 s[0:1], 1, v11
	v_and_b32_e32 v6, 1, v7
	s_and_b64 vcc, s[0:1], vcc
	v_cndmask_b32_e64 v7, v7, 1, s[0:1]
	v_cndmask_b32_e32 v2, v2, v4, vcc
	v_cndmask_b32_e32 v3, v3, v5, vcc
	v_cmp_eq_u32_e32 vcc, 1, v6
	v_cndmask_b32_e32 v7, v10, v7, vcc
	v_cndmask_b32_e32 v3, v5, v3, vcc
	v_cndmask_b32_e32 v2, v4, v2, vcc
	v_and_b32_e32 v6, 0xff, v7
.LBB1242_29:
	s_or_b64 exec, exec, s[4:5]
	v_cmp_gt_u32_e32 vcc, 60, v8
	s_waitcnt lgkmcnt(1)
	v_cndmask_b32_e64 v4, 0, 1, vcc
	v_lshlrev_b32_e32 v4, 2, v4
	s_waitcnt lgkmcnt(0)
	v_add_lshl_u32 v5, v4, v1, 2
	ds_bpermute_b32 v10, v5, v6
	ds_bpermute_b32 v4, v5, v2
	ds_bpermute_b32 v5, v5, v3
	v_add_u32_e32 v11, 4, v8
	v_cmp_lt_u32_e32 vcc, v11, v9
	s_and_saveexec_b64 s[4:5], vcc
	s_cbranch_execz .LBB1242_31
; %bb.30:
	s_waitcnt lgkmcnt(2)
	v_and_b32_e32 v11, 1, v10
	s_waitcnt lgkmcnt(0)
	v_cmp_lt_i64_e32 vcc, v[4:5], v[2:3]
	v_cmp_eq_u32_e64 s[0:1], 1, v11
	v_and_b32_e32 v6, 1, v7
	s_and_b64 vcc, s[0:1], vcc
	v_cndmask_b32_e64 v7, v7, 1, s[0:1]
	v_cndmask_b32_e32 v2, v2, v4, vcc
	v_cndmask_b32_e32 v3, v3, v5, vcc
	v_cmp_eq_u32_e32 vcc, 1, v6
	v_cndmask_b32_e32 v7, v10, v7, vcc
	v_cndmask_b32_e32 v3, v5, v3, vcc
	v_cndmask_b32_e32 v2, v4, v2, vcc
	v_and_b32_e32 v6, 0xff, v7
.LBB1242_31:
	s_or_b64 exec, exec, s[4:5]
	v_cmp_gt_u32_e32 vcc, 56, v8
	s_waitcnt lgkmcnt(1)
	v_cndmask_b32_e64 v4, 0, 1, vcc
	v_lshlrev_b32_e32 v4, 3, v4
	s_waitcnt lgkmcnt(0)
	;; [unrolled: 31-line block ×4, first 2 shown]
	v_add_lshl_u32 v5, v4, v1, 2
	ds_bpermute_b32 v10, v5, v6
	ds_bpermute_b32 v4, v5, v2
	;; [unrolled: 1-line block ×3, first 2 shown]
	v_add_u32_e32 v8, 32, v8
	v_cmp_lt_u32_e32 vcc, v8, v9
	s_and_saveexec_b64 s[4:5], vcc
	s_cbranch_execz .LBB1242_37
; %bb.36:
	s_waitcnt lgkmcnt(2)
	v_and_b32_e32 v8, 1, v10
	s_waitcnt lgkmcnt(0)
	v_cmp_lt_i64_e32 vcc, v[4:5], v[2:3]
	v_cmp_eq_u32_e64 s[0:1], 1, v8
	v_and_b32_e32 v6, 1, v7
	s_and_b64 vcc, s[0:1], vcc
	v_cndmask_b32_e64 v7, v7, 1, s[0:1]
	v_cndmask_b32_e32 v2, v2, v4, vcc
	v_cndmask_b32_e32 v3, v3, v5, vcc
	v_cmp_eq_u32_e32 vcc, 1, v6
	v_cndmask_b32_e32 v7, v10, v7, vcc
	v_cndmask_b32_e32 v3, v5, v3, vcc
	;; [unrolled: 1-line block ×3, first 2 shown]
	v_and_b32_e32 v6, 0xff, v7
.LBB1242_37:
	s_or_b64 exec, exec, s[4:5]
	v_cmp_eq_u32_e32 vcc, 0, v1
	s_and_saveexec_b64 s[0:1], vcc
	s_cbranch_execz .LBB1242_39
; %bb.38:
	s_waitcnt lgkmcnt(1)
	v_lshrrev_b32_e32 v4, 2, v0
	v_and_b32_e32 v4, 48, v4
	ds_write_b8 v4, v7 offset:64
	ds_write_b64 v4, v[2:3] offset:72
.LBB1242_39:
	s_or_b64 exec, exec, s[0:1]
	v_cmp_gt_u32_e32 vcc, 4, v0
	s_waitcnt lgkmcnt(0)
	s_barrier
	s_and_saveexec_b64 s[4:5], vcc
	s_cbranch_execz .LBB1242_45
; %bb.40:
	v_lshlrev_b32_e32 v2, 4, v1
	ds_read_u8 v7, v2 offset:64
	ds_read_b64 v[2:3], v2 offset:72
	v_and_b32_e32 v8, 3, v1
	v_cmp_ne_u32_e32 vcc, 3, v8
	v_addc_co_u32_e32 v4, vcc, 0, v1, vcc
	s_waitcnt lgkmcnt(1)
	v_and_b32_e32 v6, 0xff, v7
	v_lshlrev_b32_e32 v5, 2, v4
	ds_bpermute_b32 v9, v5, v6
	s_waitcnt lgkmcnt(1)
	ds_bpermute_b32 v4, v5, v2
	ds_bpermute_b32 v5, v5, v3
	s_add_i32 s8, s8, 63
	s_lshr_b32 s13, s8, 6
	v_add_u32_e32 v10, 1, v8
	v_cmp_gt_u32_e32 vcc, s13, v10
	s_and_saveexec_b64 s[8:9], vcc
	s_cbranch_execz .LBB1242_42
; %bb.41:
	s_waitcnt lgkmcnt(2)
	v_and_b32_e32 v10, 1, v9
	s_waitcnt lgkmcnt(0)
	v_cmp_lt_i64_e32 vcc, v[4:5], v[2:3]
	v_cmp_eq_u32_e64 s[0:1], 1, v10
	v_and_b32_e32 v6, 1, v7
	s_and_b64 vcc, s[0:1], vcc
	v_cndmask_b32_e64 v7, v7, 1, s[0:1]
	v_cndmask_b32_e32 v2, v2, v4, vcc
	v_cndmask_b32_e32 v3, v3, v5, vcc
	v_cmp_eq_u32_e32 vcc, 1, v6
	v_cndmask_b32_e32 v7, v9, v7, vcc
	v_cndmask_b32_e32 v3, v5, v3, vcc
	;; [unrolled: 1-line block ×3, first 2 shown]
	v_and_b32_e32 v6, 0xff, v7
.LBB1242_42:
	s_or_b64 exec, exec, s[8:9]
	v_cmp_gt_u32_e32 vcc, 2, v8
	s_waitcnt lgkmcnt(1)
	v_cndmask_b32_e64 v4, 0, 1, vcc
	v_lshlrev_b32_e32 v4, 1, v4
	s_waitcnt lgkmcnt(0)
	v_add_lshl_u32 v5, v4, v1, 2
	ds_bpermute_b32 v1, v5, v6
	ds_bpermute_b32 v4, v5, v2
	;; [unrolled: 1-line block ×3, first 2 shown]
	v_add_u32_e32 v8, 2, v8
	v_cmp_gt_u32_e32 vcc, s13, v8
	s_and_saveexec_b64 s[8:9], vcc
	s_cbranch_execz .LBB1242_44
; %bb.43:
	s_waitcnt lgkmcnt(2)
	v_and_b32_e32 v8, 1, v1
	s_waitcnt lgkmcnt(0)
	v_cmp_lt_i64_e32 vcc, v[4:5], v[2:3]
	v_cmp_eq_u32_e64 s[0:1], 1, v8
	v_and_b32_e32 v6, 1, v7
	s_and_b64 vcc, s[0:1], vcc
	v_cndmask_b32_e64 v7, v7, 1, s[0:1]
	v_cndmask_b32_e32 v2, v2, v4, vcc
	v_cndmask_b32_e32 v3, v3, v5, vcc
	v_cmp_eq_u32_e32 vcc, 1, v6
	v_cndmask_b32_e32 v1, v1, v7, vcc
	v_cndmask_b32_e32 v3, v5, v3, vcc
	;; [unrolled: 1-line block ×3, first 2 shown]
	v_and_b32_e32 v6, 0xff, v1
.LBB1242_44:
	s_or_b64 exec, exec, s[8:9]
.LBB1242_45:
	s_or_b64 exec, exec, s[4:5]
.LBB1242_46:
	v_cmp_eq_u32_e32 vcc, 0, v0
	s_and_saveexec_b64 s[0:1], vcc
	s_cbranch_execnz .LBB1242_48
; %bb.47:
	s_endpgm
.LBB1242_48:
	s_mul_i32 s0, s2, s19
	s_mul_hi_u32 s1, s2, s18
	s_add_i32 s0, s1, s0
	s_mul_i32 s1, s3, s18
	s_add_i32 s1, s0, s1
	s_mul_i32 s0, s2, s18
	s_lshl_b64 s[0:1], s[0:1], 4
	s_add_u32 s2, s16, s0
	s_addc_u32 s3, s17, s1
	s_cmp_eq_u64 s[14:15], 0
	s_waitcnt lgkmcnt(0)
	v_mov_b32_e32 v0, s11
	s_cselect_b64 vcc, -1, 0
	v_cndmask_b32_e32 v1, v3, v0, vcc
	v_mov_b32_e32 v0, s10
	s_lshl_b64 s[0:1], s[6:7], 4
	v_cndmask_b32_e32 v0, v2, v0, vcc
	v_mov_b32_e32 v2, s12
	s_add_u32 s0, s2, s0
	v_cndmask_b32_e32 v2, v6, v2, vcc
	s_addc_u32 s1, s3, s1
	v_mov_b32_e32 v3, 0
	global_store_byte v3, v2, s[0:1]
	global_store_dwordx2 v3, v[0:1], s[0:1] offset:8
	s_endpgm
	.section	.rodata,"a",@progbits
	.p2align	6, 0x0
	.amdhsa_kernel _ZN7rocprim17ROCPRIM_400000_NS6detail17trampoline_kernelINS0_14default_configENS1_22reduce_config_selectorIN6thrust23THRUST_200600_302600_NS5tupleIblNS6_9null_typeES8_S8_S8_S8_S8_S8_S8_EEEEZNS1_11reduce_implILb1ES3_NS6_12zip_iteratorINS7_INS6_11hip_rocprim26transform_input_iterator_tIbPlNS6_6detail10functional5actorINSH_9compositeIJNSH_27transparent_binary_operatorINS6_8equal_toIvEEEENSI_INSH_8argumentILj0EEEEENSH_5valueIlEEEEEEEEENSD_19counting_iterator_tIlEES8_S8_S8_S8_S8_S8_S8_S8_EEEEPS9_S9_NSD_9__find_if7functorIS9_EEEE10hipError_tPvRmT1_T2_T3_mT4_P12ihipStream_tbEUlT_E0_NS1_11comp_targetILNS1_3genE4ELNS1_11target_archE910ELNS1_3gpuE8ELNS1_3repE0EEENS1_30default_config_static_selectorELNS0_4arch9wavefront6targetE1EEEvS17_
		.amdhsa_group_segment_fixed_size 128
		.amdhsa_private_segment_fixed_size 0
		.amdhsa_kernarg_size 96
		.amdhsa_user_sgpr_count 6
		.amdhsa_user_sgpr_private_segment_buffer 1
		.amdhsa_user_sgpr_dispatch_ptr 0
		.amdhsa_user_sgpr_queue_ptr 0
		.amdhsa_user_sgpr_kernarg_segment_ptr 1
		.amdhsa_user_sgpr_dispatch_id 0
		.amdhsa_user_sgpr_flat_scratch_init 0
		.amdhsa_user_sgpr_kernarg_preload_length 0
		.amdhsa_user_sgpr_kernarg_preload_offset 0
		.amdhsa_user_sgpr_private_segment_size 0
		.amdhsa_uses_dynamic_stack 0
		.amdhsa_system_sgpr_private_segment_wavefront_offset 0
		.amdhsa_system_sgpr_workgroup_id_x 1
		.amdhsa_system_sgpr_workgroup_id_y 0
		.amdhsa_system_sgpr_workgroup_id_z 0
		.amdhsa_system_sgpr_workgroup_info 0
		.amdhsa_system_vgpr_workitem_id 0
		.amdhsa_next_free_vgpr 12
		.amdhsa_next_free_sgpr 26
		.amdhsa_accum_offset 12
		.amdhsa_reserve_vcc 1
		.amdhsa_reserve_flat_scratch 0
		.amdhsa_float_round_mode_32 0
		.amdhsa_float_round_mode_16_64 0
		.amdhsa_float_denorm_mode_32 3
		.amdhsa_float_denorm_mode_16_64 3
		.amdhsa_dx10_clamp 1
		.amdhsa_ieee_mode 1
		.amdhsa_fp16_overflow 0
		.amdhsa_tg_split 0
		.amdhsa_exception_fp_ieee_invalid_op 0
		.amdhsa_exception_fp_denorm_src 0
		.amdhsa_exception_fp_ieee_div_zero 0
		.amdhsa_exception_fp_ieee_overflow 0
		.amdhsa_exception_fp_ieee_underflow 0
		.amdhsa_exception_fp_ieee_inexact 0
		.amdhsa_exception_int_div_zero 0
	.end_amdhsa_kernel
	.section	.text._ZN7rocprim17ROCPRIM_400000_NS6detail17trampoline_kernelINS0_14default_configENS1_22reduce_config_selectorIN6thrust23THRUST_200600_302600_NS5tupleIblNS6_9null_typeES8_S8_S8_S8_S8_S8_S8_EEEEZNS1_11reduce_implILb1ES3_NS6_12zip_iteratorINS7_INS6_11hip_rocprim26transform_input_iterator_tIbPlNS6_6detail10functional5actorINSH_9compositeIJNSH_27transparent_binary_operatorINS6_8equal_toIvEEEENSI_INSH_8argumentILj0EEEEENSH_5valueIlEEEEEEEEENSD_19counting_iterator_tIlEES8_S8_S8_S8_S8_S8_S8_S8_EEEEPS9_S9_NSD_9__find_if7functorIS9_EEEE10hipError_tPvRmT1_T2_T3_mT4_P12ihipStream_tbEUlT_E0_NS1_11comp_targetILNS1_3genE4ELNS1_11target_archE910ELNS1_3gpuE8ELNS1_3repE0EEENS1_30default_config_static_selectorELNS0_4arch9wavefront6targetE1EEEvS17_,"axG",@progbits,_ZN7rocprim17ROCPRIM_400000_NS6detail17trampoline_kernelINS0_14default_configENS1_22reduce_config_selectorIN6thrust23THRUST_200600_302600_NS5tupleIblNS6_9null_typeES8_S8_S8_S8_S8_S8_S8_EEEEZNS1_11reduce_implILb1ES3_NS6_12zip_iteratorINS7_INS6_11hip_rocprim26transform_input_iterator_tIbPlNS6_6detail10functional5actorINSH_9compositeIJNSH_27transparent_binary_operatorINS6_8equal_toIvEEEENSI_INSH_8argumentILj0EEEEENSH_5valueIlEEEEEEEEENSD_19counting_iterator_tIlEES8_S8_S8_S8_S8_S8_S8_S8_EEEEPS9_S9_NSD_9__find_if7functorIS9_EEEE10hipError_tPvRmT1_T2_T3_mT4_P12ihipStream_tbEUlT_E0_NS1_11comp_targetILNS1_3genE4ELNS1_11target_archE910ELNS1_3gpuE8ELNS1_3repE0EEENS1_30default_config_static_selectorELNS0_4arch9wavefront6targetE1EEEvS17_,comdat
.Lfunc_end1242:
	.size	_ZN7rocprim17ROCPRIM_400000_NS6detail17trampoline_kernelINS0_14default_configENS1_22reduce_config_selectorIN6thrust23THRUST_200600_302600_NS5tupleIblNS6_9null_typeES8_S8_S8_S8_S8_S8_S8_EEEEZNS1_11reduce_implILb1ES3_NS6_12zip_iteratorINS7_INS6_11hip_rocprim26transform_input_iterator_tIbPlNS6_6detail10functional5actorINSH_9compositeIJNSH_27transparent_binary_operatorINS6_8equal_toIvEEEENSI_INSH_8argumentILj0EEEEENSH_5valueIlEEEEEEEEENSD_19counting_iterator_tIlEES8_S8_S8_S8_S8_S8_S8_S8_EEEEPS9_S9_NSD_9__find_if7functorIS9_EEEE10hipError_tPvRmT1_T2_T3_mT4_P12ihipStream_tbEUlT_E0_NS1_11comp_targetILNS1_3genE4ELNS1_11target_archE910ELNS1_3gpuE8ELNS1_3repE0EEENS1_30default_config_static_selectorELNS0_4arch9wavefront6targetE1EEEvS17_, .Lfunc_end1242-_ZN7rocprim17ROCPRIM_400000_NS6detail17trampoline_kernelINS0_14default_configENS1_22reduce_config_selectorIN6thrust23THRUST_200600_302600_NS5tupleIblNS6_9null_typeES8_S8_S8_S8_S8_S8_S8_EEEEZNS1_11reduce_implILb1ES3_NS6_12zip_iteratorINS7_INS6_11hip_rocprim26transform_input_iterator_tIbPlNS6_6detail10functional5actorINSH_9compositeIJNSH_27transparent_binary_operatorINS6_8equal_toIvEEEENSI_INSH_8argumentILj0EEEEENSH_5valueIlEEEEEEEEENSD_19counting_iterator_tIlEES8_S8_S8_S8_S8_S8_S8_S8_EEEEPS9_S9_NSD_9__find_if7functorIS9_EEEE10hipError_tPvRmT1_T2_T3_mT4_P12ihipStream_tbEUlT_E0_NS1_11comp_targetILNS1_3genE4ELNS1_11target_archE910ELNS1_3gpuE8ELNS1_3repE0EEENS1_30default_config_static_selectorELNS0_4arch9wavefront6targetE1EEEvS17_
                                        ; -- End function
	.section	.AMDGPU.csdata,"",@progbits
; Kernel info:
; codeLenInByte = 2804
; NumSgprs: 30
; NumVgprs: 12
; NumAgprs: 0
; TotalNumVgprs: 12
; ScratchSize: 0
; MemoryBound: 0
; FloatMode: 240
; IeeeMode: 1
; LDSByteSize: 128 bytes/workgroup (compile time only)
; SGPRBlocks: 3
; VGPRBlocks: 1
; NumSGPRsForWavesPerEU: 30
; NumVGPRsForWavesPerEU: 12
; AccumOffset: 12
; Occupancy: 8
; WaveLimiterHint : 1
; COMPUTE_PGM_RSRC2:SCRATCH_EN: 0
; COMPUTE_PGM_RSRC2:USER_SGPR: 6
; COMPUTE_PGM_RSRC2:TRAP_HANDLER: 0
; COMPUTE_PGM_RSRC2:TGID_X_EN: 1
; COMPUTE_PGM_RSRC2:TGID_Y_EN: 0
; COMPUTE_PGM_RSRC2:TGID_Z_EN: 0
; COMPUTE_PGM_RSRC2:TIDIG_COMP_CNT: 0
; COMPUTE_PGM_RSRC3_GFX90A:ACCUM_OFFSET: 2
; COMPUTE_PGM_RSRC3_GFX90A:TG_SPLIT: 0
	.section	.text._ZN7rocprim17ROCPRIM_400000_NS6detail17trampoline_kernelINS0_14default_configENS1_22reduce_config_selectorIN6thrust23THRUST_200600_302600_NS5tupleIblNS6_9null_typeES8_S8_S8_S8_S8_S8_S8_EEEEZNS1_11reduce_implILb1ES3_NS6_12zip_iteratorINS7_INS6_11hip_rocprim26transform_input_iterator_tIbPlNS6_6detail10functional5actorINSH_9compositeIJNSH_27transparent_binary_operatorINS6_8equal_toIvEEEENSI_INSH_8argumentILj0EEEEENSH_5valueIlEEEEEEEEENSD_19counting_iterator_tIlEES8_S8_S8_S8_S8_S8_S8_S8_EEEEPS9_S9_NSD_9__find_if7functorIS9_EEEE10hipError_tPvRmT1_T2_T3_mT4_P12ihipStream_tbEUlT_E0_NS1_11comp_targetILNS1_3genE3ELNS1_11target_archE908ELNS1_3gpuE7ELNS1_3repE0EEENS1_30default_config_static_selectorELNS0_4arch9wavefront6targetE1EEEvS17_,"axG",@progbits,_ZN7rocprim17ROCPRIM_400000_NS6detail17trampoline_kernelINS0_14default_configENS1_22reduce_config_selectorIN6thrust23THRUST_200600_302600_NS5tupleIblNS6_9null_typeES8_S8_S8_S8_S8_S8_S8_EEEEZNS1_11reduce_implILb1ES3_NS6_12zip_iteratorINS7_INS6_11hip_rocprim26transform_input_iterator_tIbPlNS6_6detail10functional5actorINSH_9compositeIJNSH_27transparent_binary_operatorINS6_8equal_toIvEEEENSI_INSH_8argumentILj0EEEEENSH_5valueIlEEEEEEEEENSD_19counting_iterator_tIlEES8_S8_S8_S8_S8_S8_S8_S8_EEEEPS9_S9_NSD_9__find_if7functorIS9_EEEE10hipError_tPvRmT1_T2_T3_mT4_P12ihipStream_tbEUlT_E0_NS1_11comp_targetILNS1_3genE3ELNS1_11target_archE908ELNS1_3gpuE7ELNS1_3repE0EEENS1_30default_config_static_selectorELNS0_4arch9wavefront6targetE1EEEvS17_,comdat
	.protected	_ZN7rocprim17ROCPRIM_400000_NS6detail17trampoline_kernelINS0_14default_configENS1_22reduce_config_selectorIN6thrust23THRUST_200600_302600_NS5tupleIblNS6_9null_typeES8_S8_S8_S8_S8_S8_S8_EEEEZNS1_11reduce_implILb1ES3_NS6_12zip_iteratorINS7_INS6_11hip_rocprim26transform_input_iterator_tIbPlNS6_6detail10functional5actorINSH_9compositeIJNSH_27transparent_binary_operatorINS6_8equal_toIvEEEENSI_INSH_8argumentILj0EEEEENSH_5valueIlEEEEEEEEENSD_19counting_iterator_tIlEES8_S8_S8_S8_S8_S8_S8_S8_EEEEPS9_S9_NSD_9__find_if7functorIS9_EEEE10hipError_tPvRmT1_T2_T3_mT4_P12ihipStream_tbEUlT_E0_NS1_11comp_targetILNS1_3genE3ELNS1_11target_archE908ELNS1_3gpuE7ELNS1_3repE0EEENS1_30default_config_static_selectorELNS0_4arch9wavefront6targetE1EEEvS17_ ; -- Begin function _ZN7rocprim17ROCPRIM_400000_NS6detail17trampoline_kernelINS0_14default_configENS1_22reduce_config_selectorIN6thrust23THRUST_200600_302600_NS5tupleIblNS6_9null_typeES8_S8_S8_S8_S8_S8_S8_EEEEZNS1_11reduce_implILb1ES3_NS6_12zip_iteratorINS7_INS6_11hip_rocprim26transform_input_iterator_tIbPlNS6_6detail10functional5actorINSH_9compositeIJNSH_27transparent_binary_operatorINS6_8equal_toIvEEEENSI_INSH_8argumentILj0EEEEENSH_5valueIlEEEEEEEEENSD_19counting_iterator_tIlEES8_S8_S8_S8_S8_S8_S8_S8_EEEEPS9_S9_NSD_9__find_if7functorIS9_EEEE10hipError_tPvRmT1_T2_T3_mT4_P12ihipStream_tbEUlT_E0_NS1_11comp_targetILNS1_3genE3ELNS1_11target_archE908ELNS1_3gpuE7ELNS1_3repE0EEENS1_30default_config_static_selectorELNS0_4arch9wavefront6targetE1EEEvS17_
	.globl	_ZN7rocprim17ROCPRIM_400000_NS6detail17trampoline_kernelINS0_14default_configENS1_22reduce_config_selectorIN6thrust23THRUST_200600_302600_NS5tupleIblNS6_9null_typeES8_S8_S8_S8_S8_S8_S8_EEEEZNS1_11reduce_implILb1ES3_NS6_12zip_iteratorINS7_INS6_11hip_rocprim26transform_input_iterator_tIbPlNS6_6detail10functional5actorINSH_9compositeIJNSH_27transparent_binary_operatorINS6_8equal_toIvEEEENSI_INSH_8argumentILj0EEEEENSH_5valueIlEEEEEEEEENSD_19counting_iterator_tIlEES8_S8_S8_S8_S8_S8_S8_S8_EEEEPS9_S9_NSD_9__find_if7functorIS9_EEEE10hipError_tPvRmT1_T2_T3_mT4_P12ihipStream_tbEUlT_E0_NS1_11comp_targetILNS1_3genE3ELNS1_11target_archE908ELNS1_3gpuE7ELNS1_3repE0EEENS1_30default_config_static_selectorELNS0_4arch9wavefront6targetE1EEEvS17_
	.p2align	8
	.type	_ZN7rocprim17ROCPRIM_400000_NS6detail17trampoline_kernelINS0_14default_configENS1_22reduce_config_selectorIN6thrust23THRUST_200600_302600_NS5tupleIblNS6_9null_typeES8_S8_S8_S8_S8_S8_S8_EEEEZNS1_11reduce_implILb1ES3_NS6_12zip_iteratorINS7_INS6_11hip_rocprim26transform_input_iterator_tIbPlNS6_6detail10functional5actorINSH_9compositeIJNSH_27transparent_binary_operatorINS6_8equal_toIvEEEENSI_INSH_8argumentILj0EEEEENSH_5valueIlEEEEEEEEENSD_19counting_iterator_tIlEES8_S8_S8_S8_S8_S8_S8_S8_EEEEPS9_S9_NSD_9__find_if7functorIS9_EEEE10hipError_tPvRmT1_T2_T3_mT4_P12ihipStream_tbEUlT_E0_NS1_11comp_targetILNS1_3genE3ELNS1_11target_archE908ELNS1_3gpuE7ELNS1_3repE0EEENS1_30default_config_static_selectorELNS0_4arch9wavefront6targetE1EEEvS17_,@function
_ZN7rocprim17ROCPRIM_400000_NS6detail17trampoline_kernelINS0_14default_configENS1_22reduce_config_selectorIN6thrust23THRUST_200600_302600_NS5tupleIblNS6_9null_typeES8_S8_S8_S8_S8_S8_S8_EEEEZNS1_11reduce_implILb1ES3_NS6_12zip_iteratorINS7_INS6_11hip_rocprim26transform_input_iterator_tIbPlNS6_6detail10functional5actorINSH_9compositeIJNSH_27transparent_binary_operatorINS6_8equal_toIvEEEENSI_INSH_8argumentILj0EEEEENSH_5valueIlEEEEEEEEENSD_19counting_iterator_tIlEES8_S8_S8_S8_S8_S8_S8_S8_EEEEPS9_S9_NSD_9__find_if7functorIS9_EEEE10hipError_tPvRmT1_T2_T3_mT4_P12ihipStream_tbEUlT_E0_NS1_11comp_targetILNS1_3genE3ELNS1_11target_archE908ELNS1_3gpuE7ELNS1_3repE0EEENS1_30default_config_static_selectorELNS0_4arch9wavefront6targetE1EEEvS17_: ; @_ZN7rocprim17ROCPRIM_400000_NS6detail17trampoline_kernelINS0_14default_configENS1_22reduce_config_selectorIN6thrust23THRUST_200600_302600_NS5tupleIblNS6_9null_typeES8_S8_S8_S8_S8_S8_S8_EEEEZNS1_11reduce_implILb1ES3_NS6_12zip_iteratorINS7_INS6_11hip_rocprim26transform_input_iterator_tIbPlNS6_6detail10functional5actorINSH_9compositeIJNSH_27transparent_binary_operatorINS6_8equal_toIvEEEENSI_INSH_8argumentILj0EEEEENSH_5valueIlEEEEEEEEENSD_19counting_iterator_tIlEES8_S8_S8_S8_S8_S8_S8_S8_EEEEPS9_S9_NSD_9__find_if7functorIS9_EEEE10hipError_tPvRmT1_T2_T3_mT4_P12ihipStream_tbEUlT_E0_NS1_11comp_targetILNS1_3genE3ELNS1_11target_archE908ELNS1_3gpuE7ELNS1_3repE0EEENS1_30default_config_static_selectorELNS0_4arch9wavefront6targetE1EEEvS17_
; %bb.0:
	.section	.rodata,"a",@progbits
	.p2align	6, 0x0
	.amdhsa_kernel _ZN7rocprim17ROCPRIM_400000_NS6detail17trampoline_kernelINS0_14default_configENS1_22reduce_config_selectorIN6thrust23THRUST_200600_302600_NS5tupleIblNS6_9null_typeES8_S8_S8_S8_S8_S8_S8_EEEEZNS1_11reduce_implILb1ES3_NS6_12zip_iteratorINS7_INS6_11hip_rocprim26transform_input_iterator_tIbPlNS6_6detail10functional5actorINSH_9compositeIJNSH_27transparent_binary_operatorINS6_8equal_toIvEEEENSI_INSH_8argumentILj0EEEEENSH_5valueIlEEEEEEEEENSD_19counting_iterator_tIlEES8_S8_S8_S8_S8_S8_S8_S8_EEEEPS9_S9_NSD_9__find_if7functorIS9_EEEE10hipError_tPvRmT1_T2_T3_mT4_P12ihipStream_tbEUlT_E0_NS1_11comp_targetILNS1_3genE3ELNS1_11target_archE908ELNS1_3gpuE7ELNS1_3repE0EEENS1_30default_config_static_selectorELNS0_4arch9wavefront6targetE1EEEvS17_
		.amdhsa_group_segment_fixed_size 0
		.amdhsa_private_segment_fixed_size 0
		.amdhsa_kernarg_size 96
		.amdhsa_user_sgpr_count 6
		.amdhsa_user_sgpr_private_segment_buffer 1
		.amdhsa_user_sgpr_dispatch_ptr 0
		.amdhsa_user_sgpr_queue_ptr 0
		.amdhsa_user_sgpr_kernarg_segment_ptr 1
		.amdhsa_user_sgpr_dispatch_id 0
		.amdhsa_user_sgpr_flat_scratch_init 0
		.amdhsa_user_sgpr_kernarg_preload_length 0
		.amdhsa_user_sgpr_kernarg_preload_offset 0
		.amdhsa_user_sgpr_private_segment_size 0
		.amdhsa_uses_dynamic_stack 0
		.amdhsa_system_sgpr_private_segment_wavefront_offset 0
		.amdhsa_system_sgpr_workgroup_id_x 1
		.amdhsa_system_sgpr_workgroup_id_y 0
		.amdhsa_system_sgpr_workgroup_id_z 0
		.amdhsa_system_sgpr_workgroup_info 0
		.amdhsa_system_vgpr_workitem_id 0
		.amdhsa_next_free_vgpr 1
		.amdhsa_next_free_sgpr 0
		.amdhsa_accum_offset 4
		.amdhsa_reserve_vcc 0
		.amdhsa_reserve_flat_scratch 0
		.amdhsa_float_round_mode_32 0
		.amdhsa_float_round_mode_16_64 0
		.amdhsa_float_denorm_mode_32 3
		.amdhsa_float_denorm_mode_16_64 3
		.amdhsa_dx10_clamp 1
		.amdhsa_ieee_mode 1
		.amdhsa_fp16_overflow 0
		.amdhsa_tg_split 0
		.amdhsa_exception_fp_ieee_invalid_op 0
		.amdhsa_exception_fp_denorm_src 0
		.amdhsa_exception_fp_ieee_div_zero 0
		.amdhsa_exception_fp_ieee_overflow 0
		.amdhsa_exception_fp_ieee_underflow 0
		.amdhsa_exception_fp_ieee_inexact 0
		.amdhsa_exception_int_div_zero 0
	.end_amdhsa_kernel
	.section	.text._ZN7rocprim17ROCPRIM_400000_NS6detail17trampoline_kernelINS0_14default_configENS1_22reduce_config_selectorIN6thrust23THRUST_200600_302600_NS5tupleIblNS6_9null_typeES8_S8_S8_S8_S8_S8_S8_EEEEZNS1_11reduce_implILb1ES3_NS6_12zip_iteratorINS7_INS6_11hip_rocprim26transform_input_iterator_tIbPlNS6_6detail10functional5actorINSH_9compositeIJNSH_27transparent_binary_operatorINS6_8equal_toIvEEEENSI_INSH_8argumentILj0EEEEENSH_5valueIlEEEEEEEEENSD_19counting_iterator_tIlEES8_S8_S8_S8_S8_S8_S8_S8_EEEEPS9_S9_NSD_9__find_if7functorIS9_EEEE10hipError_tPvRmT1_T2_T3_mT4_P12ihipStream_tbEUlT_E0_NS1_11comp_targetILNS1_3genE3ELNS1_11target_archE908ELNS1_3gpuE7ELNS1_3repE0EEENS1_30default_config_static_selectorELNS0_4arch9wavefront6targetE1EEEvS17_,"axG",@progbits,_ZN7rocprim17ROCPRIM_400000_NS6detail17trampoline_kernelINS0_14default_configENS1_22reduce_config_selectorIN6thrust23THRUST_200600_302600_NS5tupleIblNS6_9null_typeES8_S8_S8_S8_S8_S8_S8_EEEEZNS1_11reduce_implILb1ES3_NS6_12zip_iteratorINS7_INS6_11hip_rocprim26transform_input_iterator_tIbPlNS6_6detail10functional5actorINSH_9compositeIJNSH_27transparent_binary_operatorINS6_8equal_toIvEEEENSI_INSH_8argumentILj0EEEEENSH_5valueIlEEEEEEEEENSD_19counting_iterator_tIlEES8_S8_S8_S8_S8_S8_S8_S8_EEEEPS9_S9_NSD_9__find_if7functorIS9_EEEE10hipError_tPvRmT1_T2_T3_mT4_P12ihipStream_tbEUlT_E0_NS1_11comp_targetILNS1_3genE3ELNS1_11target_archE908ELNS1_3gpuE7ELNS1_3repE0EEENS1_30default_config_static_selectorELNS0_4arch9wavefront6targetE1EEEvS17_,comdat
.Lfunc_end1243:
	.size	_ZN7rocprim17ROCPRIM_400000_NS6detail17trampoline_kernelINS0_14default_configENS1_22reduce_config_selectorIN6thrust23THRUST_200600_302600_NS5tupleIblNS6_9null_typeES8_S8_S8_S8_S8_S8_S8_EEEEZNS1_11reduce_implILb1ES3_NS6_12zip_iteratorINS7_INS6_11hip_rocprim26transform_input_iterator_tIbPlNS6_6detail10functional5actorINSH_9compositeIJNSH_27transparent_binary_operatorINS6_8equal_toIvEEEENSI_INSH_8argumentILj0EEEEENSH_5valueIlEEEEEEEEENSD_19counting_iterator_tIlEES8_S8_S8_S8_S8_S8_S8_S8_EEEEPS9_S9_NSD_9__find_if7functorIS9_EEEE10hipError_tPvRmT1_T2_T3_mT4_P12ihipStream_tbEUlT_E0_NS1_11comp_targetILNS1_3genE3ELNS1_11target_archE908ELNS1_3gpuE7ELNS1_3repE0EEENS1_30default_config_static_selectorELNS0_4arch9wavefront6targetE1EEEvS17_, .Lfunc_end1243-_ZN7rocprim17ROCPRIM_400000_NS6detail17trampoline_kernelINS0_14default_configENS1_22reduce_config_selectorIN6thrust23THRUST_200600_302600_NS5tupleIblNS6_9null_typeES8_S8_S8_S8_S8_S8_S8_EEEEZNS1_11reduce_implILb1ES3_NS6_12zip_iteratorINS7_INS6_11hip_rocprim26transform_input_iterator_tIbPlNS6_6detail10functional5actorINSH_9compositeIJNSH_27transparent_binary_operatorINS6_8equal_toIvEEEENSI_INSH_8argumentILj0EEEEENSH_5valueIlEEEEEEEEENSD_19counting_iterator_tIlEES8_S8_S8_S8_S8_S8_S8_S8_EEEEPS9_S9_NSD_9__find_if7functorIS9_EEEE10hipError_tPvRmT1_T2_T3_mT4_P12ihipStream_tbEUlT_E0_NS1_11comp_targetILNS1_3genE3ELNS1_11target_archE908ELNS1_3gpuE7ELNS1_3repE0EEENS1_30default_config_static_selectorELNS0_4arch9wavefront6targetE1EEEvS17_
                                        ; -- End function
	.section	.AMDGPU.csdata,"",@progbits
; Kernel info:
; codeLenInByte = 0
; NumSgprs: 4
; NumVgprs: 0
; NumAgprs: 0
; TotalNumVgprs: 0
; ScratchSize: 0
; MemoryBound: 0
; FloatMode: 240
; IeeeMode: 1
; LDSByteSize: 0 bytes/workgroup (compile time only)
; SGPRBlocks: 0
; VGPRBlocks: 0
; NumSGPRsForWavesPerEU: 4
; NumVGPRsForWavesPerEU: 1
; AccumOffset: 4
; Occupancy: 8
; WaveLimiterHint : 0
; COMPUTE_PGM_RSRC2:SCRATCH_EN: 0
; COMPUTE_PGM_RSRC2:USER_SGPR: 6
; COMPUTE_PGM_RSRC2:TRAP_HANDLER: 0
; COMPUTE_PGM_RSRC2:TGID_X_EN: 1
; COMPUTE_PGM_RSRC2:TGID_Y_EN: 0
; COMPUTE_PGM_RSRC2:TGID_Z_EN: 0
; COMPUTE_PGM_RSRC2:TIDIG_COMP_CNT: 0
; COMPUTE_PGM_RSRC3_GFX90A:ACCUM_OFFSET: 0
; COMPUTE_PGM_RSRC3_GFX90A:TG_SPLIT: 0
	.section	.text._ZN7rocprim17ROCPRIM_400000_NS6detail17trampoline_kernelINS0_14default_configENS1_22reduce_config_selectorIN6thrust23THRUST_200600_302600_NS5tupleIblNS6_9null_typeES8_S8_S8_S8_S8_S8_S8_EEEEZNS1_11reduce_implILb1ES3_NS6_12zip_iteratorINS7_INS6_11hip_rocprim26transform_input_iterator_tIbPlNS6_6detail10functional5actorINSH_9compositeIJNSH_27transparent_binary_operatorINS6_8equal_toIvEEEENSI_INSH_8argumentILj0EEEEENSH_5valueIlEEEEEEEEENSD_19counting_iterator_tIlEES8_S8_S8_S8_S8_S8_S8_S8_EEEEPS9_S9_NSD_9__find_if7functorIS9_EEEE10hipError_tPvRmT1_T2_T3_mT4_P12ihipStream_tbEUlT_E0_NS1_11comp_targetILNS1_3genE2ELNS1_11target_archE906ELNS1_3gpuE6ELNS1_3repE0EEENS1_30default_config_static_selectorELNS0_4arch9wavefront6targetE1EEEvS17_,"axG",@progbits,_ZN7rocprim17ROCPRIM_400000_NS6detail17trampoline_kernelINS0_14default_configENS1_22reduce_config_selectorIN6thrust23THRUST_200600_302600_NS5tupleIblNS6_9null_typeES8_S8_S8_S8_S8_S8_S8_EEEEZNS1_11reduce_implILb1ES3_NS6_12zip_iteratorINS7_INS6_11hip_rocprim26transform_input_iterator_tIbPlNS6_6detail10functional5actorINSH_9compositeIJNSH_27transparent_binary_operatorINS6_8equal_toIvEEEENSI_INSH_8argumentILj0EEEEENSH_5valueIlEEEEEEEEENSD_19counting_iterator_tIlEES8_S8_S8_S8_S8_S8_S8_S8_EEEEPS9_S9_NSD_9__find_if7functorIS9_EEEE10hipError_tPvRmT1_T2_T3_mT4_P12ihipStream_tbEUlT_E0_NS1_11comp_targetILNS1_3genE2ELNS1_11target_archE906ELNS1_3gpuE6ELNS1_3repE0EEENS1_30default_config_static_selectorELNS0_4arch9wavefront6targetE1EEEvS17_,comdat
	.protected	_ZN7rocprim17ROCPRIM_400000_NS6detail17trampoline_kernelINS0_14default_configENS1_22reduce_config_selectorIN6thrust23THRUST_200600_302600_NS5tupleIblNS6_9null_typeES8_S8_S8_S8_S8_S8_S8_EEEEZNS1_11reduce_implILb1ES3_NS6_12zip_iteratorINS7_INS6_11hip_rocprim26transform_input_iterator_tIbPlNS6_6detail10functional5actorINSH_9compositeIJNSH_27transparent_binary_operatorINS6_8equal_toIvEEEENSI_INSH_8argumentILj0EEEEENSH_5valueIlEEEEEEEEENSD_19counting_iterator_tIlEES8_S8_S8_S8_S8_S8_S8_S8_EEEEPS9_S9_NSD_9__find_if7functorIS9_EEEE10hipError_tPvRmT1_T2_T3_mT4_P12ihipStream_tbEUlT_E0_NS1_11comp_targetILNS1_3genE2ELNS1_11target_archE906ELNS1_3gpuE6ELNS1_3repE0EEENS1_30default_config_static_selectorELNS0_4arch9wavefront6targetE1EEEvS17_ ; -- Begin function _ZN7rocprim17ROCPRIM_400000_NS6detail17trampoline_kernelINS0_14default_configENS1_22reduce_config_selectorIN6thrust23THRUST_200600_302600_NS5tupleIblNS6_9null_typeES8_S8_S8_S8_S8_S8_S8_EEEEZNS1_11reduce_implILb1ES3_NS6_12zip_iteratorINS7_INS6_11hip_rocprim26transform_input_iterator_tIbPlNS6_6detail10functional5actorINSH_9compositeIJNSH_27transparent_binary_operatorINS6_8equal_toIvEEEENSI_INSH_8argumentILj0EEEEENSH_5valueIlEEEEEEEEENSD_19counting_iterator_tIlEES8_S8_S8_S8_S8_S8_S8_S8_EEEEPS9_S9_NSD_9__find_if7functorIS9_EEEE10hipError_tPvRmT1_T2_T3_mT4_P12ihipStream_tbEUlT_E0_NS1_11comp_targetILNS1_3genE2ELNS1_11target_archE906ELNS1_3gpuE6ELNS1_3repE0EEENS1_30default_config_static_selectorELNS0_4arch9wavefront6targetE1EEEvS17_
	.globl	_ZN7rocprim17ROCPRIM_400000_NS6detail17trampoline_kernelINS0_14default_configENS1_22reduce_config_selectorIN6thrust23THRUST_200600_302600_NS5tupleIblNS6_9null_typeES8_S8_S8_S8_S8_S8_S8_EEEEZNS1_11reduce_implILb1ES3_NS6_12zip_iteratorINS7_INS6_11hip_rocprim26transform_input_iterator_tIbPlNS6_6detail10functional5actorINSH_9compositeIJNSH_27transparent_binary_operatorINS6_8equal_toIvEEEENSI_INSH_8argumentILj0EEEEENSH_5valueIlEEEEEEEEENSD_19counting_iterator_tIlEES8_S8_S8_S8_S8_S8_S8_S8_EEEEPS9_S9_NSD_9__find_if7functorIS9_EEEE10hipError_tPvRmT1_T2_T3_mT4_P12ihipStream_tbEUlT_E0_NS1_11comp_targetILNS1_3genE2ELNS1_11target_archE906ELNS1_3gpuE6ELNS1_3repE0EEENS1_30default_config_static_selectorELNS0_4arch9wavefront6targetE1EEEvS17_
	.p2align	8
	.type	_ZN7rocprim17ROCPRIM_400000_NS6detail17trampoline_kernelINS0_14default_configENS1_22reduce_config_selectorIN6thrust23THRUST_200600_302600_NS5tupleIblNS6_9null_typeES8_S8_S8_S8_S8_S8_S8_EEEEZNS1_11reduce_implILb1ES3_NS6_12zip_iteratorINS7_INS6_11hip_rocprim26transform_input_iterator_tIbPlNS6_6detail10functional5actorINSH_9compositeIJNSH_27transparent_binary_operatorINS6_8equal_toIvEEEENSI_INSH_8argumentILj0EEEEENSH_5valueIlEEEEEEEEENSD_19counting_iterator_tIlEES8_S8_S8_S8_S8_S8_S8_S8_EEEEPS9_S9_NSD_9__find_if7functorIS9_EEEE10hipError_tPvRmT1_T2_T3_mT4_P12ihipStream_tbEUlT_E0_NS1_11comp_targetILNS1_3genE2ELNS1_11target_archE906ELNS1_3gpuE6ELNS1_3repE0EEENS1_30default_config_static_selectorELNS0_4arch9wavefront6targetE1EEEvS17_,@function
_ZN7rocprim17ROCPRIM_400000_NS6detail17trampoline_kernelINS0_14default_configENS1_22reduce_config_selectorIN6thrust23THRUST_200600_302600_NS5tupleIblNS6_9null_typeES8_S8_S8_S8_S8_S8_S8_EEEEZNS1_11reduce_implILb1ES3_NS6_12zip_iteratorINS7_INS6_11hip_rocprim26transform_input_iterator_tIbPlNS6_6detail10functional5actorINSH_9compositeIJNSH_27transparent_binary_operatorINS6_8equal_toIvEEEENSI_INSH_8argumentILj0EEEEENSH_5valueIlEEEEEEEEENSD_19counting_iterator_tIlEES8_S8_S8_S8_S8_S8_S8_S8_EEEEPS9_S9_NSD_9__find_if7functorIS9_EEEE10hipError_tPvRmT1_T2_T3_mT4_P12ihipStream_tbEUlT_E0_NS1_11comp_targetILNS1_3genE2ELNS1_11target_archE906ELNS1_3gpuE6ELNS1_3repE0EEENS1_30default_config_static_selectorELNS0_4arch9wavefront6targetE1EEEvS17_: ; @_ZN7rocprim17ROCPRIM_400000_NS6detail17trampoline_kernelINS0_14default_configENS1_22reduce_config_selectorIN6thrust23THRUST_200600_302600_NS5tupleIblNS6_9null_typeES8_S8_S8_S8_S8_S8_S8_EEEEZNS1_11reduce_implILb1ES3_NS6_12zip_iteratorINS7_INS6_11hip_rocprim26transform_input_iterator_tIbPlNS6_6detail10functional5actorINSH_9compositeIJNSH_27transparent_binary_operatorINS6_8equal_toIvEEEENSI_INSH_8argumentILj0EEEEENSH_5valueIlEEEEEEEEENSD_19counting_iterator_tIlEES8_S8_S8_S8_S8_S8_S8_S8_EEEEPS9_S9_NSD_9__find_if7functorIS9_EEEE10hipError_tPvRmT1_T2_T3_mT4_P12ihipStream_tbEUlT_E0_NS1_11comp_targetILNS1_3genE2ELNS1_11target_archE906ELNS1_3gpuE6ELNS1_3repE0EEENS1_30default_config_static_selectorELNS0_4arch9wavefront6targetE1EEEvS17_
; %bb.0:
	.section	.rodata,"a",@progbits
	.p2align	6, 0x0
	.amdhsa_kernel _ZN7rocprim17ROCPRIM_400000_NS6detail17trampoline_kernelINS0_14default_configENS1_22reduce_config_selectorIN6thrust23THRUST_200600_302600_NS5tupleIblNS6_9null_typeES8_S8_S8_S8_S8_S8_S8_EEEEZNS1_11reduce_implILb1ES3_NS6_12zip_iteratorINS7_INS6_11hip_rocprim26transform_input_iterator_tIbPlNS6_6detail10functional5actorINSH_9compositeIJNSH_27transparent_binary_operatorINS6_8equal_toIvEEEENSI_INSH_8argumentILj0EEEEENSH_5valueIlEEEEEEEEENSD_19counting_iterator_tIlEES8_S8_S8_S8_S8_S8_S8_S8_EEEEPS9_S9_NSD_9__find_if7functorIS9_EEEE10hipError_tPvRmT1_T2_T3_mT4_P12ihipStream_tbEUlT_E0_NS1_11comp_targetILNS1_3genE2ELNS1_11target_archE906ELNS1_3gpuE6ELNS1_3repE0EEENS1_30default_config_static_selectorELNS0_4arch9wavefront6targetE1EEEvS17_
		.amdhsa_group_segment_fixed_size 0
		.amdhsa_private_segment_fixed_size 0
		.amdhsa_kernarg_size 96
		.amdhsa_user_sgpr_count 6
		.amdhsa_user_sgpr_private_segment_buffer 1
		.amdhsa_user_sgpr_dispatch_ptr 0
		.amdhsa_user_sgpr_queue_ptr 0
		.amdhsa_user_sgpr_kernarg_segment_ptr 1
		.amdhsa_user_sgpr_dispatch_id 0
		.amdhsa_user_sgpr_flat_scratch_init 0
		.amdhsa_user_sgpr_kernarg_preload_length 0
		.amdhsa_user_sgpr_kernarg_preload_offset 0
		.amdhsa_user_sgpr_private_segment_size 0
		.amdhsa_uses_dynamic_stack 0
		.amdhsa_system_sgpr_private_segment_wavefront_offset 0
		.amdhsa_system_sgpr_workgroup_id_x 1
		.amdhsa_system_sgpr_workgroup_id_y 0
		.amdhsa_system_sgpr_workgroup_id_z 0
		.amdhsa_system_sgpr_workgroup_info 0
		.amdhsa_system_vgpr_workitem_id 0
		.amdhsa_next_free_vgpr 1
		.amdhsa_next_free_sgpr 0
		.amdhsa_accum_offset 4
		.amdhsa_reserve_vcc 0
		.amdhsa_reserve_flat_scratch 0
		.amdhsa_float_round_mode_32 0
		.amdhsa_float_round_mode_16_64 0
		.amdhsa_float_denorm_mode_32 3
		.amdhsa_float_denorm_mode_16_64 3
		.amdhsa_dx10_clamp 1
		.amdhsa_ieee_mode 1
		.amdhsa_fp16_overflow 0
		.amdhsa_tg_split 0
		.amdhsa_exception_fp_ieee_invalid_op 0
		.amdhsa_exception_fp_denorm_src 0
		.amdhsa_exception_fp_ieee_div_zero 0
		.amdhsa_exception_fp_ieee_overflow 0
		.amdhsa_exception_fp_ieee_underflow 0
		.amdhsa_exception_fp_ieee_inexact 0
		.amdhsa_exception_int_div_zero 0
	.end_amdhsa_kernel
	.section	.text._ZN7rocprim17ROCPRIM_400000_NS6detail17trampoline_kernelINS0_14default_configENS1_22reduce_config_selectorIN6thrust23THRUST_200600_302600_NS5tupleIblNS6_9null_typeES8_S8_S8_S8_S8_S8_S8_EEEEZNS1_11reduce_implILb1ES3_NS6_12zip_iteratorINS7_INS6_11hip_rocprim26transform_input_iterator_tIbPlNS6_6detail10functional5actorINSH_9compositeIJNSH_27transparent_binary_operatorINS6_8equal_toIvEEEENSI_INSH_8argumentILj0EEEEENSH_5valueIlEEEEEEEEENSD_19counting_iterator_tIlEES8_S8_S8_S8_S8_S8_S8_S8_EEEEPS9_S9_NSD_9__find_if7functorIS9_EEEE10hipError_tPvRmT1_T2_T3_mT4_P12ihipStream_tbEUlT_E0_NS1_11comp_targetILNS1_3genE2ELNS1_11target_archE906ELNS1_3gpuE6ELNS1_3repE0EEENS1_30default_config_static_selectorELNS0_4arch9wavefront6targetE1EEEvS17_,"axG",@progbits,_ZN7rocprim17ROCPRIM_400000_NS6detail17trampoline_kernelINS0_14default_configENS1_22reduce_config_selectorIN6thrust23THRUST_200600_302600_NS5tupleIblNS6_9null_typeES8_S8_S8_S8_S8_S8_S8_EEEEZNS1_11reduce_implILb1ES3_NS6_12zip_iteratorINS7_INS6_11hip_rocprim26transform_input_iterator_tIbPlNS6_6detail10functional5actorINSH_9compositeIJNSH_27transparent_binary_operatorINS6_8equal_toIvEEEENSI_INSH_8argumentILj0EEEEENSH_5valueIlEEEEEEEEENSD_19counting_iterator_tIlEES8_S8_S8_S8_S8_S8_S8_S8_EEEEPS9_S9_NSD_9__find_if7functorIS9_EEEE10hipError_tPvRmT1_T2_T3_mT4_P12ihipStream_tbEUlT_E0_NS1_11comp_targetILNS1_3genE2ELNS1_11target_archE906ELNS1_3gpuE6ELNS1_3repE0EEENS1_30default_config_static_selectorELNS0_4arch9wavefront6targetE1EEEvS17_,comdat
.Lfunc_end1244:
	.size	_ZN7rocprim17ROCPRIM_400000_NS6detail17trampoline_kernelINS0_14default_configENS1_22reduce_config_selectorIN6thrust23THRUST_200600_302600_NS5tupleIblNS6_9null_typeES8_S8_S8_S8_S8_S8_S8_EEEEZNS1_11reduce_implILb1ES3_NS6_12zip_iteratorINS7_INS6_11hip_rocprim26transform_input_iterator_tIbPlNS6_6detail10functional5actorINSH_9compositeIJNSH_27transparent_binary_operatorINS6_8equal_toIvEEEENSI_INSH_8argumentILj0EEEEENSH_5valueIlEEEEEEEEENSD_19counting_iterator_tIlEES8_S8_S8_S8_S8_S8_S8_S8_EEEEPS9_S9_NSD_9__find_if7functorIS9_EEEE10hipError_tPvRmT1_T2_T3_mT4_P12ihipStream_tbEUlT_E0_NS1_11comp_targetILNS1_3genE2ELNS1_11target_archE906ELNS1_3gpuE6ELNS1_3repE0EEENS1_30default_config_static_selectorELNS0_4arch9wavefront6targetE1EEEvS17_, .Lfunc_end1244-_ZN7rocprim17ROCPRIM_400000_NS6detail17trampoline_kernelINS0_14default_configENS1_22reduce_config_selectorIN6thrust23THRUST_200600_302600_NS5tupleIblNS6_9null_typeES8_S8_S8_S8_S8_S8_S8_EEEEZNS1_11reduce_implILb1ES3_NS6_12zip_iteratorINS7_INS6_11hip_rocprim26transform_input_iterator_tIbPlNS6_6detail10functional5actorINSH_9compositeIJNSH_27transparent_binary_operatorINS6_8equal_toIvEEEENSI_INSH_8argumentILj0EEEEENSH_5valueIlEEEEEEEEENSD_19counting_iterator_tIlEES8_S8_S8_S8_S8_S8_S8_S8_EEEEPS9_S9_NSD_9__find_if7functorIS9_EEEE10hipError_tPvRmT1_T2_T3_mT4_P12ihipStream_tbEUlT_E0_NS1_11comp_targetILNS1_3genE2ELNS1_11target_archE906ELNS1_3gpuE6ELNS1_3repE0EEENS1_30default_config_static_selectorELNS0_4arch9wavefront6targetE1EEEvS17_
                                        ; -- End function
	.section	.AMDGPU.csdata,"",@progbits
; Kernel info:
; codeLenInByte = 0
; NumSgprs: 4
; NumVgprs: 0
; NumAgprs: 0
; TotalNumVgprs: 0
; ScratchSize: 0
; MemoryBound: 0
; FloatMode: 240
; IeeeMode: 1
; LDSByteSize: 0 bytes/workgroup (compile time only)
; SGPRBlocks: 0
; VGPRBlocks: 0
; NumSGPRsForWavesPerEU: 4
; NumVGPRsForWavesPerEU: 1
; AccumOffset: 4
; Occupancy: 8
; WaveLimiterHint : 0
; COMPUTE_PGM_RSRC2:SCRATCH_EN: 0
; COMPUTE_PGM_RSRC2:USER_SGPR: 6
; COMPUTE_PGM_RSRC2:TRAP_HANDLER: 0
; COMPUTE_PGM_RSRC2:TGID_X_EN: 1
; COMPUTE_PGM_RSRC2:TGID_Y_EN: 0
; COMPUTE_PGM_RSRC2:TGID_Z_EN: 0
; COMPUTE_PGM_RSRC2:TIDIG_COMP_CNT: 0
; COMPUTE_PGM_RSRC3_GFX90A:ACCUM_OFFSET: 0
; COMPUTE_PGM_RSRC3_GFX90A:TG_SPLIT: 0
	.section	.text._ZN7rocprim17ROCPRIM_400000_NS6detail17trampoline_kernelINS0_14default_configENS1_22reduce_config_selectorIN6thrust23THRUST_200600_302600_NS5tupleIblNS6_9null_typeES8_S8_S8_S8_S8_S8_S8_EEEEZNS1_11reduce_implILb1ES3_NS6_12zip_iteratorINS7_INS6_11hip_rocprim26transform_input_iterator_tIbPlNS6_6detail10functional5actorINSH_9compositeIJNSH_27transparent_binary_operatorINS6_8equal_toIvEEEENSI_INSH_8argumentILj0EEEEENSH_5valueIlEEEEEEEEENSD_19counting_iterator_tIlEES8_S8_S8_S8_S8_S8_S8_S8_EEEEPS9_S9_NSD_9__find_if7functorIS9_EEEE10hipError_tPvRmT1_T2_T3_mT4_P12ihipStream_tbEUlT_E0_NS1_11comp_targetILNS1_3genE10ELNS1_11target_archE1201ELNS1_3gpuE5ELNS1_3repE0EEENS1_30default_config_static_selectorELNS0_4arch9wavefront6targetE1EEEvS17_,"axG",@progbits,_ZN7rocprim17ROCPRIM_400000_NS6detail17trampoline_kernelINS0_14default_configENS1_22reduce_config_selectorIN6thrust23THRUST_200600_302600_NS5tupleIblNS6_9null_typeES8_S8_S8_S8_S8_S8_S8_EEEEZNS1_11reduce_implILb1ES3_NS6_12zip_iteratorINS7_INS6_11hip_rocprim26transform_input_iterator_tIbPlNS6_6detail10functional5actorINSH_9compositeIJNSH_27transparent_binary_operatorINS6_8equal_toIvEEEENSI_INSH_8argumentILj0EEEEENSH_5valueIlEEEEEEEEENSD_19counting_iterator_tIlEES8_S8_S8_S8_S8_S8_S8_S8_EEEEPS9_S9_NSD_9__find_if7functorIS9_EEEE10hipError_tPvRmT1_T2_T3_mT4_P12ihipStream_tbEUlT_E0_NS1_11comp_targetILNS1_3genE10ELNS1_11target_archE1201ELNS1_3gpuE5ELNS1_3repE0EEENS1_30default_config_static_selectorELNS0_4arch9wavefront6targetE1EEEvS17_,comdat
	.protected	_ZN7rocprim17ROCPRIM_400000_NS6detail17trampoline_kernelINS0_14default_configENS1_22reduce_config_selectorIN6thrust23THRUST_200600_302600_NS5tupleIblNS6_9null_typeES8_S8_S8_S8_S8_S8_S8_EEEEZNS1_11reduce_implILb1ES3_NS6_12zip_iteratorINS7_INS6_11hip_rocprim26transform_input_iterator_tIbPlNS6_6detail10functional5actorINSH_9compositeIJNSH_27transparent_binary_operatorINS6_8equal_toIvEEEENSI_INSH_8argumentILj0EEEEENSH_5valueIlEEEEEEEEENSD_19counting_iterator_tIlEES8_S8_S8_S8_S8_S8_S8_S8_EEEEPS9_S9_NSD_9__find_if7functorIS9_EEEE10hipError_tPvRmT1_T2_T3_mT4_P12ihipStream_tbEUlT_E0_NS1_11comp_targetILNS1_3genE10ELNS1_11target_archE1201ELNS1_3gpuE5ELNS1_3repE0EEENS1_30default_config_static_selectorELNS0_4arch9wavefront6targetE1EEEvS17_ ; -- Begin function _ZN7rocprim17ROCPRIM_400000_NS6detail17trampoline_kernelINS0_14default_configENS1_22reduce_config_selectorIN6thrust23THRUST_200600_302600_NS5tupleIblNS6_9null_typeES8_S8_S8_S8_S8_S8_S8_EEEEZNS1_11reduce_implILb1ES3_NS6_12zip_iteratorINS7_INS6_11hip_rocprim26transform_input_iterator_tIbPlNS6_6detail10functional5actorINSH_9compositeIJNSH_27transparent_binary_operatorINS6_8equal_toIvEEEENSI_INSH_8argumentILj0EEEEENSH_5valueIlEEEEEEEEENSD_19counting_iterator_tIlEES8_S8_S8_S8_S8_S8_S8_S8_EEEEPS9_S9_NSD_9__find_if7functorIS9_EEEE10hipError_tPvRmT1_T2_T3_mT4_P12ihipStream_tbEUlT_E0_NS1_11comp_targetILNS1_3genE10ELNS1_11target_archE1201ELNS1_3gpuE5ELNS1_3repE0EEENS1_30default_config_static_selectorELNS0_4arch9wavefront6targetE1EEEvS17_
	.globl	_ZN7rocprim17ROCPRIM_400000_NS6detail17trampoline_kernelINS0_14default_configENS1_22reduce_config_selectorIN6thrust23THRUST_200600_302600_NS5tupleIblNS6_9null_typeES8_S8_S8_S8_S8_S8_S8_EEEEZNS1_11reduce_implILb1ES3_NS6_12zip_iteratorINS7_INS6_11hip_rocprim26transform_input_iterator_tIbPlNS6_6detail10functional5actorINSH_9compositeIJNSH_27transparent_binary_operatorINS6_8equal_toIvEEEENSI_INSH_8argumentILj0EEEEENSH_5valueIlEEEEEEEEENSD_19counting_iterator_tIlEES8_S8_S8_S8_S8_S8_S8_S8_EEEEPS9_S9_NSD_9__find_if7functorIS9_EEEE10hipError_tPvRmT1_T2_T3_mT4_P12ihipStream_tbEUlT_E0_NS1_11comp_targetILNS1_3genE10ELNS1_11target_archE1201ELNS1_3gpuE5ELNS1_3repE0EEENS1_30default_config_static_selectorELNS0_4arch9wavefront6targetE1EEEvS17_
	.p2align	8
	.type	_ZN7rocprim17ROCPRIM_400000_NS6detail17trampoline_kernelINS0_14default_configENS1_22reduce_config_selectorIN6thrust23THRUST_200600_302600_NS5tupleIblNS6_9null_typeES8_S8_S8_S8_S8_S8_S8_EEEEZNS1_11reduce_implILb1ES3_NS6_12zip_iteratorINS7_INS6_11hip_rocprim26transform_input_iterator_tIbPlNS6_6detail10functional5actorINSH_9compositeIJNSH_27transparent_binary_operatorINS6_8equal_toIvEEEENSI_INSH_8argumentILj0EEEEENSH_5valueIlEEEEEEEEENSD_19counting_iterator_tIlEES8_S8_S8_S8_S8_S8_S8_S8_EEEEPS9_S9_NSD_9__find_if7functorIS9_EEEE10hipError_tPvRmT1_T2_T3_mT4_P12ihipStream_tbEUlT_E0_NS1_11comp_targetILNS1_3genE10ELNS1_11target_archE1201ELNS1_3gpuE5ELNS1_3repE0EEENS1_30default_config_static_selectorELNS0_4arch9wavefront6targetE1EEEvS17_,@function
_ZN7rocprim17ROCPRIM_400000_NS6detail17trampoline_kernelINS0_14default_configENS1_22reduce_config_selectorIN6thrust23THRUST_200600_302600_NS5tupleIblNS6_9null_typeES8_S8_S8_S8_S8_S8_S8_EEEEZNS1_11reduce_implILb1ES3_NS6_12zip_iteratorINS7_INS6_11hip_rocprim26transform_input_iterator_tIbPlNS6_6detail10functional5actorINSH_9compositeIJNSH_27transparent_binary_operatorINS6_8equal_toIvEEEENSI_INSH_8argumentILj0EEEEENSH_5valueIlEEEEEEEEENSD_19counting_iterator_tIlEES8_S8_S8_S8_S8_S8_S8_S8_EEEEPS9_S9_NSD_9__find_if7functorIS9_EEEE10hipError_tPvRmT1_T2_T3_mT4_P12ihipStream_tbEUlT_E0_NS1_11comp_targetILNS1_3genE10ELNS1_11target_archE1201ELNS1_3gpuE5ELNS1_3repE0EEENS1_30default_config_static_selectorELNS0_4arch9wavefront6targetE1EEEvS17_: ; @_ZN7rocprim17ROCPRIM_400000_NS6detail17trampoline_kernelINS0_14default_configENS1_22reduce_config_selectorIN6thrust23THRUST_200600_302600_NS5tupleIblNS6_9null_typeES8_S8_S8_S8_S8_S8_S8_EEEEZNS1_11reduce_implILb1ES3_NS6_12zip_iteratorINS7_INS6_11hip_rocprim26transform_input_iterator_tIbPlNS6_6detail10functional5actorINSH_9compositeIJNSH_27transparent_binary_operatorINS6_8equal_toIvEEEENSI_INSH_8argumentILj0EEEEENSH_5valueIlEEEEEEEEENSD_19counting_iterator_tIlEES8_S8_S8_S8_S8_S8_S8_S8_EEEEPS9_S9_NSD_9__find_if7functorIS9_EEEE10hipError_tPvRmT1_T2_T3_mT4_P12ihipStream_tbEUlT_E0_NS1_11comp_targetILNS1_3genE10ELNS1_11target_archE1201ELNS1_3gpuE5ELNS1_3repE0EEENS1_30default_config_static_selectorELNS0_4arch9wavefront6targetE1EEEvS17_
; %bb.0:
	.section	.rodata,"a",@progbits
	.p2align	6, 0x0
	.amdhsa_kernel _ZN7rocprim17ROCPRIM_400000_NS6detail17trampoline_kernelINS0_14default_configENS1_22reduce_config_selectorIN6thrust23THRUST_200600_302600_NS5tupleIblNS6_9null_typeES8_S8_S8_S8_S8_S8_S8_EEEEZNS1_11reduce_implILb1ES3_NS6_12zip_iteratorINS7_INS6_11hip_rocprim26transform_input_iterator_tIbPlNS6_6detail10functional5actorINSH_9compositeIJNSH_27transparent_binary_operatorINS6_8equal_toIvEEEENSI_INSH_8argumentILj0EEEEENSH_5valueIlEEEEEEEEENSD_19counting_iterator_tIlEES8_S8_S8_S8_S8_S8_S8_S8_EEEEPS9_S9_NSD_9__find_if7functorIS9_EEEE10hipError_tPvRmT1_T2_T3_mT4_P12ihipStream_tbEUlT_E0_NS1_11comp_targetILNS1_3genE10ELNS1_11target_archE1201ELNS1_3gpuE5ELNS1_3repE0EEENS1_30default_config_static_selectorELNS0_4arch9wavefront6targetE1EEEvS17_
		.amdhsa_group_segment_fixed_size 0
		.amdhsa_private_segment_fixed_size 0
		.amdhsa_kernarg_size 96
		.amdhsa_user_sgpr_count 6
		.amdhsa_user_sgpr_private_segment_buffer 1
		.amdhsa_user_sgpr_dispatch_ptr 0
		.amdhsa_user_sgpr_queue_ptr 0
		.amdhsa_user_sgpr_kernarg_segment_ptr 1
		.amdhsa_user_sgpr_dispatch_id 0
		.amdhsa_user_sgpr_flat_scratch_init 0
		.amdhsa_user_sgpr_kernarg_preload_length 0
		.amdhsa_user_sgpr_kernarg_preload_offset 0
		.amdhsa_user_sgpr_private_segment_size 0
		.amdhsa_uses_dynamic_stack 0
		.amdhsa_system_sgpr_private_segment_wavefront_offset 0
		.amdhsa_system_sgpr_workgroup_id_x 1
		.amdhsa_system_sgpr_workgroup_id_y 0
		.amdhsa_system_sgpr_workgroup_id_z 0
		.amdhsa_system_sgpr_workgroup_info 0
		.amdhsa_system_vgpr_workitem_id 0
		.amdhsa_next_free_vgpr 1
		.amdhsa_next_free_sgpr 0
		.amdhsa_accum_offset 4
		.amdhsa_reserve_vcc 0
		.amdhsa_reserve_flat_scratch 0
		.amdhsa_float_round_mode_32 0
		.amdhsa_float_round_mode_16_64 0
		.amdhsa_float_denorm_mode_32 3
		.amdhsa_float_denorm_mode_16_64 3
		.amdhsa_dx10_clamp 1
		.amdhsa_ieee_mode 1
		.amdhsa_fp16_overflow 0
		.amdhsa_tg_split 0
		.amdhsa_exception_fp_ieee_invalid_op 0
		.amdhsa_exception_fp_denorm_src 0
		.amdhsa_exception_fp_ieee_div_zero 0
		.amdhsa_exception_fp_ieee_overflow 0
		.amdhsa_exception_fp_ieee_underflow 0
		.amdhsa_exception_fp_ieee_inexact 0
		.amdhsa_exception_int_div_zero 0
	.end_amdhsa_kernel
	.section	.text._ZN7rocprim17ROCPRIM_400000_NS6detail17trampoline_kernelINS0_14default_configENS1_22reduce_config_selectorIN6thrust23THRUST_200600_302600_NS5tupleIblNS6_9null_typeES8_S8_S8_S8_S8_S8_S8_EEEEZNS1_11reduce_implILb1ES3_NS6_12zip_iteratorINS7_INS6_11hip_rocprim26transform_input_iterator_tIbPlNS6_6detail10functional5actorINSH_9compositeIJNSH_27transparent_binary_operatorINS6_8equal_toIvEEEENSI_INSH_8argumentILj0EEEEENSH_5valueIlEEEEEEEEENSD_19counting_iterator_tIlEES8_S8_S8_S8_S8_S8_S8_S8_EEEEPS9_S9_NSD_9__find_if7functorIS9_EEEE10hipError_tPvRmT1_T2_T3_mT4_P12ihipStream_tbEUlT_E0_NS1_11comp_targetILNS1_3genE10ELNS1_11target_archE1201ELNS1_3gpuE5ELNS1_3repE0EEENS1_30default_config_static_selectorELNS0_4arch9wavefront6targetE1EEEvS17_,"axG",@progbits,_ZN7rocprim17ROCPRIM_400000_NS6detail17trampoline_kernelINS0_14default_configENS1_22reduce_config_selectorIN6thrust23THRUST_200600_302600_NS5tupleIblNS6_9null_typeES8_S8_S8_S8_S8_S8_S8_EEEEZNS1_11reduce_implILb1ES3_NS6_12zip_iteratorINS7_INS6_11hip_rocprim26transform_input_iterator_tIbPlNS6_6detail10functional5actorINSH_9compositeIJNSH_27transparent_binary_operatorINS6_8equal_toIvEEEENSI_INSH_8argumentILj0EEEEENSH_5valueIlEEEEEEEEENSD_19counting_iterator_tIlEES8_S8_S8_S8_S8_S8_S8_S8_EEEEPS9_S9_NSD_9__find_if7functorIS9_EEEE10hipError_tPvRmT1_T2_T3_mT4_P12ihipStream_tbEUlT_E0_NS1_11comp_targetILNS1_3genE10ELNS1_11target_archE1201ELNS1_3gpuE5ELNS1_3repE0EEENS1_30default_config_static_selectorELNS0_4arch9wavefront6targetE1EEEvS17_,comdat
.Lfunc_end1245:
	.size	_ZN7rocprim17ROCPRIM_400000_NS6detail17trampoline_kernelINS0_14default_configENS1_22reduce_config_selectorIN6thrust23THRUST_200600_302600_NS5tupleIblNS6_9null_typeES8_S8_S8_S8_S8_S8_S8_EEEEZNS1_11reduce_implILb1ES3_NS6_12zip_iteratorINS7_INS6_11hip_rocprim26transform_input_iterator_tIbPlNS6_6detail10functional5actorINSH_9compositeIJNSH_27transparent_binary_operatorINS6_8equal_toIvEEEENSI_INSH_8argumentILj0EEEEENSH_5valueIlEEEEEEEEENSD_19counting_iterator_tIlEES8_S8_S8_S8_S8_S8_S8_S8_EEEEPS9_S9_NSD_9__find_if7functorIS9_EEEE10hipError_tPvRmT1_T2_T3_mT4_P12ihipStream_tbEUlT_E0_NS1_11comp_targetILNS1_3genE10ELNS1_11target_archE1201ELNS1_3gpuE5ELNS1_3repE0EEENS1_30default_config_static_selectorELNS0_4arch9wavefront6targetE1EEEvS17_, .Lfunc_end1245-_ZN7rocprim17ROCPRIM_400000_NS6detail17trampoline_kernelINS0_14default_configENS1_22reduce_config_selectorIN6thrust23THRUST_200600_302600_NS5tupleIblNS6_9null_typeES8_S8_S8_S8_S8_S8_S8_EEEEZNS1_11reduce_implILb1ES3_NS6_12zip_iteratorINS7_INS6_11hip_rocprim26transform_input_iterator_tIbPlNS6_6detail10functional5actorINSH_9compositeIJNSH_27transparent_binary_operatorINS6_8equal_toIvEEEENSI_INSH_8argumentILj0EEEEENSH_5valueIlEEEEEEEEENSD_19counting_iterator_tIlEES8_S8_S8_S8_S8_S8_S8_S8_EEEEPS9_S9_NSD_9__find_if7functorIS9_EEEE10hipError_tPvRmT1_T2_T3_mT4_P12ihipStream_tbEUlT_E0_NS1_11comp_targetILNS1_3genE10ELNS1_11target_archE1201ELNS1_3gpuE5ELNS1_3repE0EEENS1_30default_config_static_selectorELNS0_4arch9wavefront6targetE1EEEvS17_
                                        ; -- End function
	.section	.AMDGPU.csdata,"",@progbits
; Kernel info:
; codeLenInByte = 0
; NumSgprs: 4
; NumVgprs: 0
; NumAgprs: 0
; TotalNumVgprs: 0
; ScratchSize: 0
; MemoryBound: 0
; FloatMode: 240
; IeeeMode: 1
; LDSByteSize: 0 bytes/workgroup (compile time only)
; SGPRBlocks: 0
; VGPRBlocks: 0
; NumSGPRsForWavesPerEU: 4
; NumVGPRsForWavesPerEU: 1
; AccumOffset: 4
; Occupancy: 8
; WaveLimiterHint : 0
; COMPUTE_PGM_RSRC2:SCRATCH_EN: 0
; COMPUTE_PGM_RSRC2:USER_SGPR: 6
; COMPUTE_PGM_RSRC2:TRAP_HANDLER: 0
; COMPUTE_PGM_RSRC2:TGID_X_EN: 1
; COMPUTE_PGM_RSRC2:TGID_Y_EN: 0
; COMPUTE_PGM_RSRC2:TGID_Z_EN: 0
; COMPUTE_PGM_RSRC2:TIDIG_COMP_CNT: 0
; COMPUTE_PGM_RSRC3_GFX90A:ACCUM_OFFSET: 0
; COMPUTE_PGM_RSRC3_GFX90A:TG_SPLIT: 0
	.section	.text._ZN7rocprim17ROCPRIM_400000_NS6detail17trampoline_kernelINS0_14default_configENS1_22reduce_config_selectorIN6thrust23THRUST_200600_302600_NS5tupleIblNS6_9null_typeES8_S8_S8_S8_S8_S8_S8_EEEEZNS1_11reduce_implILb1ES3_NS6_12zip_iteratorINS7_INS6_11hip_rocprim26transform_input_iterator_tIbPlNS6_6detail10functional5actorINSH_9compositeIJNSH_27transparent_binary_operatorINS6_8equal_toIvEEEENSI_INSH_8argumentILj0EEEEENSH_5valueIlEEEEEEEEENSD_19counting_iterator_tIlEES8_S8_S8_S8_S8_S8_S8_S8_EEEEPS9_S9_NSD_9__find_if7functorIS9_EEEE10hipError_tPvRmT1_T2_T3_mT4_P12ihipStream_tbEUlT_E0_NS1_11comp_targetILNS1_3genE10ELNS1_11target_archE1200ELNS1_3gpuE4ELNS1_3repE0EEENS1_30default_config_static_selectorELNS0_4arch9wavefront6targetE1EEEvS17_,"axG",@progbits,_ZN7rocprim17ROCPRIM_400000_NS6detail17trampoline_kernelINS0_14default_configENS1_22reduce_config_selectorIN6thrust23THRUST_200600_302600_NS5tupleIblNS6_9null_typeES8_S8_S8_S8_S8_S8_S8_EEEEZNS1_11reduce_implILb1ES3_NS6_12zip_iteratorINS7_INS6_11hip_rocprim26transform_input_iterator_tIbPlNS6_6detail10functional5actorINSH_9compositeIJNSH_27transparent_binary_operatorINS6_8equal_toIvEEEENSI_INSH_8argumentILj0EEEEENSH_5valueIlEEEEEEEEENSD_19counting_iterator_tIlEES8_S8_S8_S8_S8_S8_S8_S8_EEEEPS9_S9_NSD_9__find_if7functorIS9_EEEE10hipError_tPvRmT1_T2_T3_mT4_P12ihipStream_tbEUlT_E0_NS1_11comp_targetILNS1_3genE10ELNS1_11target_archE1200ELNS1_3gpuE4ELNS1_3repE0EEENS1_30default_config_static_selectorELNS0_4arch9wavefront6targetE1EEEvS17_,comdat
	.protected	_ZN7rocprim17ROCPRIM_400000_NS6detail17trampoline_kernelINS0_14default_configENS1_22reduce_config_selectorIN6thrust23THRUST_200600_302600_NS5tupleIblNS6_9null_typeES8_S8_S8_S8_S8_S8_S8_EEEEZNS1_11reduce_implILb1ES3_NS6_12zip_iteratorINS7_INS6_11hip_rocprim26transform_input_iterator_tIbPlNS6_6detail10functional5actorINSH_9compositeIJNSH_27transparent_binary_operatorINS6_8equal_toIvEEEENSI_INSH_8argumentILj0EEEEENSH_5valueIlEEEEEEEEENSD_19counting_iterator_tIlEES8_S8_S8_S8_S8_S8_S8_S8_EEEEPS9_S9_NSD_9__find_if7functorIS9_EEEE10hipError_tPvRmT1_T2_T3_mT4_P12ihipStream_tbEUlT_E0_NS1_11comp_targetILNS1_3genE10ELNS1_11target_archE1200ELNS1_3gpuE4ELNS1_3repE0EEENS1_30default_config_static_selectorELNS0_4arch9wavefront6targetE1EEEvS17_ ; -- Begin function _ZN7rocprim17ROCPRIM_400000_NS6detail17trampoline_kernelINS0_14default_configENS1_22reduce_config_selectorIN6thrust23THRUST_200600_302600_NS5tupleIblNS6_9null_typeES8_S8_S8_S8_S8_S8_S8_EEEEZNS1_11reduce_implILb1ES3_NS6_12zip_iteratorINS7_INS6_11hip_rocprim26transform_input_iterator_tIbPlNS6_6detail10functional5actorINSH_9compositeIJNSH_27transparent_binary_operatorINS6_8equal_toIvEEEENSI_INSH_8argumentILj0EEEEENSH_5valueIlEEEEEEEEENSD_19counting_iterator_tIlEES8_S8_S8_S8_S8_S8_S8_S8_EEEEPS9_S9_NSD_9__find_if7functorIS9_EEEE10hipError_tPvRmT1_T2_T3_mT4_P12ihipStream_tbEUlT_E0_NS1_11comp_targetILNS1_3genE10ELNS1_11target_archE1200ELNS1_3gpuE4ELNS1_3repE0EEENS1_30default_config_static_selectorELNS0_4arch9wavefront6targetE1EEEvS17_
	.globl	_ZN7rocprim17ROCPRIM_400000_NS6detail17trampoline_kernelINS0_14default_configENS1_22reduce_config_selectorIN6thrust23THRUST_200600_302600_NS5tupleIblNS6_9null_typeES8_S8_S8_S8_S8_S8_S8_EEEEZNS1_11reduce_implILb1ES3_NS6_12zip_iteratorINS7_INS6_11hip_rocprim26transform_input_iterator_tIbPlNS6_6detail10functional5actorINSH_9compositeIJNSH_27transparent_binary_operatorINS6_8equal_toIvEEEENSI_INSH_8argumentILj0EEEEENSH_5valueIlEEEEEEEEENSD_19counting_iterator_tIlEES8_S8_S8_S8_S8_S8_S8_S8_EEEEPS9_S9_NSD_9__find_if7functorIS9_EEEE10hipError_tPvRmT1_T2_T3_mT4_P12ihipStream_tbEUlT_E0_NS1_11comp_targetILNS1_3genE10ELNS1_11target_archE1200ELNS1_3gpuE4ELNS1_3repE0EEENS1_30default_config_static_selectorELNS0_4arch9wavefront6targetE1EEEvS17_
	.p2align	8
	.type	_ZN7rocprim17ROCPRIM_400000_NS6detail17trampoline_kernelINS0_14default_configENS1_22reduce_config_selectorIN6thrust23THRUST_200600_302600_NS5tupleIblNS6_9null_typeES8_S8_S8_S8_S8_S8_S8_EEEEZNS1_11reduce_implILb1ES3_NS6_12zip_iteratorINS7_INS6_11hip_rocprim26transform_input_iterator_tIbPlNS6_6detail10functional5actorINSH_9compositeIJNSH_27transparent_binary_operatorINS6_8equal_toIvEEEENSI_INSH_8argumentILj0EEEEENSH_5valueIlEEEEEEEEENSD_19counting_iterator_tIlEES8_S8_S8_S8_S8_S8_S8_S8_EEEEPS9_S9_NSD_9__find_if7functorIS9_EEEE10hipError_tPvRmT1_T2_T3_mT4_P12ihipStream_tbEUlT_E0_NS1_11comp_targetILNS1_3genE10ELNS1_11target_archE1200ELNS1_3gpuE4ELNS1_3repE0EEENS1_30default_config_static_selectorELNS0_4arch9wavefront6targetE1EEEvS17_,@function
_ZN7rocprim17ROCPRIM_400000_NS6detail17trampoline_kernelINS0_14default_configENS1_22reduce_config_selectorIN6thrust23THRUST_200600_302600_NS5tupleIblNS6_9null_typeES8_S8_S8_S8_S8_S8_S8_EEEEZNS1_11reduce_implILb1ES3_NS6_12zip_iteratorINS7_INS6_11hip_rocprim26transform_input_iterator_tIbPlNS6_6detail10functional5actorINSH_9compositeIJNSH_27transparent_binary_operatorINS6_8equal_toIvEEEENSI_INSH_8argumentILj0EEEEENSH_5valueIlEEEEEEEEENSD_19counting_iterator_tIlEES8_S8_S8_S8_S8_S8_S8_S8_EEEEPS9_S9_NSD_9__find_if7functorIS9_EEEE10hipError_tPvRmT1_T2_T3_mT4_P12ihipStream_tbEUlT_E0_NS1_11comp_targetILNS1_3genE10ELNS1_11target_archE1200ELNS1_3gpuE4ELNS1_3repE0EEENS1_30default_config_static_selectorELNS0_4arch9wavefront6targetE1EEEvS17_: ; @_ZN7rocprim17ROCPRIM_400000_NS6detail17trampoline_kernelINS0_14default_configENS1_22reduce_config_selectorIN6thrust23THRUST_200600_302600_NS5tupleIblNS6_9null_typeES8_S8_S8_S8_S8_S8_S8_EEEEZNS1_11reduce_implILb1ES3_NS6_12zip_iteratorINS7_INS6_11hip_rocprim26transform_input_iterator_tIbPlNS6_6detail10functional5actorINSH_9compositeIJNSH_27transparent_binary_operatorINS6_8equal_toIvEEEENSI_INSH_8argumentILj0EEEEENSH_5valueIlEEEEEEEEENSD_19counting_iterator_tIlEES8_S8_S8_S8_S8_S8_S8_S8_EEEEPS9_S9_NSD_9__find_if7functorIS9_EEEE10hipError_tPvRmT1_T2_T3_mT4_P12ihipStream_tbEUlT_E0_NS1_11comp_targetILNS1_3genE10ELNS1_11target_archE1200ELNS1_3gpuE4ELNS1_3repE0EEENS1_30default_config_static_selectorELNS0_4arch9wavefront6targetE1EEEvS17_
; %bb.0:
	.section	.rodata,"a",@progbits
	.p2align	6, 0x0
	.amdhsa_kernel _ZN7rocprim17ROCPRIM_400000_NS6detail17trampoline_kernelINS0_14default_configENS1_22reduce_config_selectorIN6thrust23THRUST_200600_302600_NS5tupleIblNS6_9null_typeES8_S8_S8_S8_S8_S8_S8_EEEEZNS1_11reduce_implILb1ES3_NS6_12zip_iteratorINS7_INS6_11hip_rocprim26transform_input_iterator_tIbPlNS6_6detail10functional5actorINSH_9compositeIJNSH_27transparent_binary_operatorINS6_8equal_toIvEEEENSI_INSH_8argumentILj0EEEEENSH_5valueIlEEEEEEEEENSD_19counting_iterator_tIlEES8_S8_S8_S8_S8_S8_S8_S8_EEEEPS9_S9_NSD_9__find_if7functorIS9_EEEE10hipError_tPvRmT1_T2_T3_mT4_P12ihipStream_tbEUlT_E0_NS1_11comp_targetILNS1_3genE10ELNS1_11target_archE1200ELNS1_3gpuE4ELNS1_3repE0EEENS1_30default_config_static_selectorELNS0_4arch9wavefront6targetE1EEEvS17_
		.amdhsa_group_segment_fixed_size 0
		.amdhsa_private_segment_fixed_size 0
		.amdhsa_kernarg_size 96
		.amdhsa_user_sgpr_count 6
		.amdhsa_user_sgpr_private_segment_buffer 1
		.amdhsa_user_sgpr_dispatch_ptr 0
		.amdhsa_user_sgpr_queue_ptr 0
		.amdhsa_user_sgpr_kernarg_segment_ptr 1
		.amdhsa_user_sgpr_dispatch_id 0
		.amdhsa_user_sgpr_flat_scratch_init 0
		.amdhsa_user_sgpr_kernarg_preload_length 0
		.amdhsa_user_sgpr_kernarg_preload_offset 0
		.amdhsa_user_sgpr_private_segment_size 0
		.amdhsa_uses_dynamic_stack 0
		.amdhsa_system_sgpr_private_segment_wavefront_offset 0
		.amdhsa_system_sgpr_workgroup_id_x 1
		.amdhsa_system_sgpr_workgroup_id_y 0
		.amdhsa_system_sgpr_workgroup_id_z 0
		.amdhsa_system_sgpr_workgroup_info 0
		.amdhsa_system_vgpr_workitem_id 0
		.amdhsa_next_free_vgpr 1
		.amdhsa_next_free_sgpr 0
		.amdhsa_accum_offset 4
		.amdhsa_reserve_vcc 0
		.amdhsa_reserve_flat_scratch 0
		.amdhsa_float_round_mode_32 0
		.amdhsa_float_round_mode_16_64 0
		.amdhsa_float_denorm_mode_32 3
		.amdhsa_float_denorm_mode_16_64 3
		.amdhsa_dx10_clamp 1
		.amdhsa_ieee_mode 1
		.amdhsa_fp16_overflow 0
		.amdhsa_tg_split 0
		.amdhsa_exception_fp_ieee_invalid_op 0
		.amdhsa_exception_fp_denorm_src 0
		.amdhsa_exception_fp_ieee_div_zero 0
		.amdhsa_exception_fp_ieee_overflow 0
		.amdhsa_exception_fp_ieee_underflow 0
		.amdhsa_exception_fp_ieee_inexact 0
		.amdhsa_exception_int_div_zero 0
	.end_amdhsa_kernel
	.section	.text._ZN7rocprim17ROCPRIM_400000_NS6detail17trampoline_kernelINS0_14default_configENS1_22reduce_config_selectorIN6thrust23THRUST_200600_302600_NS5tupleIblNS6_9null_typeES8_S8_S8_S8_S8_S8_S8_EEEEZNS1_11reduce_implILb1ES3_NS6_12zip_iteratorINS7_INS6_11hip_rocprim26transform_input_iterator_tIbPlNS6_6detail10functional5actorINSH_9compositeIJNSH_27transparent_binary_operatorINS6_8equal_toIvEEEENSI_INSH_8argumentILj0EEEEENSH_5valueIlEEEEEEEEENSD_19counting_iterator_tIlEES8_S8_S8_S8_S8_S8_S8_S8_EEEEPS9_S9_NSD_9__find_if7functorIS9_EEEE10hipError_tPvRmT1_T2_T3_mT4_P12ihipStream_tbEUlT_E0_NS1_11comp_targetILNS1_3genE10ELNS1_11target_archE1200ELNS1_3gpuE4ELNS1_3repE0EEENS1_30default_config_static_selectorELNS0_4arch9wavefront6targetE1EEEvS17_,"axG",@progbits,_ZN7rocprim17ROCPRIM_400000_NS6detail17trampoline_kernelINS0_14default_configENS1_22reduce_config_selectorIN6thrust23THRUST_200600_302600_NS5tupleIblNS6_9null_typeES8_S8_S8_S8_S8_S8_S8_EEEEZNS1_11reduce_implILb1ES3_NS6_12zip_iteratorINS7_INS6_11hip_rocprim26transform_input_iterator_tIbPlNS6_6detail10functional5actorINSH_9compositeIJNSH_27transparent_binary_operatorINS6_8equal_toIvEEEENSI_INSH_8argumentILj0EEEEENSH_5valueIlEEEEEEEEENSD_19counting_iterator_tIlEES8_S8_S8_S8_S8_S8_S8_S8_EEEEPS9_S9_NSD_9__find_if7functorIS9_EEEE10hipError_tPvRmT1_T2_T3_mT4_P12ihipStream_tbEUlT_E0_NS1_11comp_targetILNS1_3genE10ELNS1_11target_archE1200ELNS1_3gpuE4ELNS1_3repE0EEENS1_30default_config_static_selectorELNS0_4arch9wavefront6targetE1EEEvS17_,comdat
.Lfunc_end1246:
	.size	_ZN7rocprim17ROCPRIM_400000_NS6detail17trampoline_kernelINS0_14default_configENS1_22reduce_config_selectorIN6thrust23THRUST_200600_302600_NS5tupleIblNS6_9null_typeES8_S8_S8_S8_S8_S8_S8_EEEEZNS1_11reduce_implILb1ES3_NS6_12zip_iteratorINS7_INS6_11hip_rocprim26transform_input_iterator_tIbPlNS6_6detail10functional5actorINSH_9compositeIJNSH_27transparent_binary_operatorINS6_8equal_toIvEEEENSI_INSH_8argumentILj0EEEEENSH_5valueIlEEEEEEEEENSD_19counting_iterator_tIlEES8_S8_S8_S8_S8_S8_S8_S8_EEEEPS9_S9_NSD_9__find_if7functorIS9_EEEE10hipError_tPvRmT1_T2_T3_mT4_P12ihipStream_tbEUlT_E0_NS1_11comp_targetILNS1_3genE10ELNS1_11target_archE1200ELNS1_3gpuE4ELNS1_3repE0EEENS1_30default_config_static_selectorELNS0_4arch9wavefront6targetE1EEEvS17_, .Lfunc_end1246-_ZN7rocprim17ROCPRIM_400000_NS6detail17trampoline_kernelINS0_14default_configENS1_22reduce_config_selectorIN6thrust23THRUST_200600_302600_NS5tupleIblNS6_9null_typeES8_S8_S8_S8_S8_S8_S8_EEEEZNS1_11reduce_implILb1ES3_NS6_12zip_iteratorINS7_INS6_11hip_rocprim26transform_input_iterator_tIbPlNS6_6detail10functional5actorINSH_9compositeIJNSH_27transparent_binary_operatorINS6_8equal_toIvEEEENSI_INSH_8argumentILj0EEEEENSH_5valueIlEEEEEEEEENSD_19counting_iterator_tIlEES8_S8_S8_S8_S8_S8_S8_S8_EEEEPS9_S9_NSD_9__find_if7functorIS9_EEEE10hipError_tPvRmT1_T2_T3_mT4_P12ihipStream_tbEUlT_E0_NS1_11comp_targetILNS1_3genE10ELNS1_11target_archE1200ELNS1_3gpuE4ELNS1_3repE0EEENS1_30default_config_static_selectorELNS0_4arch9wavefront6targetE1EEEvS17_
                                        ; -- End function
	.section	.AMDGPU.csdata,"",@progbits
; Kernel info:
; codeLenInByte = 0
; NumSgprs: 4
; NumVgprs: 0
; NumAgprs: 0
; TotalNumVgprs: 0
; ScratchSize: 0
; MemoryBound: 0
; FloatMode: 240
; IeeeMode: 1
; LDSByteSize: 0 bytes/workgroup (compile time only)
; SGPRBlocks: 0
; VGPRBlocks: 0
; NumSGPRsForWavesPerEU: 4
; NumVGPRsForWavesPerEU: 1
; AccumOffset: 4
; Occupancy: 8
; WaveLimiterHint : 0
; COMPUTE_PGM_RSRC2:SCRATCH_EN: 0
; COMPUTE_PGM_RSRC2:USER_SGPR: 6
; COMPUTE_PGM_RSRC2:TRAP_HANDLER: 0
; COMPUTE_PGM_RSRC2:TGID_X_EN: 1
; COMPUTE_PGM_RSRC2:TGID_Y_EN: 0
; COMPUTE_PGM_RSRC2:TGID_Z_EN: 0
; COMPUTE_PGM_RSRC2:TIDIG_COMP_CNT: 0
; COMPUTE_PGM_RSRC3_GFX90A:ACCUM_OFFSET: 0
; COMPUTE_PGM_RSRC3_GFX90A:TG_SPLIT: 0
	.section	.text._ZN7rocprim17ROCPRIM_400000_NS6detail17trampoline_kernelINS0_14default_configENS1_22reduce_config_selectorIN6thrust23THRUST_200600_302600_NS5tupleIblNS6_9null_typeES8_S8_S8_S8_S8_S8_S8_EEEEZNS1_11reduce_implILb1ES3_NS6_12zip_iteratorINS7_INS6_11hip_rocprim26transform_input_iterator_tIbPlNS6_6detail10functional5actorINSH_9compositeIJNSH_27transparent_binary_operatorINS6_8equal_toIvEEEENSI_INSH_8argumentILj0EEEEENSH_5valueIlEEEEEEEEENSD_19counting_iterator_tIlEES8_S8_S8_S8_S8_S8_S8_S8_EEEEPS9_S9_NSD_9__find_if7functorIS9_EEEE10hipError_tPvRmT1_T2_T3_mT4_P12ihipStream_tbEUlT_E0_NS1_11comp_targetILNS1_3genE9ELNS1_11target_archE1100ELNS1_3gpuE3ELNS1_3repE0EEENS1_30default_config_static_selectorELNS0_4arch9wavefront6targetE1EEEvS17_,"axG",@progbits,_ZN7rocprim17ROCPRIM_400000_NS6detail17trampoline_kernelINS0_14default_configENS1_22reduce_config_selectorIN6thrust23THRUST_200600_302600_NS5tupleIblNS6_9null_typeES8_S8_S8_S8_S8_S8_S8_EEEEZNS1_11reduce_implILb1ES3_NS6_12zip_iteratorINS7_INS6_11hip_rocprim26transform_input_iterator_tIbPlNS6_6detail10functional5actorINSH_9compositeIJNSH_27transparent_binary_operatorINS6_8equal_toIvEEEENSI_INSH_8argumentILj0EEEEENSH_5valueIlEEEEEEEEENSD_19counting_iterator_tIlEES8_S8_S8_S8_S8_S8_S8_S8_EEEEPS9_S9_NSD_9__find_if7functorIS9_EEEE10hipError_tPvRmT1_T2_T3_mT4_P12ihipStream_tbEUlT_E0_NS1_11comp_targetILNS1_3genE9ELNS1_11target_archE1100ELNS1_3gpuE3ELNS1_3repE0EEENS1_30default_config_static_selectorELNS0_4arch9wavefront6targetE1EEEvS17_,comdat
	.protected	_ZN7rocprim17ROCPRIM_400000_NS6detail17trampoline_kernelINS0_14default_configENS1_22reduce_config_selectorIN6thrust23THRUST_200600_302600_NS5tupleIblNS6_9null_typeES8_S8_S8_S8_S8_S8_S8_EEEEZNS1_11reduce_implILb1ES3_NS6_12zip_iteratorINS7_INS6_11hip_rocprim26transform_input_iterator_tIbPlNS6_6detail10functional5actorINSH_9compositeIJNSH_27transparent_binary_operatorINS6_8equal_toIvEEEENSI_INSH_8argumentILj0EEEEENSH_5valueIlEEEEEEEEENSD_19counting_iterator_tIlEES8_S8_S8_S8_S8_S8_S8_S8_EEEEPS9_S9_NSD_9__find_if7functorIS9_EEEE10hipError_tPvRmT1_T2_T3_mT4_P12ihipStream_tbEUlT_E0_NS1_11comp_targetILNS1_3genE9ELNS1_11target_archE1100ELNS1_3gpuE3ELNS1_3repE0EEENS1_30default_config_static_selectorELNS0_4arch9wavefront6targetE1EEEvS17_ ; -- Begin function _ZN7rocprim17ROCPRIM_400000_NS6detail17trampoline_kernelINS0_14default_configENS1_22reduce_config_selectorIN6thrust23THRUST_200600_302600_NS5tupleIblNS6_9null_typeES8_S8_S8_S8_S8_S8_S8_EEEEZNS1_11reduce_implILb1ES3_NS6_12zip_iteratorINS7_INS6_11hip_rocprim26transform_input_iterator_tIbPlNS6_6detail10functional5actorINSH_9compositeIJNSH_27transparent_binary_operatorINS6_8equal_toIvEEEENSI_INSH_8argumentILj0EEEEENSH_5valueIlEEEEEEEEENSD_19counting_iterator_tIlEES8_S8_S8_S8_S8_S8_S8_S8_EEEEPS9_S9_NSD_9__find_if7functorIS9_EEEE10hipError_tPvRmT1_T2_T3_mT4_P12ihipStream_tbEUlT_E0_NS1_11comp_targetILNS1_3genE9ELNS1_11target_archE1100ELNS1_3gpuE3ELNS1_3repE0EEENS1_30default_config_static_selectorELNS0_4arch9wavefront6targetE1EEEvS17_
	.globl	_ZN7rocprim17ROCPRIM_400000_NS6detail17trampoline_kernelINS0_14default_configENS1_22reduce_config_selectorIN6thrust23THRUST_200600_302600_NS5tupleIblNS6_9null_typeES8_S8_S8_S8_S8_S8_S8_EEEEZNS1_11reduce_implILb1ES3_NS6_12zip_iteratorINS7_INS6_11hip_rocprim26transform_input_iterator_tIbPlNS6_6detail10functional5actorINSH_9compositeIJNSH_27transparent_binary_operatorINS6_8equal_toIvEEEENSI_INSH_8argumentILj0EEEEENSH_5valueIlEEEEEEEEENSD_19counting_iterator_tIlEES8_S8_S8_S8_S8_S8_S8_S8_EEEEPS9_S9_NSD_9__find_if7functorIS9_EEEE10hipError_tPvRmT1_T2_T3_mT4_P12ihipStream_tbEUlT_E0_NS1_11comp_targetILNS1_3genE9ELNS1_11target_archE1100ELNS1_3gpuE3ELNS1_3repE0EEENS1_30default_config_static_selectorELNS0_4arch9wavefront6targetE1EEEvS17_
	.p2align	8
	.type	_ZN7rocprim17ROCPRIM_400000_NS6detail17trampoline_kernelINS0_14default_configENS1_22reduce_config_selectorIN6thrust23THRUST_200600_302600_NS5tupleIblNS6_9null_typeES8_S8_S8_S8_S8_S8_S8_EEEEZNS1_11reduce_implILb1ES3_NS6_12zip_iteratorINS7_INS6_11hip_rocprim26transform_input_iterator_tIbPlNS6_6detail10functional5actorINSH_9compositeIJNSH_27transparent_binary_operatorINS6_8equal_toIvEEEENSI_INSH_8argumentILj0EEEEENSH_5valueIlEEEEEEEEENSD_19counting_iterator_tIlEES8_S8_S8_S8_S8_S8_S8_S8_EEEEPS9_S9_NSD_9__find_if7functorIS9_EEEE10hipError_tPvRmT1_T2_T3_mT4_P12ihipStream_tbEUlT_E0_NS1_11comp_targetILNS1_3genE9ELNS1_11target_archE1100ELNS1_3gpuE3ELNS1_3repE0EEENS1_30default_config_static_selectorELNS0_4arch9wavefront6targetE1EEEvS17_,@function
_ZN7rocprim17ROCPRIM_400000_NS6detail17trampoline_kernelINS0_14default_configENS1_22reduce_config_selectorIN6thrust23THRUST_200600_302600_NS5tupleIblNS6_9null_typeES8_S8_S8_S8_S8_S8_S8_EEEEZNS1_11reduce_implILb1ES3_NS6_12zip_iteratorINS7_INS6_11hip_rocprim26transform_input_iterator_tIbPlNS6_6detail10functional5actorINSH_9compositeIJNSH_27transparent_binary_operatorINS6_8equal_toIvEEEENSI_INSH_8argumentILj0EEEEENSH_5valueIlEEEEEEEEENSD_19counting_iterator_tIlEES8_S8_S8_S8_S8_S8_S8_S8_EEEEPS9_S9_NSD_9__find_if7functorIS9_EEEE10hipError_tPvRmT1_T2_T3_mT4_P12ihipStream_tbEUlT_E0_NS1_11comp_targetILNS1_3genE9ELNS1_11target_archE1100ELNS1_3gpuE3ELNS1_3repE0EEENS1_30default_config_static_selectorELNS0_4arch9wavefront6targetE1EEEvS17_: ; @_ZN7rocprim17ROCPRIM_400000_NS6detail17trampoline_kernelINS0_14default_configENS1_22reduce_config_selectorIN6thrust23THRUST_200600_302600_NS5tupleIblNS6_9null_typeES8_S8_S8_S8_S8_S8_S8_EEEEZNS1_11reduce_implILb1ES3_NS6_12zip_iteratorINS7_INS6_11hip_rocprim26transform_input_iterator_tIbPlNS6_6detail10functional5actorINSH_9compositeIJNSH_27transparent_binary_operatorINS6_8equal_toIvEEEENSI_INSH_8argumentILj0EEEEENSH_5valueIlEEEEEEEEENSD_19counting_iterator_tIlEES8_S8_S8_S8_S8_S8_S8_S8_EEEEPS9_S9_NSD_9__find_if7functorIS9_EEEE10hipError_tPvRmT1_T2_T3_mT4_P12ihipStream_tbEUlT_E0_NS1_11comp_targetILNS1_3genE9ELNS1_11target_archE1100ELNS1_3gpuE3ELNS1_3repE0EEENS1_30default_config_static_selectorELNS0_4arch9wavefront6targetE1EEEvS17_
; %bb.0:
	.section	.rodata,"a",@progbits
	.p2align	6, 0x0
	.amdhsa_kernel _ZN7rocprim17ROCPRIM_400000_NS6detail17trampoline_kernelINS0_14default_configENS1_22reduce_config_selectorIN6thrust23THRUST_200600_302600_NS5tupleIblNS6_9null_typeES8_S8_S8_S8_S8_S8_S8_EEEEZNS1_11reduce_implILb1ES3_NS6_12zip_iteratorINS7_INS6_11hip_rocprim26transform_input_iterator_tIbPlNS6_6detail10functional5actorINSH_9compositeIJNSH_27transparent_binary_operatorINS6_8equal_toIvEEEENSI_INSH_8argumentILj0EEEEENSH_5valueIlEEEEEEEEENSD_19counting_iterator_tIlEES8_S8_S8_S8_S8_S8_S8_S8_EEEEPS9_S9_NSD_9__find_if7functorIS9_EEEE10hipError_tPvRmT1_T2_T3_mT4_P12ihipStream_tbEUlT_E0_NS1_11comp_targetILNS1_3genE9ELNS1_11target_archE1100ELNS1_3gpuE3ELNS1_3repE0EEENS1_30default_config_static_selectorELNS0_4arch9wavefront6targetE1EEEvS17_
		.amdhsa_group_segment_fixed_size 0
		.amdhsa_private_segment_fixed_size 0
		.amdhsa_kernarg_size 96
		.amdhsa_user_sgpr_count 6
		.amdhsa_user_sgpr_private_segment_buffer 1
		.amdhsa_user_sgpr_dispatch_ptr 0
		.amdhsa_user_sgpr_queue_ptr 0
		.amdhsa_user_sgpr_kernarg_segment_ptr 1
		.amdhsa_user_sgpr_dispatch_id 0
		.amdhsa_user_sgpr_flat_scratch_init 0
		.amdhsa_user_sgpr_kernarg_preload_length 0
		.amdhsa_user_sgpr_kernarg_preload_offset 0
		.amdhsa_user_sgpr_private_segment_size 0
		.amdhsa_uses_dynamic_stack 0
		.amdhsa_system_sgpr_private_segment_wavefront_offset 0
		.amdhsa_system_sgpr_workgroup_id_x 1
		.amdhsa_system_sgpr_workgroup_id_y 0
		.amdhsa_system_sgpr_workgroup_id_z 0
		.amdhsa_system_sgpr_workgroup_info 0
		.amdhsa_system_vgpr_workitem_id 0
		.amdhsa_next_free_vgpr 1
		.amdhsa_next_free_sgpr 0
		.amdhsa_accum_offset 4
		.amdhsa_reserve_vcc 0
		.amdhsa_reserve_flat_scratch 0
		.amdhsa_float_round_mode_32 0
		.amdhsa_float_round_mode_16_64 0
		.amdhsa_float_denorm_mode_32 3
		.amdhsa_float_denorm_mode_16_64 3
		.amdhsa_dx10_clamp 1
		.amdhsa_ieee_mode 1
		.amdhsa_fp16_overflow 0
		.amdhsa_tg_split 0
		.amdhsa_exception_fp_ieee_invalid_op 0
		.amdhsa_exception_fp_denorm_src 0
		.amdhsa_exception_fp_ieee_div_zero 0
		.amdhsa_exception_fp_ieee_overflow 0
		.amdhsa_exception_fp_ieee_underflow 0
		.amdhsa_exception_fp_ieee_inexact 0
		.amdhsa_exception_int_div_zero 0
	.end_amdhsa_kernel
	.section	.text._ZN7rocprim17ROCPRIM_400000_NS6detail17trampoline_kernelINS0_14default_configENS1_22reduce_config_selectorIN6thrust23THRUST_200600_302600_NS5tupleIblNS6_9null_typeES8_S8_S8_S8_S8_S8_S8_EEEEZNS1_11reduce_implILb1ES3_NS6_12zip_iteratorINS7_INS6_11hip_rocprim26transform_input_iterator_tIbPlNS6_6detail10functional5actorINSH_9compositeIJNSH_27transparent_binary_operatorINS6_8equal_toIvEEEENSI_INSH_8argumentILj0EEEEENSH_5valueIlEEEEEEEEENSD_19counting_iterator_tIlEES8_S8_S8_S8_S8_S8_S8_S8_EEEEPS9_S9_NSD_9__find_if7functorIS9_EEEE10hipError_tPvRmT1_T2_T3_mT4_P12ihipStream_tbEUlT_E0_NS1_11comp_targetILNS1_3genE9ELNS1_11target_archE1100ELNS1_3gpuE3ELNS1_3repE0EEENS1_30default_config_static_selectorELNS0_4arch9wavefront6targetE1EEEvS17_,"axG",@progbits,_ZN7rocprim17ROCPRIM_400000_NS6detail17trampoline_kernelINS0_14default_configENS1_22reduce_config_selectorIN6thrust23THRUST_200600_302600_NS5tupleIblNS6_9null_typeES8_S8_S8_S8_S8_S8_S8_EEEEZNS1_11reduce_implILb1ES3_NS6_12zip_iteratorINS7_INS6_11hip_rocprim26transform_input_iterator_tIbPlNS6_6detail10functional5actorINSH_9compositeIJNSH_27transparent_binary_operatorINS6_8equal_toIvEEEENSI_INSH_8argumentILj0EEEEENSH_5valueIlEEEEEEEEENSD_19counting_iterator_tIlEES8_S8_S8_S8_S8_S8_S8_S8_EEEEPS9_S9_NSD_9__find_if7functorIS9_EEEE10hipError_tPvRmT1_T2_T3_mT4_P12ihipStream_tbEUlT_E0_NS1_11comp_targetILNS1_3genE9ELNS1_11target_archE1100ELNS1_3gpuE3ELNS1_3repE0EEENS1_30default_config_static_selectorELNS0_4arch9wavefront6targetE1EEEvS17_,comdat
.Lfunc_end1247:
	.size	_ZN7rocprim17ROCPRIM_400000_NS6detail17trampoline_kernelINS0_14default_configENS1_22reduce_config_selectorIN6thrust23THRUST_200600_302600_NS5tupleIblNS6_9null_typeES8_S8_S8_S8_S8_S8_S8_EEEEZNS1_11reduce_implILb1ES3_NS6_12zip_iteratorINS7_INS6_11hip_rocprim26transform_input_iterator_tIbPlNS6_6detail10functional5actorINSH_9compositeIJNSH_27transparent_binary_operatorINS6_8equal_toIvEEEENSI_INSH_8argumentILj0EEEEENSH_5valueIlEEEEEEEEENSD_19counting_iterator_tIlEES8_S8_S8_S8_S8_S8_S8_S8_EEEEPS9_S9_NSD_9__find_if7functorIS9_EEEE10hipError_tPvRmT1_T2_T3_mT4_P12ihipStream_tbEUlT_E0_NS1_11comp_targetILNS1_3genE9ELNS1_11target_archE1100ELNS1_3gpuE3ELNS1_3repE0EEENS1_30default_config_static_selectorELNS0_4arch9wavefront6targetE1EEEvS17_, .Lfunc_end1247-_ZN7rocprim17ROCPRIM_400000_NS6detail17trampoline_kernelINS0_14default_configENS1_22reduce_config_selectorIN6thrust23THRUST_200600_302600_NS5tupleIblNS6_9null_typeES8_S8_S8_S8_S8_S8_S8_EEEEZNS1_11reduce_implILb1ES3_NS6_12zip_iteratorINS7_INS6_11hip_rocprim26transform_input_iterator_tIbPlNS6_6detail10functional5actorINSH_9compositeIJNSH_27transparent_binary_operatorINS6_8equal_toIvEEEENSI_INSH_8argumentILj0EEEEENSH_5valueIlEEEEEEEEENSD_19counting_iterator_tIlEES8_S8_S8_S8_S8_S8_S8_S8_EEEEPS9_S9_NSD_9__find_if7functorIS9_EEEE10hipError_tPvRmT1_T2_T3_mT4_P12ihipStream_tbEUlT_E0_NS1_11comp_targetILNS1_3genE9ELNS1_11target_archE1100ELNS1_3gpuE3ELNS1_3repE0EEENS1_30default_config_static_selectorELNS0_4arch9wavefront6targetE1EEEvS17_
                                        ; -- End function
	.section	.AMDGPU.csdata,"",@progbits
; Kernel info:
; codeLenInByte = 0
; NumSgprs: 4
; NumVgprs: 0
; NumAgprs: 0
; TotalNumVgprs: 0
; ScratchSize: 0
; MemoryBound: 0
; FloatMode: 240
; IeeeMode: 1
; LDSByteSize: 0 bytes/workgroup (compile time only)
; SGPRBlocks: 0
; VGPRBlocks: 0
; NumSGPRsForWavesPerEU: 4
; NumVGPRsForWavesPerEU: 1
; AccumOffset: 4
; Occupancy: 8
; WaveLimiterHint : 0
; COMPUTE_PGM_RSRC2:SCRATCH_EN: 0
; COMPUTE_PGM_RSRC2:USER_SGPR: 6
; COMPUTE_PGM_RSRC2:TRAP_HANDLER: 0
; COMPUTE_PGM_RSRC2:TGID_X_EN: 1
; COMPUTE_PGM_RSRC2:TGID_Y_EN: 0
; COMPUTE_PGM_RSRC2:TGID_Z_EN: 0
; COMPUTE_PGM_RSRC2:TIDIG_COMP_CNT: 0
; COMPUTE_PGM_RSRC3_GFX90A:ACCUM_OFFSET: 0
; COMPUTE_PGM_RSRC3_GFX90A:TG_SPLIT: 0
	.section	.text._ZN7rocprim17ROCPRIM_400000_NS6detail17trampoline_kernelINS0_14default_configENS1_22reduce_config_selectorIN6thrust23THRUST_200600_302600_NS5tupleIblNS6_9null_typeES8_S8_S8_S8_S8_S8_S8_EEEEZNS1_11reduce_implILb1ES3_NS6_12zip_iteratorINS7_INS6_11hip_rocprim26transform_input_iterator_tIbPlNS6_6detail10functional5actorINSH_9compositeIJNSH_27transparent_binary_operatorINS6_8equal_toIvEEEENSI_INSH_8argumentILj0EEEEENSH_5valueIlEEEEEEEEENSD_19counting_iterator_tIlEES8_S8_S8_S8_S8_S8_S8_S8_EEEEPS9_S9_NSD_9__find_if7functorIS9_EEEE10hipError_tPvRmT1_T2_T3_mT4_P12ihipStream_tbEUlT_E0_NS1_11comp_targetILNS1_3genE8ELNS1_11target_archE1030ELNS1_3gpuE2ELNS1_3repE0EEENS1_30default_config_static_selectorELNS0_4arch9wavefront6targetE1EEEvS17_,"axG",@progbits,_ZN7rocprim17ROCPRIM_400000_NS6detail17trampoline_kernelINS0_14default_configENS1_22reduce_config_selectorIN6thrust23THRUST_200600_302600_NS5tupleIblNS6_9null_typeES8_S8_S8_S8_S8_S8_S8_EEEEZNS1_11reduce_implILb1ES3_NS6_12zip_iteratorINS7_INS6_11hip_rocprim26transform_input_iterator_tIbPlNS6_6detail10functional5actorINSH_9compositeIJNSH_27transparent_binary_operatorINS6_8equal_toIvEEEENSI_INSH_8argumentILj0EEEEENSH_5valueIlEEEEEEEEENSD_19counting_iterator_tIlEES8_S8_S8_S8_S8_S8_S8_S8_EEEEPS9_S9_NSD_9__find_if7functorIS9_EEEE10hipError_tPvRmT1_T2_T3_mT4_P12ihipStream_tbEUlT_E0_NS1_11comp_targetILNS1_3genE8ELNS1_11target_archE1030ELNS1_3gpuE2ELNS1_3repE0EEENS1_30default_config_static_selectorELNS0_4arch9wavefront6targetE1EEEvS17_,comdat
	.protected	_ZN7rocprim17ROCPRIM_400000_NS6detail17trampoline_kernelINS0_14default_configENS1_22reduce_config_selectorIN6thrust23THRUST_200600_302600_NS5tupleIblNS6_9null_typeES8_S8_S8_S8_S8_S8_S8_EEEEZNS1_11reduce_implILb1ES3_NS6_12zip_iteratorINS7_INS6_11hip_rocprim26transform_input_iterator_tIbPlNS6_6detail10functional5actorINSH_9compositeIJNSH_27transparent_binary_operatorINS6_8equal_toIvEEEENSI_INSH_8argumentILj0EEEEENSH_5valueIlEEEEEEEEENSD_19counting_iterator_tIlEES8_S8_S8_S8_S8_S8_S8_S8_EEEEPS9_S9_NSD_9__find_if7functorIS9_EEEE10hipError_tPvRmT1_T2_T3_mT4_P12ihipStream_tbEUlT_E0_NS1_11comp_targetILNS1_3genE8ELNS1_11target_archE1030ELNS1_3gpuE2ELNS1_3repE0EEENS1_30default_config_static_selectorELNS0_4arch9wavefront6targetE1EEEvS17_ ; -- Begin function _ZN7rocprim17ROCPRIM_400000_NS6detail17trampoline_kernelINS0_14default_configENS1_22reduce_config_selectorIN6thrust23THRUST_200600_302600_NS5tupleIblNS6_9null_typeES8_S8_S8_S8_S8_S8_S8_EEEEZNS1_11reduce_implILb1ES3_NS6_12zip_iteratorINS7_INS6_11hip_rocprim26transform_input_iterator_tIbPlNS6_6detail10functional5actorINSH_9compositeIJNSH_27transparent_binary_operatorINS6_8equal_toIvEEEENSI_INSH_8argumentILj0EEEEENSH_5valueIlEEEEEEEEENSD_19counting_iterator_tIlEES8_S8_S8_S8_S8_S8_S8_S8_EEEEPS9_S9_NSD_9__find_if7functorIS9_EEEE10hipError_tPvRmT1_T2_T3_mT4_P12ihipStream_tbEUlT_E0_NS1_11comp_targetILNS1_3genE8ELNS1_11target_archE1030ELNS1_3gpuE2ELNS1_3repE0EEENS1_30default_config_static_selectorELNS0_4arch9wavefront6targetE1EEEvS17_
	.globl	_ZN7rocprim17ROCPRIM_400000_NS6detail17trampoline_kernelINS0_14default_configENS1_22reduce_config_selectorIN6thrust23THRUST_200600_302600_NS5tupleIblNS6_9null_typeES8_S8_S8_S8_S8_S8_S8_EEEEZNS1_11reduce_implILb1ES3_NS6_12zip_iteratorINS7_INS6_11hip_rocprim26transform_input_iterator_tIbPlNS6_6detail10functional5actorINSH_9compositeIJNSH_27transparent_binary_operatorINS6_8equal_toIvEEEENSI_INSH_8argumentILj0EEEEENSH_5valueIlEEEEEEEEENSD_19counting_iterator_tIlEES8_S8_S8_S8_S8_S8_S8_S8_EEEEPS9_S9_NSD_9__find_if7functorIS9_EEEE10hipError_tPvRmT1_T2_T3_mT4_P12ihipStream_tbEUlT_E0_NS1_11comp_targetILNS1_3genE8ELNS1_11target_archE1030ELNS1_3gpuE2ELNS1_3repE0EEENS1_30default_config_static_selectorELNS0_4arch9wavefront6targetE1EEEvS17_
	.p2align	8
	.type	_ZN7rocprim17ROCPRIM_400000_NS6detail17trampoline_kernelINS0_14default_configENS1_22reduce_config_selectorIN6thrust23THRUST_200600_302600_NS5tupleIblNS6_9null_typeES8_S8_S8_S8_S8_S8_S8_EEEEZNS1_11reduce_implILb1ES3_NS6_12zip_iteratorINS7_INS6_11hip_rocprim26transform_input_iterator_tIbPlNS6_6detail10functional5actorINSH_9compositeIJNSH_27transparent_binary_operatorINS6_8equal_toIvEEEENSI_INSH_8argumentILj0EEEEENSH_5valueIlEEEEEEEEENSD_19counting_iterator_tIlEES8_S8_S8_S8_S8_S8_S8_S8_EEEEPS9_S9_NSD_9__find_if7functorIS9_EEEE10hipError_tPvRmT1_T2_T3_mT4_P12ihipStream_tbEUlT_E0_NS1_11comp_targetILNS1_3genE8ELNS1_11target_archE1030ELNS1_3gpuE2ELNS1_3repE0EEENS1_30default_config_static_selectorELNS0_4arch9wavefront6targetE1EEEvS17_,@function
_ZN7rocprim17ROCPRIM_400000_NS6detail17trampoline_kernelINS0_14default_configENS1_22reduce_config_selectorIN6thrust23THRUST_200600_302600_NS5tupleIblNS6_9null_typeES8_S8_S8_S8_S8_S8_S8_EEEEZNS1_11reduce_implILb1ES3_NS6_12zip_iteratorINS7_INS6_11hip_rocprim26transform_input_iterator_tIbPlNS6_6detail10functional5actorINSH_9compositeIJNSH_27transparent_binary_operatorINS6_8equal_toIvEEEENSI_INSH_8argumentILj0EEEEENSH_5valueIlEEEEEEEEENSD_19counting_iterator_tIlEES8_S8_S8_S8_S8_S8_S8_S8_EEEEPS9_S9_NSD_9__find_if7functorIS9_EEEE10hipError_tPvRmT1_T2_T3_mT4_P12ihipStream_tbEUlT_E0_NS1_11comp_targetILNS1_3genE8ELNS1_11target_archE1030ELNS1_3gpuE2ELNS1_3repE0EEENS1_30default_config_static_selectorELNS0_4arch9wavefront6targetE1EEEvS17_: ; @_ZN7rocprim17ROCPRIM_400000_NS6detail17trampoline_kernelINS0_14default_configENS1_22reduce_config_selectorIN6thrust23THRUST_200600_302600_NS5tupleIblNS6_9null_typeES8_S8_S8_S8_S8_S8_S8_EEEEZNS1_11reduce_implILb1ES3_NS6_12zip_iteratorINS7_INS6_11hip_rocprim26transform_input_iterator_tIbPlNS6_6detail10functional5actorINSH_9compositeIJNSH_27transparent_binary_operatorINS6_8equal_toIvEEEENSI_INSH_8argumentILj0EEEEENSH_5valueIlEEEEEEEEENSD_19counting_iterator_tIlEES8_S8_S8_S8_S8_S8_S8_S8_EEEEPS9_S9_NSD_9__find_if7functorIS9_EEEE10hipError_tPvRmT1_T2_T3_mT4_P12ihipStream_tbEUlT_E0_NS1_11comp_targetILNS1_3genE8ELNS1_11target_archE1030ELNS1_3gpuE2ELNS1_3repE0EEENS1_30default_config_static_selectorELNS0_4arch9wavefront6targetE1EEEvS17_
; %bb.0:
	.section	.rodata,"a",@progbits
	.p2align	6, 0x0
	.amdhsa_kernel _ZN7rocprim17ROCPRIM_400000_NS6detail17trampoline_kernelINS0_14default_configENS1_22reduce_config_selectorIN6thrust23THRUST_200600_302600_NS5tupleIblNS6_9null_typeES8_S8_S8_S8_S8_S8_S8_EEEEZNS1_11reduce_implILb1ES3_NS6_12zip_iteratorINS7_INS6_11hip_rocprim26transform_input_iterator_tIbPlNS6_6detail10functional5actorINSH_9compositeIJNSH_27transparent_binary_operatorINS6_8equal_toIvEEEENSI_INSH_8argumentILj0EEEEENSH_5valueIlEEEEEEEEENSD_19counting_iterator_tIlEES8_S8_S8_S8_S8_S8_S8_S8_EEEEPS9_S9_NSD_9__find_if7functorIS9_EEEE10hipError_tPvRmT1_T2_T3_mT4_P12ihipStream_tbEUlT_E0_NS1_11comp_targetILNS1_3genE8ELNS1_11target_archE1030ELNS1_3gpuE2ELNS1_3repE0EEENS1_30default_config_static_selectorELNS0_4arch9wavefront6targetE1EEEvS17_
		.amdhsa_group_segment_fixed_size 0
		.amdhsa_private_segment_fixed_size 0
		.amdhsa_kernarg_size 96
		.amdhsa_user_sgpr_count 6
		.amdhsa_user_sgpr_private_segment_buffer 1
		.amdhsa_user_sgpr_dispatch_ptr 0
		.amdhsa_user_sgpr_queue_ptr 0
		.amdhsa_user_sgpr_kernarg_segment_ptr 1
		.amdhsa_user_sgpr_dispatch_id 0
		.amdhsa_user_sgpr_flat_scratch_init 0
		.amdhsa_user_sgpr_kernarg_preload_length 0
		.amdhsa_user_sgpr_kernarg_preload_offset 0
		.amdhsa_user_sgpr_private_segment_size 0
		.amdhsa_uses_dynamic_stack 0
		.amdhsa_system_sgpr_private_segment_wavefront_offset 0
		.amdhsa_system_sgpr_workgroup_id_x 1
		.amdhsa_system_sgpr_workgroup_id_y 0
		.amdhsa_system_sgpr_workgroup_id_z 0
		.amdhsa_system_sgpr_workgroup_info 0
		.amdhsa_system_vgpr_workitem_id 0
		.amdhsa_next_free_vgpr 1
		.amdhsa_next_free_sgpr 0
		.amdhsa_accum_offset 4
		.amdhsa_reserve_vcc 0
		.amdhsa_reserve_flat_scratch 0
		.amdhsa_float_round_mode_32 0
		.amdhsa_float_round_mode_16_64 0
		.amdhsa_float_denorm_mode_32 3
		.amdhsa_float_denorm_mode_16_64 3
		.amdhsa_dx10_clamp 1
		.amdhsa_ieee_mode 1
		.amdhsa_fp16_overflow 0
		.amdhsa_tg_split 0
		.amdhsa_exception_fp_ieee_invalid_op 0
		.amdhsa_exception_fp_denorm_src 0
		.amdhsa_exception_fp_ieee_div_zero 0
		.amdhsa_exception_fp_ieee_overflow 0
		.amdhsa_exception_fp_ieee_underflow 0
		.amdhsa_exception_fp_ieee_inexact 0
		.amdhsa_exception_int_div_zero 0
	.end_amdhsa_kernel
	.section	.text._ZN7rocprim17ROCPRIM_400000_NS6detail17trampoline_kernelINS0_14default_configENS1_22reduce_config_selectorIN6thrust23THRUST_200600_302600_NS5tupleIblNS6_9null_typeES8_S8_S8_S8_S8_S8_S8_EEEEZNS1_11reduce_implILb1ES3_NS6_12zip_iteratorINS7_INS6_11hip_rocprim26transform_input_iterator_tIbPlNS6_6detail10functional5actorINSH_9compositeIJNSH_27transparent_binary_operatorINS6_8equal_toIvEEEENSI_INSH_8argumentILj0EEEEENSH_5valueIlEEEEEEEEENSD_19counting_iterator_tIlEES8_S8_S8_S8_S8_S8_S8_S8_EEEEPS9_S9_NSD_9__find_if7functorIS9_EEEE10hipError_tPvRmT1_T2_T3_mT4_P12ihipStream_tbEUlT_E0_NS1_11comp_targetILNS1_3genE8ELNS1_11target_archE1030ELNS1_3gpuE2ELNS1_3repE0EEENS1_30default_config_static_selectorELNS0_4arch9wavefront6targetE1EEEvS17_,"axG",@progbits,_ZN7rocprim17ROCPRIM_400000_NS6detail17trampoline_kernelINS0_14default_configENS1_22reduce_config_selectorIN6thrust23THRUST_200600_302600_NS5tupleIblNS6_9null_typeES8_S8_S8_S8_S8_S8_S8_EEEEZNS1_11reduce_implILb1ES3_NS6_12zip_iteratorINS7_INS6_11hip_rocprim26transform_input_iterator_tIbPlNS6_6detail10functional5actorINSH_9compositeIJNSH_27transparent_binary_operatorINS6_8equal_toIvEEEENSI_INSH_8argumentILj0EEEEENSH_5valueIlEEEEEEEEENSD_19counting_iterator_tIlEES8_S8_S8_S8_S8_S8_S8_S8_EEEEPS9_S9_NSD_9__find_if7functorIS9_EEEE10hipError_tPvRmT1_T2_T3_mT4_P12ihipStream_tbEUlT_E0_NS1_11comp_targetILNS1_3genE8ELNS1_11target_archE1030ELNS1_3gpuE2ELNS1_3repE0EEENS1_30default_config_static_selectorELNS0_4arch9wavefront6targetE1EEEvS17_,comdat
.Lfunc_end1248:
	.size	_ZN7rocprim17ROCPRIM_400000_NS6detail17trampoline_kernelINS0_14default_configENS1_22reduce_config_selectorIN6thrust23THRUST_200600_302600_NS5tupleIblNS6_9null_typeES8_S8_S8_S8_S8_S8_S8_EEEEZNS1_11reduce_implILb1ES3_NS6_12zip_iteratorINS7_INS6_11hip_rocprim26transform_input_iterator_tIbPlNS6_6detail10functional5actorINSH_9compositeIJNSH_27transparent_binary_operatorINS6_8equal_toIvEEEENSI_INSH_8argumentILj0EEEEENSH_5valueIlEEEEEEEEENSD_19counting_iterator_tIlEES8_S8_S8_S8_S8_S8_S8_S8_EEEEPS9_S9_NSD_9__find_if7functorIS9_EEEE10hipError_tPvRmT1_T2_T3_mT4_P12ihipStream_tbEUlT_E0_NS1_11comp_targetILNS1_3genE8ELNS1_11target_archE1030ELNS1_3gpuE2ELNS1_3repE0EEENS1_30default_config_static_selectorELNS0_4arch9wavefront6targetE1EEEvS17_, .Lfunc_end1248-_ZN7rocprim17ROCPRIM_400000_NS6detail17trampoline_kernelINS0_14default_configENS1_22reduce_config_selectorIN6thrust23THRUST_200600_302600_NS5tupleIblNS6_9null_typeES8_S8_S8_S8_S8_S8_S8_EEEEZNS1_11reduce_implILb1ES3_NS6_12zip_iteratorINS7_INS6_11hip_rocprim26transform_input_iterator_tIbPlNS6_6detail10functional5actorINSH_9compositeIJNSH_27transparent_binary_operatorINS6_8equal_toIvEEEENSI_INSH_8argumentILj0EEEEENSH_5valueIlEEEEEEEEENSD_19counting_iterator_tIlEES8_S8_S8_S8_S8_S8_S8_S8_EEEEPS9_S9_NSD_9__find_if7functorIS9_EEEE10hipError_tPvRmT1_T2_T3_mT4_P12ihipStream_tbEUlT_E0_NS1_11comp_targetILNS1_3genE8ELNS1_11target_archE1030ELNS1_3gpuE2ELNS1_3repE0EEENS1_30default_config_static_selectorELNS0_4arch9wavefront6targetE1EEEvS17_
                                        ; -- End function
	.section	.AMDGPU.csdata,"",@progbits
; Kernel info:
; codeLenInByte = 0
; NumSgprs: 4
; NumVgprs: 0
; NumAgprs: 0
; TotalNumVgprs: 0
; ScratchSize: 0
; MemoryBound: 0
; FloatMode: 240
; IeeeMode: 1
; LDSByteSize: 0 bytes/workgroup (compile time only)
; SGPRBlocks: 0
; VGPRBlocks: 0
; NumSGPRsForWavesPerEU: 4
; NumVGPRsForWavesPerEU: 1
; AccumOffset: 4
; Occupancy: 8
; WaveLimiterHint : 0
; COMPUTE_PGM_RSRC2:SCRATCH_EN: 0
; COMPUTE_PGM_RSRC2:USER_SGPR: 6
; COMPUTE_PGM_RSRC2:TRAP_HANDLER: 0
; COMPUTE_PGM_RSRC2:TGID_X_EN: 1
; COMPUTE_PGM_RSRC2:TGID_Y_EN: 0
; COMPUTE_PGM_RSRC2:TGID_Z_EN: 0
; COMPUTE_PGM_RSRC2:TIDIG_COMP_CNT: 0
; COMPUTE_PGM_RSRC3_GFX90A:ACCUM_OFFSET: 0
; COMPUTE_PGM_RSRC3_GFX90A:TG_SPLIT: 0
	.section	.text._ZN7rocprim17ROCPRIM_400000_NS6detail17trampoline_kernelINS0_14default_configENS1_22reduce_config_selectorIN6thrust23THRUST_200600_302600_NS5tupleIblNS6_9null_typeES8_S8_S8_S8_S8_S8_S8_EEEEZNS1_11reduce_implILb1ES3_NS6_12zip_iteratorINS7_INS6_11hip_rocprim26transform_input_iterator_tIbPlNS6_6detail10functional5actorINSH_9compositeIJNSH_27transparent_binary_operatorINS6_8equal_toIvEEEENSI_INSH_8argumentILj0EEEEENSH_5valueIlEEEEEEEEENSD_19counting_iterator_tIlEES8_S8_S8_S8_S8_S8_S8_S8_EEEEPS9_S9_NSD_9__find_if7functorIS9_EEEE10hipError_tPvRmT1_T2_T3_mT4_P12ihipStream_tbEUlT_E1_NS1_11comp_targetILNS1_3genE0ELNS1_11target_archE4294967295ELNS1_3gpuE0ELNS1_3repE0EEENS1_30default_config_static_selectorELNS0_4arch9wavefront6targetE1EEEvS17_,"axG",@progbits,_ZN7rocprim17ROCPRIM_400000_NS6detail17trampoline_kernelINS0_14default_configENS1_22reduce_config_selectorIN6thrust23THRUST_200600_302600_NS5tupleIblNS6_9null_typeES8_S8_S8_S8_S8_S8_S8_EEEEZNS1_11reduce_implILb1ES3_NS6_12zip_iteratorINS7_INS6_11hip_rocprim26transform_input_iterator_tIbPlNS6_6detail10functional5actorINSH_9compositeIJNSH_27transparent_binary_operatorINS6_8equal_toIvEEEENSI_INSH_8argumentILj0EEEEENSH_5valueIlEEEEEEEEENSD_19counting_iterator_tIlEES8_S8_S8_S8_S8_S8_S8_S8_EEEEPS9_S9_NSD_9__find_if7functorIS9_EEEE10hipError_tPvRmT1_T2_T3_mT4_P12ihipStream_tbEUlT_E1_NS1_11comp_targetILNS1_3genE0ELNS1_11target_archE4294967295ELNS1_3gpuE0ELNS1_3repE0EEENS1_30default_config_static_selectorELNS0_4arch9wavefront6targetE1EEEvS17_,comdat
	.protected	_ZN7rocprim17ROCPRIM_400000_NS6detail17trampoline_kernelINS0_14default_configENS1_22reduce_config_selectorIN6thrust23THRUST_200600_302600_NS5tupleIblNS6_9null_typeES8_S8_S8_S8_S8_S8_S8_EEEEZNS1_11reduce_implILb1ES3_NS6_12zip_iteratorINS7_INS6_11hip_rocprim26transform_input_iterator_tIbPlNS6_6detail10functional5actorINSH_9compositeIJNSH_27transparent_binary_operatorINS6_8equal_toIvEEEENSI_INSH_8argumentILj0EEEEENSH_5valueIlEEEEEEEEENSD_19counting_iterator_tIlEES8_S8_S8_S8_S8_S8_S8_S8_EEEEPS9_S9_NSD_9__find_if7functorIS9_EEEE10hipError_tPvRmT1_T2_T3_mT4_P12ihipStream_tbEUlT_E1_NS1_11comp_targetILNS1_3genE0ELNS1_11target_archE4294967295ELNS1_3gpuE0ELNS1_3repE0EEENS1_30default_config_static_selectorELNS0_4arch9wavefront6targetE1EEEvS17_ ; -- Begin function _ZN7rocprim17ROCPRIM_400000_NS6detail17trampoline_kernelINS0_14default_configENS1_22reduce_config_selectorIN6thrust23THRUST_200600_302600_NS5tupleIblNS6_9null_typeES8_S8_S8_S8_S8_S8_S8_EEEEZNS1_11reduce_implILb1ES3_NS6_12zip_iteratorINS7_INS6_11hip_rocprim26transform_input_iterator_tIbPlNS6_6detail10functional5actorINSH_9compositeIJNSH_27transparent_binary_operatorINS6_8equal_toIvEEEENSI_INSH_8argumentILj0EEEEENSH_5valueIlEEEEEEEEENSD_19counting_iterator_tIlEES8_S8_S8_S8_S8_S8_S8_S8_EEEEPS9_S9_NSD_9__find_if7functorIS9_EEEE10hipError_tPvRmT1_T2_T3_mT4_P12ihipStream_tbEUlT_E1_NS1_11comp_targetILNS1_3genE0ELNS1_11target_archE4294967295ELNS1_3gpuE0ELNS1_3repE0EEENS1_30default_config_static_selectorELNS0_4arch9wavefront6targetE1EEEvS17_
	.globl	_ZN7rocprim17ROCPRIM_400000_NS6detail17trampoline_kernelINS0_14default_configENS1_22reduce_config_selectorIN6thrust23THRUST_200600_302600_NS5tupleIblNS6_9null_typeES8_S8_S8_S8_S8_S8_S8_EEEEZNS1_11reduce_implILb1ES3_NS6_12zip_iteratorINS7_INS6_11hip_rocprim26transform_input_iterator_tIbPlNS6_6detail10functional5actorINSH_9compositeIJNSH_27transparent_binary_operatorINS6_8equal_toIvEEEENSI_INSH_8argumentILj0EEEEENSH_5valueIlEEEEEEEEENSD_19counting_iterator_tIlEES8_S8_S8_S8_S8_S8_S8_S8_EEEEPS9_S9_NSD_9__find_if7functorIS9_EEEE10hipError_tPvRmT1_T2_T3_mT4_P12ihipStream_tbEUlT_E1_NS1_11comp_targetILNS1_3genE0ELNS1_11target_archE4294967295ELNS1_3gpuE0ELNS1_3repE0EEENS1_30default_config_static_selectorELNS0_4arch9wavefront6targetE1EEEvS17_
	.p2align	8
	.type	_ZN7rocprim17ROCPRIM_400000_NS6detail17trampoline_kernelINS0_14default_configENS1_22reduce_config_selectorIN6thrust23THRUST_200600_302600_NS5tupleIblNS6_9null_typeES8_S8_S8_S8_S8_S8_S8_EEEEZNS1_11reduce_implILb1ES3_NS6_12zip_iteratorINS7_INS6_11hip_rocprim26transform_input_iterator_tIbPlNS6_6detail10functional5actorINSH_9compositeIJNSH_27transparent_binary_operatorINS6_8equal_toIvEEEENSI_INSH_8argumentILj0EEEEENSH_5valueIlEEEEEEEEENSD_19counting_iterator_tIlEES8_S8_S8_S8_S8_S8_S8_S8_EEEEPS9_S9_NSD_9__find_if7functorIS9_EEEE10hipError_tPvRmT1_T2_T3_mT4_P12ihipStream_tbEUlT_E1_NS1_11comp_targetILNS1_3genE0ELNS1_11target_archE4294967295ELNS1_3gpuE0ELNS1_3repE0EEENS1_30default_config_static_selectorELNS0_4arch9wavefront6targetE1EEEvS17_,@function
_ZN7rocprim17ROCPRIM_400000_NS6detail17trampoline_kernelINS0_14default_configENS1_22reduce_config_selectorIN6thrust23THRUST_200600_302600_NS5tupleIblNS6_9null_typeES8_S8_S8_S8_S8_S8_S8_EEEEZNS1_11reduce_implILb1ES3_NS6_12zip_iteratorINS7_INS6_11hip_rocprim26transform_input_iterator_tIbPlNS6_6detail10functional5actorINSH_9compositeIJNSH_27transparent_binary_operatorINS6_8equal_toIvEEEENSI_INSH_8argumentILj0EEEEENSH_5valueIlEEEEEEEEENSD_19counting_iterator_tIlEES8_S8_S8_S8_S8_S8_S8_S8_EEEEPS9_S9_NSD_9__find_if7functorIS9_EEEE10hipError_tPvRmT1_T2_T3_mT4_P12ihipStream_tbEUlT_E1_NS1_11comp_targetILNS1_3genE0ELNS1_11target_archE4294967295ELNS1_3gpuE0ELNS1_3repE0EEENS1_30default_config_static_selectorELNS0_4arch9wavefront6targetE1EEEvS17_: ; @_ZN7rocprim17ROCPRIM_400000_NS6detail17trampoline_kernelINS0_14default_configENS1_22reduce_config_selectorIN6thrust23THRUST_200600_302600_NS5tupleIblNS6_9null_typeES8_S8_S8_S8_S8_S8_S8_EEEEZNS1_11reduce_implILb1ES3_NS6_12zip_iteratorINS7_INS6_11hip_rocprim26transform_input_iterator_tIbPlNS6_6detail10functional5actorINSH_9compositeIJNSH_27transparent_binary_operatorINS6_8equal_toIvEEEENSI_INSH_8argumentILj0EEEEENSH_5valueIlEEEEEEEEENSD_19counting_iterator_tIlEES8_S8_S8_S8_S8_S8_S8_S8_EEEEPS9_S9_NSD_9__find_if7functorIS9_EEEE10hipError_tPvRmT1_T2_T3_mT4_P12ihipStream_tbEUlT_E1_NS1_11comp_targetILNS1_3genE0ELNS1_11target_archE4294967295ELNS1_3gpuE0ELNS1_3repE0EEENS1_30default_config_static_selectorELNS0_4arch9wavefront6targetE1EEEvS17_
; %bb.0:
	.section	.rodata,"a",@progbits
	.p2align	6, 0x0
	.amdhsa_kernel _ZN7rocprim17ROCPRIM_400000_NS6detail17trampoline_kernelINS0_14default_configENS1_22reduce_config_selectorIN6thrust23THRUST_200600_302600_NS5tupleIblNS6_9null_typeES8_S8_S8_S8_S8_S8_S8_EEEEZNS1_11reduce_implILb1ES3_NS6_12zip_iteratorINS7_INS6_11hip_rocprim26transform_input_iterator_tIbPlNS6_6detail10functional5actorINSH_9compositeIJNSH_27transparent_binary_operatorINS6_8equal_toIvEEEENSI_INSH_8argumentILj0EEEEENSH_5valueIlEEEEEEEEENSD_19counting_iterator_tIlEES8_S8_S8_S8_S8_S8_S8_S8_EEEEPS9_S9_NSD_9__find_if7functorIS9_EEEE10hipError_tPvRmT1_T2_T3_mT4_P12ihipStream_tbEUlT_E1_NS1_11comp_targetILNS1_3genE0ELNS1_11target_archE4294967295ELNS1_3gpuE0ELNS1_3repE0EEENS1_30default_config_static_selectorELNS0_4arch9wavefront6targetE1EEEvS17_
		.amdhsa_group_segment_fixed_size 0
		.amdhsa_private_segment_fixed_size 0
		.amdhsa_kernarg_size 80
		.amdhsa_user_sgpr_count 6
		.amdhsa_user_sgpr_private_segment_buffer 1
		.amdhsa_user_sgpr_dispatch_ptr 0
		.amdhsa_user_sgpr_queue_ptr 0
		.amdhsa_user_sgpr_kernarg_segment_ptr 1
		.amdhsa_user_sgpr_dispatch_id 0
		.amdhsa_user_sgpr_flat_scratch_init 0
		.amdhsa_user_sgpr_kernarg_preload_length 0
		.amdhsa_user_sgpr_kernarg_preload_offset 0
		.amdhsa_user_sgpr_private_segment_size 0
		.amdhsa_uses_dynamic_stack 0
		.amdhsa_system_sgpr_private_segment_wavefront_offset 0
		.amdhsa_system_sgpr_workgroup_id_x 1
		.amdhsa_system_sgpr_workgroup_id_y 0
		.amdhsa_system_sgpr_workgroup_id_z 0
		.amdhsa_system_sgpr_workgroup_info 0
		.amdhsa_system_vgpr_workitem_id 0
		.amdhsa_next_free_vgpr 1
		.amdhsa_next_free_sgpr 0
		.amdhsa_accum_offset 4
		.amdhsa_reserve_vcc 0
		.amdhsa_reserve_flat_scratch 0
		.amdhsa_float_round_mode_32 0
		.amdhsa_float_round_mode_16_64 0
		.amdhsa_float_denorm_mode_32 3
		.amdhsa_float_denorm_mode_16_64 3
		.amdhsa_dx10_clamp 1
		.amdhsa_ieee_mode 1
		.amdhsa_fp16_overflow 0
		.amdhsa_tg_split 0
		.amdhsa_exception_fp_ieee_invalid_op 0
		.amdhsa_exception_fp_denorm_src 0
		.amdhsa_exception_fp_ieee_div_zero 0
		.amdhsa_exception_fp_ieee_overflow 0
		.amdhsa_exception_fp_ieee_underflow 0
		.amdhsa_exception_fp_ieee_inexact 0
		.amdhsa_exception_int_div_zero 0
	.end_amdhsa_kernel
	.section	.text._ZN7rocprim17ROCPRIM_400000_NS6detail17trampoline_kernelINS0_14default_configENS1_22reduce_config_selectorIN6thrust23THRUST_200600_302600_NS5tupleIblNS6_9null_typeES8_S8_S8_S8_S8_S8_S8_EEEEZNS1_11reduce_implILb1ES3_NS6_12zip_iteratorINS7_INS6_11hip_rocprim26transform_input_iterator_tIbPlNS6_6detail10functional5actorINSH_9compositeIJNSH_27transparent_binary_operatorINS6_8equal_toIvEEEENSI_INSH_8argumentILj0EEEEENSH_5valueIlEEEEEEEEENSD_19counting_iterator_tIlEES8_S8_S8_S8_S8_S8_S8_S8_EEEEPS9_S9_NSD_9__find_if7functorIS9_EEEE10hipError_tPvRmT1_T2_T3_mT4_P12ihipStream_tbEUlT_E1_NS1_11comp_targetILNS1_3genE0ELNS1_11target_archE4294967295ELNS1_3gpuE0ELNS1_3repE0EEENS1_30default_config_static_selectorELNS0_4arch9wavefront6targetE1EEEvS17_,"axG",@progbits,_ZN7rocprim17ROCPRIM_400000_NS6detail17trampoline_kernelINS0_14default_configENS1_22reduce_config_selectorIN6thrust23THRUST_200600_302600_NS5tupleIblNS6_9null_typeES8_S8_S8_S8_S8_S8_S8_EEEEZNS1_11reduce_implILb1ES3_NS6_12zip_iteratorINS7_INS6_11hip_rocprim26transform_input_iterator_tIbPlNS6_6detail10functional5actorINSH_9compositeIJNSH_27transparent_binary_operatorINS6_8equal_toIvEEEENSI_INSH_8argumentILj0EEEEENSH_5valueIlEEEEEEEEENSD_19counting_iterator_tIlEES8_S8_S8_S8_S8_S8_S8_S8_EEEEPS9_S9_NSD_9__find_if7functorIS9_EEEE10hipError_tPvRmT1_T2_T3_mT4_P12ihipStream_tbEUlT_E1_NS1_11comp_targetILNS1_3genE0ELNS1_11target_archE4294967295ELNS1_3gpuE0ELNS1_3repE0EEENS1_30default_config_static_selectorELNS0_4arch9wavefront6targetE1EEEvS17_,comdat
.Lfunc_end1249:
	.size	_ZN7rocprim17ROCPRIM_400000_NS6detail17trampoline_kernelINS0_14default_configENS1_22reduce_config_selectorIN6thrust23THRUST_200600_302600_NS5tupleIblNS6_9null_typeES8_S8_S8_S8_S8_S8_S8_EEEEZNS1_11reduce_implILb1ES3_NS6_12zip_iteratorINS7_INS6_11hip_rocprim26transform_input_iterator_tIbPlNS6_6detail10functional5actorINSH_9compositeIJNSH_27transparent_binary_operatorINS6_8equal_toIvEEEENSI_INSH_8argumentILj0EEEEENSH_5valueIlEEEEEEEEENSD_19counting_iterator_tIlEES8_S8_S8_S8_S8_S8_S8_S8_EEEEPS9_S9_NSD_9__find_if7functorIS9_EEEE10hipError_tPvRmT1_T2_T3_mT4_P12ihipStream_tbEUlT_E1_NS1_11comp_targetILNS1_3genE0ELNS1_11target_archE4294967295ELNS1_3gpuE0ELNS1_3repE0EEENS1_30default_config_static_selectorELNS0_4arch9wavefront6targetE1EEEvS17_, .Lfunc_end1249-_ZN7rocprim17ROCPRIM_400000_NS6detail17trampoline_kernelINS0_14default_configENS1_22reduce_config_selectorIN6thrust23THRUST_200600_302600_NS5tupleIblNS6_9null_typeES8_S8_S8_S8_S8_S8_S8_EEEEZNS1_11reduce_implILb1ES3_NS6_12zip_iteratorINS7_INS6_11hip_rocprim26transform_input_iterator_tIbPlNS6_6detail10functional5actorINSH_9compositeIJNSH_27transparent_binary_operatorINS6_8equal_toIvEEEENSI_INSH_8argumentILj0EEEEENSH_5valueIlEEEEEEEEENSD_19counting_iterator_tIlEES8_S8_S8_S8_S8_S8_S8_S8_EEEEPS9_S9_NSD_9__find_if7functorIS9_EEEE10hipError_tPvRmT1_T2_T3_mT4_P12ihipStream_tbEUlT_E1_NS1_11comp_targetILNS1_3genE0ELNS1_11target_archE4294967295ELNS1_3gpuE0ELNS1_3repE0EEENS1_30default_config_static_selectorELNS0_4arch9wavefront6targetE1EEEvS17_
                                        ; -- End function
	.section	.AMDGPU.csdata,"",@progbits
; Kernel info:
; codeLenInByte = 0
; NumSgprs: 4
; NumVgprs: 0
; NumAgprs: 0
; TotalNumVgprs: 0
; ScratchSize: 0
; MemoryBound: 0
; FloatMode: 240
; IeeeMode: 1
; LDSByteSize: 0 bytes/workgroup (compile time only)
; SGPRBlocks: 0
; VGPRBlocks: 0
; NumSGPRsForWavesPerEU: 4
; NumVGPRsForWavesPerEU: 1
; AccumOffset: 4
; Occupancy: 8
; WaveLimiterHint : 0
; COMPUTE_PGM_RSRC2:SCRATCH_EN: 0
; COMPUTE_PGM_RSRC2:USER_SGPR: 6
; COMPUTE_PGM_RSRC2:TRAP_HANDLER: 0
; COMPUTE_PGM_RSRC2:TGID_X_EN: 1
; COMPUTE_PGM_RSRC2:TGID_Y_EN: 0
; COMPUTE_PGM_RSRC2:TGID_Z_EN: 0
; COMPUTE_PGM_RSRC2:TIDIG_COMP_CNT: 0
; COMPUTE_PGM_RSRC3_GFX90A:ACCUM_OFFSET: 0
; COMPUTE_PGM_RSRC3_GFX90A:TG_SPLIT: 0
	.section	.text._ZN7rocprim17ROCPRIM_400000_NS6detail17trampoline_kernelINS0_14default_configENS1_22reduce_config_selectorIN6thrust23THRUST_200600_302600_NS5tupleIblNS6_9null_typeES8_S8_S8_S8_S8_S8_S8_EEEEZNS1_11reduce_implILb1ES3_NS6_12zip_iteratorINS7_INS6_11hip_rocprim26transform_input_iterator_tIbPlNS6_6detail10functional5actorINSH_9compositeIJNSH_27transparent_binary_operatorINS6_8equal_toIvEEEENSI_INSH_8argumentILj0EEEEENSH_5valueIlEEEEEEEEENSD_19counting_iterator_tIlEES8_S8_S8_S8_S8_S8_S8_S8_EEEEPS9_S9_NSD_9__find_if7functorIS9_EEEE10hipError_tPvRmT1_T2_T3_mT4_P12ihipStream_tbEUlT_E1_NS1_11comp_targetILNS1_3genE5ELNS1_11target_archE942ELNS1_3gpuE9ELNS1_3repE0EEENS1_30default_config_static_selectorELNS0_4arch9wavefront6targetE1EEEvS17_,"axG",@progbits,_ZN7rocprim17ROCPRIM_400000_NS6detail17trampoline_kernelINS0_14default_configENS1_22reduce_config_selectorIN6thrust23THRUST_200600_302600_NS5tupleIblNS6_9null_typeES8_S8_S8_S8_S8_S8_S8_EEEEZNS1_11reduce_implILb1ES3_NS6_12zip_iteratorINS7_INS6_11hip_rocprim26transform_input_iterator_tIbPlNS6_6detail10functional5actorINSH_9compositeIJNSH_27transparent_binary_operatorINS6_8equal_toIvEEEENSI_INSH_8argumentILj0EEEEENSH_5valueIlEEEEEEEEENSD_19counting_iterator_tIlEES8_S8_S8_S8_S8_S8_S8_S8_EEEEPS9_S9_NSD_9__find_if7functorIS9_EEEE10hipError_tPvRmT1_T2_T3_mT4_P12ihipStream_tbEUlT_E1_NS1_11comp_targetILNS1_3genE5ELNS1_11target_archE942ELNS1_3gpuE9ELNS1_3repE0EEENS1_30default_config_static_selectorELNS0_4arch9wavefront6targetE1EEEvS17_,comdat
	.protected	_ZN7rocprim17ROCPRIM_400000_NS6detail17trampoline_kernelINS0_14default_configENS1_22reduce_config_selectorIN6thrust23THRUST_200600_302600_NS5tupleIblNS6_9null_typeES8_S8_S8_S8_S8_S8_S8_EEEEZNS1_11reduce_implILb1ES3_NS6_12zip_iteratorINS7_INS6_11hip_rocprim26transform_input_iterator_tIbPlNS6_6detail10functional5actorINSH_9compositeIJNSH_27transparent_binary_operatorINS6_8equal_toIvEEEENSI_INSH_8argumentILj0EEEEENSH_5valueIlEEEEEEEEENSD_19counting_iterator_tIlEES8_S8_S8_S8_S8_S8_S8_S8_EEEEPS9_S9_NSD_9__find_if7functorIS9_EEEE10hipError_tPvRmT1_T2_T3_mT4_P12ihipStream_tbEUlT_E1_NS1_11comp_targetILNS1_3genE5ELNS1_11target_archE942ELNS1_3gpuE9ELNS1_3repE0EEENS1_30default_config_static_selectorELNS0_4arch9wavefront6targetE1EEEvS17_ ; -- Begin function _ZN7rocprim17ROCPRIM_400000_NS6detail17trampoline_kernelINS0_14default_configENS1_22reduce_config_selectorIN6thrust23THRUST_200600_302600_NS5tupleIblNS6_9null_typeES8_S8_S8_S8_S8_S8_S8_EEEEZNS1_11reduce_implILb1ES3_NS6_12zip_iteratorINS7_INS6_11hip_rocprim26transform_input_iterator_tIbPlNS6_6detail10functional5actorINSH_9compositeIJNSH_27transparent_binary_operatorINS6_8equal_toIvEEEENSI_INSH_8argumentILj0EEEEENSH_5valueIlEEEEEEEEENSD_19counting_iterator_tIlEES8_S8_S8_S8_S8_S8_S8_S8_EEEEPS9_S9_NSD_9__find_if7functorIS9_EEEE10hipError_tPvRmT1_T2_T3_mT4_P12ihipStream_tbEUlT_E1_NS1_11comp_targetILNS1_3genE5ELNS1_11target_archE942ELNS1_3gpuE9ELNS1_3repE0EEENS1_30default_config_static_selectorELNS0_4arch9wavefront6targetE1EEEvS17_
	.globl	_ZN7rocprim17ROCPRIM_400000_NS6detail17trampoline_kernelINS0_14default_configENS1_22reduce_config_selectorIN6thrust23THRUST_200600_302600_NS5tupleIblNS6_9null_typeES8_S8_S8_S8_S8_S8_S8_EEEEZNS1_11reduce_implILb1ES3_NS6_12zip_iteratorINS7_INS6_11hip_rocprim26transform_input_iterator_tIbPlNS6_6detail10functional5actorINSH_9compositeIJNSH_27transparent_binary_operatorINS6_8equal_toIvEEEENSI_INSH_8argumentILj0EEEEENSH_5valueIlEEEEEEEEENSD_19counting_iterator_tIlEES8_S8_S8_S8_S8_S8_S8_S8_EEEEPS9_S9_NSD_9__find_if7functorIS9_EEEE10hipError_tPvRmT1_T2_T3_mT4_P12ihipStream_tbEUlT_E1_NS1_11comp_targetILNS1_3genE5ELNS1_11target_archE942ELNS1_3gpuE9ELNS1_3repE0EEENS1_30default_config_static_selectorELNS0_4arch9wavefront6targetE1EEEvS17_
	.p2align	8
	.type	_ZN7rocprim17ROCPRIM_400000_NS6detail17trampoline_kernelINS0_14default_configENS1_22reduce_config_selectorIN6thrust23THRUST_200600_302600_NS5tupleIblNS6_9null_typeES8_S8_S8_S8_S8_S8_S8_EEEEZNS1_11reduce_implILb1ES3_NS6_12zip_iteratorINS7_INS6_11hip_rocprim26transform_input_iterator_tIbPlNS6_6detail10functional5actorINSH_9compositeIJNSH_27transparent_binary_operatorINS6_8equal_toIvEEEENSI_INSH_8argumentILj0EEEEENSH_5valueIlEEEEEEEEENSD_19counting_iterator_tIlEES8_S8_S8_S8_S8_S8_S8_S8_EEEEPS9_S9_NSD_9__find_if7functorIS9_EEEE10hipError_tPvRmT1_T2_T3_mT4_P12ihipStream_tbEUlT_E1_NS1_11comp_targetILNS1_3genE5ELNS1_11target_archE942ELNS1_3gpuE9ELNS1_3repE0EEENS1_30default_config_static_selectorELNS0_4arch9wavefront6targetE1EEEvS17_,@function
_ZN7rocprim17ROCPRIM_400000_NS6detail17trampoline_kernelINS0_14default_configENS1_22reduce_config_selectorIN6thrust23THRUST_200600_302600_NS5tupleIblNS6_9null_typeES8_S8_S8_S8_S8_S8_S8_EEEEZNS1_11reduce_implILb1ES3_NS6_12zip_iteratorINS7_INS6_11hip_rocprim26transform_input_iterator_tIbPlNS6_6detail10functional5actorINSH_9compositeIJNSH_27transparent_binary_operatorINS6_8equal_toIvEEEENSI_INSH_8argumentILj0EEEEENSH_5valueIlEEEEEEEEENSD_19counting_iterator_tIlEES8_S8_S8_S8_S8_S8_S8_S8_EEEEPS9_S9_NSD_9__find_if7functorIS9_EEEE10hipError_tPvRmT1_T2_T3_mT4_P12ihipStream_tbEUlT_E1_NS1_11comp_targetILNS1_3genE5ELNS1_11target_archE942ELNS1_3gpuE9ELNS1_3repE0EEENS1_30default_config_static_selectorELNS0_4arch9wavefront6targetE1EEEvS17_: ; @_ZN7rocprim17ROCPRIM_400000_NS6detail17trampoline_kernelINS0_14default_configENS1_22reduce_config_selectorIN6thrust23THRUST_200600_302600_NS5tupleIblNS6_9null_typeES8_S8_S8_S8_S8_S8_S8_EEEEZNS1_11reduce_implILb1ES3_NS6_12zip_iteratorINS7_INS6_11hip_rocprim26transform_input_iterator_tIbPlNS6_6detail10functional5actorINSH_9compositeIJNSH_27transparent_binary_operatorINS6_8equal_toIvEEEENSI_INSH_8argumentILj0EEEEENSH_5valueIlEEEEEEEEENSD_19counting_iterator_tIlEES8_S8_S8_S8_S8_S8_S8_S8_EEEEPS9_S9_NSD_9__find_if7functorIS9_EEEE10hipError_tPvRmT1_T2_T3_mT4_P12ihipStream_tbEUlT_E1_NS1_11comp_targetILNS1_3genE5ELNS1_11target_archE942ELNS1_3gpuE9ELNS1_3repE0EEENS1_30default_config_static_selectorELNS0_4arch9wavefront6targetE1EEEvS17_
; %bb.0:
	.section	.rodata,"a",@progbits
	.p2align	6, 0x0
	.amdhsa_kernel _ZN7rocprim17ROCPRIM_400000_NS6detail17trampoline_kernelINS0_14default_configENS1_22reduce_config_selectorIN6thrust23THRUST_200600_302600_NS5tupleIblNS6_9null_typeES8_S8_S8_S8_S8_S8_S8_EEEEZNS1_11reduce_implILb1ES3_NS6_12zip_iteratorINS7_INS6_11hip_rocprim26transform_input_iterator_tIbPlNS6_6detail10functional5actorINSH_9compositeIJNSH_27transparent_binary_operatorINS6_8equal_toIvEEEENSI_INSH_8argumentILj0EEEEENSH_5valueIlEEEEEEEEENSD_19counting_iterator_tIlEES8_S8_S8_S8_S8_S8_S8_S8_EEEEPS9_S9_NSD_9__find_if7functorIS9_EEEE10hipError_tPvRmT1_T2_T3_mT4_P12ihipStream_tbEUlT_E1_NS1_11comp_targetILNS1_3genE5ELNS1_11target_archE942ELNS1_3gpuE9ELNS1_3repE0EEENS1_30default_config_static_selectorELNS0_4arch9wavefront6targetE1EEEvS17_
		.amdhsa_group_segment_fixed_size 0
		.amdhsa_private_segment_fixed_size 0
		.amdhsa_kernarg_size 80
		.amdhsa_user_sgpr_count 6
		.amdhsa_user_sgpr_private_segment_buffer 1
		.amdhsa_user_sgpr_dispatch_ptr 0
		.amdhsa_user_sgpr_queue_ptr 0
		.amdhsa_user_sgpr_kernarg_segment_ptr 1
		.amdhsa_user_sgpr_dispatch_id 0
		.amdhsa_user_sgpr_flat_scratch_init 0
		.amdhsa_user_sgpr_kernarg_preload_length 0
		.amdhsa_user_sgpr_kernarg_preload_offset 0
		.amdhsa_user_sgpr_private_segment_size 0
		.amdhsa_uses_dynamic_stack 0
		.amdhsa_system_sgpr_private_segment_wavefront_offset 0
		.amdhsa_system_sgpr_workgroup_id_x 1
		.amdhsa_system_sgpr_workgroup_id_y 0
		.amdhsa_system_sgpr_workgroup_id_z 0
		.amdhsa_system_sgpr_workgroup_info 0
		.amdhsa_system_vgpr_workitem_id 0
		.amdhsa_next_free_vgpr 1
		.amdhsa_next_free_sgpr 0
		.amdhsa_accum_offset 4
		.amdhsa_reserve_vcc 0
		.amdhsa_reserve_flat_scratch 0
		.amdhsa_float_round_mode_32 0
		.amdhsa_float_round_mode_16_64 0
		.amdhsa_float_denorm_mode_32 3
		.amdhsa_float_denorm_mode_16_64 3
		.amdhsa_dx10_clamp 1
		.amdhsa_ieee_mode 1
		.amdhsa_fp16_overflow 0
		.amdhsa_tg_split 0
		.amdhsa_exception_fp_ieee_invalid_op 0
		.amdhsa_exception_fp_denorm_src 0
		.amdhsa_exception_fp_ieee_div_zero 0
		.amdhsa_exception_fp_ieee_overflow 0
		.amdhsa_exception_fp_ieee_underflow 0
		.amdhsa_exception_fp_ieee_inexact 0
		.amdhsa_exception_int_div_zero 0
	.end_amdhsa_kernel
	.section	.text._ZN7rocprim17ROCPRIM_400000_NS6detail17trampoline_kernelINS0_14default_configENS1_22reduce_config_selectorIN6thrust23THRUST_200600_302600_NS5tupleIblNS6_9null_typeES8_S8_S8_S8_S8_S8_S8_EEEEZNS1_11reduce_implILb1ES3_NS6_12zip_iteratorINS7_INS6_11hip_rocprim26transform_input_iterator_tIbPlNS6_6detail10functional5actorINSH_9compositeIJNSH_27transparent_binary_operatorINS6_8equal_toIvEEEENSI_INSH_8argumentILj0EEEEENSH_5valueIlEEEEEEEEENSD_19counting_iterator_tIlEES8_S8_S8_S8_S8_S8_S8_S8_EEEEPS9_S9_NSD_9__find_if7functorIS9_EEEE10hipError_tPvRmT1_T2_T3_mT4_P12ihipStream_tbEUlT_E1_NS1_11comp_targetILNS1_3genE5ELNS1_11target_archE942ELNS1_3gpuE9ELNS1_3repE0EEENS1_30default_config_static_selectorELNS0_4arch9wavefront6targetE1EEEvS17_,"axG",@progbits,_ZN7rocprim17ROCPRIM_400000_NS6detail17trampoline_kernelINS0_14default_configENS1_22reduce_config_selectorIN6thrust23THRUST_200600_302600_NS5tupleIblNS6_9null_typeES8_S8_S8_S8_S8_S8_S8_EEEEZNS1_11reduce_implILb1ES3_NS6_12zip_iteratorINS7_INS6_11hip_rocprim26transform_input_iterator_tIbPlNS6_6detail10functional5actorINSH_9compositeIJNSH_27transparent_binary_operatorINS6_8equal_toIvEEEENSI_INSH_8argumentILj0EEEEENSH_5valueIlEEEEEEEEENSD_19counting_iterator_tIlEES8_S8_S8_S8_S8_S8_S8_S8_EEEEPS9_S9_NSD_9__find_if7functorIS9_EEEE10hipError_tPvRmT1_T2_T3_mT4_P12ihipStream_tbEUlT_E1_NS1_11comp_targetILNS1_3genE5ELNS1_11target_archE942ELNS1_3gpuE9ELNS1_3repE0EEENS1_30default_config_static_selectorELNS0_4arch9wavefront6targetE1EEEvS17_,comdat
.Lfunc_end1250:
	.size	_ZN7rocprim17ROCPRIM_400000_NS6detail17trampoline_kernelINS0_14default_configENS1_22reduce_config_selectorIN6thrust23THRUST_200600_302600_NS5tupleIblNS6_9null_typeES8_S8_S8_S8_S8_S8_S8_EEEEZNS1_11reduce_implILb1ES3_NS6_12zip_iteratorINS7_INS6_11hip_rocprim26transform_input_iterator_tIbPlNS6_6detail10functional5actorINSH_9compositeIJNSH_27transparent_binary_operatorINS6_8equal_toIvEEEENSI_INSH_8argumentILj0EEEEENSH_5valueIlEEEEEEEEENSD_19counting_iterator_tIlEES8_S8_S8_S8_S8_S8_S8_S8_EEEEPS9_S9_NSD_9__find_if7functorIS9_EEEE10hipError_tPvRmT1_T2_T3_mT4_P12ihipStream_tbEUlT_E1_NS1_11comp_targetILNS1_3genE5ELNS1_11target_archE942ELNS1_3gpuE9ELNS1_3repE0EEENS1_30default_config_static_selectorELNS0_4arch9wavefront6targetE1EEEvS17_, .Lfunc_end1250-_ZN7rocprim17ROCPRIM_400000_NS6detail17trampoline_kernelINS0_14default_configENS1_22reduce_config_selectorIN6thrust23THRUST_200600_302600_NS5tupleIblNS6_9null_typeES8_S8_S8_S8_S8_S8_S8_EEEEZNS1_11reduce_implILb1ES3_NS6_12zip_iteratorINS7_INS6_11hip_rocprim26transform_input_iterator_tIbPlNS6_6detail10functional5actorINSH_9compositeIJNSH_27transparent_binary_operatorINS6_8equal_toIvEEEENSI_INSH_8argumentILj0EEEEENSH_5valueIlEEEEEEEEENSD_19counting_iterator_tIlEES8_S8_S8_S8_S8_S8_S8_S8_EEEEPS9_S9_NSD_9__find_if7functorIS9_EEEE10hipError_tPvRmT1_T2_T3_mT4_P12ihipStream_tbEUlT_E1_NS1_11comp_targetILNS1_3genE5ELNS1_11target_archE942ELNS1_3gpuE9ELNS1_3repE0EEENS1_30default_config_static_selectorELNS0_4arch9wavefront6targetE1EEEvS17_
                                        ; -- End function
	.section	.AMDGPU.csdata,"",@progbits
; Kernel info:
; codeLenInByte = 0
; NumSgprs: 4
; NumVgprs: 0
; NumAgprs: 0
; TotalNumVgprs: 0
; ScratchSize: 0
; MemoryBound: 0
; FloatMode: 240
; IeeeMode: 1
; LDSByteSize: 0 bytes/workgroup (compile time only)
; SGPRBlocks: 0
; VGPRBlocks: 0
; NumSGPRsForWavesPerEU: 4
; NumVGPRsForWavesPerEU: 1
; AccumOffset: 4
; Occupancy: 8
; WaveLimiterHint : 0
; COMPUTE_PGM_RSRC2:SCRATCH_EN: 0
; COMPUTE_PGM_RSRC2:USER_SGPR: 6
; COMPUTE_PGM_RSRC2:TRAP_HANDLER: 0
; COMPUTE_PGM_RSRC2:TGID_X_EN: 1
; COMPUTE_PGM_RSRC2:TGID_Y_EN: 0
; COMPUTE_PGM_RSRC2:TGID_Z_EN: 0
; COMPUTE_PGM_RSRC2:TIDIG_COMP_CNT: 0
; COMPUTE_PGM_RSRC3_GFX90A:ACCUM_OFFSET: 0
; COMPUTE_PGM_RSRC3_GFX90A:TG_SPLIT: 0
	.section	.text._ZN7rocprim17ROCPRIM_400000_NS6detail17trampoline_kernelINS0_14default_configENS1_22reduce_config_selectorIN6thrust23THRUST_200600_302600_NS5tupleIblNS6_9null_typeES8_S8_S8_S8_S8_S8_S8_EEEEZNS1_11reduce_implILb1ES3_NS6_12zip_iteratorINS7_INS6_11hip_rocprim26transform_input_iterator_tIbPlNS6_6detail10functional5actorINSH_9compositeIJNSH_27transparent_binary_operatorINS6_8equal_toIvEEEENSI_INSH_8argumentILj0EEEEENSH_5valueIlEEEEEEEEENSD_19counting_iterator_tIlEES8_S8_S8_S8_S8_S8_S8_S8_EEEEPS9_S9_NSD_9__find_if7functorIS9_EEEE10hipError_tPvRmT1_T2_T3_mT4_P12ihipStream_tbEUlT_E1_NS1_11comp_targetILNS1_3genE4ELNS1_11target_archE910ELNS1_3gpuE8ELNS1_3repE0EEENS1_30default_config_static_selectorELNS0_4arch9wavefront6targetE1EEEvS17_,"axG",@progbits,_ZN7rocprim17ROCPRIM_400000_NS6detail17trampoline_kernelINS0_14default_configENS1_22reduce_config_selectorIN6thrust23THRUST_200600_302600_NS5tupleIblNS6_9null_typeES8_S8_S8_S8_S8_S8_S8_EEEEZNS1_11reduce_implILb1ES3_NS6_12zip_iteratorINS7_INS6_11hip_rocprim26transform_input_iterator_tIbPlNS6_6detail10functional5actorINSH_9compositeIJNSH_27transparent_binary_operatorINS6_8equal_toIvEEEENSI_INSH_8argumentILj0EEEEENSH_5valueIlEEEEEEEEENSD_19counting_iterator_tIlEES8_S8_S8_S8_S8_S8_S8_S8_EEEEPS9_S9_NSD_9__find_if7functorIS9_EEEE10hipError_tPvRmT1_T2_T3_mT4_P12ihipStream_tbEUlT_E1_NS1_11comp_targetILNS1_3genE4ELNS1_11target_archE910ELNS1_3gpuE8ELNS1_3repE0EEENS1_30default_config_static_selectorELNS0_4arch9wavefront6targetE1EEEvS17_,comdat
	.protected	_ZN7rocprim17ROCPRIM_400000_NS6detail17trampoline_kernelINS0_14default_configENS1_22reduce_config_selectorIN6thrust23THRUST_200600_302600_NS5tupleIblNS6_9null_typeES8_S8_S8_S8_S8_S8_S8_EEEEZNS1_11reduce_implILb1ES3_NS6_12zip_iteratorINS7_INS6_11hip_rocprim26transform_input_iterator_tIbPlNS6_6detail10functional5actorINSH_9compositeIJNSH_27transparent_binary_operatorINS6_8equal_toIvEEEENSI_INSH_8argumentILj0EEEEENSH_5valueIlEEEEEEEEENSD_19counting_iterator_tIlEES8_S8_S8_S8_S8_S8_S8_S8_EEEEPS9_S9_NSD_9__find_if7functorIS9_EEEE10hipError_tPvRmT1_T2_T3_mT4_P12ihipStream_tbEUlT_E1_NS1_11comp_targetILNS1_3genE4ELNS1_11target_archE910ELNS1_3gpuE8ELNS1_3repE0EEENS1_30default_config_static_selectorELNS0_4arch9wavefront6targetE1EEEvS17_ ; -- Begin function _ZN7rocprim17ROCPRIM_400000_NS6detail17trampoline_kernelINS0_14default_configENS1_22reduce_config_selectorIN6thrust23THRUST_200600_302600_NS5tupleIblNS6_9null_typeES8_S8_S8_S8_S8_S8_S8_EEEEZNS1_11reduce_implILb1ES3_NS6_12zip_iteratorINS7_INS6_11hip_rocprim26transform_input_iterator_tIbPlNS6_6detail10functional5actorINSH_9compositeIJNSH_27transparent_binary_operatorINS6_8equal_toIvEEEENSI_INSH_8argumentILj0EEEEENSH_5valueIlEEEEEEEEENSD_19counting_iterator_tIlEES8_S8_S8_S8_S8_S8_S8_S8_EEEEPS9_S9_NSD_9__find_if7functorIS9_EEEE10hipError_tPvRmT1_T2_T3_mT4_P12ihipStream_tbEUlT_E1_NS1_11comp_targetILNS1_3genE4ELNS1_11target_archE910ELNS1_3gpuE8ELNS1_3repE0EEENS1_30default_config_static_selectorELNS0_4arch9wavefront6targetE1EEEvS17_
	.globl	_ZN7rocprim17ROCPRIM_400000_NS6detail17trampoline_kernelINS0_14default_configENS1_22reduce_config_selectorIN6thrust23THRUST_200600_302600_NS5tupleIblNS6_9null_typeES8_S8_S8_S8_S8_S8_S8_EEEEZNS1_11reduce_implILb1ES3_NS6_12zip_iteratorINS7_INS6_11hip_rocprim26transform_input_iterator_tIbPlNS6_6detail10functional5actorINSH_9compositeIJNSH_27transparent_binary_operatorINS6_8equal_toIvEEEENSI_INSH_8argumentILj0EEEEENSH_5valueIlEEEEEEEEENSD_19counting_iterator_tIlEES8_S8_S8_S8_S8_S8_S8_S8_EEEEPS9_S9_NSD_9__find_if7functorIS9_EEEE10hipError_tPvRmT1_T2_T3_mT4_P12ihipStream_tbEUlT_E1_NS1_11comp_targetILNS1_3genE4ELNS1_11target_archE910ELNS1_3gpuE8ELNS1_3repE0EEENS1_30default_config_static_selectorELNS0_4arch9wavefront6targetE1EEEvS17_
	.p2align	8
	.type	_ZN7rocprim17ROCPRIM_400000_NS6detail17trampoline_kernelINS0_14default_configENS1_22reduce_config_selectorIN6thrust23THRUST_200600_302600_NS5tupleIblNS6_9null_typeES8_S8_S8_S8_S8_S8_S8_EEEEZNS1_11reduce_implILb1ES3_NS6_12zip_iteratorINS7_INS6_11hip_rocprim26transform_input_iterator_tIbPlNS6_6detail10functional5actorINSH_9compositeIJNSH_27transparent_binary_operatorINS6_8equal_toIvEEEENSI_INSH_8argumentILj0EEEEENSH_5valueIlEEEEEEEEENSD_19counting_iterator_tIlEES8_S8_S8_S8_S8_S8_S8_S8_EEEEPS9_S9_NSD_9__find_if7functorIS9_EEEE10hipError_tPvRmT1_T2_T3_mT4_P12ihipStream_tbEUlT_E1_NS1_11comp_targetILNS1_3genE4ELNS1_11target_archE910ELNS1_3gpuE8ELNS1_3repE0EEENS1_30default_config_static_selectorELNS0_4arch9wavefront6targetE1EEEvS17_,@function
_ZN7rocprim17ROCPRIM_400000_NS6detail17trampoline_kernelINS0_14default_configENS1_22reduce_config_selectorIN6thrust23THRUST_200600_302600_NS5tupleIblNS6_9null_typeES8_S8_S8_S8_S8_S8_S8_EEEEZNS1_11reduce_implILb1ES3_NS6_12zip_iteratorINS7_INS6_11hip_rocprim26transform_input_iterator_tIbPlNS6_6detail10functional5actorINSH_9compositeIJNSH_27transparent_binary_operatorINS6_8equal_toIvEEEENSI_INSH_8argumentILj0EEEEENSH_5valueIlEEEEEEEEENSD_19counting_iterator_tIlEES8_S8_S8_S8_S8_S8_S8_S8_EEEEPS9_S9_NSD_9__find_if7functorIS9_EEEE10hipError_tPvRmT1_T2_T3_mT4_P12ihipStream_tbEUlT_E1_NS1_11comp_targetILNS1_3genE4ELNS1_11target_archE910ELNS1_3gpuE8ELNS1_3repE0EEENS1_30default_config_static_selectorELNS0_4arch9wavefront6targetE1EEEvS17_: ; @_ZN7rocprim17ROCPRIM_400000_NS6detail17trampoline_kernelINS0_14default_configENS1_22reduce_config_selectorIN6thrust23THRUST_200600_302600_NS5tupleIblNS6_9null_typeES8_S8_S8_S8_S8_S8_S8_EEEEZNS1_11reduce_implILb1ES3_NS6_12zip_iteratorINS7_INS6_11hip_rocprim26transform_input_iterator_tIbPlNS6_6detail10functional5actorINSH_9compositeIJNSH_27transparent_binary_operatorINS6_8equal_toIvEEEENSI_INSH_8argumentILj0EEEEENSH_5valueIlEEEEEEEEENSD_19counting_iterator_tIlEES8_S8_S8_S8_S8_S8_S8_S8_EEEEPS9_S9_NSD_9__find_if7functorIS9_EEEE10hipError_tPvRmT1_T2_T3_mT4_P12ihipStream_tbEUlT_E1_NS1_11comp_targetILNS1_3genE4ELNS1_11target_archE910ELNS1_3gpuE8ELNS1_3repE0EEENS1_30default_config_static_selectorELNS0_4arch9wavefront6targetE1EEEvS17_
; %bb.0:
	s_load_dword s34, s[4:5], 0x4
	s_load_dwordx2 s[26:27], s[4:5], 0x8
	s_load_dwordx8 s[16:23], s[4:5], 0x18
	s_load_dword s33, s[4:5], 0x38
	s_load_dwordx2 s[24:25], s[4:5], 0x40
	s_waitcnt lgkmcnt(0)
	s_cmp_lt_i32 s34, 4
	s_cbranch_scc1 .LBB1251_21
; %bb.1:
	s_cmp_gt_i32 s34, 7
	s_cbranch_scc0 .LBB1251_22
; %bb.2:
	s_cmp_eq_u32 s34, 8
	s_mov_b64 s[28:29], 0
	s_cbranch_scc0 .LBB1251_23
; %bb.3:
	s_mov_b32 s7, 0
	s_lshl_b32 s12, s6, 11
	s_mov_b32 s13, s7
	s_lshr_b64 s[0:1], s[20:21], 11
	s_lshl_b64 s[2:3], s[12:13], 3
	s_add_u32 s14, s26, s2
	s_addc_u32 s15, s27, s3
	s_add_u32 s35, s18, s12
	s_addc_u32 s36, s19, 0
	s_cmp_lg_u64 s[0:1], s[6:7]
	s_cbranch_scc0 .LBB1251_44
; %bb.4:
	v_lshlrev_b32_e32 v1, 3, v0
	v_mov_b32_e32 v2, s15
	v_add_co_u32_e32 v16, vcc, s14, v1
	v_addc_co_u32_e32 v17, vcc, 0, v2, vcc
	v_add_co_u32_e32 v2, vcc, 0x1000, v16
	v_addc_co_u32_e32 v3, vcc, 0, v17, vcc
	global_load_dwordx2 v[4:5], v1, s[14:15]
	global_load_dwordx2 v[6:7], v1, s[14:15] offset:2048
	global_load_dwordx2 v[8:9], v[2:3], off
	global_load_dwordx2 v[10:11], v[2:3], off offset:2048
	v_add_co_u32_e32 v2, vcc, 0x2000, v16
	v_addc_co_u32_e32 v3, vcc, 0, v17, vcc
	global_load_dwordx2 v[12:13], v[2:3], off
	global_load_dwordx2 v[14:15], v[2:3], off offset:2048
	v_add_co_u32_e32 v2, vcc, 0x3000, v16
	v_addc_co_u32_e32 v3, vcc, 0, v17, vcc
	global_load_dwordx2 v[16:17], v[2:3], off
	global_load_dwordx2 v[18:19], v[2:3], off offset:2048
	v_mov_b32_e32 v1, s36
	v_add_co_u32_e32 v25, vcc, s35, v0
	v_addc_co_u32_e32 v1, vcc, 0, v1, vcc
	v_mov_b32_e32 v2, 0x200
	v_mov_b32_e32 v3, 0x100
	;; [unrolled: 1-line block ×7, first 2 shown]
	s_waitcnt vmcnt(7)
	v_cmp_eq_u64_e64 s[0:1], s[16:17], v[4:5]
	s_waitcnt vmcnt(6)
	v_cmp_eq_u64_e32 vcc, s[16:17], v[6:7]
	v_cndmask_b32_e32 v2, v2, v3, vcc
	s_or_b64 s[4:5], s[0:1], vcc
	s_waitcnt vmcnt(5)
	v_cmp_eq_u64_e32 vcc, s[16:17], v[8:9]
	v_cndmask_b32_e64 v2, v2, 0, s[0:1]
	s_waitcnt vmcnt(4)
	v_cmp_eq_u64_e64 s[0:1], s[16:17], v[10:11]
	s_or_b64 vcc, s[4:5], vcc
	v_cndmask_b32_e64 v3, v20, v21, s[0:1]
	s_waitcnt vmcnt(3)
	v_cmp_eq_u64_e64 s[2:3], s[16:17], v[12:13]
	s_or_b64 s[0:1], vcc, s[0:1]
	v_cndmask_b32_e32 v2, v3, v2, vcc
	s_waitcnt vmcnt(2)
	v_cmp_eq_u64_e64 s[4:5], s[16:17], v[14:15]
	s_or_b64 vcc, s[0:1], s[2:3]
	v_cndmask_b32_e64 v3, v22, v23, s[4:5]
	s_waitcnt vmcnt(1)
	v_cmp_eq_u64_e64 s[8:9], s[16:17], v[16:17]
	s_or_b64 s[0:1], vcc, s[4:5]
	v_cndmask_b32_e32 v2, v3, v2, vcc
	s_or_b64 vcc, s[0:1], s[8:9]
	v_cndmask_b32_e32 v2, v24, v2, vcc
	v_add_co_u32_e64 v2, s[0:1], v25, v2
	s_waitcnt vmcnt(0)
	v_cmp_eq_u64_e64 s[10:11], s[16:17], v[18:19]
	v_addc_co_u32_e64 v3, s[0:1], 0, v1, s[0:1]
	s_or_b64 s[0:1], vcc, s[10:11]
	v_cndmask_b32_e64 v1, 0, 1, s[0:1]
	v_mov_b32_dpp v4, v2 quad_perm:[1,0,3,2] row_mask:0xf bank_mask:0xf bound_ctrl:1
	v_mov_b32_dpp v5, v3 quad_perm:[1,0,3,2] row_mask:0xf bank_mask:0xf bound_ctrl:1
	;; [unrolled: 1-line block ×3, first 2 shown]
	v_and_b32_e32 v7, 1, v6
	v_cmp_eq_u32_e32 vcc, 1, v7
	s_and_saveexec_b64 s[2:3], vcc
; %bb.5:
	v_cmp_lt_i64_e32 vcc, v[2:3], v[4:5]
	v_cndmask_b32_e64 v6, v6, 1, s[0:1]
	s_and_b64 vcc, s[0:1], vcc
	v_cndmask_b32_e32 v2, v4, v2, vcc
	v_and_b32_e32 v4, 1, v6
	v_cndmask_b32_e32 v3, v5, v3, vcc
	v_cmp_eq_u32_e32 vcc, 1, v4
	s_andn2_b64 s[0:1], s[0:1], exec
	s_and_b64 s[4:5], vcc, exec
	v_and_b32_e32 v1, 0xff, v6
	s_or_b64 s[0:1], s[0:1], s[4:5]
; %bb.6:
	s_or_b64 exec, exec, s[2:3]
	v_mov_b32_dpp v6, v1 quad_perm:[2,3,0,1] row_mask:0xf bank_mask:0xf bound_ctrl:1
	v_and_b32_e32 v7, 1, v6
	v_mov_b32_dpp v4, v2 quad_perm:[2,3,0,1] row_mask:0xf bank_mask:0xf bound_ctrl:1
	v_mov_b32_dpp v5, v3 quad_perm:[2,3,0,1] row_mask:0xf bank_mask:0xf bound_ctrl:1
	v_cmp_eq_u32_e32 vcc, 1, v7
	s_and_saveexec_b64 s[2:3], vcc
; %bb.7:
	v_cmp_lt_i64_e32 vcc, v[2:3], v[4:5]
	v_cndmask_b32_e64 v6, v6, 1, s[0:1]
	s_and_b64 vcc, s[0:1], vcc
	v_cndmask_b32_e32 v2, v4, v2, vcc
	v_and_b32_e32 v4, 1, v6
	v_cndmask_b32_e32 v3, v5, v3, vcc
	v_cmp_eq_u32_e32 vcc, 1, v4
	s_andn2_b64 s[0:1], s[0:1], exec
	s_and_b64 s[4:5], vcc, exec
	v_and_b32_e32 v1, 0xff, v6
	s_or_b64 s[0:1], s[0:1], s[4:5]
; %bb.8:
	s_or_b64 exec, exec, s[2:3]
	v_mov_b32_dpp v6, v1 row_ror:4 row_mask:0xf bank_mask:0xf bound_ctrl:1
	v_and_b32_e32 v7, 1, v6
	v_mov_b32_dpp v4, v2 row_ror:4 row_mask:0xf bank_mask:0xf bound_ctrl:1
	v_mov_b32_dpp v5, v3 row_ror:4 row_mask:0xf bank_mask:0xf bound_ctrl:1
	v_cmp_eq_u32_e32 vcc, 1, v7
	s_and_saveexec_b64 s[2:3], vcc
; %bb.9:
	v_cmp_lt_i64_e32 vcc, v[2:3], v[4:5]
	v_cndmask_b32_e64 v6, v6, 1, s[0:1]
	s_and_b64 vcc, s[0:1], vcc
	v_cndmask_b32_e32 v2, v4, v2, vcc
	v_and_b32_e32 v4, 1, v6
	v_cndmask_b32_e32 v3, v5, v3, vcc
	v_cmp_eq_u32_e32 vcc, 1, v4
	s_andn2_b64 s[0:1], s[0:1], exec
	s_and_b64 s[4:5], vcc, exec
	v_and_b32_e32 v1, 0xff, v6
	s_or_b64 s[0:1], s[0:1], s[4:5]
; %bb.10:
	s_or_b64 exec, exec, s[2:3]
	v_mov_b32_dpp v6, v1 row_ror:8 row_mask:0xf bank_mask:0xf bound_ctrl:1
	v_and_b32_e32 v7, 1, v6
	v_mov_b32_dpp v4, v2 row_ror:8 row_mask:0xf bank_mask:0xf bound_ctrl:1
	v_mov_b32_dpp v5, v3 row_ror:8 row_mask:0xf bank_mask:0xf bound_ctrl:1
	v_cmp_eq_u32_e32 vcc, 1, v7
	s_and_saveexec_b64 s[2:3], vcc
; %bb.11:
	v_cmp_lt_i64_e32 vcc, v[2:3], v[4:5]
	v_cndmask_b32_e64 v6, v6, 1, s[0:1]
	s_and_b64 vcc, s[0:1], vcc
	v_cndmask_b32_e32 v2, v4, v2, vcc
	v_and_b32_e32 v4, 1, v6
	v_cndmask_b32_e32 v3, v5, v3, vcc
	v_cmp_eq_u32_e32 vcc, 1, v4
	s_andn2_b64 s[0:1], s[0:1], exec
	s_and_b64 s[4:5], vcc, exec
	v_and_b32_e32 v1, 0xff, v6
	s_or_b64 s[0:1], s[0:1], s[4:5]
; %bb.12:
	s_or_b64 exec, exec, s[2:3]
	v_mov_b32_dpp v6, v1 row_bcast:15 row_mask:0xf bank_mask:0xf bound_ctrl:1
	v_and_b32_e32 v7, 1, v6
	v_mov_b32_dpp v4, v2 row_bcast:15 row_mask:0xf bank_mask:0xf bound_ctrl:1
	v_mov_b32_dpp v5, v3 row_bcast:15 row_mask:0xf bank_mask:0xf bound_ctrl:1
	v_cmp_eq_u32_e32 vcc, 1, v7
	s_and_saveexec_b64 s[2:3], vcc
; %bb.13:
	v_cmp_lt_i64_e32 vcc, v[2:3], v[4:5]
	v_cndmask_b32_e64 v6, v6, 1, s[0:1]
	s_and_b64 vcc, s[0:1], vcc
	v_cndmask_b32_e32 v2, v4, v2, vcc
	v_and_b32_e32 v4, 1, v6
	v_cndmask_b32_e32 v3, v5, v3, vcc
	v_cmp_eq_u32_e32 vcc, 1, v4
	s_andn2_b64 s[0:1], s[0:1], exec
	s_and_b64 s[4:5], vcc, exec
	v_and_b32_e32 v1, 0xff, v6
	s_or_b64 s[0:1], s[0:1], s[4:5]
; %bb.14:
	s_or_b64 exec, exec, s[2:3]
	v_mov_b32_dpp v6, v1 row_bcast:31 row_mask:0xf bank_mask:0xf bound_ctrl:1
	v_and_b32_e32 v7, 1, v6
	v_mov_b32_dpp v4, v2 row_bcast:31 row_mask:0xf bank_mask:0xf bound_ctrl:1
	v_mov_b32_dpp v5, v3 row_bcast:31 row_mask:0xf bank_mask:0xf bound_ctrl:1
	v_cmp_eq_u32_e32 vcc, 1, v7
	s_and_saveexec_b64 s[2:3], vcc
; %bb.15:
	v_cmp_lt_i64_e32 vcc, v[2:3], v[4:5]
	v_and_b32_e32 v1, 0xff, v6
	s_and_b64 vcc, s[0:1], vcc
	v_cndmask_b32_e32 v2, v4, v2, vcc
	v_cndmask_b32_e32 v3, v5, v3, vcc
	v_cndmask_b32_e64 v1, v1, 1, s[0:1]
; %bb.16:
	s_or_b64 exec, exec, s[2:3]
	v_mbcnt_lo_u32_b32 v4, -1, 0
	v_mbcnt_hi_u32_b32 v4, -1, v4
	v_bfrev_b32_e32 v5, 0.5
	v_lshl_or_b32 v5, v4, 2, v5
	ds_bpermute_b32 v7, v5, v1
	ds_bpermute_b32 v2, v5, v2
	;; [unrolled: 1-line block ×3, first 2 shown]
	v_cmp_eq_u32_e32 vcc, 0, v4
	s_and_saveexec_b64 s[0:1], vcc
	s_cbranch_execz .LBB1251_18
; %bb.17:
	v_lshrrev_b32_e32 v1, 2, v0
	v_and_b32_e32 v1, 48, v1
	s_waitcnt lgkmcnt(2)
	ds_write_b8 v1, v7 offset:192
	s_waitcnt lgkmcnt(1)
	ds_write_b64 v1, v[2:3] offset:200
.LBB1251_18:
	s_or_b64 exec, exec, s[0:1]
	v_cmp_gt_u32_e32 vcc, 64, v0
	s_waitcnt lgkmcnt(0)
	s_barrier
	s_and_saveexec_b64 s[2:3], vcc
	s_cbranch_execz .LBB1251_20
; %bb.19:
	v_and_b32_e32 v1, 3, v4
	v_lshlrev_b32_e32 v2, 4, v1
	ds_read_u8 v5, v2 offset:192
	ds_read_b64 v[2:3], v2 offset:200
	v_cmp_ne_u32_e32 vcc, 3, v1
	v_addc_co_u32_e32 v6, vcc, 0, v4, vcc
	s_waitcnt lgkmcnt(1)
	v_and_b32_e32 v7, 0xff, v5
	v_lshlrev_b32_e32 v8, 2, v6
	ds_bpermute_b32 v9, v8, v7
	s_waitcnt lgkmcnt(1)
	ds_bpermute_b32 v6, v8, v2
	ds_bpermute_b32 v7, v8, v3
	v_and_b32_e32 v8, 1, v5
	s_waitcnt lgkmcnt(2)
	v_and_b32_e32 v10, 1, v9
	v_cmp_eq_u32_e64 s[0:1], 1, v10
	s_waitcnt lgkmcnt(0)
	v_cmp_lt_i64_e32 vcc, v[6:7], v[2:3]
	s_and_b64 vcc, s[0:1], vcc
	v_cndmask_b32_e64 v5, v5, 1, s[0:1]
	v_cndmask_b32_e32 v2, v2, v6, vcc
	v_cndmask_b32_e32 v3, v3, v7, vcc
	v_cmp_eq_u32_e32 vcc, 1, v8
	v_cndmask_b32_e32 v8, v9, v5, vcc
	v_cndmask_b32_e32 v3, v7, v3, vcc
	;; [unrolled: 1-line block ×3, first 2 shown]
	v_cmp_gt_u32_e32 vcc, 2, v1
	v_cndmask_b32_e64 v1, 0, 1, vcc
	v_lshlrev_b32_e32 v1, 1, v1
	v_and_b32_e32 v5, 0xff, v8
	v_add_lshl_u32 v1, v1, v4, 2
	ds_bpermute_b32 v6, v1, v5
	ds_bpermute_b32 v4, v1, v2
	;; [unrolled: 1-line block ×3, first 2 shown]
	v_and_b32_e32 v1, 1, v8
	s_waitcnt lgkmcnt(2)
	v_and_b32_e32 v7, 1, v6
	v_cmp_eq_u32_e64 s[0:1], 1, v7
	s_waitcnt lgkmcnt(0)
	v_cmp_lt_i64_e32 vcc, v[4:5], v[2:3]
	s_and_b64 vcc, s[0:1], vcc
	v_cndmask_b32_e64 v7, v8, 1, s[0:1]
	v_cndmask_b32_e32 v2, v2, v4, vcc
	v_cndmask_b32_e32 v3, v3, v5, vcc
	v_cmp_eq_u32_e32 vcc, 1, v1
	v_cndmask_b32_e32 v1, v6, v7, vcc
	v_cndmask_b32_e32 v3, v5, v3, vcc
	;; [unrolled: 1-line block ×3, first 2 shown]
	v_and_b32_e32 v7, 0xff, v1
.LBB1251_20:
	s_or_b64 exec, exec, s[2:3]
	s_branch .LBB1251_89
.LBB1251_21:
	s_mov_b64 s[8:9], 0
                                        ; implicit-def: $vgpr4_vgpr5
                                        ; implicit-def: $vgpr1
	s_cbranch_execnz .LBB1251_133
	s_branch .LBB1251_208
.LBB1251_22:
	s_mov_b64 s[28:29], -1
.LBB1251_23:
	s_mov_b64 s[8:9], 0
                                        ; implicit-def: $vgpr4_vgpr5
                                        ; implicit-def: $vgpr1
	s_and_b64 vcc, exec, s[28:29]
	s_cbranch_vccz .LBB1251_94
.LBB1251_24:
	s_cmp_eq_u32 s34, 4
	s_cbranch_scc0 .LBB1251_43
; %bb.25:
	s_mov_b32 s7, 0
	s_lshl_b32 s10, s6, 10
	s_mov_b32 s11, s7
	s_lshr_b64 s[0:1], s[20:21], 10
	s_lshl_b64 s[2:3], s[10:11], 3
	s_add_u32 s4, s26, s2
	s_addc_u32 s5, s27, s3
	s_add_u32 s12, s18, s10
	s_addc_u32 s13, s19, 0
	s_cmp_lg_u64 s[0:1], s[6:7]
	s_cbranch_scc0 .LBB1251_95
; %bb.26:
	v_lshlrev_b32_e32 v1, 3, v0
	v_mov_b32_e32 v2, s5
	s_waitcnt lgkmcnt(2)
	v_add_co_u32_e32 v6, vcc, s4, v1
	v_addc_co_u32_e32 v7, vcc, 0, v2, vcc
	global_load_dwordx2 v[2:3], v1, s[4:5]
	s_waitcnt lgkmcnt(0)
	global_load_dwordx2 v[4:5], v1, s[4:5] offset:2048
	v_add_co_u32_e32 v6, vcc, 0x1000, v6
	v_addc_co_u32_e32 v7, vcc, 0, v7, vcc
	global_load_dwordx2 v[8:9], v[6:7], off
	global_load_dwordx2 v[10:11], v[6:7], off offset:2048
	v_mov_b32_e32 v1, s13
	v_add_co_u32_e32 v13, vcc, s12, v0
	v_addc_co_u32_e32 v1, vcc, 0, v1, vcc
	v_mov_b32_e32 v6, 0x200
	v_mov_b32_e32 v7, 0x100
	;; [unrolled: 1-line block ×3, first 2 shown]
	s_waitcnt vmcnt(3)
	v_cmp_eq_u64_e64 s[0:1], s[16:17], v[2:3]
	s_waitcnt vmcnt(2)
	v_cmp_eq_u64_e32 vcc, s[16:17], v[4:5]
	v_cndmask_b32_e32 v4, v6, v7, vcc
	s_or_b64 s[2:3], s[0:1], vcc
	v_cndmask_b32_e64 v2, v4, 0, s[0:1]
	s_waitcnt vmcnt(1)
	v_cmp_eq_u64_e32 vcc, s[16:17], v[8:9]
	s_or_b64 vcc, s[2:3], vcc
	s_waitcnt vmcnt(0)
	v_cmp_eq_u64_e64 s[0:1], s[16:17], v[10:11]
	v_cndmask_b32_e32 v2, v12, v2, vcc
	v_add_co_u32_e64 v2, s[2:3], v13, v2
	s_or_b64 s[0:1], vcc, s[0:1]
	v_addc_co_u32_e64 v3, s[2:3], 0, v1, s[2:3]
	v_cndmask_b32_e64 v1, 0, 1, s[0:1]
	v_mov_b32_dpp v4, v2 quad_perm:[1,0,3,2] row_mask:0xf bank_mask:0xf bound_ctrl:1
	v_mov_b32_dpp v5, v3 quad_perm:[1,0,3,2] row_mask:0xf bank_mask:0xf bound_ctrl:1
	v_mov_b32_dpp v6, v1 quad_perm:[1,0,3,2] row_mask:0xf bank_mask:0xf bound_ctrl:1
	v_and_b32_e32 v7, 1, v6
	v_cmp_eq_u32_e32 vcc, 1, v7
	s_and_saveexec_b64 s[2:3], vcc
; %bb.27:
	v_cmp_lt_i64_e32 vcc, v[2:3], v[4:5]
	v_cndmask_b32_e64 v6, v6, 1, s[0:1]
	s_and_b64 vcc, s[0:1], vcc
	v_cndmask_b32_e32 v2, v4, v2, vcc
	v_and_b32_e32 v4, 1, v6
	v_cndmask_b32_e32 v3, v5, v3, vcc
	v_cmp_eq_u32_e32 vcc, 1, v4
	s_andn2_b64 s[0:1], s[0:1], exec
	s_and_b64 s[14:15], vcc, exec
	v_and_b32_e32 v1, 0xff, v6
	s_or_b64 s[0:1], s[0:1], s[14:15]
; %bb.28:
	s_or_b64 exec, exec, s[2:3]
	v_mov_b32_dpp v6, v1 quad_perm:[2,3,0,1] row_mask:0xf bank_mask:0xf bound_ctrl:1
	v_and_b32_e32 v7, 1, v6
	v_mov_b32_dpp v4, v2 quad_perm:[2,3,0,1] row_mask:0xf bank_mask:0xf bound_ctrl:1
	v_mov_b32_dpp v5, v3 quad_perm:[2,3,0,1] row_mask:0xf bank_mask:0xf bound_ctrl:1
	v_cmp_eq_u32_e32 vcc, 1, v7
	s_and_saveexec_b64 s[2:3], vcc
; %bb.29:
	v_cmp_lt_i64_e32 vcc, v[2:3], v[4:5]
	v_cndmask_b32_e64 v6, v6, 1, s[0:1]
	s_and_b64 vcc, s[0:1], vcc
	v_cndmask_b32_e32 v2, v4, v2, vcc
	v_and_b32_e32 v4, 1, v6
	v_cndmask_b32_e32 v3, v5, v3, vcc
	v_cmp_eq_u32_e32 vcc, 1, v4
	s_andn2_b64 s[0:1], s[0:1], exec
	s_and_b64 s[14:15], vcc, exec
	v_and_b32_e32 v1, 0xff, v6
	s_or_b64 s[0:1], s[0:1], s[14:15]
; %bb.30:
	s_or_b64 exec, exec, s[2:3]
	v_mov_b32_dpp v6, v1 row_ror:4 row_mask:0xf bank_mask:0xf bound_ctrl:1
	v_and_b32_e32 v7, 1, v6
	v_mov_b32_dpp v4, v2 row_ror:4 row_mask:0xf bank_mask:0xf bound_ctrl:1
	v_mov_b32_dpp v5, v3 row_ror:4 row_mask:0xf bank_mask:0xf bound_ctrl:1
	v_cmp_eq_u32_e32 vcc, 1, v7
	s_and_saveexec_b64 s[2:3], vcc
; %bb.31:
	v_cmp_lt_i64_e32 vcc, v[2:3], v[4:5]
	v_cndmask_b32_e64 v6, v6, 1, s[0:1]
	s_and_b64 vcc, s[0:1], vcc
	v_cndmask_b32_e32 v2, v4, v2, vcc
	v_and_b32_e32 v4, 1, v6
	v_cndmask_b32_e32 v3, v5, v3, vcc
	v_cmp_eq_u32_e32 vcc, 1, v4
	s_andn2_b64 s[0:1], s[0:1], exec
	s_and_b64 s[14:15], vcc, exec
	v_and_b32_e32 v1, 0xff, v6
	s_or_b64 s[0:1], s[0:1], s[14:15]
; %bb.32:
	s_or_b64 exec, exec, s[2:3]
	v_mov_b32_dpp v6, v1 row_ror:8 row_mask:0xf bank_mask:0xf bound_ctrl:1
	v_and_b32_e32 v7, 1, v6
	v_mov_b32_dpp v4, v2 row_ror:8 row_mask:0xf bank_mask:0xf bound_ctrl:1
	v_mov_b32_dpp v5, v3 row_ror:8 row_mask:0xf bank_mask:0xf bound_ctrl:1
	v_cmp_eq_u32_e32 vcc, 1, v7
	s_and_saveexec_b64 s[2:3], vcc
; %bb.33:
	v_cmp_lt_i64_e32 vcc, v[2:3], v[4:5]
	v_cndmask_b32_e64 v6, v6, 1, s[0:1]
	s_and_b64 vcc, s[0:1], vcc
	v_cndmask_b32_e32 v2, v4, v2, vcc
	v_and_b32_e32 v4, 1, v6
	v_cndmask_b32_e32 v3, v5, v3, vcc
	v_cmp_eq_u32_e32 vcc, 1, v4
	s_andn2_b64 s[0:1], s[0:1], exec
	s_and_b64 s[14:15], vcc, exec
	v_and_b32_e32 v1, 0xff, v6
	s_or_b64 s[0:1], s[0:1], s[14:15]
; %bb.34:
	s_or_b64 exec, exec, s[2:3]
	v_mov_b32_dpp v6, v1 row_bcast:15 row_mask:0xf bank_mask:0xf bound_ctrl:1
	v_and_b32_e32 v7, 1, v6
	v_mov_b32_dpp v4, v2 row_bcast:15 row_mask:0xf bank_mask:0xf bound_ctrl:1
	v_mov_b32_dpp v5, v3 row_bcast:15 row_mask:0xf bank_mask:0xf bound_ctrl:1
	v_cmp_eq_u32_e32 vcc, 1, v7
	s_and_saveexec_b64 s[2:3], vcc
; %bb.35:
	v_cmp_lt_i64_e32 vcc, v[2:3], v[4:5]
	v_cndmask_b32_e64 v6, v6, 1, s[0:1]
	s_and_b64 vcc, s[0:1], vcc
	v_cndmask_b32_e32 v2, v4, v2, vcc
	v_and_b32_e32 v4, 1, v6
	v_cndmask_b32_e32 v3, v5, v3, vcc
	v_cmp_eq_u32_e32 vcc, 1, v4
	s_andn2_b64 s[0:1], s[0:1], exec
	s_and_b64 s[14:15], vcc, exec
	v_and_b32_e32 v1, 0xff, v6
	s_or_b64 s[0:1], s[0:1], s[14:15]
; %bb.36:
	s_or_b64 exec, exec, s[2:3]
	v_mov_b32_dpp v6, v1 row_bcast:31 row_mask:0xf bank_mask:0xf bound_ctrl:1
	v_and_b32_e32 v7, 1, v6
	v_mov_b32_dpp v4, v2 row_bcast:31 row_mask:0xf bank_mask:0xf bound_ctrl:1
	v_mov_b32_dpp v5, v3 row_bcast:31 row_mask:0xf bank_mask:0xf bound_ctrl:1
	v_cmp_eq_u32_e32 vcc, 1, v7
	s_and_saveexec_b64 s[2:3], vcc
; %bb.37:
	v_cmp_lt_i64_e32 vcc, v[2:3], v[4:5]
	v_and_b32_e32 v1, 0xff, v6
	s_and_b64 vcc, s[0:1], vcc
	v_cndmask_b32_e32 v2, v4, v2, vcc
	v_cndmask_b32_e32 v3, v5, v3, vcc
	v_cndmask_b32_e64 v1, v1, 1, s[0:1]
; %bb.38:
	s_or_b64 exec, exec, s[2:3]
	v_mbcnt_lo_u32_b32 v4, -1, 0
	v_mbcnt_hi_u32_b32 v4, -1, v4
	v_bfrev_b32_e32 v5, 0.5
	v_lshl_or_b32 v5, v4, 2, v5
	ds_bpermute_b32 v6, v5, v1
	ds_bpermute_b32 v2, v5, v2
	;; [unrolled: 1-line block ×3, first 2 shown]
	v_cmp_eq_u32_e32 vcc, 0, v4
	s_and_saveexec_b64 s[0:1], vcc
	s_cbranch_execz .LBB1251_40
; %bb.39:
	v_lshrrev_b32_e32 v1, 2, v0
	v_and_b32_e32 v1, 48, v1
	s_waitcnt lgkmcnt(2)
	ds_write_b8 v1, v6 offset:128
	s_waitcnt lgkmcnt(1)
	ds_write_b64 v1, v[2:3] offset:136
.LBB1251_40:
	s_or_b64 exec, exec, s[0:1]
	v_cmp_gt_u32_e32 vcc, 64, v0
	s_waitcnt lgkmcnt(0)
	s_barrier
	s_and_saveexec_b64 s[2:3], vcc
	s_cbranch_execz .LBB1251_42
; %bb.41:
	v_and_b32_e32 v1, 3, v4
	v_lshlrev_b32_e32 v2, 4, v1
	ds_read_u8 v5, v2 offset:128
	ds_read_b64 v[2:3], v2 offset:136
	v_cmp_ne_u32_e32 vcc, 3, v1
	v_addc_co_u32_e32 v6, vcc, 0, v4, vcc
	s_waitcnt lgkmcnt(1)
	v_and_b32_e32 v7, 0xff, v5
	v_lshlrev_b32_e32 v8, 2, v6
	ds_bpermute_b32 v9, v8, v7
	s_waitcnt lgkmcnt(1)
	ds_bpermute_b32 v6, v8, v2
	ds_bpermute_b32 v7, v8, v3
	v_and_b32_e32 v8, 1, v5
	s_waitcnt lgkmcnt(2)
	v_and_b32_e32 v10, 1, v9
	v_cmp_eq_u32_e64 s[0:1], 1, v10
	s_waitcnt lgkmcnt(0)
	v_cmp_lt_i64_e32 vcc, v[6:7], v[2:3]
	s_and_b64 vcc, s[0:1], vcc
	v_cndmask_b32_e64 v5, v5, 1, s[0:1]
	v_cndmask_b32_e32 v2, v2, v6, vcc
	v_cndmask_b32_e32 v3, v3, v7, vcc
	v_cmp_eq_u32_e32 vcc, 1, v8
	v_cndmask_b32_e32 v8, v9, v5, vcc
	v_cndmask_b32_e32 v3, v7, v3, vcc
	;; [unrolled: 1-line block ×3, first 2 shown]
	v_cmp_gt_u32_e32 vcc, 2, v1
	v_cndmask_b32_e64 v1, 0, 1, vcc
	v_lshlrev_b32_e32 v1, 1, v1
	v_and_b32_e32 v5, 0xff, v8
	v_add_lshl_u32 v1, v1, v4, 2
	ds_bpermute_b32 v6, v1, v5
	ds_bpermute_b32 v4, v1, v2
	;; [unrolled: 1-line block ×3, first 2 shown]
	v_and_b32_e32 v1, 1, v8
	s_waitcnt lgkmcnt(2)
	v_and_b32_e32 v7, 1, v6
	v_cmp_eq_u32_e64 s[0:1], 1, v7
	s_waitcnt lgkmcnt(0)
	v_cmp_lt_i64_e32 vcc, v[4:5], v[2:3]
	s_and_b64 vcc, s[0:1], vcc
	v_cndmask_b32_e64 v7, v8, 1, s[0:1]
	v_cndmask_b32_e32 v2, v2, v4, vcc
	v_cndmask_b32_e32 v3, v3, v5, vcc
	v_cmp_eq_u32_e32 vcc, 1, v1
	v_cndmask_b32_e32 v1, v6, v7, vcc
	v_cndmask_b32_e32 v3, v5, v3, vcc
	;; [unrolled: 1-line block ×3, first 2 shown]
	v_and_b32_e32 v6, 0xff, v1
.LBB1251_42:
	s_or_b64 exec, exec, s[2:3]
	s_branch .LBB1251_128
.LBB1251_43:
                                        ; implicit-def: $vgpr4_vgpr5
                                        ; implicit-def: $vgpr1
	s_branch .LBB1251_208
.LBB1251_44:
                                        ; implicit-def: $vgpr2_vgpr3
                                        ; implicit-def: $vgpr7
	s_cbranch_execz .LBB1251_89
; %bb.45:
	s_sub_i32 s37, s20, s12
	v_pk_mov_b32 v[10:11], 0, 0
	v_cmp_gt_u32_e32 vcc, s37, v0
	v_mov_b32_e32 v21, 0
	v_pk_mov_b32 v[2:3], v[10:11], v[10:11] op_sel:[0,1]
	v_mov_b32_e32 v1, 0
	s_and_saveexec_b64 s[0:1], vcc
	s_cbranch_execz .LBB1251_47
; %bb.46:
	v_lshlrev_b32_e32 v1, 3, v0
	global_load_dwordx2 v[4:5], v1, s[14:15]
	v_mov_b32_e32 v1, s36
	v_add_co_u32_e32 v2, vcc, s35, v0
	v_addc_co_u32_e32 v3, vcc, 0, v1, vcc
	s_waitcnt vmcnt(0)
	v_cmp_eq_u64_e32 vcc, s[16:17], v[4:5]
	v_cndmask_b32_e64 v1, 0, 1, vcc
.LBB1251_47:
	s_or_b64 exec, exec, s[0:1]
	v_or_b32_e32 v4, 0x100, v0
	v_cmp_gt_u32_e64 s[12:13], s37, v4
	s_and_saveexec_b64 s[0:1], s[12:13]
	s_cbranch_execz .LBB1251_49
; %bb.48:
	v_lshlrev_b32_e32 v5, 3, v0
	global_load_dwordx2 v[6:7], v5, s[14:15] offset:2048
	v_mov_b32_e32 v5, s36
	v_add_co_u32_e32 v10, vcc, s35, v4
	v_addc_co_u32_e32 v11, vcc, 0, v5, vcc
	s_waitcnt vmcnt(0)
	v_cmp_eq_u64_e32 vcc, s[16:17], v[6:7]
	v_cndmask_b32_e64 v21, 0, 1, vcc
.LBB1251_49:
	s_or_b64 exec, exec, s[0:1]
	v_or_b32_e32 v4, 0x200, v0
	v_pk_mov_b32 v[8:9], 0, 0
	v_cmp_gt_u32_e64 s[10:11], s37, v4
	v_mov_b32_e32 v20, 0
	v_pk_mov_b32 v[16:17], v[8:9], v[8:9] op_sel:[0,1]
	v_mov_b32_e32 v24, 0
	s_and_saveexec_b64 s[0:1], s[10:11]
	s_cbranch_execz .LBB1251_51
; %bb.50:
	v_lshlrev_b32_e32 v5, 3, v4
	global_load_dwordx2 v[6:7], v5, s[14:15]
	v_mov_b32_e32 v5, s36
	v_add_co_u32_e32 v16, vcc, s35, v4
	v_addc_co_u32_e32 v17, vcc, 0, v5, vcc
	s_waitcnt vmcnt(0)
	v_cmp_eq_u64_e32 vcc, s[16:17], v[6:7]
	v_cndmask_b32_e64 v24, 0, 1, vcc
.LBB1251_51:
	s_or_b64 exec, exec, s[0:1]
	v_or_b32_e32 v4, 0x300, v0
	v_cmp_gt_u32_e64 s[8:9], s37, v4
	s_and_saveexec_b64 s[0:1], s[8:9]
	s_cbranch_execz .LBB1251_53
; %bb.52:
	v_lshlrev_b32_e32 v5, 3, v4
	global_load_dwordx2 v[6:7], v5, s[14:15]
	v_mov_b32_e32 v5, s36
	v_add_co_u32_e32 v8, vcc, s35, v4
	v_addc_co_u32_e32 v9, vcc, 0, v5, vcc
	s_waitcnt vmcnt(0)
	v_cmp_eq_u64_e32 vcc, s[16:17], v[6:7]
	v_cndmask_b32_e64 v20, 0, 1, vcc
.LBB1251_53:
	s_or_b64 exec, exec, s[0:1]
	v_or_b32_e32 v4, 0x400, v0
	v_pk_mov_b32 v[6:7], 0, 0
	v_cmp_gt_u32_e64 s[4:5], s37, v4
	v_mov_b32_e32 v19, 0
	v_pk_mov_b32 v[14:15], v[6:7], v[6:7] op_sel:[0,1]
	v_mov_b32_e32 v23, 0
	s_and_saveexec_b64 s[0:1], s[4:5]
	s_cbranch_execz .LBB1251_55
; %bb.54:
	v_lshlrev_b32_e32 v5, 3, v4
	global_load_dwordx2 v[12:13], v5, s[14:15]
	v_mov_b32_e32 v5, s36
	v_add_co_u32_e32 v14, vcc, s35, v4
	v_addc_co_u32_e32 v15, vcc, 0, v5, vcc
	s_waitcnt vmcnt(0)
	v_cmp_eq_u64_e32 vcc, s[16:17], v[12:13]
	v_cndmask_b32_e64 v23, 0, 1, vcc
.LBB1251_55:
	s_or_b64 exec, exec, s[0:1]
	v_or_b32_e32 v4, 0x500, v0
	v_cmp_gt_u32_e64 s[2:3], s37, v4
	s_and_saveexec_b64 s[0:1], s[2:3]
	s_cbranch_execz .LBB1251_57
; %bb.56:
	v_lshlrev_b32_e32 v5, 3, v4
	global_load_dwordx2 v[12:13], v5, s[14:15]
	v_mov_b32_e32 v5, s36
	v_add_co_u32_e32 v6, vcc, s35, v4
	v_addc_co_u32_e32 v7, vcc, 0, v5, vcc
	s_waitcnt vmcnt(0)
	v_cmp_eq_u64_e32 vcc, s[16:17], v[12:13]
	v_cndmask_b32_e64 v19, 0, 1, vcc
.LBB1251_57:
	s_or_b64 exec, exec, s[0:1]
	v_or_b32_e32 v25, 0x600, v0
	v_pk_mov_b32 v[4:5], 0, 0
	v_cmp_gt_u32_e64 s[0:1], s37, v25
	v_mov_b32_e32 v18, 0
	v_mov_b32_e32 v22, 0
	v_pk_mov_b32 v[12:13], v[4:5], v[4:5] op_sel:[0,1]
	s_and_saveexec_b64 s[30:31], s[0:1]
	s_cbranch_execz .LBB1251_59
; %bb.58:
	v_lshlrev_b32_e32 v12, 3, v25
	global_load_dwordx2 v[26:27], v12, s[14:15]
	v_mov_b32_e32 v13, s36
	v_add_co_u32_e32 v12, vcc, s35, v25
	v_addc_co_u32_e32 v13, vcc, 0, v13, vcc
	s_waitcnt vmcnt(0)
	v_cmp_eq_u64_e32 vcc, s[16:17], v[26:27]
	v_cndmask_b32_e64 v22, 0, 1, vcc
.LBB1251_59:
	s_or_b64 exec, exec, s[30:31]
	v_or_b32_e32 v25, 0x700, v0
	v_cmp_gt_u32_e32 vcc, s37, v25
	s_and_saveexec_b64 s[30:31], vcc
	s_cbranch_execnz .LBB1251_240
; %bb.60:
	s_or_b64 exec, exec, s[30:31]
	s_and_saveexec_b64 s[30:31], s[12:13]
	s_cbranch_execnz .LBB1251_241
.LBB1251_61:
	s_or_b64 exec, exec, s[30:31]
	s_and_saveexec_b64 s[14:15], s[10:11]
	s_cbranch_execnz .LBB1251_242
.LBB1251_62:
	s_or_b64 exec, exec, s[14:15]
	s_and_saveexec_b64 s[12:13], s[8:9]
	s_cbranch_execnz .LBB1251_243
.LBB1251_63:
	s_or_b64 exec, exec, s[12:13]
	s_and_saveexec_b64 s[10:11], s[4:5]
	s_cbranch_execnz .LBB1251_244
.LBB1251_64:
	s_or_b64 exec, exec, s[10:11]
	s_and_saveexec_b64 s[8:9], s[2:3]
	s_cbranch_execnz .LBB1251_245
.LBB1251_65:
	s_or_b64 exec, exec, s[8:9]
	s_and_saveexec_b64 s[4:5], s[0:1]
	s_cbranch_execnz .LBB1251_246
.LBB1251_66:
	s_or_b64 exec, exec, s[4:5]
	s_and_saveexec_b64 s[2:3], vcc
	s_cbranch_execz .LBB1251_68
.LBB1251_67:
	v_and_b32_e32 v7, 1, v18
	v_cmp_lt_i64_e32 vcc, v[4:5], v[2:3]
	v_cmp_eq_u32_e64 s[0:1], 1, v7
	v_and_b32_e32 v6, 1, v1
	s_and_b64 vcc, s[0:1], vcc
	v_cndmask_b32_e64 v1, v1, 1, s[0:1]
	v_cndmask_b32_e32 v2, v2, v4, vcc
	v_cndmask_b32_e32 v3, v3, v5, vcc
	v_cmp_eq_u32_e32 vcc, 1, v6
	v_cndmask_b32_e32 v1, v18, v1, vcc
	v_cndmask_b32_e32 v3, v5, v3, vcc
	;; [unrolled: 1-line block ×3, first 2 shown]
.LBB1251_68:
	s_or_b64 exec, exec, s[2:3]
	v_mbcnt_lo_u32_b32 v4, -1, 0
	v_mbcnt_hi_u32_b32 v6, -1, v4
	v_and_b32_e32 v8, 63, v6
	v_cmp_ne_u32_e32 vcc, 63, v8
	v_addc_co_u32_e32 v4, vcc, 0, v6, vcc
	v_and_b32_e32 v7, 0xffff, v1
	v_lshlrev_b32_e32 v5, 2, v4
	ds_bpermute_b32 v11, v5, v7
	ds_bpermute_b32 v4, v5, v2
	;; [unrolled: 1-line block ×3, first 2 shown]
	s_min_u32 s4, s37, 0x100
	v_and_b32_e32 v9, 0xc0, v0
	v_sub_u32_e64 v10, s4, v9 clamp
	v_add_u32_e32 v9, 1, v8
	v_cmp_lt_u32_e32 vcc, v9, v10
	v_mov_b32_e32 v9, v7
	s_and_saveexec_b64 s[0:1], vcc
	s_xor_b64 s[2:3], exec, s[0:1]
	s_cbranch_execz .LBB1251_70
; %bb.69:
	s_waitcnt lgkmcnt(2)
	v_and_b32_e32 v9, 1, v11
	s_waitcnt lgkmcnt(0)
	v_cmp_lt_i64_e32 vcc, v[4:5], v[2:3]
	v_cmp_eq_u32_e64 s[0:1], 1, v9
	v_and_b32_e32 v1, 1, v1
	s_and_b64 vcc, s[0:1], vcc
	v_cndmask_b32_e64 v7, v7, 1, s[0:1]
	v_cndmask_b32_e32 v2, v2, v4, vcc
	v_cndmask_b32_e32 v3, v3, v5, vcc
	v_cmp_eq_u32_e32 vcc, 1, v1
	v_cndmask_b32_e32 v9, v11, v7, vcc
	v_cndmask_b32_e32 v3, v5, v3, vcc
	;; [unrolled: 1-line block ×3, first 2 shown]
	v_and_b32_e32 v7, 0xff, v9
.LBB1251_70:
	s_or_b64 exec, exec, s[2:3]
	v_cmp_gt_u32_e32 vcc, 62, v8
	v_cndmask_b32_e64 v1, 0, 1, vcc
	v_lshlrev_b32_e32 v1, 1, v1
	s_waitcnt lgkmcnt(0)
	v_add_lshl_u32 v5, v1, v6, 2
	ds_bpermute_b32 v1, v5, v7
	ds_bpermute_b32 v4, v5, v2
	ds_bpermute_b32 v5, v5, v3
	v_add_u32_e32 v11, 2, v8
	v_cmp_lt_u32_e32 vcc, v11, v10
	s_and_saveexec_b64 s[2:3], vcc
	s_cbranch_execz .LBB1251_72
; %bb.71:
	s_waitcnt lgkmcnt(2)
	v_and_b32_e32 v11, 1, v1
	s_waitcnt lgkmcnt(0)
	v_cmp_lt_i64_e32 vcc, v[4:5], v[2:3]
	v_cmp_eq_u32_e64 s[0:1], 1, v11
	v_and_b32_e32 v7, 1, v9
	s_and_b64 vcc, s[0:1], vcc
	v_cndmask_b32_e64 v9, v9, 1, s[0:1]
	v_cndmask_b32_e32 v2, v2, v4, vcc
	v_cndmask_b32_e32 v3, v3, v5, vcc
	v_cmp_eq_u32_e32 vcc, 1, v7
	v_cndmask_b32_e32 v9, v1, v9, vcc
	v_cndmask_b32_e32 v3, v5, v3, vcc
	v_cndmask_b32_e32 v2, v4, v2, vcc
	v_and_b32_e32 v7, 0xff, v9
.LBB1251_72:
	s_or_b64 exec, exec, s[2:3]
	v_cmp_gt_u32_e32 vcc, 60, v8
	s_waitcnt lgkmcnt(2)
	v_cndmask_b32_e64 v1, 0, 1, vcc
	v_lshlrev_b32_e32 v1, 2, v1
	s_waitcnt lgkmcnt(0)
	v_add_lshl_u32 v5, v1, v6, 2
	ds_bpermute_b32 v1, v5, v7
	ds_bpermute_b32 v4, v5, v2
	ds_bpermute_b32 v5, v5, v3
	v_add_u32_e32 v11, 4, v8
	v_cmp_lt_u32_e32 vcc, v11, v10
	s_and_saveexec_b64 s[2:3], vcc
	s_cbranch_execz .LBB1251_74
; %bb.73:
	s_waitcnt lgkmcnt(2)
	v_and_b32_e32 v11, 1, v1
	s_waitcnt lgkmcnt(0)
	v_cmp_lt_i64_e32 vcc, v[4:5], v[2:3]
	v_cmp_eq_u32_e64 s[0:1], 1, v11
	v_and_b32_e32 v7, 1, v9
	s_and_b64 vcc, s[0:1], vcc
	v_cndmask_b32_e64 v9, v9, 1, s[0:1]
	v_cndmask_b32_e32 v2, v2, v4, vcc
	v_cndmask_b32_e32 v3, v3, v5, vcc
	v_cmp_eq_u32_e32 vcc, 1, v7
	v_cndmask_b32_e32 v9, v1, v9, vcc
	v_cndmask_b32_e32 v3, v5, v3, vcc
	v_cndmask_b32_e32 v2, v4, v2, vcc
	v_and_b32_e32 v7, 0xff, v9
.LBB1251_74:
	s_or_b64 exec, exec, s[2:3]
	v_cmp_gt_u32_e32 vcc, 56, v8
	s_waitcnt lgkmcnt(2)
	;; [unrolled: 31-line block ×4, first 2 shown]
	v_cndmask_b32_e64 v1, 0, 1, vcc
	v_lshlrev_b32_e32 v1, 5, v1
	s_waitcnt lgkmcnt(0)
	v_add_lshl_u32 v5, v1, v6, 2
	ds_bpermute_b32 v1, v5, v7
	ds_bpermute_b32 v4, v5, v2
	;; [unrolled: 1-line block ×3, first 2 shown]
	v_add_u32_e32 v8, 32, v8
	v_cmp_lt_u32_e32 vcc, v8, v10
	s_and_saveexec_b64 s[2:3], vcc
	s_cbranch_execz .LBB1251_80
; %bb.79:
	s_waitcnt lgkmcnt(2)
	v_and_b32_e32 v8, 1, v1
	s_waitcnt lgkmcnt(0)
	v_cmp_lt_i64_e32 vcc, v[4:5], v[2:3]
	v_cmp_eq_u32_e64 s[0:1], 1, v8
	v_and_b32_e32 v7, 1, v9
	s_and_b64 vcc, s[0:1], vcc
	v_cndmask_b32_e64 v8, v9, 1, s[0:1]
	v_cndmask_b32_e32 v2, v2, v4, vcc
	v_cndmask_b32_e32 v3, v3, v5, vcc
	v_cmp_eq_u32_e32 vcc, 1, v7
	v_cndmask_b32_e32 v9, v1, v8, vcc
	v_cndmask_b32_e32 v3, v5, v3, vcc
	;; [unrolled: 1-line block ×3, first 2 shown]
	v_and_b32_e32 v7, 0xff, v9
.LBB1251_80:
	s_or_b64 exec, exec, s[2:3]
	v_cmp_eq_u32_e32 vcc, 0, v6
	s_and_saveexec_b64 s[0:1], vcc
	s_cbranch_execz .LBB1251_82
; %bb.81:
	s_waitcnt lgkmcnt(2)
	v_lshrrev_b32_e32 v1, 2, v0
	v_and_b32_e32 v1, 48, v1
	ds_write_b8 v1, v9 offset:256
	ds_write_b64 v1, v[2:3] offset:264
.LBB1251_82:
	s_or_b64 exec, exec, s[0:1]
	v_cmp_gt_u32_e32 vcc, 4, v0
	s_waitcnt lgkmcnt(0)
	s_barrier
	s_and_saveexec_b64 s[2:3], vcc
	s_cbranch_execz .LBB1251_88
; %bb.83:
	v_lshlrev_b32_e32 v2, 4, v6
	ds_read_u8 v1, v2 offset:256
	ds_read_b64 v[2:3], v2 offset:264
	v_and_b32_e32 v8, 3, v6
	v_cmp_ne_u32_e32 vcc, 3, v8
	v_addc_co_u32_e32 v4, vcc, 0, v6, vcc
	s_waitcnt lgkmcnt(1)
	v_and_b32_e32 v7, 0xff, v1
	v_lshlrev_b32_e32 v5, 2, v4
	ds_bpermute_b32 v9, v5, v7
	s_waitcnt lgkmcnt(1)
	ds_bpermute_b32 v4, v5, v2
	ds_bpermute_b32 v5, v5, v3
	s_add_i32 s4, s4, 63
	s_lshr_b32 s8, s4, 6
	v_add_u32_e32 v10, 1, v8
	v_cmp_gt_u32_e32 vcc, s8, v10
	s_and_saveexec_b64 s[4:5], vcc
	s_cbranch_execz .LBB1251_85
; %bb.84:
	s_waitcnt lgkmcnt(2)
	v_and_b32_e32 v10, 1, v9
	s_waitcnt lgkmcnt(0)
	v_cmp_lt_i64_e32 vcc, v[4:5], v[2:3]
	v_cmp_eq_u32_e64 s[0:1], 1, v10
	v_and_b32_e32 v7, 1, v1
	s_and_b64 vcc, s[0:1], vcc
	v_cndmask_b32_e64 v1, v1, 1, s[0:1]
	v_cndmask_b32_e32 v2, v2, v4, vcc
	v_cndmask_b32_e32 v3, v3, v5, vcc
	v_cmp_eq_u32_e32 vcc, 1, v7
	v_cndmask_b32_e32 v1, v9, v1, vcc
	v_cndmask_b32_e32 v3, v5, v3, vcc
	;; [unrolled: 1-line block ×3, first 2 shown]
	v_and_b32_e32 v7, 0xff, v1
.LBB1251_85:
	s_or_b64 exec, exec, s[4:5]
	v_cmp_gt_u32_e32 vcc, 2, v8
	s_waitcnt lgkmcnt(1)
	v_cndmask_b32_e64 v4, 0, 1, vcc
	v_lshlrev_b32_e32 v4, 1, v4
	s_waitcnt lgkmcnt(0)
	v_add_lshl_u32 v5, v4, v6, 2
	ds_bpermute_b32 v6, v5, v7
	ds_bpermute_b32 v4, v5, v2
	;; [unrolled: 1-line block ×3, first 2 shown]
	v_add_u32_e32 v8, 2, v8
	v_cmp_gt_u32_e32 vcc, s8, v8
	s_and_saveexec_b64 s[4:5], vcc
	s_cbranch_execz .LBB1251_87
; %bb.86:
	s_waitcnt lgkmcnt(2)
	v_and_b32_e32 v8, 1, v6
	s_waitcnt lgkmcnt(0)
	v_cmp_lt_i64_e32 vcc, v[4:5], v[2:3]
	v_cmp_eq_u32_e64 s[0:1], 1, v8
	v_and_b32_e32 v7, 1, v1
	s_and_b64 vcc, s[0:1], vcc
	v_cndmask_b32_e64 v1, v1, 1, s[0:1]
	v_cndmask_b32_e32 v2, v2, v4, vcc
	v_cndmask_b32_e32 v3, v3, v5, vcc
	v_cmp_eq_u32_e32 vcc, 1, v7
	v_cndmask_b32_e32 v1, v6, v1, vcc
	v_cndmask_b32_e32 v3, v5, v3, vcc
	;; [unrolled: 1-line block ×3, first 2 shown]
	v_and_b32_e32 v7, 0xff, v1
.LBB1251_87:
	s_or_b64 exec, exec, s[4:5]
.LBB1251_88:
	s_or_b64 exec, exec, s[2:3]
.LBB1251_89:
	v_cmp_eq_u32_e32 vcc, 0, v0
	s_mov_b64 s[8:9], 0
                                        ; implicit-def: $vgpr4_vgpr5
                                        ; implicit-def: $vgpr1
	s_and_saveexec_b64 s[0:1], vcc
	s_xor_b64 s[4:5], exec, s[0:1]
	s_cbranch_execz .LBB1251_93
; %bb.90:
	s_cmp_eq_u64 s[20:21], 0
	s_waitcnt lgkmcnt(0)
	v_pk_mov_b32 v[4:5], s[24:25], s[24:25] op_sel:[0,1]
	v_mov_b32_e32 v1, s33
	s_cbranch_scc1 .LBB1251_92
; %bb.91:
	v_and_b32_e32 v1, 1, v7
	s_bitcmp1_b32 s33, 0
	v_mov_b32_e32 v4, s33
	v_cmp_eq_u32_e32 vcc, 1, v1
	v_cmp_gt_i64_e64 s[2:3], s[24:25], v[2:3]
	v_cndmask_b32_e64 v1, v4, 1, vcc
	s_cselect_b64 s[0:1], -1, 0
	v_mov_b32_e32 v4, s24
	s_and_b64 vcc, vcc, s[2:3]
	v_mov_b32_e32 v5, s25
	v_cndmask_b32_e32 v4, v4, v2, vcc
	v_cndmask_b32_e32 v5, v5, v3, vcc
	v_cndmask_b32_e64 v1, v7, v1, s[0:1]
	v_cndmask_b32_e64 v5, v3, v5, s[0:1]
	;; [unrolled: 1-line block ×3, first 2 shown]
.LBB1251_92:
	s_mov_b64 s[8:9], exec
.LBB1251_93:
	s_or_b64 exec, exec, s[4:5]
	s_and_b64 vcc, exec, s[28:29]
	s_cbranch_vccnz .LBB1251_24
.LBB1251_94:
	s_branch .LBB1251_208
.LBB1251_95:
                                        ; implicit-def: $vgpr2_vgpr3
                                        ; implicit-def: $vgpr6
	s_cbranch_execz .LBB1251_128
; %bb.96:
	s_sub_i32 s14, s20, s10
	s_waitcnt lgkmcnt(2)
	v_pk_mov_b32 v[6:7], 0, 0
	v_cmp_gt_u32_e32 vcc, s14, v0
	v_mov_b32_e32 v11, 0
	v_pk_mov_b32 v[2:3], v[6:7], v[6:7] op_sel:[0,1]
	v_mov_b32_e32 v10, 0
	s_and_saveexec_b64 s[0:1], vcc
	s_cbranch_execz .LBB1251_98
; %bb.97:
	v_lshlrev_b32_e32 v1, 3, v0
	s_waitcnt lgkmcnt(0)
	global_load_dwordx2 v[4:5], v1, s[4:5]
	v_mov_b32_e32 v1, s13
	v_add_co_u32_e32 v2, vcc, s12, v0
	v_addc_co_u32_e32 v3, vcc, 0, v1, vcc
	s_waitcnt vmcnt(0)
	v_cmp_eq_u64_e32 vcc, s[16:17], v[4:5]
	v_cndmask_b32_e64 v10, 0, 1, vcc
.LBB1251_98:
	s_or_b64 exec, exec, s[0:1]
	v_or_b32_e32 v1, 0x100, v0
	v_cmp_gt_u32_e64 s[2:3], s14, v1
	s_and_saveexec_b64 s[0:1], s[2:3]
	s_cbranch_execz .LBB1251_100
; %bb.99:
	s_waitcnt lgkmcnt(1)
	v_lshlrev_b32_e32 v4, 3, v0
	s_waitcnt lgkmcnt(0)
	global_load_dwordx2 v[4:5], v4, s[4:5] offset:2048
	v_mov_b32_e32 v7, s13
	v_add_co_u32_e32 v6, vcc, s12, v1
	v_addc_co_u32_e32 v7, vcc, 0, v7, vcc
	s_waitcnt vmcnt(0)
	v_cmp_eq_u64_e32 vcc, s[16:17], v[4:5]
	v_cndmask_b32_e64 v11, 0, 1, vcc
.LBB1251_100:
	s_or_b64 exec, exec, s[0:1]
	v_or_b32_e32 v13, 0x200, v0
	s_waitcnt lgkmcnt(0)
	v_pk_mov_b32 v[4:5], 0, 0
	v_cmp_gt_u32_e64 s[0:1], s14, v13
	v_mov_b32_e32 v1, 0
	v_pk_mov_b32 v[8:9], v[4:5], v[4:5] op_sel:[0,1]
	v_mov_b32_e32 v12, 0
	s_and_saveexec_b64 s[10:11], s[0:1]
	s_cbranch_execz .LBB1251_102
; %bb.101:
	v_lshlrev_b32_e32 v8, 3, v13
	global_load_dwordx2 v[14:15], v8, s[4:5]
	v_mov_b32_e32 v9, s13
	v_add_co_u32_e32 v8, vcc, s12, v13
	v_addc_co_u32_e32 v9, vcc, 0, v9, vcc
	s_waitcnt vmcnt(0)
	v_cmp_eq_u64_e32 vcc, s[16:17], v[14:15]
	v_cndmask_b32_e64 v12, 0, 1, vcc
.LBB1251_102:
	s_or_b64 exec, exec, s[10:11]
	v_or_b32_e32 v13, 0x300, v0
	v_cmp_gt_u32_e32 vcc, s14, v13
	s_and_saveexec_b64 s[10:11], vcc
	s_cbranch_execnz .LBB1251_247
; %bb.103:
	s_or_b64 exec, exec, s[10:11]
	s_and_saveexec_b64 s[10:11], s[2:3]
	s_cbranch_execnz .LBB1251_248
.LBB1251_104:
	s_or_b64 exec, exec, s[10:11]
	s_and_saveexec_b64 s[4:5], s[0:1]
	s_cbranch_execnz .LBB1251_249
.LBB1251_105:
	s_or_b64 exec, exec, s[4:5]
	s_and_saveexec_b64 s[2:3], vcc
	s_cbranch_execz .LBB1251_107
.LBB1251_106:
	v_and_b32_e32 v7, 1, v1
	v_cmp_lt_i64_e32 vcc, v[4:5], v[2:3]
	v_cmp_eq_u32_e64 s[0:1], 1, v7
	v_and_b32_e32 v6, 1, v10
	s_and_b64 vcc, s[0:1], vcc
	v_cndmask_b32_e64 v7, v10, 1, s[0:1]
	v_cndmask_b32_e32 v2, v2, v4, vcc
	v_cndmask_b32_e32 v3, v3, v5, vcc
	v_cmp_eq_u32_e32 vcc, 1, v6
	v_cndmask_b32_e32 v10, v1, v7, vcc
	v_cndmask_b32_e32 v3, v5, v3, vcc
	;; [unrolled: 1-line block ×3, first 2 shown]
.LBB1251_107:
	s_or_b64 exec, exec, s[2:3]
	v_mbcnt_lo_u32_b32 v1, -1, 0
	v_mbcnt_hi_u32_b32 v1, -1, v1
	v_and_b32_e32 v7, 63, v1
	v_cmp_ne_u32_e32 vcc, 63, v7
	v_addc_co_u32_e32 v4, vcc, 0, v1, vcc
	v_and_b32_e32 v6, 0xffff, v10
	v_lshlrev_b32_e32 v5, 2, v4
	ds_bpermute_b32 v11, v5, v6
	ds_bpermute_b32 v4, v5, v2
	;; [unrolled: 1-line block ×3, first 2 shown]
	s_min_u32 s4, s14, 0x100
	v_and_b32_e32 v8, 0xc0, v0
	v_sub_u32_e64 v9, s4, v8 clamp
	v_add_u32_e32 v8, 1, v7
	v_cmp_lt_u32_e32 vcc, v8, v9
	v_mov_b32_e32 v8, v6
	s_and_saveexec_b64 s[0:1], vcc
	s_xor_b64 s[2:3], exec, s[0:1]
	s_cbranch_execz .LBB1251_109
; %bb.108:
	v_and_b32_e32 v8, 1, v10
	s_waitcnt lgkmcnt(2)
	v_and_b32_e32 v10, 1, v11
	s_waitcnt lgkmcnt(0)
	v_cmp_lt_i64_e32 vcc, v[4:5], v[2:3]
	v_cmp_eq_u32_e64 s[0:1], 1, v10
	s_and_b64 vcc, s[0:1], vcc
	v_cndmask_b32_e64 v6, v6, 1, s[0:1]
	v_cndmask_b32_e32 v2, v2, v4, vcc
	v_cndmask_b32_e32 v3, v3, v5, vcc
	v_cmp_eq_u32_e32 vcc, 1, v8
	v_cndmask_b32_e32 v8, v11, v6, vcc
	v_cndmask_b32_e32 v3, v5, v3, vcc
	;; [unrolled: 1-line block ×3, first 2 shown]
	v_and_b32_e32 v6, 0xff, v8
.LBB1251_109:
	s_or_b64 exec, exec, s[2:3]
	v_cmp_gt_u32_e32 vcc, 62, v7
	s_waitcnt lgkmcnt(1)
	v_cndmask_b32_e64 v4, 0, 1, vcc
	v_lshlrev_b32_e32 v4, 1, v4
	s_waitcnt lgkmcnt(0)
	v_add_lshl_u32 v5, v4, v1, 2
	ds_bpermute_b32 v10, v5, v6
	ds_bpermute_b32 v4, v5, v2
	ds_bpermute_b32 v5, v5, v3
	v_add_u32_e32 v11, 2, v7
	v_cmp_lt_u32_e32 vcc, v11, v9
	s_and_saveexec_b64 s[2:3], vcc
	s_cbranch_execz .LBB1251_111
; %bb.110:
	s_waitcnt lgkmcnt(2)
	v_and_b32_e32 v11, 1, v10
	s_waitcnt lgkmcnt(0)
	v_cmp_lt_i64_e32 vcc, v[4:5], v[2:3]
	v_cmp_eq_u32_e64 s[0:1], 1, v11
	v_and_b32_e32 v6, 1, v8
	s_and_b64 vcc, s[0:1], vcc
	v_cndmask_b32_e64 v8, v8, 1, s[0:1]
	v_cndmask_b32_e32 v2, v2, v4, vcc
	v_cndmask_b32_e32 v3, v3, v5, vcc
	v_cmp_eq_u32_e32 vcc, 1, v6
	v_cndmask_b32_e32 v8, v10, v8, vcc
	v_cndmask_b32_e32 v3, v5, v3, vcc
	v_cndmask_b32_e32 v2, v4, v2, vcc
	v_and_b32_e32 v6, 0xff, v8
.LBB1251_111:
	s_or_b64 exec, exec, s[2:3]
	v_cmp_gt_u32_e32 vcc, 60, v7
	s_waitcnt lgkmcnt(1)
	v_cndmask_b32_e64 v4, 0, 1, vcc
	v_lshlrev_b32_e32 v4, 2, v4
	s_waitcnt lgkmcnt(0)
	v_add_lshl_u32 v5, v4, v1, 2
	ds_bpermute_b32 v10, v5, v6
	ds_bpermute_b32 v4, v5, v2
	ds_bpermute_b32 v5, v5, v3
	v_add_u32_e32 v11, 4, v7
	v_cmp_lt_u32_e32 vcc, v11, v9
	s_and_saveexec_b64 s[2:3], vcc
	s_cbranch_execz .LBB1251_113
; %bb.112:
	s_waitcnt lgkmcnt(2)
	v_and_b32_e32 v11, 1, v10
	s_waitcnt lgkmcnt(0)
	v_cmp_lt_i64_e32 vcc, v[4:5], v[2:3]
	v_cmp_eq_u32_e64 s[0:1], 1, v11
	v_and_b32_e32 v6, 1, v8
	s_and_b64 vcc, s[0:1], vcc
	v_cndmask_b32_e64 v8, v8, 1, s[0:1]
	v_cndmask_b32_e32 v2, v2, v4, vcc
	v_cndmask_b32_e32 v3, v3, v5, vcc
	v_cmp_eq_u32_e32 vcc, 1, v6
	v_cndmask_b32_e32 v8, v10, v8, vcc
	v_cndmask_b32_e32 v3, v5, v3, vcc
	v_cndmask_b32_e32 v2, v4, v2, vcc
	v_and_b32_e32 v6, 0xff, v8
.LBB1251_113:
	;; [unrolled: 31-line block ×5, first 2 shown]
	s_or_b64 exec, exec, s[2:3]
	v_cmp_eq_u32_e32 vcc, 0, v1
	s_and_saveexec_b64 s[0:1], vcc
	s_cbranch_execz .LBB1251_121
; %bb.120:
	s_waitcnt lgkmcnt(1)
	v_lshrrev_b32_e32 v4, 2, v0
	v_and_b32_e32 v4, 48, v4
	ds_write_b8 v4, v8 offset:256
	ds_write_b64 v4, v[2:3] offset:264
.LBB1251_121:
	s_or_b64 exec, exec, s[0:1]
	v_cmp_gt_u32_e32 vcc, 4, v0
	s_waitcnt lgkmcnt(0)
	s_barrier
	s_and_saveexec_b64 s[2:3], vcc
	s_cbranch_execz .LBB1251_127
; %bb.122:
	v_lshlrev_b32_e32 v2, 4, v1
	ds_read_u8 v7, v2 offset:256
	ds_read_b64 v[2:3], v2 offset:264
	v_and_b32_e32 v8, 3, v1
	v_cmp_ne_u32_e32 vcc, 3, v8
	v_addc_co_u32_e32 v4, vcc, 0, v1, vcc
	s_waitcnt lgkmcnt(1)
	v_and_b32_e32 v6, 0xff, v7
	v_lshlrev_b32_e32 v5, 2, v4
	ds_bpermute_b32 v9, v5, v6
	s_waitcnt lgkmcnt(1)
	ds_bpermute_b32 v4, v5, v2
	ds_bpermute_b32 v5, v5, v3
	s_add_i32 s4, s4, 63
	s_lshr_b32 s10, s4, 6
	v_add_u32_e32 v10, 1, v8
	v_cmp_gt_u32_e32 vcc, s10, v10
	s_and_saveexec_b64 s[4:5], vcc
	s_cbranch_execz .LBB1251_124
; %bb.123:
	s_waitcnt lgkmcnt(2)
	v_and_b32_e32 v10, 1, v9
	s_waitcnt lgkmcnt(0)
	v_cmp_lt_i64_e32 vcc, v[4:5], v[2:3]
	v_cmp_eq_u32_e64 s[0:1], 1, v10
	v_and_b32_e32 v6, 1, v7
	s_and_b64 vcc, s[0:1], vcc
	v_cndmask_b32_e64 v7, v7, 1, s[0:1]
	v_cndmask_b32_e32 v2, v2, v4, vcc
	v_cndmask_b32_e32 v3, v3, v5, vcc
	v_cmp_eq_u32_e32 vcc, 1, v6
	v_cndmask_b32_e32 v7, v9, v7, vcc
	v_cndmask_b32_e32 v3, v5, v3, vcc
	;; [unrolled: 1-line block ×3, first 2 shown]
	v_and_b32_e32 v6, 0xff, v7
.LBB1251_124:
	s_or_b64 exec, exec, s[4:5]
	v_cmp_gt_u32_e32 vcc, 2, v8
	s_waitcnt lgkmcnt(1)
	v_cndmask_b32_e64 v4, 0, 1, vcc
	v_lshlrev_b32_e32 v4, 1, v4
	s_waitcnt lgkmcnt(0)
	v_add_lshl_u32 v5, v4, v1, 2
	ds_bpermute_b32 v1, v5, v6
	ds_bpermute_b32 v4, v5, v2
	;; [unrolled: 1-line block ×3, first 2 shown]
	v_add_u32_e32 v8, 2, v8
	v_cmp_gt_u32_e32 vcc, s10, v8
	s_and_saveexec_b64 s[4:5], vcc
	s_cbranch_execz .LBB1251_126
; %bb.125:
	s_waitcnt lgkmcnt(2)
	v_and_b32_e32 v8, 1, v1
	s_waitcnt lgkmcnt(0)
	v_cmp_lt_i64_e32 vcc, v[4:5], v[2:3]
	v_cmp_eq_u32_e64 s[0:1], 1, v8
	v_and_b32_e32 v6, 1, v7
	s_and_b64 vcc, s[0:1], vcc
	v_cndmask_b32_e64 v7, v7, 1, s[0:1]
	v_cndmask_b32_e32 v2, v2, v4, vcc
	v_cndmask_b32_e32 v3, v3, v5, vcc
	v_cmp_eq_u32_e32 vcc, 1, v6
	v_cndmask_b32_e32 v1, v1, v7, vcc
	v_cndmask_b32_e32 v3, v5, v3, vcc
	;; [unrolled: 1-line block ×3, first 2 shown]
	v_and_b32_e32 v6, 0xff, v1
.LBB1251_126:
	s_or_b64 exec, exec, s[4:5]
.LBB1251_127:
	s_or_b64 exec, exec, s[2:3]
.LBB1251_128:
	v_cmp_eq_u32_e32 vcc, 0, v0
                                        ; implicit-def: $vgpr4_vgpr5
                                        ; implicit-def: $vgpr1
	s_and_saveexec_b64 s[0:1], vcc
	s_xor_b64 s[4:5], exec, s[0:1]
	s_cbranch_execz .LBB1251_132
; %bb.129:
	s_cmp_eq_u64 s[20:21], 0
	s_waitcnt lgkmcnt(0)
	v_pk_mov_b32 v[4:5], s[24:25], s[24:25] op_sel:[0,1]
	v_mov_b32_e32 v1, s33
	s_cbranch_scc1 .LBB1251_131
; %bb.130:
	v_and_b32_e32 v1, 1, v6
	s_bitcmp1_b32 s33, 0
	v_mov_b32_e32 v4, s33
	v_cmp_eq_u32_e32 vcc, 1, v1
	v_cmp_gt_i64_e64 s[2:3], s[24:25], v[2:3]
	v_cndmask_b32_e64 v1, v4, 1, vcc
	s_cselect_b64 s[0:1], -1, 0
	v_mov_b32_e32 v4, s24
	s_and_b64 vcc, vcc, s[2:3]
	v_mov_b32_e32 v5, s25
	v_cndmask_b32_e32 v4, v4, v2, vcc
	v_cndmask_b32_e32 v5, v5, v3, vcc
	v_cndmask_b32_e64 v1, v6, v1, s[0:1]
	v_cndmask_b32_e64 v5, v3, v5, s[0:1]
	;; [unrolled: 1-line block ×3, first 2 shown]
.LBB1251_131:
	s_or_b64 s[8:9], s[8:9], exec
.LBB1251_132:
	s_or_b64 exec, exec, s[4:5]
	s_branch .LBB1251_208
.LBB1251_133:
	s_cmp_gt_i32 s34, 1
	s_cbranch_scc0 .LBB1251_153
; %bb.134:
	s_cmp_eq_u32 s34, 2
	s_cbranch_scc0 .LBB1251_154
; %bb.135:
	s_mov_b32 s7, 0
	s_lshl_b32 s4, s6, 9
	s_mov_b32 s5, s7
	s_lshr_b64 s[0:1], s[20:21], 9
	s_lshl_b64 s[2:3], s[4:5], 3
	s_add_u32 s2, s26, s2
	s_addc_u32 s3, s27, s3
	s_add_u32 s12, s18, s4
	s_addc_u32 s13, s19, 0
	s_cmp_lg_u64 s[0:1], s[6:7]
	s_cbranch_scc0 .LBB1251_155
; %bb.136:
	s_waitcnt lgkmcnt(2)
	v_lshlrev_b32_e32 v1, 3, v0
	global_load_dwordx2 v[2:3], v1, s[2:3] offset:2048
	s_waitcnt lgkmcnt(0)
	global_load_dwordx2 v[4:5], v1, s[2:3]
	v_mov_b32_e32 v1, s13
	v_add_co_u32_e32 v6, vcc, s12, v0
	v_addc_co_u32_e32 v1, vcc, 0, v1, vcc
	v_add_co_u32_e32 v7, vcc, 0x100, v6
	v_addc_co_u32_e32 v8, vcc, 0, v1, vcc
	s_waitcnt vmcnt(1)
	v_cmp_eq_u64_e32 vcc, s[16:17], v[2:3]
	s_waitcnt vmcnt(0)
	v_cmp_eq_u64_e64 s[0:1], s[16:17], v[4:5]
	v_cndmask_b32_e64 v3, v8, v1, s[0:1]
	v_cndmask_b32_e64 v2, v7, v6, s[0:1]
	s_or_b64 s[0:1], s[0:1], vcc
	v_cndmask_b32_e64 v1, 0, 1, s[0:1]
	v_mov_b32_dpp v4, v2 quad_perm:[1,0,3,2] row_mask:0xf bank_mask:0xf bound_ctrl:1
	v_mov_b32_dpp v5, v3 quad_perm:[1,0,3,2] row_mask:0xf bank_mask:0xf bound_ctrl:1
	;; [unrolled: 1-line block ×3, first 2 shown]
	v_and_b32_e32 v7, 1, v6
	v_cmp_eq_u32_e32 vcc, 1, v7
	s_and_saveexec_b64 s[10:11], vcc
; %bb.137:
	v_cmp_lt_i64_e32 vcc, v[2:3], v[4:5]
	v_cndmask_b32_e64 v6, v6, 1, s[0:1]
	s_and_b64 vcc, s[0:1], vcc
	v_cndmask_b32_e32 v2, v4, v2, vcc
	v_and_b32_e32 v4, 1, v6
	v_cndmask_b32_e32 v3, v5, v3, vcc
	v_cmp_eq_u32_e32 vcc, 1, v4
	s_andn2_b64 s[0:1], s[0:1], exec
	s_and_b64 s[14:15], vcc, exec
	v_and_b32_e32 v1, 0xff, v6
	s_or_b64 s[0:1], s[0:1], s[14:15]
; %bb.138:
	s_or_b64 exec, exec, s[10:11]
	v_mov_b32_dpp v6, v1 quad_perm:[2,3,0,1] row_mask:0xf bank_mask:0xf bound_ctrl:1
	v_and_b32_e32 v7, 1, v6
	v_mov_b32_dpp v4, v2 quad_perm:[2,3,0,1] row_mask:0xf bank_mask:0xf bound_ctrl:1
	v_mov_b32_dpp v5, v3 quad_perm:[2,3,0,1] row_mask:0xf bank_mask:0xf bound_ctrl:1
	v_cmp_eq_u32_e32 vcc, 1, v7
	s_and_saveexec_b64 s[10:11], vcc
; %bb.139:
	v_cmp_lt_i64_e32 vcc, v[2:3], v[4:5]
	v_cndmask_b32_e64 v6, v6, 1, s[0:1]
	s_and_b64 vcc, s[0:1], vcc
	v_cndmask_b32_e32 v2, v4, v2, vcc
	v_and_b32_e32 v4, 1, v6
	v_cndmask_b32_e32 v3, v5, v3, vcc
	v_cmp_eq_u32_e32 vcc, 1, v4
	s_andn2_b64 s[0:1], s[0:1], exec
	s_and_b64 s[14:15], vcc, exec
	v_and_b32_e32 v1, 0xff, v6
	s_or_b64 s[0:1], s[0:1], s[14:15]
; %bb.140:
	s_or_b64 exec, exec, s[10:11]
	v_mov_b32_dpp v6, v1 row_ror:4 row_mask:0xf bank_mask:0xf bound_ctrl:1
	v_and_b32_e32 v7, 1, v6
	v_mov_b32_dpp v4, v2 row_ror:4 row_mask:0xf bank_mask:0xf bound_ctrl:1
	v_mov_b32_dpp v5, v3 row_ror:4 row_mask:0xf bank_mask:0xf bound_ctrl:1
	v_cmp_eq_u32_e32 vcc, 1, v7
	s_and_saveexec_b64 s[10:11], vcc
; %bb.141:
	v_cmp_lt_i64_e32 vcc, v[2:3], v[4:5]
	v_cndmask_b32_e64 v6, v6, 1, s[0:1]
	s_and_b64 vcc, s[0:1], vcc
	v_cndmask_b32_e32 v2, v4, v2, vcc
	v_and_b32_e32 v4, 1, v6
	v_cndmask_b32_e32 v3, v5, v3, vcc
	v_cmp_eq_u32_e32 vcc, 1, v4
	s_andn2_b64 s[0:1], s[0:1], exec
	s_and_b64 s[14:15], vcc, exec
	v_and_b32_e32 v1, 0xff, v6
	s_or_b64 s[0:1], s[0:1], s[14:15]
; %bb.142:
	s_or_b64 exec, exec, s[10:11]
	v_mov_b32_dpp v6, v1 row_ror:8 row_mask:0xf bank_mask:0xf bound_ctrl:1
	v_and_b32_e32 v7, 1, v6
	v_mov_b32_dpp v4, v2 row_ror:8 row_mask:0xf bank_mask:0xf bound_ctrl:1
	v_mov_b32_dpp v5, v3 row_ror:8 row_mask:0xf bank_mask:0xf bound_ctrl:1
	v_cmp_eq_u32_e32 vcc, 1, v7
	s_and_saveexec_b64 s[10:11], vcc
; %bb.143:
	v_cmp_lt_i64_e32 vcc, v[2:3], v[4:5]
	v_cndmask_b32_e64 v6, v6, 1, s[0:1]
	s_and_b64 vcc, s[0:1], vcc
	v_cndmask_b32_e32 v2, v4, v2, vcc
	v_and_b32_e32 v4, 1, v6
	v_cndmask_b32_e32 v3, v5, v3, vcc
	v_cmp_eq_u32_e32 vcc, 1, v4
	s_andn2_b64 s[0:1], s[0:1], exec
	s_and_b64 s[14:15], vcc, exec
	v_and_b32_e32 v1, 0xff, v6
	s_or_b64 s[0:1], s[0:1], s[14:15]
; %bb.144:
	s_or_b64 exec, exec, s[10:11]
	v_mov_b32_dpp v6, v1 row_bcast:15 row_mask:0xf bank_mask:0xf bound_ctrl:1
	v_and_b32_e32 v7, 1, v6
	v_mov_b32_dpp v4, v2 row_bcast:15 row_mask:0xf bank_mask:0xf bound_ctrl:1
	v_mov_b32_dpp v5, v3 row_bcast:15 row_mask:0xf bank_mask:0xf bound_ctrl:1
	v_cmp_eq_u32_e32 vcc, 1, v7
	s_and_saveexec_b64 s[10:11], vcc
; %bb.145:
	v_cmp_lt_i64_e32 vcc, v[2:3], v[4:5]
	v_cndmask_b32_e64 v6, v6, 1, s[0:1]
	s_and_b64 vcc, s[0:1], vcc
	v_cndmask_b32_e32 v2, v4, v2, vcc
	v_and_b32_e32 v4, 1, v6
	v_cndmask_b32_e32 v3, v5, v3, vcc
	v_cmp_eq_u32_e32 vcc, 1, v4
	s_andn2_b64 s[0:1], s[0:1], exec
	s_and_b64 s[14:15], vcc, exec
	v_and_b32_e32 v1, 0xff, v6
	s_or_b64 s[0:1], s[0:1], s[14:15]
; %bb.146:
	s_or_b64 exec, exec, s[10:11]
	v_mov_b32_dpp v6, v1 row_bcast:31 row_mask:0xf bank_mask:0xf bound_ctrl:1
	v_and_b32_e32 v7, 1, v6
	v_mov_b32_dpp v4, v2 row_bcast:31 row_mask:0xf bank_mask:0xf bound_ctrl:1
	v_mov_b32_dpp v5, v3 row_bcast:31 row_mask:0xf bank_mask:0xf bound_ctrl:1
	v_cmp_eq_u32_e32 vcc, 1, v7
	s_and_saveexec_b64 s[10:11], vcc
; %bb.147:
	v_cmp_lt_i64_e32 vcc, v[2:3], v[4:5]
	v_and_b32_e32 v1, 0xff, v6
	s_and_b64 vcc, s[0:1], vcc
	v_cndmask_b32_e32 v2, v4, v2, vcc
	v_cndmask_b32_e32 v3, v5, v3, vcc
	v_cndmask_b32_e64 v1, v1, 1, s[0:1]
; %bb.148:
	s_or_b64 exec, exec, s[10:11]
	v_mbcnt_lo_u32_b32 v4, -1, 0
	v_mbcnt_hi_u32_b32 v4, -1, v4
	v_bfrev_b32_e32 v5, 0.5
	v_lshl_or_b32 v5, v4, 2, v5
	ds_bpermute_b32 v6, v5, v1
	ds_bpermute_b32 v2, v5, v2
	;; [unrolled: 1-line block ×3, first 2 shown]
	v_cmp_eq_u32_e32 vcc, 0, v4
	s_and_saveexec_b64 s[0:1], vcc
	s_cbranch_execz .LBB1251_150
; %bb.149:
	v_lshrrev_b32_e32 v1, 2, v0
	v_and_b32_e32 v1, 48, v1
	s_waitcnt lgkmcnt(2)
	ds_write_b8 v1, v6 offset:64
	s_waitcnt lgkmcnt(1)
	ds_write_b64 v1, v[2:3] offset:72
.LBB1251_150:
	s_or_b64 exec, exec, s[0:1]
	v_cmp_gt_u32_e32 vcc, 64, v0
	s_waitcnt lgkmcnt(0)
	s_barrier
	s_and_saveexec_b64 s[10:11], vcc
	s_cbranch_execz .LBB1251_152
; %bb.151:
	v_and_b32_e32 v1, 3, v4
	v_lshlrev_b32_e32 v2, 4, v1
	ds_read_u8 v5, v2 offset:64
	ds_read_b64 v[2:3], v2 offset:72
	v_cmp_ne_u32_e32 vcc, 3, v1
	v_addc_co_u32_e32 v6, vcc, 0, v4, vcc
	s_waitcnt lgkmcnt(1)
	v_and_b32_e32 v7, 0xff, v5
	v_lshlrev_b32_e32 v8, 2, v6
	ds_bpermute_b32 v9, v8, v7
	s_waitcnt lgkmcnt(1)
	ds_bpermute_b32 v6, v8, v2
	ds_bpermute_b32 v7, v8, v3
	v_and_b32_e32 v8, 1, v5
	s_waitcnt lgkmcnt(2)
	v_and_b32_e32 v10, 1, v9
	v_cmp_eq_u32_e64 s[0:1], 1, v10
	s_waitcnt lgkmcnt(0)
	v_cmp_lt_i64_e32 vcc, v[6:7], v[2:3]
	s_and_b64 vcc, s[0:1], vcc
	v_cndmask_b32_e64 v5, v5, 1, s[0:1]
	v_cndmask_b32_e32 v2, v2, v6, vcc
	v_cndmask_b32_e32 v3, v3, v7, vcc
	v_cmp_eq_u32_e32 vcc, 1, v8
	v_cndmask_b32_e32 v8, v9, v5, vcc
	v_cndmask_b32_e32 v3, v7, v3, vcc
	;; [unrolled: 1-line block ×3, first 2 shown]
	v_cmp_gt_u32_e32 vcc, 2, v1
	v_cndmask_b32_e64 v1, 0, 1, vcc
	v_lshlrev_b32_e32 v1, 1, v1
	v_and_b32_e32 v5, 0xff, v8
	v_add_lshl_u32 v1, v1, v4, 2
	ds_bpermute_b32 v6, v1, v5
	ds_bpermute_b32 v4, v1, v2
	;; [unrolled: 1-line block ×3, first 2 shown]
	v_and_b32_e32 v1, 1, v8
	s_waitcnt lgkmcnt(2)
	v_and_b32_e32 v7, 1, v6
	v_cmp_eq_u32_e64 s[0:1], 1, v7
	s_waitcnt lgkmcnt(0)
	v_cmp_lt_i64_e32 vcc, v[4:5], v[2:3]
	s_and_b64 vcc, s[0:1], vcc
	v_cndmask_b32_e64 v7, v8, 1, s[0:1]
	v_cndmask_b32_e32 v2, v2, v4, vcc
	v_cndmask_b32_e32 v3, v3, v5, vcc
	v_cmp_eq_u32_e32 vcc, 1, v1
	v_cndmask_b32_e32 v1, v6, v7, vcc
	v_cndmask_b32_e32 v3, v5, v3, vcc
	;; [unrolled: 1-line block ×3, first 2 shown]
	v_and_b32_e32 v6, 0xff, v1
.LBB1251_152:
	s_or_b64 exec, exec, s[10:11]
	s_branch .LBB1251_183
.LBB1251_153:
                                        ; implicit-def: $vgpr4_vgpr5
                                        ; implicit-def: $vgpr1
	s_cbranch_execnz .LBB1251_188
	s_branch .LBB1251_208
.LBB1251_154:
                                        ; implicit-def: $vgpr4_vgpr5
                                        ; implicit-def: $vgpr1
	s_branch .LBB1251_208
.LBB1251_155:
                                        ; implicit-def: $vgpr2_vgpr3
                                        ; implicit-def: $vgpr6
	s_cbranch_execz .LBB1251_183
; %bb.156:
	s_sub_i32 s10, s20, s4
	s_waitcnt lgkmcnt(0)
	v_pk_mov_b32 v[4:5], 0, 0
	v_cmp_gt_u32_e32 vcc, s10, v0
	v_mov_b32_e32 v1, 0
	v_pk_mov_b32 v[2:3], v[4:5], v[4:5] op_sel:[0,1]
	v_mov_b32_e32 v7, 0
	s_and_saveexec_b64 s[0:1], vcc
	s_cbranch_execz .LBB1251_158
; %bb.157:
	v_lshlrev_b32_e32 v2, 3, v0
	global_load_dwordx2 v[6:7], v2, s[2:3]
	v_mov_b32_e32 v3, s13
	v_add_co_u32_e32 v2, vcc, s12, v0
	v_addc_co_u32_e32 v3, vcc, 0, v3, vcc
	s_waitcnt vmcnt(0)
	v_cmp_eq_u64_e32 vcc, s[16:17], v[6:7]
	v_cndmask_b32_e64 v7, 0, 1, vcc
.LBB1251_158:
	s_or_b64 exec, exec, s[0:1]
	v_or_b32_e32 v6, 0x100, v0
	v_cmp_gt_u32_e32 vcc, s10, v6
	s_and_saveexec_b64 s[4:5], vcc
	s_cbranch_execz .LBB1251_160
; %bb.159:
	v_lshlrev_b32_e32 v1, 3, v0
	global_load_dwordx2 v[8:9], v1, s[2:3] offset:2048
	v_mov_b32_e32 v1, s13
	v_add_co_u32_e64 v4, s[0:1], s12, v6
	v_addc_co_u32_e64 v5, s[0:1], 0, v1, s[0:1]
	s_waitcnt vmcnt(0)
	v_cmp_eq_u64_e64 s[0:1], s[16:17], v[8:9]
	v_cndmask_b32_e64 v1, 0, 1, s[0:1]
.LBB1251_160:
	s_or_b64 exec, exec, s[4:5]
	s_and_saveexec_b64 s[2:3], vcc
	s_cbranch_execz .LBB1251_162
; %bb.161:
	v_and_b32_e32 v8, 1, v1
	v_cmp_lt_i64_e32 vcc, v[4:5], v[2:3]
	v_cmp_eq_u32_e64 s[0:1], 1, v8
	v_and_b32_e32 v6, 1, v7
	s_and_b64 vcc, s[0:1], vcc
	v_cndmask_b32_e64 v7, v7, 1, s[0:1]
	v_cndmask_b32_e32 v2, v2, v4, vcc
	v_cndmask_b32_e32 v3, v3, v5, vcc
	v_cmp_eq_u32_e32 vcc, 1, v6
	v_cndmask_b32_e32 v7, v1, v7, vcc
	v_cndmask_b32_e32 v3, v5, v3, vcc
	;; [unrolled: 1-line block ×3, first 2 shown]
.LBB1251_162:
	s_or_b64 exec, exec, s[2:3]
	v_mbcnt_lo_u32_b32 v1, -1, 0
	v_mbcnt_hi_u32_b32 v1, -1, v1
	v_and_b32_e32 v8, 63, v1
	v_cmp_ne_u32_e32 vcc, 63, v8
	v_addc_co_u32_e32 v4, vcc, 0, v1, vcc
	v_and_b32_e32 v6, 0xffff, v7
	v_lshlrev_b32_e32 v5, 2, v4
	ds_bpermute_b32 v10, v5, v6
	ds_bpermute_b32 v4, v5, v2
	;; [unrolled: 1-line block ×3, first 2 shown]
	s_min_u32 s4, s10, 0x100
	v_and_b32_e32 v9, 0xc0, v0
	v_sub_u32_e64 v9, s4, v9 clamp
	v_add_u32_e32 v11, 1, v8
	v_cmp_lt_u32_e32 vcc, v11, v9
	s_and_saveexec_b64 s[2:3], vcc
	s_cbranch_execz .LBB1251_164
; %bb.163:
	s_waitcnt lgkmcnt(2)
	v_and_b32_e32 v11, 1, v10
	s_waitcnt lgkmcnt(0)
	v_cmp_lt_i64_e32 vcc, v[4:5], v[2:3]
	v_cmp_eq_u32_e64 s[0:1], 1, v11
	v_and_b32_e32 v6, 1, v7
	s_and_b64 vcc, s[0:1], vcc
	v_cndmask_b32_e64 v7, v7, 1, s[0:1]
	v_cndmask_b32_e32 v2, v2, v4, vcc
	v_cndmask_b32_e32 v3, v3, v5, vcc
	v_cmp_eq_u32_e32 vcc, 1, v6
	v_cndmask_b32_e32 v7, v10, v7, vcc
	v_cndmask_b32_e32 v3, v5, v3, vcc
	v_cndmask_b32_e32 v2, v4, v2, vcc
	v_and_b32_e32 v6, 0xff, v7
.LBB1251_164:
	s_or_b64 exec, exec, s[2:3]
	v_cmp_gt_u32_e32 vcc, 62, v8
	s_waitcnt lgkmcnt(1)
	v_cndmask_b32_e64 v4, 0, 1, vcc
	v_lshlrev_b32_e32 v4, 1, v4
	s_waitcnt lgkmcnt(0)
	v_add_lshl_u32 v5, v4, v1, 2
	ds_bpermute_b32 v10, v5, v6
	ds_bpermute_b32 v4, v5, v2
	ds_bpermute_b32 v5, v5, v3
	v_add_u32_e32 v11, 2, v8
	v_cmp_lt_u32_e32 vcc, v11, v9
	s_and_saveexec_b64 s[2:3], vcc
	s_cbranch_execz .LBB1251_166
; %bb.165:
	s_waitcnt lgkmcnt(2)
	v_and_b32_e32 v11, 1, v10
	s_waitcnt lgkmcnt(0)
	v_cmp_lt_i64_e32 vcc, v[4:5], v[2:3]
	v_cmp_eq_u32_e64 s[0:1], 1, v11
	v_and_b32_e32 v6, 1, v7
	s_and_b64 vcc, s[0:1], vcc
	v_cndmask_b32_e64 v7, v7, 1, s[0:1]
	v_cndmask_b32_e32 v2, v2, v4, vcc
	v_cndmask_b32_e32 v3, v3, v5, vcc
	v_cmp_eq_u32_e32 vcc, 1, v6
	v_cndmask_b32_e32 v7, v10, v7, vcc
	v_cndmask_b32_e32 v3, v5, v3, vcc
	v_cndmask_b32_e32 v2, v4, v2, vcc
	v_and_b32_e32 v6, 0xff, v7
.LBB1251_166:
	s_or_b64 exec, exec, s[2:3]
	v_cmp_gt_u32_e32 vcc, 60, v8
	s_waitcnt lgkmcnt(1)
	v_cndmask_b32_e64 v4, 0, 1, vcc
	v_lshlrev_b32_e32 v4, 2, v4
	s_waitcnt lgkmcnt(0)
	v_add_lshl_u32 v5, v4, v1, 2
	ds_bpermute_b32 v10, v5, v6
	ds_bpermute_b32 v4, v5, v2
	ds_bpermute_b32 v5, v5, v3
	;; [unrolled: 31-line block ×5, first 2 shown]
	v_add_u32_e32 v8, 32, v8
	v_cmp_lt_u32_e32 vcc, v8, v9
	s_and_saveexec_b64 s[2:3], vcc
	s_cbranch_execz .LBB1251_174
; %bb.173:
	s_waitcnt lgkmcnt(2)
	v_and_b32_e32 v8, 1, v10
	s_waitcnt lgkmcnt(0)
	v_cmp_lt_i64_e32 vcc, v[4:5], v[2:3]
	v_cmp_eq_u32_e64 s[0:1], 1, v8
	v_and_b32_e32 v6, 1, v7
	s_and_b64 vcc, s[0:1], vcc
	v_cndmask_b32_e64 v7, v7, 1, s[0:1]
	v_cndmask_b32_e32 v2, v2, v4, vcc
	v_cndmask_b32_e32 v3, v3, v5, vcc
	v_cmp_eq_u32_e32 vcc, 1, v6
	v_cndmask_b32_e32 v7, v10, v7, vcc
	v_cndmask_b32_e32 v3, v5, v3, vcc
	;; [unrolled: 1-line block ×3, first 2 shown]
	v_and_b32_e32 v6, 0xff, v7
.LBB1251_174:
	s_or_b64 exec, exec, s[2:3]
	v_cmp_eq_u32_e32 vcc, 0, v1
	s_and_saveexec_b64 s[0:1], vcc
	s_cbranch_execz .LBB1251_176
; %bb.175:
	s_waitcnt lgkmcnt(1)
	v_lshrrev_b32_e32 v4, 2, v0
	v_and_b32_e32 v4, 48, v4
	ds_write_b8 v4, v7 offset:256
	ds_write_b64 v4, v[2:3] offset:264
.LBB1251_176:
	s_or_b64 exec, exec, s[0:1]
	v_cmp_gt_u32_e32 vcc, 4, v0
	s_waitcnt lgkmcnt(0)
	s_barrier
	s_and_saveexec_b64 s[2:3], vcc
	s_cbranch_execz .LBB1251_182
; %bb.177:
	v_lshlrev_b32_e32 v2, 4, v1
	ds_read_u8 v7, v2 offset:256
	ds_read_b64 v[2:3], v2 offset:264
	v_and_b32_e32 v8, 3, v1
	v_cmp_ne_u32_e32 vcc, 3, v8
	v_addc_co_u32_e32 v4, vcc, 0, v1, vcc
	s_waitcnt lgkmcnt(1)
	v_and_b32_e32 v6, 0xff, v7
	v_lshlrev_b32_e32 v5, 2, v4
	ds_bpermute_b32 v9, v5, v6
	s_waitcnt lgkmcnt(1)
	ds_bpermute_b32 v4, v5, v2
	ds_bpermute_b32 v5, v5, v3
	s_add_i32 s4, s4, 63
	s_lshr_b32 s10, s4, 6
	v_add_u32_e32 v10, 1, v8
	v_cmp_gt_u32_e32 vcc, s10, v10
	s_and_saveexec_b64 s[4:5], vcc
	s_cbranch_execz .LBB1251_179
; %bb.178:
	s_waitcnt lgkmcnt(2)
	v_and_b32_e32 v10, 1, v9
	s_waitcnt lgkmcnt(0)
	v_cmp_lt_i64_e32 vcc, v[4:5], v[2:3]
	v_cmp_eq_u32_e64 s[0:1], 1, v10
	v_and_b32_e32 v6, 1, v7
	s_and_b64 vcc, s[0:1], vcc
	v_cndmask_b32_e64 v7, v7, 1, s[0:1]
	v_cndmask_b32_e32 v2, v2, v4, vcc
	v_cndmask_b32_e32 v3, v3, v5, vcc
	v_cmp_eq_u32_e32 vcc, 1, v6
	v_cndmask_b32_e32 v7, v9, v7, vcc
	v_cndmask_b32_e32 v3, v5, v3, vcc
	;; [unrolled: 1-line block ×3, first 2 shown]
	v_and_b32_e32 v6, 0xff, v7
.LBB1251_179:
	s_or_b64 exec, exec, s[4:5]
	v_cmp_gt_u32_e32 vcc, 2, v8
	s_waitcnt lgkmcnt(1)
	v_cndmask_b32_e64 v4, 0, 1, vcc
	v_lshlrev_b32_e32 v4, 1, v4
	s_waitcnt lgkmcnt(0)
	v_add_lshl_u32 v5, v4, v1, 2
	ds_bpermute_b32 v1, v5, v6
	ds_bpermute_b32 v4, v5, v2
	;; [unrolled: 1-line block ×3, first 2 shown]
	v_add_u32_e32 v8, 2, v8
	v_cmp_gt_u32_e32 vcc, s10, v8
	s_and_saveexec_b64 s[4:5], vcc
	s_cbranch_execz .LBB1251_181
; %bb.180:
	s_waitcnt lgkmcnt(2)
	v_and_b32_e32 v8, 1, v1
	s_waitcnt lgkmcnt(0)
	v_cmp_lt_i64_e32 vcc, v[4:5], v[2:3]
	v_cmp_eq_u32_e64 s[0:1], 1, v8
	v_and_b32_e32 v6, 1, v7
	s_and_b64 vcc, s[0:1], vcc
	v_cndmask_b32_e64 v7, v7, 1, s[0:1]
	v_cndmask_b32_e32 v2, v2, v4, vcc
	v_cndmask_b32_e32 v3, v3, v5, vcc
	v_cmp_eq_u32_e32 vcc, 1, v6
	v_cndmask_b32_e32 v1, v1, v7, vcc
	v_cndmask_b32_e32 v3, v5, v3, vcc
	;; [unrolled: 1-line block ×3, first 2 shown]
	v_and_b32_e32 v6, 0xff, v1
.LBB1251_181:
	s_or_b64 exec, exec, s[4:5]
.LBB1251_182:
	s_or_b64 exec, exec, s[2:3]
.LBB1251_183:
	v_cmp_eq_u32_e32 vcc, 0, v0
                                        ; implicit-def: $vgpr4_vgpr5
                                        ; implicit-def: $vgpr1
	s_and_saveexec_b64 s[0:1], vcc
	s_xor_b64 s[4:5], exec, s[0:1]
	s_cbranch_execz .LBB1251_187
; %bb.184:
	s_cmp_eq_u64 s[20:21], 0
	s_waitcnt lgkmcnt(0)
	v_pk_mov_b32 v[4:5], s[24:25], s[24:25] op_sel:[0,1]
	v_mov_b32_e32 v1, s33
	s_cbranch_scc1 .LBB1251_186
; %bb.185:
	v_and_b32_e32 v1, 1, v6
	s_bitcmp1_b32 s33, 0
	v_mov_b32_e32 v4, s33
	v_cmp_eq_u32_e32 vcc, 1, v1
	v_cmp_gt_i64_e64 s[2:3], s[24:25], v[2:3]
	v_cndmask_b32_e64 v1, v4, 1, vcc
	s_cselect_b64 s[0:1], -1, 0
	v_mov_b32_e32 v4, s24
	s_and_b64 vcc, vcc, s[2:3]
	v_mov_b32_e32 v5, s25
	v_cndmask_b32_e32 v4, v4, v2, vcc
	v_cndmask_b32_e32 v5, v5, v3, vcc
	v_cndmask_b32_e64 v1, v6, v1, s[0:1]
	v_cndmask_b32_e64 v5, v3, v5, s[0:1]
	;; [unrolled: 1-line block ×3, first 2 shown]
.LBB1251_186:
	s_or_b64 s[8:9], s[8:9], exec
.LBB1251_187:
	s_or_b64 exec, exec, s[4:5]
	s_branch .LBB1251_208
.LBB1251_188:
	s_cmp_eq_u32 s34, 1
	s_cbranch_scc0 .LBB1251_207
; %bb.189:
	s_mov_b32 s3, 0
	s_lshl_b32 s2, s6, 8
	s_mov_b32 s7, s3
	s_lshr_b64 s[0:1], s[20:21], 8
	s_cmp_lg_u64 s[0:1], s[6:7]
	s_cbranch_scc0 .LBB1251_211
; %bb.190:
	s_lshl_b64 s[0:1], s[2:3], 3
	s_add_u32 s0, s26, s0
	s_addc_u32 s1, s27, s1
	s_waitcnt lgkmcnt(2)
	v_lshlrev_b32_e32 v1, 3, v0
	global_load_dwordx2 v[6:7], v1, s[0:1]
	s_add_u32 s0, s18, s2
	s_addc_u32 s1, s19, 0
	v_mov_b32_e32 v1, s1
	v_add_co_u32_e32 v2, vcc, s0, v0
	v_addc_co_u32_e32 v3, vcc, 0, v1, vcc
	s_waitcnt lgkmcnt(1)
	v_mov_b32_dpp v4, v2 quad_perm:[1,0,3,2] row_mask:0xf bank_mask:0xf bound_ctrl:1
	s_waitcnt lgkmcnt(0)
	v_mov_b32_dpp v5, v3 quad_perm:[1,0,3,2] row_mask:0xf bank_mask:0xf bound_ctrl:1
	s_waitcnt vmcnt(0)
	v_cmp_eq_u64_e32 vcc, s[16:17], v[6:7]
	v_cndmask_b32_e64 v1, 0, 1, vcc
	v_cndmask_b32_e64 v6, 0, 1, vcc
	s_nop 0
	v_mov_b32_dpp v1, v1 quad_perm:[1,0,3,2] row_mask:0xf bank_mask:0xf bound_ctrl:1
	v_and_b32_e32 v7, 1, v1
	v_cmp_eq_u32_e64 s[0:1], 1, v7
	s_and_saveexec_b64 s[4:5], s[0:1]
; %bb.191:
	v_cmp_lt_i64_e64 s[0:1], v[2:3], v[4:5]
	v_cndmask_b32_e64 v6, v1, 1, vcc
	s_and_b64 vcc, vcc, s[0:1]
	v_cndmask_b32_e32 v3, v5, v3, vcc
	v_cndmask_b32_e32 v2, v4, v2, vcc
; %bb.192:
	s_or_b64 exec, exec, s[4:5]
	v_and_b32_e32 v1, 0xff, v6
	v_and_b32_e32 v6, 1, v6
	v_mov_b32_dpp v4, v2 quad_perm:[2,3,0,1] row_mask:0xf bank_mask:0xf bound_ctrl:1
	v_mov_b32_dpp v7, v1 quad_perm:[2,3,0,1] row_mask:0xf bank_mask:0xf bound_ctrl:1
	v_and_b32_e32 v8, 1, v7
	v_mov_b32_dpp v5, v3 quad_perm:[2,3,0,1] row_mask:0xf bank_mask:0xf bound_ctrl:1
	v_cmp_eq_u32_e32 vcc, 1, v8
	v_cmp_eq_u32_e64 s[0:1], 1, v6
	s_and_saveexec_b64 s[4:5], vcc
; %bb.193:
	v_cmp_lt_i64_e32 vcc, v[2:3], v[4:5]
	v_cndmask_b32_e64 v6, v7, 1, s[0:1]
	s_and_b64 vcc, s[0:1], vcc
	v_cndmask_b32_e32 v2, v4, v2, vcc
	v_and_b32_e32 v4, 1, v6
	v_cndmask_b32_e32 v3, v5, v3, vcc
	v_cmp_eq_u32_e32 vcc, 1, v4
	s_andn2_b64 s[0:1], s[0:1], exec
	s_and_b64 s[10:11], vcc, exec
	v_and_b32_e32 v1, 0xff, v6
	s_or_b64 s[0:1], s[0:1], s[10:11]
; %bb.194:
	s_or_b64 exec, exec, s[4:5]
	v_mov_b32_dpp v6, v1 row_ror:4 row_mask:0xf bank_mask:0xf bound_ctrl:1
	v_and_b32_e32 v7, 1, v6
	v_mov_b32_dpp v4, v2 row_ror:4 row_mask:0xf bank_mask:0xf bound_ctrl:1
	v_mov_b32_dpp v5, v3 row_ror:4 row_mask:0xf bank_mask:0xf bound_ctrl:1
	v_cmp_eq_u32_e32 vcc, 1, v7
	s_and_saveexec_b64 s[4:5], vcc
; %bb.195:
	v_cmp_lt_i64_e32 vcc, v[2:3], v[4:5]
	v_cndmask_b32_e64 v6, v6, 1, s[0:1]
	s_and_b64 vcc, s[0:1], vcc
	v_cndmask_b32_e32 v2, v4, v2, vcc
	v_and_b32_e32 v4, 1, v6
	v_cndmask_b32_e32 v3, v5, v3, vcc
	v_cmp_eq_u32_e32 vcc, 1, v4
	s_andn2_b64 s[0:1], s[0:1], exec
	s_and_b64 s[10:11], vcc, exec
	v_and_b32_e32 v1, 0xff, v6
	s_or_b64 s[0:1], s[0:1], s[10:11]
; %bb.196:
	s_or_b64 exec, exec, s[4:5]
	v_mov_b32_dpp v6, v1 row_ror:8 row_mask:0xf bank_mask:0xf bound_ctrl:1
	v_and_b32_e32 v7, 1, v6
	v_mov_b32_dpp v4, v2 row_ror:8 row_mask:0xf bank_mask:0xf bound_ctrl:1
	v_mov_b32_dpp v5, v3 row_ror:8 row_mask:0xf bank_mask:0xf bound_ctrl:1
	v_cmp_eq_u32_e32 vcc, 1, v7
	s_and_saveexec_b64 s[4:5], vcc
; %bb.197:
	v_cmp_lt_i64_e32 vcc, v[2:3], v[4:5]
	v_cndmask_b32_e64 v6, v6, 1, s[0:1]
	s_and_b64 vcc, s[0:1], vcc
	v_cndmask_b32_e32 v2, v4, v2, vcc
	v_and_b32_e32 v4, 1, v6
	v_cndmask_b32_e32 v3, v5, v3, vcc
	v_cmp_eq_u32_e32 vcc, 1, v4
	s_andn2_b64 s[0:1], s[0:1], exec
	s_and_b64 s[10:11], vcc, exec
	v_and_b32_e32 v1, 0xff, v6
	s_or_b64 s[0:1], s[0:1], s[10:11]
; %bb.198:
	s_or_b64 exec, exec, s[4:5]
	v_mov_b32_dpp v6, v1 row_bcast:15 row_mask:0xf bank_mask:0xf bound_ctrl:1
	v_and_b32_e32 v7, 1, v6
	v_mov_b32_dpp v4, v2 row_bcast:15 row_mask:0xf bank_mask:0xf bound_ctrl:1
	v_mov_b32_dpp v5, v3 row_bcast:15 row_mask:0xf bank_mask:0xf bound_ctrl:1
	v_cmp_eq_u32_e32 vcc, 1, v7
	s_and_saveexec_b64 s[4:5], vcc
; %bb.199:
	v_cmp_lt_i64_e32 vcc, v[2:3], v[4:5]
	v_cndmask_b32_e64 v6, v6, 1, s[0:1]
	s_and_b64 vcc, s[0:1], vcc
	v_cndmask_b32_e32 v2, v4, v2, vcc
	v_and_b32_e32 v4, 1, v6
	v_cndmask_b32_e32 v3, v5, v3, vcc
	v_cmp_eq_u32_e32 vcc, 1, v4
	s_andn2_b64 s[0:1], s[0:1], exec
	s_and_b64 s[10:11], vcc, exec
	v_and_b32_e32 v1, 0xff, v6
	s_or_b64 s[0:1], s[0:1], s[10:11]
; %bb.200:
	s_or_b64 exec, exec, s[4:5]
	v_mov_b32_dpp v6, v1 row_bcast:31 row_mask:0xf bank_mask:0xf bound_ctrl:1
	v_and_b32_e32 v7, 1, v6
	v_mov_b32_dpp v4, v2 row_bcast:31 row_mask:0xf bank_mask:0xf bound_ctrl:1
	v_mov_b32_dpp v5, v3 row_bcast:31 row_mask:0xf bank_mask:0xf bound_ctrl:1
	v_cmp_eq_u32_e32 vcc, 1, v7
	s_and_saveexec_b64 s[4:5], vcc
; %bb.201:
	v_cmp_lt_i64_e32 vcc, v[2:3], v[4:5]
	v_and_b32_e32 v1, 0xff, v6
	s_and_b64 vcc, s[0:1], vcc
	v_cndmask_b32_e32 v2, v4, v2, vcc
	v_cndmask_b32_e32 v3, v5, v3, vcc
	v_cndmask_b32_e64 v1, v1, 1, s[0:1]
; %bb.202:
	s_or_b64 exec, exec, s[4:5]
	v_mbcnt_lo_u32_b32 v4, -1, 0
	v_mbcnt_hi_u32_b32 v4, -1, v4
	v_bfrev_b32_e32 v5, 0.5
	v_lshl_or_b32 v5, v4, 2, v5
	ds_bpermute_b32 v6, v5, v1
	ds_bpermute_b32 v2, v5, v2
	;; [unrolled: 1-line block ×3, first 2 shown]
	v_cmp_eq_u32_e32 vcc, 0, v4
	s_and_saveexec_b64 s[0:1], vcc
	s_cbranch_execz .LBB1251_204
; %bb.203:
	v_lshrrev_b32_e32 v1, 2, v0
	v_and_b32_e32 v1, 48, v1
	s_waitcnt lgkmcnt(2)
	ds_write_b8 v1, v6
	s_waitcnt lgkmcnt(1)
	ds_write_b64 v1, v[2:3] offset:8
.LBB1251_204:
	s_or_b64 exec, exec, s[0:1]
	v_cmp_gt_u32_e32 vcc, 64, v0
	s_waitcnt lgkmcnt(0)
	s_barrier
	s_and_saveexec_b64 s[4:5], vcc
	s_cbranch_execz .LBB1251_206
; %bb.205:
	v_and_b32_e32 v1, 3, v4
	v_lshlrev_b32_e32 v2, 4, v1
	ds_read_u8 v5, v2
	ds_read_b64 v[2:3], v2 offset:8
	v_cmp_ne_u32_e32 vcc, 3, v1
	v_addc_co_u32_e32 v6, vcc, 0, v4, vcc
	s_waitcnt lgkmcnt(1)
	v_and_b32_e32 v7, 0xff, v5
	v_lshlrev_b32_e32 v8, 2, v6
	ds_bpermute_b32 v9, v8, v7
	s_waitcnt lgkmcnt(1)
	ds_bpermute_b32 v6, v8, v2
	ds_bpermute_b32 v7, v8, v3
	v_and_b32_e32 v8, 1, v5
	s_waitcnt lgkmcnt(2)
	v_and_b32_e32 v10, 1, v9
	v_cmp_eq_u32_e64 s[0:1], 1, v10
	s_waitcnt lgkmcnt(0)
	v_cmp_lt_i64_e32 vcc, v[6:7], v[2:3]
	s_and_b64 vcc, s[0:1], vcc
	v_cndmask_b32_e64 v5, v5, 1, s[0:1]
	v_cndmask_b32_e32 v2, v2, v6, vcc
	v_cndmask_b32_e32 v3, v3, v7, vcc
	v_cmp_eq_u32_e32 vcc, 1, v8
	v_cndmask_b32_e32 v8, v9, v5, vcc
	v_cndmask_b32_e32 v3, v7, v3, vcc
	;; [unrolled: 1-line block ×3, first 2 shown]
	v_cmp_gt_u32_e32 vcc, 2, v1
	v_cndmask_b32_e64 v1, 0, 1, vcc
	v_lshlrev_b32_e32 v1, 1, v1
	v_and_b32_e32 v5, 0xff, v8
	v_add_lshl_u32 v1, v1, v4, 2
	ds_bpermute_b32 v6, v1, v5
	ds_bpermute_b32 v4, v1, v2
	;; [unrolled: 1-line block ×3, first 2 shown]
	v_and_b32_e32 v1, 1, v8
	s_waitcnt lgkmcnt(2)
	v_and_b32_e32 v7, 1, v6
	v_cmp_eq_u32_e64 s[0:1], 1, v7
	s_waitcnt lgkmcnt(0)
	v_cmp_lt_i64_e32 vcc, v[4:5], v[2:3]
	s_and_b64 vcc, s[0:1], vcc
	v_cndmask_b32_e64 v7, v8, 1, s[0:1]
	v_cndmask_b32_e32 v2, v2, v4, vcc
	v_cndmask_b32_e32 v3, v3, v5, vcc
	v_cmp_eq_u32_e32 vcc, 1, v1
	v_cndmask_b32_e32 v1, v6, v7, vcc
	v_cndmask_b32_e32 v3, v5, v3, vcc
	;; [unrolled: 1-line block ×3, first 2 shown]
	v_and_b32_e32 v6, 0xff, v1
.LBB1251_206:
	s_or_b64 exec, exec, s[4:5]
	s_branch .LBB1251_235
.LBB1251_207:
                                        ; implicit-def: $vgpr4_vgpr5
                                        ; implicit-def: $vgpr1
                                        ; implicit-def: $sgpr6_sgpr7
.LBB1251_208:
	s_and_saveexec_b64 s[0:1], s[8:9]
	s_cbranch_execz .LBB1251_210
.LBB1251_209:
	s_lshl_b64 s[0:1], s[6:7], 4
	s_add_u32 s0, s22, s0
	s_addc_u32 s1, s23, s1
	v_mov_b32_e32 v0, 0
	s_waitcnt lgkmcnt(2)
	global_store_byte v0, v1, s[0:1]
	s_waitcnt lgkmcnt(0)
	global_store_dwordx2 v0, v[4:5], s[0:1] offset:8
.LBB1251_210:
	s_endpgm
.LBB1251_211:
                                        ; implicit-def: $vgpr2_vgpr3
                                        ; implicit-def: $vgpr6
	s_cbranch_execz .LBB1251_235
; %bb.212:
	s_sub_i32 s4, s20, s2
	v_cmp_gt_u32_e32 vcc, s4, v0
	v_pk_mov_b32 v[2:3], 0, 0
	v_mov_b32_e32 v7, 0
	s_and_saveexec_b64 s[0:1], vcc
	s_cbranch_execz .LBB1251_214
; %bb.213:
	s_add_u32 s5, s18, s2
	s_addc_u32 s10, s19, 0
	s_lshl_b64 s[2:3], s[2:3], 3
	s_add_u32 s2, s26, s2
	s_addc_u32 s3, s27, s3
	s_waitcnt lgkmcnt(2)
	v_lshlrev_b32_e32 v1, 3, v0
	s_waitcnt lgkmcnt(0)
	global_load_dwordx2 v[4:5], v1, s[2:3]
	v_mov_b32_e32 v1, s10
	v_add_co_u32_e32 v2, vcc, s5, v0
	v_addc_co_u32_e32 v3, vcc, 0, v1, vcc
	s_waitcnt vmcnt(0)
	v_cmp_eq_u64_e32 vcc, s[16:17], v[4:5]
	v_cndmask_b32_e64 v7, 0, 1, vcc
.LBB1251_214:
	s_or_b64 exec, exec, s[0:1]
	s_waitcnt lgkmcnt(2)
	v_mbcnt_lo_u32_b32 v1, -1, 0
	v_mbcnt_hi_u32_b32 v1, -1, v1
	v_and_b32_e32 v8, 63, v1
	v_cmp_ne_u32_e32 vcc, 63, v8
	s_waitcnt lgkmcnt(1)
	v_addc_co_u32_e32 v4, vcc, 0, v1, vcc
	v_and_b32_e32 v6, 0xffff, v7
	s_waitcnt lgkmcnt(0)
	v_lshlrev_b32_e32 v5, 2, v4
	ds_bpermute_b32 v10, v5, v6
	ds_bpermute_b32 v4, v5, v2
	;; [unrolled: 1-line block ×3, first 2 shown]
	s_min_u32 s4, s4, 0x100
	v_and_b32_e32 v9, 0xc0, v0
	v_sub_u32_e64 v9, s4, v9 clamp
	v_add_u32_e32 v11, 1, v8
	v_cmp_lt_u32_e32 vcc, v11, v9
	s_and_saveexec_b64 s[2:3], vcc
	s_cbranch_execz .LBB1251_216
; %bb.215:
	s_waitcnt lgkmcnt(2)
	v_and_b32_e32 v11, 1, v10
	s_waitcnt lgkmcnt(0)
	v_cmp_lt_i64_e32 vcc, v[4:5], v[2:3]
	v_cmp_eq_u32_e64 s[0:1], 1, v11
	v_and_b32_e32 v6, 1, v7
	s_and_b64 vcc, s[0:1], vcc
	v_cndmask_b32_e64 v7, v7, 1, s[0:1]
	v_cndmask_b32_e32 v2, v2, v4, vcc
	v_cndmask_b32_e32 v3, v3, v5, vcc
	v_cmp_eq_u32_e32 vcc, 1, v6
	v_cndmask_b32_e32 v7, v10, v7, vcc
	v_cndmask_b32_e32 v3, v5, v3, vcc
	v_cndmask_b32_e32 v2, v4, v2, vcc
	v_and_b32_e32 v6, 0xff, v7
.LBB1251_216:
	s_or_b64 exec, exec, s[2:3]
	v_cmp_gt_u32_e32 vcc, 62, v8
	s_waitcnt lgkmcnt(1)
	v_cndmask_b32_e64 v4, 0, 1, vcc
	v_lshlrev_b32_e32 v4, 1, v4
	s_waitcnt lgkmcnt(0)
	v_add_lshl_u32 v5, v4, v1, 2
	ds_bpermute_b32 v10, v5, v6
	ds_bpermute_b32 v4, v5, v2
	ds_bpermute_b32 v5, v5, v3
	v_add_u32_e32 v11, 2, v8
	v_cmp_lt_u32_e32 vcc, v11, v9
	s_and_saveexec_b64 s[2:3], vcc
	s_cbranch_execz .LBB1251_218
; %bb.217:
	s_waitcnt lgkmcnt(2)
	v_and_b32_e32 v11, 1, v10
	s_waitcnt lgkmcnt(0)
	v_cmp_lt_i64_e32 vcc, v[4:5], v[2:3]
	v_cmp_eq_u32_e64 s[0:1], 1, v11
	v_and_b32_e32 v6, 1, v7
	s_and_b64 vcc, s[0:1], vcc
	v_cndmask_b32_e64 v7, v7, 1, s[0:1]
	v_cndmask_b32_e32 v2, v2, v4, vcc
	v_cndmask_b32_e32 v3, v3, v5, vcc
	v_cmp_eq_u32_e32 vcc, 1, v6
	v_cndmask_b32_e32 v7, v10, v7, vcc
	v_cndmask_b32_e32 v3, v5, v3, vcc
	v_cndmask_b32_e32 v2, v4, v2, vcc
	v_and_b32_e32 v6, 0xff, v7
.LBB1251_218:
	s_or_b64 exec, exec, s[2:3]
	v_cmp_gt_u32_e32 vcc, 60, v8
	s_waitcnt lgkmcnt(1)
	v_cndmask_b32_e64 v4, 0, 1, vcc
	v_lshlrev_b32_e32 v4, 2, v4
	s_waitcnt lgkmcnt(0)
	v_add_lshl_u32 v5, v4, v1, 2
	ds_bpermute_b32 v10, v5, v6
	ds_bpermute_b32 v4, v5, v2
	ds_bpermute_b32 v5, v5, v3
	;; [unrolled: 31-line block ×5, first 2 shown]
	v_add_u32_e32 v8, 32, v8
	v_cmp_lt_u32_e32 vcc, v8, v9
	s_and_saveexec_b64 s[2:3], vcc
	s_cbranch_execz .LBB1251_226
; %bb.225:
	s_waitcnt lgkmcnt(2)
	v_and_b32_e32 v8, 1, v10
	s_waitcnt lgkmcnt(0)
	v_cmp_lt_i64_e32 vcc, v[4:5], v[2:3]
	v_cmp_eq_u32_e64 s[0:1], 1, v8
	v_and_b32_e32 v6, 1, v7
	s_and_b64 vcc, s[0:1], vcc
	v_cndmask_b32_e64 v7, v7, 1, s[0:1]
	v_cndmask_b32_e32 v2, v2, v4, vcc
	v_cndmask_b32_e32 v3, v3, v5, vcc
	v_cmp_eq_u32_e32 vcc, 1, v6
	v_cndmask_b32_e32 v7, v10, v7, vcc
	v_cndmask_b32_e32 v3, v5, v3, vcc
	;; [unrolled: 1-line block ×3, first 2 shown]
	v_and_b32_e32 v6, 0xff, v7
.LBB1251_226:
	s_or_b64 exec, exec, s[2:3]
	v_cmp_eq_u32_e32 vcc, 0, v1
	s_and_saveexec_b64 s[0:1], vcc
	s_cbranch_execz .LBB1251_228
; %bb.227:
	s_waitcnt lgkmcnt(1)
	v_lshrrev_b32_e32 v4, 2, v0
	v_and_b32_e32 v4, 48, v4
	ds_write_b8 v4, v7 offset:256
	ds_write_b64 v4, v[2:3] offset:264
.LBB1251_228:
	s_or_b64 exec, exec, s[0:1]
	v_cmp_gt_u32_e32 vcc, 4, v0
	s_waitcnt lgkmcnt(0)
	s_barrier
	s_and_saveexec_b64 s[2:3], vcc
	s_cbranch_execz .LBB1251_234
; %bb.229:
	v_lshlrev_b32_e32 v2, 4, v1
	ds_read_u8 v7, v2 offset:256
	ds_read_b64 v[2:3], v2 offset:264
	v_and_b32_e32 v8, 3, v1
	v_cmp_ne_u32_e32 vcc, 3, v8
	v_addc_co_u32_e32 v4, vcc, 0, v1, vcc
	s_waitcnt lgkmcnt(1)
	v_and_b32_e32 v6, 0xff, v7
	v_lshlrev_b32_e32 v5, 2, v4
	ds_bpermute_b32 v9, v5, v6
	s_waitcnt lgkmcnt(1)
	ds_bpermute_b32 v4, v5, v2
	ds_bpermute_b32 v5, v5, v3
	s_add_i32 s4, s4, 63
	s_lshr_b32 s10, s4, 6
	v_add_u32_e32 v10, 1, v8
	v_cmp_gt_u32_e32 vcc, s10, v10
	s_and_saveexec_b64 s[4:5], vcc
	s_cbranch_execz .LBB1251_231
; %bb.230:
	s_waitcnt lgkmcnt(2)
	v_and_b32_e32 v10, 1, v9
	s_waitcnt lgkmcnt(0)
	v_cmp_lt_i64_e32 vcc, v[4:5], v[2:3]
	v_cmp_eq_u32_e64 s[0:1], 1, v10
	v_and_b32_e32 v6, 1, v7
	s_and_b64 vcc, s[0:1], vcc
	v_cndmask_b32_e64 v7, v7, 1, s[0:1]
	v_cndmask_b32_e32 v2, v2, v4, vcc
	v_cndmask_b32_e32 v3, v3, v5, vcc
	v_cmp_eq_u32_e32 vcc, 1, v6
	v_cndmask_b32_e32 v7, v9, v7, vcc
	v_cndmask_b32_e32 v3, v5, v3, vcc
	;; [unrolled: 1-line block ×3, first 2 shown]
	v_and_b32_e32 v6, 0xff, v7
.LBB1251_231:
	s_or_b64 exec, exec, s[4:5]
	v_cmp_gt_u32_e32 vcc, 2, v8
	s_waitcnt lgkmcnt(1)
	v_cndmask_b32_e64 v4, 0, 1, vcc
	v_lshlrev_b32_e32 v4, 1, v4
	s_waitcnt lgkmcnt(0)
	v_add_lshl_u32 v5, v4, v1, 2
	ds_bpermute_b32 v1, v5, v6
	ds_bpermute_b32 v4, v5, v2
	;; [unrolled: 1-line block ×3, first 2 shown]
	v_add_u32_e32 v8, 2, v8
	v_cmp_gt_u32_e32 vcc, s10, v8
	s_and_saveexec_b64 s[4:5], vcc
	s_cbranch_execz .LBB1251_233
; %bb.232:
	s_waitcnt lgkmcnt(2)
	v_and_b32_e32 v8, 1, v1
	s_waitcnt lgkmcnt(0)
	v_cmp_lt_i64_e32 vcc, v[4:5], v[2:3]
	v_cmp_eq_u32_e64 s[0:1], 1, v8
	v_and_b32_e32 v6, 1, v7
	s_and_b64 vcc, s[0:1], vcc
	v_cndmask_b32_e64 v7, v7, 1, s[0:1]
	v_cndmask_b32_e32 v2, v2, v4, vcc
	v_cndmask_b32_e32 v3, v3, v5, vcc
	v_cmp_eq_u32_e32 vcc, 1, v6
	v_cndmask_b32_e32 v1, v1, v7, vcc
	v_cndmask_b32_e32 v3, v5, v3, vcc
	;; [unrolled: 1-line block ×3, first 2 shown]
	v_and_b32_e32 v6, 0xff, v1
.LBB1251_233:
	s_or_b64 exec, exec, s[4:5]
.LBB1251_234:
	s_or_b64 exec, exec, s[2:3]
.LBB1251_235:
	v_cmp_eq_u32_e32 vcc, 0, v0
                                        ; implicit-def: $vgpr4_vgpr5
                                        ; implicit-def: $vgpr1
	s_and_saveexec_b64 s[4:5], vcc
	s_cbranch_execz .LBB1251_239
; %bb.236:
	s_cmp_eq_u64 s[20:21], 0
	s_waitcnt lgkmcnt(0)
	v_pk_mov_b32 v[4:5], s[24:25], s[24:25] op_sel:[0,1]
	v_mov_b32_e32 v1, s33
	s_cbranch_scc1 .LBB1251_238
; %bb.237:
	v_and_b32_e32 v0, 1, v6
	s_bitcmp1_b32 s33, 0
	v_mov_b32_e32 v1, s33
	v_cmp_eq_u32_e32 vcc, 1, v0
	v_cmp_gt_i64_e64 s[2:3], s[24:25], v[2:3]
	v_cndmask_b32_e64 v0, v1, 1, vcc
	s_cselect_b64 s[0:1], -1, 0
	v_mov_b32_e32 v1, s24
	s_and_b64 vcc, vcc, s[2:3]
	v_cndmask_b32_e32 v4, v1, v2, vcc
	v_mov_b32_e32 v1, s25
	v_cndmask_b32_e32 v5, v1, v3, vcc
	v_cndmask_b32_e64 v1, v6, v0, s[0:1]
	v_cndmask_b32_e64 v5, v3, v5, s[0:1]
	;; [unrolled: 1-line block ×3, first 2 shown]
.LBB1251_238:
	s_or_b64 s[8:9], s[8:9], exec
.LBB1251_239:
	s_or_b64 exec, exec, s[4:5]
	s_and_saveexec_b64 s[0:1], s[8:9]
	s_cbranch_execnz .LBB1251_209
	s_branch .LBB1251_210
.LBB1251_240:
	v_lshlrev_b32_e32 v4, 3, v25
	global_load_dwordx2 v[26:27], v4, s[14:15]
	v_mov_b32_e32 v5, s36
	v_add_co_u32_e64 v4, s[14:15], s35, v25
	v_addc_co_u32_e64 v5, s[14:15], 0, v5, s[14:15]
	s_waitcnt vmcnt(0)
	v_cmp_eq_u64_e64 s[14:15], s[16:17], v[26:27]
	v_cndmask_b32_e64 v18, 0, 1, s[14:15]
	s_or_b64 exec, exec, s[30:31]
	s_and_saveexec_b64 s[30:31], s[12:13]
	s_cbranch_execz .LBB1251_61
.LBB1251_241:
	v_and_b32_e32 v26, 1, v21
	v_cmp_lt_i64_e64 s[12:13], v[10:11], v[2:3]
	v_cmp_eq_u32_e64 s[14:15], 1, v26
	v_and_b32_e32 v25, 1, v1
	s_and_b64 s[12:13], s[14:15], s[12:13]
	v_cndmask_b32_e64 v1, v1, 1, s[14:15]
	v_cndmask_b32_e64 v2, v2, v10, s[12:13]
	;; [unrolled: 1-line block ×3, first 2 shown]
	v_cmp_eq_u32_e64 s[12:13], 1, v25
	v_cndmask_b32_e64 v1, v21, v1, s[12:13]
	v_cndmask_b32_e64 v3, v11, v3, s[12:13]
	;; [unrolled: 1-line block ×3, first 2 shown]
	s_or_b64 exec, exec, s[30:31]
	s_and_saveexec_b64 s[14:15], s[10:11]
	s_cbranch_execz .LBB1251_62
.LBB1251_242:
	v_and_b32_e32 v11, 1, v24
	v_cmp_lt_i64_e64 s[10:11], v[16:17], v[2:3]
	v_cmp_eq_u32_e64 s[12:13], 1, v11
	v_and_b32_e32 v10, 1, v1
	s_and_b64 s[10:11], s[12:13], s[10:11]
	v_cndmask_b32_e64 v1, v1, 1, s[12:13]
	v_cndmask_b32_e64 v2, v2, v16, s[10:11]
	;; [unrolled: 1-line block ×3, first 2 shown]
	v_cmp_eq_u32_e64 s[10:11], 1, v10
	v_cndmask_b32_e64 v1, v24, v1, s[10:11]
	v_cndmask_b32_e64 v3, v17, v3, s[10:11]
	;; [unrolled: 1-line block ×3, first 2 shown]
	s_or_b64 exec, exec, s[14:15]
	s_and_saveexec_b64 s[12:13], s[8:9]
	s_cbranch_execz .LBB1251_63
.LBB1251_243:
	v_and_b32_e32 v11, 1, v20
	v_cmp_lt_i64_e64 s[8:9], v[8:9], v[2:3]
	v_cmp_eq_u32_e64 s[10:11], 1, v11
	v_and_b32_e32 v10, 1, v1
	s_and_b64 s[8:9], s[10:11], s[8:9]
	v_cndmask_b32_e64 v1, v1, 1, s[10:11]
	v_cndmask_b32_e64 v2, v2, v8, s[8:9]
	;; [unrolled: 1-line block ×3, first 2 shown]
	v_cmp_eq_u32_e64 s[8:9], 1, v10
	v_cndmask_b32_e64 v1, v20, v1, s[8:9]
	v_cndmask_b32_e64 v3, v9, v3, s[8:9]
	;; [unrolled: 1-line block ×3, first 2 shown]
	s_or_b64 exec, exec, s[12:13]
	s_and_saveexec_b64 s[10:11], s[4:5]
	s_cbranch_execz .LBB1251_64
.LBB1251_244:
	v_and_b32_e32 v9, 1, v23
	v_cmp_lt_i64_e64 s[4:5], v[14:15], v[2:3]
	v_cmp_eq_u32_e64 s[8:9], 1, v9
	v_and_b32_e32 v8, 1, v1
	s_and_b64 s[4:5], s[8:9], s[4:5]
	v_cndmask_b32_e64 v1, v1, 1, s[8:9]
	v_cndmask_b32_e64 v2, v2, v14, s[4:5]
	;; [unrolled: 1-line block ×3, first 2 shown]
	v_cmp_eq_u32_e64 s[4:5], 1, v8
	v_cndmask_b32_e64 v1, v23, v1, s[4:5]
	v_cndmask_b32_e64 v3, v15, v3, s[4:5]
	;; [unrolled: 1-line block ×3, first 2 shown]
	s_or_b64 exec, exec, s[10:11]
	s_and_saveexec_b64 s[8:9], s[2:3]
	s_cbranch_execz .LBB1251_65
.LBB1251_245:
	v_and_b32_e32 v9, 1, v19
	v_cmp_lt_i64_e64 s[2:3], v[6:7], v[2:3]
	v_cmp_eq_u32_e64 s[4:5], 1, v9
	v_and_b32_e32 v8, 1, v1
	s_and_b64 s[2:3], s[4:5], s[2:3]
	v_cndmask_b32_e64 v1, v1, 1, s[4:5]
	v_cndmask_b32_e64 v2, v2, v6, s[2:3]
	v_cndmask_b32_e64 v3, v3, v7, s[2:3]
	v_cmp_eq_u32_e64 s[2:3], 1, v8
	v_cndmask_b32_e64 v1, v19, v1, s[2:3]
	v_cndmask_b32_e64 v3, v7, v3, s[2:3]
	;; [unrolled: 1-line block ×3, first 2 shown]
	s_or_b64 exec, exec, s[8:9]
	s_and_saveexec_b64 s[4:5], s[0:1]
	s_cbranch_execz .LBB1251_66
.LBB1251_246:
	v_and_b32_e32 v7, 1, v22
	v_cmp_lt_i64_e64 s[0:1], v[12:13], v[2:3]
	v_cmp_eq_u32_e64 s[2:3], 1, v7
	v_and_b32_e32 v6, 1, v1
	s_and_b64 s[0:1], s[2:3], s[0:1]
	v_cndmask_b32_e64 v1, v1, 1, s[2:3]
	v_cndmask_b32_e64 v2, v2, v12, s[0:1]
	;; [unrolled: 1-line block ×3, first 2 shown]
	v_cmp_eq_u32_e64 s[0:1], 1, v6
	v_cndmask_b32_e64 v1, v22, v1, s[0:1]
	v_cndmask_b32_e64 v3, v13, v3, s[0:1]
	;; [unrolled: 1-line block ×3, first 2 shown]
	s_or_b64 exec, exec, s[4:5]
	s_and_saveexec_b64 s[2:3], vcc
	s_cbranch_execnz .LBB1251_67
	s_branch .LBB1251_68
.LBB1251_247:
	v_lshlrev_b32_e32 v1, 3, v13
	global_load_dwordx2 v[14:15], v1, s[4:5]
	v_mov_b32_e32 v1, s13
	v_add_co_u32_e64 v4, s[4:5], s12, v13
	v_addc_co_u32_e64 v5, s[4:5], 0, v1, s[4:5]
	s_waitcnt vmcnt(0)
	v_cmp_eq_u64_e64 s[4:5], s[16:17], v[14:15]
	v_cndmask_b32_e64 v1, 0, 1, s[4:5]
	s_or_b64 exec, exec, s[10:11]
	s_and_saveexec_b64 s[10:11], s[2:3]
	s_cbranch_execz .LBB1251_104
.LBB1251_248:
	v_and_b32_e32 v14, 1, v11
	v_cmp_lt_i64_e64 s[2:3], v[6:7], v[2:3]
	v_cmp_eq_u32_e64 s[4:5], 1, v14
	v_and_b32_e32 v13, 1, v10
	s_and_b64 s[2:3], s[4:5], s[2:3]
	v_cndmask_b32_e64 v10, v10, 1, s[4:5]
	v_cndmask_b32_e64 v2, v2, v6, s[2:3]
	;; [unrolled: 1-line block ×3, first 2 shown]
	v_cmp_eq_u32_e64 s[2:3], 1, v13
	v_cndmask_b32_e64 v10, v11, v10, s[2:3]
	v_cndmask_b32_e64 v3, v7, v3, s[2:3]
	;; [unrolled: 1-line block ×3, first 2 shown]
	s_or_b64 exec, exec, s[10:11]
	s_and_saveexec_b64 s[4:5], s[0:1]
	s_cbranch_execz .LBB1251_105
.LBB1251_249:
	v_and_b32_e32 v7, 1, v12
	v_cmp_lt_i64_e64 s[0:1], v[8:9], v[2:3]
	v_cmp_eq_u32_e64 s[2:3], 1, v7
	v_and_b32_e32 v6, 1, v10
	s_and_b64 s[0:1], s[2:3], s[0:1]
	v_cndmask_b32_e64 v7, v10, 1, s[2:3]
	v_cndmask_b32_e64 v2, v2, v8, s[0:1]
	v_cndmask_b32_e64 v3, v3, v9, s[0:1]
	v_cmp_eq_u32_e64 s[0:1], 1, v6
	v_cndmask_b32_e64 v10, v12, v7, s[0:1]
	v_cndmask_b32_e64 v3, v9, v3, s[0:1]
	;; [unrolled: 1-line block ×3, first 2 shown]
	s_or_b64 exec, exec, s[4:5]
	s_and_saveexec_b64 s[2:3], vcc
	s_cbranch_execnz .LBB1251_106
	s_branch .LBB1251_107
	.section	.rodata,"a",@progbits
	.p2align	6, 0x0
	.amdhsa_kernel _ZN7rocprim17ROCPRIM_400000_NS6detail17trampoline_kernelINS0_14default_configENS1_22reduce_config_selectorIN6thrust23THRUST_200600_302600_NS5tupleIblNS6_9null_typeES8_S8_S8_S8_S8_S8_S8_EEEEZNS1_11reduce_implILb1ES3_NS6_12zip_iteratorINS7_INS6_11hip_rocprim26transform_input_iterator_tIbPlNS6_6detail10functional5actorINSH_9compositeIJNSH_27transparent_binary_operatorINS6_8equal_toIvEEEENSI_INSH_8argumentILj0EEEEENSH_5valueIlEEEEEEEEENSD_19counting_iterator_tIlEES8_S8_S8_S8_S8_S8_S8_S8_EEEEPS9_S9_NSD_9__find_if7functorIS9_EEEE10hipError_tPvRmT1_T2_T3_mT4_P12ihipStream_tbEUlT_E1_NS1_11comp_targetILNS1_3genE4ELNS1_11target_archE910ELNS1_3gpuE8ELNS1_3repE0EEENS1_30default_config_static_selectorELNS0_4arch9wavefront6targetE1EEEvS17_
		.amdhsa_group_segment_fixed_size 320
		.amdhsa_private_segment_fixed_size 0
		.amdhsa_kernarg_size 80
		.amdhsa_user_sgpr_count 6
		.amdhsa_user_sgpr_private_segment_buffer 1
		.amdhsa_user_sgpr_dispatch_ptr 0
		.amdhsa_user_sgpr_queue_ptr 0
		.amdhsa_user_sgpr_kernarg_segment_ptr 1
		.amdhsa_user_sgpr_dispatch_id 0
		.amdhsa_user_sgpr_flat_scratch_init 0
		.amdhsa_user_sgpr_kernarg_preload_length 0
		.amdhsa_user_sgpr_kernarg_preload_offset 0
		.amdhsa_user_sgpr_private_segment_size 0
		.amdhsa_uses_dynamic_stack 0
		.amdhsa_system_sgpr_private_segment_wavefront_offset 0
		.amdhsa_system_sgpr_workgroup_id_x 1
		.amdhsa_system_sgpr_workgroup_id_y 0
		.amdhsa_system_sgpr_workgroup_id_z 0
		.amdhsa_system_sgpr_workgroup_info 0
		.amdhsa_system_vgpr_workitem_id 0
		.amdhsa_next_free_vgpr 28
		.amdhsa_next_free_sgpr 38
		.amdhsa_accum_offset 28
		.amdhsa_reserve_vcc 1
		.amdhsa_reserve_flat_scratch 0
		.amdhsa_float_round_mode_32 0
		.amdhsa_float_round_mode_16_64 0
		.amdhsa_float_denorm_mode_32 3
		.amdhsa_float_denorm_mode_16_64 3
		.amdhsa_dx10_clamp 1
		.amdhsa_ieee_mode 1
		.amdhsa_fp16_overflow 0
		.amdhsa_tg_split 0
		.amdhsa_exception_fp_ieee_invalid_op 0
		.amdhsa_exception_fp_denorm_src 0
		.amdhsa_exception_fp_ieee_div_zero 0
		.amdhsa_exception_fp_ieee_overflow 0
		.amdhsa_exception_fp_ieee_underflow 0
		.amdhsa_exception_fp_ieee_inexact 0
		.amdhsa_exception_int_div_zero 0
	.end_amdhsa_kernel
	.section	.text._ZN7rocprim17ROCPRIM_400000_NS6detail17trampoline_kernelINS0_14default_configENS1_22reduce_config_selectorIN6thrust23THRUST_200600_302600_NS5tupleIblNS6_9null_typeES8_S8_S8_S8_S8_S8_S8_EEEEZNS1_11reduce_implILb1ES3_NS6_12zip_iteratorINS7_INS6_11hip_rocprim26transform_input_iterator_tIbPlNS6_6detail10functional5actorINSH_9compositeIJNSH_27transparent_binary_operatorINS6_8equal_toIvEEEENSI_INSH_8argumentILj0EEEEENSH_5valueIlEEEEEEEEENSD_19counting_iterator_tIlEES8_S8_S8_S8_S8_S8_S8_S8_EEEEPS9_S9_NSD_9__find_if7functorIS9_EEEE10hipError_tPvRmT1_T2_T3_mT4_P12ihipStream_tbEUlT_E1_NS1_11comp_targetILNS1_3genE4ELNS1_11target_archE910ELNS1_3gpuE8ELNS1_3repE0EEENS1_30default_config_static_selectorELNS0_4arch9wavefront6targetE1EEEvS17_,"axG",@progbits,_ZN7rocprim17ROCPRIM_400000_NS6detail17trampoline_kernelINS0_14default_configENS1_22reduce_config_selectorIN6thrust23THRUST_200600_302600_NS5tupleIblNS6_9null_typeES8_S8_S8_S8_S8_S8_S8_EEEEZNS1_11reduce_implILb1ES3_NS6_12zip_iteratorINS7_INS6_11hip_rocprim26transform_input_iterator_tIbPlNS6_6detail10functional5actorINSH_9compositeIJNSH_27transparent_binary_operatorINS6_8equal_toIvEEEENSI_INSH_8argumentILj0EEEEENSH_5valueIlEEEEEEEEENSD_19counting_iterator_tIlEES8_S8_S8_S8_S8_S8_S8_S8_EEEEPS9_S9_NSD_9__find_if7functorIS9_EEEE10hipError_tPvRmT1_T2_T3_mT4_P12ihipStream_tbEUlT_E1_NS1_11comp_targetILNS1_3genE4ELNS1_11target_archE910ELNS1_3gpuE8ELNS1_3repE0EEENS1_30default_config_static_selectorELNS0_4arch9wavefront6targetE1EEEvS17_,comdat
.Lfunc_end1251:
	.size	_ZN7rocprim17ROCPRIM_400000_NS6detail17trampoline_kernelINS0_14default_configENS1_22reduce_config_selectorIN6thrust23THRUST_200600_302600_NS5tupleIblNS6_9null_typeES8_S8_S8_S8_S8_S8_S8_EEEEZNS1_11reduce_implILb1ES3_NS6_12zip_iteratorINS7_INS6_11hip_rocprim26transform_input_iterator_tIbPlNS6_6detail10functional5actorINSH_9compositeIJNSH_27transparent_binary_operatorINS6_8equal_toIvEEEENSI_INSH_8argumentILj0EEEEENSH_5valueIlEEEEEEEEENSD_19counting_iterator_tIlEES8_S8_S8_S8_S8_S8_S8_S8_EEEEPS9_S9_NSD_9__find_if7functorIS9_EEEE10hipError_tPvRmT1_T2_T3_mT4_P12ihipStream_tbEUlT_E1_NS1_11comp_targetILNS1_3genE4ELNS1_11target_archE910ELNS1_3gpuE8ELNS1_3repE0EEENS1_30default_config_static_selectorELNS0_4arch9wavefront6targetE1EEEvS17_, .Lfunc_end1251-_ZN7rocprim17ROCPRIM_400000_NS6detail17trampoline_kernelINS0_14default_configENS1_22reduce_config_selectorIN6thrust23THRUST_200600_302600_NS5tupleIblNS6_9null_typeES8_S8_S8_S8_S8_S8_S8_EEEEZNS1_11reduce_implILb1ES3_NS6_12zip_iteratorINS7_INS6_11hip_rocprim26transform_input_iterator_tIbPlNS6_6detail10functional5actorINSH_9compositeIJNSH_27transparent_binary_operatorINS6_8equal_toIvEEEENSI_INSH_8argumentILj0EEEEENSH_5valueIlEEEEEEEEENSD_19counting_iterator_tIlEES8_S8_S8_S8_S8_S8_S8_S8_EEEEPS9_S9_NSD_9__find_if7functorIS9_EEEE10hipError_tPvRmT1_T2_T3_mT4_P12ihipStream_tbEUlT_E1_NS1_11comp_targetILNS1_3genE4ELNS1_11target_archE910ELNS1_3gpuE8ELNS1_3repE0EEENS1_30default_config_static_selectorELNS0_4arch9wavefront6targetE1EEEvS17_
                                        ; -- End function
	.section	.AMDGPU.csdata,"",@progbits
; Kernel info:
; codeLenInByte = 12988
; NumSgprs: 42
; NumVgprs: 28
; NumAgprs: 0
; TotalNumVgprs: 28
; ScratchSize: 0
; MemoryBound: 0
; FloatMode: 240
; IeeeMode: 1
; LDSByteSize: 320 bytes/workgroup (compile time only)
; SGPRBlocks: 5
; VGPRBlocks: 3
; NumSGPRsForWavesPerEU: 42
; NumVGPRsForWavesPerEU: 28
; AccumOffset: 28
; Occupancy: 8
; WaveLimiterHint : 1
; COMPUTE_PGM_RSRC2:SCRATCH_EN: 0
; COMPUTE_PGM_RSRC2:USER_SGPR: 6
; COMPUTE_PGM_RSRC2:TRAP_HANDLER: 0
; COMPUTE_PGM_RSRC2:TGID_X_EN: 1
; COMPUTE_PGM_RSRC2:TGID_Y_EN: 0
; COMPUTE_PGM_RSRC2:TGID_Z_EN: 0
; COMPUTE_PGM_RSRC2:TIDIG_COMP_CNT: 0
; COMPUTE_PGM_RSRC3_GFX90A:ACCUM_OFFSET: 6
; COMPUTE_PGM_RSRC3_GFX90A:TG_SPLIT: 0
	.section	.text._ZN7rocprim17ROCPRIM_400000_NS6detail17trampoline_kernelINS0_14default_configENS1_22reduce_config_selectorIN6thrust23THRUST_200600_302600_NS5tupleIblNS6_9null_typeES8_S8_S8_S8_S8_S8_S8_EEEEZNS1_11reduce_implILb1ES3_NS6_12zip_iteratorINS7_INS6_11hip_rocprim26transform_input_iterator_tIbPlNS6_6detail10functional5actorINSH_9compositeIJNSH_27transparent_binary_operatorINS6_8equal_toIvEEEENSI_INSH_8argumentILj0EEEEENSH_5valueIlEEEEEEEEENSD_19counting_iterator_tIlEES8_S8_S8_S8_S8_S8_S8_S8_EEEEPS9_S9_NSD_9__find_if7functorIS9_EEEE10hipError_tPvRmT1_T2_T3_mT4_P12ihipStream_tbEUlT_E1_NS1_11comp_targetILNS1_3genE3ELNS1_11target_archE908ELNS1_3gpuE7ELNS1_3repE0EEENS1_30default_config_static_selectorELNS0_4arch9wavefront6targetE1EEEvS17_,"axG",@progbits,_ZN7rocprim17ROCPRIM_400000_NS6detail17trampoline_kernelINS0_14default_configENS1_22reduce_config_selectorIN6thrust23THRUST_200600_302600_NS5tupleIblNS6_9null_typeES8_S8_S8_S8_S8_S8_S8_EEEEZNS1_11reduce_implILb1ES3_NS6_12zip_iteratorINS7_INS6_11hip_rocprim26transform_input_iterator_tIbPlNS6_6detail10functional5actorINSH_9compositeIJNSH_27transparent_binary_operatorINS6_8equal_toIvEEEENSI_INSH_8argumentILj0EEEEENSH_5valueIlEEEEEEEEENSD_19counting_iterator_tIlEES8_S8_S8_S8_S8_S8_S8_S8_EEEEPS9_S9_NSD_9__find_if7functorIS9_EEEE10hipError_tPvRmT1_T2_T3_mT4_P12ihipStream_tbEUlT_E1_NS1_11comp_targetILNS1_3genE3ELNS1_11target_archE908ELNS1_3gpuE7ELNS1_3repE0EEENS1_30default_config_static_selectorELNS0_4arch9wavefront6targetE1EEEvS17_,comdat
	.protected	_ZN7rocprim17ROCPRIM_400000_NS6detail17trampoline_kernelINS0_14default_configENS1_22reduce_config_selectorIN6thrust23THRUST_200600_302600_NS5tupleIblNS6_9null_typeES8_S8_S8_S8_S8_S8_S8_EEEEZNS1_11reduce_implILb1ES3_NS6_12zip_iteratorINS7_INS6_11hip_rocprim26transform_input_iterator_tIbPlNS6_6detail10functional5actorINSH_9compositeIJNSH_27transparent_binary_operatorINS6_8equal_toIvEEEENSI_INSH_8argumentILj0EEEEENSH_5valueIlEEEEEEEEENSD_19counting_iterator_tIlEES8_S8_S8_S8_S8_S8_S8_S8_EEEEPS9_S9_NSD_9__find_if7functorIS9_EEEE10hipError_tPvRmT1_T2_T3_mT4_P12ihipStream_tbEUlT_E1_NS1_11comp_targetILNS1_3genE3ELNS1_11target_archE908ELNS1_3gpuE7ELNS1_3repE0EEENS1_30default_config_static_selectorELNS0_4arch9wavefront6targetE1EEEvS17_ ; -- Begin function _ZN7rocprim17ROCPRIM_400000_NS6detail17trampoline_kernelINS0_14default_configENS1_22reduce_config_selectorIN6thrust23THRUST_200600_302600_NS5tupleIblNS6_9null_typeES8_S8_S8_S8_S8_S8_S8_EEEEZNS1_11reduce_implILb1ES3_NS6_12zip_iteratorINS7_INS6_11hip_rocprim26transform_input_iterator_tIbPlNS6_6detail10functional5actorINSH_9compositeIJNSH_27transparent_binary_operatorINS6_8equal_toIvEEEENSI_INSH_8argumentILj0EEEEENSH_5valueIlEEEEEEEEENSD_19counting_iterator_tIlEES8_S8_S8_S8_S8_S8_S8_S8_EEEEPS9_S9_NSD_9__find_if7functorIS9_EEEE10hipError_tPvRmT1_T2_T3_mT4_P12ihipStream_tbEUlT_E1_NS1_11comp_targetILNS1_3genE3ELNS1_11target_archE908ELNS1_3gpuE7ELNS1_3repE0EEENS1_30default_config_static_selectorELNS0_4arch9wavefront6targetE1EEEvS17_
	.globl	_ZN7rocprim17ROCPRIM_400000_NS6detail17trampoline_kernelINS0_14default_configENS1_22reduce_config_selectorIN6thrust23THRUST_200600_302600_NS5tupleIblNS6_9null_typeES8_S8_S8_S8_S8_S8_S8_EEEEZNS1_11reduce_implILb1ES3_NS6_12zip_iteratorINS7_INS6_11hip_rocprim26transform_input_iterator_tIbPlNS6_6detail10functional5actorINSH_9compositeIJNSH_27transparent_binary_operatorINS6_8equal_toIvEEEENSI_INSH_8argumentILj0EEEEENSH_5valueIlEEEEEEEEENSD_19counting_iterator_tIlEES8_S8_S8_S8_S8_S8_S8_S8_EEEEPS9_S9_NSD_9__find_if7functorIS9_EEEE10hipError_tPvRmT1_T2_T3_mT4_P12ihipStream_tbEUlT_E1_NS1_11comp_targetILNS1_3genE3ELNS1_11target_archE908ELNS1_3gpuE7ELNS1_3repE0EEENS1_30default_config_static_selectorELNS0_4arch9wavefront6targetE1EEEvS17_
	.p2align	8
	.type	_ZN7rocprim17ROCPRIM_400000_NS6detail17trampoline_kernelINS0_14default_configENS1_22reduce_config_selectorIN6thrust23THRUST_200600_302600_NS5tupleIblNS6_9null_typeES8_S8_S8_S8_S8_S8_S8_EEEEZNS1_11reduce_implILb1ES3_NS6_12zip_iteratorINS7_INS6_11hip_rocprim26transform_input_iterator_tIbPlNS6_6detail10functional5actorINSH_9compositeIJNSH_27transparent_binary_operatorINS6_8equal_toIvEEEENSI_INSH_8argumentILj0EEEEENSH_5valueIlEEEEEEEEENSD_19counting_iterator_tIlEES8_S8_S8_S8_S8_S8_S8_S8_EEEEPS9_S9_NSD_9__find_if7functorIS9_EEEE10hipError_tPvRmT1_T2_T3_mT4_P12ihipStream_tbEUlT_E1_NS1_11comp_targetILNS1_3genE3ELNS1_11target_archE908ELNS1_3gpuE7ELNS1_3repE0EEENS1_30default_config_static_selectorELNS0_4arch9wavefront6targetE1EEEvS17_,@function
_ZN7rocprim17ROCPRIM_400000_NS6detail17trampoline_kernelINS0_14default_configENS1_22reduce_config_selectorIN6thrust23THRUST_200600_302600_NS5tupleIblNS6_9null_typeES8_S8_S8_S8_S8_S8_S8_EEEEZNS1_11reduce_implILb1ES3_NS6_12zip_iteratorINS7_INS6_11hip_rocprim26transform_input_iterator_tIbPlNS6_6detail10functional5actorINSH_9compositeIJNSH_27transparent_binary_operatorINS6_8equal_toIvEEEENSI_INSH_8argumentILj0EEEEENSH_5valueIlEEEEEEEEENSD_19counting_iterator_tIlEES8_S8_S8_S8_S8_S8_S8_S8_EEEEPS9_S9_NSD_9__find_if7functorIS9_EEEE10hipError_tPvRmT1_T2_T3_mT4_P12ihipStream_tbEUlT_E1_NS1_11comp_targetILNS1_3genE3ELNS1_11target_archE908ELNS1_3gpuE7ELNS1_3repE0EEENS1_30default_config_static_selectorELNS0_4arch9wavefront6targetE1EEEvS17_: ; @_ZN7rocprim17ROCPRIM_400000_NS6detail17trampoline_kernelINS0_14default_configENS1_22reduce_config_selectorIN6thrust23THRUST_200600_302600_NS5tupleIblNS6_9null_typeES8_S8_S8_S8_S8_S8_S8_EEEEZNS1_11reduce_implILb1ES3_NS6_12zip_iteratorINS7_INS6_11hip_rocprim26transform_input_iterator_tIbPlNS6_6detail10functional5actorINSH_9compositeIJNSH_27transparent_binary_operatorINS6_8equal_toIvEEEENSI_INSH_8argumentILj0EEEEENSH_5valueIlEEEEEEEEENSD_19counting_iterator_tIlEES8_S8_S8_S8_S8_S8_S8_S8_EEEEPS9_S9_NSD_9__find_if7functorIS9_EEEE10hipError_tPvRmT1_T2_T3_mT4_P12ihipStream_tbEUlT_E1_NS1_11comp_targetILNS1_3genE3ELNS1_11target_archE908ELNS1_3gpuE7ELNS1_3repE0EEENS1_30default_config_static_selectorELNS0_4arch9wavefront6targetE1EEEvS17_
; %bb.0:
	.section	.rodata,"a",@progbits
	.p2align	6, 0x0
	.amdhsa_kernel _ZN7rocprim17ROCPRIM_400000_NS6detail17trampoline_kernelINS0_14default_configENS1_22reduce_config_selectorIN6thrust23THRUST_200600_302600_NS5tupleIblNS6_9null_typeES8_S8_S8_S8_S8_S8_S8_EEEEZNS1_11reduce_implILb1ES3_NS6_12zip_iteratorINS7_INS6_11hip_rocprim26transform_input_iterator_tIbPlNS6_6detail10functional5actorINSH_9compositeIJNSH_27transparent_binary_operatorINS6_8equal_toIvEEEENSI_INSH_8argumentILj0EEEEENSH_5valueIlEEEEEEEEENSD_19counting_iterator_tIlEES8_S8_S8_S8_S8_S8_S8_S8_EEEEPS9_S9_NSD_9__find_if7functorIS9_EEEE10hipError_tPvRmT1_T2_T3_mT4_P12ihipStream_tbEUlT_E1_NS1_11comp_targetILNS1_3genE3ELNS1_11target_archE908ELNS1_3gpuE7ELNS1_3repE0EEENS1_30default_config_static_selectorELNS0_4arch9wavefront6targetE1EEEvS17_
		.amdhsa_group_segment_fixed_size 0
		.amdhsa_private_segment_fixed_size 0
		.amdhsa_kernarg_size 80
		.amdhsa_user_sgpr_count 6
		.amdhsa_user_sgpr_private_segment_buffer 1
		.amdhsa_user_sgpr_dispatch_ptr 0
		.amdhsa_user_sgpr_queue_ptr 0
		.amdhsa_user_sgpr_kernarg_segment_ptr 1
		.amdhsa_user_sgpr_dispatch_id 0
		.amdhsa_user_sgpr_flat_scratch_init 0
		.amdhsa_user_sgpr_kernarg_preload_length 0
		.amdhsa_user_sgpr_kernarg_preload_offset 0
		.amdhsa_user_sgpr_private_segment_size 0
		.amdhsa_uses_dynamic_stack 0
		.amdhsa_system_sgpr_private_segment_wavefront_offset 0
		.amdhsa_system_sgpr_workgroup_id_x 1
		.amdhsa_system_sgpr_workgroup_id_y 0
		.amdhsa_system_sgpr_workgroup_id_z 0
		.amdhsa_system_sgpr_workgroup_info 0
		.amdhsa_system_vgpr_workitem_id 0
		.amdhsa_next_free_vgpr 1
		.amdhsa_next_free_sgpr 0
		.amdhsa_accum_offset 4
		.amdhsa_reserve_vcc 0
		.amdhsa_reserve_flat_scratch 0
		.amdhsa_float_round_mode_32 0
		.amdhsa_float_round_mode_16_64 0
		.amdhsa_float_denorm_mode_32 3
		.amdhsa_float_denorm_mode_16_64 3
		.amdhsa_dx10_clamp 1
		.amdhsa_ieee_mode 1
		.amdhsa_fp16_overflow 0
		.amdhsa_tg_split 0
		.amdhsa_exception_fp_ieee_invalid_op 0
		.amdhsa_exception_fp_denorm_src 0
		.amdhsa_exception_fp_ieee_div_zero 0
		.amdhsa_exception_fp_ieee_overflow 0
		.amdhsa_exception_fp_ieee_underflow 0
		.amdhsa_exception_fp_ieee_inexact 0
		.amdhsa_exception_int_div_zero 0
	.end_amdhsa_kernel
	.section	.text._ZN7rocprim17ROCPRIM_400000_NS6detail17trampoline_kernelINS0_14default_configENS1_22reduce_config_selectorIN6thrust23THRUST_200600_302600_NS5tupleIblNS6_9null_typeES8_S8_S8_S8_S8_S8_S8_EEEEZNS1_11reduce_implILb1ES3_NS6_12zip_iteratorINS7_INS6_11hip_rocprim26transform_input_iterator_tIbPlNS6_6detail10functional5actorINSH_9compositeIJNSH_27transparent_binary_operatorINS6_8equal_toIvEEEENSI_INSH_8argumentILj0EEEEENSH_5valueIlEEEEEEEEENSD_19counting_iterator_tIlEES8_S8_S8_S8_S8_S8_S8_S8_EEEEPS9_S9_NSD_9__find_if7functorIS9_EEEE10hipError_tPvRmT1_T2_T3_mT4_P12ihipStream_tbEUlT_E1_NS1_11comp_targetILNS1_3genE3ELNS1_11target_archE908ELNS1_3gpuE7ELNS1_3repE0EEENS1_30default_config_static_selectorELNS0_4arch9wavefront6targetE1EEEvS17_,"axG",@progbits,_ZN7rocprim17ROCPRIM_400000_NS6detail17trampoline_kernelINS0_14default_configENS1_22reduce_config_selectorIN6thrust23THRUST_200600_302600_NS5tupleIblNS6_9null_typeES8_S8_S8_S8_S8_S8_S8_EEEEZNS1_11reduce_implILb1ES3_NS6_12zip_iteratorINS7_INS6_11hip_rocprim26transform_input_iterator_tIbPlNS6_6detail10functional5actorINSH_9compositeIJNSH_27transparent_binary_operatorINS6_8equal_toIvEEEENSI_INSH_8argumentILj0EEEEENSH_5valueIlEEEEEEEEENSD_19counting_iterator_tIlEES8_S8_S8_S8_S8_S8_S8_S8_EEEEPS9_S9_NSD_9__find_if7functorIS9_EEEE10hipError_tPvRmT1_T2_T3_mT4_P12ihipStream_tbEUlT_E1_NS1_11comp_targetILNS1_3genE3ELNS1_11target_archE908ELNS1_3gpuE7ELNS1_3repE0EEENS1_30default_config_static_selectorELNS0_4arch9wavefront6targetE1EEEvS17_,comdat
.Lfunc_end1252:
	.size	_ZN7rocprim17ROCPRIM_400000_NS6detail17trampoline_kernelINS0_14default_configENS1_22reduce_config_selectorIN6thrust23THRUST_200600_302600_NS5tupleIblNS6_9null_typeES8_S8_S8_S8_S8_S8_S8_EEEEZNS1_11reduce_implILb1ES3_NS6_12zip_iteratorINS7_INS6_11hip_rocprim26transform_input_iterator_tIbPlNS6_6detail10functional5actorINSH_9compositeIJNSH_27transparent_binary_operatorINS6_8equal_toIvEEEENSI_INSH_8argumentILj0EEEEENSH_5valueIlEEEEEEEEENSD_19counting_iterator_tIlEES8_S8_S8_S8_S8_S8_S8_S8_EEEEPS9_S9_NSD_9__find_if7functorIS9_EEEE10hipError_tPvRmT1_T2_T3_mT4_P12ihipStream_tbEUlT_E1_NS1_11comp_targetILNS1_3genE3ELNS1_11target_archE908ELNS1_3gpuE7ELNS1_3repE0EEENS1_30default_config_static_selectorELNS0_4arch9wavefront6targetE1EEEvS17_, .Lfunc_end1252-_ZN7rocprim17ROCPRIM_400000_NS6detail17trampoline_kernelINS0_14default_configENS1_22reduce_config_selectorIN6thrust23THRUST_200600_302600_NS5tupleIblNS6_9null_typeES8_S8_S8_S8_S8_S8_S8_EEEEZNS1_11reduce_implILb1ES3_NS6_12zip_iteratorINS7_INS6_11hip_rocprim26transform_input_iterator_tIbPlNS6_6detail10functional5actorINSH_9compositeIJNSH_27transparent_binary_operatorINS6_8equal_toIvEEEENSI_INSH_8argumentILj0EEEEENSH_5valueIlEEEEEEEEENSD_19counting_iterator_tIlEES8_S8_S8_S8_S8_S8_S8_S8_EEEEPS9_S9_NSD_9__find_if7functorIS9_EEEE10hipError_tPvRmT1_T2_T3_mT4_P12ihipStream_tbEUlT_E1_NS1_11comp_targetILNS1_3genE3ELNS1_11target_archE908ELNS1_3gpuE7ELNS1_3repE0EEENS1_30default_config_static_selectorELNS0_4arch9wavefront6targetE1EEEvS17_
                                        ; -- End function
	.section	.AMDGPU.csdata,"",@progbits
; Kernel info:
; codeLenInByte = 0
; NumSgprs: 4
; NumVgprs: 0
; NumAgprs: 0
; TotalNumVgprs: 0
; ScratchSize: 0
; MemoryBound: 0
; FloatMode: 240
; IeeeMode: 1
; LDSByteSize: 0 bytes/workgroup (compile time only)
; SGPRBlocks: 0
; VGPRBlocks: 0
; NumSGPRsForWavesPerEU: 4
; NumVGPRsForWavesPerEU: 1
; AccumOffset: 4
; Occupancy: 8
; WaveLimiterHint : 0
; COMPUTE_PGM_RSRC2:SCRATCH_EN: 0
; COMPUTE_PGM_RSRC2:USER_SGPR: 6
; COMPUTE_PGM_RSRC2:TRAP_HANDLER: 0
; COMPUTE_PGM_RSRC2:TGID_X_EN: 1
; COMPUTE_PGM_RSRC2:TGID_Y_EN: 0
; COMPUTE_PGM_RSRC2:TGID_Z_EN: 0
; COMPUTE_PGM_RSRC2:TIDIG_COMP_CNT: 0
; COMPUTE_PGM_RSRC3_GFX90A:ACCUM_OFFSET: 0
; COMPUTE_PGM_RSRC3_GFX90A:TG_SPLIT: 0
	.section	.text._ZN7rocprim17ROCPRIM_400000_NS6detail17trampoline_kernelINS0_14default_configENS1_22reduce_config_selectorIN6thrust23THRUST_200600_302600_NS5tupleIblNS6_9null_typeES8_S8_S8_S8_S8_S8_S8_EEEEZNS1_11reduce_implILb1ES3_NS6_12zip_iteratorINS7_INS6_11hip_rocprim26transform_input_iterator_tIbPlNS6_6detail10functional5actorINSH_9compositeIJNSH_27transparent_binary_operatorINS6_8equal_toIvEEEENSI_INSH_8argumentILj0EEEEENSH_5valueIlEEEEEEEEENSD_19counting_iterator_tIlEES8_S8_S8_S8_S8_S8_S8_S8_EEEEPS9_S9_NSD_9__find_if7functorIS9_EEEE10hipError_tPvRmT1_T2_T3_mT4_P12ihipStream_tbEUlT_E1_NS1_11comp_targetILNS1_3genE2ELNS1_11target_archE906ELNS1_3gpuE6ELNS1_3repE0EEENS1_30default_config_static_selectorELNS0_4arch9wavefront6targetE1EEEvS17_,"axG",@progbits,_ZN7rocprim17ROCPRIM_400000_NS6detail17trampoline_kernelINS0_14default_configENS1_22reduce_config_selectorIN6thrust23THRUST_200600_302600_NS5tupleIblNS6_9null_typeES8_S8_S8_S8_S8_S8_S8_EEEEZNS1_11reduce_implILb1ES3_NS6_12zip_iteratorINS7_INS6_11hip_rocprim26transform_input_iterator_tIbPlNS6_6detail10functional5actorINSH_9compositeIJNSH_27transparent_binary_operatorINS6_8equal_toIvEEEENSI_INSH_8argumentILj0EEEEENSH_5valueIlEEEEEEEEENSD_19counting_iterator_tIlEES8_S8_S8_S8_S8_S8_S8_S8_EEEEPS9_S9_NSD_9__find_if7functorIS9_EEEE10hipError_tPvRmT1_T2_T3_mT4_P12ihipStream_tbEUlT_E1_NS1_11comp_targetILNS1_3genE2ELNS1_11target_archE906ELNS1_3gpuE6ELNS1_3repE0EEENS1_30default_config_static_selectorELNS0_4arch9wavefront6targetE1EEEvS17_,comdat
	.protected	_ZN7rocprim17ROCPRIM_400000_NS6detail17trampoline_kernelINS0_14default_configENS1_22reduce_config_selectorIN6thrust23THRUST_200600_302600_NS5tupleIblNS6_9null_typeES8_S8_S8_S8_S8_S8_S8_EEEEZNS1_11reduce_implILb1ES3_NS6_12zip_iteratorINS7_INS6_11hip_rocprim26transform_input_iterator_tIbPlNS6_6detail10functional5actorINSH_9compositeIJNSH_27transparent_binary_operatorINS6_8equal_toIvEEEENSI_INSH_8argumentILj0EEEEENSH_5valueIlEEEEEEEEENSD_19counting_iterator_tIlEES8_S8_S8_S8_S8_S8_S8_S8_EEEEPS9_S9_NSD_9__find_if7functorIS9_EEEE10hipError_tPvRmT1_T2_T3_mT4_P12ihipStream_tbEUlT_E1_NS1_11comp_targetILNS1_3genE2ELNS1_11target_archE906ELNS1_3gpuE6ELNS1_3repE0EEENS1_30default_config_static_selectorELNS0_4arch9wavefront6targetE1EEEvS17_ ; -- Begin function _ZN7rocprim17ROCPRIM_400000_NS6detail17trampoline_kernelINS0_14default_configENS1_22reduce_config_selectorIN6thrust23THRUST_200600_302600_NS5tupleIblNS6_9null_typeES8_S8_S8_S8_S8_S8_S8_EEEEZNS1_11reduce_implILb1ES3_NS6_12zip_iteratorINS7_INS6_11hip_rocprim26transform_input_iterator_tIbPlNS6_6detail10functional5actorINSH_9compositeIJNSH_27transparent_binary_operatorINS6_8equal_toIvEEEENSI_INSH_8argumentILj0EEEEENSH_5valueIlEEEEEEEEENSD_19counting_iterator_tIlEES8_S8_S8_S8_S8_S8_S8_S8_EEEEPS9_S9_NSD_9__find_if7functorIS9_EEEE10hipError_tPvRmT1_T2_T3_mT4_P12ihipStream_tbEUlT_E1_NS1_11comp_targetILNS1_3genE2ELNS1_11target_archE906ELNS1_3gpuE6ELNS1_3repE0EEENS1_30default_config_static_selectorELNS0_4arch9wavefront6targetE1EEEvS17_
	.globl	_ZN7rocprim17ROCPRIM_400000_NS6detail17trampoline_kernelINS0_14default_configENS1_22reduce_config_selectorIN6thrust23THRUST_200600_302600_NS5tupleIblNS6_9null_typeES8_S8_S8_S8_S8_S8_S8_EEEEZNS1_11reduce_implILb1ES3_NS6_12zip_iteratorINS7_INS6_11hip_rocprim26transform_input_iterator_tIbPlNS6_6detail10functional5actorINSH_9compositeIJNSH_27transparent_binary_operatorINS6_8equal_toIvEEEENSI_INSH_8argumentILj0EEEEENSH_5valueIlEEEEEEEEENSD_19counting_iterator_tIlEES8_S8_S8_S8_S8_S8_S8_S8_EEEEPS9_S9_NSD_9__find_if7functorIS9_EEEE10hipError_tPvRmT1_T2_T3_mT4_P12ihipStream_tbEUlT_E1_NS1_11comp_targetILNS1_3genE2ELNS1_11target_archE906ELNS1_3gpuE6ELNS1_3repE0EEENS1_30default_config_static_selectorELNS0_4arch9wavefront6targetE1EEEvS17_
	.p2align	8
	.type	_ZN7rocprim17ROCPRIM_400000_NS6detail17trampoline_kernelINS0_14default_configENS1_22reduce_config_selectorIN6thrust23THRUST_200600_302600_NS5tupleIblNS6_9null_typeES8_S8_S8_S8_S8_S8_S8_EEEEZNS1_11reduce_implILb1ES3_NS6_12zip_iteratorINS7_INS6_11hip_rocprim26transform_input_iterator_tIbPlNS6_6detail10functional5actorINSH_9compositeIJNSH_27transparent_binary_operatorINS6_8equal_toIvEEEENSI_INSH_8argumentILj0EEEEENSH_5valueIlEEEEEEEEENSD_19counting_iterator_tIlEES8_S8_S8_S8_S8_S8_S8_S8_EEEEPS9_S9_NSD_9__find_if7functorIS9_EEEE10hipError_tPvRmT1_T2_T3_mT4_P12ihipStream_tbEUlT_E1_NS1_11comp_targetILNS1_3genE2ELNS1_11target_archE906ELNS1_3gpuE6ELNS1_3repE0EEENS1_30default_config_static_selectorELNS0_4arch9wavefront6targetE1EEEvS17_,@function
_ZN7rocprim17ROCPRIM_400000_NS6detail17trampoline_kernelINS0_14default_configENS1_22reduce_config_selectorIN6thrust23THRUST_200600_302600_NS5tupleIblNS6_9null_typeES8_S8_S8_S8_S8_S8_S8_EEEEZNS1_11reduce_implILb1ES3_NS6_12zip_iteratorINS7_INS6_11hip_rocprim26transform_input_iterator_tIbPlNS6_6detail10functional5actorINSH_9compositeIJNSH_27transparent_binary_operatorINS6_8equal_toIvEEEENSI_INSH_8argumentILj0EEEEENSH_5valueIlEEEEEEEEENSD_19counting_iterator_tIlEES8_S8_S8_S8_S8_S8_S8_S8_EEEEPS9_S9_NSD_9__find_if7functorIS9_EEEE10hipError_tPvRmT1_T2_T3_mT4_P12ihipStream_tbEUlT_E1_NS1_11comp_targetILNS1_3genE2ELNS1_11target_archE906ELNS1_3gpuE6ELNS1_3repE0EEENS1_30default_config_static_selectorELNS0_4arch9wavefront6targetE1EEEvS17_: ; @_ZN7rocprim17ROCPRIM_400000_NS6detail17trampoline_kernelINS0_14default_configENS1_22reduce_config_selectorIN6thrust23THRUST_200600_302600_NS5tupleIblNS6_9null_typeES8_S8_S8_S8_S8_S8_S8_EEEEZNS1_11reduce_implILb1ES3_NS6_12zip_iteratorINS7_INS6_11hip_rocprim26transform_input_iterator_tIbPlNS6_6detail10functional5actorINSH_9compositeIJNSH_27transparent_binary_operatorINS6_8equal_toIvEEEENSI_INSH_8argumentILj0EEEEENSH_5valueIlEEEEEEEEENSD_19counting_iterator_tIlEES8_S8_S8_S8_S8_S8_S8_S8_EEEEPS9_S9_NSD_9__find_if7functorIS9_EEEE10hipError_tPvRmT1_T2_T3_mT4_P12ihipStream_tbEUlT_E1_NS1_11comp_targetILNS1_3genE2ELNS1_11target_archE906ELNS1_3gpuE6ELNS1_3repE0EEENS1_30default_config_static_selectorELNS0_4arch9wavefront6targetE1EEEvS17_
; %bb.0:
	.section	.rodata,"a",@progbits
	.p2align	6, 0x0
	.amdhsa_kernel _ZN7rocprim17ROCPRIM_400000_NS6detail17trampoline_kernelINS0_14default_configENS1_22reduce_config_selectorIN6thrust23THRUST_200600_302600_NS5tupleIblNS6_9null_typeES8_S8_S8_S8_S8_S8_S8_EEEEZNS1_11reduce_implILb1ES3_NS6_12zip_iteratorINS7_INS6_11hip_rocprim26transform_input_iterator_tIbPlNS6_6detail10functional5actorINSH_9compositeIJNSH_27transparent_binary_operatorINS6_8equal_toIvEEEENSI_INSH_8argumentILj0EEEEENSH_5valueIlEEEEEEEEENSD_19counting_iterator_tIlEES8_S8_S8_S8_S8_S8_S8_S8_EEEEPS9_S9_NSD_9__find_if7functorIS9_EEEE10hipError_tPvRmT1_T2_T3_mT4_P12ihipStream_tbEUlT_E1_NS1_11comp_targetILNS1_3genE2ELNS1_11target_archE906ELNS1_3gpuE6ELNS1_3repE0EEENS1_30default_config_static_selectorELNS0_4arch9wavefront6targetE1EEEvS17_
		.amdhsa_group_segment_fixed_size 0
		.amdhsa_private_segment_fixed_size 0
		.amdhsa_kernarg_size 80
		.amdhsa_user_sgpr_count 6
		.amdhsa_user_sgpr_private_segment_buffer 1
		.amdhsa_user_sgpr_dispatch_ptr 0
		.amdhsa_user_sgpr_queue_ptr 0
		.amdhsa_user_sgpr_kernarg_segment_ptr 1
		.amdhsa_user_sgpr_dispatch_id 0
		.amdhsa_user_sgpr_flat_scratch_init 0
		.amdhsa_user_sgpr_kernarg_preload_length 0
		.amdhsa_user_sgpr_kernarg_preload_offset 0
		.amdhsa_user_sgpr_private_segment_size 0
		.amdhsa_uses_dynamic_stack 0
		.amdhsa_system_sgpr_private_segment_wavefront_offset 0
		.amdhsa_system_sgpr_workgroup_id_x 1
		.amdhsa_system_sgpr_workgroup_id_y 0
		.amdhsa_system_sgpr_workgroup_id_z 0
		.amdhsa_system_sgpr_workgroup_info 0
		.amdhsa_system_vgpr_workitem_id 0
		.amdhsa_next_free_vgpr 1
		.amdhsa_next_free_sgpr 0
		.amdhsa_accum_offset 4
		.amdhsa_reserve_vcc 0
		.amdhsa_reserve_flat_scratch 0
		.amdhsa_float_round_mode_32 0
		.amdhsa_float_round_mode_16_64 0
		.amdhsa_float_denorm_mode_32 3
		.amdhsa_float_denorm_mode_16_64 3
		.amdhsa_dx10_clamp 1
		.amdhsa_ieee_mode 1
		.amdhsa_fp16_overflow 0
		.amdhsa_tg_split 0
		.amdhsa_exception_fp_ieee_invalid_op 0
		.amdhsa_exception_fp_denorm_src 0
		.amdhsa_exception_fp_ieee_div_zero 0
		.amdhsa_exception_fp_ieee_overflow 0
		.amdhsa_exception_fp_ieee_underflow 0
		.amdhsa_exception_fp_ieee_inexact 0
		.amdhsa_exception_int_div_zero 0
	.end_amdhsa_kernel
	.section	.text._ZN7rocprim17ROCPRIM_400000_NS6detail17trampoline_kernelINS0_14default_configENS1_22reduce_config_selectorIN6thrust23THRUST_200600_302600_NS5tupleIblNS6_9null_typeES8_S8_S8_S8_S8_S8_S8_EEEEZNS1_11reduce_implILb1ES3_NS6_12zip_iteratorINS7_INS6_11hip_rocprim26transform_input_iterator_tIbPlNS6_6detail10functional5actorINSH_9compositeIJNSH_27transparent_binary_operatorINS6_8equal_toIvEEEENSI_INSH_8argumentILj0EEEEENSH_5valueIlEEEEEEEEENSD_19counting_iterator_tIlEES8_S8_S8_S8_S8_S8_S8_S8_EEEEPS9_S9_NSD_9__find_if7functorIS9_EEEE10hipError_tPvRmT1_T2_T3_mT4_P12ihipStream_tbEUlT_E1_NS1_11comp_targetILNS1_3genE2ELNS1_11target_archE906ELNS1_3gpuE6ELNS1_3repE0EEENS1_30default_config_static_selectorELNS0_4arch9wavefront6targetE1EEEvS17_,"axG",@progbits,_ZN7rocprim17ROCPRIM_400000_NS6detail17trampoline_kernelINS0_14default_configENS1_22reduce_config_selectorIN6thrust23THRUST_200600_302600_NS5tupleIblNS6_9null_typeES8_S8_S8_S8_S8_S8_S8_EEEEZNS1_11reduce_implILb1ES3_NS6_12zip_iteratorINS7_INS6_11hip_rocprim26transform_input_iterator_tIbPlNS6_6detail10functional5actorINSH_9compositeIJNSH_27transparent_binary_operatorINS6_8equal_toIvEEEENSI_INSH_8argumentILj0EEEEENSH_5valueIlEEEEEEEEENSD_19counting_iterator_tIlEES8_S8_S8_S8_S8_S8_S8_S8_EEEEPS9_S9_NSD_9__find_if7functorIS9_EEEE10hipError_tPvRmT1_T2_T3_mT4_P12ihipStream_tbEUlT_E1_NS1_11comp_targetILNS1_3genE2ELNS1_11target_archE906ELNS1_3gpuE6ELNS1_3repE0EEENS1_30default_config_static_selectorELNS0_4arch9wavefront6targetE1EEEvS17_,comdat
.Lfunc_end1253:
	.size	_ZN7rocprim17ROCPRIM_400000_NS6detail17trampoline_kernelINS0_14default_configENS1_22reduce_config_selectorIN6thrust23THRUST_200600_302600_NS5tupleIblNS6_9null_typeES8_S8_S8_S8_S8_S8_S8_EEEEZNS1_11reduce_implILb1ES3_NS6_12zip_iteratorINS7_INS6_11hip_rocprim26transform_input_iterator_tIbPlNS6_6detail10functional5actorINSH_9compositeIJNSH_27transparent_binary_operatorINS6_8equal_toIvEEEENSI_INSH_8argumentILj0EEEEENSH_5valueIlEEEEEEEEENSD_19counting_iterator_tIlEES8_S8_S8_S8_S8_S8_S8_S8_EEEEPS9_S9_NSD_9__find_if7functorIS9_EEEE10hipError_tPvRmT1_T2_T3_mT4_P12ihipStream_tbEUlT_E1_NS1_11comp_targetILNS1_3genE2ELNS1_11target_archE906ELNS1_3gpuE6ELNS1_3repE0EEENS1_30default_config_static_selectorELNS0_4arch9wavefront6targetE1EEEvS17_, .Lfunc_end1253-_ZN7rocprim17ROCPRIM_400000_NS6detail17trampoline_kernelINS0_14default_configENS1_22reduce_config_selectorIN6thrust23THRUST_200600_302600_NS5tupleIblNS6_9null_typeES8_S8_S8_S8_S8_S8_S8_EEEEZNS1_11reduce_implILb1ES3_NS6_12zip_iteratorINS7_INS6_11hip_rocprim26transform_input_iterator_tIbPlNS6_6detail10functional5actorINSH_9compositeIJNSH_27transparent_binary_operatorINS6_8equal_toIvEEEENSI_INSH_8argumentILj0EEEEENSH_5valueIlEEEEEEEEENSD_19counting_iterator_tIlEES8_S8_S8_S8_S8_S8_S8_S8_EEEEPS9_S9_NSD_9__find_if7functorIS9_EEEE10hipError_tPvRmT1_T2_T3_mT4_P12ihipStream_tbEUlT_E1_NS1_11comp_targetILNS1_3genE2ELNS1_11target_archE906ELNS1_3gpuE6ELNS1_3repE0EEENS1_30default_config_static_selectorELNS0_4arch9wavefront6targetE1EEEvS17_
                                        ; -- End function
	.section	.AMDGPU.csdata,"",@progbits
; Kernel info:
; codeLenInByte = 0
; NumSgprs: 4
; NumVgprs: 0
; NumAgprs: 0
; TotalNumVgprs: 0
; ScratchSize: 0
; MemoryBound: 0
; FloatMode: 240
; IeeeMode: 1
; LDSByteSize: 0 bytes/workgroup (compile time only)
; SGPRBlocks: 0
; VGPRBlocks: 0
; NumSGPRsForWavesPerEU: 4
; NumVGPRsForWavesPerEU: 1
; AccumOffset: 4
; Occupancy: 8
; WaveLimiterHint : 0
; COMPUTE_PGM_RSRC2:SCRATCH_EN: 0
; COMPUTE_PGM_RSRC2:USER_SGPR: 6
; COMPUTE_PGM_RSRC2:TRAP_HANDLER: 0
; COMPUTE_PGM_RSRC2:TGID_X_EN: 1
; COMPUTE_PGM_RSRC2:TGID_Y_EN: 0
; COMPUTE_PGM_RSRC2:TGID_Z_EN: 0
; COMPUTE_PGM_RSRC2:TIDIG_COMP_CNT: 0
; COMPUTE_PGM_RSRC3_GFX90A:ACCUM_OFFSET: 0
; COMPUTE_PGM_RSRC3_GFX90A:TG_SPLIT: 0
	.section	.text._ZN7rocprim17ROCPRIM_400000_NS6detail17trampoline_kernelINS0_14default_configENS1_22reduce_config_selectorIN6thrust23THRUST_200600_302600_NS5tupleIblNS6_9null_typeES8_S8_S8_S8_S8_S8_S8_EEEEZNS1_11reduce_implILb1ES3_NS6_12zip_iteratorINS7_INS6_11hip_rocprim26transform_input_iterator_tIbPlNS6_6detail10functional5actorINSH_9compositeIJNSH_27transparent_binary_operatorINS6_8equal_toIvEEEENSI_INSH_8argumentILj0EEEEENSH_5valueIlEEEEEEEEENSD_19counting_iterator_tIlEES8_S8_S8_S8_S8_S8_S8_S8_EEEEPS9_S9_NSD_9__find_if7functorIS9_EEEE10hipError_tPvRmT1_T2_T3_mT4_P12ihipStream_tbEUlT_E1_NS1_11comp_targetILNS1_3genE10ELNS1_11target_archE1201ELNS1_3gpuE5ELNS1_3repE0EEENS1_30default_config_static_selectorELNS0_4arch9wavefront6targetE1EEEvS17_,"axG",@progbits,_ZN7rocprim17ROCPRIM_400000_NS6detail17trampoline_kernelINS0_14default_configENS1_22reduce_config_selectorIN6thrust23THRUST_200600_302600_NS5tupleIblNS6_9null_typeES8_S8_S8_S8_S8_S8_S8_EEEEZNS1_11reduce_implILb1ES3_NS6_12zip_iteratorINS7_INS6_11hip_rocprim26transform_input_iterator_tIbPlNS6_6detail10functional5actorINSH_9compositeIJNSH_27transparent_binary_operatorINS6_8equal_toIvEEEENSI_INSH_8argumentILj0EEEEENSH_5valueIlEEEEEEEEENSD_19counting_iterator_tIlEES8_S8_S8_S8_S8_S8_S8_S8_EEEEPS9_S9_NSD_9__find_if7functorIS9_EEEE10hipError_tPvRmT1_T2_T3_mT4_P12ihipStream_tbEUlT_E1_NS1_11comp_targetILNS1_3genE10ELNS1_11target_archE1201ELNS1_3gpuE5ELNS1_3repE0EEENS1_30default_config_static_selectorELNS0_4arch9wavefront6targetE1EEEvS17_,comdat
	.protected	_ZN7rocprim17ROCPRIM_400000_NS6detail17trampoline_kernelINS0_14default_configENS1_22reduce_config_selectorIN6thrust23THRUST_200600_302600_NS5tupleIblNS6_9null_typeES8_S8_S8_S8_S8_S8_S8_EEEEZNS1_11reduce_implILb1ES3_NS6_12zip_iteratorINS7_INS6_11hip_rocprim26transform_input_iterator_tIbPlNS6_6detail10functional5actorINSH_9compositeIJNSH_27transparent_binary_operatorINS6_8equal_toIvEEEENSI_INSH_8argumentILj0EEEEENSH_5valueIlEEEEEEEEENSD_19counting_iterator_tIlEES8_S8_S8_S8_S8_S8_S8_S8_EEEEPS9_S9_NSD_9__find_if7functorIS9_EEEE10hipError_tPvRmT1_T2_T3_mT4_P12ihipStream_tbEUlT_E1_NS1_11comp_targetILNS1_3genE10ELNS1_11target_archE1201ELNS1_3gpuE5ELNS1_3repE0EEENS1_30default_config_static_selectorELNS0_4arch9wavefront6targetE1EEEvS17_ ; -- Begin function _ZN7rocprim17ROCPRIM_400000_NS6detail17trampoline_kernelINS0_14default_configENS1_22reduce_config_selectorIN6thrust23THRUST_200600_302600_NS5tupleIblNS6_9null_typeES8_S8_S8_S8_S8_S8_S8_EEEEZNS1_11reduce_implILb1ES3_NS6_12zip_iteratorINS7_INS6_11hip_rocprim26transform_input_iterator_tIbPlNS6_6detail10functional5actorINSH_9compositeIJNSH_27transparent_binary_operatorINS6_8equal_toIvEEEENSI_INSH_8argumentILj0EEEEENSH_5valueIlEEEEEEEEENSD_19counting_iterator_tIlEES8_S8_S8_S8_S8_S8_S8_S8_EEEEPS9_S9_NSD_9__find_if7functorIS9_EEEE10hipError_tPvRmT1_T2_T3_mT4_P12ihipStream_tbEUlT_E1_NS1_11comp_targetILNS1_3genE10ELNS1_11target_archE1201ELNS1_3gpuE5ELNS1_3repE0EEENS1_30default_config_static_selectorELNS0_4arch9wavefront6targetE1EEEvS17_
	.globl	_ZN7rocprim17ROCPRIM_400000_NS6detail17trampoline_kernelINS0_14default_configENS1_22reduce_config_selectorIN6thrust23THRUST_200600_302600_NS5tupleIblNS6_9null_typeES8_S8_S8_S8_S8_S8_S8_EEEEZNS1_11reduce_implILb1ES3_NS6_12zip_iteratorINS7_INS6_11hip_rocprim26transform_input_iterator_tIbPlNS6_6detail10functional5actorINSH_9compositeIJNSH_27transparent_binary_operatorINS6_8equal_toIvEEEENSI_INSH_8argumentILj0EEEEENSH_5valueIlEEEEEEEEENSD_19counting_iterator_tIlEES8_S8_S8_S8_S8_S8_S8_S8_EEEEPS9_S9_NSD_9__find_if7functorIS9_EEEE10hipError_tPvRmT1_T2_T3_mT4_P12ihipStream_tbEUlT_E1_NS1_11comp_targetILNS1_3genE10ELNS1_11target_archE1201ELNS1_3gpuE5ELNS1_3repE0EEENS1_30default_config_static_selectorELNS0_4arch9wavefront6targetE1EEEvS17_
	.p2align	8
	.type	_ZN7rocprim17ROCPRIM_400000_NS6detail17trampoline_kernelINS0_14default_configENS1_22reduce_config_selectorIN6thrust23THRUST_200600_302600_NS5tupleIblNS6_9null_typeES8_S8_S8_S8_S8_S8_S8_EEEEZNS1_11reduce_implILb1ES3_NS6_12zip_iteratorINS7_INS6_11hip_rocprim26transform_input_iterator_tIbPlNS6_6detail10functional5actorINSH_9compositeIJNSH_27transparent_binary_operatorINS6_8equal_toIvEEEENSI_INSH_8argumentILj0EEEEENSH_5valueIlEEEEEEEEENSD_19counting_iterator_tIlEES8_S8_S8_S8_S8_S8_S8_S8_EEEEPS9_S9_NSD_9__find_if7functorIS9_EEEE10hipError_tPvRmT1_T2_T3_mT4_P12ihipStream_tbEUlT_E1_NS1_11comp_targetILNS1_3genE10ELNS1_11target_archE1201ELNS1_3gpuE5ELNS1_3repE0EEENS1_30default_config_static_selectorELNS0_4arch9wavefront6targetE1EEEvS17_,@function
_ZN7rocprim17ROCPRIM_400000_NS6detail17trampoline_kernelINS0_14default_configENS1_22reduce_config_selectorIN6thrust23THRUST_200600_302600_NS5tupleIblNS6_9null_typeES8_S8_S8_S8_S8_S8_S8_EEEEZNS1_11reduce_implILb1ES3_NS6_12zip_iteratorINS7_INS6_11hip_rocprim26transform_input_iterator_tIbPlNS6_6detail10functional5actorINSH_9compositeIJNSH_27transparent_binary_operatorINS6_8equal_toIvEEEENSI_INSH_8argumentILj0EEEEENSH_5valueIlEEEEEEEEENSD_19counting_iterator_tIlEES8_S8_S8_S8_S8_S8_S8_S8_EEEEPS9_S9_NSD_9__find_if7functorIS9_EEEE10hipError_tPvRmT1_T2_T3_mT4_P12ihipStream_tbEUlT_E1_NS1_11comp_targetILNS1_3genE10ELNS1_11target_archE1201ELNS1_3gpuE5ELNS1_3repE0EEENS1_30default_config_static_selectorELNS0_4arch9wavefront6targetE1EEEvS17_: ; @_ZN7rocprim17ROCPRIM_400000_NS6detail17trampoline_kernelINS0_14default_configENS1_22reduce_config_selectorIN6thrust23THRUST_200600_302600_NS5tupleIblNS6_9null_typeES8_S8_S8_S8_S8_S8_S8_EEEEZNS1_11reduce_implILb1ES3_NS6_12zip_iteratorINS7_INS6_11hip_rocprim26transform_input_iterator_tIbPlNS6_6detail10functional5actorINSH_9compositeIJNSH_27transparent_binary_operatorINS6_8equal_toIvEEEENSI_INSH_8argumentILj0EEEEENSH_5valueIlEEEEEEEEENSD_19counting_iterator_tIlEES8_S8_S8_S8_S8_S8_S8_S8_EEEEPS9_S9_NSD_9__find_if7functorIS9_EEEE10hipError_tPvRmT1_T2_T3_mT4_P12ihipStream_tbEUlT_E1_NS1_11comp_targetILNS1_3genE10ELNS1_11target_archE1201ELNS1_3gpuE5ELNS1_3repE0EEENS1_30default_config_static_selectorELNS0_4arch9wavefront6targetE1EEEvS17_
; %bb.0:
	.section	.rodata,"a",@progbits
	.p2align	6, 0x0
	.amdhsa_kernel _ZN7rocprim17ROCPRIM_400000_NS6detail17trampoline_kernelINS0_14default_configENS1_22reduce_config_selectorIN6thrust23THRUST_200600_302600_NS5tupleIblNS6_9null_typeES8_S8_S8_S8_S8_S8_S8_EEEEZNS1_11reduce_implILb1ES3_NS6_12zip_iteratorINS7_INS6_11hip_rocprim26transform_input_iterator_tIbPlNS6_6detail10functional5actorINSH_9compositeIJNSH_27transparent_binary_operatorINS6_8equal_toIvEEEENSI_INSH_8argumentILj0EEEEENSH_5valueIlEEEEEEEEENSD_19counting_iterator_tIlEES8_S8_S8_S8_S8_S8_S8_S8_EEEEPS9_S9_NSD_9__find_if7functorIS9_EEEE10hipError_tPvRmT1_T2_T3_mT4_P12ihipStream_tbEUlT_E1_NS1_11comp_targetILNS1_3genE10ELNS1_11target_archE1201ELNS1_3gpuE5ELNS1_3repE0EEENS1_30default_config_static_selectorELNS0_4arch9wavefront6targetE1EEEvS17_
		.amdhsa_group_segment_fixed_size 0
		.amdhsa_private_segment_fixed_size 0
		.amdhsa_kernarg_size 80
		.amdhsa_user_sgpr_count 6
		.amdhsa_user_sgpr_private_segment_buffer 1
		.amdhsa_user_sgpr_dispatch_ptr 0
		.amdhsa_user_sgpr_queue_ptr 0
		.amdhsa_user_sgpr_kernarg_segment_ptr 1
		.amdhsa_user_sgpr_dispatch_id 0
		.amdhsa_user_sgpr_flat_scratch_init 0
		.amdhsa_user_sgpr_kernarg_preload_length 0
		.amdhsa_user_sgpr_kernarg_preload_offset 0
		.amdhsa_user_sgpr_private_segment_size 0
		.amdhsa_uses_dynamic_stack 0
		.amdhsa_system_sgpr_private_segment_wavefront_offset 0
		.amdhsa_system_sgpr_workgroup_id_x 1
		.amdhsa_system_sgpr_workgroup_id_y 0
		.amdhsa_system_sgpr_workgroup_id_z 0
		.amdhsa_system_sgpr_workgroup_info 0
		.amdhsa_system_vgpr_workitem_id 0
		.amdhsa_next_free_vgpr 1
		.amdhsa_next_free_sgpr 0
		.amdhsa_accum_offset 4
		.amdhsa_reserve_vcc 0
		.amdhsa_reserve_flat_scratch 0
		.amdhsa_float_round_mode_32 0
		.amdhsa_float_round_mode_16_64 0
		.amdhsa_float_denorm_mode_32 3
		.amdhsa_float_denorm_mode_16_64 3
		.amdhsa_dx10_clamp 1
		.amdhsa_ieee_mode 1
		.amdhsa_fp16_overflow 0
		.amdhsa_tg_split 0
		.amdhsa_exception_fp_ieee_invalid_op 0
		.amdhsa_exception_fp_denorm_src 0
		.amdhsa_exception_fp_ieee_div_zero 0
		.amdhsa_exception_fp_ieee_overflow 0
		.amdhsa_exception_fp_ieee_underflow 0
		.amdhsa_exception_fp_ieee_inexact 0
		.amdhsa_exception_int_div_zero 0
	.end_amdhsa_kernel
	.section	.text._ZN7rocprim17ROCPRIM_400000_NS6detail17trampoline_kernelINS0_14default_configENS1_22reduce_config_selectorIN6thrust23THRUST_200600_302600_NS5tupleIblNS6_9null_typeES8_S8_S8_S8_S8_S8_S8_EEEEZNS1_11reduce_implILb1ES3_NS6_12zip_iteratorINS7_INS6_11hip_rocprim26transform_input_iterator_tIbPlNS6_6detail10functional5actorINSH_9compositeIJNSH_27transparent_binary_operatorINS6_8equal_toIvEEEENSI_INSH_8argumentILj0EEEEENSH_5valueIlEEEEEEEEENSD_19counting_iterator_tIlEES8_S8_S8_S8_S8_S8_S8_S8_EEEEPS9_S9_NSD_9__find_if7functorIS9_EEEE10hipError_tPvRmT1_T2_T3_mT4_P12ihipStream_tbEUlT_E1_NS1_11comp_targetILNS1_3genE10ELNS1_11target_archE1201ELNS1_3gpuE5ELNS1_3repE0EEENS1_30default_config_static_selectorELNS0_4arch9wavefront6targetE1EEEvS17_,"axG",@progbits,_ZN7rocprim17ROCPRIM_400000_NS6detail17trampoline_kernelINS0_14default_configENS1_22reduce_config_selectorIN6thrust23THRUST_200600_302600_NS5tupleIblNS6_9null_typeES8_S8_S8_S8_S8_S8_S8_EEEEZNS1_11reduce_implILb1ES3_NS6_12zip_iteratorINS7_INS6_11hip_rocprim26transform_input_iterator_tIbPlNS6_6detail10functional5actorINSH_9compositeIJNSH_27transparent_binary_operatorINS6_8equal_toIvEEEENSI_INSH_8argumentILj0EEEEENSH_5valueIlEEEEEEEEENSD_19counting_iterator_tIlEES8_S8_S8_S8_S8_S8_S8_S8_EEEEPS9_S9_NSD_9__find_if7functorIS9_EEEE10hipError_tPvRmT1_T2_T3_mT4_P12ihipStream_tbEUlT_E1_NS1_11comp_targetILNS1_3genE10ELNS1_11target_archE1201ELNS1_3gpuE5ELNS1_3repE0EEENS1_30default_config_static_selectorELNS0_4arch9wavefront6targetE1EEEvS17_,comdat
.Lfunc_end1254:
	.size	_ZN7rocprim17ROCPRIM_400000_NS6detail17trampoline_kernelINS0_14default_configENS1_22reduce_config_selectorIN6thrust23THRUST_200600_302600_NS5tupleIblNS6_9null_typeES8_S8_S8_S8_S8_S8_S8_EEEEZNS1_11reduce_implILb1ES3_NS6_12zip_iteratorINS7_INS6_11hip_rocprim26transform_input_iterator_tIbPlNS6_6detail10functional5actorINSH_9compositeIJNSH_27transparent_binary_operatorINS6_8equal_toIvEEEENSI_INSH_8argumentILj0EEEEENSH_5valueIlEEEEEEEEENSD_19counting_iterator_tIlEES8_S8_S8_S8_S8_S8_S8_S8_EEEEPS9_S9_NSD_9__find_if7functorIS9_EEEE10hipError_tPvRmT1_T2_T3_mT4_P12ihipStream_tbEUlT_E1_NS1_11comp_targetILNS1_3genE10ELNS1_11target_archE1201ELNS1_3gpuE5ELNS1_3repE0EEENS1_30default_config_static_selectorELNS0_4arch9wavefront6targetE1EEEvS17_, .Lfunc_end1254-_ZN7rocprim17ROCPRIM_400000_NS6detail17trampoline_kernelINS0_14default_configENS1_22reduce_config_selectorIN6thrust23THRUST_200600_302600_NS5tupleIblNS6_9null_typeES8_S8_S8_S8_S8_S8_S8_EEEEZNS1_11reduce_implILb1ES3_NS6_12zip_iteratorINS7_INS6_11hip_rocprim26transform_input_iterator_tIbPlNS6_6detail10functional5actorINSH_9compositeIJNSH_27transparent_binary_operatorINS6_8equal_toIvEEEENSI_INSH_8argumentILj0EEEEENSH_5valueIlEEEEEEEEENSD_19counting_iterator_tIlEES8_S8_S8_S8_S8_S8_S8_S8_EEEEPS9_S9_NSD_9__find_if7functorIS9_EEEE10hipError_tPvRmT1_T2_T3_mT4_P12ihipStream_tbEUlT_E1_NS1_11comp_targetILNS1_3genE10ELNS1_11target_archE1201ELNS1_3gpuE5ELNS1_3repE0EEENS1_30default_config_static_selectorELNS0_4arch9wavefront6targetE1EEEvS17_
                                        ; -- End function
	.section	.AMDGPU.csdata,"",@progbits
; Kernel info:
; codeLenInByte = 0
; NumSgprs: 4
; NumVgprs: 0
; NumAgprs: 0
; TotalNumVgprs: 0
; ScratchSize: 0
; MemoryBound: 0
; FloatMode: 240
; IeeeMode: 1
; LDSByteSize: 0 bytes/workgroup (compile time only)
; SGPRBlocks: 0
; VGPRBlocks: 0
; NumSGPRsForWavesPerEU: 4
; NumVGPRsForWavesPerEU: 1
; AccumOffset: 4
; Occupancy: 8
; WaveLimiterHint : 0
; COMPUTE_PGM_RSRC2:SCRATCH_EN: 0
; COMPUTE_PGM_RSRC2:USER_SGPR: 6
; COMPUTE_PGM_RSRC2:TRAP_HANDLER: 0
; COMPUTE_PGM_RSRC2:TGID_X_EN: 1
; COMPUTE_PGM_RSRC2:TGID_Y_EN: 0
; COMPUTE_PGM_RSRC2:TGID_Z_EN: 0
; COMPUTE_PGM_RSRC2:TIDIG_COMP_CNT: 0
; COMPUTE_PGM_RSRC3_GFX90A:ACCUM_OFFSET: 0
; COMPUTE_PGM_RSRC3_GFX90A:TG_SPLIT: 0
	.section	.text._ZN7rocprim17ROCPRIM_400000_NS6detail17trampoline_kernelINS0_14default_configENS1_22reduce_config_selectorIN6thrust23THRUST_200600_302600_NS5tupleIblNS6_9null_typeES8_S8_S8_S8_S8_S8_S8_EEEEZNS1_11reduce_implILb1ES3_NS6_12zip_iteratorINS7_INS6_11hip_rocprim26transform_input_iterator_tIbPlNS6_6detail10functional5actorINSH_9compositeIJNSH_27transparent_binary_operatorINS6_8equal_toIvEEEENSI_INSH_8argumentILj0EEEEENSH_5valueIlEEEEEEEEENSD_19counting_iterator_tIlEES8_S8_S8_S8_S8_S8_S8_S8_EEEEPS9_S9_NSD_9__find_if7functorIS9_EEEE10hipError_tPvRmT1_T2_T3_mT4_P12ihipStream_tbEUlT_E1_NS1_11comp_targetILNS1_3genE10ELNS1_11target_archE1200ELNS1_3gpuE4ELNS1_3repE0EEENS1_30default_config_static_selectorELNS0_4arch9wavefront6targetE1EEEvS17_,"axG",@progbits,_ZN7rocprim17ROCPRIM_400000_NS6detail17trampoline_kernelINS0_14default_configENS1_22reduce_config_selectorIN6thrust23THRUST_200600_302600_NS5tupleIblNS6_9null_typeES8_S8_S8_S8_S8_S8_S8_EEEEZNS1_11reduce_implILb1ES3_NS6_12zip_iteratorINS7_INS6_11hip_rocprim26transform_input_iterator_tIbPlNS6_6detail10functional5actorINSH_9compositeIJNSH_27transparent_binary_operatorINS6_8equal_toIvEEEENSI_INSH_8argumentILj0EEEEENSH_5valueIlEEEEEEEEENSD_19counting_iterator_tIlEES8_S8_S8_S8_S8_S8_S8_S8_EEEEPS9_S9_NSD_9__find_if7functorIS9_EEEE10hipError_tPvRmT1_T2_T3_mT4_P12ihipStream_tbEUlT_E1_NS1_11comp_targetILNS1_3genE10ELNS1_11target_archE1200ELNS1_3gpuE4ELNS1_3repE0EEENS1_30default_config_static_selectorELNS0_4arch9wavefront6targetE1EEEvS17_,comdat
	.protected	_ZN7rocprim17ROCPRIM_400000_NS6detail17trampoline_kernelINS0_14default_configENS1_22reduce_config_selectorIN6thrust23THRUST_200600_302600_NS5tupleIblNS6_9null_typeES8_S8_S8_S8_S8_S8_S8_EEEEZNS1_11reduce_implILb1ES3_NS6_12zip_iteratorINS7_INS6_11hip_rocprim26transform_input_iterator_tIbPlNS6_6detail10functional5actorINSH_9compositeIJNSH_27transparent_binary_operatorINS6_8equal_toIvEEEENSI_INSH_8argumentILj0EEEEENSH_5valueIlEEEEEEEEENSD_19counting_iterator_tIlEES8_S8_S8_S8_S8_S8_S8_S8_EEEEPS9_S9_NSD_9__find_if7functorIS9_EEEE10hipError_tPvRmT1_T2_T3_mT4_P12ihipStream_tbEUlT_E1_NS1_11comp_targetILNS1_3genE10ELNS1_11target_archE1200ELNS1_3gpuE4ELNS1_3repE0EEENS1_30default_config_static_selectorELNS0_4arch9wavefront6targetE1EEEvS17_ ; -- Begin function _ZN7rocprim17ROCPRIM_400000_NS6detail17trampoline_kernelINS0_14default_configENS1_22reduce_config_selectorIN6thrust23THRUST_200600_302600_NS5tupleIblNS6_9null_typeES8_S8_S8_S8_S8_S8_S8_EEEEZNS1_11reduce_implILb1ES3_NS6_12zip_iteratorINS7_INS6_11hip_rocprim26transform_input_iterator_tIbPlNS6_6detail10functional5actorINSH_9compositeIJNSH_27transparent_binary_operatorINS6_8equal_toIvEEEENSI_INSH_8argumentILj0EEEEENSH_5valueIlEEEEEEEEENSD_19counting_iterator_tIlEES8_S8_S8_S8_S8_S8_S8_S8_EEEEPS9_S9_NSD_9__find_if7functorIS9_EEEE10hipError_tPvRmT1_T2_T3_mT4_P12ihipStream_tbEUlT_E1_NS1_11comp_targetILNS1_3genE10ELNS1_11target_archE1200ELNS1_3gpuE4ELNS1_3repE0EEENS1_30default_config_static_selectorELNS0_4arch9wavefront6targetE1EEEvS17_
	.globl	_ZN7rocprim17ROCPRIM_400000_NS6detail17trampoline_kernelINS0_14default_configENS1_22reduce_config_selectorIN6thrust23THRUST_200600_302600_NS5tupleIblNS6_9null_typeES8_S8_S8_S8_S8_S8_S8_EEEEZNS1_11reduce_implILb1ES3_NS6_12zip_iteratorINS7_INS6_11hip_rocprim26transform_input_iterator_tIbPlNS6_6detail10functional5actorINSH_9compositeIJNSH_27transparent_binary_operatorINS6_8equal_toIvEEEENSI_INSH_8argumentILj0EEEEENSH_5valueIlEEEEEEEEENSD_19counting_iterator_tIlEES8_S8_S8_S8_S8_S8_S8_S8_EEEEPS9_S9_NSD_9__find_if7functorIS9_EEEE10hipError_tPvRmT1_T2_T3_mT4_P12ihipStream_tbEUlT_E1_NS1_11comp_targetILNS1_3genE10ELNS1_11target_archE1200ELNS1_3gpuE4ELNS1_3repE0EEENS1_30default_config_static_selectorELNS0_4arch9wavefront6targetE1EEEvS17_
	.p2align	8
	.type	_ZN7rocprim17ROCPRIM_400000_NS6detail17trampoline_kernelINS0_14default_configENS1_22reduce_config_selectorIN6thrust23THRUST_200600_302600_NS5tupleIblNS6_9null_typeES8_S8_S8_S8_S8_S8_S8_EEEEZNS1_11reduce_implILb1ES3_NS6_12zip_iteratorINS7_INS6_11hip_rocprim26transform_input_iterator_tIbPlNS6_6detail10functional5actorINSH_9compositeIJNSH_27transparent_binary_operatorINS6_8equal_toIvEEEENSI_INSH_8argumentILj0EEEEENSH_5valueIlEEEEEEEEENSD_19counting_iterator_tIlEES8_S8_S8_S8_S8_S8_S8_S8_EEEEPS9_S9_NSD_9__find_if7functorIS9_EEEE10hipError_tPvRmT1_T2_T3_mT4_P12ihipStream_tbEUlT_E1_NS1_11comp_targetILNS1_3genE10ELNS1_11target_archE1200ELNS1_3gpuE4ELNS1_3repE0EEENS1_30default_config_static_selectorELNS0_4arch9wavefront6targetE1EEEvS17_,@function
_ZN7rocprim17ROCPRIM_400000_NS6detail17trampoline_kernelINS0_14default_configENS1_22reduce_config_selectorIN6thrust23THRUST_200600_302600_NS5tupleIblNS6_9null_typeES8_S8_S8_S8_S8_S8_S8_EEEEZNS1_11reduce_implILb1ES3_NS6_12zip_iteratorINS7_INS6_11hip_rocprim26transform_input_iterator_tIbPlNS6_6detail10functional5actorINSH_9compositeIJNSH_27transparent_binary_operatorINS6_8equal_toIvEEEENSI_INSH_8argumentILj0EEEEENSH_5valueIlEEEEEEEEENSD_19counting_iterator_tIlEES8_S8_S8_S8_S8_S8_S8_S8_EEEEPS9_S9_NSD_9__find_if7functorIS9_EEEE10hipError_tPvRmT1_T2_T3_mT4_P12ihipStream_tbEUlT_E1_NS1_11comp_targetILNS1_3genE10ELNS1_11target_archE1200ELNS1_3gpuE4ELNS1_3repE0EEENS1_30default_config_static_selectorELNS0_4arch9wavefront6targetE1EEEvS17_: ; @_ZN7rocprim17ROCPRIM_400000_NS6detail17trampoline_kernelINS0_14default_configENS1_22reduce_config_selectorIN6thrust23THRUST_200600_302600_NS5tupleIblNS6_9null_typeES8_S8_S8_S8_S8_S8_S8_EEEEZNS1_11reduce_implILb1ES3_NS6_12zip_iteratorINS7_INS6_11hip_rocprim26transform_input_iterator_tIbPlNS6_6detail10functional5actorINSH_9compositeIJNSH_27transparent_binary_operatorINS6_8equal_toIvEEEENSI_INSH_8argumentILj0EEEEENSH_5valueIlEEEEEEEEENSD_19counting_iterator_tIlEES8_S8_S8_S8_S8_S8_S8_S8_EEEEPS9_S9_NSD_9__find_if7functorIS9_EEEE10hipError_tPvRmT1_T2_T3_mT4_P12ihipStream_tbEUlT_E1_NS1_11comp_targetILNS1_3genE10ELNS1_11target_archE1200ELNS1_3gpuE4ELNS1_3repE0EEENS1_30default_config_static_selectorELNS0_4arch9wavefront6targetE1EEEvS17_
; %bb.0:
	.section	.rodata,"a",@progbits
	.p2align	6, 0x0
	.amdhsa_kernel _ZN7rocprim17ROCPRIM_400000_NS6detail17trampoline_kernelINS0_14default_configENS1_22reduce_config_selectorIN6thrust23THRUST_200600_302600_NS5tupleIblNS6_9null_typeES8_S8_S8_S8_S8_S8_S8_EEEEZNS1_11reduce_implILb1ES3_NS6_12zip_iteratorINS7_INS6_11hip_rocprim26transform_input_iterator_tIbPlNS6_6detail10functional5actorINSH_9compositeIJNSH_27transparent_binary_operatorINS6_8equal_toIvEEEENSI_INSH_8argumentILj0EEEEENSH_5valueIlEEEEEEEEENSD_19counting_iterator_tIlEES8_S8_S8_S8_S8_S8_S8_S8_EEEEPS9_S9_NSD_9__find_if7functorIS9_EEEE10hipError_tPvRmT1_T2_T3_mT4_P12ihipStream_tbEUlT_E1_NS1_11comp_targetILNS1_3genE10ELNS1_11target_archE1200ELNS1_3gpuE4ELNS1_3repE0EEENS1_30default_config_static_selectorELNS0_4arch9wavefront6targetE1EEEvS17_
		.amdhsa_group_segment_fixed_size 0
		.amdhsa_private_segment_fixed_size 0
		.amdhsa_kernarg_size 80
		.amdhsa_user_sgpr_count 6
		.amdhsa_user_sgpr_private_segment_buffer 1
		.amdhsa_user_sgpr_dispatch_ptr 0
		.amdhsa_user_sgpr_queue_ptr 0
		.amdhsa_user_sgpr_kernarg_segment_ptr 1
		.amdhsa_user_sgpr_dispatch_id 0
		.amdhsa_user_sgpr_flat_scratch_init 0
		.amdhsa_user_sgpr_kernarg_preload_length 0
		.amdhsa_user_sgpr_kernarg_preload_offset 0
		.amdhsa_user_sgpr_private_segment_size 0
		.amdhsa_uses_dynamic_stack 0
		.amdhsa_system_sgpr_private_segment_wavefront_offset 0
		.amdhsa_system_sgpr_workgroup_id_x 1
		.amdhsa_system_sgpr_workgroup_id_y 0
		.amdhsa_system_sgpr_workgroup_id_z 0
		.amdhsa_system_sgpr_workgroup_info 0
		.amdhsa_system_vgpr_workitem_id 0
		.amdhsa_next_free_vgpr 1
		.amdhsa_next_free_sgpr 0
		.amdhsa_accum_offset 4
		.amdhsa_reserve_vcc 0
		.amdhsa_reserve_flat_scratch 0
		.amdhsa_float_round_mode_32 0
		.amdhsa_float_round_mode_16_64 0
		.amdhsa_float_denorm_mode_32 3
		.amdhsa_float_denorm_mode_16_64 3
		.amdhsa_dx10_clamp 1
		.amdhsa_ieee_mode 1
		.amdhsa_fp16_overflow 0
		.amdhsa_tg_split 0
		.amdhsa_exception_fp_ieee_invalid_op 0
		.amdhsa_exception_fp_denorm_src 0
		.amdhsa_exception_fp_ieee_div_zero 0
		.amdhsa_exception_fp_ieee_overflow 0
		.amdhsa_exception_fp_ieee_underflow 0
		.amdhsa_exception_fp_ieee_inexact 0
		.amdhsa_exception_int_div_zero 0
	.end_amdhsa_kernel
	.section	.text._ZN7rocprim17ROCPRIM_400000_NS6detail17trampoline_kernelINS0_14default_configENS1_22reduce_config_selectorIN6thrust23THRUST_200600_302600_NS5tupleIblNS6_9null_typeES8_S8_S8_S8_S8_S8_S8_EEEEZNS1_11reduce_implILb1ES3_NS6_12zip_iteratorINS7_INS6_11hip_rocprim26transform_input_iterator_tIbPlNS6_6detail10functional5actorINSH_9compositeIJNSH_27transparent_binary_operatorINS6_8equal_toIvEEEENSI_INSH_8argumentILj0EEEEENSH_5valueIlEEEEEEEEENSD_19counting_iterator_tIlEES8_S8_S8_S8_S8_S8_S8_S8_EEEEPS9_S9_NSD_9__find_if7functorIS9_EEEE10hipError_tPvRmT1_T2_T3_mT4_P12ihipStream_tbEUlT_E1_NS1_11comp_targetILNS1_3genE10ELNS1_11target_archE1200ELNS1_3gpuE4ELNS1_3repE0EEENS1_30default_config_static_selectorELNS0_4arch9wavefront6targetE1EEEvS17_,"axG",@progbits,_ZN7rocprim17ROCPRIM_400000_NS6detail17trampoline_kernelINS0_14default_configENS1_22reduce_config_selectorIN6thrust23THRUST_200600_302600_NS5tupleIblNS6_9null_typeES8_S8_S8_S8_S8_S8_S8_EEEEZNS1_11reduce_implILb1ES3_NS6_12zip_iteratorINS7_INS6_11hip_rocprim26transform_input_iterator_tIbPlNS6_6detail10functional5actorINSH_9compositeIJNSH_27transparent_binary_operatorINS6_8equal_toIvEEEENSI_INSH_8argumentILj0EEEEENSH_5valueIlEEEEEEEEENSD_19counting_iterator_tIlEES8_S8_S8_S8_S8_S8_S8_S8_EEEEPS9_S9_NSD_9__find_if7functorIS9_EEEE10hipError_tPvRmT1_T2_T3_mT4_P12ihipStream_tbEUlT_E1_NS1_11comp_targetILNS1_3genE10ELNS1_11target_archE1200ELNS1_3gpuE4ELNS1_3repE0EEENS1_30default_config_static_selectorELNS0_4arch9wavefront6targetE1EEEvS17_,comdat
.Lfunc_end1255:
	.size	_ZN7rocprim17ROCPRIM_400000_NS6detail17trampoline_kernelINS0_14default_configENS1_22reduce_config_selectorIN6thrust23THRUST_200600_302600_NS5tupleIblNS6_9null_typeES8_S8_S8_S8_S8_S8_S8_EEEEZNS1_11reduce_implILb1ES3_NS6_12zip_iteratorINS7_INS6_11hip_rocprim26transform_input_iterator_tIbPlNS6_6detail10functional5actorINSH_9compositeIJNSH_27transparent_binary_operatorINS6_8equal_toIvEEEENSI_INSH_8argumentILj0EEEEENSH_5valueIlEEEEEEEEENSD_19counting_iterator_tIlEES8_S8_S8_S8_S8_S8_S8_S8_EEEEPS9_S9_NSD_9__find_if7functorIS9_EEEE10hipError_tPvRmT1_T2_T3_mT4_P12ihipStream_tbEUlT_E1_NS1_11comp_targetILNS1_3genE10ELNS1_11target_archE1200ELNS1_3gpuE4ELNS1_3repE0EEENS1_30default_config_static_selectorELNS0_4arch9wavefront6targetE1EEEvS17_, .Lfunc_end1255-_ZN7rocprim17ROCPRIM_400000_NS6detail17trampoline_kernelINS0_14default_configENS1_22reduce_config_selectorIN6thrust23THRUST_200600_302600_NS5tupleIblNS6_9null_typeES8_S8_S8_S8_S8_S8_S8_EEEEZNS1_11reduce_implILb1ES3_NS6_12zip_iteratorINS7_INS6_11hip_rocprim26transform_input_iterator_tIbPlNS6_6detail10functional5actorINSH_9compositeIJNSH_27transparent_binary_operatorINS6_8equal_toIvEEEENSI_INSH_8argumentILj0EEEEENSH_5valueIlEEEEEEEEENSD_19counting_iterator_tIlEES8_S8_S8_S8_S8_S8_S8_S8_EEEEPS9_S9_NSD_9__find_if7functorIS9_EEEE10hipError_tPvRmT1_T2_T3_mT4_P12ihipStream_tbEUlT_E1_NS1_11comp_targetILNS1_3genE10ELNS1_11target_archE1200ELNS1_3gpuE4ELNS1_3repE0EEENS1_30default_config_static_selectorELNS0_4arch9wavefront6targetE1EEEvS17_
                                        ; -- End function
	.section	.AMDGPU.csdata,"",@progbits
; Kernel info:
; codeLenInByte = 0
; NumSgprs: 4
; NumVgprs: 0
; NumAgprs: 0
; TotalNumVgprs: 0
; ScratchSize: 0
; MemoryBound: 0
; FloatMode: 240
; IeeeMode: 1
; LDSByteSize: 0 bytes/workgroup (compile time only)
; SGPRBlocks: 0
; VGPRBlocks: 0
; NumSGPRsForWavesPerEU: 4
; NumVGPRsForWavesPerEU: 1
; AccumOffset: 4
; Occupancy: 8
; WaveLimiterHint : 0
; COMPUTE_PGM_RSRC2:SCRATCH_EN: 0
; COMPUTE_PGM_RSRC2:USER_SGPR: 6
; COMPUTE_PGM_RSRC2:TRAP_HANDLER: 0
; COMPUTE_PGM_RSRC2:TGID_X_EN: 1
; COMPUTE_PGM_RSRC2:TGID_Y_EN: 0
; COMPUTE_PGM_RSRC2:TGID_Z_EN: 0
; COMPUTE_PGM_RSRC2:TIDIG_COMP_CNT: 0
; COMPUTE_PGM_RSRC3_GFX90A:ACCUM_OFFSET: 0
; COMPUTE_PGM_RSRC3_GFX90A:TG_SPLIT: 0
	.section	.text._ZN7rocprim17ROCPRIM_400000_NS6detail17trampoline_kernelINS0_14default_configENS1_22reduce_config_selectorIN6thrust23THRUST_200600_302600_NS5tupleIblNS6_9null_typeES8_S8_S8_S8_S8_S8_S8_EEEEZNS1_11reduce_implILb1ES3_NS6_12zip_iteratorINS7_INS6_11hip_rocprim26transform_input_iterator_tIbPlNS6_6detail10functional5actorINSH_9compositeIJNSH_27transparent_binary_operatorINS6_8equal_toIvEEEENSI_INSH_8argumentILj0EEEEENSH_5valueIlEEEEEEEEENSD_19counting_iterator_tIlEES8_S8_S8_S8_S8_S8_S8_S8_EEEEPS9_S9_NSD_9__find_if7functorIS9_EEEE10hipError_tPvRmT1_T2_T3_mT4_P12ihipStream_tbEUlT_E1_NS1_11comp_targetILNS1_3genE9ELNS1_11target_archE1100ELNS1_3gpuE3ELNS1_3repE0EEENS1_30default_config_static_selectorELNS0_4arch9wavefront6targetE1EEEvS17_,"axG",@progbits,_ZN7rocprim17ROCPRIM_400000_NS6detail17trampoline_kernelINS0_14default_configENS1_22reduce_config_selectorIN6thrust23THRUST_200600_302600_NS5tupleIblNS6_9null_typeES8_S8_S8_S8_S8_S8_S8_EEEEZNS1_11reduce_implILb1ES3_NS6_12zip_iteratorINS7_INS6_11hip_rocprim26transform_input_iterator_tIbPlNS6_6detail10functional5actorINSH_9compositeIJNSH_27transparent_binary_operatorINS6_8equal_toIvEEEENSI_INSH_8argumentILj0EEEEENSH_5valueIlEEEEEEEEENSD_19counting_iterator_tIlEES8_S8_S8_S8_S8_S8_S8_S8_EEEEPS9_S9_NSD_9__find_if7functorIS9_EEEE10hipError_tPvRmT1_T2_T3_mT4_P12ihipStream_tbEUlT_E1_NS1_11comp_targetILNS1_3genE9ELNS1_11target_archE1100ELNS1_3gpuE3ELNS1_3repE0EEENS1_30default_config_static_selectorELNS0_4arch9wavefront6targetE1EEEvS17_,comdat
	.protected	_ZN7rocprim17ROCPRIM_400000_NS6detail17trampoline_kernelINS0_14default_configENS1_22reduce_config_selectorIN6thrust23THRUST_200600_302600_NS5tupleIblNS6_9null_typeES8_S8_S8_S8_S8_S8_S8_EEEEZNS1_11reduce_implILb1ES3_NS6_12zip_iteratorINS7_INS6_11hip_rocprim26transform_input_iterator_tIbPlNS6_6detail10functional5actorINSH_9compositeIJNSH_27transparent_binary_operatorINS6_8equal_toIvEEEENSI_INSH_8argumentILj0EEEEENSH_5valueIlEEEEEEEEENSD_19counting_iterator_tIlEES8_S8_S8_S8_S8_S8_S8_S8_EEEEPS9_S9_NSD_9__find_if7functorIS9_EEEE10hipError_tPvRmT1_T2_T3_mT4_P12ihipStream_tbEUlT_E1_NS1_11comp_targetILNS1_3genE9ELNS1_11target_archE1100ELNS1_3gpuE3ELNS1_3repE0EEENS1_30default_config_static_selectorELNS0_4arch9wavefront6targetE1EEEvS17_ ; -- Begin function _ZN7rocprim17ROCPRIM_400000_NS6detail17trampoline_kernelINS0_14default_configENS1_22reduce_config_selectorIN6thrust23THRUST_200600_302600_NS5tupleIblNS6_9null_typeES8_S8_S8_S8_S8_S8_S8_EEEEZNS1_11reduce_implILb1ES3_NS6_12zip_iteratorINS7_INS6_11hip_rocprim26transform_input_iterator_tIbPlNS6_6detail10functional5actorINSH_9compositeIJNSH_27transparent_binary_operatorINS6_8equal_toIvEEEENSI_INSH_8argumentILj0EEEEENSH_5valueIlEEEEEEEEENSD_19counting_iterator_tIlEES8_S8_S8_S8_S8_S8_S8_S8_EEEEPS9_S9_NSD_9__find_if7functorIS9_EEEE10hipError_tPvRmT1_T2_T3_mT4_P12ihipStream_tbEUlT_E1_NS1_11comp_targetILNS1_3genE9ELNS1_11target_archE1100ELNS1_3gpuE3ELNS1_3repE0EEENS1_30default_config_static_selectorELNS0_4arch9wavefront6targetE1EEEvS17_
	.globl	_ZN7rocprim17ROCPRIM_400000_NS6detail17trampoline_kernelINS0_14default_configENS1_22reduce_config_selectorIN6thrust23THRUST_200600_302600_NS5tupleIblNS6_9null_typeES8_S8_S8_S8_S8_S8_S8_EEEEZNS1_11reduce_implILb1ES3_NS6_12zip_iteratorINS7_INS6_11hip_rocprim26transform_input_iterator_tIbPlNS6_6detail10functional5actorINSH_9compositeIJNSH_27transparent_binary_operatorINS6_8equal_toIvEEEENSI_INSH_8argumentILj0EEEEENSH_5valueIlEEEEEEEEENSD_19counting_iterator_tIlEES8_S8_S8_S8_S8_S8_S8_S8_EEEEPS9_S9_NSD_9__find_if7functorIS9_EEEE10hipError_tPvRmT1_T2_T3_mT4_P12ihipStream_tbEUlT_E1_NS1_11comp_targetILNS1_3genE9ELNS1_11target_archE1100ELNS1_3gpuE3ELNS1_3repE0EEENS1_30default_config_static_selectorELNS0_4arch9wavefront6targetE1EEEvS17_
	.p2align	8
	.type	_ZN7rocprim17ROCPRIM_400000_NS6detail17trampoline_kernelINS0_14default_configENS1_22reduce_config_selectorIN6thrust23THRUST_200600_302600_NS5tupleIblNS6_9null_typeES8_S8_S8_S8_S8_S8_S8_EEEEZNS1_11reduce_implILb1ES3_NS6_12zip_iteratorINS7_INS6_11hip_rocprim26transform_input_iterator_tIbPlNS6_6detail10functional5actorINSH_9compositeIJNSH_27transparent_binary_operatorINS6_8equal_toIvEEEENSI_INSH_8argumentILj0EEEEENSH_5valueIlEEEEEEEEENSD_19counting_iterator_tIlEES8_S8_S8_S8_S8_S8_S8_S8_EEEEPS9_S9_NSD_9__find_if7functorIS9_EEEE10hipError_tPvRmT1_T2_T3_mT4_P12ihipStream_tbEUlT_E1_NS1_11comp_targetILNS1_3genE9ELNS1_11target_archE1100ELNS1_3gpuE3ELNS1_3repE0EEENS1_30default_config_static_selectorELNS0_4arch9wavefront6targetE1EEEvS17_,@function
_ZN7rocprim17ROCPRIM_400000_NS6detail17trampoline_kernelINS0_14default_configENS1_22reduce_config_selectorIN6thrust23THRUST_200600_302600_NS5tupleIblNS6_9null_typeES8_S8_S8_S8_S8_S8_S8_EEEEZNS1_11reduce_implILb1ES3_NS6_12zip_iteratorINS7_INS6_11hip_rocprim26transform_input_iterator_tIbPlNS6_6detail10functional5actorINSH_9compositeIJNSH_27transparent_binary_operatorINS6_8equal_toIvEEEENSI_INSH_8argumentILj0EEEEENSH_5valueIlEEEEEEEEENSD_19counting_iterator_tIlEES8_S8_S8_S8_S8_S8_S8_S8_EEEEPS9_S9_NSD_9__find_if7functorIS9_EEEE10hipError_tPvRmT1_T2_T3_mT4_P12ihipStream_tbEUlT_E1_NS1_11comp_targetILNS1_3genE9ELNS1_11target_archE1100ELNS1_3gpuE3ELNS1_3repE0EEENS1_30default_config_static_selectorELNS0_4arch9wavefront6targetE1EEEvS17_: ; @_ZN7rocprim17ROCPRIM_400000_NS6detail17trampoline_kernelINS0_14default_configENS1_22reduce_config_selectorIN6thrust23THRUST_200600_302600_NS5tupleIblNS6_9null_typeES8_S8_S8_S8_S8_S8_S8_EEEEZNS1_11reduce_implILb1ES3_NS6_12zip_iteratorINS7_INS6_11hip_rocprim26transform_input_iterator_tIbPlNS6_6detail10functional5actorINSH_9compositeIJNSH_27transparent_binary_operatorINS6_8equal_toIvEEEENSI_INSH_8argumentILj0EEEEENSH_5valueIlEEEEEEEEENSD_19counting_iterator_tIlEES8_S8_S8_S8_S8_S8_S8_S8_EEEEPS9_S9_NSD_9__find_if7functorIS9_EEEE10hipError_tPvRmT1_T2_T3_mT4_P12ihipStream_tbEUlT_E1_NS1_11comp_targetILNS1_3genE9ELNS1_11target_archE1100ELNS1_3gpuE3ELNS1_3repE0EEENS1_30default_config_static_selectorELNS0_4arch9wavefront6targetE1EEEvS17_
; %bb.0:
	.section	.rodata,"a",@progbits
	.p2align	6, 0x0
	.amdhsa_kernel _ZN7rocprim17ROCPRIM_400000_NS6detail17trampoline_kernelINS0_14default_configENS1_22reduce_config_selectorIN6thrust23THRUST_200600_302600_NS5tupleIblNS6_9null_typeES8_S8_S8_S8_S8_S8_S8_EEEEZNS1_11reduce_implILb1ES3_NS6_12zip_iteratorINS7_INS6_11hip_rocprim26transform_input_iterator_tIbPlNS6_6detail10functional5actorINSH_9compositeIJNSH_27transparent_binary_operatorINS6_8equal_toIvEEEENSI_INSH_8argumentILj0EEEEENSH_5valueIlEEEEEEEEENSD_19counting_iterator_tIlEES8_S8_S8_S8_S8_S8_S8_S8_EEEEPS9_S9_NSD_9__find_if7functorIS9_EEEE10hipError_tPvRmT1_T2_T3_mT4_P12ihipStream_tbEUlT_E1_NS1_11comp_targetILNS1_3genE9ELNS1_11target_archE1100ELNS1_3gpuE3ELNS1_3repE0EEENS1_30default_config_static_selectorELNS0_4arch9wavefront6targetE1EEEvS17_
		.amdhsa_group_segment_fixed_size 0
		.amdhsa_private_segment_fixed_size 0
		.amdhsa_kernarg_size 80
		.amdhsa_user_sgpr_count 6
		.amdhsa_user_sgpr_private_segment_buffer 1
		.amdhsa_user_sgpr_dispatch_ptr 0
		.amdhsa_user_sgpr_queue_ptr 0
		.amdhsa_user_sgpr_kernarg_segment_ptr 1
		.amdhsa_user_sgpr_dispatch_id 0
		.amdhsa_user_sgpr_flat_scratch_init 0
		.amdhsa_user_sgpr_kernarg_preload_length 0
		.amdhsa_user_sgpr_kernarg_preload_offset 0
		.amdhsa_user_sgpr_private_segment_size 0
		.amdhsa_uses_dynamic_stack 0
		.amdhsa_system_sgpr_private_segment_wavefront_offset 0
		.amdhsa_system_sgpr_workgroup_id_x 1
		.amdhsa_system_sgpr_workgroup_id_y 0
		.amdhsa_system_sgpr_workgroup_id_z 0
		.amdhsa_system_sgpr_workgroup_info 0
		.amdhsa_system_vgpr_workitem_id 0
		.amdhsa_next_free_vgpr 1
		.amdhsa_next_free_sgpr 0
		.amdhsa_accum_offset 4
		.amdhsa_reserve_vcc 0
		.amdhsa_reserve_flat_scratch 0
		.amdhsa_float_round_mode_32 0
		.amdhsa_float_round_mode_16_64 0
		.amdhsa_float_denorm_mode_32 3
		.amdhsa_float_denorm_mode_16_64 3
		.amdhsa_dx10_clamp 1
		.amdhsa_ieee_mode 1
		.amdhsa_fp16_overflow 0
		.amdhsa_tg_split 0
		.amdhsa_exception_fp_ieee_invalid_op 0
		.amdhsa_exception_fp_denorm_src 0
		.amdhsa_exception_fp_ieee_div_zero 0
		.amdhsa_exception_fp_ieee_overflow 0
		.amdhsa_exception_fp_ieee_underflow 0
		.amdhsa_exception_fp_ieee_inexact 0
		.amdhsa_exception_int_div_zero 0
	.end_amdhsa_kernel
	.section	.text._ZN7rocprim17ROCPRIM_400000_NS6detail17trampoline_kernelINS0_14default_configENS1_22reduce_config_selectorIN6thrust23THRUST_200600_302600_NS5tupleIblNS6_9null_typeES8_S8_S8_S8_S8_S8_S8_EEEEZNS1_11reduce_implILb1ES3_NS6_12zip_iteratorINS7_INS6_11hip_rocprim26transform_input_iterator_tIbPlNS6_6detail10functional5actorINSH_9compositeIJNSH_27transparent_binary_operatorINS6_8equal_toIvEEEENSI_INSH_8argumentILj0EEEEENSH_5valueIlEEEEEEEEENSD_19counting_iterator_tIlEES8_S8_S8_S8_S8_S8_S8_S8_EEEEPS9_S9_NSD_9__find_if7functorIS9_EEEE10hipError_tPvRmT1_T2_T3_mT4_P12ihipStream_tbEUlT_E1_NS1_11comp_targetILNS1_3genE9ELNS1_11target_archE1100ELNS1_3gpuE3ELNS1_3repE0EEENS1_30default_config_static_selectorELNS0_4arch9wavefront6targetE1EEEvS17_,"axG",@progbits,_ZN7rocprim17ROCPRIM_400000_NS6detail17trampoline_kernelINS0_14default_configENS1_22reduce_config_selectorIN6thrust23THRUST_200600_302600_NS5tupleIblNS6_9null_typeES8_S8_S8_S8_S8_S8_S8_EEEEZNS1_11reduce_implILb1ES3_NS6_12zip_iteratorINS7_INS6_11hip_rocprim26transform_input_iterator_tIbPlNS6_6detail10functional5actorINSH_9compositeIJNSH_27transparent_binary_operatorINS6_8equal_toIvEEEENSI_INSH_8argumentILj0EEEEENSH_5valueIlEEEEEEEEENSD_19counting_iterator_tIlEES8_S8_S8_S8_S8_S8_S8_S8_EEEEPS9_S9_NSD_9__find_if7functorIS9_EEEE10hipError_tPvRmT1_T2_T3_mT4_P12ihipStream_tbEUlT_E1_NS1_11comp_targetILNS1_3genE9ELNS1_11target_archE1100ELNS1_3gpuE3ELNS1_3repE0EEENS1_30default_config_static_selectorELNS0_4arch9wavefront6targetE1EEEvS17_,comdat
.Lfunc_end1256:
	.size	_ZN7rocprim17ROCPRIM_400000_NS6detail17trampoline_kernelINS0_14default_configENS1_22reduce_config_selectorIN6thrust23THRUST_200600_302600_NS5tupleIblNS6_9null_typeES8_S8_S8_S8_S8_S8_S8_EEEEZNS1_11reduce_implILb1ES3_NS6_12zip_iteratorINS7_INS6_11hip_rocprim26transform_input_iterator_tIbPlNS6_6detail10functional5actorINSH_9compositeIJNSH_27transparent_binary_operatorINS6_8equal_toIvEEEENSI_INSH_8argumentILj0EEEEENSH_5valueIlEEEEEEEEENSD_19counting_iterator_tIlEES8_S8_S8_S8_S8_S8_S8_S8_EEEEPS9_S9_NSD_9__find_if7functorIS9_EEEE10hipError_tPvRmT1_T2_T3_mT4_P12ihipStream_tbEUlT_E1_NS1_11comp_targetILNS1_3genE9ELNS1_11target_archE1100ELNS1_3gpuE3ELNS1_3repE0EEENS1_30default_config_static_selectorELNS0_4arch9wavefront6targetE1EEEvS17_, .Lfunc_end1256-_ZN7rocprim17ROCPRIM_400000_NS6detail17trampoline_kernelINS0_14default_configENS1_22reduce_config_selectorIN6thrust23THRUST_200600_302600_NS5tupleIblNS6_9null_typeES8_S8_S8_S8_S8_S8_S8_EEEEZNS1_11reduce_implILb1ES3_NS6_12zip_iteratorINS7_INS6_11hip_rocprim26transform_input_iterator_tIbPlNS6_6detail10functional5actorINSH_9compositeIJNSH_27transparent_binary_operatorINS6_8equal_toIvEEEENSI_INSH_8argumentILj0EEEEENSH_5valueIlEEEEEEEEENSD_19counting_iterator_tIlEES8_S8_S8_S8_S8_S8_S8_S8_EEEEPS9_S9_NSD_9__find_if7functorIS9_EEEE10hipError_tPvRmT1_T2_T3_mT4_P12ihipStream_tbEUlT_E1_NS1_11comp_targetILNS1_3genE9ELNS1_11target_archE1100ELNS1_3gpuE3ELNS1_3repE0EEENS1_30default_config_static_selectorELNS0_4arch9wavefront6targetE1EEEvS17_
                                        ; -- End function
	.section	.AMDGPU.csdata,"",@progbits
; Kernel info:
; codeLenInByte = 0
; NumSgprs: 4
; NumVgprs: 0
; NumAgprs: 0
; TotalNumVgprs: 0
; ScratchSize: 0
; MemoryBound: 0
; FloatMode: 240
; IeeeMode: 1
; LDSByteSize: 0 bytes/workgroup (compile time only)
; SGPRBlocks: 0
; VGPRBlocks: 0
; NumSGPRsForWavesPerEU: 4
; NumVGPRsForWavesPerEU: 1
; AccumOffset: 4
; Occupancy: 8
; WaveLimiterHint : 0
; COMPUTE_PGM_RSRC2:SCRATCH_EN: 0
; COMPUTE_PGM_RSRC2:USER_SGPR: 6
; COMPUTE_PGM_RSRC2:TRAP_HANDLER: 0
; COMPUTE_PGM_RSRC2:TGID_X_EN: 1
; COMPUTE_PGM_RSRC2:TGID_Y_EN: 0
; COMPUTE_PGM_RSRC2:TGID_Z_EN: 0
; COMPUTE_PGM_RSRC2:TIDIG_COMP_CNT: 0
; COMPUTE_PGM_RSRC3_GFX90A:ACCUM_OFFSET: 0
; COMPUTE_PGM_RSRC3_GFX90A:TG_SPLIT: 0
	.section	.text._ZN7rocprim17ROCPRIM_400000_NS6detail17trampoline_kernelINS0_14default_configENS1_22reduce_config_selectorIN6thrust23THRUST_200600_302600_NS5tupleIblNS6_9null_typeES8_S8_S8_S8_S8_S8_S8_EEEEZNS1_11reduce_implILb1ES3_NS6_12zip_iteratorINS7_INS6_11hip_rocprim26transform_input_iterator_tIbPlNS6_6detail10functional5actorINSH_9compositeIJNSH_27transparent_binary_operatorINS6_8equal_toIvEEEENSI_INSH_8argumentILj0EEEEENSH_5valueIlEEEEEEEEENSD_19counting_iterator_tIlEES8_S8_S8_S8_S8_S8_S8_S8_EEEEPS9_S9_NSD_9__find_if7functorIS9_EEEE10hipError_tPvRmT1_T2_T3_mT4_P12ihipStream_tbEUlT_E1_NS1_11comp_targetILNS1_3genE8ELNS1_11target_archE1030ELNS1_3gpuE2ELNS1_3repE0EEENS1_30default_config_static_selectorELNS0_4arch9wavefront6targetE1EEEvS17_,"axG",@progbits,_ZN7rocprim17ROCPRIM_400000_NS6detail17trampoline_kernelINS0_14default_configENS1_22reduce_config_selectorIN6thrust23THRUST_200600_302600_NS5tupleIblNS6_9null_typeES8_S8_S8_S8_S8_S8_S8_EEEEZNS1_11reduce_implILb1ES3_NS6_12zip_iteratorINS7_INS6_11hip_rocprim26transform_input_iterator_tIbPlNS6_6detail10functional5actorINSH_9compositeIJNSH_27transparent_binary_operatorINS6_8equal_toIvEEEENSI_INSH_8argumentILj0EEEEENSH_5valueIlEEEEEEEEENSD_19counting_iterator_tIlEES8_S8_S8_S8_S8_S8_S8_S8_EEEEPS9_S9_NSD_9__find_if7functorIS9_EEEE10hipError_tPvRmT1_T2_T3_mT4_P12ihipStream_tbEUlT_E1_NS1_11comp_targetILNS1_3genE8ELNS1_11target_archE1030ELNS1_3gpuE2ELNS1_3repE0EEENS1_30default_config_static_selectorELNS0_4arch9wavefront6targetE1EEEvS17_,comdat
	.protected	_ZN7rocprim17ROCPRIM_400000_NS6detail17trampoline_kernelINS0_14default_configENS1_22reduce_config_selectorIN6thrust23THRUST_200600_302600_NS5tupleIblNS6_9null_typeES8_S8_S8_S8_S8_S8_S8_EEEEZNS1_11reduce_implILb1ES3_NS6_12zip_iteratorINS7_INS6_11hip_rocprim26transform_input_iterator_tIbPlNS6_6detail10functional5actorINSH_9compositeIJNSH_27transparent_binary_operatorINS6_8equal_toIvEEEENSI_INSH_8argumentILj0EEEEENSH_5valueIlEEEEEEEEENSD_19counting_iterator_tIlEES8_S8_S8_S8_S8_S8_S8_S8_EEEEPS9_S9_NSD_9__find_if7functorIS9_EEEE10hipError_tPvRmT1_T2_T3_mT4_P12ihipStream_tbEUlT_E1_NS1_11comp_targetILNS1_3genE8ELNS1_11target_archE1030ELNS1_3gpuE2ELNS1_3repE0EEENS1_30default_config_static_selectorELNS0_4arch9wavefront6targetE1EEEvS17_ ; -- Begin function _ZN7rocprim17ROCPRIM_400000_NS6detail17trampoline_kernelINS0_14default_configENS1_22reduce_config_selectorIN6thrust23THRUST_200600_302600_NS5tupleIblNS6_9null_typeES8_S8_S8_S8_S8_S8_S8_EEEEZNS1_11reduce_implILb1ES3_NS6_12zip_iteratorINS7_INS6_11hip_rocprim26transform_input_iterator_tIbPlNS6_6detail10functional5actorINSH_9compositeIJNSH_27transparent_binary_operatorINS6_8equal_toIvEEEENSI_INSH_8argumentILj0EEEEENSH_5valueIlEEEEEEEEENSD_19counting_iterator_tIlEES8_S8_S8_S8_S8_S8_S8_S8_EEEEPS9_S9_NSD_9__find_if7functorIS9_EEEE10hipError_tPvRmT1_T2_T3_mT4_P12ihipStream_tbEUlT_E1_NS1_11comp_targetILNS1_3genE8ELNS1_11target_archE1030ELNS1_3gpuE2ELNS1_3repE0EEENS1_30default_config_static_selectorELNS0_4arch9wavefront6targetE1EEEvS17_
	.globl	_ZN7rocprim17ROCPRIM_400000_NS6detail17trampoline_kernelINS0_14default_configENS1_22reduce_config_selectorIN6thrust23THRUST_200600_302600_NS5tupleIblNS6_9null_typeES8_S8_S8_S8_S8_S8_S8_EEEEZNS1_11reduce_implILb1ES3_NS6_12zip_iteratorINS7_INS6_11hip_rocprim26transform_input_iterator_tIbPlNS6_6detail10functional5actorINSH_9compositeIJNSH_27transparent_binary_operatorINS6_8equal_toIvEEEENSI_INSH_8argumentILj0EEEEENSH_5valueIlEEEEEEEEENSD_19counting_iterator_tIlEES8_S8_S8_S8_S8_S8_S8_S8_EEEEPS9_S9_NSD_9__find_if7functorIS9_EEEE10hipError_tPvRmT1_T2_T3_mT4_P12ihipStream_tbEUlT_E1_NS1_11comp_targetILNS1_3genE8ELNS1_11target_archE1030ELNS1_3gpuE2ELNS1_3repE0EEENS1_30default_config_static_selectorELNS0_4arch9wavefront6targetE1EEEvS17_
	.p2align	8
	.type	_ZN7rocprim17ROCPRIM_400000_NS6detail17trampoline_kernelINS0_14default_configENS1_22reduce_config_selectorIN6thrust23THRUST_200600_302600_NS5tupleIblNS6_9null_typeES8_S8_S8_S8_S8_S8_S8_EEEEZNS1_11reduce_implILb1ES3_NS6_12zip_iteratorINS7_INS6_11hip_rocprim26transform_input_iterator_tIbPlNS6_6detail10functional5actorINSH_9compositeIJNSH_27transparent_binary_operatorINS6_8equal_toIvEEEENSI_INSH_8argumentILj0EEEEENSH_5valueIlEEEEEEEEENSD_19counting_iterator_tIlEES8_S8_S8_S8_S8_S8_S8_S8_EEEEPS9_S9_NSD_9__find_if7functorIS9_EEEE10hipError_tPvRmT1_T2_T3_mT4_P12ihipStream_tbEUlT_E1_NS1_11comp_targetILNS1_3genE8ELNS1_11target_archE1030ELNS1_3gpuE2ELNS1_3repE0EEENS1_30default_config_static_selectorELNS0_4arch9wavefront6targetE1EEEvS17_,@function
_ZN7rocprim17ROCPRIM_400000_NS6detail17trampoline_kernelINS0_14default_configENS1_22reduce_config_selectorIN6thrust23THRUST_200600_302600_NS5tupleIblNS6_9null_typeES8_S8_S8_S8_S8_S8_S8_EEEEZNS1_11reduce_implILb1ES3_NS6_12zip_iteratorINS7_INS6_11hip_rocprim26transform_input_iterator_tIbPlNS6_6detail10functional5actorINSH_9compositeIJNSH_27transparent_binary_operatorINS6_8equal_toIvEEEENSI_INSH_8argumentILj0EEEEENSH_5valueIlEEEEEEEEENSD_19counting_iterator_tIlEES8_S8_S8_S8_S8_S8_S8_S8_EEEEPS9_S9_NSD_9__find_if7functorIS9_EEEE10hipError_tPvRmT1_T2_T3_mT4_P12ihipStream_tbEUlT_E1_NS1_11comp_targetILNS1_3genE8ELNS1_11target_archE1030ELNS1_3gpuE2ELNS1_3repE0EEENS1_30default_config_static_selectorELNS0_4arch9wavefront6targetE1EEEvS17_: ; @_ZN7rocprim17ROCPRIM_400000_NS6detail17trampoline_kernelINS0_14default_configENS1_22reduce_config_selectorIN6thrust23THRUST_200600_302600_NS5tupleIblNS6_9null_typeES8_S8_S8_S8_S8_S8_S8_EEEEZNS1_11reduce_implILb1ES3_NS6_12zip_iteratorINS7_INS6_11hip_rocprim26transform_input_iterator_tIbPlNS6_6detail10functional5actorINSH_9compositeIJNSH_27transparent_binary_operatorINS6_8equal_toIvEEEENSI_INSH_8argumentILj0EEEEENSH_5valueIlEEEEEEEEENSD_19counting_iterator_tIlEES8_S8_S8_S8_S8_S8_S8_S8_EEEEPS9_S9_NSD_9__find_if7functorIS9_EEEE10hipError_tPvRmT1_T2_T3_mT4_P12ihipStream_tbEUlT_E1_NS1_11comp_targetILNS1_3genE8ELNS1_11target_archE1030ELNS1_3gpuE2ELNS1_3repE0EEENS1_30default_config_static_selectorELNS0_4arch9wavefront6targetE1EEEvS17_
; %bb.0:
	.section	.rodata,"a",@progbits
	.p2align	6, 0x0
	.amdhsa_kernel _ZN7rocprim17ROCPRIM_400000_NS6detail17trampoline_kernelINS0_14default_configENS1_22reduce_config_selectorIN6thrust23THRUST_200600_302600_NS5tupleIblNS6_9null_typeES8_S8_S8_S8_S8_S8_S8_EEEEZNS1_11reduce_implILb1ES3_NS6_12zip_iteratorINS7_INS6_11hip_rocprim26transform_input_iterator_tIbPlNS6_6detail10functional5actorINSH_9compositeIJNSH_27transparent_binary_operatorINS6_8equal_toIvEEEENSI_INSH_8argumentILj0EEEEENSH_5valueIlEEEEEEEEENSD_19counting_iterator_tIlEES8_S8_S8_S8_S8_S8_S8_S8_EEEEPS9_S9_NSD_9__find_if7functorIS9_EEEE10hipError_tPvRmT1_T2_T3_mT4_P12ihipStream_tbEUlT_E1_NS1_11comp_targetILNS1_3genE8ELNS1_11target_archE1030ELNS1_3gpuE2ELNS1_3repE0EEENS1_30default_config_static_selectorELNS0_4arch9wavefront6targetE1EEEvS17_
		.amdhsa_group_segment_fixed_size 0
		.amdhsa_private_segment_fixed_size 0
		.amdhsa_kernarg_size 80
		.amdhsa_user_sgpr_count 6
		.amdhsa_user_sgpr_private_segment_buffer 1
		.amdhsa_user_sgpr_dispatch_ptr 0
		.amdhsa_user_sgpr_queue_ptr 0
		.amdhsa_user_sgpr_kernarg_segment_ptr 1
		.amdhsa_user_sgpr_dispatch_id 0
		.amdhsa_user_sgpr_flat_scratch_init 0
		.amdhsa_user_sgpr_kernarg_preload_length 0
		.amdhsa_user_sgpr_kernarg_preload_offset 0
		.amdhsa_user_sgpr_private_segment_size 0
		.amdhsa_uses_dynamic_stack 0
		.amdhsa_system_sgpr_private_segment_wavefront_offset 0
		.amdhsa_system_sgpr_workgroup_id_x 1
		.amdhsa_system_sgpr_workgroup_id_y 0
		.amdhsa_system_sgpr_workgroup_id_z 0
		.amdhsa_system_sgpr_workgroup_info 0
		.amdhsa_system_vgpr_workitem_id 0
		.amdhsa_next_free_vgpr 1
		.amdhsa_next_free_sgpr 0
		.amdhsa_accum_offset 4
		.amdhsa_reserve_vcc 0
		.amdhsa_reserve_flat_scratch 0
		.amdhsa_float_round_mode_32 0
		.amdhsa_float_round_mode_16_64 0
		.amdhsa_float_denorm_mode_32 3
		.amdhsa_float_denorm_mode_16_64 3
		.amdhsa_dx10_clamp 1
		.amdhsa_ieee_mode 1
		.amdhsa_fp16_overflow 0
		.amdhsa_tg_split 0
		.amdhsa_exception_fp_ieee_invalid_op 0
		.amdhsa_exception_fp_denorm_src 0
		.amdhsa_exception_fp_ieee_div_zero 0
		.amdhsa_exception_fp_ieee_overflow 0
		.amdhsa_exception_fp_ieee_underflow 0
		.amdhsa_exception_fp_ieee_inexact 0
		.amdhsa_exception_int_div_zero 0
	.end_amdhsa_kernel
	.section	.text._ZN7rocprim17ROCPRIM_400000_NS6detail17trampoline_kernelINS0_14default_configENS1_22reduce_config_selectorIN6thrust23THRUST_200600_302600_NS5tupleIblNS6_9null_typeES8_S8_S8_S8_S8_S8_S8_EEEEZNS1_11reduce_implILb1ES3_NS6_12zip_iteratorINS7_INS6_11hip_rocprim26transform_input_iterator_tIbPlNS6_6detail10functional5actorINSH_9compositeIJNSH_27transparent_binary_operatorINS6_8equal_toIvEEEENSI_INSH_8argumentILj0EEEEENSH_5valueIlEEEEEEEEENSD_19counting_iterator_tIlEES8_S8_S8_S8_S8_S8_S8_S8_EEEEPS9_S9_NSD_9__find_if7functorIS9_EEEE10hipError_tPvRmT1_T2_T3_mT4_P12ihipStream_tbEUlT_E1_NS1_11comp_targetILNS1_3genE8ELNS1_11target_archE1030ELNS1_3gpuE2ELNS1_3repE0EEENS1_30default_config_static_selectorELNS0_4arch9wavefront6targetE1EEEvS17_,"axG",@progbits,_ZN7rocprim17ROCPRIM_400000_NS6detail17trampoline_kernelINS0_14default_configENS1_22reduce_config_selectorIN6thrust23THRUST_200600_302600_NS5tupleIblNS6_9null_typeES8_S8_S8_S8_S8_S8_S8_EEEEZNS1_11reduce_implILb1ES3_NS6_12zip_iteratorINS7_INS6_11hip_rocprim26transform_input_iterator_tIbPlNS6_6detail10functional5actorINSH_9compositeIJNSH_27transparent_binary_operatorINS6_8equal_toIvEEEENSI_INSH_8argumentILj0EEEEENSH_5valueIlEEEEEEEEENSD_19counting_iterator_tIlEES8_S8_S8_S8_S8_S8_S8_S8_EEEEPS9_S9_NSD_9__find_if7functorIS9_EEEE10hipError_tPvRmT1_T2_T3_mT4_P12ihipStream_tbEUlT_E1_NS1_11comp_targetILNS1_3genE8ELNS1_11target_archE1030ELNS1_3gpuE2ELNS1_3repE0EEENS1_30default_config_static_selectorELNS0_4arch9wavefront6targetE1EEEvS17_,comdat
.Lfunc_end1257:
	.size	_ZN7rocprim17ROCPRIM_400000_NS6detail17trampoline_kernelINS0_14default_configENS1_22reduce_config_selectorIN6thrust23THRUST_200600_302600_NS5tupleIblNS6_9null_typeES8_S8_S8_S8_S8_S8_S8_EEEEZNS1_11reduce_implILb1ES3_NS6_12zip_iteratorINS7_INS6_11hip_rocprim26transform_input_iterator_tIbPlNS6_6detail10functional5actorINSH_9compositeIJNSH_27transparent_binary_operatorINS6_8equal_toIvEEEENSI_INSH_8argumentILj0EEEEENSH_5valueIlEEEEEEEEENSD_19counting_iterator_tIlEES8_S8_S8_S8_S8_S8_S8_S8_EEEEPS9_S9_NSD_9__find_if7functorIS9_EEEE10hipError_tPvRmT1_T2_T3_mT4_P12ihipStream_tbEUlT_E1_NS1_11comp_targetILNS1_3genE8ELNS1_11target_archE1030ELNS1_3gpuE2ELNS1_3repE0EEENS1_30default_config_static_selectorELNS0_4arch9wavefront6targetE1EEEvS17_, .Lfunc_end1257-_ZN7rocprim17ROCPRIM_400000_NS6detail17trampoline_kernelINS0_14default_configENS1_22reduce_config_selectorIN6thrust23THRUST_200600_302600_NS5tupleIblNS6_9null_typeES8_S8_S8_S8_S8_S8_S8_EEEEZNS1_11reduce_implILb1ES3_NS6_12zip_iteratorINS7_INS6_11hip_rocprim26transform_input_iterator_tIbPlNS6_6detail10functional5actorINSH_9compositeIJNSH_27transparent_binary_operatorINS6_8equal_toIvEEEENSI_INSH_8argumentILj0EEEEENSH_5valueIlEEEEEEEEENSD_19counting_iterator_tIlEES8_S8_S8_S8_S8_S8_S8_S8_EEEEPS9_S9_NSD_9__find_if7functorIS9_EEEE10hipError_tPvRmT1_T2_T3_mT4_P12ihipStream_tbEUlT_E1_NS1_11comp_targetILNS1_3genE8ELNS1_11target_archE1030ELNS1_3gpuE2ELNS1_3repE0EEENS1_30default_config_static_selectorELNS0_4arch9wavefront6targetE1EEEvS17_
                                        ; -- End function
	.section	.AMDGPU.csdata,"",@progbits
; Kernel info:
; codeLenInByte = 0
; NumSgprs: 4
; NumVgprs: 0
; NumAgprs: 0
; TotalNumVgprs: 0
; ScratchSize: 0
; MemoryBound: 0
; FloatMode: 240
; IeeeMode: 1
; LDSByteSize: 0 bytes/workgroup (compile time only)
; SGPRBlocks: 0
; VGPRBlocks: 0
; NumSGPRsForWavesPerEU: 4
; NumVGPRsForWavesPerEU: 1
; AccumOffset: 4
; Occupancy: 8
; WaveLimiterHint : 0
; COMPUTE_PGM_RSRC2:SCRATCH_EN: 0
; COMPUTE_PGM_RSRC2:USER_SGPR: 6
; COMPUTE_PGM_RSRC2:TRAP_HANDLER: 0
; COMPUTE_PGM_RSRC2:TGID_X_EN: 1
; COMPUTE_PGM_RSRC2:TGID_Y_EN: 0
; COMPUTE_PGM_RSRC2:TGID_Z_EN: 0
; COMPUTE_PGM_RSRC2:TIDIG_COMP_CNT: 0
; COMPUTE_PGM_RSRC3_GFX90A:ACCUM_OFFSET: 0
; COMPUTE_PGM_RSRC3_GFX90A:TG_SPLIT: 0
	.section	.text._ZN7rocprim17ROCPRIM_400000_NS6detail17trampoline_kernelINS0_13kernel_configILj256ELj4ELj4294967295EEENS1_37radix_sort_block_sort_config_selectorIslEEZNS1_21radix_sort_block_sortIS4_Lb0EPsS8_N6thrust23THRUST_200600_302600_NS10device_ptrIlEESC_NS0_19identity_decomposerEEE10hipError_tT1_T2_T3_T4_jRjT5_jjP12ihipStream_tbEUlT_E_NS1_11comp_targetILNS1_3genE0ELNS1_11target_archE4294967295ELNS1_3gpuE0ELNS1_3repE0EEENS1_44radix_sort_block_sort_config_static_selectorELNS0_4arch9wavefront6targetE1EEEvSF_,"axG",@progbits,_ZN7rocprim17ROCPRIM_400000_NS6detail17trampoline_kernelINS0_13kernel_configILj256ELj4ELj4294967295EEENS1_37radix_sort_block_sort_config_selectorIslEEZNS1_21radix_sort_block_sortIS4_Lb0EPsS8_N6thrust23THRUST_200600_302600_NS10device_ptrIlEESC_NS0_19identity_decomposerEEE10hipError_tT1_T2_T3_T4_jRjT5_jjP12ihipStream_tbEUlT_E_NS1_11comp_targetILNS1_3genE0ELNS1_11target_archE4294967295ELNS1_3gpuE0ELNS1_3repE0EEENS1_44radix_sort_block_sort_config_static_selectorELNS0_4arch9wavefront6targetE1EEEvSF_,comdat
	.protected	_ZN7rocprim17ROCPRIM_400000_NS6detail17trampoline_kernelINS0_13kernel_configILj256ELj4ELj4294967295EEENS1_37radix_sort_block_sort_config_selectorIslEEZNS1_21radix_sort_block_sortIS4_Lb0EPsS8_N6thrust23THRUST_200600_302600_NS10device_ptrIlEESC_NS0_19identity_decomposerEEE10hipError_tT1_T2_T3_T4_jRjT5_jjP12ihipStream_tbEUlT_E_NS1_11comp_targetILNS1_3genE0ELNS1_11target_archE4294967295ELNS1_3gpuE0ELNS1_3repE0EEENS1_44radix_sort_block_sort_config_static_selectorELNS0_4arch9wavefront6targetE1EEEvSF_ ; -- Begin function _ZN7rocprim17ROCPRIM_400000_NS6detail17trampoline_kernelINS0_13kernel_configILj256ELj4ELj4294967295EEENS1_37radix_sort_block_sort_config_selectorIslEEZNS1_21radix_sort_block_sortIS4_Lb0EPsS8_N6thrust23THRUST_200600_302600_NS10device_ptrIlEESC_NS0_19identity_decomposerEEE10hipError_tT1_T2_T3_T4_jRjT5_jjP12ihipStream_tbEUlT_E_NS1_11comp_targetILNS1_3genE0ELNS1_11target_archE4294967295ELNS1_3gpuE0ELNS1_3repE0EEENS1_44radix_sort_block_sort_config_static_selectorELNS0_4arch9wavefront6targetE1EEEvSF_
	.globl	_ZN7rocprim17ROCPRIM_400000_NS6detail17trampoline_kernelINS0_13kernel_configILj256ELj4ELj4294967295EEENS1_37radix_sort_block_sort_config_selectorIslEEZNS1_21radix_sort_block_sortIS4_Lb0EPsS8_N6thrust23THRUST_200600_302600_NS10device_ptrIlEESC_NS0_19identity_decomposerEEE10hipError_tT1_T2_T3_T4_jRjT5_jjP12ihipStream_tbEUlT_E_NS1_11comp_targetILNS1_3genE0ELNS1_11target_archE4294967295ELNS1_3gpuE0ELNS1_3repE0EEENS1_44radix_sort_block_sort_config_static_selectorELNS0_4arch9wavefront6targetE1EEEvSF_
	.p2align	8
	.type	_ZN7rocprim17ROCPRIM_400000_NS6detail17trampoline_kernelINS0_13kernel_configILj256ELj4ELj4294967295EEENS1_37radix_sort_block_sort_config_selectorIslEEZNS1_21radix_sort_block_sortIS4_Lb0EPsS8_N6thrust23THRUST_200600_302600_NS10device_ptrIlEESC_NS0_19identity_decomposerEEE10hipError_tT1_T2_T3_T4_jRjT5_jjP12ihipStream_tbEUlT_E_NS1_11comp_targetILNS1_3genE0ELNS1_11target_archE4294967295ELNS1_3gpuE0ELNS1_3repE0EEENS1_44radix_sort_block_sort_config_static_selectorELNS0_4arch9wavefront6targetE1EEEvSF_,@function
_ZN7rocprim17ROCPRIM_400000_NS6detail17trampoline_kernelINS0_13kernel_configILj256ELj4ELj4294967295EEENS1_37radix_sort_block_sort_config_selectorIslEEZNS1_21radix_sort_block_sortIS4_Lb0EPsS8_N6thrust23THRUST_200600_302600_NS10device_ptrIlEESC_NS0_19identity_decomposerEEE10hipError_tT1_T2_T3_T4_jRjT5_jjP12ihipStream_tbEUlT_E_NS1_11comp_targetILNS1_3genE0ELNS1_11target_archE4294967295ELNS1_3gpuE0ELNS1_3repE0EEENS1_44radix_sort_block_sort_config_static_selectorELNS0_4arch9wavefront6targetE1EEEvSF_: ; @_ZN7rocprim17ROCPRIM_400000_NS6detail17trampoline_kernelINS0_13kernel_configILj256ELj4ELj4294967295EEENS1_37radix_sort_block_sort_config_selectorIslEEZNS1_21radix_sort_block_sortIS4_Lb0EPsS8_N6thrust23THRUST_200600_302600_NS10device_ptrIlEESC_NS0_19identity_decomposerEEE10hipError_tT1_T2_T3_T4_jRjT5_jjP12ihipStream_tbEUlT_E_NS1_11comp_targetILNS1_3genE0ELNS1_11target_archE4294967295ELNS1_3gpuE0ELNS1_3repE0EEENS1_44radix_sort_block_sort_config_static_selectorELNS0_4arch9wavefront6targetE1EEEvSF_
; %bb.0:
	.section	.rodata,"a",@progbits
	.p2align	6, 0x0
	.amdhsa_kernel _ZN7rocprim17ROCPRIM_400000_NS6detail17trampoline_kernelINS0_13kernel_configILj256ELj4ELj4294967295EEENS1_37radix_sort_block_sort_config_selectorIslEEZNS1_21radix_sort_block_sortIS4_Lb0EPsS8_N6thrust23THRUST_200600_302600_NS10device_ptrIlEESC_NS0_19identity_decomposerEEE10hipError_tT1_T2_T3_T4_jRjT5_jjP12ihipStream_tbEUlT_E_NS1_11comp_targetILNS1_3genE0ELNS1_11target_archE4294967295ELNS1_3gpuE0ELNS1_3repE0EEENS1_44radix_sort_block_sort_config_static_selectorELNS0_4arch9wavefront6targetE1EEEvSF_
		.amdhsa_group_segment_fixed_size 0
		.amdhsa_private_segment_fixed_size 0
		.amdhsa_kernarg_size 48
		.amdhsa_user_sgpr_count 6
		.amdhsa_user_sgpr_private_segment_buffer 1
		.amdhsa_user_sgpr_dispatch_ptr 0
		.amdhsa_user_sgpr_queue_ptr 0
		.amdhsa_user_sgpr_kernarg_segment_ptr 1
		.amdhsa_user_sgpr_dispatch_id 0
		.amdhsa_user_sgpr_flat_scratch_init 0
		.amdhsa_user_sgpr_kernarg_preload_length 0
		.amdhsa_user_sgpr_kernarg_preload_offset 0
		.amdhsa_user_sgpr_private_segment_size 0
		.amdhsa_uses_dynamic_stack 0
		.amdhsa_system_sgpr_private_segment_wavefront_offset 0
		.amdhsa_system_sgpr_workgroup_id_x 1
		.amdhsa_system_sgpr_workgroup_id_y 0
		.amdhsa_system_sgpr_workgroup_id_z 0
		.amdhsa_system_sgpr_workgroup_info 0
		.amdhsa_system_vgpr_workitem_id 0
		.amdhsa_next_free_vgpr 1
		.amdhsa_next_free_sgpr 0
		.amdhsa_accum_offset 4
		.amdhsa_reserve_vcc 0
		.amdhsa_reserve_flat_scratch 0
		.amdhsa_float_round_mode_32 0
		.amdhsa_float_round_mode_16_64 0
		.amdhsa_float_denorm_mode_32 3
		.amdhsa_float_denorm_mode_16_64 3
		.amdhsa_dx10_clamp 1
		.amdhsa_ieee_mode 1
		.amdhsa_fp16_overflow 0
		.amdhsa_tg_split 0
		.amdhsa_exception_fp_ieee_invalid_op 0
		.amdhsa_exception_fp_denorm_src 0
		.amdhsa_exception_fp_ieee_div_zero 0
		.amdhsa_exception_fp_ieee_overflow 0
		.amdhsa_exception_fp_ieee_underflow 0
		.amdhsa_exception_fp_ieee_inexact 0
		.amdhsa_exception_int_div_zero 0
	.end_amdhsa_kernel
	.section	.text._ZN7rocprim17ROCPRIM_400000_NS6detail17trampoline_kernelINS0_13kernel_configILj256ELj4ELj4294967295EEENS1_37radix_sort_block_sort_config_selectorIslEEZNS1_21radix_sort_block_sortIS4_Lb0EPsS8_N6thrust23THRUST_200600_302600_NS10device_ptrIlEESC_NS0_19identity_decomposerEEE10hipError_tT1_T2_T3_T4_jRjT5_jjP12ihipStream_tbEUlT_E_NS1_11comp_targetILNS1_3genE0ELNS1_11target_archE4294967295ELNS1_3gpuE0ELNS1_3repE0EEENS1_44radix_sort_block_sort_config_static_selectorELNS0_4arch9wavefront6targetE1EEEvSF_,"axG",@progbits,_ZN7rocprim17ROCPRIM_400000_NS6detail17trampoline_kernelINS0_13kernel_configILj256ELj4ELj4294967295EEENS1_37radix_sort_block_sort_config_selectorIslEEZNS1_21radix_sort_block_sortIS4_Lb0EPsS8_N6thrust23THRUST_200600_302600_NS10device_ptrIlEESC_NS0_19identity_decomposerEEE10hipError_tT1_T2_T3_T4_jRjT5_jjP12ihipStream_tbEUlT_E_NS1_11comp_targetILNS1_3genE0ELNS1_11target_archE4294967295ELNS1_3gpuE0ELNS1_3repE0EEENS1_44radix_sort_block_sort_config_static_selectorELNS0_4arch9wavefront6targetE1EEEvSF_,comdat
.Lfunc_end1258:
	.size	_ZN7rocprim17ROCPRIM_400000_NS6detail17trampoline_kernelINS0_13kernel_configILj256ELj4ELj4294967295EEENS1_37radix_sort_block_sort_config_selectorIslEEZNS1_21radix_sort_block_sortIS4_Lb0EPsS8_N6thrust23THRUST_200600_302600_NS10device_ptrIlEESC_NS0_19identity_decomposerEEE10hipError_tT1_T2_T3_T4_jRjT5_jjP12ihipStream_tbEUlT_E_NS1_11comp_targetILNS1_3genE0ELNS1_11target_archE4294967295ELNS1_3gpuE0ELNS1_3repE0EEENS1_44radix_sort_block_sort_config_static_selectorELNS0_4arch9wavefront6targetE1EEEvSF_, .Lfunc_end1258-_ZN7rocprim17ROCPRIM_400000_NS6detail17trampoline_kernelINS0_13kernel_configILj256ELj4ELj4294967295EEENS1_37radix_sort_block_sort_config_selectorIslEEZNS1_21radix_sort_block_sortIS4_Lb0EPsS8_N6thrust23THRUST_200600_302600_NS10device_ptrIlEESC_NS0_19identity_decomposerEEE10hipError_tT1_T2_T3_T4_jRjT5_jjP12ihipStream_tbEUlT_E_NS1_11comp_targetILNS1_3genE0ELNS1_11target_archE4294967295ELNS1_3gpuE0ELNS1_3repE0EEENS1_44radix_sort_block_sort_config_static_selectorELNS0_4arch9wavefront6targetE1EEEvSF_
                                        ; -- End function
	.section	.AMDGPU.csdata,"",@progbits
; Kernel info:
; codeLenInByte = 0
; NumSgprs: 4
; NumVgprs: 0
; NumAgprs: 0
; TotalNumVgprs: 0
; ScratchSize: 0
; MemoryBound: 0
; FloatMode: 240
; IeeeMode: 1
; LDSByteSize: 0 bytes/workgroup (compile time only)
; SGPRBlocks: 0
; VGPRBlocks: 0
; NumSGPRsForWavesPerEU: 4
; NumVGPRsForWavesPerEU: 1
; AccumOffset: 4
; Occupancy: 8
; WaveLimiterHint : 0
; COMPUTE_PGM_RSRC2:SCRATCH_EN: 0
; COMPUTE_PGM_RSRC2:USER_SGPR: 6
; COMPUTE_PGM_RSRC2:TRAP_HANDLER: 0
; COMPUTE_PGM_RSRC2:TGID_X_EN: 1
; COMPUTE_PGM_RSRC2:TGID_Y_EN: 0
; COMPUTE_PGM_RSRC2:TGID_Z_EN: 0
; COMPUTE_PGM_RSRC2:TIDIG_COMP_CNT: 0
; COMPUTE_PGM_RSRC3_GFX90A:ACCUM_OFFSET: 0
; COMPUTE_PGM_RSRC3_GFX90A:TG_SPLIT: 0
	.section	.text._ZN7rocprim17ROCPRIM_400000_NS6detail17trampoline_kernelINS0_13kernel_configILj256ELj4ELj4294967295EEENS1_37radix_sort_block_sort_config_selectorIslEEZNS1_21radix_sort_block_sortIS4_Lb0EPsS8_N6thrust23THRUST_200600_302600_NS10device_ptrIlEESC_NS0_19identity_decomposerEEE10hipError_tT1_T2_T3_T4_jRjT5_jjP12ihipStream_tbEUlT_E_NS1_11comp_targetILNS1_3genE5ELNS1_11target_archE942ELNS1_3gpuE9ELNS1_3repE0EEENS1_44radix_sort_block_sort_config_static_selectorELNS0_4arch9wavefront6targetE1EEEvSF_,"axG",@progbits,_ZN7rocprim17ROCPRIM_400000_NS6detail17trampoline_kernelINS0_13kernel_configILj256ELj4ELj4294967295EEENS1_37radix_sort_block_sort_config_selectorIslEEZNS1_21radix_sort_block_sortIS4_Lb0EPsS8_N6thrust23THRUST_200600_302600_NS10device_ptrIlEESC_NS0_19identity_decomposerEEE10hipError_tT1_T2_T3_T4_jRjT5_jjP12ihipStream_tbEUlT_E_NS1_11comp_targetILNS1_3genE5ELNS1_11target_archE942ELNS1_3gpuE9ELNS1_3repE0EEENS1_44radix_sort_block_sort_config_static_selectorELNS0_4arch9wavefront6targetE1EEEvSF_,comdat
	.protected	_ZN7rocprim17ROCPRIM_400000_NS6detail17trampoline_kernelINS0_13kernel_configILj256ELj4ELj4294967295EEENS1_37radix_sort_block_sort_config_selectorIslEEZNS1_21radix_sort_block_sortIS4_Lb0EPsS8_N6thrust23THRUST_200600_302600_NS10device_ptrIlEESC_NS0_19identity_decomposerEEE10hipError_tT1_T2_T3_T4_jRjT5_jjP12ihipStream_tbEUlT_E_NS1_11comp_targetILNS1_3genE5ELNS1_11target_archE942ELNS1_3gpuE9ELNS1_3repE0EEENS1_44radix_sort_block_sort_config_static_selectorELNS0_4arch9wavefront6targetE1EEEvSF_ ; -- Begin function _ZN7rocprim17ROCPRIM_400000_NS6detail17trampoline_kernelINS0_13kernel_configILj256ELj4ELj4294967295EEENS1_37radix_sort_block_sort_config_selectorIslEEZNS1_21radix_sort_block_sortIS4_Lb0EPsS8_N6thrust23THRUST_200600_302600_NS10device_ptrIlEESC_NS0_19identity_decomposerEEE10hipError_tT1_T2_T3_T4_jRjT5_jjP12ihipStream_tbEUlT_E_NS1_11comp_targetILNS1_3genE5ELNS1_11target_archE942ELNS1_3gpuE9ELNS1_3repE0EEENS1_44radix_sort_block_sort_config_static_selectorELNS0_4arch9wavefront6targetE1EEEvSF_
	.globl	_ZN7rocprim17ROCPRIM_400000_NS6detail17trampoline_kernelINS0_13kernel_configILj256ELj4ELj4294967295EEENS1_37radix_sort_block_sort_config_selectorIslEEZNS1_21radix_sort_block_sortIS4_Lb0EPsS8_N6thrust23THRUST_200600_302600_NS10device_ptrIlEESC_NS0_19identity_decomposerEEE10hipError_tT1_T2_T3_T4_jRjT5_jjP12ihipStream_tbEUlT_E_NS1_11comp_targetILNS1_3genE5ELNS1_11target_archE942ELNS1_3gpuE9ELNS1_3repE0EEENS1_44radix_sort_block_sort_config_static_selectorELNS0_4arch9wavefront6targetE1EEEvSF_
	.p2align	8
	.type	_ZN7rocprim17ROCPRIM_400000_NS6detail17trampoline_kernelINS0_13kernel_configILj256ELj4ELj4294967295EEENS1_37radix_sort_block_sort_config_selectorIslEEZNS1_21radix_sort_block_sortIS4_Lb0EPsS8_N6thrust23THRUST_200600_302600_NS10device_ptrIlEESC_NS0_19identity_decomposerEEE10hipError_tT1_T2_T3_T4_jRjT5_jjP12ihipStream_tbEUlT_E_NS1_11comp_targetILNS1_3genE5ELNS1_11target_archE942ELNS1_3gpuE9ELNS1_3repE0EEENS1_44radix_sort_block_sort_config_static_selectorELNS0_4arch9wavefront6targetE1EEEvSF_,@function
_ZN7rocprim17ROCPRIM_400000_NS6detail17trampoline_kernelINS0_13kernel_configILj256ELj4ELj4294967295EEENS1_37radix_sort_block_sort_config_selectorIslEEZNS1_21radix_sort_block_sortIS4_Lb0EPsS8_N6thrust23THRUST_200600_302600_NS10device_ptrIlEESC_NS0_19identity_decomposerEEE10hipError_tT1_T2_T3_T4_jRjT5_jjP12ihipStream_tbEUlT_E_NS1_11comp_targetILNS1_3genE5ELNS1_11target_archE942ELNS1_3gpuE9ELNS1_3repE0EEENS1_44radix_sort_block_sort_config_static_selectorELNS0_4arch9wavefront6targetE1EEEvSF_: ; @_ZN7rocprim17ROCPRIM_400000_NS6detail17trampoline_kernelINS0_13kernel_configILj256ELj4ELj4294967295EEENS1_37radix_sort_block_sort_config_selectorIslEEZNS1_21radix_sort_block_sortIS4_Lb0EPsS8_N6thrust23THRUST_200600_302600_NS10device_ptrIlEESC_NS0_19identity_decomposerEEE10hipError_tT1_T2_T3_T4_jRjT5_jjP12ihipStream_tbEUlT_E_NS1_11comp_targetILNS1_3genE5ELNS1_11target_archE942ELNS1_3gpuE9ELNS1_3repE0EEENS1_44radix_sort_block_sort_config_static_selectorELNS0_4arch9wavefront6targetE1EEEvSF_
; %bb.0:
	.section	.rodata,"a",@progbits
	.p2align	6, 0x0
	.amdhsa_kernel _ZN7rocprim17ROCPRIM_400000_NS6detail17trampoline_kernelINS0_13kernel_configILj256ELj4ELj4294967295EEENS1_37radix_sort_block_sort_config_selectorIslEEZNS1_21radix_sort_block_sortIS4_Lb0EPsS8_N6thrust23THRUST_200600_302600_NS10device_ptrIlEESC_NS0_19identity_decomposerEEE10hipError_tT1_T2_T3_T4_jRjT5_jjP12ihipStream_tbEUlT_E_NS1_11comp_targetILNS1_3genE5ELNS1_11target_archE942ELNS1_3gpuE9ELNS1_3repE0EEENS1_44radix_sort_block_sort_config_static_selectorELNS0_4arch9wavefront6targetE1EEEvSF_
		.amdhsa_group_segment_fixed_size 0
		.amdhsa_private_segment_fixed_size 0
		.amdhsa_kernarg_size 48
		.amdhsa_user_sgpr_count 6
		.amdhsa_user_sgpr_private_segment_buffer 1
		.amdhsa_user_sgpr_dispatch_ptr 0
		.amdhsa_user_sgpr_queue_ptr 0
		.amdhsa_user_sgpr_kernarg_segment_ptr 1
		.amdhsa_user_sgpr_dispatch_id 0
		.amdhsa_user_sgpr_flat_scratch_init 0
		.amdhsa_user_sgpr_kernarg_preload_length 0
		.amdhsa_user_sgpr_kernarg_preload_offset 0
		.amdhsa_user_sgpr_private_segment_size 0
		.amdhsa_uses_dynamic_stack 0
		.amdhsa_system_sgpr_private_segment_wavefront_offset 0
		.amdhsa_system_sgpr_workgroup_id_x 1
		.amdhsa_system_sgpr_workgroup_id_y 0
		.amdhsa_system_sgpr_workgroup_id_z 0
		.amdhsa_system_sgpr_workgroup_info 0
		.amdhsa_system_vgpr_workitem_id 0
		.amdhsa_next_free_vgpr 1
		.amdhsa_next_free_sgpr 0
		.amdhsa_accum_offset 4
		.amdhsa_reserve_vcc 0
		.amdhsa_reserve_flat_scratch 0
		.amdhsa_float_round_mode_32 0
		.amdhsa_float_round_mode_16_64 0
		.amdhsa_float_denorm_mode_32 3
		.amdhsa_float_denorm_mode_16_64 3
		.amdhsa_dx10_clamp 1
		.amdhsa_ieee_mode 1
		.amdhsa_fp16_overflow 0
		.amdhsa_tg_split 0
		.amdhsa_exception_fp_ieee_invalid_op 0
		.amdhsa_exception_fp_denorm_src 0
		.amdhsa_exception_fp_ieee_div_zero 0
		.amdhsa_exception_fp_ieee_overflow 0
		.amdhsa_exception_fp_ieee_underflow 0
		.amdhsa_exception_fp_ieee_inexact 0
		.amdhsa_exception_int_div_zero 0
	.end_amdhsa_kernel
	.section	.text._ZN7rocprim17ROCPRIM_400000_NS6detail17trampoline_kernelINS0_13kernel_configILj256ELj4ELj4294967295EEENS1_37radix_sort_block_sort_config_selectorIslEEZNS1_21radix_sort_block_sortIS4_Lb0EPsS8_N6thrust23THRUST_200600_302600_NS10device_ptrIlEESC_NS0_19identity_decomposerEEE10hipError_tT1_T2_T3_T4_jRjT5_jjP12ihipStream_tbEUlT_E_NS1_11comp_targetILNS1_3genE5ELNS1_11target_archE942ELNS1_3gpuE9ELNS1_3repE0EEENS1_44radix_sort_block_sort_config_static_selectorELNS0_4arch9wavefront6targetE1EEEvSF_,"axG",@progbits,_ZN7rocprim17ROCPRIM_400000_NS6detail17trampoline_kernelINS0_13kernel_configILj256ELj4ELj4294967295EEENS1_37radix_sort_block_sort_config_selectorIslEEZNS1_21radix_sort_block_sortIS4_Lb0EPsS8_N6thrust23THRUST_200600_302600_NS10device_ptrIlEESC_NS0_19identity_decomposerEEE10hipError_tT1_T2_T3_T4_jRjT5_jjP12ihipStream_tbEUlT_E_NS1_11comp_targetILNS1_3genE5ELNS1_11target_archE942ELNS1_3gpuE9ELNS1_3repE0EEENS1_44radix_sort_block_sort_config_static_selectorELNS0_4arch9wavefront6targetE1EEEvSF_,comdat
.Lfunc_end1259:
	.size	_ZN7rocprim17ROCPRIM_400000_NS6detail17trampoline_kernelINS0_13kernel_configILj256ELj4ELj4294967295EEENS1_37radix_sort_block_sort_config_selectorIslEEZNS1_21radix_sort_block_sortIS4_Lb0EPsS8_N6thrust23THRUST_200600_302600_NS10device_ptrIlEESC_NS0_19identity_decomposerEEE10hipError_tT1_T2_T3_T4_jRjT5_jjP12ihipStream_tbEUlT_E_NS1_11comp_targetILNS1_3genE5ELNS1_11target_archE942ELNS1_3gpuE9ELNS1_3repE0EEENS1_44radix_sort_block_sort_config_static_selectorELNS0_4arch9wavefront6targetE1EEEvSF_, .Lfunc_end1259-_ZN7rocprim17ROCPRIM_400000_NS6detail17trampoline_kernelINS0_13kernel_configILj256ELj4ELj4294967295EEENS1_37radix_sort_block_sort_config_selectorIslEEZNS1_21radix_sort_block_sortIS4_Lb0EPsS8_N6thrust23THRUST_200600_302600_NS10device_ptrIlEESC_NS0_19identity_decomposerEEE10hipError_tT1_T2_T3_T4_jRjT5_jjP12ihipStream_tbEUlT_E_NS1_11comp_targetILNS1_3genE5ELNS1_11target_archE942ELNS1_3gpuE9ELNS1_3repE0EEENS1_44radix_sort_block_sort_config_static_selectorELNS0_4arch9wavefront6targetE1EEEvSF_
                                        ; -- End function
	.section	.AMDGPU.csdata,"",@progbits
; Kernel info:
; codeLenInByte = 0
; NumSgprs: 4
; NumVgprs: 0
; NumAgprs: 0
; TotalNumVgprs: 0
; ScratchSize: 0
; MemoryBound: 0
; FloatMode: 240
; IeeeMode: 1
; LDSByteSize: 0 bytes/workgroup (compile time only)
; SGPRBlocks: 0
; VGPRBlocks: 0
; NumSGPRsForWavesPerEU: 4
; NumVGPRsForWavesPerEU: 1
; AccumOffset: 4
; Occupancy: 8
; WaveLimiterHint : 0
; COMPUTE_PGM_RSRC2:SCRATCH_EN: 0
; COMPUTE_PGM_RSRC2:USER_SGPR: 6
; COMPUTE_PGM_RSRC2:TRAP_HANDLER: 0
; COMPUTE_PGM_RSRC2:TGID_X_EN: 1
; COMPUTE_PGM_RSRC2:TGID_Y_EN: 0
; COMPUTE_PGM_RSRC2:TGID_Z_EN: 0
; COMPUTE_PGM_RSRC2:TIDIG_COMP_CNT: 0
; COMPUTE_PGM_RSRC3_GFX90A:ACCUM_OFFSET: 0
; COMPUTE_PGM_RSRC3_GFX90A:TG_SPLIT: 0
	.section	.text._ZN7rocprim17ROCPRIM_400000_NS6detail17trampoline_kernelINS0_13kernel_configILj256ELj4ELj4294967295EEENS1_37radix_sort_block_sort_config_selectorIslEEZNS1_21radix_sort_block_sortIS4_Lb0EPsS8_N6thrust23THRUST_200600_302600_NS10device_ptrIlEESC_NS0_19identity_decomposerEEE10hipError_tT1_T2_T3_T4_jRjT5_jjP12ihipStream_tbEUlT_E_NS1_11comp_targetILNS1_3genE4ELNS1_11target_archE910ELNS1_3gpuE8ELNS1_3repE0EEENS1_44radix_sort_block_sort_config_static_selectorELNS0_4arch9wavefront6targetE1EEEvSF_,"axG",@progbits,_ZN7rocprim17ROCPRIM_400000_NS6detail17trampoline_kernelINS0_13kernel_configILj256ELj4ELj4294967295EEENS1_37radix_sort_block_sort_config_selectorIslEEZNS1_21radix_sort_block_sortIS4_Lb0EPsS8_N6thrust23THRUST_200600_302600_NS10device_ptrIlEESC_NS0_19identity_decomposerEEE10hipError_tT1_T2_T3_T4_jRjT5_jjP12ihipStream_tbEUlT_E_NS1_11comp_targetILNS1_3genE4ELNS1_11target_archE910ELNS1_3gpuE8ELNS1_3repE0EEENS1_44radix_sort_block_sort_config_static_selectorELNS0_4arch9wavefront6targetE1EEEvSF_,comdat
	.protected	_ZN7rocprim17ROCPRIM_400000_NS6detail17trampoline_kernelINS0_13kernel_configILj256ELj4ELj4294967295EEENS1_37radix_sort_block_sort_config_selectorIslEEZNS1_21radix_sort_block_sortIS4_Lb0EPsS8_N6thrust23THRUST_200600_302600_NS10device_ptrIlEESC_NS0_19identity_decomposerEEE10hipError_tT1_T2_T3_T4_jRjT5_jjP12ihipStream_tbEUlT_E_NS1_11comp_targetILNS1_3genE4ELNS1_11target_archE910ELNS1_3gpuE8ELNS1_3repE0EEENS1_44radix_sort_block_sort_config_static_selectorELNS0_4arch9wavefront6targetE1EEEvSF_ ; -- Begin function _ZN7rocprim17ROCPRIM_400000_NS6detail17trampoline_kernelINS0_13kernel_configILj256ELj4ELj4294967295EEENS1_37radix_sort_block_sort_config_selectorIslEEZNS1_21radix_sort_block_sortIS4_Lb0EPsS8_N6thrust23THRUST_200600_302600_NS10device_ptrIlEESC_NS0_19identity_decomposerEEE10hipError_tT1_T2_T3_T4_jRjT5_jjP12ihipStream_tbEUlT_E_NS1_11comp_targetILNS1_3genE4ELNS1_11target_archE910ELNS1_3gpuE8ELNS1_3repE0EEENS1_44radix_sort_block_sort_config_static_selectorELNS0_4arch9wavefront6targetE1EEEvSF_
	.globl	_ZN7rocprim17ROCPRIM_400000_NS6detail17trampoline_kernelINS0_13kernel_configILj256ELj4ELj4294967295EEENS1_37radix_sort_block_sort_config_selectorIslEEZNS1_21radix_sort_block_sortIS4_Lb0EPsS8_N6thrust23THRUST_200600_302600_NS10device_ptrIlEESC_NS0_19identity_decomposerEEE10hipError_tT1_T2_T3_T4_jRjT5_jjP12ihipStream_tbEUlT_E_NS1_11comp_targetILNS1_3genE4ELNS1_11target_archE910ELNS1_3gpuE8ELNS1_3repE0EEENS1_44radix_sort_block_sort_config_static_selectorELNS0_4arch9wavefront6targetE1EEEvSF_
	.p2align	8
	.type	_ZN7rocprim17ROCPRIM_400000_NS6detail17trampoline_kernelINS0_13kernel_configILj256ELj4ELj4294967295EEENS1_37radix_sort_block_sort_config_selectorIslEEZNS1_21radix_sort_block_sortIS4_Lb0EPsS8_N6thrust23THRUST_200600_302600_NS10device_ptrIlEESC_NS0_19identity_decomposerEEE10hipError_tT1_T2_T3_T4_jRjT5_jjP12ihipStream_tbEUlT_E_NS1_11comp_targetILNS1_3genE4ELNS1_11target_archE910ELNS1_3gpuE8ELNS1_3repE0EEENS1_44radix_sort_block_sort_config_static_selectorELNS0_4arch9wavefront6targetE1EEEvSF_,@function
_ZN7rocprim17ROCPRIM_400000_NS6detail17trampoline_kernelINS0_13kernel_configILj256ELj4ELj4294967295EEENS1_37radix_sort_block_sort_config_selectorIslEEZNS1_21radix_sort_block_sortIS4_Lb0EPsS8_N6thrust23THRUST_200600_302600_NS10device_ptrIlEESC_NS0_19identity_decomposerEEE10hipError_tT1_T2_T3_T4_jRjT5_jjP12ihipStream_tbEUlT_E_NS1_11comp_targetILNS1_3genE4ELNS1_11target_archE910ELNS1_3gpuE8ELNS1_3repE0EEENS1_44radix_sort_block_sort_config_static_selectorELNS0_4arch9wavefront6targetE1EEEvSF_: ; @_ZN7rocprim17ROCPRIM_400000_NS6detail17trampoline_kernelINS0_13kernel_configILj256ELj4ELj4294967295EEENS1_37radix_sort_block_sort_config_selectorIslEEZNS1_21radix_sort_block_sortIS4_Lb0EPsS8_N6thrust23THRUST_200600_302600_NS10device_ptrIlEESC_NS0_19identity_decomposerEEE10hipError_tT1_T2_T3_T4_jRjT5_jjP12ihipStream_tbEUlT_E_NS1_11comp_targetILNS1_3genE4ELNS1_11target_archE910ELNS1_3gpuE8ELNS1_3repE0EEENS1_44radix_sort_block_sort_config_static_selectorELNS0_4arch9wavefront6targetE1EEEvSF_
; %bb.0:
	s_load_dword s2, s[4:5], 0x20
	s_load_dwordx8 s[36:43], s[4:5], 0x0
	s_lshl_b32 s28, s6, 10
	s_mov_b32 s29, 0
	v_mbcnt_lo_u32_b32 v1, -1, 0
	s_waitcnt lgkmcnt(0)
	s_lshr_b32 s0, s2, 10
	s_cmp_lg_u32 s6, s0
	s_cselect_b64 s[30:31], -1, 0
	s_lshl_b64 s[34:35], s[28:29], 1
	v_mbcnt_hi_u32_b32 v1, -1, v1
	v_and_b32_e32 v8, 0x3ff, v0
	s_add_u32 s1, s36, s34
	v_and_b32_e32 v7, 63, v1
	s_addc_u32 s3, s37, s35
	v_lshlrev_b32_e32 v6, 2, v8
	v_lshlrev_b32_e32 v2, 1, v7
	v_and_b32_e32 v10, 0x300, v6
	v_mov_b32_e32 v3, s3
	v_add_co_u32_e32 v2, vcc, s1, v2
	v_addc_co_u32_e32 v3, vcc, 0, v3, vcc
	v_lshlrev_b32_e32 v4, 1, v10
	v_add_co_u32_e32 v4, vcc, v2, v4
	s_cmp_eq_u32 s6, s0
	v_addc_co_u32_e32 v5, vcc, 0, v3, vcc
	v_lshlrev_b32_e32 v13, 3, v7
	v_lshlrev_b32_e32 v12, 3, v10
	v_or_b32_e32 v9, v7, v10
	s_cbranch_scc1 .LBB1260_2
; %bb.1:
	s_lshl_b64 s[0:1], s[28:29], 3
	s_add_u32 s0, s40, s0
	s_addc_u32 s1, s41, s1
	v_mov_b32_e32 v2, s1
	v_add_co_u32_e32 v3, vcc, s0, v13
	v_addc_co_u32_e32 v17, vcc, 0, v2, vcc
	v_add_co_u32_e32 v2, vcc, v3, v12
	v_addc_co_u32_e32 v3, vcc, 0, v17, vcc
	global_load_ushort v11, v[4:5], off
	global_load_ushort v14, v[4:5], off offset:128
	global_load_ushort v15, v[4:5], off offset:256
	;; [unrolled: 1-line block ×3, first 2 shown]
	global_load_dwordx2 v[20:21], v[2:3], off
	global_load_dwordx2 v[22:23], v[2:3], off offset:512
	global_load_dwordx2 v[24:25], v[2:3], off offset:1024
	;; [unrolled: 1-line block ×3, first 2 shown]
	s_mov_b32 s0, 0x5040100
	s_waitcnt vmcnt(6)
	v_perm_b32 v2, v14, v11, s0
	v_or_b32_e32 v14, v7, v10
	s_waitcnt vmcnt(4)
	v_perm_b32 v3, v16, v15, s0
	v_or_b32_e32 v7, 64, v14
	v_or_b32_e32 v10, 0x80, v14
	;; [unrolled: 1-line block ×3, first 2 shown]
	s_load_dwordx2 s[36:37], s[4:5], 0x28
	s_sub_i32 s33, s2, s28
	s_cbranch_execz .LBB1260_3
	s_branch .LBB1260_17
.LBB1260_2:
                                        ; implicit-def: $vgpr2_vgpr3
                                        ; implicit-def: $vgpr20_vgpr21
                                        ; implicit-def: $vgpr22_vgpr23
                                        ; implicit-def: $vgpr24_vgpr25
                                        ; implicit-def: $vgpr26_vgpr27
                                        ; implicit-def: $vgpr14
                                        ; implicit-def: $vgpr7
                                        ; implicit-def: $vgpr10
                                        ; implicit-def: $vgpr11
	s_load_dwordx2 s[36:37], s[4:5], 0x28
	s_sub_i32 s33, s2, s28
.LBB1260_3:
	s_mov_b32 s0, 0x7fff7fff
	s_mov_b32 s1, s0
	v_cmp_gt_u32_e32 vcc, s33, v9
	v_pk_mov_b32 v[2:3], s[0:1], s[0:1] op_sel:[0,1]
	s_and_saveexec_b64 s[0:1], vcc
	s_cbranch_execz .LBB1260_5
; %bb.4:
	global_load_ushort v2, v[4:5], off
	s_movk_i32 s2, 0x7fff
	v_mov_b32_e32 v3, 0x5040100
	s_waitcnt vmcnt(0)
	v_perm_b32 v2, s2, v2, v3
	v_mov_b32_e32 v3, 0x7fff7fff
.LBB1260_5:
	s_or_b64 exec, exec, s[0:1]
	v_or_b32_e32 v7, 64, v9
	v_cmp_gt_u32_e64 s[0:1], s33, v7
	s_and_saveexec_b64 s[2:3], s[0:1]
	s_cbranch_execz .LBB1260_7
; %bb.6:
	global_load_ushort v10, v[4:5], off offset:128
	s_mov_b32 s6, 0x5040100
	s_waitcnt vmcnt(0)
	v_perm_b32 v2, v10, v2, s6
.LBB1260_7:
	s_or_b64 exec, exec, s[2:3]
	v_or_b32_e32 v10, 0x80, v9
	v_cmp_gt_u32_e64 s[2:3], s33, v10
	s_and_saveexec_b64 s[6:7], s[2:3]
	s_cbranch_execz .LBB1260_9
; %bb.8:
	global_load_ushort v11, v[4:5], off offset:256
	s_mov_b32 s8, 0xffff
	s_waitcnt vmcnt(0)
	v_bfi_b32 v3, s8, v11, v3
.LBB1260_9:
	s_or_b64 exec, exec, s[6:7]
	v_or_b32_e32 v11, 0xc0, v9
	v_cmp_gt_u32_e64 s[6:7], s33, v11
	s_and_saveexec_b64 s[8:9], s[6:7]
	s_cbranch_execz .LBB1260_11
; %bb.10:
	global_load_ushort v4, v[4:5], off offset:384
	s_mov_b32 s10, 0x5040100
	s_waitcnt vmcnt(0)
	v_perm_b32 v3, v4, v3, s10
.LBB1260_11:
	s_or_b64 exec, exec, s[8:9]
	s_lshl_b64 s[8:9], s[28:29], 3
	s_add_u32 s8, s40, s8
	s_addc_u32 s9, s41, s9
	v_mov_b32_e32 v4, s9
	v_add_co_u32_e64 v5, s[8:9], s8, v13
	v_addc_co_u32_e64 v13, s[8:9], 0, v4, s[8:9]
	v_add_co_u32_e64 v4, s[8:9], v5, v12
	v_addc_co_u32_e64 v5, s[8:9], 0, v13, s[8:9]
                                        ; implicit-def: $vgpr20_vgpr21
	s_and_saveexec_b64 s[8:9], vcc
	s_cbranch_execnz .LBB1260_54
; %bb.12:
	s_or_b64 exec, exec, s[8:9]
                                        ; implicit-def: $vgpr22_vgpr23
	s_and_saveexec_b64 s[8:9], s[0:1]
	s_cbranch_execnz .LBB1260_55
.LBB1260_13:
	s_or_b64 exec, exec, s[8:9]
                                        ; implicit-def: $vgpr24_vgpr25
	s_and_saveexec_b64 s[0:1], s[2:3]
	s_cbranch_execnz .LBB1260_56
.LBB1260_14:
	s_or_b64 exec, exec, s[0:1]
                                        ; implicit-def: $vgpr26_vgpr27
	s_and_saveexec_b64 s[0:1], s[6:7]
	s_cbranch_execz .LBB1260_16
.LBB1260_15:
	global_load_dwordx2 v[26:27], v[4:5], off offset:1536
.LBB1260_16:
	s_or_b64 exec, exec, s[0:1]
	v_mov_b32_e32 v14, v9
.LBB1260_17:
	s_load_dword s2, s[4:5], 0x3c
	s_waitcnt lgkmcnt(0)
	s_add_i32 s40, s37, s36
	s_getpc_b64 s[0:1]
	s_add_u32 s0, s0, _ZN7rocprim17ROCPRIM_400000_NS16block_radix_sortIsLj256ELj4ElLj1ELj1ELj0ELNS0_26block_radix_rank_algorithmE1ELNS0_18block_padding_hintE2ELNS0_4arch9wavefront6targetE1EE19radix_bits_per_passE@rel32@lo+4
	s_addc_u32 s1, s1, _ZN7rocprim17ROCPRIM_400000_NS16block_radix_sortIsLj256ELj4ElLj1ELj1ELj0ELNS0_26block_radix_rank_algorithmE1ELNS0_18block_padding_hintE2ELNS0_4arch9wavefront6targetE1EE19radix_bits_per_passE@rel32@hi+12
	v_xor_b32_e32 v48, 0x80008000, v3
	s_load_dword s41, s[0:1], 0x0
	s_lshr_b32 s0, s2, 16
	v_bfe_u32 v3, v0, 10, 10
	v_bfe_u32 v0, v0, 20, 10
	s_and_b32 s1, s2, 0xffff
	v_mad_u32_u24 v0, v0, s0, v3
	v_mad_u64_u32 v[4:5], s[0:1], v0, s1, v[8:9]
	v_and_b32_e32 v0, 15, v1
	v_cmp_eq_u32_e64 s[0:1], 0, v0
	v_cmp_lt_u32_e64 s[2:3], 1, v0
	v_cmp_lt_u32_e64 s[4:5], 3, v0
	;; [unrolled: 1-line block ×3, first 2 shown]
	v_and_b32_e32 v0, 16, v1
	v_cmp_eq_u32_e64 s[8:9], 0, v0
	v_and_b32_e32 v0, 0x3c0, v8
	v_min_u32_e32 v0, 0xc0, v0
	v_or_b32_e32 v0, 63, v0
	v_cmp_eq_u32_e64 s[12:13], v0, v8
	v_add_u32_e32 v0, -1, v1
	v_and_b32_e32 v3, 64, v1
	v_cmp_lt_i32_e32 vcc, v0, v3
	v_cndmask_b32_e32 v0, v0, v1, vcc
	s_mov_b32 s26, 0
	v_cmp_lt_u32_e64 s[10:11], 31, v1
	v_lshlrev_b32_e32 v31, 2, v0
	v_cmp_eq_u32_e64 s[18:19], 0, v1
	v_lshrrev_b32_e32 v0, 4, v8
	v_and_b32_e32 v1, 3, v1
	v_lshlrev_b32_e32 v9, 2, v6
	v_lshrrev_b32_e32 v29, 6, v4
	v_and_b32_e32 v32, 60, v0
	v_mul_i32_i24_e32 v0, -12, v8
	v_cmp_eq_u32_e64 s[22:23], 0, v1
	v_cmp_lt_u32_e64 s[24:25], 1, v1
	v_lshlrev_b32_e32 v34, 1, v14
	v_lshlrev_b32_e32 v35, 1, v7
	;; [unrolled: 1-line block ×4, first 2 shown]
	v_mul_i32_i24_e32 v1, 6, v14
	v_mul_i32_i24_e32 v3, 6, v7
	;; [unrolled: 1-line block ×4, first 2 shown]
	s_mov_b32 s27, s26
	s_mov_b32 s44, s26
	;; [unrolled: 1-line block ×3, first 2 shown]
	v_cmp_gt_u32_e64 s[14:15], 4, v8
	v_cmp_lt_u32_e64 s[16:17], 63, v8
	v_cmp_eq_u32_e64 s[20:21], 0, v8
	v_add_u32_e32 v33, -4, v32
	v_xor_b32_e32 v44, 0x80008000, v2
	v_pk_mov_b32 v[12:13], s[26:27], s[26:27] op_sel:[0,1]
	v_pk_mov_b32 v[16:17], s[44:45], s[44:45] op_sel:[0,1]
	v_add_u32_e32 v38, v9, v0
	v_add_u32_e32 v39, v34, v1
	;; [unrolled: 1-line block ×5, first 2 shown]
	s_mov_b32 s44, 0x5040100
	v_mov_b32_e32 v18, 0
	s_branch .LBB1260_19
.LBB1260_18:                            ;   in Loop: Header=BB1260_19 Depth=1
	v_mad_u64_u32 v[20:21], s[26:27], v47, 6, v[30:31]
	s_barrier
	ds_write_b16 v30, v44
	ds_write_b16 v28, v45
	;; [unrolled: 1-line block ×4, first 2 shown]
	s_waitcnt lgkmcnt(0)
	s_barrier
	ds_read_u16 v44, v34
	ds_read_u16 v48, v35
	;; [unrolled: 1-line block ×4, first 2 shown]
	s_waitcnt lgkmcnt(0)
	s_barrier
	ds_write_b64 v20, v[14:15]
	v_mad_u64_u32 v[20:21], s[26:27], v19, 6, v[28:29]
	ds_write_b64 v20, v[10:11]
	v_mad_u64_u32 v[20:21], s[26:27], v3, 6, v[2:3]
	;; [unrolled: 2-line block ×3, first 2 shown]
	ds_write_b64 v20, v[4:5]
	s_waitcnt lgkmcnt(0)
	s_barrier
	ds_read_b64 v[20:21], v39
	ds_read_b64 v[22:23], v40
	;; [unrolled: 1-line block ×4, first 2 shown]
	v_perm_b32 v44, v48, v44, s44
	v_perm_b32 v48, v51, v50, s44
	s_add_i32 s37, s37, -8
	s_waitcnt lgkmcnt(0)
	s_barrier
	s_cbranch_execz .LBB1260_35
.LBB1260_19:                            ; =>This Inner Loop Header: Depth=1
	s_waitcnt lgkmcnt(0)
	s_min_u32 s26, s41, s37
	s_lshl_b32 s26, -1, s26
	s_not_b32 s45, s26
	v_lshrrev_b32_sdwa v0, s36, v44 dst_sel:DWORD dst_unused:UNUSED_PAD src0_sel:DWORD src1_sel:WORD_0
	v_and_b32_e32 v0, s45, v0
	v_lshl_add_u32 v1, v0, 2, v29
	s_waitcnt vmcnt(0)
	v_pk_mov_b32 v[14:15], v[20:21], v[20:21] op_sel:[0,1]
	v_lshl_add_u32 v20, v1, 2, 16
	v_and_b32_e32 v1, 1, v0
	v_add_co_u32_e32 v2, vcc, -1, v1
	v_addc_co_u32_e64 v3, s[26:27], 0, -1, vcc
	v_cmp_ne_u32_e32 vcc, 0, v1
	v_lshlrev_b32_e32 v19, 30, v0
	v_xor_b32_e32 v1, vcc_hi, v3
	v_not_b32_e32 v3, v19
	v_xor_b32_e32 v2, vcc_lo, v2
	v_cmp_gt_i64_e32 vcc, 0, v[18:19]
	v_ashrrev_i32_e32 v3, 31, v3
	v_and_b32_e32 v1, exec_hi, v1
	v_xor_b32_e32 v19, vcc_hi, v3
	v_and_b32_e32 v2, exec_lo, v2
	v_xor_b32_e32 v3, vcc_lo, v3
	v_and_b32_e32 v1, v1, v19
	v_lshlrev_b32_e32 v19, 29, v0
	v_and_b32_e32 v2, v2, v3
	v_not_b32_e32 v3, v19
	v_cmp_gt_i64_e32 vcc, 0, v[18:19]
	v_ashrrev_i32_e32 v3, 31, v3
	v_xor_b32_e32 v19, vcc_hi, v3
	v_xor_b32_e32 v3, vcc_lo, v3
	v_and_b32_e32 v1, v1, v19
	v_lshlrev_b32_e32 v19, 28, v0
	v_and_b32_e32 v2, v2, v3
	v_not_b32_e32 v3, v19
	v_cmp_gt_i64_e32 vcc, 0, v[18:19]
	v_ashrrev_i32_e32 v3, 31, v3
	v_xor_b32_e32 v19, vcc_hi, v3
	;; [unrolled: 8-line block ×5, first 2 shown]
	v_and_b32_e32 v1, v1, v19
	v_lshlrev_b32_e32 v19, 24, v0
	v_not_b32_e32 v0, v19
	v_xor_b32_e32 v3, vcc_lo, v3
	v_cmp_gt_i64_e32 vcc, 0, v[18:19]
	v_ashrrev_i32_e32 v0, 31, v0
	v_and_b32_e32 v2, v2, v3
	v_xor_b32_e32 v3, vcc_hi, v0
	v_xor_b32_e32 v0, vcc_lo, v0
	v_and_b32_e32 v0, v2, v0
	v_and_b32_e32 v1, v1, v3
	v_mbcnt_lo_u32_b32 v2, v0, 0
	v_mbcnt_hi_u32_b32 v21, v1, v2
	v_cmp_eq_u32_e32 vcc, 0, v21
	v_cmp_ne_u64_e64 s[26:27], 0, v[0:1]
	v_mov_b32_e32 v43, v48
	v_pk_mov_b32 v[10:11], v[22:23], v[22:23] op_sel:[0,1]
	v_pk_mov_b32 v[6:7], v[24:25], v[24:25] op_sel:[0,1]
	;; [unrolled: 1-line block ×3, first 2 shown]
	s_and_b64 s[46:47], s[26:27], vcc
	ds_write2_b64 v9, v[12:13], v[16:17] offset0:2 offset1:3
	s_waitcnt lgkmcnt(0)
	s_barrier
	s_waitcnt lgkmcnt(0)
	; wave barrier
	s_and_saveexec_b64 s[26:27], s[46:47]
	s_cbranch_execz .LBB1260_21
; %bb.20:                               ;   in Loop: Header=BB1260_19 Depth=1
	v_bcnt_u32_b32 v0, v0, 0
	v_bcnt_u32_b32 v0, v1, v0
	ds_write_b32 v20, v0
.LBB1260_21:                            ;   in Loop: Header=BB1260_19 Depth=1
	s_or_b64 exec, exec, s[26:27]
	v_lshrrev_b32_e32 v45, 16, v44
	v_lshrrev_b32_e32 v0, s36, v45
	v_and_b32_e32 v0, s45, v0
	v_lshlrev_b32_e32 v1, 2, v0
	v_add_lshl_u32 v1, v1, v29, 2
	; wave barrier
	v_add_u32_e32 v23, 16, v1
	ds_read_b32 v22, v1 offset:16
	v_and_b32_e32 v1, 1, v0
	v_add_co_u32_e32 v2, vcc, -1, v1
	v_addc_co_u32_e64 v3, s[26:27], 0, -1, vcc
	v_cmp_ne_u32_e32 vcc, 0, v1
	v_lshlrev_b32_e32 v19, 30, v0
	v_xor_b32_e32 v1, vcc_hi, v3
	v_not_b32_e32 v3, v19
	v_xor_b32_e32 v2, vcc_lo, v2
	v_cmp_gt_i64_e32 vcc, 0, v[18:19]
	v_ashrrev_i32_e32 v3, 31, v3
	v_and_b32_e32 v1, exec_hi, v1
	v_xor_b32_e32 v19, vcc_hi, v3
	v_and_b32_e32 v2, exec_lo, v2
	v_xor_b32_e32 v3, vcc_lo, v3
	v_and_b32_e32 v1, v1, v19
	v_lshlrev_b32_e32 v19, 29, v0
	v_and_b32_e32 v2, v2, v3
	v_not_b32_e32 v3, v19
	v_cmp_gt_i64_e32 vcc, 0, v[18:19]
	v_ashrrev_i32_e32 v3, 31, v3
	v_xor_b32_e32 v19, vcc_hi, v3
	v_xor_b32_e32 v3, vcc_lo, v3
	v_and_b32_e32 v1, v1, v19
	v_lshlrev_b32_e32 v19, 28, v0
	v_and_b32_e32 v2, v2, v3
	v_not_b32_e32 v3, v19
	v_cmp_gt_i64_e32 vcc, 0, v[18:19]
	v_ashrrev_i32_e32 v3, 31, v3
	v_xor_b32_e32 v19, vcc_hi, v3
	v_xor_b32_e32 v3, vcc_lo, v3
	v_and_b32_e32 v1, v1, v19
	v_lshlrev_b32_e32 v19, 27, v0
	v_and_b32_e32 v2, v2, v3
	v_not_b32_e32 v3, v19
	v_cmp_gt_i64_e32 vcc, 0, v[18:19]
	v_ashrrev_i32_e32 v3, 31, v3
	v_xor_b32_e32 v19, vcc_hi, v3
	v_xor_b32_e32 v3, vcc_lo, v3
	v_and_b32_e32 v1, v1, v19
	v_lshlrev_b32_e32 v19, 26, v0
	v_and_b32_e32 v2, v2, v3
	v_not_b32_e32 v3, v19
	v_cmp_gt_i64_e32 vcc, 0, v[18:19]
	v_ashrrev_i32_e32 v3, 31, v3
	v_xor_b32_e32 v19, vcc_hi, v3
	v_xor_b32_e32 v3, vcc_lo, v3
	v_and_b32_e32 v1, v1, v19
	v_lshlrev_b32_e32 v19, 25, v0
	v_and_b32_e32 v2, v2, v3
	v_not_b32_e32 v3, v19
	v_cmp_gt_i64_e32 vcc, 0, v[18:19]
	v_ashrrev_i32_e32 v3, 31, v3
	v_xor_b32_e32 v19, vcc_hi, v3
	v_and_b32_e32 v1, v1, v19
	v_lshlrev_b32_e32 v19, 24, v0
	v_not_b32_e32 v0, v19
	v_xor_b32_e32 v3, vcc_lo, v3
	v_cmp_gt_i64_e32 vcc, 0, v[18:19]
	v_ashrrev_i32_e32 v0, 31, v0
	v_and_b32_e32 v2, v2, v3
	v_xor_b32_e32 v3, vcc_hi, v0
	v_xor_b32_e32 v0, vcc_lo, v0
	v_and_b32_e32 v0, v2, v0
	v_and_b32_e32 v1, v1, v3
	v_mbcnt_lo_u32_b32 v2, v0, 0
	v_mbcnt_hi_u32_b32 v24, v1, v2
	v_cmp_eq_u32_e32 vcc, 0, v24
	v_cmp_ne_u64_e64 s[26:27], 0, v[0:1]
	s_and_b64 s[46:47], s[26:27], vcc
	; wave barrier
	s_and_saveexec_b64 s[26:27], s[46:47]
	s_cbranch_execz .LBB1260_23
; %bb.22:                               ;   in Loop: Header=BB1260_19 Depth=1
	v_bcnt_u32_b32 v0, v0, 0
	v_bcnt_u32_b32 v0, v1, v0
	s_waitcnt lgkmcnt(0)
	v_add_u32_e32 v0, v22, v0
	ds_write_b32 v23, v0
.LBB1260_23:                            ;   in Loop: Header=BB1260_19 Depth=1
	s_or_b64 exec, exec, s[26:27]
	v_lshrrev_b32_sdwa v0, s36, v43 dst_sel:DWORD dst_unused:UNUSED_PAD src0_sel:DWORD src1_sel:WORD_0
	v_and_b32_e32 v0, s45, v0
	v_lshlrev_b32_e32 v1, 2, v0
	v_add_lshl_u32 v1, v1, v29, 2
	; wave barrier
	v_add_u32_e32 v26, 16, v1
	ds_read_b32 v25, v1 offset:16
	v_and_b32_e32 v1, 1, v0
	v_add_co_u32_e32 v2, vcc, -1, v1
	v_addc_co_u32_e64 v3, s[26:27], 0, -1, vcc
	v_cmp_ne_u32_e32 vcc, 0, v1
	v_lshlrev_b32_e32 v19, 30, v0
	v_xor_b32_e32 v1, vcc_hi, v3
	v_not_b32_e32 v3, v19
	v_xor_b32_e32 v2, vcc_lo, v2
	v_cmp_gt_i64_e32 vcc, 0, v[18:19]
	v_ashrrev_i32_e32 v3, 31, v3
	v_and_b32_e32 v1, exec_hi, v1
	v_xor_b32_e32 v19, vcc_hi, v3
	v_and_b32_e32 v2, exec_lo, v2
	v_xor_b32_e32 v3, vcc_lo, v3
	v_and_b32_e32 v1, v1, v19
	v_lshlrev_b32_e32 v19, 29, v0
	v_and_b32_e32 v2, v2, v3
	v_not_b32_e32 v3, v19
	v_cmp_gt_i64_e32 vcc, 0, v[18:19]
	v_ashrrev_i32_e32 v3, 31, v3
	v_xor_b32_e32 v19, vcc_hi, v3
	v_xor_b32_e32 v3, vcc_lo, v3
	v_and_b32_e32 v1, v1, v19
	v_lshlrev_b32_e32 v19, 28, v0
	v_and_b32_e32 v2, v2, v3
	v_not_b32_e32 v3, v19
	v_cmp_gt_i64_e32 vcc, 0, v[18:19]
	v_ashrrev_i32_e32 v3, 31, v3
	v_xor_b32_e32 v19, vcc_hi, v3
	;; [unrolled: 8-line block ×5, first 2 shown]
	v_and_b32_e32 v1, v1, v19
	v_lshlrev_b32_e32 v19, 24, v0
	v_not_b32_e32 v0, v19
	v_xor_b32_e32 v3, vcc_lo, v3
	v_cmp_gt_i64_e32 vcc, 0, v[18:19]
	v_ashrrev_i32_e32 v0, 31, v0
	v_and_b32_e32 v2, v2, v3
	v_xor_b32_e32 v3, vcc_hi, v0
	v_xor_b32_e32 v0, vcc_lo, v0
	v_and_b32_e32 v0, v2, v0
	v_and_b32_e32 v1, v1, v3
	v_mbcnt_lo_u32_b32 v2, v0, 0
	v_mbcnt_hi_u32_b32 v27, v1, v2
	v_cmp_eq_u32_e32 vcc, 0, v27
	v_cmp_ne_u64_e64 s[26:27], 0, v[0:1]
	s_and_b64 s[46:47], s[26:27], vcc
	; wave barrier
	s_and_saveexec_b64 s[26:27], s[46:47]
	s_cbranch_execz .LBB1260_25
; %bb.24:                               ;   in Loop: Header=BB1260_19 Depth=1
	v_bcnt_u32_b32 v0, v0, 0
	v_bcnt_u32_b32 v0, v1, v0
	s_waitcnt lgkmcnt(0)
	v_add_u32_e32 v0, v25, v0
	ds_write_b32 v26, v0
.LBB1260_25:                            ;   in Loop: Header=BB1260_19 Depth=1
	s_or_b64 exec, exec, s[26:27]
	v_lshrrev_b32_e32 v46, 16, v43
	v_lshrrev_b32_e32 v0, s36, v46
	v_and_b32_e32 v0, s45, v0
	v_lshlrev_b32_e32 v1, 2, v0
	v_add_lshl_u32 v1, v1, v29, 2
	; wave barrier
	v_add_u32_e32 v30, 16, v1
	ds_read_b32 v28, v1 offset:16
	v_and_b32_e32 v1, 1, v0
	v_add_co_u32_e32 v2, vcc, -1, v1
	v_addc_co_u32_e64 v3, s[26:27], 0, -1, vcc
	v_cmp_ne_u32_e32 vcc, 0, v1
	v_lshlrev_b32_e32 v19, 30, v0
	v_xor_b32_e32 v1, vcc_hi, v3
	v_not_b32_e32 v3, v19
	v_xor_b32_e32 v2, vcc_lo, v2
	v_cmp_gt_i64_e32 vcc, 0, v[18:19]
	v_ashrrev_i32_e32 v3, 31, v3
	v_and_b32_e32 v1, exec_hi, v1
	v_xor_b32_e32 v19, vcc_hi, v3
	v_and_b32_e32 v2, exec_lo, v2
	v_xor_b32_e32 v3, vcc_lo, v3
	v_and_b32_e32 v1, v1, v19
	v_lshlrev_b32_e32 v19, 29, v0
	v_and_b32_e32 v2, v2, v3
	v_not_b32_e32 v3, v19
	v_cmp_gt_i64_e32 vcc, 0, v[18:19]
	v_ashrrev_i32_e32 v3, 31, v3
	v_xor_b32_e32 v19, vcc_hi, v3
	v_xor_b32_e32 v3, vcc_lo, v3
	v_and_b32_e32 v1, v1, v19
	v_lshlrev_b32_e32 v19, 28, v0
	v_and_b32_e32 v2, v2, v3
	v_not_b32_e32 v3, v19
	v_cmp_gt_i64_e32 vcc, 0, v[18:19]
	v_ashrrev_i32_e32 v3, 31, v3
	v_xor_b32_e32 v19, vcc_hi, v3
	;; [unrolled: 8-line block ×5, first 2 shown]
	v_and_b32_e32 v1, v1, v19
	v_lshlrev_b32_e32 v19, 24, v0
	v_not_b32_e32 v0, v19
	v_xor_b32_e32 v3, vcc_lo, v3
	v_cmp_gt_i64_e32 vcc, 0, v[18:19]
	v_ashrrev_i32_e32 v0, 31, v0
	v_and_b32_e32 v2, v2, v3
	v_xor_b32_e32 v3, vcc_hi, v0
	v_xor_b32_e32 v0, vcc_lo, v0
	v_and_b32_e32 v0, v2, v0
	v_and_b32_e32 v1, v1, v3
	v_mbcnt_lo_u32_b32 v2, v0, 0
	v_mbcnt_hi_u32_b32 v48, v1, v2
	v_cmp_eq_u32_e32 vcc, 0, v48
	v_cmp_ne_u64_e64 s[26:27], 0, v[0:1]
	s_and_b64 s[46:47], s[26:27], vcc
	; wave barrier
	s_and_saveexec_b64 s[26:27], s[46:47]
	s_cbranch_execz .LBB1260_27
; %bb.26:                               ;   in Loop: Header=BB1260_19 Depth=1
	v_bcnt_u32_b32 v0, v0, 0
	v_bcnt_u32_b32 v0, v1, v0
	s_waitcnt lgkmcnt(0)
	v_add_u32_e32 v0, v28, v0
	ds_write_b32 v30, v0
.LBB1260_27:                            ;   in Loop: Header=BB1260_19 Depth=1
	s_or_b64 exec, exec, s[26:27]
	; wave barrier
	s_waitcnt lgkmcnt(0)
	s_barrier
	ds_read2_b64 v[0:3], v9 offset0:2 offset1:3
	s_waitcnt lgkmcnt(0)
	v_add_u32_e32 v19, v1, v0
	v_add3_u32 v3, v19, v2, v3
	s_nop 1
	v_mov_b32_dpp v19, v3 row_shr:1 row_mask:0xf bank_mask:0xf
	v_cndmask_b32_e64 v19, v19, 0, s[0:1]
	v_add_u32_e32 v3, v19, v3
	s_nop 1
	v_mov_b32_dpp v19, v3 row_shr:2 row_mask:0xf bank_mask:0xf
	v_cndmask_b32_e64 v19, 0, v19, s[2:3]
	v_add_u32_e32 v3, v3, v19
	;; [unrolled: 4-line block ×4, first 2 shown]
	s_nop 1
	v_mov_b32_dpp v19, v3 row_bcast:15 row_mask:0xf bank_mask:0xf
	v_cndmask_b32_e64 v19, v19, 0, s[8:9]
	v_add_u32_e32 v3, v3, v19
	s_nop 1
	v_mov_b32_dpp v19, v3 row_bcast:31 row_mask:0xf bank_mask:0xf
	v_cndmask_b32_e64 v19, 0, v19, s[10:11]
	v_add_u32_e32 v3, v3, v19
	s_and_saveexec_b64 s[26:27], s[12:13]
	s_cbranch_execz .LBB1260_29
; %bb.28:                               ;   in Loop: Header=BB1260_19 Depth=1
	ds_write_b32 v32, v3
.LBB1260_29:                            ;   in Loop: Header=BB1260_19 Depth=1
	s_or_b64 exec, exec, s[26:27]
	s_waitcnt lgkmcnt(0)
	s_barrier
	s_and_saveexec_b64 s[26:27], s[14:15]
	s_cbranch_execz .LBB1260_31
; %bb.30:                               ;   in Loop: Header=BB1260_19 Depth=1
	ds_read_b32 v19, v38
	s_waitcnt lgkmcnt(0)
	s_nop 0
	v_mov_b32_dpp v47, v19 row_shr:1 row_mask:0xf bank_mask:0xf
	v_cndmask_b32_e64 v47, v47, 0, s[22:23]
	v_add_u32_e32 v19, v47, v19
	s_nop 1
	v_mov_b32_dpp v47, v19 row_shr:2 row_mask:0xf bank_mask:0xf
	v_cndmask_b32_e64 v47, 0, v47, s[24:25]
	v_add_u32_e32 v19, v19, v47
	ds_write_b32 v38, v19
.LBB1260_31:                            ;   in Loop: Header=BB1260_19 Depth=1
	s_or_b64 exec, exec, s[26:27]
	v_mov_b32_e32 v19, 0
	s_waitcnt lgkmcnt(0)
	s_barrier
	s_and_saveexec_b64 s[26:27], s[16:17]
	s_cbranch_execz .LBB1260_33
; %bb.32:                               ;   in Loop: Header=BB1260_19 Depth=1
	ds_read_b32 v19, v33
.LBB1260_33:                            ;   in Loop: Header=BB1260_19 Depth=1
	s_or_b64 exec, exec, s[26:27]
	s_waitcnt lgkmcnt(0)
	v_add_u32_e32 v3, v19, v3
	ds_bpermute_b32 v3, v31, v3
	s_add_i32 s36, s36, 8
	v_mov_b32_e32 v49, v44
	s_cmp_ge_u32 s36, s40
	s_waitcnt lgkmcnt(0)
	v_cndmask_b32_e64 v3, v3, v19, s[18:19]
	v_cndmask_b32_e64 v50, v3, 0, s[20:21]
	v_add_u32_e32 v51, v50, v0
	v_add_u32_e32 v0, v51, v1
	;; [unrolled: 1-line block ×3, first 2 shown]
	ds_write2_b64 v9, v[50:51], v[0:1] offset0:2 offset1:3
	s_waitcnt lgkmcnt(0)
	s_barrier
	ds_read_b32 v0, v20
	ds_read_b32 v1, v23
	;; [unrolled: 1-line block ×4, first 2 shown]
	s_waitcnt lgkmcnt(0)
	v_add_u32_e32 v47, v0, v21
	v_add3_u32 v19, v24, v22, v1
	v_add3_u32 v3, v27, v25, v2
	;; [unrolled: 1-line block ×3, first 2 shown]
	v_lshlrev_b32_e32 v30, 1, v47
	v_lshlrev_b32_e32 v28, 1, v19
	;; [unrolled: 1-line block ×4, first 2 shown]
	s_cbranch_scc0 .LBB1260_18
; %bb.34:
                                        ; implicit-def: $vgpr48
                                        ; implicit-def: $vgpr44
                                        ; implicit-def: $sgpr36
                                        ; implicit-def: $vgpr20_vgpr21
                                        ; implicit-def: $vgpr22_vgpr23
                                        ; implicit-def: $vgpr24_vgpr25
                                        ; implicit-def: $vgpr26_vgpr27
.LBB1260_35:
	v_lshlrev_b32_e32 v16, 1, v8
	v_mad_u64_u32 v[12:13], s[0:1], v47, 6, v[30:31]
	s_barrier
	ds_write_b16 v30, v49
	ds_write_b16 v28, v45
	ds_write_b16 v2, v43
	ds_write_b16 v0, v46
	s_waitcnt lgkmcnt(0)
	s_barrier
	ds_read_u16 v9, v16
	ds_read_u16 v17, v16 offset:512
	ds_read_u16 v18, v16 offset:1024
	;; [unrolled: 1-line block ×3, first 2 shown]
	s_waitcnt lgkmcnt(0)
	s_barrier
	ds_write_b64 v12, v[14:15]
	v_mad_u64_u32 v[12:13], s[0:1], v19, 6, v[28:29]
	v_mad_u64_u32 v[2:3], s[0:1], v3, 6, v[2:3]
	;; [unrolled: 1-line block ×3, first 2 shown]
	ds_write_b64 v12, v[10:11]
	ds_write_b64 v2, v[6:7]
	ds_write_b64 v0, v[4:5]
	v_mad_u32_u24 v0, v8, 6, v16
	s_waitcnt lgkmcnt(0)
	s_barrier
	ds_read2st64_b64 v[4:7], v0 offset1:4
	ds_read2st64_b64 v[0:3], v0 offset0:8 offset1:12
	s_add_u32 s0, s38, s34
	s_addc_u32 s1, s39, s35
	v_mov_b32_e32 v11, s1
	v_add_co_u32_e32 v10, vcc, s0, v16
	v_addc_co_u32_e32 v11, vcc, 0, v11, vcc
	v_xor_b32_e32 v15, 0xffff8000, v9
	v_xor_b32_e32 v14, 0xffff8000, v17
	v_xor_b32_e32 v13, 0xffff8000, v18
	v_xor_b32_e32 v9, 0xffff8000, v20
	s_andn2_b64 vcc, exec, s[30:31]
	v_lshlrev_b32_e32 v12, 3, v8
	s_cbranch_vccnz .LBB1260_37
; %bb.36:
	s_lshl_b64 s[0:1], s[28:29], 3
	s_add_u32 s0, s42, s0
	s_addc_u32 s1, s43, s1
	v_mov_b32_e32 v16, s1
	v_add_co_u32_e32 v17, vcc, s0, v12
	v_addc_co_u32_e32 v18, vcc, 0, v16, vcc
	v_add_co_u32_e32 v16, vcc, 0x1000, v17
	global_store_short v[10:11], v15, off
	global_store_short v[10:11], v14, off offset:512
	global_store_short v[10:11], v13, off offset:1024
	;; [unrolled: 1-line block ×3, first 2 shown]
	s_waitcnt lgkmcnt(1)
	global_store_dwordx2 v12, v[4:5], s[0:1]
	global_store_dwordx2 v12, v[6:7], s[0:1] offset:2048
	v_addc_co_u32_e32 v17, vcc, 0, v18, vcc
	s_mov_b64 s[6:7], -1
	s_waitcnt lgkmcnt(0)
	global_store_dwordx2 v[16:17], v[0:1], off
	s_cbranch_execz .LBB1260_38
	s_branch .LBB1260_51
.LBB1260_37:
	s_mov_b64 s[6:7], 0
.LBB1260_38:
	v_cmp_gt_u32_e32 vcc, s33, v8
	s_and_saveexec_b64 s[0:1], vcc
	s_cbranch_execz .LBB1260_40
; %bb.39:
	global_store_short v[10:11], v15, off
.LBB1260_40:
	s_or_b64 exec, exec, s[0:1]
	v_add_u32_e32 v15, 0x100, v8
	v_cmp_gt_u32_e64 s[0:1], s33, v15
	s_and_saveexec_b64 s[2:3], s[0:1]
	s_cbranch_execz .LBB1260_42
; %bb.41:
	global_store_short v[10:11], v14, off offset:512
.LBB1260_42:
	s_or_b64 exec, exec, s[2:3]
	v_add_u32_e32 v14, 0x200, v8
	v_cmp_gt_u32_e64 s[2:3], s33, v14
	s_and_saveexec_b64 s[4:5], s[2:3]
	s_cbranch_execz .LBB1260_44
; %bb.43:
	global_store_short v[10:11], v13, off offset:1024
.LBB1260_44:
	;; [unrolled: 8-line block ×3, first 2 shown]
	s_or_b64 exec, exec, s[4:5]
	s_lshl_b64 s[4:5], s[28:29], 3
	s_add_u32 s4, s42, s4
	s_addc_u32 s5, s43, s5
	v_mov_b32_e32 v9, s5
	v_add_co_u32_e64 v8, s[4:5], s4, v12
	v_addc_co_u32_e64 v9, s[4:5], 0, v9, s[4:5]
	s_and_saveexec_b64 s[4:5], vcc
	s_cbranch_execnz .LBB1260_57
; %bb.47:
	s_or_b64 exec, exec, s[4:5]
	s_and_saveexec_b64 s[4:5], s[0:1]
	s_cbranch_execnz .LBB1260_58
.LBB1260_48:
	s_or_b64 exec, exec, s[4:5]
	s_and_saveexec_b64 s[0:1], s[2:3]
	s_cbranch_execz .LBB1260_50
.LBB1260_49:
	s_waitcnt lgkmcnt(1)
	v_add_co_u32_e32 v4, vcc, 0x1000, v8
	v_addc_co_u32_e32 v5, vcc, 0, v9, vcc
	s_waitcnt lgkmcnt(0)
	global_store_dwordx2 v[4:5], v[0:1], off
.LBB1260_50:
	s_or_b64 exec, exec, s[0:1]
.LBB1260_51:
	s_and_saveexec_b64 s[0:1], s[6:7]
	s_cbranch_execnz .LBB1260_53
; %bb.52:
	s_endpgm
.LBB1260_53:
	s_lshl_b64 s[0:1], s[28:29], 3
	s_add_u32 s0, s42, s0
	s_addc_u32 s1, s43, s1
	s_waitcnt lgkmcnt(0)
	v_mov_b32_e32 v0, s1
	v_add_co_u32_e32 v1, vcc, s0, v12
	v_addc_co_u32_e32 v4, vcc, 0, v0, vcc
	v_add_co_u32_e32 v0, vcc, 0x1000, v1
	v_addc_co_u32_e32 v1, vcc, 0, v4, vcc
	global_store_dwordx2 v[0:1], v[2:3], off offset:2048
	s_endpgm
.LBB1260_54:
	global_load_dwordx2 v[20:21], v[4:5], off
	s_or_b64 exec, exec, s[8:9]
                                        ; implicit-def: $vgpr22_vgpr23
	s_and_saveexec_b64 s[8:9], s[0:1]
	s_cbranch_execz .LBB1260_13
.LBB1260_55:
	global_load_dwordx2 v[22:23], v[4:5], off offset:512
	s_or_b64 exec, exec, s[8:9]
                                        ; implicit-def: $vgpr24_vgpr25
	s_and_saveexec_b64 s[0:1], s[2:3]
	s_cbranch_execz .LBB1260_14
.LBB1260_56:
	global_load_dwordx2 v[24:25], v[4:5], off offset:1024
	s_or_b64 exec, exec, s[0:1]
                                        ; implicit-def: $vgpr26_vgpr27
	s_and_saveexec_b64 s[0:1], s[6:7]
	s_cbranch_execnz .LBB1260_15
	s_branch .LBB1260_16
.LBB1260_57:
	s_waitcnt lgkmcnt(1)
	global_store_dwordx2 v[8:9], v[4:5], off
	s_or_b64 exec, exec, s[4:5]
	s_and_saveexec_b64 s[4:5], s[0:1]
	s_cbranch_execz .LBB1260_48
.LBB1260_58:
	s_waitcnt lgkmcnt(1)
	global_store_dwordx2 v[8:9], v[6:7], off offset:2048
	s_or_b64 exec, exec, s[4:5]
	s_and_saveexec_b64 s[0:1], s[2:3]
	s_cbranch_execnz .LBB1260_49
	s_branch .LBB1260_50
	.section	.rodata,"a",@progbits
	.p2align	6, 0x0
	.amdhsa_kernel _ZN7rocprim17ROCPRIM_400000_NS6detail17trampoline_kernelINS0_13kernel_configILj256ELj4ELj4294967295EEENS1_37radix_sort_block_sort_config_selectorIslEEZNS1_21radix_sort_block_sortIS4_Lb0EPsS8_N6thrust23THRUST_200600_302600_NS10device_ptrIlEESC_NS0_19identity_decomposerEEE10hipError_tT1_T2_T3_T4_jRjT5_jjP12ihipStream_tbEUlT_E_NS1_11comp_targetILNS1_3genE4ELNS1_11target_archE910ELNS1_3gpuE8ELNS1_3repE0EEENS1_44radix_sort_block_sort_config_static_selectorELNS0_4arch9wavefront6targetE1EEEvSF_
		.amdhsa_group_segment_fixed_size 8192
		.amdhsa_private_segment_fixed_size 0
		.amdhsa_kernarg_size 304
		.amdhsa_user_sgpr_count 6
		.amdhsa_user_sgpr_private_segment_buffer 1
		.amdhsa_user_sgpr_dispatch_ptr 0
		.amdhsa_user_sgpr_queue_ptr 0
		.amdhsa_user_sgpr_kernarg_segment_ptr 1
		.amdhsa_user_sgpr_dispatch_id 0
		.amdhsa_user_sgpr_flat_scratch_init 0
		.amdhsa_user_sgpr_kernarg_preload_length 0
		.amdhsa_user_sgpr_kernarg_preload_offset 0
		.amdhsa_user_sgpr_private_segment_size 0
		.amdhsa_uses_dynamic_stack 0
		.amdhsa_system_sgpr_private_segment_wavefront_offset 0
		.amdhsa_system_sgpr_workgroup_id_x 1
		.amdhsa_system_sgpr_workgroup_id_y 0
		.amdhsa_system_sgpr_workgroup_id_z 0
		.amdhsa_system_sgpr_workgroup_info 0
		.amdhsa_system_vgpr_workitem_id 2
		.amdhsa_next_free_vgpr 52
		.amdhsa_next_free_sgpr 48
		.amdhsa_accum_offset 52
		.amdhsa_reserve_vcc 1
		.amdhsa_reserve_flat_scratch 0
		.amdhsa_float_round_mode_32 0
		.amdhsa_float_round_mode_16_64 0
		.amdhsa_float_denorm_mode_32 3
		.amdhsa_float_denorm_mode_16_64 3
		.amdhsa_dx10_clamp 1
		.amdhsa_ieee_mode 1
		.amdhsa_fp16_overflow 0
		.amdhsa_tg_split 0
		.amdhsa_exception_fp_ieee_invalid_op 0
		.amdhsa_exception_fp_denorm_src 0
		.amdhsa_exception_fp_ieee_div_zero 0
		.amdhsa_exception_fp_ieee_overflow 0
		.amdhsa_exception_fp_ieee_underflow 0
		.amdhsa_exception_fp_ieee_inexact 0
		.amdhsa_exception_int_div_zero 0
	.end_amdhsa_kernel
	.section	.text._ZN7rocprim17ROCPRIM_400000_NS6detail17trampoline_kernelINS0_13kernel_configILj256ELj4ELj4294967295EEENS1_37radix_sort_block_sort_config_selectorIslEEZNS1_21radix_sort_block_sortIS4_Lb0EPsS8_N6thrust23THRUST_200600_302600_NS10device_ptrIlEESC_NS0_19identity_decomposerEEE10hipError_tT1_T2_T3_T4_jRjT5_jjP12ihipStream_tbEUlT_E_NS1_11comp_targetILNS1_3genE4ELNS1_11target_archE910ELNS1_3gpuE8ELNS1_3repE0EEENS1_44radix_sort_block_sort_config_static_selectorELNS0_4arch9wavefront6targetE1EEEvSF_,"axG",@progbits,_ZN7rocprim17ROCPRIM_400000_NS6detail17trampoline_kernelINS0_13kernel_configILj256ELj4ELj4294967295EEENS1_37radix_sort_block_sort_config_selectorIslEEZNS1_21radix_sort_block_sortIS4_Lb0EPsS8_N6thrust23THRUST_200600_302600_NS10device_ptrIlEESC_NS0_19identity_decomposerEEE10hipError_tT1_T2_T3_T4_jRjT5_jjP12ihipStream_tbEUlT_E_NS1_11comp_targetILNS1_3genE4ELNS1_11target_archE910ELNS1_3gpuE8ELNS1_3repE0EEENS1_44radix_sort_block_sort_config_static_selectorELNS0_4arch9wavefront6targetE1EEEvSF_,comdat
.Lfunc_end1260:
	.size	_ZN7rocprim17ROCPRIM_400000_NS6detail17trampoline_kernelINS0_13kernel_configILj256ELj4ELj4294967295EEENS1_37radix_sort_block_sort_config_selectorIslEEZNS1_21radix_sort_block_sortIS4_Lb0EPsS8_N6thrust23THRUST_200600_302600_NS10device_ptrIlEESC_NS0_19identity_decomposerEEE10hipError_tT1_T2_T3_T4_jRjT5_jjP12ihipStream_tbEUlT_E_NS1_11comp_targetILNS1_3genE4ELNS1_11target_archE910ELNS1_3gpuE8ELNS1_3repE0EEENS1_44radix_sort_block_sort_config_static_selectorELNS0_4arch9wavefront6targetE1EEEvSF_, .Lfunc_end1260-_ZN7rocprim17ROCPRIM_400000_NS6detail17trampoline_kernelINS0_13kernel_configILj256ELj4ELj4294967295EEENS1_37radix_sort_block_sort_config_selectorIslEEZNS1_21radix_sort_block_sortIS4_Lb0EPsS8_N6thrust23THRUST_200600_302600_NS10device_ptrIlEESC_NS0_19identity_decomposerEEE10hipError_tT1_T2_T3_T4_jRjT5_jjP12ihipStream_tbEUlT_E_NS1_11comp_targetILNS1_3genE4ELNS1_11target_archE910ELNS1_3gpuE8ELNS1_3repE0EEENS1_44radix_sort_block_sort_config_static_selectorELNS0_4arch9wavefront6targetE1EEEvSF_
                                        ; -- End function
	.section	.AMDGPU.csdata,"",@progbits
; Kernel info:
; codeLenInByte = 4072
; NumSgprs: 52
; NumVgprs: 52
; NumAgprs: 0
; TotalNumVgprs: 52
; ScratchSize: 0
; MemoryBound: 0
; FloatMode: 240
; IeeeMode: 1
; LDSByteSize: 8192 bytes/workgroup (compile time only)
; SGPRBlocks: 6
; VGPRBlocks: 6
; NumSGPRsForWavesPerEU: 52
; NumVGPRsForWavesPerEU: 52
; AccumOffset: 52
; Occupancy: 8
; WaveLimiterHint : 1
; COMPUTE_PGM_RSRC2:SCRATCH_EN: 0
; COMPUTE_PGM_RSRC2:USER_SGPR: 6
; COMPUTE_PGM_RSRC2:TRAP_HANDLER: 0
; COMPUTE_PGM_RSRC2:TGID_X_EN: 1
; COMPUTE_PGM_RSRC2:TGID_Y_EN: 0
; COMPUTE_PGM_RSRC2:TGID_Z_EN: 0
; COMPUTE_PGM_RSRC2:TIDIG_COMP_CNT: 2
; COMPUTE_PGM_RSRC3_GFX90A:ACCUM_OFFSET: 12
; COMPUTE_PGM_RSRC3_GFX90A:TG_SPLIT: 0
	.section	.text._ZN7rocprim17ROCPRIM_400000_NS6detail17trampoline_kernelINS0_13kernel_configILj256ELj4ELj4294967295EEENS1_37radix_sort_block_sort_config_selectorIslEEZNS1_21radix_sort_block_sortIS4_Lb0EPsS8_N6thrust23THRUST_200600_302600_NS10device_ptrIlEESC_NS0_19identity_decomposerEEE10hipError_tT1_T2_T3_T4_jRjT5_jjP12ihipStream_tbEUlT_E_NS1_11comp_targetILNS1_3genE3ELNS1_11target_archE908ELNS1_3gpuE7ELNS1_3repE0EEENS1_44radix_sort_block_sort_config_static_selectorELNS0_4arch9wavefront6targetE1EEEvSF_,"axG",@progbits,_ZN7rocprim17ROCPRIM_400000_NS6detail17trampoline_kernelINS0_13kernel_configILj256ELj4ELj4294967295EEENS1_37radix_sort_block_sort_config_selectorIslEEZNS1_21radix_sort_block_sortIS4_Lb0EPsS8_N6thrust23THRUST_200600_302600_NS10device_ptrIlEESC_NS0_19identity_decomposerEEE10hipError_tT1_T2_T3_T4_jRjT5_jjP12ihipStream_tbEUlT_E_NS1_11comp_targetILNS1_3genE3ELNS1_11target_archE908ELNS1_3gpuE7ELNS1_3repE0EEENS1_44radix_sort_block_sort_config_static_selectorELNS0_4arch9wavefront6targetE1EEEvSF_,comdat
	.protected	_ZN7rocprim17ROCPRIM_400000_NS6detail17trampoline_kernelINS0_13kernel_configILj256ELj4ELj4294967295EEENS1_37radix_sort_block_sort_config_selectorIslEEZNS1_21radix_sort_block_sortIS4_Lb0EPsS8_N6thrust23THRUST_200600_302600_NS10device_ptrIlEESC_NS0_19identity_decomposerEEE10hipError_tT1_T2_T3_T4_jRjT5_jjP12ihipStream_tbEUlT_E_NS1_11comp_targetILNS1_3genE3ELNS1_11target_archE908ELNS1_3gpuE7ELNS1_3repE0EEENS1_44radix_sort_block_sort_config_static_selectorELNS0_4arch9wavefront6targetE1EEEvSF_ ; -- Begin function _ZN7rocprim17ROCPRIM_400000_NS6detail17trampoline_kernelINS0_13kernel_configILj256ELj4ELj4294967295EEENS1_37radix_sort_block_sort_config_selectorIslEEZNS1_21radix_sort_block_sortIS4_Lb0EPsS8_N6thrust23THRUST_200600_302600_NS10device_ptrIlEESC_NS0_19identity_decomposerEEE10hipError_tT1_T2_T3_T4_jRjT5_jjP12ihipStream_tbEUlT_E_NS1_11comp_targetILNS1_3genE3ELNS1_11target_archE908ELNS1_3gpuE7ELNS1_3repE0EEENS1_44radix_sort_block_sort_config_static_selectorELNS0_4arch9wavefront6targetE1EEEvSF_
	.globl	_ZN7rocprim17ROCPRIM_400000_NS6detail17trampoline_kernelINS0_13kernel_configILj256ELj4ELj4294967295EEENS1_37radix_sort_block_sort_config_selectorIslEEZNS1_21radix_sort_block_sortIS4_Lb0EPsS8_N6thrust23THRUST_200600_302600_NS10device_ptrIlEESC_NS0_19identity_decomposerEEE10hipError_tT1_T2_T3_T4_jRjT5_jjP12ihipStream_tbEUlT_E_NS1_11comp_targetILNS1_3genE3ELNS1_11target_archE908ELNS1_3gpuE7ELNS1_3repE0EEENS1_44radix_sort_block_sort_config_static_selectorELNS0_4arch9wavefront6targetE1EEEvSF_
	.p2align	8
	.type	_ZN7rocprim17ROCPRIM_400000_NS6detail17trampoline_kernelINS0_13kernel_configILj256ELj4ELj4294967295EEENS1_37radix_sort_block_sort_config_selectorIslEEZNS1_21radix_sort_block_sortIS4_Lb0EPsS8_N6thrust23THRUST_200600_302600_NS10device_ptrIlEESC_NS0_19identity_decomposerEEE10hipError_tT1_T2_T3_T4_jRjT5_jjP12ihipStream_tbEUlT_E_NS1_11comp_targetILNS1_3genE3ELNS1_11target_archE908ELNS1_3gpuE7ELNS1_3repE0EEENS1_44radix_sort_block_sort_config_static_selectorELNS0_4arch9wavefront6targetE1EEEvSF_,@function
_ZN7rocprim17ROCPRIM_400000_NS6detail17trampoline_kernelINS0_13kernel_configILj256ELj4ELj4294967295EEENS1_37radix_sort_block_sort_config_selectorIslEEZNS1_21radix_sort_block_sortIS4_Lb0EPsS8_N6thrust23THRUST_200600_302600_NS10device_ptrIlEESC_NS0_19identity_decomposerEEE10hipError_tT1_T2_T3_T4_jRjT5_jjP12ihipStream_tbEUlT_E_NS1_11comp_targetILNS1_3genE3ELNS1_11target_archE908ELNS1_3gpuE7ELNS1_3repE0EEENS1_44radix_sort_block_sort_config_static_selectorELNS0_4arch9wavefront6targetE1EEEvSF_: ; @_ZN7rocprim17ROCPRIM_400000_NS6detail17trampoline_kernelINS0_13kernel_configILj256ELj4ELj4294967295EEENS1_37radix_sort_block_sort_config_selectorIslEEZNS1_21radix_sort_block_sortIS4_Lb0EPsS8_N6thrust23THRUST_200600_302600_NS10device_ptrIlEESC_NS0_19identity_decomposerEEE10hipError_tT1_T2_T3_T4_jRjT5_jjP12ihipStream_tbEUlT_E_NS1_11comp_targetILNS1_3genE3ELNS1_11target_archE908ELNS1_3gpuE7ELNS1_3repE0EEENS1_44radix_sort_block_sort_config_static_selectorELNS0_4arch9wavefront6targetE1EEEvSF_
; %bb.0:
	.section	.rodata,"a",@progbits
	.p2align	6, 0x0
	.amdhsa_kernel _ZN7rocprim17ROCPRIM_400000_NS6detail17trampoline_kernelINS0_13kernel_configILj256ELj4ELj4294967295EEENS1_37radix_sort_block_sort_config_selectorIslEEZNS1_21radix_sort_block_sortIS4_Lb0EPsS8_N6thrust23THRUST_200600_302600_NS10device_ptrIlEESC_NS0_19identity_decomposerEEE10hipError_tT1_T2_T3_T4_jRjT5_jjP12ihipStream_tbEUlT_E_NS1_11comp_targetILNS1_3genE3ELNS1_11target_archE908ELNS1_3gpuE7ELNS1_3repE0EEENS1_44radix_sort_block_sort_config_static_selectorELNS0_4arch9wavefront6targetE1EEEvSF_
		.amdhsa_group_segment_fixed_size 0
		.amdhsa_private_segment_fixed_size 0
		.amdhsa_kernarg_size 48
		.amdhsa_user_sgpr_count 6
		.amdhsa_user_sgpr_private_segment_buffer 1
		.amdhsa_user_sgpr_dispatch_ptr 0
		.amdhsa_user_sgpr_queue_ptr 0
		.amdhsa_user_sgpr_kernarg_segment_ptr 1
		.amdhsa_user_sgpr_dispatch_id 0
		.amdhsa_user_sgpr_flat_scratch_init 0
		.amdhsa_user_sgpr_kernarg_preload_length 0
		.amdhsa_user_sgpr_kernarg_preload_offset 0
		.amdhsa_user_sgpr_private_segment_size 0
		.amdhsa_uses_dynamic_stack 0
		.amdhsa_system_sgpr_private_segment_wavefront_offset 0
		.amdhsa_system_sgpr_workgroup_id_x 1
		.amdhsa_system_sgpr_workgroup_id_y 0
		.amdhsa_system_sgpr_workgroup_id_z 0
		.amdhsa_system_sgpr_workgroup_info 0
		.amdhsa_system_vgpr_workitem_id 0
		.amdhsa_next_free_vgpr 1
		.amdhsa_next_free_sgpr 0
		.amdhsa_accum_offset 4
		.amdhsa_reserve_vcc 0
		.amdhsa_reserve_flat_scratch 0
		.amdhsa_float_round_mode_32 0
		.amdhsa_float_round_mode_16_64 0
		.amdhsa_float_denorm_mode_32 3
		.amdhsa_float_denorm_mode_16_64 3
		.amdhsa_dx10_clamp 1
		.amdhsa_ieee_mode 1
		.amdhsa_fp16_overflow 0
		.amdhsa_tg_split 0
		.amdhsa_exception_fp_ieee_invalid_op 0
		.amdhsa_exception_fp_denorm_src 0
		.amdhsa_exception_fp_ieee_div_zero 0
		.amdhsa_exception_fp_ieee_overflow 0
		.amdhsa_exception_fp_ieee_underflow 0
		.amdhsa_exception_fp_ieee_inexact 0
		.amdhsa_exception_int_div_zero 0
	.end_amdhsa_kernel
	.section	.text._ZN7rocprim17ROCPRIM_400000_NS6detail17trampoline_kernelINS0_13kernel_configILj256ELj4ELj4294967295EEENS1_37radix_sort_block_sort_config_selectorIslEEZNS1_21radix_sort_block_sortIS4_Lb0EPsS8_N6thrust23THRUST_200600_302600_NS10device_ptrIlEESC_NS0_19identity_decomposerEEE10hipError_tT1_T2_T3_T4_jRjT5_jjP12ihipStream_tbEUlT_E_NS1_11comp_targetILNS1_3genE3ELNS1_11target_archE908ELNS1_3gpuE7ELNS1_3repE0EEENS1_44radix_sort_block_sort_config_static_selectorELNS0_4arch9wavefront6targetE1EEEvSF_,"axG",@progbits,_ZN7rocprim17ROCPRIM_400000_NS6detail17trampoline_kernelINS0_13kernel_configILj256ELj4ELj4294967295EEENS1_37radix_sort_block_sort_config_selectorIslEEZNS1_21radix_sort_block_sortIS4_Lb0EPsS8_N6thrust23THRUST_200600_302600_NS10device_ptrIlEESC_NS0_19identity_decomposerEEE10hipError_tT1_T2_T3_T4_jRjT5_jjP12ihipStream_tbEUlT_E_NS1_11comp_targetILNS1_3genE3ELNS1_11target_archE908ELNS1_3gpuE7ELNS1_3repE0EEENS1_44radix_sort_block_sort_config_static_selectorELNS0_4arch9wavefront6targetE1EEEvSF_,comdat
.Lfunc_end1261:
	.size	_ZN7rocprim17ROCPRIM_400000_NS6detail17trampoline_kernelINS0_13kernel_configILj256ELj4ELj4294967295EEENS1_37radix_sort_block_sort_config_selectorIslEEZNS1_21radix_sort_block_sortIS4_Lb0EPsS8_N6thrust23THRUST_200600_302600_NS10device_ptrIlEESC_NS0_19identity_decomposerEEE10hipError_tT1_T2_T3_T4_jRjT5_jjP12ihipStream_tbEUlT_E_NS1_11comp_targetILNS1_3genE3ELNS1_11target_archE908ELNS1_3gpuE7ELNS1_3repE0EEENS1_44radix_sort_block_sort_config_static_selectorELNS0_4arch9wavefront6targetE1EEEvSF_, .Lfunc_end1261-_ZN7rocprim17ROCPRIM_400000_NS6detail17trampoline_kernelINS0_13kernel_configILj256ELj4ELj4294967295EEENS1_37radix_sort_block_sort_config_selectorIslEEZNS1_21radix_sort_block_sortIS4_Lb0EPsS8_N6thrust23THRUST_200600_302600_NS10device_ptrIlEESC_NS0_19identity_decomposerEEE10hipError_tT1_T2_T3_T4_jRjT5_jjP12ihipStream_tbEUlT_E_NS1_11comp_targetILNS1_3genE3ELNS1_11target_archE908ELNS1_3gpuE7ELNS1_3repE0EEENS1_44radix_sort_block_sort_config_static_selectorELNS0_4arch9wavefront6targetE1EEEvSF_
                                        ; -- End function
	.section	.AMDGPU.csdata,"",@progbits
; Kernel info:
; codeLenInByte = 0
; NumSgprs: 4
; NumVgprs: 0
; NumAgprs: 0
; TotalNumVgprs: 0
; ScratchSize: 0
; MemoryBound: 0
; FloatMode: 240
; IeeeMode: 1
; LDSByteSize: 0 bytes/workgroup (compile time only)
; SGPRBlocks: 0
; VGPRBlocks: 0
; NumSGPRsForWavesPerEU: 4
; NumVGPRsForWavesPerEU: 1
; AccumOffset: 4
; Occupancy: 8
; WaveLimiterHint : 0
; COMPUTE_PGM_RSRC2:SCRATCH_EN: 0
; COMPUTE_PGM_RSRC2:USER_SGPR: 6
; COMPUTE_PGM_RSRC2:TRAP_HANDLER: 0
; COMPUTE_PGM_RSRC2:TGID_X_EN: 1
; COMPUTE_PGM_RSRC2:TGID_Y_EN: 0
; COMPUTE_PGM_RSRC2:TGID_Z_EN: 0
; COMPUTE_PGM_RSRC2:TIDIG_COMP_CNT: 0
; COMPUTE_PGM_RSRC3_GFX90A:ACCUM_OFFSET: 0
; COMPUTE_PGM_RSRC3_GFX90A:TG_SPLIT: 0
	.section	.text._ZN7rocprim17ROCPRIM_400000_NS6detail17trampoline_kernelINS0_13kernel_configILj256ELj4ELj4294967295EEENS1_37radix_sort_block_sort_config_selectorIslEEZNS1_21radix_sort_block_sortIS4_Lb0EPsS8_N6thrust23THRUST_200600_302600_NS10device_ptrIlEESC_NS0_19identity_decomposerEEE10hipError_tT1_T2_T3_T4_jRjT5_jjP12ihipStream_tbEUlT_E_NS1_11comp_targetILNS1_3genE2ELNS1_11target_archE906ELNS1_3gpuE6ELNS1_3repE0EEENS1_44radix_sort_block_sort_config_static_selectorELNS0_4arch9wavefront6targetE1EEEvSF_,"axG",@progbits,_ZN7rocprim17ROCPRIM_400000_NS6detail17trampoline_kernelINS0_13kernel_configILj256ELj4ELj4294967295EEENS1_37radix_sort_block_sort_config_selectorIslEEZNS1_21radix_sort_block_sortIS4_Lb0EPsS8_N6thrust23THRUST_200600_302600_NS10device_ptrIlEESC_NS0_19identity_decomposerEEE10hipError_tT1_T2_T3_T4_jRjT5_jjP12ihipStream_tbEUlT_E_NS1_11comp_targetILNS1_3genE2ELNS1_11target_archE906ELNS1_3gpuE6ELNS1_3repE0EEENS1_44radix_sort_block_sort_config_static_selectorELNS0_4arch9wavefront6targetE1EEEvSF_,comdat
	.protected	_ZN7rocprim17ROCPRIM_400000_NS6detail17trampoline_kernelINS0_13kernel_configILj256ELj4ELj4294967295EEENS1_37radix_sort_block_sort_config_selectorIslEEZNS1_21radix_sort_block_sortIS4_Lb0EPsS8_N6thrust23THRUST_200600_302600_NS10device_ptrIlEESC_NS0_19identity_decomposerEEE10hipError_tT1_T2_T3_T4_jRjT5_jjP12ihipStream_tbEUlT_E_NS1_11comp_targetILNS1_3genE2ELNS1_11target_archE906ELNS1_3gpuE6ELNS1_3repE0EEENS1_44radix_sort_block_sort_config_static_selectorELNS0_4arch9wavefront6targetE1EEEvSF_ ; -- Begin function _ZN7rocprim17ROCPRIM_400000_NS6detail17trampoline_kernelINS0_13kernel_configILj256ELj4ELj4294967295EEENS1_37radix_sort_block_sort_config_selectorIslEEZNS1_21radix_sort_block_sortIS4_Lb0EPsS8_N6thrust23THRUST_200600_302600_NS10device_ptrIlEESC_NS0_19identity_decomposerEEE10hipError_tT1_T2_T3_T4_jRjT5_jjP12ihipStream_tbEUlT_E_NS1_11comp_targetILNS1_3genE2ELNS1_11target_archE906ELNS1_3gpuE6ELNS1_3repE0EEENS1_44radix_sort_block_sort_config_static_selectorELNS0_4arch9wavefront6targetE1EEEvSF_
	.globl	_ZN7rocprim17ROCPRIM_400000_NS6detail17trampoline_kernelINS0_13kernel_configILj256ELj4ELj4294967295EEENS1_37radix_sort_block_sort_config_selectorIslEEZNS1_21radix_sort_block_sortIS4_Lb0EPsS8_N6thrust23THRUST_200600_302600_NS10device_ptrIlEESC_NS0_19identity_decomposerEEE10hipError_tT1_T2_T3_T4_jRjT5_jjP12ihipStream_tbEUlT_E_NS1_11comp_targetILNS1_3genE2ELNS1_11target_archE906ELNS1_3gpuE6ELNS1_3repE0EEENS1_44radix_sort_block_sort_config_static_selectorELNS0_4arch9wavefront6targetE1EEEvSF_
	.p2align	8
	.type	_ZN7rocprim17ROCPRIM_400000_NS6detail17trampoline_kernelINS0_13kernel_configILj256ELj4ELj4294967295EEENS1_37radix_sort_block_sort_config_selectorIslEEZNS1_21radix_sort_block_sortIS4_Lb0EPsS8_N6thrust23THRUST_200600_302600_NS10device_ptrIlEESC_NS0_19identity_decomposerEEE10hipError_tT1_T2_T3_T4_jRjT5_jjP12ihipStream_tbEUlT_E_NS1_11comp_targetILNS1_3genE2ELNS1_11target_archE906ELNS1_3gpuE6ELNS1_3repE0EEENS1_44radix_sort_block_sort_config_static_selectorELNS0_4arch9wavefront6targetE1EEEvSF_,@function
_ZN7rocprim17ROCPRIM_400000_NS6detail17trampoline_kernelINS0_13kernel_configILj256ELj4ELj4294967295EEENS1_37radix_sort_block_sort_config_selectorIslEEZNS1_21radix_sort_block_sortIS4_Lb0EPsS8_N6thrust23THRUST_200600_302600_NS10device_ptrIlEESC_NS0_19identity_decomposerEEE10hipError_tT1_T2_T3_T4_jRjT5_jjP12ihipStream_tbEUlT_E_NS1_11comp_targetILNS1_3genE2ELNS1_11target_archE906ELNS1_3gpuE6ELNS1_3repE0EEENS1_44radix_sort_block_sort_config_static_selectorELNS0_4arch9wavefront6targetE1EEEvSF_: ; @_ZN7rocprim17ROCPRIM_400000_NS6detail17trampoline_kernelINS0_13kernel_configILj256ELj4ELj4294967295EEENS1_37radix_sort_block_sort_config_selectorIslEEZNS1_21radix_sort_block_sortIS4_Lb0EPsS8_N6thrust23THRUST_200600_302600_NS10device_ptrIlEESC_NS0_19identity_decomposerEEE10hipError_tT1_T2_T3_T4_jRjT5_jjP12ihipStream_tbEUlT_E_NS1_11comp_targetILNS1_3genE2ELNS1_11target_archE906ELNS1_3gpuE6ELNS1_3repE0EEENS1_44radix_sort_block_sort_config_static_selectorELNS0_4arch9wavefront6targetE1EEEvSF_
; %bb.0:
	.section	.rodata,"a",@progbits
	.p2align	6, 0x0
	.amdhsa_kernel _ZN7rocprim17ROCPRIM_400000_NS6detail17trampoline_kernelINS0_13kernel_configILj256ELj4ELj4294967295EEENS1_37radix_sort_block_sort_config_selectorIslEEZNS1_21radix_sort_block_sortIS4_Lb0EPsS8_N6thrust23THRUST_200600_302600_NS10device_ptrIlEESC_NS0_19identity_decomposerEEE10hipError_tT1_T2_T3_T4_jRjT5_jjP12ihipStream_tbEUlT_E_NS1_11comp_targetILNS1_3genE2ELNS1_11target_archE906ELNS1_3gpuE6ELNS1_3repE0EEENS1_44radix_sort_block_sort_config_static_selectorELNS0_4arch9wavefront6targetE1EEEvSF_
		.amdhsa_group_segment_fixed_size 0
		.amdhsa_private_segment_fixed_size 0
		.amdhsa_kernarg_size 48
		.amdhsa_user_sgpr_count 6
		.amdhsa_user_sgpr_private_segment_buffer 1
		.amdhsa_user_sgpr_dispatch_ptr 0
		.amdhsa_user_sgpr_queue_ptr 0
		.amdhsa_user_sgpr_kernarg_segment_ptr 1
		.amdhsa_user_sgpr_dispatch_id 0
		.amdhsa_user_sgpr_flat_scratch_init 0
		.amdhsa_user_sgpr_kernarg_preload_length 0
		.amdhsa_user_sgpr_kernarg_preload_offset 0
		.amdhsa_user_sgpr_private_segment_size 0
		.amdhsa_uses_dynamic_stack 0
		.amdhsa_system_sgpr_private_segment_wavefront_offset 0
		.amdhsa_system_sgpr_workgroup_id_x 1
		.amdhsa_system_sgpr_workgroup_id_y 0
		.amdhsa_system_sgpr_workgroup_id_z 0
		.amdhsa_system_sgpr_workgroup_info 0
		.amdhsa_system_vgpr_workitem_id 0
		.amdhsa_next_free_vgpr 1
		.amdhsa_next_free_sgpr 0
		.amdhsa_accum_offset 4
		.amdhsa_reserve_vcc 0
		.amdhsa_reserve_flat_scratch 0
		.amdhsa_float_round_mode_32 0
		.amdhsa_float_round_mode_16_64 0
		.amdhsa_float_denorm_mode_32 3
		.amdhsa_float_denorm_mode_16_64 3
		.amdhsa_dx10_clamp 1
		.amdhsa_ieee_mode 1
		.amdhsa_fp16_overflow 0
		.amdhsa_tg_split 0
		.amdhsa_exception_fp_ieee_invalid_op 0
		.amdhsa_exception_fp_denorm_src 0
		.amdhsa_exception_fp_ieee_div_zero 0
		.amdhsa_exception_fp_ieee_overflow 0
		.amdhsa_exception_fp_ieee_underflow 0
		.amdhsa_exception_fp_ieee_inexact 0
		.amdhsa_exception_int_div_zero 0
	.end_amdhsa_kernel
	.section	.text._ZN7rocprim17ROCPRIM_400000_NS6detail17trampoline_kernelINS0_13kernel_configILj256ELj4ELj4294967295EEENS1_37radix_sort_block_sort_config_selectorIslEEZNS1_21radix_sort_block_sortIS4_Lb0EPsS8_N6thrust23THRUST_200600_302600_NS10device_ptrIlEESC_NS0_19identity_decomposerEEE10hipError_tT1_T2_T3_T4_jRjT5_jjP12ihipStream_tbEUlT_E_NS1_11comp_targetILNS1_3genE2ELNS1_11target_archE906ELNS1_3gpuE6ELNS1_3repE0EEENS1_44radix_sort_block_sort_config_static_selectorELNS0_4arch9wavefront6targetE1EEEvSF_,"axG",@progbits,_ZN7rocprim17ROCPRIM_400000_NS6detail17trampoline_kernelINS0_13kernel_configILj256ELj4ELj4294967295EEENS1_37radix_sort_block_sort_config_selectorIslEEZNS1_21radix_sort_block_sortIS4_Lb0EPsS8_N6thrust23THRUST_200600_302600_NS10device_ptrIlEESC_NS0_19identity_decomposerEEE10hipError_tT1_T2_T3_T4_jRjT5_jjP12ihipStream_tbEUlT_E_NS1_11comp_targetILNS1_3genE2ELNS1_11target_archE906ELNS1_3gpuE6ELNS1_3repE0EEENS1_44radix_sort_block_sort_config_static_selectorELNS0_4arch9wavefront6targetE1EEEvSF_,comdat
.Lfunc_end1262:
	.size	_ZN7rocprim17ROCPRIM_400000_NS6detail17trampoline_kernelINS0_13kernel_configILj256ELj4ELj4294967295EEENS1_37radix_sort_block_sort_config_selectorIslEEZNS1_21radix_sort_block_sortIS4_Lb0EPsS8_N6thrust23THRUST_200600_302600_NS10device_ptrIlEESC_NS0_19identity_decomposerEEE10hipError_tT1_T2_T3_T4_jRjT5_jjP12ihipStream_tbEUlT_E_NS1_11comp_targetILNS1_3genE2ELNS1_11target_archE906ELNS1_3gpuE6ELNS1_3repE0EEENS1_44radix_sort_block_sort_config_static_selectorELNS0_4arch9wavefront6targetE1EEEvSF_, .Lfunc_end1262-_ZN7rocprim17ROCPRIM_400000_NS6detail17trampoline_kernelINS0_13kernel_configILj256ELj4ELj4294967295EEENS1_37radix_sort_block_sort_config_selectorIslEEZNS1_21radix_sort_block_sortIS4_Lb0EPsS8_N6thrust23THRUST_200600_302600_NS10device_ptrIlEESC_NS0_19identity_decomposerEEE10hipError_tT1_T2_T3_T4_jRjT5_jjP12ihipStream_tbEUlT_E_NS1_11comp_targetILNS1_3genE2ELNS1_11target_archE906ELNS1_3gpuE6ELNS1_3repE0EEENS1_44radix_sort_block_sort_config_static_selectorELNS0_4arch9wavefront6targetE1EEEvSF_
                                        ; -- End function
	.section	.AMDGPU.csdata,"",@progbits
; Kernel info:
; codeLenInByte = 0
; NumSgprs: 4
; NumVgprs: 0
; NumAgprs: 0
; TotalNumVgprs: 0
; ScratchSize: 0
; MemoryBound: 0
; FloatMode: 240
; IeeeMode: 1
; LDSByteSize: 0 bytes/workgroup (compile time only)
; SGPRBlocks: 0
; VGPRBlocks: 0
; NumSGPRsForWavesPerEU: 4
; NumVGPRsForWavesPerEU: 1
; AccumOffset: 4
; Occupancy: 8
; WaveLimiterHint : 0
; COMPUTE_PGM_RSRC2:SCRATCH_EN: 0
; COMPUTE_PGM_RSRC2:USER_SGPR: 6
; COMPUTE_PGM_RSRC2:TRAP_HANDLER: 0
; COMPUTE_PGM_RSRC2:TGID_X_EN: 1
; COMPUTE_PGM_RSRC2:TGID_Y_EN: 0
; COMPUTE_PGM_RSRC2:TGID_Z_EN: 0
; COMPUTE_PGM_RSRC2:TIDIG_COMP_CNT: 0
; COMPUTE_PGM_RSRC3_GFX90A:ACCUM_OFFSET: 0
; COMPUTE_PGM_RSRC3_GFX90A:TG_SPLIT: 0
	.section	.text._ZN7rocprim17ROCPRIM_400000_NS6detail17trampoline_kernelINS0_13kernel_configILj256ELj4ELj4294967295EEENS1_37radix_sort_block_sort_config_selectorIslEEZNS1_21radix_sort_block_sortIS4_Lb0EPsS8_N6thrust23THRUST_200600_302600_NS10device_ptrIlEESC_NS0_19identity_decomposerEEE10hipError_tT1_T2_T3_T4_jRjT5_jjP12ihipStream_tbEUlT_E_NS1_11comp_targetILNS1_3genE10ELNS1_11target_archE1201ELNS1_3gpuE5ELNS1_3repE0EEENS1_44radix_sort_block_sort_config_static_selectorELNS0_4arch9wavefront6targetE1EEEvSF_,"axG",@progbits,_ZN7rocprim17ROCPRIM_400000_NS6detail17trampoline_kernelINS0_13kernel_configILj256ELj4ELj4294967295EEENS1_37radix_sort_block_sort_config_selectorIslEEZNS1_21radix_sort_block_sortIS4_Lb0EPsS8_N6thrust23THRUST_200600_302600_NS10device_ptrIlEESC_NS0_19identity_decomposerEEE10hipError_tT1_T2_T3_T4_jRjT5_jjP12ihipStream_tbEUlT_E_NS1_11comp_targetILNS1_3genE10ELNS1_11target_archE1201ELNS1_3gpuE5ELNS1_3repE0EEENS1_44radix_sort_block_sort_config_static_selectorELNS0_4arch9wavefront6targetE1EEEvSF_,comdat
	.protected	_ZN7rocprim17ROCPRIM_400000_NS6detail17trampoline_kernelINS0_13kernel_configILj256ELj4ELj4294967295EEENS1_37radix_sort_block_sort_config_selectorIslEEZNS1_21radix_sort_block_sortIS4_Lb0EPsS8_N6thrust23THRUST_200600_302600_NS10device_ptrIlEESC_NS0_19identity_decomposerEEE10hipError_tT1_T2_T3_T4_jRjT5_jjP12ihipStream_tbEUlT_E_NS1_11comp_targetILNS1_3genE10ELNS1_11target_archE1201ELNS1_3gpuE5ELNS1_3repE0EEENS1_44radix_sort_block_sort_config_static_selectorELNS0_4arch9wavefront6targetE1EEEvSF_ ; -- Begin function _ZN7rocprim17ROCPRIM_400000_NS6detail17trampoline_kernelINS0_13kernel_configILj256ELj4ELj4294967295EEENS1_37radix_sort_block_sort_config_selectorIslEEZNS1_21radix_sort_block_sortIS4_Lb0EPsS8_N6thrust23THRUST_200600_302600_NS10device_ptrIlEESC_NS0_19identity_decomposerEEE10hipError_tT1_T2_T3_T4_jRjT5_jjP12ihipStream_tbEUlT_E_NS1_11comp_targetILNS1_3genE10ELNS1_11target_archE1201ELNS1_3gpuE5ELNS1_3repE0EEENS1_44radix_sort_block_sort_config_static_selectorELNS0_4arch9wavefront6targetE1EEEvSF_
	.globl	_ZN7rocprim17ROCPRIM_400000_NS6detail17trampoline_kernelINS0_13kernel_configILj256ELj4ELj4294967295EEENS1_37radix_sort_block_sort_config_selectorIslEEZNS1_21radix_sort_block_sortIS4_Lb0EPsS8_N6thrust23THRUST_200600_302600_NS10device_ptrIlEESC_NS0_19identity_decomposerEEE10hipError_tT1_T2_T3_T4_jRjT5_jjP12ihipStream_tbEUlT_E_NS1_11comp_targetILNS1_3genE10ELNS1_11target_archE1201ELNS1_3gpuE5ELNS1_3repE0EEENS1_44radix_sort_block_sort_config_static_selectorELNS0_4arch9wavefront6targetE1EEEvSF_
	.p2align	8
	.type	_ZN7rocprim17ROCPRIM_400000_NS6detail17trampoline_kernelINS0_13kernel_configILj256ELj4ELj4294967295EEENS1_37radix_sort_block_sort_config_selectorIslEEZNS1_21radix_sort_block_sortIS4_Lb0EPsS8_N6thrust23THRUST_200600_302600_NS10device_ptrIlEESC_NS0_19identity_decomposerEEE10hipError_tT1_T2_T3_T4_jRjT5_jjP12ihipStream_tbEUlT_E_NS1_11comp_targetILNS1_3genE10ELNS1_11target_archE1201ELNS1_3gpuE5ELNS1_3repE0EEENS1_44radix_sort_block_sort_config_static_selectorELNS0_4arch9wavefront6targetE1EEEvSF_,@function
_ZN7rocprim17ROCPRIM_400000_NS6detail17trampoline_kernelINS0_13kernel_configILj256ELj4ELj4294967295EEENS1_37radix_sort_block_sort_config_selectorIslEEZNS1_21radix_sort_block_sortIS4_Lb0EPsS8_N6thrust23THRUST_200600_302600_NS10device_ptrIlEESC_NS0_19identity_decomposerEEE10hipError_tT1_T2_T3_T4_jRjT5_jjP12ihipStream_tbEUlT_E_NS1_11comp_targetILNS1_3genE10ELNS1_11target_archE1201ELNS1_3gpuE5ELNS1_3repE0EEENS1_44radix_sort_block_sort_config_static_selectorELNS0_4arch9wavefront6targetE1EEEvSF_: ; @_ZN7rocprim17ROCPRIM_400000_NS6detail17trampoline_kernelINS0_13kernel_configILj256ELj4ELj4294967295EEENS1_37radix_sort_block_sort_config_selectorIslEEZNS1_21radix_sort_block_sortIS4_Lb0EPsS8_N6thrust23THRUST_200600_302600_NS10device_ptrIlEESC_NS0_19identity_decomposerEEE10hipError_tT1_T2_T3_T4_jRjT5_jjP12ihipStream_tbEUlT_E_NS1_11comp_targetILNS1_3genE10ELNS1_11target_archE1201ELNS1_3gpuE5ELNS1_3repE0EEENS1_44radix_sort_block_sort_config_static_selectorELNS0_4arch9wavefront6targetE1EEEvSF_
; %bb.0:
	.section	.rodata,"a",@progbits
	.p2align	6, 0x0
	.amdhsa_kernel _ZN7rocprim17ROCPRIM_400000_NS6detail17trampoline_kernelINS0_13kernel_configILj256ELj4ELj4294967295EEENS1_37radix_sort_block_sort_config_selectorIslEEZNS1_21radix_sort_block_sortIS4_Lb0EPsS8_N6thrust23THRUST_200600_302600_NS10device_ptrIlEESC_NS0_19identity_decomposerEEE10hipError_tT1_T2_T3_T4_jRjT5_jjP12ihipStream_tbEUlT_E_NS1_11comp_targetILNS1_3genE10ELNS1_11target_archE1201ELNS1_3gpuE5ELNS1_3repE0EEENS1_44radix_sort_block_sort_config_static_selectorELNS0_4arch9wavefront6targetE1EEEvSF_
		.amdhsa_group_segment_fixed_size 0
		.amdhsa_private_segment_fixed_size 0
		.amdhsa_kernarg_size 48
		.amdhsa_user_sgpr_count 6
		.amdhsa_user_sgpr_private_segment_buffer 1
		.amdhsa_user_sgpr_dispatch_ptr 0
		.amdhsa_user_sgpr_queue_ptr 0
		.amdhsa_user_sgpr_kernarg_segment_ptr 1
		.amdhsa_user_sgpr_dispatch_id 0
		.amdhsa_user_sgpr_flat_scratch_init 0
		.amdhsa_user_sgpr_kernarg_preload_length 0
		.amdhsa_user_sgpr_kernarg_preload_offset 0
		.amdhsa_user_sgpr_private_segment_size 0
		.amdhsa_uses_dynamic_stack 0
		.amdhsa_system_sgpr_private_segment_wavefront_offset 0
		.amdhsa_system_sgpr_workgroup_id_x 1
		.amdhsa_system_sgpr_workgroup_id_y 0
		.amdhsa_system_sgpr_workgroup_id_z 0
		.amdhsa_system_sgpr_workgroup_info 0
		.amdhsa_system_vgpr_workitem_id 0
		.amdhsa_next_free_vgpr 1
		.amdhsa_next_free_sgpr 0
		.amdhsa_accum_offset 4
		.amdhsa_reserve_vcc 0
		.amdhsa_reserve_flat_scratch 0
		.amdhsa_float_round_mode_32 0
		.amdhsa_float_round_mode_16_64 0
		.amdhsa_float_denorm_mode_32 3
		.amdhsa_float_denorm_mode_16_64 3
		.amdhsa_dx10_clamp 1
		.amdhsa_ieee_mode 1
		.amdhsa_fp16_overflow 0
		.amdhsa_tg_split 0
		.amdhsa_exception_fp_ieee_invalid_op 0
		.amdhsa_exception_fp_denorm_src 0
		.amdhsa_exception_fp_ieee_div_zero 0
		.amdhsa_exception_fp_ieee_overflow 0
		.amdhsa_exception_fp_ieee_underflow 0
		.amdhsa_exception_fp_ieee_inexact 0
		.amdhsa_exception_int_div_zero 0
	.end_amdhsa_kernel
	.section	.text._ZN7rocprim17ROCPRIM_400000_NS6detail17trampoline_kernelINS0_13kernel_configILj256ELj4ELj4294967295EEENS1_37radix_sort_block_sort_config_selectorIslEEZNS1_21radix_sort_block_sortIS4_Lb0EPsS8_N6thrust23THRUST_200600_302600_NS10device_ptrIlEESC_NS0_19identity_decomposerEEE10hipError_tT1_T2_T3_T4_jRjT5_jjP12ihipStream_tbEUlT_E_NS1_11comp_targetILNS1_3genE10ELNS1_11target_archE1201ELNS1_3gpuE5ELNS1_3repE0EEENS1_44radix_sort_block_sort_config_static_selectorELNS0_4arch9wavefront6targetE1EEEvSF_,"axG",@progbits,_ZN7rocprim17ROCPRIM_400000_NS6detail17trampoline_kernelINS0_13kernel_configILj256ELj4ELj4294967295EEENS1_37radix_sort_block_sort_config_selectorIslEEZNS1_21radix_sort_block_sortIS4_Lb0EPsS8_N6thrust23THRUST_200600_302600_NS10device_ptrIlEESC_NS0_19identity_decomposerEEE10hipError_tT1_T2_T3_T4_jRjT5_jjP12ihipStream_tbEUlT_E_NS1_11comp_targetILNS1_3genE10ELNS1_11target_archE1201ELNS1_3gpuE5ELNS1_3repE0EEENS1_44radix_sort_block_sort_config_static_selectorELNS0_4arch9wavefront6targetE1EEEvSF_,comdat
.Lfunc_end1263:
	.size	_ZN7rocprim17ROCPRIM_400000_NS6detail17trampoline_kernelINS0_13kernel_configILj256ELj4ELj4294967295EEENS1_37radix_sort_block_sort_config_selectorIslEEZNS1_21radix_sort_block_sortIS4_Lb0EPsS8_N6thrust23THRUST_200600_302600_NS10device_ptrIlEESC_NS0_19identity_decomposerEEE10hipError_tT1_T2_T3_T4_jRjT5_jjP12ihipStream_tbEUlT_E_NS1_11comp_targetILNS1_3genE10ELNS1_11target_archE1201ELNS1_3gpuE5ELNS1_3repE0EEENS1_44radix_sort_block_sort_config_static_selectorELNS0_4arch9wavefront6targetE1EEEvSF_, .Lfunc_end1263-_ZN7rocprim17ROCPRIM_400000_NS6detail17trampoline_kernelINS0_13kernel_configILj256ELj4ELj4294967295EEENS1_37radix_sort_block_sort_config_selectorIslEEZNS1_21radix_sort_block_sortIS4_Lb0EPsS8_N6thrust23THRUST_200600_302600_NS10device_ptrIlEESC_NS0_19identity_decomposerEEE10hipError_tT1_T2_T3_T4_jRjT5_jjP12ihipStream_tbEUlT_E_NS1_11comp_targetILNS1_3genE10ELNS1_11target_archE1201ELNS1_3gpuE5ELNS1_3repE0EEENS1_44radix_sort_block_sort_config_static_selectorELNS0_4arch9wavefront6targetE1EEEvSF_
                                        ; -- End function
	.section	.AMDGPU.csdata,"",@progbits
; Kernel info:
; codeLenInByte = 0
; NumSgprs: 4
; NumVgprs: 0
; NumAgprs: 0
; TotalNumVgprs: 0
; ScratchSize: 0
; MemoryBound: 0
; FloatMode: 240
; IeeeMode: 1
; LDSByteSize: 0 bytes/workgroup (compile time only)
; SGPRBlocks: 0
; VGPRBlocks: 0
; NumSGPRsForWavesPerEU: 4
; NumVGPRsForWavesPerEU: 1
; AccumOffset: 4
; Occupancy: 8
; WaveLimiterHint : 0
; COMPUTE_PGM_RSRC2:SCRATCH_EN: 0
; COMPUTE_PGM_RSRC2:USER_SGPR: 6
; COMPUTE_PGM_RSRC2:TRAP_HANDLER: 0
; COMPUTE_PGM_RSRC2:TGID_X_EN: 1
; COMPUTE_PGM_RSRC2:TGID_Y_EN: 0
; COMPUTE_PGM_RSRC2:TGID_Z_EN: 0
; COMPUTE_PGM_RSRC2:TIDIG_COMP_CNT: 0
; COMPUTE_PGM_RSRC3_GFX90A:ACCUM_OFFSET: 0
; COMPUTE_PGM_RSRC3_GFX90A:TG_SPLIT: 0
	.section	.text._ZN7rocprim17ROCPRIM_400000_NS6detail17trampoline_kernelINS0_13kernel_configILj256ELj4ELj4294967295EEENS1_37radix_sort_block_sort_config_selectorIslEEZNS1_21radix_sort_block_sortIS4_Lb0EPsS8_N6thrust23THRUST_200600_302600_NS10device_ptrIlEESC_NS0_19identity_decomposerEEE10hipError_tT1_T2_T3_T4_jRjT5_jjP12ihipStream_tbEUlT_E_NS1_11comp_targetILNS1_3genE10ELNS1_11target_archE1200ELNS1_3gpuE4ELNS1_3repE0EEENS1_44radix_sort_block_sort_config_static_selectorELNS0_4arch9wavefront6targetE1EEEvSF_,"axG",@progbits,_ZN7rocprim17ROCPRIM_400000_NS6detail17trampoline_kernelINS0_13kernel_configILj256ELj4ELj4294967295EEENS1_37radix_sort_block_sort_config_selectorIslEEZNS1_21radix_sort_block_sortIS4_Lb0EPsS8_N6thrust23THRUST_200600_302600_NS10device_ptrIlEESC_NS0_19identity_decomposerEEE10hipError_tT1_T2_T3_T4_jRjT5_jjP12ihipStream_tbEUlT_E_NS1_11comp_targetILNS1_3genE10ELNS1_11target_archE1200ELNS1_3gpuE4ELNS1_3repE0EEENS1_44radix_sort_block_sort_config_static_selectorELNS0_4arch9wavefront6targetE1EEEvSF_,comdat
	.protected	_ZN7rocprim17ROCPRIM_400000_NS6detail17trampoline_kernelINS0_13kernel_configILj256ELj4ELj4294967295EEENS1_37radix_sort_block_sort_config_selectorIslEEZNS1_21radix_sort_block_sortIS4_Lb0EPsS8_N6thrust23THRUST_200600_302600_NS10device_ptrIlEESC_NS0_19identity_decomposerEEE10hipError_tT1_T2_T3_T4_jRjT5_jjP12ihipStream_tbEUlT_E_NS1_11comp_targetILNS1_3genE10ELNS1_11target_archE1200ELNS1_3gpuE4ELNS1_3repE0EEENS1_44radix_sort_block_sort_config_static_selectorELNS0_4arch9wavefront6targetE1EEEvSF_ ; -- Begin function _ZN7rocprim17ROCPRIM_400000_NS6detail17trampoline_kernelINS0_13kernel_configILj256ELj4ELj4294967295EEENS1_37radix_sort_block_sort_config_selectorIslEEZNS1_21radix_sort_block_sortIS4_Lb0EPsS8_N6thrust23THRUST_200600_302600_NS10device_ptrIlEESC_NS0_19identity_decomposerEEE10hipError_tT1_T2_T3_T4_jRjT5_jjP12ihipStream_tbEUlT_E_NS1_11comp_targetILNS1_3genE10ELNS1_11target_archE1200ELNS1_3gpuE4ELNS1_3repE0EEENS1_44radix_sort_block_sort_config_static_selectorELNS0_4arch9wavefront6targetE1EEEvSF_
	.globl	_ZN7rocprim17ROCPRIM_400000_NS6detail17trampoline_kernelINS0_13kernel_configILj256ELj4ELj4294967295EEENS1_37radix_sort_block_sort_config_selectorIslEEZNS1_21radix_sort_block_sortIS4_Lb0EPsS8_N6thrust23THRUST_200600_302600_NS10device_ptrIlEESC_NS0_19identity_decomposerEEE10hipError_tT1_T2_T3_T4_jRjT5_jjP12ihipStream_tbEUlT_E_NS1_11comp_targetILNS1_3genE10ELNS1_11target_archE1200ELNS1_3gpuE4ELNS1_3repE0EEENS1_44radix_sort_block_sort_config_static_selectorELNS0_4arch9wavefront6targetE1EEEvSF_
	.p2align	8
	.type	_ZN7rocprim17ROCPRIM_400000_NS6detail17trampoline_kernelINS0_13kernel_configILj256ELj4ELj4294967295EEENS1_37radix_sort_block_sort_config_selectorIslEEZNS1_21radix_sort_block_sortIS4_Lb0EPsS8_N6thrust23THRUST_200600_302600_NS10device_ptrIlEESC_NS0_19identity_decomposerEEE10hipError_tT1_T2_T3_T4_jRjT5_jjP12ihipStream_tbEUlT_E_NS1_11comp_targetILNS1_3genE10ELNS1_11target_archE1200ELNS1_3gpuE4ELNS1_3repE0EEENS1_44radix_sort_block_sort_config_static_selectorELNS0_4arch9wavefront6targetE1EEEvSF_,@function
_ZN7rocprim17ROCPRIM_400000_NS6detail17trampoline_kernelINS0_13kernel_configILj256ELj4ELj4294967295EEENS1_37radix_sort_block_sort_config_selectorIslEEZNS1_21radix_sort_block_sortIS4_Lb0EPsS8_N6thrust23THRUST_200600_302600_NS10device_ptrIlEESC_NS0_19identity_decomposerEEE10hipError_tT1_T2_T3_T4_jRjT5_jjP12ihipStream_tbEUlT_E_NS1_11comp_targetILNS1_3genE10ELNS1_11target_archE1200ELNS1_3gpuE4ELNS1_3repE0EEENS1_44radix_sort_block_sort_config_static_selectorELNS0_4arch9wavefront6targetE1EEEvSF_: ; @_ZN7rocprim17ROCPRIM_400000_NS6detail17trampoline_kernelINS0_13kernel_configILj256ELj4ELj4294967295EEENS1_37radix_sort_block_sort_config_selectorIslEEZNS1_21radix_sort_block_sortIS4_Lb0EPsS8_N6thrust23THRUST_200600_302600_NS10device_ptrIlEESC_NS0_19identity_decomposerEEE10hipError_tT1_T2_T3_T4_jRjT5_jjP12ihipStream_tbEUlT_E_NS1_11comp_targetILNS1_3genE10ELNS1_11target_archE1200ELNS1_3gpuE4ELNS1_3repE0EEENS1_44radix_sort_block_sort_config_static_selectorELNS0_4arch9wavefront6targetE1EEEvSF_
; %bb.0:
	.section	.rodata,"a",@progbits
	.p2align	6, 0x0
	.amdhsa_kernel _ZN7rocprim17ROCPRIM_400000_NS6detail17trampoline_kernelINS0_13kernel_configILj256ELj4ELj4294967295EEENS1_37radix_sort_block_sort_config_selectorIslEEZNS1_21radix_sort_block_sortIS4_Lb0EPsS8_N6thrust23THRUST_200600_302600_NS10device_ptrIlEESC_NS0_19identity_decomposerEEE10hipError_tT1_T2_T3_T4_jRjT5_jjP12ihipStream_tbEUlT_E_NS1_11comp_targetILNS1_3genE10ELNS1_11target_archE1200ELNS1_3gpuE4ELNS1_3repE0EEENS1_44radix_sort_block_sort_config_static_selectorELNS0_4arch9wavefront6targetE1EEEvSF_
		.amdhsa_group_segment_fixed_size 0
		.amdhsa_private_segment_fixed_size 0
		.amdhsa_kernarg_size 48
		.amdhsa_user_sgpr_count 6
		.amdhsa_user_sgpr_private_segment_buffer 1
		.amdhsa_user_sgpr_dispatch_ptr 0
		.amdhsa_user_sgpr_queue_ptr 0
		.amdhsa_user_sgpr_kernarg_segment_ptr 1
		.amdhsa_user_sgpr_dispatch_id 0
		.amdhsa_user_sgpr_flat_scratch_init 0
		.amdhsa_user_sgpr_kernarg_preload_length 0
		.amdhsa_user_sgpr_kernarg_preload_offset 0
		.amdhsa_user_sgpr_private_segment_size 0
		.amdhsa_uses_dynamic_stack 0
		.amdhsa_system_sgpr_private_segment_wavefront_offset 0
		.amdhsa_system_sgpr_workgroup_id_x 1
		.amdhsa_system_sgpr_workgroup_id_y 0
		.amdhsa_system_sgpr_workgroup_id_z 0
		.amdhsa_system_sgpr_workgroup_info 0
		.amdhsa_system_vgpr_workitem_id 0
		.amdhsa_next_free_vgpr 1
		.amdhsa_next_free_sgpr 0
		.amdhsa_accum_offset 4
		.amdhsa_reserve_vcc 0
		.amdhsa_reserve_flat_scratch 0
		.amdhsa_float_round_mode_32 0
		.amdhsa_float_round_mode_16_64 0
		.amdhsa_float_denorm_mode_32 3
		.amdhsa_float_denorm_mode_16_64 3
		.amdhsa_dx10_clamp 1
		.amdhsa_ieee_mode 1
		.amdhsa_fp16_overflow 0
		.amdhsa_tg_split 0
		.amdhsa_exception_fp_ieee_invalid_op 0
		.amdhsa_exception_fp_denorm_src 0
		.amdhsa_exception_fp_ieee_div_zero 0
		.amdhsa_exception_fp_ieee_overflow 0
		.amdhsa_exception_fp_ieee_underflow 0
		.amdhsa_exception_fp_ieee_inexact 0
		.amdhsa_exception_int_div_zero 0
	.end_amdhsa_kernel
	.section	.text._ZN7rocprim17ROCPRIM_400000_NS6detail17trampoline_kernelINS0_13kernel_configILj256ELj4ELj4294967295EEENS1_37radix_sort_block_sort_config_selectorIslEEZNS1_21radix_sort_block_sortIS4_Lb0EPsS8_N6thrust23THRUST_200600_302600_NS10device_ptrIlEESC_NS0_19identity_decomposerEEE10hipError_tT1_T2_T3_T4_jRjT5_jjP12ihipStream_tbEUlT_E_NS1_11comp_targetILNS1_3genE10ELNS1_11target_archE1200ELNS1_3gpuE4ELNS1_3repE0EEENS1_44radix_sort_block_sort_config_static_selectorELNS0_4arch9wavefront6targetE1EEEvSF_,"axG",@progbits,_ZN7rocprim17ROCPRIM_400000_NS6detail17trampoline_kernelINS0_13kernel_configILj256ELj4ELj4294967295EEENS1_37radix_sort_block_sort_config_selectorIslEEZNS1_21radix_sort_block_sortIS4_Lb0EPsS8_N6thrust23THRUST_200600_302600_NS10device_ptrIlEESC_NS0_19identity_decomposerEEE10hipError_tT1_T2_T3_T4_jRjT5_jjP12ihipStream_tbEUlT_E_NS1_11comp_targetILNS1_3genE10ELNS1_11target_archE1200ELNS1_3gpuE4ELNS1_3repE0EEENS1_44radix_sort_block_sort_config_static_selectorELNS0_4arch9wavefront6targetE1EEEvSF_,comdat
.Lfunc_end1264:
	.size	_ZN7rocprim17ROCPRIM_400000_NS6detail17trampoline_kernelINS0_13kernel_configILj256ELj4ELj4294967295EEENS1_37radix_sort_block_sort_config_selectorIslEEZNS1_21radix_sort_block_sortIS4_Lb0EPsS8_N6thrust23THRUST_200600_302600_NS10device_ptrIlEESC_NS0_19identity_decomposerEEE10hipError_tT1_T2_T3_T4_jRjT5_jjP12ihipStream_tbEUlT_E_NS1_11comp_targetILNS1_3genE10ELNS1_11target_archE1200ELNS1_3gpuE4ELNS1_3repE0EEENS1_44radix_sort_block_sort_config_static_selectorELNS0_4arch9wavefront6targetE1EEEvSF_, .Lfunc_end1264-_ZN7rocprim17ROCPRIM_400000_NS6detail17trampoline_kernelINS0_13kernel_configILj256ELj4ELj4294967295EEENS1_37radix_sort_block_sort_config_selectorIslEEZNS1_21radix_sort_block_sortIS4_Lb0EPsS8_N6thrust23THRUST_200600_302600_NS10device_ptrIlEESC_NS0_19identity_decomposerEEE10hipError_tT1_T2_T3_T4_jRjT5_jjP12ihipStream_tbEUlT_E_NS1_11comp_targetILNS1_3genE10ELNS1_11target_archE1200ELNS1_3gpuE4ELNS1_3repE0EEENS1_44radix_sort_block_sort_config_static_selectorELNS0_4arch9wavefront6targetE1EEEvSF_
                                        ; -- End function
	.section	.AMDGPU.csdata,"",@progbits
; Kernel info:
; codeLenInByte = 0
; NumSgprs: 4
; NumVgprs: 0
; NumAgprs: 0
; TotalNumVgprs: 0
; ScratchSize: 0
; MemoryBound: 0
; FloatMode: 240
; IeeeMode: 1
; LDSByteSize: 0 bytes/workgroup (compile time only)
; SGPRBlocks: 0
; VGPRBlocks: 0
; NumSGPRsForWavesPerEU: 4
; NumVGPRsForWavesPerEU: 1
; AccumOffset: 4
; Occupancy: 8
; WaveLimiterHint : 0
; COMPUTE_PGM_RSRC2:SCRATCH_EN: 0
; COMPUTE_PGM_RSRC2:USER_SGPR: 6
; COMPUTE_PGM_RSRC2:TRAP_HANDLER: 0
; COMPUTE_PGM_RSRC2:TGID_X_EN: 1
; COMPUTE_PGM_RSRC2:TGID_Y_EN: 0
; COMPUTE_PGM_RSRC2:TGID_Z_EN: 0
; COMPUTE_PGM_RSRC2:TIDIG_COMP_CNT: 0
; COMPUTE_PGM_RSRC3_GFX90A:ACCUM_OFFSET: 0
; COMPUTE_PGM_RSRC3_GFX90A:TG_SPLIT: 0
	.section	.text._ZN7rocprim17ROCPRIM_400000_NS6detail17trampoline_kernelINS0_13kernel_configILj256ELj4ELj4294967295EEENS1_37radix_sort_block_sort_config_selectorIslEEZNS1_21radix_sort_block_sortIS4_Lb0EPsS8_N6thrust23THRUST_200600_302600_NS10device_ptrIlEESC_NS0_19identity_decomposerEEE10hipError_tT1_T2_T3_T4_jRjT5_jjP12ihipStream_tbEUlT_E_NS1_11comp_targetILNS1_3genE9ELNS1_11target_archE1100ELNS1_3gpuE3ELNS1_3repE0EEENS1_44radix_sort_block_sort_config_static_selectorELNS0_4arch9wavefront6targetE1EEEvSF_,"axG",@progbits,_ZN7rocprim17ROCPRIM_400000_NS6detail17trampoline_kernelINS0_13kernel_configILj256ELj4ELj4294967295EEENS1_37radix_sort_block_sort_config_selectorIslEEZNS1_21radix_sort_block_sortIS4_Lb0EPsS8_N6thrust23THRUST_200600_302600_NS10device_ptrIlEESC_NS0_19identity_decomposerEEE10hipError_tT1_T2_T3_T4_jRjT5_jjP12ihipStream_tbEUlT_E_NS1_11comp_targetILNS1_3genE9ELNS1_11target_archE1100ELNS1_3gpuE3ELNS1_3repE0EEENS1_44radix_sort_block_sort_config_static_selectorELNS0_4arch9wavefront6targetE1EEEvSF_,comdat
	.protected	_ZN7rocprim17ROCPRIM_400000_NS6detail17trampoline_kernelINS0_13kernel_configILj256ELj4ELj4294967295EEENS1_37radix_sort_block_sort_config_selectorIslEEZNS1_21radix_sort_block_sortIS4_Lb0EPsS8_N6thrust23THRUST_200600_302600_NS10device_ptrIlEESC_NS0_19identity_decomposerEEE10hipError_tT1_T2_T3_T4_jRjT5_jjP12ihipStream_tbEUlT_E_NS1_11comp_targetILNS1_3genE9ELNS1_11target_archE1100ELNS1_3gpuE3ELNS1_3repE0EEENS1_44radix_sort_block_sort_config_static_selectorELNS0_4arch9wavefront6targetE1EEEvSF_ ; -- Begin function _ZN7rocprim17ROCPRIM_400000_NS6detail17trampoline_kernelINS0_13kernel_configILj256ELj4ELj4294967295EEENS1_37radix_sort_block_sort_config_selectorIslEEZNS1_21radix_sort_block_sortIS4_Lb0EPsS8_N6thrust23THRUST_200600_302600_NS10device_ptrIlEESC_NS0_19identity_decomposerEEE10hipError_tT1_T2_T3_T4_jRjT5_jjP12ihipStream_tbEUlT_E_NS1_11comp_targetILNS1_3genE9ELNS1_11target_archE1100ELNS1_3gpuE3ELNS1_3repE0EEENS1_44radix_sort_block_sort_config_static_selectorELNS0_4arch9wavefront6targetE1EEEvSF_
	.globl	_ZN7rocprim17ROCPRIM_400000_NS6detail17trampoline_kernelINS0_13kernel_configILj256ELj4ELj4294967295EEENS1_37radix_sort_block_sort_config_selectorIslEEZNS1_21radix_sort_block_sortIS4_Lb0EPsS8_N6thrust23THRUST_200600_302600_NS10device_ptrIlEESC_NS0_19identity_decomposerEEE10hipError_tT1_T2_T3_T4_jRjT5_jjP12ihipStream_tbEUlT_E_NS1_11comp_targetILNS1_3genE9ELNS1_11target_archE1100ELNS1_3gpuE3ELNS1_3repE0EEENS1_44radix_sort_block_sort_config_static_selectorELNS0_4arch9wavefront6targetE1EEEvSF_
	.p2align	8
	.type	_ZN7rocprim17ROCPRIM_400000_NS6detail17trampoline_kernelINS0_13kernel_configILj256ELj4ELj4294967295EEENS1_37radix_sort_block_sort_config_selectorIslEEZNS1_21radix_sort_block_sortIS4_Lb0EPsS8_N6thrust23THRUST_200600_302600_NS10device_ptrIlEESC_NS0_19identity_decomposerEEE10hipError_tT1_T2_T3_T4_jRjT5_jjP12ihipStream_tbEUlT_E_NS1_11comp_targetILNS1_3genE9ELNS1_11target_archE1100ELNS1_3gpuE3ELNS1_3repE0EEENS1_44radix_sort_block_sort_config_static_selectorELNS0_4arch9wavefront6targetE1EEEvSF_,@function
_ZN7rocprim17ROCPRIM_400000_NS6detail17trampoline_kernelINS0_13kernel_configILj256ELj4ELj4294967295EEENS1_37radix_sort_block_sort_config_selectorIslEEZNS1_21radix_sort_block_sortIS4_Lb0EPsS8_N6thrust23THRUST_200600_302600_NS10device_ptrIlEESC_NS0_19identity_decomposerEEE10hipError_tT1_T2_T3_T4_jRjT5_jjP12ihipStream_tbEUlT_E_NS1_11comp_targetILNS1_3genE9ELNS1_11target_archE1100ELNS1_3gpuE3ELNS1_3repE0EEENS1_44radix_sort_block_sort_config_static_selectorELNS0_4arch9wavefront6targetE1EEEvSF_: ; @_ZN7rocprim17ROCPRIM_400000_NS6detail17trampoline_kernelINS0_13kernel_configILj256ELj4ELj4294967295EEENS1_37radix_sort_block_sort_config_selectorIslEEZNS1_21radix_sort_block_sortIS4_Lb0EPsS8_N6thrust23THRUST_200600_302600_NS10device_ptrIlEESC_NS0_19identity_decomposerEEE10hipError_tT1_T2_T3_T4_jRjT5_jjP12ihipStream_tbEUlT_E_NS1_11comp_targetILNS1_3genE9ELNS1_11target_archE1100ELNS1_3gpuE3ELNS1_3repE0EEENS1_44radix_sort_block_sort_config_static_selectorELNS0_4arch9wavefront6targetE1EEEvSF_
; %bb.0:
	.section	.rodata,"a",@progbits
	.p2align	6, 0x0
	.amdhsa_kernel _ZN7rocprim17ROCPRIM_400000_NS6detail17trampoline_kernelINS0_13kernel_configILj256ELj4ELj4294967295EEENS1_37radix_sort_block_sort_config_selectorIslEEZNS1_21radix_sort_block_sortIS4_Lb0EPsS8_N6thrust23THRUST_200600_302600_NS10device_ptrIlEESC_NS0_19identity_decomposerEEE10hipError_tT1_T2_T3_T4_jRjT5_jjP12ihipStream_tbEUlT_E_NS1_11comp_targetILNS1_3genE9ELNS1_11target_archE1100ELNS1_3gpuE3ELNS1_3repE0EEENS1_44radix_sort_block_sort_config_static_selectorELNS0_4arch9wavefront6targetE1EEEvSF_
		.amdhsa_group_segment_fixed_size 0
		.amdhsa_private_segment_fixed_size 0
		.amdhsa_kernarg_size 48
		.amdhsa_user_sgpr_count 6
		.amdhsa_user_sgpr_private_segment_buffer 1
		.amdhsa_user_sgpr_dispatch_ptr 0
		.amdhsa_user_sgpr_queue_ptr 0
		.amdhsa_user_sgpr_kernarg_segment_ptr 1
		.amdhsa_user_sgpr_dispatch_id 0
		.amdhsa_user_sgpr_flat_scratch_init 0
		.amdhsa_user_sgpr_kernarg_preload_length 0
		.amdhsa_user_sgpr_kernarg_preload_offset 0
		.amdhsa_user_sgpr_private_segment_size 0
		.amdhsa_uses_dynamic_stack 0
		.amdhsa_system_sgpr_private_segment_wavefront_offset 0
		.amdhsa_system_sgpr_workgroup_id_x 1
		.amdhsa_system_sgpr_workgroup_id_y 0
		.amdhsa_system_sgpr_workgroup_id_z 0
		.amdhsa_system_sgpr_workgroup_info 0
		.amdhsa_system_vgpr_workitem_id 0
		.amdhsa_next_free_vgpr 1
		.amdhsa_next_free_sgpr 0
		.amdhsa_accum_offset 4
		.amdhsa_reserve_vcc 0
		.amdhsa_reserve_flat_scratch 0
		.amdhsa_float_round_mode_32 0
		.amdhsa_float_round_mode_16_64 0
		.amdhsa_float_denorm_mode_32 3
		.amdhsa_float_denorm_mode_16_64 3
		.amdhsa_dx10_clamp 1
		.amdhsa_ieee_mode 1
		.amdhsa_fp16_overflow 0
		.amdhsa_tg_split 0
		.amdhsa_exception_fp_ieee_invalid_op 0
		.amdhsa_exception_fp_denorm_src 0
		.amdhsa_exception_fp_ieee_div_zero 0
		.amdhsa_exception_fp_ieee_overflow 0
		.amdhsa_exception_fp_ieee_underflow 0
		.amdhsa_exception_fp_ieee_inexact 0
		.amdhsa_exception_int_div_zero 0
	.end_amdhsa_kernel
	.section	.text._ZN7rocprim17ROCPRIM_400000_NS6detail17trampoline_kernelINS0_13kernel_configILj256ELj4ELj4294967295EEENS1_37radix_sort_block_sort_config_selectorIslEEZNS1_21radix_sort_block_sortIS4_Lb0EPsS8_N6thrust23THRUST_200600_302600_NS10device_ptrIlEESC_NS0_19identity_decomposerEEE10hipError_tT1_T2_T3_T4_jRjT5_jjP12ihipStream_tbEUlT_E_NS1_11comp_targetILNS1_3genE9ELNS1_11target_archE1100ELNS1_3gpuE3ELNS1_3repE0EEENS1_44radix_sort_block_sort_config_static_selectorELNS0_4arch9wavefront6targetE1EEEvSF_,"axG",@progbits,_ZN7rocprim17ROCPRIM_400000_NS6detail17trampoline_kernelINS0_13kernel_configILj256ELj4ELj4294967295EEENS1_37radix_sort_block_sort_config_selectorIslEEZNS1_21radix_sort_block_sortIS4_Lb0EPsS8_N6thrust23THRUST_200600_302600_NS10device_ptrIlEESC_NS0_19identity_decomposerEEE10hipError_tT1_T2_T3_T4_jRjT5_jjP12ihipStream_tbEUlT_E_NS1_11comp_targetILNS1_3genE9ELNS1_11target_archE1100ELNS1_3gpuE3ELNS1_3repE0EEENS1_44radix_sort_block_sort_config_static_selectorELNS0_4arch9wavefront6targetE1EEEvSF_,comdat
.Lfunc_end1265:
	.size	_ZN7rocprim17ROCPRIM_400000_NS6detail17trampoline_kernelINS0_13kernel_configILj256ELj4ELj4294967295EEENS1_37radix_sort_block_sort_config_selectorIslEEZNS1_21radix_sort_block_sortIS4_Lb0EPsS8_N6thrust23THRUST_200600_302600_NS10device_ptrIlEESC_NS0_19identity_decomposerEEE10hipError_tT1_T2_T3_T4_jRjT5_jjP12ihipStream_tbEUlT_E_NS1_11comp_targetILNS1_3genE9ELNS1_11target_archE1100ELNS1_3gpuE3ELNS1_3repE0EEENS1_44radix_sort_block_sort_config_static_selectorELNS0_4arch9wavefront6targetE1EEEvSF_, .Lfunc_end1265-_ZN7rocprim17ROCPRIM_400000_NS6detail17trampoline_kernelINS0_13kernel_configILj256ELj4ELj4294967295EEENS1_37radix_sort_block_sort_config_selectorIslEEZNS1_21radix_sort_block_sortIS4_Lb0EPsS8_N6thrust23THRUST_200600_302600_NS10device_ptrIlEESC_NS0_19identity_decomposerEEE10hipError_tT1_T2_T3_T4_jRjT5_jjP12ihipStream_tbEUlT_E_NS1_11comp_targetILNS1_3genE9ELNS1_11target_archE1100ELNS1_3gpuE3ELNS1_3repE0EEENS1_44radix_sort_block_sort_config_static_selectorELNS0_4arch9wavefront6targetE1EEEvSF_
                                        ; -- End function
	.section	.AMDGPU.csdata,"",@progbits
; Kernel info:
; codeLenInByte = 0
; NumSgprs: 4
; NumVgprs: 0
; NumAgprs: 0
; TotalNumVgprs: 0
; ScratchSize: 0
; MemoryBound: 0
; FloatMode: 240
; IeeeMode: 1
; LDSByteSize: 0 bytes/workgroup (compile time only)
; SGPRBlocks: 0
; VGPRBlocks: 0
; NumSGPRsForWavesPerEU: 4
; NumVGPRsForWavesPerEU: 1
; AccumOffset: 4
; Occupancy: 8
; WaveLimiterHint : 0
; COMPUTE_PGM_RSRC2:SCRATCH_EN: 0
; COMPUTE_PGM_RSRC2:USER_SGPR: 6
; COMPUTE_PGM_RSRC2:TRAP_HANDLER: 0
; COMPUTE_PGM_RSRC2:TGID_X_EN: 1
; COMPUTE_PGM_RSRC2:TGID_Y_EN: 0
; COMPUTE_PGM_RSRC2:TGID_Z_EN: 0
; COMPUTE_PGM_RSRC2:TIDIG_COMP_CNT: 0
; COMPUTE_PGM_RSRC3_GFX90A:ACCUM_OFFSET: 0
; COMPUTE_PGM_RSRC3_GFX90A:TG_SPLIT: 0
	.section	.text._ZN7rocprim17ROCPRIM_400000_NS6detail17trampoline_kernelINS0_13kernel_configILj256ELj4ELj4294967295EEENS1_37radix_sort_block_sort_config_selectorIslEEZNS1_21radix_sort_block_sortIS4_Lb0EPsS8_N6thrust23THRUST_200600_302600_NS10device_ptrIlEESC_NS0_19identity_decomposerEEE10hipError_tT1_T2_T3_T4_jRjT5_jjP12ihipStream_tbEUlT_E_NS1_11comp_targetILNS1_3genE8ELNS1_11target_archE1030ELNS1_3gpuE2ELNS1_3repE0EEENS1_44radix_sort_block_sort_config_static_selectorELNS0_4arch9wavefront6targetE1EEEvSF_,"axG",@progbits,_ZN7rocprim17ROCPRIM_400000_NS6detail17trampoline_kernelINS0_13kernel_configILj256ELj4ELj4294967295EEENS1_37radix_sort_block_sort_config_selectorIslEEZNS1_21radix_sort_block_sortIS4_Lb0EPsS8_N6thrust23THRUST_200600_302600_NS10device_ptrIlEESC_NS0_19identity_decomposerEEE10hipError_tT1_T2_T3_T4_jRjT5_jjP12ihipStream_tbEUlT_E_NS1_11comp_targetILNS1_3genE8ELNS1_11target_archE1030ELNS1_3gpuE2ELNS1_3repE0EEENS1_44radix_sort_block_sort_config_static_selectorELNS0_4arch9wavefront6targetE1EEEvSF_,comdat
	.protected	_ZN7rocprim17ROCPRIM_400000_NS6detail17trampoline_kernelINS0_13kernel_configILj256ELj4ELj4294967295EEENS1_37radix_sort_block_sort_config_selectorIslEEZNS1_21radix_sort_block_sortIS4_Lb0EPsS8_N6thrust23THRUST_200600_302600_NS10device_ptrIlEESC_NS0_19identity_decomposerEEE10hipError_tT1_T2_T3_T4_jRjT5_jjP12ihipStream_tbEUlT_E_NS1_11comp_targetILNS1_3genE8ELNS1_11target_archE1030ELNS1_3gpuE2ELNS1_3repE0EEENS1_44radix_sort_block_sort_config_static_selectorELNS0_4arch9wavefront6targetE1EEEvSF_ ; -- Begin function _ZN7rocprim17ROCPRIM_400000_NS6detail17trampoline_kernelINS0_13kernel_configILj256ELj4ELj4294967295EEENS1_37radix_sort_block_sort_config_selectorIslEEZNS1_21radix_sort_block_sortIS4_Lb0EPsS8_N6thrust23THRUST_200600_302600_NS10device_ptrIlEESC_NS0_19identity_decomposerEEE10hipError_tT1_T2_T3_T4_jRjT5_jjP12ihipStream_tbEUlT_E_NS1_11comp_targetILNS1_3genE8ELNS1_11target_archE1030ELNS1_3gpuE2ELNS1_3repE0EEENS1_44radix_sort_block_sort_config_static_selectorELNS0_4arch9wavefront6targetE1EEEvSF_
	.globl	_ZN7rocprim17ROCPRIM_400000_NS6detail17trampoline_kernelINS0_13kernel_configILj256ELj4ELj4294967295EEENS1_37radix_sort_block_sort_config_selectorIslEEZNS1_21radix_sort_block_sortIS4_Lb0EPsS8_N6thrust23THRUST_200600_302600_NS10device_ptrIlEESC_NS0_19identity_decomposerEEE10hipError_tT1_T2_T3_T4_jRjT5_jjP12ihipStream_tbEUlT_E_NS1_11comp_targetILNS1_3genE8ELNS1_11target_archE1030ELNS1_3gpuE2ELNS1_3repE0EEENS1_44radix_sort_block_sort_config_static_selectorELNS0_4arch9wavefront6targetE1EEEvSF_
	.p2align	8
	.type	_ZN7rocprim17ROCPRIM_400000_NS6detail17trampoline_kernelINS0_13kernel_configILj256ELj4ELj4294967295EEENS1_37radix_sort_block_sort_config_selectorIslEEZNS1_21radix_sort_block_sortIS4_Lb0EPsS8_N6thrust23THRUST_200600_302600_NS10device_ptrIlEESC_NS0_19identity_decomposerEEE10hipError_tT1_T2_T3_T4_jRjT5_jjP12ihipStream_tbEUlT_E_NS1_11comp_targetILNS1_3genE8ELNS1_11target_archE1030ELNS1_3gpuE2ELNS1_3repE0EEENS1_44radix_sort_block_sort_config_static_selectorELNS0_4arch9wavefront6targetE1EEEvSF_,@function
_ZN7rocprim17ROCPRIM_400000_NS6detail17trampoline_kernelINS0_13kernel_configILj256ELj4ELj4294967295EEENS1_37radix_sort_block_sort_config_selectorIslEEZNS1_21radix_sort_block_sortIS4_Lb0EPsS8_N6thrust23THRUST_200600_302600_NS10device_ptrIlEESC_NS0_19identity_decomposerEEE10hipError_tT1_T2_T3_T4_jRjT5_jjP12ihipStream_tbEUlT_E_NS1_11comp_targetILNS1_3genE8ELNS1_11target_archE1030ELNS1_3gpuE2ELNS1_3repE0EEENS1_44radix_sort_block_sort_config_static_selectorELNS0_4arch9wavefront6targetE1EEEvSF_: ; @_ZN7rocprim17ROCPRIM_400000_NS6detail17trampoline_kernelINS0_13kernel_configILj256ELj4ELj4294967295EEENS1_37radix_sort_block_sort_config_selectorIslEEZNS1_21radix_sort_block_sortIS4_Lb0EPsS8_N6thrust23THRUST_200600_302600_NS10device_ptrIlEESC_NS0_19identity_decomposerEEE10hipError_tT1_T2_T3_T4_jRjT5_jjP12ihipStream_tbEUlT_E_NS1_11comp_targetILNS1_3genE8ELNS1_11target_archE1030ELNS1_3gpuE2ELNS1_3repE0EEENS1_44radix_sort_block_sort_config_static_selectorELNS0_4arch9wavefront6targetE1EEEvSF_
; %bb.0:
	.section	.rodata,"a",@progbits
	.p2align	6, 0x0
	.amdhsa_kernel _ZN7rocprim17ROCPRIM_400000_NS6detail17trampoline_kernelINS0_13kernel_configILj256ELj4ELj4294967295EEENS1_37radix_sort_block_sort_config_selectorIslEEZNS1_21radix_sort_block_sortIS4_Lb0EPsS8_N6thrust23THRUST_200600_302600_NS10device_ptrIlEESC_NS0_19identity_decomposerEEE10hipError_tT1_T2_T3_T4_jRjT5_jjP12ihipStream_tbEUlT_E_NS1_11comp_targetILNS1_3genE8ELNS1_11target_archE1030ELNS1_3gpuE2ELNS1_3repE0EEENS1_44radix_sort_block_sort_config_static_selectorELNS0_4arch9wavefront6targetE1EEEvSF_
		.amdhsa_group_segment_fixed_size 0
		.amdhsa_private_segment_fixed_size 0
		.amdhsa_kernarg_size 48
		.amdhsa_user_sgpr_count 6
		.amdhsa_user_sgpr_private_segment_buffer 1
		.amdhsa_user_sgpr_dispatch_ptr 0
		.amdhsa_user_sgpr_queue_ptr 0
		.amdhsa_user_sgpr_kernarg_segment_ptr 1
		.amdhsa_user_sgpr_dispatch_id 0
		.amdhsa_user_sgpr_flat_scratch_init 0
		.amdhsa_user_sgpr_kernarg_preload_length 0
		.amdhsa_user_sgpr_kernarg_preload_offset 0
		.amdhsa_user_sgpr_private_segment_size 0
		.amdhsa_uses_dynamic_stack 0
		.amdhsa_system_sgpr_private_segment_wavefront_offset 0
		.amdhsa_system_sgpr_workgroup_id_x 1
		.amdhsa_system_sgpr_workgroup_id_y 0
		.amdhsa_system_sgpr_workgroup_id_z 0
		.amdhsa_system_sgpr_workgroup_info 0
		.amdhsa_system_vgpr_workitem_id 0
		.amdhsa_next_free_vgpr 1
		.amdhsa_next_free_sgpr 0
		.amdhsa_accum_offset 4
		.amdhsa_reserve_vcc 0
		.amdhsa_reserve_flat_scratch 0
		.amdhsa_float_round_mode_32 0
		.amdhsa_float_round_mode_16_64 0
		.amdhsa_float_denorm_mode_32 3
		.amdhsa_float_denorm_mode_16_64 3
		.amdhsa_dx10_clamp 1
		.amdhsa_ieee_mode 1
		.amdhsa_fp16_overflow 0
		.amdhsa_tg_split 0
		.amdhsa_exception_fp_ieee_invalid_op 0
		.amdhsa_exception_fp_denorm_src 0
		.amdhsa_exception_fp_ieee_div_zero 0
		.amdhsa_exception_fp_ieee_overflow 0
		.amdhsa_exception_fp_ieee_underflow 0
		.amdhsa_exception_fp_ieee_inexact 0
		.amdhsa_exception_int_div_zero 0
	.end_amdhsa_kernel
	.section	.text._ZN7rocprim17ROCPRIM_400000_NS6detail17trampoline_kernelINS0_13kernel_configILj256ELj4ELj4294967295EEENS1_37radix_sort_block_sort_config_selectorIslEEZNS1_21radix_sort_block_sortIS4_Lb0EPsS8_N6thrust23THRUST_200600_302600_NS10device_ptrIlEESC_NS0_19identity_decomposerEEE10hipError_tT1_T2_T3_T4_jRjT5_jjP12ihipStream_tbEUlT_E_NS1_11comp_targetILNS1_3genE8ELNS1_11target_archE1030ELNS1_3gpuE2ELNS1_3repE0EEENS1_44radix_sort_block_sort_config_static_selectorELNS0_4arch9wavefront6targetE1EEEvSF_,"axG",@progbits,_ZN7rocprim17ROCPRIM_400000_NS6detail17trampoline_kernelINS0_13kernel_configILj256ELj4ELj4294967295EEENS1_37radix_sort_block_sort_config_selectorIslEEZNS1_21radix_sort_block_sortIS4_Lb0EPsS8_N6thrust23THRUST_200600_302600_NS10device_ptrIlEESC_NS0_19identity_decomposerEEE10hipError_tT1_T2_T3_T4_jRjT5_jjP12ihipStream_tbEUlT_E_NS1_11comp_targetILNS1_3genE8ELNS1_11target_archE1030ELNS1_3gpuE2ELNS1_3repE0EEENS1_44radix_sort_block_sort_config_static_selectorELNS0_4arch9wavefront6targetE1EEEvSF_,comdat
.Lfunc_end1266:
	.size	_ZN7rocprim17ROCPRIM_400000_NS6detail17trampoline_kernelINS0_13kernel_configILj256ELj4ELj4294967295EEENS1_37radix_sort_block_sort_config_selectorIslEEZNS1_21radix_sort_block_sortIS4_Lb0EPsS8_N6thrust23THRUST_200600_302600_NS10device_ptrIlEESC_NS0_19identity_decomposerEEE10hipError_tT1_T2_T3_T4_jRjT5_jjP12ihipStream_tbEUlT_E_NS1_11comp_targetILNS1_3genE8ELNS1_11target_archE1030ELNS1_3gpuE2ELNS1_3repE0EEENS1_44radix_sort_block_sort_config_static_selectorELNS0_4arch9wavefront6targetE1EEEvSF_, .Lfunc_end1266-_ZN7rocprim17ROCPRIM_400000_NS6detail17trampoline_kernelINS0_13kernel_configILj256ELj4ELj4294967295EEENS1_37radix_sort_block_sort_config_selectorIslEEZNS1_21radix_sort_block_sortIS4_Lb0EPsS8_N6thrust23THRUST_200600_302600_NS10device_ptrIlEESC_NS0_19identity_decomposerEEE10hipError_tT1_T2_T3_T4_jRjT5_jjP12ihipStream_tbEUlT_E_NS1_11comp_targetILNS1_3genE8ELNS1_11target_archE1030ELNS1_3gpuE2ELNS1_3repE0EEENS1_44radix_sort_block_sort_config_static_selectorELNS0_4arch9wavefront6targetE1EEEvSF_
                                        ; -- End function
	.section	.AMDGPU.csdata,"",@progbits
; Kernel info:
; codeLenInByte = 0
; NumSgprs: 4
; NumVgprs: 0
; NumAgprs: 0
; TotalNumVgprs: 0
; ScratchSize: 0
; MemoryBound: 0
; FloatMode: 240
; IeeeMode: 1
; LDSByteSize: 0 bytes/workgroup (compile time only)
; SGPRBlocks: 0
; VGPRBlocks: 0
; NumSGPRsForWavesPerEU: 4
; NumVGPRsForWavesPerEU: 1
; AccumOffset: 4
; Occupancy: 8
; WaveLimiterHint : 0
; COMPUTE_PGM_RSRC2:SCRATCH_EN: 0
; COMPUTE_PGM_RSRC2:USER_SGPR: 6
; COMPUTE_PGM_RSRC2:TRAP_HANDLER: 0
; COMPUTE_PGM_RSRC2:TGID_X_EN: 1
; COMPUTE_PGM_RSRC2:TGID_Y_EN: 0
; COMPUTE_PGM_RSRC2:TGID_Z_EN: 0
; COMPUTE_PGM_RSRC2:TIDIG_COMP_CNT: 0
; COMPUTE_PGM_RSRC3_GFX90A:ACCUM_OFFSET: 0
; COMPUTE_PGM_RSRC3_GFX90A:TG_SPLIT: 0
	.section	.text._ZN7rocprim17ROCPRIM_400000_NS6detail44device_merge_sort_compile_time_verifier_archINS1_11comp_targetILNS1_3genE0ELNS1_11target_archE4294967295ELNS1_3gpuE0ELNS1_3repE0EEES8_NS1_28merge_sort_block_sort_configILj256ELj4ELNS0_20block_sort_algorithmE0EEENS0_14default_configENS1_37merge_sort_block_sort_config_selectorIslEENS1_38merge_sort_block_merge_config_selectorIslEEEEvv,"axG",@progbits,_ZN7rocprim17ROCPRIM_400000_NS6detail44device_merge_sort_compile_time_verifier_archINS1_11comp_targetILNS1_3genE0ELNS1_11target_archE4294967295ELNS1_3gpuE0ELNS1_3repE0EEES8_NS1_28merge_sort_block_sort_configILj256ELj4ELNS0_20block_sort_algorithmE0EEENS0_14default_configENS1_37merge_sort_block_sort_config_selectorIslEENS1_38merge_sort_block_merge_config_selectorIslEEEEvv,comdat
	.protected	_ZN7rocprim17ROCPRIM_400000_NS6detail44device_merge_sort_compile_time_verifier_archINS1_11comp_targetILNS1_3genE0ELNS1_11target_archE4294967295ELNS1_3gpuE0ELNS1_3repE0EEES8_NS1_28merge_sort_block_sort_configILj256ELj4ELNS0_20block_sort_algorithmE0EEENS0_14default_configENS1_37merge_sort_block_sort_config_selectorIslEENS1_38merge_sort_block_merge_config_selectorIslEEEEvv ; -- Begin function _ZN7rocprim17ROCPRIM_400000_NS6detail44device_merge_sort_compile_time_verifier_archINS1_11comp_targetILNS1_3genE0ELNS1_11target_archE4294967295ELNS1_3gpuE0ELNS1_3repE0EEES8_NS1_28merge_sort_block_sort_configILj256ELj4ELNS0_20block_sort_algorithmE0EEENS0_14default_configENS1_37merge_sort_block_sort_config_selectorIslEENS1_38merge_sort_block_merge_config_selectorIslEEEEvv
	.globl	_ZN7rocprim17ROCPRIM_400000_NS6detail44device_merge_sort_compile_time_verifier_archINS1_11comp_targetILNS1_3genE0ELNS1_11target_archE4294967295ELNS1_3gpuE0ELNS1_3repE0EEES8_NS1_28merge_sort_block_sort_configILj256ELj4ELNS0_20block_sort_algorithmE0EEENS0_14default_configENS1_37merge_sort_block_sort_config_selectorIslEENS1_38merge_sort_block_merge_config_selectorIslEEEEvv
	.p2align	8
	.type	_ZN7rocprim17ROCPRIM_400000_NS6detail44device_merge_sort_compile_time_verifier_archINS1_11comp_targetILNS1_3genE0ELNS1_11target_archE4294967295ELNS1_3gpuE0ELNS1_3repE0EEES8_NS1_28merge_sort_block_sort_configILj256ELj4ELNS0_20block_sort_algorithmE0EEENS0_14default_configENS1_37merge_sort_block_sort_config_selectorIslEENS1_38merge_sort_block_merge_config_selectorIslEEEEvv,@function
_ZN7rocprim17ROCPRIM_400000_NS6detail44device_merge_sort_compile_time_verifier_archINS1_11comp_targetILNS1_3genE0ELNS1_11target_archE4294967295ELNS1_3gpuE0ELNS1_3repE0EEES8_NS1_28merge_sort_block_sort_configILj256ELj4ELNS0_20block_sort_algorithmE0EEENS0_14default_configENS1_37merge_sort_block_sort_config_selectorIslEENS1_38merge_sort_block_merge_config_selectorIslEEEEvv: ; @_ZN7rocprim17ROCPRIM_400000_NS6detail44device_merge_sort_compile_time_verifier_archINS1_11comp_targetILNS1_3genE0ELNS1_11target_archE4294967295ELNS1_3gpuE0ELNS1_3repE0EEES8_NS1_28merge_sort_block_sort_configILj256ELj4ELNS0_20block_sort_algorithmE0EEENS0_14default_configENS1_37merge_sort_block_sort_config_selectorIslEENS1_38merge_sort_block_merge_config_selectorIslEEEEvv
; %bb.0:
	s_endpgm
	.section	.rodata,"a",@progbits
	.p2align	6, 0x0
	.amdhsa_kernel _ZN7rocprim17ROCPRIM_400000_NS6detail44device_merge_sort_compile_time_verifier_archINS1_11comp_targetILNS1_3genE0ELNS1_11target_archE4294967295ELNS1_3gpuE0ELNS1_3repE0EEES8_NS1_28merge_sort_block_sort_configILj256ELj4ELNS0_20block_sort_algorithmE0EEENS0_14default_configENS1_37merge_sort_block_sort_config_selectorIslEENS1_38merge_sort_block_merge_config_selectorIslEEEEvv
		.amdhsa_group_segment_fixed_size 0
		.amdhsa_private_segment_fixed_size 0
		.amdhsa_kernarg_size 0
		.amdhsa_user_sgpr_count 4
		.amdhsa_user_sgpr_private_segment_buffer 1
		.amdhsa_user_sgpr_dispatch_ptr 0
		.amdhsa_user_sgpr_queue_ptr 0
		.amdhsa_user_sgpr_kernarg_segment_ptr 0
		.amdhsa_user_sgpr_dispatch_id 0
		.amdhsa_user_sgpr_flat_scratch_init 0
		.amdhsa_user_sgpr_kernarg_preload_length 0
		.amdhsa_user_sgpr_kernarg_preload_offset 0
		.amdhsa_user_sgpr_private_segment_size 0
		.amdhsa_uses_dynamic_stack 0
		.amdhsa_system_sgpr_private_segment_wavefront_offset 0
		.amdhsa_system_sgpr_workgroup_id_x 1
		.amdhsa_system_sgpr_workgroup_id_y 0
		.amdhsa_system_sgpr_workgroup_id_z 0
		.amdhsa_system_sgpr_workgroup_info 0
		.amdhsa_system_vgpr_workitem_id 0
		.amdhsa_next_free_vgpr 1
		.amdhsa_next_free_sgpr 0
		.amdhsa_accum_offset 4
		.amdhsa_reserve_vcc 0
		.amdhsa_reserve_flat_scratch 0
		.amdhsa_float_round_mode_32 0
		.amdhsa_float_round_mode_16_64 0
		.amdhsa_float_denorm_mode_32 3
		.amdhsa_float_denorm_mode_16_64 3
		.amdhsa_dx10_clamp 1
		.amdhsa_ieee_mode 1
		.amdhsa_fp16_overflow 0
		.amdhsa_tg_split 0
		.amdhsa_exception_fp_ieee_invalid_op 0
		.amdhsa_exception_fp_denorm_src 0
		.amdhsa_exception_fp_ieee_div_zero 0
		.amdhsa_exception_fp_ieee_overflow 0
		.amdhsa_exception_fp_ieee_underflow 0
		.amdhsa_exception_fp_ieee_inexact 0
		.amdhsa_exception_int_div_zero 0
	.end_amdhsa_kernel
	.section	.text._ZN7rocprim17ROCPRIM_400000_NS6detail44device_merge_sort_compile_time_verifier_archINS1_11comp_targetILNS1_3genE0ELNS1_11target_archE4294967295ELNS1_3gpuE0ELNS1_3repE0EEES8_NS1_28merge_sort_block_sort_configILj256ELj4ELNS0_20block_sort_algorithmE0EEENS0_14default_configENS1_37merge_sort_block_sort_config_selectorIslEENS1_38merge_sort_block_merge_config_selectorIslEEEEvv,"axG",@progbits,_ZN7rocprim17ROCPRIM_400000_NS6detail44device_merge_sort_compile_time_verifier_archINS1_11comp_targetILNS1_3genE0ELNS1_11target_archE4294967295ELNS1_3gpuE0ELNS1_3repE0EEES8_NS1_28merge_sort_block_sort_configILj256ELj4ELNS0_20block_sort_algorithmE0EEENS0_14default_configENS1_37merge_sort_block_sort_config_selectorIslEENS1_38merge_sort_block_merge_config_selectorIslEEEEvv,comdat
.Lfunc_end1267:
	.size	_ZN7rocprim17ROCPRIM_400000_NS6detail44device_merge_sort_compile_time_verifier_archINS1_11comp_targetILNS1_3genE0ELNS1_11target_archE4294967295ELNS1_3gpuE0ELNS1_3repE0EEES8_NS1_28merge_sort_block_sort_configILj256ELj4ELNS0_20block_sort_algorithmE0EEENS0_14default_configENS1_37merge_sort_block_sort_config_selectorIslEENS1_38merge_sort_block_merge_config_selectorIslEEEEvv, .Lfunc_end1267-_ZN7rocprim17ROCPRIM_400000_NS6detail44device_merge_sort_compile_time_verifier_archINS1_11comp_targetILNS1_3genE0ELNS1_11target_archE4294967295ELNS1_3gpuE0ELNS1_3repE0EEES8_NS1_28merge_sort_block_sort_configILj256ELj4ELNS0_20block_sort_algorithmE0EEENS0_14default_configENS1_37merge_sort_block_sort_config_selectorIslEENS1_38merge_sort_block_merge_config_selectorIslEEEEvv
                                        ; -- End function
	.section	.AMDGPU.csdata,"",@progbits
; Kernel info:
; codeLenInByte = 4
; NumSgprs: 4
; NumVgprs: 0
; NumAgprs: 0
; TotalNumVgprs: 0
; ScratchSize: 0
; MemoryBound: 0
; FloatMode: 240
; IeeeMode: 1
; LDSByteSize: 0 bytes/workgroup (compile time only)
; SGPRBlocks: 0
; VGPRBlocks: 0
; NumSGPRsForWavesPerEU: 4
; NumVGPRsForWavesPerEU: 1
; AccumOffset: 4
; Occupancy: 8
; WaveLimiterHint : 0
; COMPUTE_PGM_RSRC2:SCRATCH_EN: 0
; COMPUTE_PGM_RSRC2:USER_SGPR: 4
; COMPUTE_PGM_RSRC2:TRAP_HANDLER: 0
; COMPUTE_PGM_RSRC2:TGID_X_EN: 1
; COMPUTE_PGM_RSRC2:TGID_Y_EN: 0
; COMPUTE_PGM_RSRC2:TGID_Z_EN: 0
; COMPUTE_PGM_RSRC2:TIDIG_COMP_CNT: 0
; COMPUTE_PGM_RSRC3_GFX90A:ACCUM_OFFSET: 0
; COMPUTE_PGM_RSRC3_GFX90A:TG_SPLIT: 0
	.section	.text._ZN7rocprim17ROCPRIM_400000_NS6detail44device_merge_sort_compile_time_verifier_archINS1_11comp_targetILNS1_3genE5ELNS1_11target_archE942ELNS1_3gpuE9ELNS1_3repE0EEES8_NS1_28merge_sort_block_sort_configILj256ELj4ELNS0_20block_sort_algorithmE0EEENS0_14default_configENS1_37merge_sort_block_sort_config_selectorIslEENS1_38merge_sort_block_merge_config_selectorIslEEEEvv,"axG",@progbits,_ZN7rocprim17ROCPRIM_400000_NS6detail44device_merge_sort_compile_time_verifier_archINS1_11comp_targetILNS1_3genE5ELNS1_11target_archE942ELNS1_3gpuE9ELNS1_3repE0EEES8_NS1_28merge_sort_block_sort_configILj256ELj4ELNS0_20block_sort_algorithmE0EEENS0_14default_configENS1_37merge_sort_block_sort_config_selectorIslEENS1_38merge_sort_block_merge_config_selectorIslEEEEvv,comdat
	.protected	_ZN7rocprim17ROCPRIM_400000_NS6detail44device_merge_sort_compile_time_verifier_archINS1_11comp_targetILNS1_3genE5ELNS1_11target_archE942ELNS1_3gpuE9ELNS1_3repE0EEES8_NS1_28merge_sort_block_sort_configILj256ELj4ELNS0_20block_sort_algorithmE0EEENS0_14default_configENS1_37merge_sort_block_sort_config_selectorIslEENS1_38merge_sort_block_merge_config_selectorIslEEEEvv ; -- Begin function _ZN7rocprim17ROCPRIM_400000_NS6detail44device_merge_sort_compile_time_verifier_archINS1_11comp_targetILNS1_3genE5ELNS1_11target_archE942ELNS1_3gpuE9ELNS1_3repE0EEES8_NS1_28merge_sort_block_sort_configILj256ELj4ELNS0_20block_sort_algorithmE0EEENS0_14default_configENS1_37merge_sort_block_sort_config_selectorIslEENS1_38merge_sort_block_merge_config_selectorIslEEEEvv
	.globl	_ZN7rocprim17ROCPRIM_400000_NS6detail44device_merge_sort_compile_time_verifier_archINS1_11comp_targetILNS1_3genE5ELNS1_11target_archE942ELNS1_3gpuE9ELNS1_3repE0EEES8_NS1_28merge_sort_block_sort_configILj256ELj4ELNS0_20block_sort_algorithmE0EEENS0_14default_configENS1_37merge_sort_block_sort_config_selectorIslEENS1_38merge_sort_block_merge_config_selectorIslEEEEvv
	.p2align	8
	.type	_ZN7rocprim17ROCPRIM_400000_NS6detail44device_merge_sort_compile_time_verifier_archINS1_11comp_targetILNS1_3genE5ELNS1_11target_archE942ELNS1_3gpuE9ELNS1_3repE0EEES8_NS1_28merge_sort_block_sort_configILj256ELj4ELNS0_20block_sort_algorithmE0EEENS0_14default_configENS1_37merge_sort_block_sort_config_selectorIslEENS1_38merge_sort_block_merge_config_selectorIslEEEEvv,@function
_ZN7rocprim17ROCPRIM_400000_NS6detail44device_merge_sort_compile_time_verifier_archINS1_11comp_targetILNS1_3genE5ELNS1_11target_archE942ELNS1_3gpuE9ELNS1_3repE0EEES8_NS1_28merge_sort_block_sort_configILj256ELj4ELNS0_20block_sort_algorithmE0EEENS0_14default_configENS1_37merge_sort_block_sort_config_selectorIslEENS1_38merge_sort_block_merge_config_selectorIslEEEEvv: ; @_ZN7rocprim17ROCPRIM_400000_NS6detail44device_merge_sort_compile_time_verifier_archINS1_11comp_targetILNS1_3genE5ELNS1_11target_archE942ELNS1_3gpuE9ELNS1_3repE0EEES8_NS1_28merge_sort_block_sort_configILj256ELj4ELNS0_20block_sort_algorithmE0EEENS0_14default_configENS1_37merge_sort_block_sort_config_selectorIslEENS1_38merge_sort_block_merge_config_selectorIslEEEEvv
; %bb.0:
	s_endpgm
	.section	.rodata,"a",@progbits
	.p2align	6, 0x0
	.amdhsa_kernel _ZN7rocprim17ROCPRIM_400000_NS6detail44device_merge_sort_compile_time_verifier_archINS1_11comp_targetILNS1_3genE5ELNS1_11target_archE942ELNS1_3gpuE9ELNS1_3repE0EEES8_NS1_28merge_sort_block_sort_configILj256ELj4ELNS0_20block_sort_algorithmE0EEENS0_14default_configENS1_37merge_sort_block_sort_config_selectorIslEENS1_38merge_sort_block_merge_config_selectorIslEEEEvv
		.amdhsa_group_segment_fixed_size 0
		.amdhsa_private_segment_fixed_size 0
		.amdhsa_kernarg_size 0
		.amdhsa_user_sgpr_count 4
		.amdhsa_user_sgpr_private_segment_buffer 1
		.amdhsa_user_sgpr_dispatch_ptr 0
		.amdhsa_user_sgpr_queue_ptr 0
		.amdhsa_user_sgpr_kernarg_segment_ptr 0
		.amdhsa_user_sgpr_dispatch_id 0
		.amdhsa_user_sgpr_flat_scratch_init 0
		.amdhsa_user_sgpr_kernarg_preload_length 0
		.amdhsa_user_sgpr_kernarg_preload_offset 0
		.amdhsa_user_sgpr_private_segment_size 0
		.amdhsa_uses_dynamic_stack 0
		.amdhsa_system_sgpr_private_segment_wavefront_offset 0
		.amdhsa_system_sgpr_workgroup_id_x 1
		.amdhsa_system_sgpr_workgroup_id_y 0
		.amdhsa_system_sgpr_workgroup_id_z 0
		.amdhsa_system_sgpr_workgroup_info 0
		.amdhsa_system_vgpr_workitem_id 0
		.amdhsa_next_free_vgpr 1
		.amdhsa_next_free_sgpr 0
		.amdhsa_accum_offset 4
		.amdhsa_reserve_vcc 0
		.amdhsa_reserve_flat_scratch 0
		.amdhsa_float_round_mode_32 0
		.amdhsa_float_round_mode_16_64 0
		.amdhsa_float_denorm_mode_32 3
		.amdhsa_float_denorm_mode_16_64 3
		.amdhsa_dx10_clamp 1
		.amdhsa_ieee_mode 1
		.amdhsa_fp16_overflow 0
		.amdhsa_tg_split 0
		.amdhsa_exception_fp_ieee_invalid_op 0
		.amdhsa_exception_fp_denorm_src 0
		.amdhsa_exception_fp_ieee_div_zero 0
		.amdhsa_exception_fp_ieee_overflow 0
		.amdhsa_exception_fp_ieee_underflow 0
		.amdhsa_exception_fp_ieee_inexact 0
		.amdhsa_exception_int_div_zero 0
	.end_amdhsa_kernel
	.section	.text._ZN7rocprim17ROCPRIM_400000_NS6detail44device_merge_sort_compile_time_verifier_archINS1_11comp_targetILNS1_3genE5ELNS1_11target_archE942ELNS1_3gpuE9ELNS1_3repE0EEES8_NS1_28merge_sort_block_sort_configILj256ELj4ELNS0_20block_sort_algorithmE0EEENS0_14default_configENS1_37merge_sort_block_sort_config_selectorIslEENS1_38merge_sort_block_merge_config_selectorIslEEEEvv,"axG",@progbits,_ZN7rocprim17ROCPRIM_400000_NS6detail44device_merge_sort_compile_time_verifier_archINS1_11comp_targetILNS1_3genE5ELNS1_11target_archE942ELNS1_3gpuE9ELNS1_3repE0EEES8_NS1_28merge_sort_block_sort_configILj256ELj4ELNS0_20block_sort_algorithmE0EEENS0_14default_configENS1_37merge_sort_block_sort_config_selectorIslEENS1_38merge_sort_block_merge_config_selectorIslEEEEvv,comdat
.Lfunc_end1268:
	.size	_ZN7rocprim17ROCPRIM_400000_NS6detail44device_merge_sort_compile_time_verifier_archINS1_11comp_targetILNS1_3genE5ELNS1_11target_archE942ELNS1_3gpuE9ELNS1_3repE0EEES8_NS1_28merge_sort_block_sort_configILj256ELj4ELNS0_20block_sort_algorithmE0EEENS0_14default_configENS1_37merge_sort_block_sort_config_selectorIslEENS1_38merge_sort_block_merge_config_selectorIslEEEEvv, .Lfunc_end1268-_ZN7rocprim17ROCPRIM_400000_NS6detail44device_merge_sort_compile_time_verifier_archINS1_11comp_targetILNS1_3genE5ELNS1_11target_archE942ELNS1_3gpuE9ELNS1_3repE0EEES8_NS1_28merge_sort_block_sort_configILj256ELj4ELNS0_20block_sort_algorithmE0EEENS0_14default_configENS1_37merge_sort_block_sort_config_selectorIslEENS1_38merge_sort_block_merge_config_selectorIslEEEEvv
                                        ; -- End function
	.section	.AMDGPU.csdata,"",@progbits
; Kernel info:
; codeLenInByte = 4
; NumSgprs: 4
; NumVgprs: 0
; NumAgprs: 0
; TotalNumVgprs: 0
; ScratchSize: 0
; MemoryBound: 0
; FloatMode: 240
; IeeeMode: 1
; LDSByteSize: 0 bytes/workgroup (compile time only)
; SGPRBlocks: 0
; VGPRBlocks: 0
; NumSGPRsForWavesPerEU: 4
; NumVGPRsForWavesPerEU: 1
; AccumOffset: 4
; Occupancy: 8
; WaveLimiterHint : 0
; COMPUTE_PGM_RSRC2:SCRATCH_EN: 0
; COMPUTE_PGM_RSRC2:USER_SGPR: 4
; COMPUTE_PGM_RSRC2:TRAP_HANDLER: 0
; COMPUTE_PGM_RSRC2:TGID_X_EN: 1
; COMPUTE_PGM_RSRC2:TGID_Y_EN: 0
; COMPUTE_PGM_RSRC2:TGID_Z_EN: 0
; COMPUTE_PGM_RSRC2:TIDIG_COMP_CNT: 0
; COMPUTE_PGM_RSRC3_GFX90A:ACCUM_OFFSET: 0
; COMPUTE_PGM_RSRC3_GFX90A:TG_SPLIT: 0
	.section	.text._ZN7rocprim17ROCPRIM_400000_NS6detail44device_merge_sort_compile_time_verifier_archINS1_11comp_targetILNS1_3genE4ELNS1_11target_archE910ELNS1_3gpuE8ELNS1_3repE0EEES8_NS1_28merge_sort_block_sort_configILj256ELj4ELNS0_20block_sort_algorithmE0EEENS0_14default_configENS1_37merge_sort_block_sort_config_selectorIslEENS1_38merge_sort_block_merge_config_selectorIslEEEEvv,"axG",@progbits,_ZN7rocprim17ROCPRIM_400000_NS6detail44device_merge_sort_compile_time_verifier_archINS1_11comp_targetILNS1_3genE4ELNS1_11target_archE910ELNS1_3gpuE8ELNS1_3repE0EEES8_NS1_28merge_sort_block_sort_configILj256ELj4ELNS0_20block_sort_algorithmE0EEENS0_14default_configENS1_37merge_sort_block_sort_config_selectorIslEENS1_38merge_sort_block_merge_config_selectorIslEEEEvv,comdat
	.protected	_ZN7rocprim17ROCPRIM_400000_NS6detail44device_merge_sort_compile_time_verifier_archINS1_11comp_targetILNS1_3genE4ELNS1_11target_archE910ELNS1_3gpuE8ELNS1_3repE0EEES8_NS1_28merge_sort_block_sort_configILj256ELj4ELNS0_20block_sort_algorithmE0EEENS0_14default_configENS1_37merge_sort_block_sort_config_selectorIslEENS1_38merge_sort_block_merge_config_selectorIslEEEEvv ; -- Begin function _ZN7rocprim17ROCPRIM_400000_NS6detail44device_merge_sort_compile_time_verifier_archINS1_11comp_targetILNS1_3genE4ELNS1_11target_archE910ELNS1_3gpuE8ELNS1_3repE0EEES8_NS1_28merge_sort_block_sort_configILj256ELj4ELNS0_20block_sort_algorithmE0EEENS0_14default_configENS1_37merge_sort_block_sort_config_selectorIslEENS1_38merge_sort_block_merge_config_selectorIslEEEEvv
	.globl	_ZN7rocprim17ROCPRIM_400000_NS6detail44device_merge_sort_compile_time_verifier_archINS1_11comp_targetILNS1_3genE4ELNS1_11target_archE910ELNS1_3gpuE8ELNS1_3repE0EEES8_NS1_28merge_sort_block_sort_configILj256ELj4ELNS0_20block_sort_algorithmE0EEENS0_14default_configENS1_37merge_sort_block_sort_config_selectorIslEENS1_38merge_sort_block_merge_config_selectorIslEEEEvv
	.p2align	8
	.type	_ZN7rocprim17ROCPRIM_400000_NS6detail44device_merge_sort_compile_time_verifier_archINS1_11comp_targetILNS1_3genE4ELNS1_11target_archE910ELNS1_3gpuE8ELNS1_3repE0EEES8_NS1_28merge_sort_block_sort_configILj256ELj4ELNS0_20block_sort_algorithmE0EEENS0_14default_configENS1_37merge_sort_block_sort_config_selectorIslEENS1_38merge_sort_block_merge_config_selectorIslEEEEvv,@function
_ZN7rocprim17ROCPRIM_400000_NS6detail44device_merge_sort_compile_time_verifier_archINS1_11comp_targetILNS1_3genE4ELNS1_11target_archE910ELNS1_3gpuE8ELNS1_3repE0EEES8_NS1_28merge_sort_block_sort_configILj256ELj4ELNS0_20block_sort_algorithmE0EEENS0_14default_configENS1_37merge_sort_block_sort_config_selectorIslEENS1_38merge_sort_block_merge_config_selectorIslEEEEvv: ; @_ZN7rocprim17ROCPRIM_400000_NS6detail44device_merge_sort_compile_time_verifier_archINS1_11comp_targetILNS1_3genE4ELNS1_11target_archE910ELNS1_3gpuE8ELNS1_3repE0EEES8_NS1_28merge_sort_block_sort_configILj256ELj4ELNS0_20block_sort_algorithmE0EEENS0_14default_configENS1_37merge_sort_block_sort_config_selectorIslEENS1_38merge_sort_block_merge_config_selectorIslEEEEvv
; %bb.0:
	s_endpgm
	.section	.rodata,"a",@progbits
	.p2align	6, 0x0
	.amdhsa_kernel _ZN7rocprim17ROCPRIM_400000_NS6detail44device_merge_sort_compile_time_verifier_archINS1_11comp_targetILNS1_3genE4ELNS1_11target_archE910ELNS1_3gpuE8ELNS1_3repE0EEES8_NS1_28merge_sort_block_sort_configILj256ELj4ELNS0_20block_sort_algorithmE0EEENS0_14default_configENS1_37merge_sort_block_sort_config_selectorIslEENS1_38merge_sort_block_merge_config_selectorIslEEEEvv
		.amdhsa_group_segment_fixed_size 0
		.amdhsa_private_segment_fixed_size 0
		.amdhsa_kernarg_size 0
		.amdhsa_user_sgpr_count 4
		.amdhsa_user_sgpr_private_segment_buffer 1
		.amdhsa_user_sgpr_dispatch_ptr 0
		.amdhsa_user_sgpr_queue_ptr 0
		.amdhsa_user_sgpr_kernarg_segment_ptr 0
		.amdhsa_user_sgpr_dispatch_id 0
		.amdhsa_user_sgpr_flat_scratch_init 0
		.amdhsa_user_sgpr_kernarg_preload_length 0
		.amdhsa_user_sgpr_kernarg_preload_offset 0
		.amdhsa_user_sgpr_private_segment_size 0
		.amdhsa_uses_dynamic_stack 0
		.amdhsa_system_sgpr_private_segment_wavefront_offset 0
		.amdhsa_system_sgpr_workgroup_id_x 1
		.amdhsa_system_sgpr_workgroup_id_y 0
		.amdhsa_system_sgpr_workgroup_id_z 0
		.amdhsa_system_sgpr_workgroup_info 0
		.amdhsa_system_vgpr_workitem_id 0
		.amdhsa_next_free_vgpr 1
		.amdhsa_next_free_sgpr 0
		.amdhsa_accum_offset 4
		.amdhsa_reserve_vcc 0
		.amdhsa_reserve_flat_scratch 0
		.amdhsa_float_round_mode_32 0
		.amdhsa_float_round_mode_16_64 0
		.amdhsa_float_denorm_mode_32 3
		.amdhsa_float_denorm_mode_16_64 3
		.amdhsa_dx10_clamp 1
		.amdhsa_ieee_mode 1
		.amdhsa_fp16_overflow 0
		.amdhsa_tg_split 0
		.amdhsa_exception_fp_ieee_invalid_op 0
		.amdhsa_exception_fp_denorm_src 0
		.amdhsa_exception_fp_ieee_div_zero 0
		.amdhsa_exception_fp_ieee_overflow 0
		.amdhsa_exception_fp_ieee_underflow 0
		.amdhsa_exception_fp_ieee_inexact 0
		.amdhsa_exception_int_div_zero 0
	.end_amdhsa_kernel
	.section	.text._ZN7rocprim17ROCPRIM_400000_NS6detail44device_merge_sort_compile_time_verifier_archINS1_11comp_targetILNS1_3genE4ELNS1_11target_archE910ELNS1_3gpuE8ELNS1_3repE0EEES8_NS1_28merge_sort_block_sort_configILj256ELj4ELNS0_20block_sort_algorithmE0EEENS0_14default_configENS1_37merge_sort_block_sort_config_selectorIslEENS1_38merge_sort_block_merge_config_selectorIslEEEEvv,"axG",@progbits,_ZN7rocprim17ROCPRIM_400000_NS6detail44device_merge_sort_compile_time_verifier_archINS1_11comp_targetILNS1_3genE4ELNS1_11target_archE910ELNS1_3gpuE8ELNS1_3repE0EEES8_NS1_28merge_sort_block_sort_configILj256ELj4ELNS0_20block_sort_algorithmE0EEENS0_14default_configENS1_37merge_sort_block_sort_config_selectorIslEENS1_38merge_sort_block_merge_config_selectorIslEEEEvv,comdat
.Lfunc_end1269:
	.size	_ZN7rocprim17ROCPRIM_400000_NS6detail44device_merge_sort_compile_time_verifier_archINS1_11comp_targetILNS1_3genE4ELNS1_11target_archE910ELNS1_3gpuE8ELNS1_3repE0EEES8_NS1_28merge_sort_block_sort_configILj256ELj4ELNS0_20block_sort_algorithmE0EEENS0_14default_configENS1_37merge_sort_block_sort_config_selectorIslEENS1_38merge_sort_block_merge_config_selectorIslEEEEvv, .Lfunc_end1269-_ZN7rocprim17ROCPRIM_400000_NS6detail44device_merge_sort_compile_time_verifier_archINS1_11comp_targetILNS1_3genE4ELNS1_11target_archE910ELNS1_3gpuE8ELNS1_3repE0EEES8_NS1_28merge_sort_block_sort_configILj256ELj4ELNS0_20block_sort_algorithmE0EEENS0_14default_configENS1_37merge_sort_block_sort_config_selectorIslEENS1_38merge_sort_block_merge_config_selectorIslEEEEvv
                                        ; -- End function
	.section	.AMDGPU.csdata,"",@progbits
; Kernel info:
; codeLenInByte = 4
; NumSgprs: 4
; NumVgprs: 0
; NumAgprs: 0
; TotalNumVgprs: 0
; ScratchSize: 0
; MemoryBound: 0
; FloatMode: 240
; IeeeMode: 1
; LDSByteSize: 0 bytes/workgroup (compile time only)
; SGPRBlocks: 0
; VGPRBlocks: 0
; NumSGPRsForWavesPerEU: 4
; NumVGPRsForWavesPerEU: 1
; AccumOffset: 4
; Occupancy: 8
; WaveLimiterHint : 0
; COMPUTE_PGM_RSRC2:SCRATCH_EN: 0
; COMPUTE_PGM_RSRC2:USER_SGPR: 4
; COMPUTE_PGM_RSRC2:TRAP_HANDLER: 0
; COMPUTE_PGM_RSRC2:TGID_X_EN: 1
; COMPUTE_PGM_RSRC2:TGID_Y_EN: 0
; COMPUTE_PGM_RSRC2:TGID_Z_EN: 0
; COMPUTE_PGM_RSRC2:TIDIG_COMP_CNT: 0
; COMPUTE_PGM_RSRC3_GFX90A:ACCUM_OFFSET: 0
; COMPUTE_PGM_RSRC3_GFX90A:TG_SPLIT: 0
	.section	.text._ZN7rocprim17ROCPRIM_400000_NS6detail44device_merge_sort_compile_time_verifier_archINS1_11comp_targetILNS1_3genE3ELNS1_11target_archE908ELNS1_3gpuE7ELNS1_3repE0EEES8_NS1_28merge_sort_block_sort_configILj256ELj4ELNS0_20block_sort_algorithmE0EEENS0_14default_configENS1_37merge_sort_block_sort_config_selectorIslEENS1_38merge_sort_block_merge_config_selectorIslEEEEvv,"axG",@progbits,_ZN7rocprim17ROCPRIM_400000_NS6detail44device_merge_sort_compile_time_verifier_archINS1_11comp_targetILNS1_3genE3ELNS1_11target_archE908ELNS1_3gpuE7ELNS1_3repE0EEES8_NS1_28merge_sort_block_sort_configILj256ELj4ELNS0_20block_sort_algorithmE0EEENS0_14default_configENS1_37merge_sort_block_sort_config_selectorIslEENS1_38merge_sort_block_merge_config_selectorIslEEEEvv,comdat
	.protected	_ZN7rocprim17ROCPRIM_400000_NS6detail44device_merge_sort_compile_time_verifier_archINS1_11comp_targetILNS1_3genE3ELNS1_11target_archE908ELNS1_3gpuE7ELNS1_3repE0EEES8_NS1_28merge_sort_block_sort_configILj256ELj4ELNS0_20block_sort_algorithmE0EEENS0_14default_configENS1_37merge_sort_block_sort_config_selectorIslEENS1_38merge_sort_block_merge_config_selectorIslEEEEvv ; -- Begin function _ZN7rocprim17ROCPRIM_400000_NS6detail44device_merge_sort_compile_time_verifier_archINS1_11comp_targetILNS1_3genE3ELNS1_11target_archE908ELNS1_3gpuE7ELNS1_3repE0EEES8_NS1_28merge_sort_block_sort_configILj256ELj4ELNS0_20block_sort_algorithmE0EEENS0_14default_configENS1_37merge_sort_block_sort_config_selectorIslEENS1_38merge_sort_block_merge_config_selectorIslEEEEvv
	.globl	_ZN7rocprim17ROCPRIM_400000_NS6detail44device_merge_sort_compile_time_verifier_archINS1_11comp_targetILNS1_3genE3ELNS1_11target_archE908ELNS1_3gpuE7ELNS1_3repE0EEES8_NS1_28merge_sort_block_sort_configILj256ELj4ELNS0_20block_sort_algorithmE0EEENS0_14default_configENS1_37merge_sort_block_sort_config_selectorIslEENS1_38merge_sort_block_merge_config_selectorIslEEEEvv
	.p2align	8
	.type	_ZN7rocprim17ROCPRIM_400000_NS6detail44device_merge_sort_compile_time_verifier_archINS1_11comp_targetILNS1_3genE3ELNS1_11target_archE908ELNS1_3gpuE7ELNS1_3repE0EEES8_NS1_28merge_sort_block_sort_configILj256ELj4ELNS0_20block_sort_algorithmE0EEENS0_14default_configENS1_37merge_sort_block_sort_config_selectorIslEENS1_38merge_sort_block_merge_config_selectorIslEEEEvv,@function
_ZN7rocprim17ROCPRIM_400000_NS6detail44device_merge_sort_compile_time_verifier_archINS1_11comp_targetILNS1_3genE3ELNS1_11target_archE908ELNS1_3gpuE7ELNS1_3repE0EEES8_NS1_28merge_sort_block_sort_configILj256ELj4ELNS0_20block_sort_algorithmE0EEENS0_14default_configENS1_37merge_sort_block_sort_config_selectorIslEENS1_38merge_sort_block_merge_config_selectorIslEEEEvv: ; @_ZN7rocprim17ROCPRIM_400000_NS6detail44device_merge_sort_compile_time_verifier_archINS1_11comp_targetILNS1_3genE3ELNS1_11target_archE908ELNS1_3gpuE7ELNS1_3repE0EEES8_NS1_28merge_sort_block_sort_configILj256ELj4ELNS0_20block_sort_algorithmE0EEENS0_14default_configENS1_37merge_sort_block_sort_config_selectorIslEENS1_38merge_sort_block_merge_config_selectorIslEEEEvv
; %bb.0:
	s_endpgm
	.section	.rodata,"a",@progbits
	.p2align	6, 0x0
	.amdhsa_kernel _ZN7rocprim17ROCPRIM_400000_NS6detail44device_merge_sort_compile_time_verifier_archINS1_11comp_targetILNS1_3genE3ELNS1_11target_archE908ELNS1_3gpuE7ELNS1_3repE0EEES8_NS1_28merge_sort_block_sort_configILj256ELj4ELNS0_20block_sort_algorithmE0EEENS0_14default_configENS1_37merge_sort_block_sort_config_selectorIslEENS1_38merge_sort_block_merge_config_selectorIslEEEEvv
		.amdhsa_group_segment_fixed_size 0
		.amdhsa_private_segment_fixed_size 0
		.amdhsa_kernarg_size 0
		.amdhsa_user_sgpr_count 4
		.amdhsa_user_sgpr_private_segment_buffer 1
		.amdhsa_user_sgpr_dispatch_ptr 0
		.amdhsa_user_sgpr_queue_ptr 0
		.amdhsa_user_sgpr_kernarg_segment_ptr 0
		.amdhsa_user_sgpr_dispatch_id 0
		.amdhsa_user_sgpr_flat_scratch_init 0
		.amdhsa_user_sgpr_kernarg_preload_length 0
		.amdhsa_user_sgpr_kernarg_preload_offset 0
		.amdhsa_user_sgpr_private_segment_size 0
		.amdhsa_uses_dynamic_stack 0
		.amdhsa_system_sgpr_private_segment_wavefront_offset 0
		.amdhsa_system_sgpr_workgroup_id_x 1
		.amdhsa_system_sgpr_workgroup_id_y 0
		.amdhsa_system_sgpr_workgroup_id_z 0
		.amdhsa_system_sgpr_workgroup_info 0
		.amdhsa_system_vgpr_workitem_id 0
		.amdhsa_next_free_vgpr 1
		.amdhsa_next_free_sgpr 0
		.amdhsa_accum_offset 4
		.amdhsa_reserve_vcc 0
		.amdhsa_reserve_flat_scratch 0
		.amdhsa_float_round_mode_32 0
		.amdhsa_float_round_mode_16_64 0
		.amdhsa_float_denorm_mode_32 3
		.amdhsa_float_denorm_mode_16_64 3
		.amdhsa_dx10_clamp 1
		.amdhsa_ieee_mode 1
		.amdhsa_fp16_overflow 0
		.amdhsa_tg_split 0
		.amdhsa_exception_fp_ieee_invalid_op 0
		.amdhsa_exception_fp_denorm_src 0
		.amdhsa_exception_fp_ieee_div_zero 0
		.amdhsa_exception_fp_ieee_overflow 0
		.amdhsa_exception_fp_ieee_underflow 0
		.amdhsa_exception_fp_ieee_inexact 0
		.amdhsa_exception_int_div_zero 0
	.end_amdhsa_kernel
	.section	.text._ZN7rocprim17ROCPRIM_400000_NS6detail44device_merge_sort_compile_time_verifier_archINS1_11comp_targetILNS1_3genE3ELNS1_11target_archE908ELNS1_3gpuE7ELNS1_3repE0EEES8_NS1_28merge_sort_block_sort_configILj256ELj4ELNS0_20block_sort_algorithmE0EEENS0_14default_configENS1_37merge_sort_block_sort_config_selectorIslEENS1_38merge_sort_block_merge_config_selectorIslEEEEvv,"axG",@progbits,_ZN7rocprim17ROCPRIM_400000_NS6detail44device_merge_sort_compile_time_verifier_archINS1_11comp_targetILNS1_3genE3ELNS1_11target_archE908ELNS1_3gpuE7ELNS1_3repE0EEES8_NS1_28merge_sort_block_sort_configILj256ELj4ELNS0_20block_sort_algorithmE0EEENS0_14default_configENS1_37merge_sort_block_sort_config_selectorIslEENS1_38merge_sort_block_merge_config_selectorIslEEEEvv,comdat
.Lfunc_end1270:
	.size	_ZN7rocprim17ROCPRIM_400000_NS6detail44device_merge_sort_compile_time_verifier_archINS1_11comp_targetILNS1_3genE3ELNS1_11target_archE908ELNS1_3gpuE7ELNS1_3repE0EEES8_NS1_28merge_sort_block_sort_configILj256ELj4ELNS0_20block_sort_algorithmE0EEENS0_14default_configENS1_37merge_sort_block_sort_config_selectorIslEENS1_38merge_sort_block_merge_config_selectorIslEEEEvv, .Lfunc_end1270-_ZN7rocprim17ROCPRIM_400000_NS6detail44device_merge_sort_compile_time_verifier_archINS1_11comp_targetILNS1_3genE3ELNS1_11target_archE908ELNS1_3gpuE7ELNS1_3repE0EEES8_NS1_28merge_sort_block_sort_configILj256ELj4ELNS0_20block_sort_algorithmE0EEENS0_14default_configENS1_37merge_sort_block_sort_config_selectorIslEENS1_38merge_sort_block_merge_config_selectorIslEEEEvv
                                        ; -- End function
	.section	.AMDGPU.csdata,"",@progbits
; Kernel info:
; codeLenInByte = 4
; NumSgprs: 4
; NumVgprs: 0
; NumAgprs: 0
; TotalNumVgprs: 0
; ScratchSize: 0
; MemoryBound: 0
; FloatMode: 240
; IeeeMode: 1
; LDSByteSize: 0 bytes/workgroup (compile time only)
; SGPRBlocks: 0
; VGPRBlocks: 0
; NumSGPRsForWavesPerEU: 4
; NumVGPRsForWavesPerEU: 1
; AccumOffset: 4
; Occupancy: 8
; WaveLimiterHint : 0
; COMPUTE_PGM_RSRC2:SCRATCH_EN: 0
; COMPUTE_PGM_RSRC2:USER_SGPR: 4
; COMPUTE_PGM_RSRC2:TRAP_HANDLER: 0
; COMPUTE_PGM_RSRC2:TGID_X_EN: 1
; COMPUTE_PGM_RSRC2:TGID_Y_EN: 0
; COMPUTE_PGM_RSRC2:TGID_Z_EN: 0
; COMPUTE_PGM_RSRC2:TIDIG_COMP_CNT: 0
; COMPUTE_PGM_RSRC3_GFX90A:ACCUM_OFFSET: 0
; COMPUTE_PGM_RSRC3_GFX90A:TG_SPLIT: 0
	.section	.text._ZN7rocprim17ROCPRIM_400000_NS6detail44device_merge_sort_compile_time_verifier_archINS1_11comp_targetILNS1_3genE2ELNS1_11target_archE906ELNS1_3gpuE6ELNS1_3repE0EEES8_NS1_28merge_sort_block_sort_configILj256ELj4ELNS0_20block_sort_algorithmE0EEENS0_14default_configENS1_37merge_sort_block_sort_config_selectorIslEENS1_38merge_sort_block_merge_config_selectorIslEEEEvv,"axG",@progbits,_ZN7rocprim17ROCPRIM_400000_NS6detail44device_merge_sort_compile_time_verifier_archINS1_11comp_targetILNS1_3genE2ELNS1_11target_archE906ELNS1_3gpuE6ELNS1_3repE0EEES8_NS1_28merge_sort_block_sort_configILj256ELj4ELNS0_20block_sort_algorithmE0EEENS0_14default_configENS1_37merge_sort_block_sort_config_selectorIslEENS1_38merge_sort_block_merge_config_selectorIslEEEEvv,comdat
	.protected	_ZN7rocprim17ROCPRIM_400000_NS6detail44device_merge_sort_compile_time_verifier_archINS1_11comp_targetILNS1_3genE2ELNS1_11target_archE906ELNS1_3gpuE6ELNS1_3repE0EEES8_NS1_28merge_sort_block_sort_configILj256ELj4ELNS0_20block_sort_algorithmE0EEENS0_14default_configENS1_37merge_sort_block_sort_config_selectorIslEENS1_38merge_sort_block_merge_config_selectorIslEEEEvv ; -- Begin function _ZN7rocprim17ROCPRIM_400000_NS6detail44device_merge_sort_compile_time_verifier_archINS1_11comp_targetILNS1_3genE2ELNS1_11target_archE906ELNS1_3gpuE6ELNS1_3repE0EEES8_NS1_28merge_sort_block_sort_configILj256ELj4ELNS0_20block_sort_algorithmE0EEENS0_14default_configENS1_37merge_sort_block_sort_config_selectorIslEENS1_38merge_sort_block_merge_config_selectorIslEEEEvv
	.globl	_ZN7rocprim17ROCPRIM_400000_NS6detail44device_merge_sort_compile_time_verifier_archINS1_11comp_targetILNS1_3genE2ELNS1_11target_archE906ELNS1_3gpuE6ELNS1_3repE0EEES8_NS1_28merge_sort_block_sort_configILj256ELj4ELNS0_20block_sort_algorithmE0EEENS0_14default_configENS1_37merge_sort_block_sort_config_selectorIslEENS1_38merge_sort_block_merge_config_selectorIslEEEEvv
	.p2align	8
	.type	_ZN7rocprim17ROCPRIM_400000_NS6detail44device_merge_sort_compile_time_verifier_archINS1_11comp_targetILNS1_3genE2ELNS1_11target_archE906ELNS1_3gpuE6ELNS1_3repE0EEES8_NS1_28merge_sort_block_sort_configILj256ELj4ELNS0_20block_sort_algorithmE0EEENS0_14default_configENS1_37merge_sort_block_sort_config_selectorIslEENS1_38merge_sort_block_merge_config_selectorIslEEEEvv,@function
_ZN7rocprim17ROCPRIM_400000_NS6detail44device_merge_sort_compile_time_verifier_archINS1_11comp_targetILNS1_3genE2ELNS1_11target_archE906ELNS1_3gpuE6ELNS1_3repE0EEES8_NS1_28merge_sort_block_sort_configILj256ELj4ELNS0_20block_sort_algorithmE0EEENS0_14default_configENS1_37merge_sort_block_sort_config_selectorIslEENS1_38merge_sort_block_merge_config_selectorIslEEEEvv: ; @_ZN7rocprim17ROCPRIM_400000_NS6detail44device_merge_sort_compile_time_verifier_archINS1_11comp_targetILNS1_3genE2ELNS1_11target_archE906ELNS1_3gpuE6ELNS1_3repE0EEES8_NS1_28merge_sort_block_sort_configILj256ELj4ELNS0_20block_sort_algorithmE0EEENS0_14default_configENS1_37merge_sort_block_sort_config_selectorIslEENS1_38merge_sort_block_merge_config_selectorIslEEEEvv
; %bb.0:
	s_endpgm
	.section	.rodata,"a",@progbits
	.p2align	6, 0x0
	.amdhsa_kernel _ZN7rocprim17ROCPRIM_400000_NS6detail44device_merge_sort_compile_time_verifier_archINS1_11comp_targetILNS1_3genE2ELNS1_11target_archE906ELNS1_3gpuE6ELNS1_3repE0EEES8_NS1_28merge_sort_block_sort_configILj256ELj4ELNS0_20block_sort_algorithmE0EEENS0_14default_configENS1_37merge_sort_block_sort_config_selectorIslEENS1_38merge_sort_block_merge_config_selectorIslEEEEvv
		.amdhsa_group_segment_fixed_size 0
		.amdhsa_private_segment_fixed_size 0
		.amdhsa_kernarg_size 0
		.amdhsa_user_sgpr_count 4
		.amdhsa_user_sgpr_private_segment_buffer 1
		.amdhsa_user_sgpr_dispatch_ptr 0
		.amdhsa_user_sgpr_queue_ptr 0
		.amdhsa_user_sgpr_kernarg_segment_ptr 0
		.amdhsa_user_sgpr_dispatch_id 0
		.amdhsa_user_sgpr_flat_scratch_init 0
		.amdhsa_user_sgpr_kernarg_preload_length 0
		.amdhsa_user_sgpr_kernarg_preload_offset 0
		.amdhsa_user_sgpr_private_segment_size 0
		.amdhsa_uses_dynamic_stack 0
		.amdhsa_system_sgpr_private_segment_wavefront_offset 0
		.amdhsa_system_sgpr_workgroup_id_x 1
		.amdhsa_system_sgpr_workgroup_id_y 0
		.amdhsa_system_sgpr_workgroup_id_z 0
		.amdhsa_system_sgpr_workgroup_info 0
		.amdhsa_system_vgpr_workitem_id 0
		.amdhsa_next_free_vgpr 1
		.amdhsa_next_free_sgpr 0
		.amdhsa_accum_offset 4
		.amdhsa_reserve_vcc 0
		.amdhsa_reserve_flat_scratch 0
		.amdhsa_float_round_mode_32 0
		.amdhsa_float_round_mode_16_64 0
		.amdhsa_float_denorm_mode_32 3
		.amdhsa_float_denorm_mode_16_64 3
		.amdhsa_dx10_clamp 1
		.amdhsa_ieee_mode 1
		.amdhsa_fp16_overflow 0
		.amdhsa_tg_split 0
		.amdhsa_exception_fp_ieee_invalid_op 0
		.amdhsa_exception_fp_denorm_src 0
		.amdhsa_exception_fp_ieee_div_zero 0
		.amdhsa_exception_fp_ieee_overflow 0
		.amdhsa_exception_fp_ieee_underflow 0
		.amdhsa_exception_fp_ieee_inexact 0
		.amdhsa_exception_int_div_zero 0
	.end_amdhsa_kernel
	.section	.text._ZN7rocprim17ROCPRIM_400000_NS6detail44device_merge_sort_compile_time_verifier_archINS1_11comp_targetILNS1_3genE2ELNS1_11target_archE906ELNS1_3gpuE6ELNS1_3repE0EEES8_NS1_28merge_sort_block_sort_configILj256ELj4ELNS0_20block_sort_algorithmE0EEENS0_14default_configENS1_37merge_sort_block_sort_config_selectorIslEENS1_38merge_sort_block_merge_config_selectorIslEEEEvv,"axG",@progbits,_ZN7rocprim17ROCPRIM_400000_NS6detail44device_merge_sort_compile_time_verifier_archINS1_11comp_targetILNS1_3genE2ELNS1_11target_archE906ELNS1_3gpuE6ELNS1_3repE0EEES8_NS1_28merge_sort_block_sort_configILj256ELj4ELNS0_20block_sort_algorithmE0EEENS0_14default_configENS1_37merge_sort_block_sort_config_selectorIslEENS1_38merge_sort_block_merge_config_selectorIslEEEEvv,comdat
.Lfunc_end1271:
	.size	_ZN7rocprim17ROCPRIM_400000_NS6detail44device_merge_sort_compile_time_verifier_archINS1_11comp_targetILNS1_3genE2ELNS1_11target_archE906ELNS1_3gpuE6ELNS1_3repE0EEES8_NS1_28merge_sort_block_sort_configILj256ELj4ELNS0_20block_sort_algorithmE0EEENS0_14default_configENS1_37merge_sort_block_sort_config_selectorIslEENS1_38merge_sort_block_merge_config_selectorIslEEEEvv, .Lfunc_end1271-_ZN7rocprim17ROCPRIM_400000_NS6detail44device_merge_sort_compile_time_verifier_archINS1_11comp_targetILNS1_3genE2ELNS1_11target_archE906ELNS1_3gpuE6ELNS1_3repE0EEES8_NS1_28merge_sort_block_sort_configILj256ELj4ELNS0_20block_sort_algorithmE0EEENS0_14default_configENS1_37merge_sort_block_sort_config_selectorIslEENS1_38merge_sort_block_merge_config_selectorIslEEEEvv
                                        ; -- End function
	.section	.AMDGPU.csdata,"",@progbits
; Kernel info:
; codeLenInByte = 4
; NumSgprs: 4
; NumVgprs: 0
; NumAgprs: 0
; TotalNumVgprs: 0
; ScratchSize: 0
; MemoryBound: 0
; FloatMode: 240
; IeeeMode: 1
; LDSByteSize: 0 bytes/workgroup (compile time only)
; SGPRBlocks: 0
; VGPRBlocks: 0
; NumSGPRsForWavesPerEU: 4
; NumVGPRsForWavesPerEU: 1
; AccumOffset: 4
; Occupancy: 8
; WaveLimiterHint : 0
; COMPUTE_PGM_RSRC2:SCRATCH_EN: 0
; COMPUTE_PGM_RSRC2:USER_SGPR: 4
; COMPUTE_PGM_RSRC2:TRAP_HANDLER: 0
; COMPUTE_PGM_RSRC2:TGID_X_EN: 1
; COMPUTE_PGM_RSRC2:TGID_Y_EN: 0
; COMPUTE_PGM_RSRC2:TGID_Z_EN: 0
; COMPUTE_PGM_RSRC2:TIDIG_COMP_CNT: 0
; COMPUTE_PGM_RSRC3_GFX90A:ACCUM_OFFSET: 0
; COMPUTE_PGM_RSRC3_GFX90A:TG_SPLIT: 0
	.section	.text._ZN7rocprim17ROCPRIM_400000_NS6detail44device_merge_sort_compile_time_verifier_archINS1_11comp_targetILNS1_3genE10ELNS1_11target_archE1201ELNS1_3gpuE5ELNS1_3repE0EEES8_NS1_28merge_sort_block_sort_configILj256ELj4ELNS0_20block_sort_algorithmE0EEENS0_14default_configENS1_37merge_sort_block_sort_config_selectorIslEENS1_38merge_sort_block_merge_config_selectorIslEEEEvv,"axG",@progbits,_ZN7rocprim17ROCPRIM_400000_NS6detail44device_merge_sort_compile_time_verifier_archINS1_11comp_targetILNS1_3genE10ELNS1_11target_archE1201ELNS1_3gpuE5ELNS1_3repE0EEES8_NS1_28merge_sort_block_sort_configILj256ELj4ELNS0_20block_sort_algorithmE0EEENS0_14default_configENS1_37merge_sort_block_sort_config_selectorIslEENS1_38merge_sort_block_merge_config_selectorIslEEEEvv,comdat
	.protected	_ZN7rocprim17ROCPRIM_400000_NS6detail44device_merge_sort_compile_time_verifier_archINS1_11comp_targetILNS1_3genE10ELNS1_11target_archE1201ELNS1_3gpuE5ELNS1_3repE0EEES8_NS1_28merge_sort_block_sort_configILj256ELj4ELNS0_20block_sort_algorithmE0EEENS0_14default_configENS1_37merge_sort_block_sort_config_selectorIslEENS1_38merge_sort_block_merge_config_selectorIslEEEEvv ; -- Begin function _ZN7rocprim17ROCPRIM_400000_NS6detail44device_merge_sort_compile_time_verifier_archINS1_11comp_targetILNS1_3genE10ELNS1_11target_archE1201ELNS1_3gpuE5ELNS1_3repE0EEES8_NS1_28merge_sort_block_sort_configILj256ELj4ELNS0_20block_sort_algorithmE0EEENS0_14default_configENS1_37merge_sort_block_sort_config_selectorIslEENS1_38merge_sort_block_merge_config_selectorIslEEEEvv
	.globl	_ZN7rocprim17ROCPRIM_400000_NS6detail44device_merge_sort_compile_time_verifier_archINS1_11comp_targetILNS1_3genE10ELNS1_11target_archE1201ELNS1_3gpuE5ELNS1_3repE0EEES8_NS1_28merge_sort_block_sort_configILj256ELj4ELNS0_20block_sort_algorithmE0EEENS0_14default_configENS1_37merge_sort_block_sort_config_selectorIslEENS1_38merge_sort_block_merge_config_selectorIslEEEEvv
	.p2align	8
	.type	_ZN7rocprim17ROCPRIM_400000_NS6detail44device_merge_sort_compile_time_verifier_archINS1_11comp_targetILNS1_3genE10ELNS1_11target_archE1201ELNS1_3gpuE5ELNS1_3repE0EEES8_NS1_28merge_sort_block_sort_configILj256ELj4ELNS0_20block_sort_algorithmE0EEENS0_14default_configENS1_37merge_sort_block_sort_config_selectorIslEENS1_38merge_sort_block_merge_config_selectorIslEEEEvv,@function
_ZN7rocprim17ROCPRIM_400000_NS6detail44device_merge_sort_compile_time_verifier_archINS1_11comp_targetILNS1_3genE10ELNS1_11target_archE1201ELNS1_3gpuE5ELNS1_3repE0EEES8_NS1_28merge_sort_block_sort_configILj256ELj4ELNS0_20block_sort_algorithmE0EEENS0_14default_configENS1_37merge_sort_block_sort_config_selectorIslEENS1_38merge_sort_block_merge_config_selectorIslEEEEvv: ; @_ZN7rocprim17ROCPRIM_400000_NS6detail44device_merge_sort_compile_time_verifier_archINS1_11comp_targetILNS1_3genE10ELNS1_11target_archE1201ELNS1_3gpuE5ELNS1_3repE0EEES8_NS1_28merge_sort_block_sort_configILj256ELj4ELNS0_20block_sort_algorithmE0EEENS0_14default_configENS1_37merge_sort_block_sort_config_selectorIslEENS1_38merge_sort_block_merge_config_selectorIslEEEEvv
; %bb.0:
	s_endpgm
	.section	.rodata,"a",@progbits
	.p2align	6, 0x0
	.amdhsa_kernel _ZN7rocprim17ROCPRIM_400000_NS6detail44device_merge_sort_compile_time_verifier_archINS1_11comp_targetILNS1_3genE10ELNS1_11target_archE1201ELNS1_3gpuE5ELNS1_3repE0EEES8_NS1_28merge_sort_block_sort_configILj256ELj4ELNS0_20block_sort_algorithmE0EEENS0_14default_configENS1_37merge_sort_block_sort_config_selectorIslEENS1_38merge_sort_block_merge_config_selectorIslEEEEvv
		.amdhsa_group_segment_fixed_size 0
		.amdhsa_private_segment_fixed_size 0
		.amdhsa_kernarg_size 0
		.amdhsa_user_sgpr_count 4
		.amdhsa_user_sgpr_private_segment_buffer 1
		.amdhsa_user_sgpr_dispatch_ptr 0
		.amdhsa_user_sgpr_queue_ptr 0
		.amdhsa_user_sgpr_kernarg_segment_ptr 0
		.amdhsa_user_sgpr_dispatch_id 0
		.amdhsa_user_sgpr_flat_scratch_init 0
		.amdhsa_user_sgpr_kernarg_preload_length 0
		.amdhsa_user_sgpr_kernarg_preload_offset 0
		.amdhsa_user_sgpr_private_segment_size 0
		.amdhsa_uses_dynamic_stack 0
		.amdhsa_system_sgpr_private_segment_wavefront_offset 0
		.amdhsa_system_sgpr_workgroup_id_x 1
		.amdhsa_system_sgpr_workgroup_id_y 0
		.amdhsa_system_sgpr_workgroup_id_z 0
		.amdhsa_system_sgpr_workgroup_info 0
		.amdhsa_system_vgpr_workitem_id 0
		.amdhsa_next_free_vgpr 1
		.amdhsa_next_free_sgpr 0
		.amdhsa_accum_offset 4
		.amdhsa_reserve_vcc 0
		.amdhsa_reserve_flat_scratch 0
		.amdhsa_float_round_mode_32 0
		.amdhsa_float_round_mode_16_64 0
		.amdhsa_float_denorm_mode_32 3
		.amdhsa_float_denorm_mode_16_64 3
		.amdhsa_dx10_clamp 1
		.amdhsa_ieee_mode 1
		.amdhsa_fp16_overflow 0
		.amdhsa_tg_split 0
		.amdhsa_exception_fp_ieee_invalid_op 0
		.amdhsa_exception_fp_denorm_src 0
		.amdhsa_exception_fp_ieee_div_zero 0
		.amdhsa_exception_fp_ieee_overflow 0
		.amdhsa_exception_fp_ieee_underflow 0
		.amdhsa_exception_fp_ieee_inexact 0
		.amdhsa_exception_int_div_zero 0
	.end_amdhsa_kernel
	.section	.text._ZN7rocprim17ROCPRIM_400000_NS6detail44device_merge_sort_compile_time_verifier_archINS1_11comp_targetILNS1_3genE10ELNS1_11target_archE1201ELNS1_3gpuE5ELNS1_3repE0EEES8_NS1_28merge_sort_block_sort_configILj256ELj4ELNS0_20block_sort_algorithmE0EEENS0_14default_configENS1_37merge_sort_block_sort_config_selectorIslEENS1_38merge_sort_block_merge_config_selectorIslEEEEvv,"axG",@progbits,_ZN7rocprim17ROCPRIM_400000_NS6detail44device_merge_sort_compile_time_verifier_archINS1_11comp_targetILNS1_3genE10ELNS1_11target_archE1201ELNS1_3gpuE5ELNS1_3repE0EEES8_NS1_28merge_sort_block_sort_configILj256ELj4ELNS0_20block_sort_algorithmE0EEENS0_14default_configENS1_37merge_sort_block_sort_config_selectorIslEENS1_38merge_sort_block_merge_config_selectorIslEEEEvv,comdat
.Lfunc_end1272:
	.size	_ZN7rocprim17ROCPRIM_400000_NS6detail44device_merge_sort_compile_time_verifier_archINS1_11comp_targetILNS1_3genE10ELNS1_11target_archE1201ELNS1_3gpuE5ELNS1_3repE0EEES8_NS1_28merge_sort_block_sort_configILj256ELj4ELNS0_20block_sort_algorithmE0EEENS0_14default_configENS1_37merge_sort_block_sort_config_selectorIslEENS1_38merge_sort_block_merge_config_selectorIslEEEEvv, .Lfunc_end1272-_ZN7rocprim17ROCPRIM_400000_NS6detail44device_merge_sort_compile_time_verifier_archINS1_11comp_targetILNS1_3genE10ELNS1_11target_archE1201ELNS1_3gpuE5ELNS1_3repE0EEES8_NS1_28merge_sort_block_sort_configILj256ELj4ELNS0_20block_sort_algorithmE0EEENS0_14default_configENS1_37merge_sort_block_sort_config_selectorIslEENS1_38merge_sort_block_merge_config_selectorIslEEEEvv
                                        ; -- End function
	.section	.AMDGPU.csdata,"",@progbits
; Kernel info:
; codeLenInByte = 4
; NumSgprs: 4
; NumVgprs: 0
; NumAgprs: 0
; TotalNumVgprs: 0
; ScratchSize: 0
; MemoryBound: 0
; FloatMode: 240
; IeeeMode: 1
; LDSByteSize: 0 bytes/workgroup (compile time only)
; SGPRBlocks: 0
; VGPRBlocks: 0
; NumSGPRsForWavesPerEU: 4
; NumVGPRsForWavesPerEU: 1
; AccumOffset: 4
; Occupancy: 8
; WaveLimiterHint : 0
; COMPUTE_PGM_RSRC2:SCRATCH_EN: 0
; COMPUTE_PGM_RSRC2:USER_SGPR: 4
; COMPUTE_PGM_RSRC2:TRAP_HANDLER: 0
; COMPUTE_PGM_RSRC2:TGID_X_EN: 1
; COMPUTE_PGM_RSRC2:TGID_Y_EN: 0
; COMPUTE_PGM_RSRC2:TGID_Z_EN: 0
; COMPUTE_PGM_RSRC2:TIDIG_COMP_CNT: 0
; COMPUTE_PGM_RSRC3_GFX90A:ACCUM_OFFSET: 0
; COMPUTE_PGM_RSRC3_GFX90A:TG_SPLIT: 0
	.section	.text._ZN7rocprim17ROCPRIM_400000_NS6detail44device_merge_sort_compile_time_verifier_archINS1_11comp_targetILNS1_3genE10ELNS1_11target_archE1200ELNS1_3gpuE4ELNS1_3repE0EEENS3_ILS4_10ELS5_1201ELS6_5ELS7_0EEENS1_28merge_sort_block_sort_configILj256ELj4ELNS0_20block_sort_algorithmE0EEENS0_14default_configENS1_37merge_sort_block_sort_config_selectorIslEENS1_38merge_sort_block_merge_config_selectorIslEEEEvv,"axG",@progbits,_ZN7rocprim17ROCPRIM_400000_NS6detail44device_merge_sort_compile_time_verifier_archINS1_11comp_targetILNS1_3genE10ELNS1_11target_archE1200ELNS1_3gpuE4ELNS1_3repE0EEENS3_ILS4_10ELS5_1201ELS6_5ELS7_0EEENS1_28merge_sort_block_sort_configILj256ELj4ELNS0_20block_sort_algorithmE0EEENS0_14default_configENS1_37merge_sort_block_sort_config_selectorIslEENS1_38merge_sort_block_merge_config_selectorIslEEEEvv,comdat
	.protected	_ZN7rocprim17ROCPRIM_400000_NS6detail44device_merge_sort_compile_time_verifier_archINS1_11comp_targetILNS1_3genE10ELNS1_11target_archE1200ELNS1_3gpuE4ELNS1_3repE0EEENS3_ILS4_10ELS5_1201ELS6_5ELS7_0EEENS1_28merge_sort_block_sort_configILj256ELj4ELNS0_20block_sort_algorithmE0EEENS0_14default_configENS1_37merge_sort_block_sort_config_selectorIslEENS1_38merge_sort_block_merge_config_selectorIslEEEEvv ; -- Begin function _ZN7rocprim17ROCPRIM_400000_NS6detail44device_merge_sort_compile_time_verifier_archINS1_11comp_targetILNS1_3genE10ELNS1_11target_archE1200ELNS1_3gpuE4ELNS1_3repE0EEENS3_ILS4_10ELS5_1201ELS6_5ELS7_0EEENS1_28merge_sort_block_sort_configILj256ELj4ELNS0_20block_sort_algorithmE0EEENS0_14default_configENS1_37merge_sort_block_sort_config_selectorIslEENS1_38merge_sort_block_merge_config_selectorIslEEEEvv
	.globl	_ZN7rocprim17ROCPRIM_400000_NS6detail44device_merge_sort_compile_time_verifier_archINS1_11comp_targetILNS1_3genE10ELNS1_11target_archE1200ELNS1_3gpuE4ELNS1_3repE0EEENS3_ILS4_10ELS5_1201ELS6_5ELS7_0EEENS1_28merge_sort_block_sort_configILj256ELj4ELNS0_20block_sort_algorithmE0EEENS0_14default_configENS1_37merge_sort_block_sort_config_selectorIslEENS1_38merge_sort_block_merge_config_selectorIslEEEEvv
	.p2align	8
	.type	_ZN7rocprim17ROCPRIM_400000_NS6detail44device_merge_sort_compile_time_verifier_archINS1_11comp_targetILNS1_3genE10ELNS1_11target_archE1200ELNS1_3gpuE4ELNS1_3repE0EEENS3_ILS4_10ELS5_1201ELS6_5ELS7_0EEENS1_28merge_sort_block_sort_configILj256ELj4ELNS0_20block_sort_algorithmE0EEENS0_14default_configENS1_37merge_sort_block_sort_config_selectorIslEENS1_38merge_sort_block_merge_config_selectorIslEEEEvv,@function
_ZN7rocprim17ROCPRIM_400000_NS6detail44device_merge_sort_compile_time_verifier_archINS1_11comp_targetILNS1_3genE10ELNS1_11target_archE1200ELNS1_3gpuE4ELNS1_3repE0EEENS3_ILS4_10ELS5_1201ELS6_5ELS7_0EEENS1_28merge_sort_block_sort_configILj256ELj4ELNS0_20block_sort_algorithmE0EEENS0_14default_configENS1_37merge_sort_block_sort_config_selectorIslEENS1_38merge_sort_block_merge_config_selectorIslEEEEvv: ; @_ZN7rocprim17ROCPRIM_400000_NS6detail44device_merge_sort_compile_time_verifier_archINS1_11comp_targetILNS1_3genE10ELNS1_11target_archE1200ELNS1_3gpuE4ELNS1_3repE0EEENS3_ILS4_10ELS5_1201ELS6_5ELS7_0EEENS1_28merge_sort_block_sort_configILj256ELj4ELNS0_20block_sort_algorithmE0EEENS0_14default_configENS1_37merge_sort_block_sort_config_selectorIslEENS1_38merge_sort_block_merge_config_selectorIslEEEEvv
; %bb.0:
	s_endpgm
	.section	.rodata,"a",@progbits
	.p2align	6, 0x0
	.amdhsa_kernel _ZN7rocprim17ROCPRIM_400000_NS6detail44device_merge_sort_compile_time_verifier_archINS1_11comp_targetILNS1_3genE10ELNS1_11target_archE1200ELNS1_3gpuE4ELNS1_3repE0EEENS3_ILS4_10ELS5_1201ELS6_5ELS7_0EEENS1_28merge_sort_block_sort_configILj256ELj4ELNS0_20block_sort_algorithmE0EEENS0_14default_configENS1_37merge_sort_block_sort_config_selectorIslEENS1_38merge_sort_block_merge_config_selectorIslEEEEvv
		.amdhsa_group_segment_fixed_size 0
		.amdhsa_private_segment_fixed_size 0
		.amdhsa_kernarg_size 0
		.amdhsa_user_sgpr_count 4
		.amdhsa_user_sgpr_private_segment_buffer 1
		.amdhsa_user_sgpr_dispatch_ptr 0
		.amdhsa_user_sgpr_queue_ptr 0
		.amdhsa_user_sgpr_kernarg_segment_ptr 0
		.amdhsa_user_sgpr_dispatch_id 0
		.amdhsa_user_sgpr_flat_scratch_init 0
		.amdhsa_user_sgpr_kernarg_preload_length 0
		.amdhsa_user_sgpr_kernarg_preload_offset 0
		.amdhsa_user_sgpr_private_segment_size 0
		.amdhsa_uses_dynamic_stack 0
		.amdhsa_system_sgpr_private_segment_wavefront_offset 0
		.amdhsa_system_sgpr_workgroup_id_x 1
		.amdhsa_system_sgpr_workgroup_id_y 0
		.amdhsa_system_sgpr_workgroup_id_z 0
		.amdhsa_system_sgpr_workgroup_info 0
		.amdhsa_system_vgpr_workitem_id 0
		.amdhsa_next_free_vgpr 1
		.amdhsa_next_free_sgpr 0
		.amdhsa_accum_offset 4
		.amdhsa_reserve_vcc 0
		.amdhsa_reserve_flat_scratch 0
		.amdhsa_float_round_mode_32 0
		.amdhsa_float_round_mode_16_64 0
		.amdhsa_float_denorm_mode_32 3
		.amdhsa_float_denorm_mode_16_64 3
		.amdhsa_dx10_clamp 1
		.amdhsa_ieee_mode 1
		.amdhsa_fp16_overflow 0
		.amdhsa_tg_split 0
		.amdhsa_exception_fp_ieee_invalid_op 0
		.amdhsa_exception_fp_denorm_src 0
		.amdhsa_exception_fp_ieee_div_zero 0
		.amdhsa_exception_fp_ieee_overflow 0
		.amdhsa_exception_fp_ieee_underflow 0
		.amdhsa_exception_fp_ieee_inexact 0
		.amdhsa_exception_int_div_zero 0
	.end_amdhsa_kernel
	.section	.text._ZN7rocprim17ROCPRIM_400000_NS6detail44device_merge_sort_compile_time_verifier_archINS1_11comp_targetILNS1_3genE10ELNS1_11target_archE1200ELNS1_3gpuE4ELNS1_3repE0EEENS3_ILS4_10ELS5_1201ELS6_5ELS7_0EEENS1_28merge_sort_block_sort_configILj256ELj4ELNS0_20block_sort_algorithmE0EEENS0_14default_configENS1_37merge_sort_block_sort_config_selectorIslEENS1_38merge_sort_block_merge_config_selectorIslEEEEvv,"axG",@progbits,_ZN7rocprim17ROCPRIM_400000_NS6detail44device_merge_sort_compile_time_verifier_archINS1_11comp_targetILNS1_3genE10ELNS1_11target_archE1200ELNS1_3gpuE4ELNS1_3repE0EEENS3_ILS4_10ELS5_1201ELS6_5ELS7_0EEENS1_28merge_sort_block_sort_configILj256ELj4ELNS0_20block_sort_algorithmE0EEENS0_14default_configENS1_37merge_sort_block_sort_config_selectorIslEENS1_38merge_sort_block_merge_config_selectorIslEEEEvv,comdat
.Lfunc_end1273:
	.size	_ZN7rocprim17ROCPRIM_400000_NS6detail44device_merge_sort_compile_time_verifier_archINS1_11comp_targetILNS1_3genE10ELNS1_11target_archE1200ELNS1_3gpuE4ELNS1_3repE0EEENS3_ILS4_10ELS5_1201ELS6_5ELS7_0EEENS1_28merge_sort_block_sort_configILj256ELj4ELNS0_20block_sort_algorithmE0EEENS0_14default_configENS1_37merge_sort_block_sort_config_selectorIslEENS1_38merge_sort_block_merge_config_selectorIslEEEEvv, .Lfunc_end1273-_ZN7rocprim17ROCPRIM_400000_NS6detail44device_merge_sort_compile_time_verifier_archINS1_11comp_targetILNS1_3genE10ELNS1_11target_archE1200ELNS1_3gpuE4ELNS1_3repE0EEENS3_ILS4_10ELS5_1201ELS6_5ELS7_0EEENS1_28merge_sort_block_sort_configILj256ELj4ELNS0_20block_sort_algorithmE0EEENS0_14default_configENS1_37merge_sort_block_sort_config_selectorIslEENS1_38merge_sort_block_merge_config_selectorIslEEEEvv
                                        ; -- End function
	.section	.AMDGPU.csdata,"",@progbits
; Kernel info:
; codeLenInByte = 4
; NumSgprs: 4
; NumVgprs: 0
; NumAgprs: 0
; TotalNumVgprs: 0
; ScratchSize: 0
; MemoryBound: 0
; FloatMode: 240
; IeeeMode: 1
; LDSByteSize: 0 bytes/workgroup (compile time only)
; SGPRBlocks: 0
; VGPRBlocks: 0
; NumSGPRsForWavesPerEU: 4
; NumVGPRsForWavesPerEU: 1
; AccumOffset: 4
; Occupancy: 8
; WaveLimiterHint : 0
; COMPUTE_PGM_RSRC2:SCRATCH_EN: 0
; COMPUTE_PGM_RSRC2:USER_SGPR: 4
; COMPUTE_PGM_RSRC2:TRAP_HANDLER: 0
; COMPUTE_PGM_RSRC2:TGID_X_EN: 1
; COMPUTE_PGM_RSRC2:TGID_Y_EN: 0
; COMPUTE_PGM_RSRC2:TGID_Z_EN: 0
; COMPUTE_PGM_RSRC2:TIDIG_COMP_CNT: 0
; COMPUTE_PGM_RSRC3_GFX90A:ACCUM_OFFSET: 0
; COMPUTE_PGM_RSRC3_GFX90A:TG_SPLIT: 0
	.section	.text._ZN7rocprim17ROCPRIM_400000_NS6detail44device_merge_sort_compile_time_verifier_archINS1_11comp_targetILNS1_3genE9ELNS1_11target_archE1100ELNS1_3gpuE3ELNS1_3repE0EEES8_NS1_28merge_sort_block_sort_configILj256ELj4ELNS0_20block_sort_algorithmE0EEENS0_14default_configENS1_37merge_sort_block_sort_config_selectorIslEENS1_38merge_sort_block_merge_config_selectorIslEEEEvv,"axG",@progbits,_ZN7rocprim17ROCPRIM_400000_NS6detail44device_merge_sort_compile_time_verifier_archINS1_11comp_targetILNS1_3genE9ELNS1_11target_archE1100ELNS1_3gpuE3ELNS1_3repE0EEES8_NS1_28merge_sort_block_sort_configILj256ELj4ELNS0_20block_sort_algorithmE0EEENS0_14default_configENS1_37merge_sort_block_sort_config_selectorIslEENS1_38merge_sort_block_merge_config_selectorIslEEEEvv,comdat
	.protected	_ZN7rocprim17ROCPRIM_400000_NS6detail44device_merge_sort_compile_time_verifier_archINS1_11comp_targetILNS1_3genE9ELNS1_11target_archE1100ELNS1_3gpuE3ELNS1_3repE0EEES8_NS1_28merge_sort_block_sort_configILj256ELj4ELNS0_20block_sort_algorithmE0EEENS0_14default_configENS1_37merge_sort_block_sort_config_selectorIslEENS1_38merge_sort_block_merge_config_selectorIslEEEEvv ; -- Begin function _ZN7rocprim17ROCPRIM_400000_NS6detail44device_merge_sort_compile_time_verifier_archINS1_11comp_targetILNS1_3genE9ELNS1_11target_archE1100ELNS1_3gpuE3ELNS1_3repE0EEES8_NS1_28merge_sort_block_sort_configILj256ELj4ELNS0_20block_sort_algorithmE0EEENS0_14default_configENS1_37merge_sort_block_sort_config_selectorIslEENS1_38merge_sort_block_merge_config_selectorIslEEEEvv
	.globl	_ZN7rocprim17ROCPRIM_400000_NS6detail44device_merge_sort_compile_time_verifier_archINS1_11comp_targetILNS1_3genE9ELNS1_11target_archE1100ELNS1_3gpuE3ELNS1_3repE0EEES8_NS1_28merge_sort_block_sort_configILj256ELj4ELNS0_20block_sort_algorithmE0EEENS0_14default_configENS1_37merge_sort_block_sort_config_selectorIslEENS1_38merge_sort_block_merge_config_selectorIslEEEEvv
	.p2align	8
	.type	_ZN7rocprim17ROCPRIM_400000_NS6detail44device_merge_sort_compile_time_verifier_archINS1_11comp_targetILNS1_3genE9ELNS1_11target_archE1100ELNS1_3gpuE3ELNS1_3repE0EEES8_NS1_28merge_sort_block_sort_configILj256ELj4ELNS0_20block_sort_algorithmE0EEENS0_14default_configENS1_37merge_sort_block_sort_config_selectorIslEENS1_38merge_sort_block_merge_config_selectorIslEEEEvv,@function
_ZN7rocprim17ROCPRIM_400000_NS6detail44device_merge_sort_compile_time_verifier_archINS1_11comp_targetILNS1_3genE9ELNS1_11target_archE1100ELNS1_3gpuE3ELNS1_3repE0EEES8_NS1_28merge_sort_block_sort_configILj256ELj4ELNS0_20block_sort_algorithmE0EEENS0_14default_configENS1_37merge_sort_block_sort_config_selectorIslEENS1_38merge_sort_block_merge_config_selectorIslEEEEvv: ; @_ZN7rocprim17ROCPRIM_400000_NS6detail44device_merge_sort_compile_time_verifier_archINS1_11comp_targetILNS1_3genE9ELNS1_11target_archE1100ELNS1_3gpuE3ELNS1_3repE0EEES8_NS1_28merge_sort_block_sort_configILj256ELj4ELNS0_20block_sort_algorithmE0EEENS0_14default_configENS1_37merge_sort_block_sort_config_selectorIslEENS1_38merge_sort_block_merge_config_selectorIslEEEEvv
; %bb.0:
	s_endpgm
	.section	.rodata,"a",@progbits
	.p2align	6, 0x0
	.amdhsa_kernel _ZN7rocprim17ROCPRIM_400000_NS6detail44device_merge_sort_compile_time_verifier_archINS1_11comp_targetILNS1_3genE9ELNS1_11target_archE1100ELNS1_3gpuE3ELNS1_3repE0EEES8_NS1_28merge_sort_block_sort_configILj256ELj4ELNS0_20block_sort_algorithmE0EEENS0_14default_configENS1_37merge_sort_block_sort_config_selectorIslEENS1_38merge_sort_block_merge_config_selectorIslEEEEvv
		.amdhsa_group_segment_fixed_size 0
		.amdhsa_private_segment_fixed_size 0
		.amdhsa_kernarg_size 0
		.amdhsa_user_sgpr_count 4
		.amdhsa_user_sgpr_private_segment_buffer 1
		.amdhsa_user_sgpr_dispatch_ptr 0
		.amdhsa_user_sgpr_queue_ptr 0
		.amdhsa_user_sgpr_kernarg_segment_ptr 0
		.amdhsa_user_sgpr_dispatch_id 0
		.amdhsa_user_sgpr_flat_scratch_init 0
		.amdhsa_user_sgpr_kernarg_preload_length 0
		.amdhsa_user_sgpr_kernarg_preload_offset 0
		.amdhsa_user_sgpr_private_segment_size 0
		.amdhsa_uses_dynamic_stack 0
		.amdhsa_system_sgpr_private_segment_wavefront_offset 0
		.amdhsa_system_sgpr_workgroup_id_x 1
		.amdhsa_system_sgpr_workgroup_id_y 0
		.amdhsa_system_sgpr_workgroup_id_z 0
		.amdhsa_system_sgpr_workgroup_info 0
		.amdhsa_system_vgpr_workitem_id 0
		.amdhsa_next_free_vgpr 1
		.amdhsa_next_free_sgpr 0
		.amdhsa_accum_offset 4
		.amdhsa_reserve_vcc 0
		.amdhsa_reserve_flat_scratch 0
		.amdhsa_float_round_mode_32 0
		.amdhsa_float_round_mode_16_64 0
		.amdhsa_float_denorm_mode_32 3
		.amdhsa_float_denorm_mode_16_64 3
		.amdhsa_dx10_clamp 1
		.amdhsa_ieee_mode 1
		.amdhsa_fp16_overflow 0
		.amdhsa_tg_split 0
		.amdhsa_exception_fp_ieee_invalid_op 0
		.amdhsa_exception_fp_denorm_src 0
		.amdhsa_exception_fp_ieee_div_zero 0
		.amdhsa_exception_fp_ieee_overflow 0
		.amdhsa_exception_fp_ieee_underflow 0
		.amdhsa_exception_fp_ieee_inexact 0
		.amdhsa_exception_int_div_zero 0
	.end_amdhsa_kernel
	.section	.text._ZN7rocprim17ROCPRIM_400000_NS6detail44device_merge_sort_compile_time_verifier_archINS1_11comp_targetILNS1_3genE9ELNS1_11target_archE1100ELNS1_3gpuE3ELNS1_3repE0EEES8_NS1_28merge_sort_block_sort_configILj256ELj4ELNS0_20block_sort_algorithmE0EEENS0_14default_configENS1_37merge_sort_block_sort_config_selectorIslEENS1_38merge_sort_block_merge_config_selectorIslEEEEvv,"axG",@progbits,_ZN7rocprim17ROCPRIM_400000_NS6detail44device_merge_sort_compile_time_verifier_archINS1_11comp_targetILNS1_3genE9ELNS1_11target_archE1100ELNS1_3gpuE3ELNS1_3repE0EEES8_NS1_28merge_sort_block_sort_configILj256ELj4ELNS0_20block_sort_algorithmE0EEENS0_14default_configENS1_37merge_sort_block_sort_config_selectorIslEENS1_38merge_sort_block_merge_config_selectorIslEEEEvv,comdat
.Lfunc_end1274:
	.size	_ZN7rocprim17ROCPRIM_400000_NS6detail44device_merge_sort_compile_time_verifier_archINS1_11comp_targetILNS1_3genE9ELNS1_11target_archE1100ELNS1_3gpuE3ELNS1_3repE0EEES8_NS1_28merge_sort_block_sort_configILj256ELj4ELNS0_20block_sort_algorithmE0EEENS0_14default_configENS1_37merge_sort_block_sort_config_selectorIslEENS1_38merge_sort_block_merge_config_selectorIslEEEEvv, .Lfunc_end1274-_ZN7rocprim17ROCPRIM_400000_NS6detail44device_merge_sort_compile_time_verifier_archINS1_11comp_targetILNS1_3genE9ELNS1_11target_archE1100ELNS1_3gpuE3ELNS1_3repE0EEES8_NS1_28merge_sort_block_sort_configILj256ELj4ELNS0_20block_sort_algorithmE0EEENS0_14default_configENS1_37merge_sort_block_sort_config_selectorIslEENS1_38merge_sort_block_merge_config_selectorIslEEEEvv
                                        ; -- End function
	.section	.AMDGPU.csdata,"",@progbits
; Kernel info:
; codeLenInByte = 4
; NumSgprs: 4
; NumVgprs: 0
; NumAgprs: 0
; TotalNumVgprs: 0
; ScratchSize: 0
; MemoryBound: 0
; FloatMode: 240
; IeeeMode: 1
; LDSByteSize: 0 bytes/workgroup (compile time only)
; SGPRBlocks: 0
; VGPRBlocks: 0
; NumSGPRsForWavesPerEU: 4
; NumVGPRsForWavesPerEU: 1
; AccumOffset: 4
; Occupancy: 8
; WaveLimiterHint : 0
; COMPUTE_PGM_RSRC2:SCRATCH_EN: 0
; COMPUTE_PGM_RSRC2:USER_SGPR: 4
; COMPUTE_PGM_RSRC2:TRAP_HANDLER: 0
; COMPUTE_PGM_RSRC2:TGID_X_EN: 1
; COMPUTE_PGM_RSRC2:TGID_Y_EN: 0
; COMPUTE_PGM_RSRC2:TGID_Z_EN: 0
; COMPUTE_PGM_RSRC2:TIDIG_COMP_CNT: 0
; COMPUTE_PGM_RSRC3_GFX90A:ACCUM_OFFSET: 0
; COMPUTE_PGM_RSRC3_GFX90A:TG_SPLIT: 0
	.section	.text._ZN7rocprim17ROCPRIM_400000_NS6detail44device_merge_sort_compile_time_verifier_archINS1_11comp_targetILNS1_3genE8ELNS1_11target_archE1030ELNS1_3gpuE2ELNS1_3repE0EEES8_NS1_28merge_sort_block_sort_configILj256ELj4ELNS0_20block_sort_algorithmE0EEENS0_14default_configENS1_37merge_sort_block_sort_config_selectorIslEENS1_38merge_sort_block_merge_config_selectorIslEEEEvv,"axG",@progbits,_ZN7rocprim17ROCPRIM_400000_NS6detail44device_merge_sort_compile_time_verifier_archINS1_11comp_targetILNS1_3genE8ELNS1_11target_archE1030ELNS1_3gpuE2ELNS1_3repE0EEES8_NS1_28merge_sort_block_sort_configILj256ELj4ELNS0_20block_sort_algorithmE0EEENS0_14default_configENS1_37merge_sort_block_sort_config_selectorIslEENS1_38merge_sort_block_merge_config_selectorIslEEEEvv,comdat
	.protected	_ZN7rocprim17ROCPRIM_400000_NS6detail44device_merge_sort_compile_time_verifier_archINS1_11comp_targetILNS1_3genE8ELNS1_11target_archE1030ELNS1_3gpuE2ELNS1_3repE0EEES8_NS1_28merge_sort_block_sort_configILj256ELj4ELNS0_20block_sort_algorithmE0EEENS0_14default_configENS1_37merge_sort_block_sort_config_selectorIslEENS1_38merge_sort_block_merge_config_selectorIslEEEEvv ; -- Begin function _ZN7rocprim17ROCPRIM_400000_NS6detail44device_merge_sort_compile_time_verifier_archINS1_11comp_targetILNS1_3genE8ELNS1_11target_archE1030ELNS1_3gpuE2ELNS1_3repE0EEES8_NS1_28merge_sort_block_sort_configILj256ELj4ELNS0_20block_sort_algorithmE0EEENS0_14default_configENS1_37merge_sort_block_sort_config_selectorIslEENS1_38merge_sort_block_merge_config_selectorIslEEEEvv
	.globl	_ZN7rocprim17ROCPRIM_400000_NS6detail44device_merge_sort_compile_time_verifier_archINS1_11comp_targetILNS1_3genE8ELNS1_11target_archE1030ELNS1_3gpuE2ELNS1_3repE0EEES8_NS1_28merge_sort_block_sort_configILj256ELj4ELNS0_20block_sort_algorithmE0EEENS0_14default_configENS1_37merge_sort_block_sort_config_selectorIslEENS1_38merge_sort_block_merge_config_selectorIslEEEEvv
	.p2align	8
	.type	_ZN7rocprim17ROCPRIM_400000_NS6detail44device_merge_sort_compile_time_verifier_archINS1_11comp_targetILNS1_3genE8ELNS1_11target_archE1030ELNS1_3gpuE2ELNS1_3repE0EEES8_NS1_28merge_sort_block_sort_configILj256ELj4ELNS0_20block_sort_algorithmE0EEENS0_14default_configENS1_37merge_sort_block_sort_config_selectorIslEENS1_38merge_sort_block_merge_config_selectorIslEEEEvv,@function
_ZN7rocprim17ROCPRIM_400000_NS6detail44device_merge_sort_compile_time_verifier_archINS1_11comp_targetILNS1_3genE8ELNS1_11target_archE1030ELNS1_3gpuE2ELNS1_3repE0EEES8_NS1_28merge_sort_block_sort_configILj256ELj4ELNS0_20block_sort_algorithmE0EEENS0_14default_configENS1_37merge_sort_block_sort_config_selectorIslEENS1_38merge_sort_block_merge_config_selectorIslEEEEvv: ; @_ZN7rocprim17ROCPRIM_400000_NS6detail44device_merge_sort_compile_time_verifier_archINS1_11comp_targetILNS1_3genE8ELNS1_11target_archE1030ELNS1_3gpuE2ELNS1_3repE0EEES8_NS1_28merge_sort_block_sort_configILj256ELj4ELNS0_20block_sort_algorithmE0EEENS0_14default_configENS1_37merge_sort_block_sort_config_selectorIslEENS1_38merge_sort_block_merge_config_selectorIslEEEEvv
; %bb.0:
	s_endpgm
	.section	.rodata,"a",@progbits
	.p2align	6, 0x0
	.amdhsa_kernel _ZN7rocprim17ROCPRIM_400000_NS6detail44device_merge_sort_compile_time_verifier_archINS1_11comp_targetILNS1_3genE8ELNS1_11target_archE1030ELNS1_3gpuE2ELNS1_3repE0EEES8_NS1_28merge_sort_block_sort_configILj256ELj4ELNS0_20block_sort_algorithmE0EEENS0_14default_configENS1_37merge_sort_block_sort_config_selectorIslEENS1_38merge_sort_block_merge_config_selectorIslEEEEvv
		.amdhsa_group_segment_fixed_size 0
		.amdhsa_private_segment_fixed_size 0
		.amdhsa_kernarg_size 0
		.amdhsa_user_sgpr_count 4
		.amdhsa_user_sgpr_private_segment_buffer 1
		.amdhsa_user_sgpr_dispatch_ptr 0
		.amdhsa_user_sgpr_queue_ptr 0
		.amdhsa_user_sgpr_kernarg_segment_ptr 0
		.amdhsa_user_sgpr_dispatch_id 0
		.amdhsa_user_sgpr_flat_scratch_init 0
		.amdhsa_user_sgpr_kernarg_preload_length 0
		.amdhsa_user_sgpr_kernarg_preload_offset 0
		.amdhsa_user_sgpr_private_segment_size 0
		.amdhsa_uses_dynamic_stack 0
		.amdhsa_system_sgpr_private_segment_wavefront_offset 0
		.amdhsa_system_sgpr_workgroup_id_x 1
		.amdhsa_system_sgpr_workgroup_id_y 0
		.amdhsa_system_sgpr_workgroup_id_z 0
		.amdhsa_system_sgpr_workgroup_info 0
		.amdhsa_system_vgpr_workitem_id 0
		.amdhsa_next_free_vgpr 1
		.amdhsa_next_free_sgpr 0
		.amdhsa_accum_offset 4
		.amdhsa_reserve_vcc 0
		.amdhsa_reserve_flat_scratch 0
		.amdhsa_float_round_mode_32 0
		.amdhsa_float_round_mode_16_64 0
		.amdhsa_float_denorm_mode_32 3
		.amdhsa_float_denorm_mode_16_64 3
		.amdhsa_dx10_clamp 1
		.amdhsa_ieee_mode 1
		.amdhsa_fp16_overflow 0
		.amdhsa_tg_split 0
		.amdhsa_exception_fp_ieee_invalid_op 0
		.amdhsa_exception_fp_denorm_src 0
		.amdhsa_exception_fp_ieee_div_zero 0
		.amdhsa_exception_fp_ieee_overflow 0
		.amdhsa_exception_fp_ieee_underflow 0
		.amdhsa_exception_fp_ieee_inexact 0
		.amdhsa_exception_int_div_zero 0
	.end_amdhsa_kernel
	.section	.text._ZN7rocprim17ROCPRIM_400000_NS6detail44device_merge_sort_compile_time_verifier_archINS1_11comp_targetILNS1_3genE8ELNS1_11target_archE1030ELNS1_3gpuE2ELNS1_3repE0EEES8_NS1_28merge_sort_block_sort_configILj256ELj4ELNS0_20block_sort_algorithmE0EEENS0_14default_configENS1_37merge_sort_block_sort_config_selectorIslEENS1_38merge_sort_block_merge_config_selectorIslEEEEvv,"axG",@progbits,_ZN7rocprim17ROCPRIM_400000_NS6detail44device_merge_sort_compile_time_verifier_archINS1_11comp_targetILNS1_3genE8ELNS1_11target_archE1030ELNS1_3gpuE2ELNS1_3repE0EEES8_NS1_28merge_sort_block_sort_configILj256ELj4ELNS0_20block_sort_algorithmE0EEENS0_14default_configENS1_37merge_sort_block_sort_config_selectorIslEENS1_38merge_sort_block_merge_config_selectorIslEEEEvv,comdat
.Lfunc_end1275:
	.size	_ZN7rocprim17ROCPRIM_400000_NS6detail44device_merge_sort_compile_time_verifier_archINS1_11comp_targetILNS1_3genE8ELNS1_11target_archE1030ELNS1_3gpuE2ELNS1_3repE0EEES8_NS1_28merge_sort_block_sort_configILj256ELj4ELNS0_20block_sort_algorithmE0EEENS0_14default_configENS1_37merge_sort_block_sort_config_selectorIslEENS1_38merge_sort_block_merge_config_selectorIslEEEEvv, .Lfunc_end1275-_ZN7rocprim17ROCPRIM_400000_NS6detail44device_merge_sort_compile_time_verifier_archINS1_11comp_targetILNS1_3genE8ELNS1_11target_archE1030ELNS1_3gpuE2ELNS1_3repE0EEES8_NS1_28merge_sort_block_sort_configILj256ELj4ELNS0_20block_sort_algorithmE0EEENS0_14default_configENS1_37merge_sort_block_sort_config_selectorIslEENS1_38merge_sort_block_merge_config_selectorIslEEEEvv
                                        ; -- End function
	.section	.AMDGPU.csdata,"",@progbits
; Kernel info:
; codeLenInByte = 4
; NumSgprs: 4
; NumVgprs: 0
; NumAgprs: 0
; TotalNumVgprs: 0
; ScratchSize: 0
; MemoryBound: 0
; FloatMode: 240
; IeeeMode: 1
; LDSByteSize: 0 bytes/workgroup (compile time only)
; SGPRBlocks: 0
; VGPRBlocks: 0
; NumSGPRsForWavesPerEU: 4
; NumVGPRsForWavesPerEU: 1
; AccumOffset: 4
; Occupancy: 8
; WaveLimiterHint : 0
; COMPUTE_PGM_RSRC2:SCRATCH_EN: 0
; COMPUTE_PGM_RSRC2:USER_SGPR: 4
; COMPUTE_PGM_RSRC2:TRAP_HANDLER: 0
; COMPUTE_PGM_RSRC2:TGID_X_EN: 1
; COMPUTE_PGM_RSRC2:TGID_Y_EN: 0
; COMPUTE_PGM_RSRC2:TGID_Z_EN: 0
; COMPUTE_PGM_RSRC2:TIDIG_COMP_CNT: 0
; COMPUTE_PGM_RSRC3_GFX90A:ACCUM_OFFSET: 0
; COMPUTE_PGM_RSRC3_GFX90A:TG_SPLIT: 0
	.section	.text._ZN7rocprim17ROCPRIM_400000_NS6detail17trampoline_kernelINS0_14default_configENS1_38merge_sort_block_merge_config_selectorIslEEZZNS1_27merge_sort_block_merge_implIS3_PsN6thrust23THRUST_200600_302600_NS10device_ptrIlEEjNS1_19radix_merge_compareILb0ELb0EsNS0_19identity_decomposerEEEEE10hipError_tT0_T1_T2_jT3_P12ihipStream_tbPNSt15iterator_traitsISG_E10value_typeEPNSM_ISH_E10value_typeEPSI_NS1_7vsmem_tEENKUlT_SG_SH_SI_E_clIS7_S7_PlSB_EESF_SV_SG_SH_SI_EUlSV_E_NS1_11comp_targetILNS1_3genE0ELNS1_11target_archE4294967295ELNS1_3gpuE0ELNS1_3repE0EEENS1_48merge_mergepath_partition_config_static_selectorELNS0_4arch9wavefront6targetE1EEEvSH_,"axG",@progbits,_ZN7rocprim17ROCPRIM_400000_NS6detail17trampoline_kernelINS0_14default_configENS1_38merge_sort_block_merge_config_selectorIslEEZZNS1_27merge_sort_block_merge_implIS3_PsN6thrust23THRUST_200600_302600_NS10device_ptrIlEEjNS1_19radix_merge_compareILb0ELb0EsNS0_19identity_decomposerEEEEE10hipError_tT0_T1_T2_jT3_P12ihipStream_tbPNSt15iterator_traitsISG_E10value_typeEPNSM_ISH_E10value_typeEPSI_NS1_7vsmem_tEENKUlT_SG_SH_SI_E_clIS7_S7_PlSB_EESF_SV_SG_SH_SI_EUlSV_E_NS1_11comp_targetILNS1_3genE0ELNS1_11target_archE4294967295ELNS1_3gpuE0ELNS1_3repE0EEENS1_48merge_mergepath_partition_config_static_selectorELNS0_4arch9wavefront6targetE1EEEvSH_,comdat
	.protected	_ZN7rocprim17ROCPRIM_400000_NS6detail17trampoline_kernelINS0_14default_configENS1_38merge_sort_block_merge_config_selectorIslEEZZNS1_27merge_sort_block_merge_implIS3_PsN6thrust23THRUST_200600_302600_NS10device_ptrIlEEjNS1_19radix_merge_compareILb0ELb0EsNS0_19identity_decomposerEEEEE10hipError_tT0_T1_T2_jT3_P12ihipStream_tbPNSt15iterator_traitsISG_E10value_typeEPNSM_ISH_E10value_typeEPSI_NS1_7vsmem_tEENKUlT_SG_SH_SI_E_clIS7_S7_PlSB_EESF_SV_SG_SH_SI_EUlSV_E_NS1_11comp_targetILNS1_3genE0ELNS1_11target_archE4294967295ELNS1_3gpuE0ELNS1_3repE0EEENS1_48merge_mergepath_partition_config_static_selectorELNS0_4arch9wavefront6targetE1EEEvSH_ ; -- Begin function _ZN7rocprim17ROCPRIM_400000_NS6detail17trampoline_kernelINS0_14default_configENS1_38merge_sort_block_merge_config_selectorIslEEZZNS1_27merge_sort_block_merge_implIS3_PsN6thrust23THRUST_200600_302600_NS10device_ptrIlEEjNS1_19radix_merge_compareILb0ELb0EsNS0_19identity_decomposerEEEEE10hipError_tT0_T1_T2_jT3_P12ihipStream_tbPNSt15iterator_traitsISG_E10value_typeEPNSM_ISH_E10value_typeEPSI_NS1_7vsmem_tEENKUlT_SG_SH_SI_E_clIS7_S7_PlSB_EESF_SV_SG_SH_SI_EUlSV_E_NS1_11comp_targetILNS1_3genE0ELNS1_11target_archE4294967295ELNS1_3gpuE0ELNS1_3repE0EEENS1_48merge_mergepath_partition_config_static_selectorELNS0_4arch9wavefront6targetE1EEEvSH_
	.globl	_ZN7rocprim17ROCPRIM_400000_NS6detail17trampoline_kernelINS0_14default_configENS1_38merge_sort_block_merge_config_selectorIslEEZZNS1_27merge_sort_block_merge_implIS3_PsN6thrust23THRUST_200600_302600_NS10device_ptrIlEEjNS1_19radix_merge_compareILb0ELb0EsNS0_19identity_decomposerEEEEE10hipError_tT0_T1_T2_jT3_P12ihipStream_tbPNSt15iterator_traitsISG_E10value_typeEPNSM_ISH_E10value_typeEPSI_NS1_7vsmem_tEENKUlT_SG_SH_SI_E_clIS7_S7_PlSB_EESF_SV_SG_SH_SI_EUlSV_E_NS1_11comp_targetILNS1_3genE0ELNS1_11target_archE4294967295ELNS1_3gpuE0ELNS1_3repE0EEENS1_48merge_mergepath_partition_config_static_selectorELNS0_4arch9wavefront6targetE1EEEvSH_
	.p2align	8
	.type	_ZN7rocprim17ROCPRIM_400000_NS6detail17trampoline_kernelINS0_14default_configENS1_38merge_sort_block_merge_config_selectorIslEEZZNS1_27merge_sort_block_merge_implIS3_PsN6thrust23THRUST_200600_302600_NS10device_ptrIlEEjNS1_19radix_merge_compareILb0ELb0EsNS0_19identity_decomposerEEEEE10hipError_tT0_T1_T2_jT3_P12ihipStream_tbPNSt15iterator_traitsISG_E10value_typeEPNSM_ISH_E10value_typeEPSI_NS1_7vsmem_tEENKUlT_SG_SH_SI_E_clIS7_S7_PlSB_EESF_SV_SG_SH_SI_EUlSV_E_NS1_11comp_targetILNS1_3genE0ELNS1_11target_archE4294967295ELNS1_3gpuE0ELNS1_3repE0EEENS1_48merge_mergepath_partition_config_static_selectorELNS0_4arch9wavefront6targetE1EEEvSH_,@function
_ZN7rocprim17ROCPRIM_400000_NS6detail17trampoline_kernelINS0_14default_configENS1_38merge_sort_block_merge_config_selectorIslEEZZNS1_27merge_sort_block_merge_implIS3_PsN6thrust23THRUST_200600_302600_NS10device_ptrIlEEjNS1_19radix_merge_compareILb0ELb0EsNS0_19identity_decomposerEEEEE10hipError_tT0_T1_T2_jT3_P12ihipStream_tbPNSt15iterator_traitsISG_E10value_typeEPNSM_ISH_E10value_typeEPSI_NS1_7vsmem_tEENKUlT_SG_SH_SI_E_clIS7_S7_PlSB_EESF_SV_SG_SH_SI_EUlSV_E_NS1_11comp_targetILNS1_3genE0ELNS1_11target_archE4294967295ELNS1_3gpuE0ELNS1_3repE0EEENS1_48merge_mergepath_partition_config_static_selectorELNS0_4arch9wavefront6targetE1EEEvSH_: ; @_ZN7rocprim17ROCPRIM_400000_NS6detail17trampoline_kernelINS0_14default_configENS1_38merge_sort_block_merge_config_selectorIslEEZZNS1_27merge_sort_block_merge_implIS3_PsN6thrust23THRUST_200600_302600_NS10device_ptrIlEEjNS1_19radix_merge_compareILb0ELb0EsNS0_19identity_decomposerEEEEE10hipError_tT0_T1_T2_jT3_P12ihipStream_tbPNSt15iterator_traitsISG_E10value_typeEPNSM_ISH_E10value_typeEPSI_NS1_7vsmem_tEENKUlT_SG_SH_SI_E_clIS7_S7_PlSB_EESF_SV_SG_SH_SI_EUlSV_E_NS1_11comp_targetILNS1_3genE0ELNS1_11target_archE4294967295ELNS1_3gpuE0ELNS1_3repE0EEENS1_48merge_mergepath_partition_config_static_selectorELNS0_4arch9wavefront6targetE1EEEvSH_
; %bb.0:
	.section	.rodata,"a",@progbits
	.p2align	6, 0x0
	.amdhsa_kernel _ZN7rocprim17ROCPRIM_400000_NS6detail17trampoline_kernelINS0_14default_configENS1_38merge_sort_block_merge_config_selectorIslEEZZNS1_27merge_sort_block_merge_implIS3_PsN6thrust23THRUST_200600_302600_NS10device_ptrIlEEjNS1_19radix_merge_compareILb0ELb0EsNS0_19identity_decomposerEEEEE10hipError_tT0_T1_T2_jT3_P12ihipStream_tbPNSt15iterator_traitsISG_E10value_typeEPNSM_ISH_E10value_typeEPSI_NS1_7vsmem_tEENKUlT_SG_SH_SI_E_clIS7_S7_PlSB_EESF_SV_SG_SH_SI_EUlSV_E_NS1_11comp_targetILNS1_3genE0ELNS1_11target_archE4294967295ELNS1_3gpuE0ELNS1_3repE0EEENS1_48merge_mergepath_partition_config_static_selectorELNS0_4arch9wavefront6targetE1EEEvSH_
		.amdhsa_group_segment_fixed_size 0
		.amdhsa_private_segment_fixed_size 0
		.amdhsa_kernarg_size 40
		.amdhsa_user_sgpr_count 6
		.amdhsa_user_sgpr_private_segment_buffer 1
		.amdhsa_user_sgpr_dispatch_ptr 0
		.amdhsa_user_sgpr_queue_ptr 0
		.amdhsa_user_sgpr_kernarg_segment_ptr 1
		.amdhsa_user_sgpr_dispatch_id 0
		.amdhsa_user_sgpr_flat_scratch_init 0
		.amdhsa_user_sgpr_kernarg_preload_length 0
		.amdhsa_user_sgpr_kernarg_preload_offset 0
		.amdhsa_user_sgpr_private_segment_size 0
		.amdhsa_uses_dynamic_stack 0
		.amdhsa_system_sgpr_private_segment_wavefront_offset 0
		.amdhsa_system_sgpr_workgroup_id_x 1
		.amdhsa_system_sgpr_workgroup_id_y 0
		.amdhsa_system_sgpr_workgroup_id_z 0
		.amdhsa_system_sgpr_workgroup_info 0
		.amdhsa_system_vgpr_workitem_id 0
		.amdhsa_next_free_vgpr 1
		.amdhsa_next_free_sgpr 0
		.amdhsa_accum_offset 4
		.amdhsa_reserve_vcc 0
		.amdhsa_reserve_flat_scratch 0
		.amdhsa_float_round_mode_32 0
		.amdhsa_float_round_mode_16_64 0
		.amdhsa_float_denorm_mode_32 3
		.amdhsa_float_denorm_mode_16_64 3
		.amdhsa_dx10_clamp 1
		.amdhsa_ieee_mode 1
		.amdhsa_fp16_overflow 0
		.amdhsa_tg_split 0
		.amdhsa_exception_fp_ieee_invalid_op 0
		.amdhsa_exception_fp_denorm_src 0
		.amdhsa_exception_fp_ieee_div_zero 0
		.amdhsa_exception_fp_ieee_overflow 0
		.amdhsa_exception_fp_ieee_underflow 0
		.amdhsa_exception_fp_ieee_inexact 0
		.amdhsa_exception_int_div_zero 0
	.end_amdhsa_kernel
	.section	.text._ZN7rocprim17ROCPRIM_400000_NS6detail17trampoline_kernelINS0_14default_configENS1_38merge_sort_block_merge_config_selectorIslEEZZNS1_27merge_sort_block_merge_implIS3_PsN6thrust23THRUST_200600_302600_NS10device_ptrIlEEjNS1_19radix_merge_compareILb0ELb0EsNS0_19identity_decomposerEEEEE10hipError_tT0_T1_T2_jT3_P12ihipStream_tbPNSt15iterator_traitsISG_E10value_typeEPNSM_ISH_E10value_typeEPSI_NS1_7vsmem_tEENKUlT_SG_SH_SI_E_clIS7_S7_PlSB_EESF_SV_SG_SH_SI_EUlSV_E_NS1_11comp_targetILNS1_3genE0ELNS1_11target_archE4294967295ELNS1_3gpuE0ELNS1_3repE0EEENS1_48merge_mergepath_partition_config_static_selectorELNS0_4arch9wavefront6targetE1EEEvSH_,"axG",@progbits,_ZN7rocprim17ROCPRIM_400000_NS6detail17trampoline_kernelINS0_14default_configENS1_38merge_sort_block_merge_config_selectorIslEEZZNS1_27merge_sort_block_merge_implIS3_PsN6thrust23THRUST_200600_302600_NS10device_ptrIlEEjNS1_19radix_merge_compareILb0ELb0EsNS0_19identity_decomposerEEEEE10hipError_tT0_T1_T2_jT3_P12ihipStream_tbPNSt15iterator_traitsISG_E10value_typeEPNSM_ISH_E10value_typeEPSI_NS1_7vsmem_tEENKUlT_SG_SH_SI_E_clIS7_S7_PlSB_EESF_SV_SG_SH_SI_EUlSV_E_NS1_11comp_targetILNS1_3genE0ELNS1_11target_archE4294967295ELNS1_3gpuE0ELNS1_3repE0EEENS1_48merge_mergepath_partition_config_static_selectorELNS0_4arch9wavefront6targetE1EEEvSH_,comdat
.Lfunc_end1276:
	.size	_ZN7rocprim17ROCPRIM_400000_NS6detail17trampoline_kernelINS0_14default_configENS1_38merge_sort_block_merge_config_selectorIslEEZZNS1_27merge_sort_block_merge_implIS3_PsN6thrust23THRUST_200600_302600_NS10device_ptrIlEEjNS1_19radix_merge_compareILb0ELb0EsNS0_19identity_decomposerEEEEE10hipError_tT0_T1_T2_jT3_P12ihipStream_tbPNSt15iterator_traitsISG_E10value_typeEPNSM_ISH_E10value_typeEPSI_NS1_7vsmem_tEENKUlT_SG_SH_SI_E_clIS7_S7_PlSB_EESF_SV_SG_SH_SI_EUlSV_E_NS1_11comp_targetILNS1_3genE0ELNS1_11target_archE4294967295ELNS1_3gpuE0ELNS1_3repE0EEENS1_48merge_mergepath_partition_config_static_selectorELNS0_4arch9wavefront6targetE1EEEvSH_, .Lfunc_end1276-_ZN7rocprim17ROCPRIM_400000_NS6detail17trampoline_kernelINS0_14default_configENS1_38merge_sort_block_merge_config_selectorIslEEZZNS1_27merge_sort_block_merge_implIS3_PsN6thrust23THRUST_200600_302600_NS10device_ptrIlEEjNS1_19radix_merge_compareILb0ELb0EsNS0_19identity_decomposerEEEEE10hipError_tT0_T1_T2_jT3_P12ihipStream_tbPNSt15iterator_traitsISG_E10value_typeEPNSM_ISH_E10value_typeEPSI_NS1_7vsmem_tEENKUlT_SG_SH_SI_E_clIS7_S7_PlSB_EESF_SV_SG_SH_SI_EUlSV_E_NS1_11comp_targetILNS1_3genE0ELNS1_11target_archE4294967295ELNS1_3gpuE0ELNS1_3repE0EEENS1_48merge_mergepath_partition_config_static_selectorELNS0_4arch9wavefront6targetE1EEEvSH_
                                        ; -- End function
	.section	.AMDGPU.csdata,"",@progbits
; Kernel info:
; codeLenInByte = 0
; NumSgprs: 4
; NumVgprs: 0
; NumAgprs: 0
; TotalNumVgprs: 0
; ScratchSize: 0
; MemoryBound: 0
; FloatMode: 240
; IeeeMode: 1
; LDSByteSize: 0 bytes/workgroup (compile time only)
; SGPRBlocks: 0
; VGPRBlocks: 0
; NumSGPRsForWavesPerEU: 4
; NumVGPRsForWavesPerEU: 1
; AccumOffset: 4
; Occupancy: 8
; WaveLimiterHint : 0
; COMPUTE_PGM_RSRC2:SCRATCH_EN: 0
; COMPUTE_PGM_RSRC2:USER_SGPR: 6
; COMPUTE_PGM_RSRC2:TRAP_HANDLER: 0
; COMPUTE_PGM_RSRC2:TGID_X_EN: 1
; COMPUTE_PGM_RSRC2:TGID_Y_EN: 0
; COMPUTE_PGM_RSRC2:TGID_Z_EN: 0
; COMPUTE_PGM_RSRC2:TIDIG_COMP_CNT: 0
; COMPUTE_PGM_RSRC3_GFX90A:ACCUM_OFFSET: 0
; COMPUTE_PGM_RSRC3_GFX90A:TG_SPLIT: 0
	.section	.text._ZN7rocprim17ROCPRIM_400000_NS6detail17trampoline_kernelINS0_14default_configENS1_38merge_sort_block_merge_config_selectorIslEEZZNS1_27merge_sort_block_merge_implIS3_PsN6thrust23THRUST_200600_302600_NS10device_ptrIlEEjNS1_19radix_merge_compareILb0ELb0EsNS0_19identity_decomposerEEEEE10hipError_tT0_T1_T2_jT3_P12ihipStream_tbPNSt15iterator_traitsISG_E10value_typeEPNSM_ISH_E10value_typeEPSI_NS1_7vsmem_tEENKUlT_SG_SH_SI_E_clIS7_S7_PlSB_EESF_SV_SG_SH_SI_EUlSV_E_NS1_11comp_targetILNS1_3genE10ELNS1_11target_archE1201ELNS1_3gpuE5ELNS1_3repE0EEENS1_48merge_mergepath_partition_config_static_selectorELNS0_4arch9wavefront6targetE1EEEvSH_,"axG",@progbits,_ZN7rocprim17ROCPRIM_400000_NS6detail17trampoline_kernelINS0_14default_configENS1_38merge_sort_block_merge_config_selectorIslEEZZNS1_27merge_sort_block_merge_implIS3_PsN6thrust23THRUST_200600_302600_NS10device_ptrIlEEjNS1_19radix_merge_compareILb0ELb0EsNS0_19identity_decomposerEEEEE10hipError_tT0_T1_T2_jT3_P12ihipStream_tbPNSt15iterator_traitsISG_E10value_typeEPNSM_ISH_E10value_typeEPSI_NS1_7vsmem_tEENKUlT_SG_SH_SI_E_clIS7_S7_PlSB_EESF_SV_SG_SH_SI_EUlSV_E_NS1_11comp_targetILNS1_3genE10ELNS1_11target_archE1201ELNS1_3gpuE5ELNS1_3repE0EEENS1_48merge_mergepath_partition_config_static_selectorELNS0_4arch9wavefront6targetE1EEEvSH_,comdat
	.protected	_ZN7rocprim17ROCPRIM_400000_NS6detail17trampoline_kernelINS0_14default_configENS1_38merge_sort_block_merge_config_selectorIslEEZZNS1_27merge_sort_block_merge_implIS3_PsN6thrust23THRUST_200600_302600_NS10device_ptrIlEEjNS1_19radix_merge_compareILb0ELb0EsNS0_19identity_decomposerEEEEE10hipError_tT0_T1_T2_jT3_P12ihipStream_tbPNSt15iterator_traitsISG_E10value_typeEPNSM_ISH_E10value_typeEPSI_NS1_7vsmem_tEENKUlT_SG_SH_SI_E_clIS7_S7_PlSB_EESF_SV_SG_SH_SI_EUlSV_E_NS1_11comp_targetILNS1_3genE10ELNS1_11target_archE1201ELNS1_3gpuE5ELNS1_3repE0EEENS1_48merge_mergepath_partition_config_static_selectorELNS0_4arch9wavefront6targetE1EEEvSH_ ; -- Begin function _ZN7rocprim17ROCPRIM_400000_NS6detail17trampoline_kernelINS0_14default_configENS1_38merge_sort_block_merge_config_selectorIslEEZZNS1_27merge_sort_block_merge_implIS3_PsN6thrust23THRUST_200600_302600_NS10device_ptrIlEEjNS1_19radix_merge_compareILb0ELb0EsNS0_19identity_decomposerEEEEE10hipError_tT0_T1_T2_jT3_P12ihipStream_tbPNSt15iterator_traitsISG_E10value_typeEPNSM_ISH_E10value_typeEPSI_NS1_7vsmem_tEENKUlT_SG_SH_SI_E_clIS7_S7_PlSB_EESF_SV_SG_SH_SI_EUlSV_E_NS1_11comp_targetILNS1_3genE10ELNS1_11target_archE1201ELNS1_3gpuE5ELNS1_3repE0EEENS1_48merge_mergepath_partition_config_static_selectorELNS0_4arch9wavefront6targetE1EEEvSH_
	.globl	_ZN7rocprim17ROCPRIM_400000_NS6detail17trampoline_kernelINS0_14default_configENS1_38merge_sort_block_merge_config_selectorIslEEZZNS1_27merge_sort_block_merge_implIS3_PsN6thrust23THRUST_200600_302600_NS10device_ptrIlEEjNS1_19radix_merge_compareILb0ELb0EsNS0_19identity_decomposerEEEEE10hipError_tT0_T1_T2_jT3_P12ihipStream_tbPNSt15iterator_traitsISG_E10value_typeEPNSM_ISH_E10value_typeEPSI_NS1_7vsmem_tEENKUlT_SG_SH_SI_E_clIS7_S7_PlSB_EESF_SV_SG_SH_SI_EUlSV_E_NS1_11comp_targetILNS1_3genE10ELNS1_11target_archE1201ELNS1_3gpuE5ELNS1_3repE0EEENS1_48merge_mergepath_partition_config_static_selectorELNS0_4arch9wavefront6targetE1EEEvSH_
	.p2align	8
	.type	_ZN7rocprim17ROCPRIM_400000_NS6detail17trampoline_kernelINS0_14default_configENS1_38merge_sort_block_merge_config_selectorIslEEZZNS1_27merge_sort_block_merge_implIS3_PsN6thrust23THRUST_200600_302600_NS10device_ptrIlEEjNS1_19radix_merge_compareILb0ELb0EsNS0_19identity_decomposerEEEEE10hipError_tT0_T1_T2_jT3_P12ihipStream_tbPNSt15iterator_traitsISG_E10value_typeEPNSM_ISH_E10value_typeEPSI_NS1_7vsmem_tEENKUlT_SG_SH_SI_E_clIS7_S7_PlSB_EESF_SV_SG_SH_SI_EUlSV_E_NS1_11comp_targetILNS1_3genE10ELNS1_11target_archE1201ELNS1_3gpuE5ELNS1_3repE0EEENS1_48merge_mergepath_partition_config_static_selectorELNS0_4arch9wavefront6targetE1EEEvSH_,@function
_ZN7rocprim17ROCPRIM_400000_NS6detail17trampoline_kernelINS0_14default_configENS1_38merge_sort_block_merge_config_selectorIslEEZZNS1_27merge_sort_block_merge_implIS3_PsN6thrust23THRUST_200600_302600_NS10device_ptrIlEEjNS1_19radix_merge_compareILb0ELb0EsNS0_19identity_decomposerEEEEE10hipError_tT0_T1_T2_jT3_P12ihipStream_tbPNSt15iterator_traitsISG_E10value_typeEPNSM_ISH_E10value_typeEPSI_NS1_7vsmem_tEENKUlT_SG_SH_SI_E_clIS7_S7_PlSB_EESF_SV_SG_SH_SI_EUlSV_E_NS1_11comp_targetILNS1_3genE10ELNS1_11target_archE1201ELNS1_3gpuE5ELNS1_3repE0EEENS1_48merge_mergepath_partition_config_static_selectorELNS0_4arch9wavefront6targetE1EEEvSH_: ; @_ZN7rocprim17ROCPRIM_400000_NS6detail17trampoline_kernelINS0_14default_configENS1_38merge_sort_block_merge_config_selectorIslEEZZNS1_27merge_sort_block_merge_implIS3_PsN6thrust23THRUST_200600_302600_NS10device_ptrIlEEjNS1_19radix_merge_compareILb0ELb0EsNS0_19identity_decomposerEEEEE10hipError_tT0_T1_T2_jT3_P12ihipStream_tbPNSt15iterator_traitsISG_E10value_typeEPNSM_ISH_E10value_typeEPSI_NS1_7vsmem_tEENKUlT_SG_SH_SI_E_clIS7_S7_PlSB_EESF_SV_SG_SH_SI_EUlSV_E_NS1_11comp_targetILNS1_3genE10ELNS1_11target_archE1201ELNS1_3gpuE5ELNS1_3repE0EEENS1_48merge_mergepath_partition_config_static_selectorELNS0_4arch9wavefront6targetE1EEEvSH_
; %bb.0:
	.section	.rodata,"a",@progbits
	.p2align	6, 0x0
	.amdhsa_kernel _ZN7rocprim17ROCPRIM_400000_NS6detail17trampoline_kernelINS0_14default_configENS1_38merge_sort_block_merge_config_selectorIslEEZZNS1_27merge_sort_block_merge_implIS3_PsN6thrust23THRUST_200600_302600_NS10device_ptrIlEEjNS1_19radix_merge_compareILb0ELb0EsNS0_19identity_decomposerEEEEE10hipError_tT0_T1_T2_jT3_P12ihipStream_tbPNSt15iterator_traitsISG_E10value_typeEPNSM_ISH_E10value_typeEPSI_NS1_7vsmem_tEENKUlT_SG_SH_SI_E_clIS7_S7_PlSB_EESF_SV_SG_SH_SI_EUlSV_E_NS1_11comp_targetILNS1_3genE10ELNS1_11target_archE1201ELNS1_3gpuE5ELNS1_3repE0EEENS1_48merge_mergepath_partition_config_static_selectorELNS0_4arch9wavefront6targetE1EEEvSH_
		.amdhsa_group_segment_fixed_size 0
		.amdhsa_private_segment_fixed_size 0
		.amdhsa_kernarg_size 40
		.amdhsa_user_sgpr_count 6
		.amdhsa_user_sgpr_private_segment_buffer 1
		.amdhsa_user_sgpr_dispatch_ptr 0
		.amdhsa_user_sgpr_queue_ptr 0
		.amdhsa_user_sgpr_kernarg_segment_ptr 1
		.amdhsa_user_sgpr_dispatch_id 0
		.amdhsa_user_sgpr_flat_scratch_init 0
		.amdhsa_user_sgpr_kernarg_preload_length 0
		.amdhsa_user_sgpr_kernarg_preload_offset 0
		.amdhsa_user_sgpr_private_segment_size 0
		.amdhsa_uses_dynamic_stack 0
		.amdhsa_system_sgpr_private_segment_wavefront_offset 0
		.amdhsa_system_sgpr_workgroup_id_x 1
		.amdhsa_system_sgpr_workgroup_id_y 0
		.amdhsa_system_sgpr_workgroup_id_z 0
		.amdhsa_system_sgpr_workgroup_info 0
		.amdhsa_system_vgpr_workitem_id 0
		.amdhsa_next_free_vgpr 1
		.amdhsa_next_free_sgpr 0
		.amdhsa_accum_offset 4
		.amdhsa_reserve_vcc 0
		.amdhsa_reserve_flat_scratch 0
		.amdhsa_float_round_mode_32 0
		.amdhsa_float_round_mode_16_64 0
		.amdhsa_float_denorm_mode_32 3
		.amdhsa_float_denorm_mode_16_64 3
		.amdhsa_dx10_clamp 1
		.amdhsa_ieee_mode 1
		.amdhsa_fp16_overflow 0
		.amdhsa_tg_split 0
		.amdhsa_exception_fp_ieee_invalid_op 0
		.amdhsa_exception_fp_denorm_src 0
		.amdhsa_exception_fp_ieee_div_zero 0
		.amdhsa_exception_fp_ieee_overflow 0
		.amdhsa_exception_fp_ieee_underflow 0
		.amdhsa_exception_fp_ieee_inexact 0
		.amdhsa_exception_int_div_zero 0
	.end_amdhsa_kernel
	.section	.text._ZN7rocprim17ROCPRIM_400000_NS6detail17trampoline_kernelINS0_14default_configENS1_38merge_sort_block_merge_config_selectorIslEEZZNS1_27merge_sort_block_merge_implIS3_PsN6thrust23THRUST_200600_302600_NS10device_ptrIlEEjNS1_19radix_merge_compareILb0ELb0EsNS0_19identity_decomposerEEEEE10hipError_tT0_T1_T2_jT3_P12ihipStream_tbPNSt15iterator_traitsISG_E10value_typeEPNSM_ISH_E10value_typeEPSI_NS1_7vsmem_tEENKUlT_SG_SH_SI_E_clIS7_S7_PlSB_EESF_SV_SG_SH_SI_EUlSV_E_NS1_11comp_targetILNS1_3genE10ELNS1_11target_archE1201ELNS1_3gpuE5ELNS1_3repE0EEENS1_48merge_mergepath_partition_config_static_selectorELNS0_4arch9wavefront6targetE1EEEvSH_,"axG",@progbits,_ZN7rocprim17ROCPRIM_400000_NS6detail17trampoline_kernelINS0_14default_configENS1_38merge_sort_block_merge_config_selectorIslEEZZNS1_27merge_sort_block_merge_implIS3_PsN6thrust23THRUST_200600_302600_NS10device_ptrIlEEjNS1_19radix_merge_compareILb0ELb0EsNS0_19identity_decomposerEEEEE10hipError_tT0_T1_T2_jT3_P12ihipStream_tbPNSt15iterator_traitsISG_E10value_typeEPNSM_ISH_E10value_typeEPSI_NS1_7vsmem_tEENKUlT_SG_SH_SI_E_clIS7_S7_PlSB_EESF_SV_SG_SH_SI_EUlSV_E_NS1_11comp_targetILNS1_3genE10ELNS1_11target_archE1201ELNS1_3gpuE5ELNS1_3repE0EEENS1_48merge_mergepath_partition_config_static_selectorELNS0_4arch9wavefront6targetE1EEEvSH_,comdat
.Lfunc_end1277:
	.size	_ZN7rocprim17ROCPRIM_400000_NS6detail17trampoline_kernelINS0_14default_configENS1_38merge_sort_block_merge_config_selectorIslEEZZNS1_27merge_sort_block_merge_implIS3_PsN6thrust23THRUST_200600_302600_NS10device_ptrIlEEjNS1_19radix_merge_compareILb0ELb0EsNS0_19identity_decomposerEEEEE10hipError_tT0_T1_T2_jT3_P12ihipStream_tbPNSt15iterator_traitsISG_E10value_typeEPNSM_ISH_E10value_typeEPSI_NS1_7vsmem_tEENKUlT_SG_SH_SI_E_clIS7_S7_PlSB_EESF_SV_SG_SH_SI_EUlSV_E_NS1_11comp_targetILNS1_3genE10ELNS1_11target_archE1201ELNS1_3gpuE5ELNS1_3repE0EEENS1_48merge_mergepath_partition_config_static_selectorELNS0_4arch9wavefront6targetE1EEEvSH_, .Lfunc_end1277-_ZN7rocprim17ROCPRIM_400000_NS6detail17trampoline_kernelINS0_14default_configENS1_38merge_sort_block_merge_config_selectorIslEEZZNS1_27merge_sort_block_merge_implIS3_PsN6thrust23THRUST_200600_302600_NS10device_ptrIlEEjNS1_19radix_merge_compareILb0ELb0EsNS0_19identity_decomposerEEEEE10hipError_tT0_T1_T2_jT3_P12ihipStream_tbPNSt15iterator_traitsISG_E10value_typeEPNSM_ISH_E10value_typeEPSI_NS1_7vsmem_tEENKUlT_SG_SH_SI_E_clIS7_S7_PlSB_EESF_SV_SG_SH_SI_EUlSV_E_NS1_11comp_targetILNS1_3genE10ELNS1_11target_archE1201ELNS1_3gpuE5ELNS1_3repE0EEENS1_48merge_mergepath_partition_config_static_selectorELNS0_4arch9wavefront6targetE1EEEvSH_
                                        ; -- End function
	.section	.AMDGPU.csdata,"",@progbits
; Kernel info:
; codeLenInByte = 0
; NumSgprs: 4
; NumVgprs: 0
; NumAgprs: 0
; TotalNumVgprs: 0
; ScratchSize: 0
; MemoryBound: 0
; FloatMode: 240
; IeeeMode: 1
; LDSByteSize: 0 bytes/workgroup (compile time only)
; SGPRBlocks: 0
; VGPRBlocks: 0
; NumSGPRsForWavesPerEU: 4
; NumVGPRsForWavesPerEU: 1
; AccumOffset: 4
; Occupancy: 8
; WaveLimiterHint : 0
; COMPUTE_PGM_RSRC2:SCRATCH_EN: 0
; COMPUTE_PGM_RSRC2:USER_SGPR: 6
; COMPUTE_PGM_RSRC2:TRAP_HANDLER: 0
; COMPUTE_PGM_RSRC2:TGID_X_EN: 1
; COMPUTE_PGM_RSRC2:TGID_Y_EN: 0
; COMPUTE_PGM_RSRC2:TGID_Z_EN: 0
; COMPUTE_PGM_RSRC2:TIDIG_COMP_CNT: 0
; COMPUTE_PGM_RSRC3_GFX90A:ACCUM_OFFSET: 0
; COMPUTE_PGM_RSRC3_GFX90A:TG_SPLIT: 0
	.section	.text._ZN7rocprim17ROCPRIM_400000_NS6detail17trampoline_kernelINS0_14default_configENS1_38merge_sort_block_merge_config_selectorIslEEZZNS1_27merge_sort_block_merge_implIS3_PsN6thrust23THRUST_200600_302600_NS10device_ptrIlEEjNS1_19radix_merge_compareILb0ELb0EsNS0_19identity_decomposerEEEEE10hipError_tT0_T1_T2_jT3_P12ihipStream_tbPNSt15iterator_traitsISG_E10value_typeEPNSM_ISH_E10value_typeEPSI_NS1_7vsmem_tEENKUlT_SG_SH_SI_E_clIS7_S7_PlSB_EESF_SV_SG_SH_SI_EUlSV_E_NS1_11comp_targetILNS1_3genE5ELNS1_11target_archE942ELNS1_3gpuE9ELNS1_3repE0EEENS1_48merge_mergepath_partition_config_static_selectorELNS0_4arch9wavefront6targetE1EEEvSH_,"axG",@progbits,_ZN7rocprim17ROCPRIM_400000_NS6detail17trampoline_kernelINS0_14default_configENS1_38merge_sort_block_merge_config_selectorIslEEZZNS1_27merge_sort_block_merge_implIS3_PsN6thrust23THRUST_200600_302600_NS10device_ptrIlEEjNS1_19radix_merge_compareILb0ELb0EsNS0_19identity_decomposerEEEEE10hipError_tT0_T1_T2_jT3_P12ihipStream_tbPNSt15iterator_traitsISG_E10value_typeEPNSM_ISH_E10value_typeEPSI_NS1_7vsmem_tEENKUlT_SG_SH_SI_E_clIS7_S7_PlSB_EESF_SV_SG_SH_SI_EUlSV_E_NS1_11comp_targetILNS1_3genE5ELNS1_11target_archE942ELNS1_3gpuE9ELNS1_3repE0EEENS1_48merge_mergepath_partition_config_static_selectorELNS0_4arch9wavefront6targetE1EEEvSH_,comdat
	.protected	_ZN7rocprim17ROCPRIM_400000_NS6detail17trampoline_kernelINS0_14default_configENS1_38merge_sort_block_merge_config_selectorIslEEZZNS1_27merge_sort_block_merge_implIS3_PsN6thrust23THRUST_200600_302600_NS10device_ptrIlEEjNS1_19radix_merge_compareILb0ELb0EsNS0_19identity_decomposerEEEEE10hipError_tT0_T1_T2_jT3_P12ihipStream_tbPNSt15iterator_traitsISG_E10value_typeEPNSM_ISH_E10value_typeEPSI_NS1_7vsmem_tEENKUlT_SG_SH_SI_E_clIS7_S7_PlSB_EESF_SV_SG_SH_SI_EUlSV_E_NS1_11comp_targetILNS1_3genE5ELNS1_11target_archE942ELNS1_3gpuE9ELNS1_3repE0EEENS1_48merge_mergepath_partition_config_static_selectorELNS0_4arch9wavefront6targetE1EEEvSH_ ; -- Begin function _ZN7rocprim17ROCPRIM_400000_NS6detail17trampoline_kernelINS0_14default_configENS1_38merge_sort_block_merge_config_selectorIslEEZZNS1_27merge_sort_block_merge_implIS3_PsN6thrust23THRUST_200600_302600_NS10device_ptrIlEEjNS1_19radix_merge_compareILb0ELb0EsNS0_19identity_decomposerEEEEE10hipError_tT0_T1_T2_jT3_P12ihipStream_tbPNSt15iterator_traitsISG_E10value_typeEPNSM_ISH_E10value_typeEPSI_NS1_7vsmem_tEENKUlT_SG_SH_SI_E_clIS7_S7_PlSB_EESF_SV_SG_SH_SI_EUlSV_E_NS1_11comp_targetILNS1_3genE5ELNS1_11target_archE942ELNS1_3gpuE9ELNS1_3repE0EEENS1_48merge_mergepath_partition_config_static_selectorELNS0_4arch9wavefront6targetE1EEEvSH_
	.globl	_ZN7rocprim17ROCPRIM_400000_NS6detail17trampoline_kernelINS0_14default_configENS1_38merge_sort_block_merge_config_selectorIslEEZZNS1_27merge_sort_block_merge_implIS3_PsN6thrust23THRUST_200600_302600_NS10device_ptrIlEEjNS1_19radix_merge_compareILb0ELb0EsNS0_19identity_decomposerEEEEE10hipError_tT0_T1_T2_jT3_P12ihipStream_tbPNSt15iterator_traitsISG_E10value_typeEPNSM_ISH_E10value_typeEPSI_NS1_7vsmem_tEENKUlT_SG_SH_SI_E_clIS7_S7_PlSB_EESF_SV_SG_SH_SI_EUlSV_E_NS1_11comp_targetILNS1_3genE5ELNS1_11target_archE942ELNS1_3gpuE9ELNS1_3repE0EEENS1_48merge_mergepath_partition_config_static_selectorELNS0_4arch9wavefront6targetE1EEEvSH_
	.p2align	8
	.type	_ZN7rocprim17ROCPRIM_400000_NS6detail17trampoline_kernelINS0_14default_configENS1_38merge_sort_block_merge_config_selectorIslEEZZNS1_27merge_sort_block_merge_implIS3_PsN6thrust23THRUST_200600_302600_NS10device_ptrIlEEjNS1_19radix_merge_compareILb0ELb0EsNS0_19identity_decomposerEEEEE10hipError_tT0_T1_T2_jT3_P12ihipStream_tbPNSt15iterator_traitsISG_E10value_typeEPNSM_ISH_E10value_typeEPSI_NS1_7vsmem_tEENKUlT_SG_SH_SI_E_clIS7_S7_PlSB_EESF_SV_SG_SH_SI_EUlSV_E_NS1_11comp_targetILNS1_3genE5ELNS1_11target_archE942ELNS1_3gpuE9ELNS1_3repE0EEENS1_48merge_mergepath_partition_config_static_selectorELNS0_4arch9wavefront6targetE1EEEvSH_,@function
_ZN7rocprim17ROCPRIM_400000_NS6detail17trampoline_kernelINS0_14default_configENS1_38merge_sort_block_merge_config_selectorIslEEZZNS1_27merge_sort_block_merge_implIS3_PsN6thrust23THRUST_200600_302600_NS10device_ptrIlEEjNS1_19radix_merge_compareILb0ELb0EsNS0_19identity_decomposerEEEEE10hipError_tT0_T1_T2_jT3_P12ihipStream_tbPNSt15iterator_traitsISG_E10value_typeEPNSM_ISH_E10value_typeEPSI_NS1_7vsmem_tEENKUlT_SG_SH_SI_E_clIS7_S7_PlSB_EESF_SV_SG_SH_SI_EUlSV_E_NS1_11comp_targetILNS1_3genE5ELNS1_11target_archE942ELNS1_3gpuE9ELNS1_3repE0EEENS1_48merge_mergepath_partition_config_static_selectorELNS0_4arch9wavefront6targetE1EEEvSH_: ; @_ZN7rocprim17ROCPRIM_400000_NS6detail17trampoline_kernelINS0_14default_configENS1_38merge_sort_block_merge_config_selectorIslEEZZNS1_27merge_sort_block_merge_implIS3_PsN6thrust23THRUST_200600_302600_NS10device_ptrIlEEjNS1_19radix_merge_compareILb0ELb0EsNS0_19identity_decomposerEEEEE10hipError_tT0_T1_T2_jT3_P12ihipStream_tbPNSt15iterator_traitsISG_E10value_typeEPNSM_ISH_E10value_typeEPSI_NS1_7vsmem_tEENKUlT_SG_SH_SI_E_clIS7_S7_PlSB_EESF_SV_SG_SH_SI_EUlSV_E_NS1_11comp_targetILNS1_3genE5ELNS1_11target_archE942ELNS1_3gpuE9ELNS1_3repE0EEENS1_48merge_mergepath_partition_config_static_selectorELNS0_4arch9wavefront6targetE1EEEvSH_
; %bb.0:
	.section	.rodata,"a",@progbits
	.p2align	6, 0x0
	.amdhsa_kernel _ZN7rocprim17ROCPRIM_400000_NS6detail17trampoline_kernelINS0_14default_configENS1_38merge_sort_block_merge_config_selectorIslEEZZNS1_27merge_sort_block_merge_implIS3_PsN6thrust23THRUST_200600_302600_NS10device_ptrIlEEjNS1_19radix_merge_compareILb0ELb0EsNS0_19identity_decomposerEEEEE10hipError_tT0_T1_T2_jT3_P12ihipStream_tbPNSt15iterator_traitsISG_E10value_typeEPNSM_ISH_E10value_typeEPSI_NS1_7vsmem_tEENKUlT_SG_SH_SI_E_clIS7_S7_PlSB_EESF_SV_SG_SH_SI_EUlSV_E_NS1_11comp_targetILNS1_3genE5ELNS1_11target_archE942ELNS1_3gpuE9ELNS1_3repE0EEENS1_48merge_mergepath_partition_config_static_selectorELNS0_4arch9wavefront6targetE1EEEvSH_
		.amdhsa_group_segment_fixed_size 0
		.amdhsa_private_segment_fixed_size 0
		.amdhsa_kernarg_size 40
		.amdhsa_user_sgpr_count 6
		.amdhsa_user_sgpr_private_segment_buffer 1
		.amdhsa_user_sgpr_dispatch_ptr 0
		.amdhsa_user_sgpr_queue_ptr 0
		.amdhsa_user_sgpr_kernarg_segment_ptr 1
		.amdhsa_user_sgpr_dispatch_id 0
		.amdhsa_user_sgpr_flat_scratch_init 0
		.amdhsa_user_sgpr_kernarg_preload_length 0
		.amdhsa_user_sgpr_kernarg_preload_offset 0
		.amdhsa_user_sgpr_private_segment_size 0
		.amdhsa_uses_dynamic_stack 0
		.amdhsa_system_sgpr_private_segment_wavefront_offset 0
		.amdhsa_system_sgpr_workgroup_id_x 1
		.amdhsa_system_sgpr_workgroup_id_y 0
		.amdhsa_system_sgpr_workgroup_id_z 0
		.amdhsa_system_sgpr_workgroup_info 0
		.amdhsa_system_vgpr_workitem_id 0
		.amdhsa_next_free_vgpr 1
		.amdhsa_next_free_sgpr 0
		.amdhsa_accum_offset 4
		.amdhsa_reserve_vcc 0
		.amdhsa_reserve_flat_scratch 0
		.amdhsa_float_round_mode_32 0
		.amdhsa_float_round_mode_16_64 0
		.amdhsa_float_denorm_mode_32 3
		.amdhsa_float_denorm_mode_16_64 3
		.amdhsa_dx10_clamp 1
		.amdhsa_ieee_mode 1
		.amdhsa_fp16_overflow 0
		.amdhsa_tg_split 0
		.amdhsa_exception_fp_ieee_invalid_op 0
		.amdhsa_exception_fp_denorm_src 0
		.amdhsa_exception_fp_ieee_div_zero 0
		.amdhsa_exception_fp_ieee_overflow 0
		.amdhsa_exception_fp_ieee_underflow 0
		.amdhsa_exception_fp_ieee_inexact 0
		.amdhsa_exception_int_div_zero 0
	.end_amdhsa_kernel
	.section	.text._ZN7rocprim17ROCPRIM_400000_NS6detail17trampoline_kernelINS0_14default_configENS1_38merge_sort_block_merge_config_selectorIslEEZZNS1_27merge_sort_block_merge_implIS3_PsN6thrust23THRUST_200600_302600_NS10device_ptrIlEEjNS1_19radix_merge_compareILb0ELb0EsNS0_19identity_decomposerEEEEE10hipError_tT0_T1_T2_jT3_P12ihipStream_tbPNSt15iterator_traitsISG_E10value_typeEPNSM_ISH_E10value_typeEPSI_NS1_7vsmem_tEENKUlT_SG_SH_SI_E_clIS7_S7_PlSB_EESF_SV_SG_SH_SI_EUlSV_E_NS1_11comp_targetILNS1_3genE5ELNS1_11target_archE942ELNS1_3gpuE9ELNS1_3repE0EEENS1_48merge_mergepath_partition_config_static_selectorELNS0_4arch9wavefront6targetE1EEEvSH_,"axG",@progbits,_ZN7rocprim17ROCPRIM_400000_NS6detail17trampoline_kernelINS0_14default_configENS1_38merge_sort_block_merge_config_selectorIslEEZZNS1_27merge_sort_block_merge_implIS3_PsN6thrust23THRUST_200600_302600_NS10device_ptrIlEEjNS1_19radix_merge_compareILb0ELb0EsNS0_19identity_decomposerEEEEE10hipError_tT0_T1_T2_jT3_P12ihipStream_tbPNSt15iterator_traitsISG_E10value_typeEPNSM_ISH_E10value_typeEPSI_NS1_7vsmem_tEENKUlT_SG_SH_SI_E_clIS7_S7_PlSB_EESF_SV_SG_SH_SI_EUlSV_E_NS1_11comp_targetILNS1_3genE5ELNS1_11target_archE942ELNS1_3gpuE9ELNS1_3repE0EEENS1_48merge_mergepath_partition_config_static_selectorELNS0_4arch9wavefront6targetE1EEEvSH_,comdat
.Lfunc_end1278:
	.size	_ZN7rocprim17ROCPRIM_400000_NS6detail17trampoline_kernelINS0_14default_configENS1_38merge_sort_block_merge_config_selectorIslEEZZNS1_27merge_sort_block_merge_implIS3_PsN6thrust23THRUST_200600_302600_NS10device_ptrIlEEjNS1_19radix_merge_compareILb0ELb0EsNS0_19identity_decomposerEEEEE10hipError_tT0_T1_T2_jT3_P12ihipStream_tbPNSt15iterator_traitsISG_E10value_typeEPNSM_ISH_E10value_typeEPSI_NS1_7vsmem_tEENKUlT_SG_SH_SI_E_clIS7_S7_PlSB_EESF_SV_SG_SH_SI_EUlSV_E_NS1_11comp_targetILNS1_3genE5ELNS1_11target_archE942ELNS1_3gpuE9ELNS1_3repE0EEENS1_48merge_mergepath_partition_config_static_selectorELNS0_4arch9wavefront6targetE1EEEvSH_, .Lfunc_end1278-_ZN7rocprim17ROCPRIM_400000_NS6detail17trampoline_kernelINS0_14default_configENS1_38merge_sort_block_merge_config_selectorIslEEZZNS1_27merge_sort_block_merge_implIS3_PsN6thrust23THRUST_200600_302600_NS10device_ptrIlEEjNS1_19radix_merge_compareILb0ELb0EsNS0_19identity_decomposerEEEEE10hipError_tT0_T1_T2_jT3_P12ihipStream_tbPNSt15iterator_traitsISG_E10value_typeEPNSM_ISH_E10value_typeEPSI_NS1_7vsmem_tEENKUlT_SG_SH_SI_E_clIS7_S7_PlSB_EESF_SV_SG_SH_SI_EUlSV_E_NS1_11comp_targetILNS1_3genE5ELNS1_11target_archE942ELNS1_3gpuE9ELNS1_3repE0EEENS1_48merge_mergepath_partition_config_static_selectorELNS0_4arch9wavefront6targetE1EEEvSH_
                                        ; -- End function
	.section	.AMDGPU.csdata,"",@progbits
; Kernel info:
; codeLenInByte = 0
; NumSgprs: 4
; NumVgprs: 0
; NumAgprs: 0
; TotalNumVgprs: 0
; ScratchSize: 0
; MemoryBound: 0
; FloatMode: 240
; IeeeMode: 1
; LDSByteSize: 0 bytes/workgroup (compile time only)
; SGPRBlocks: 0
; VGPRBlocks: 0
; NumSGPRsForWavesPerEU: 4
; NumVGPRsForWavesPerEU: 1
; AccumOffset: 4
; Occupancy: 8
; WaveLimiterHint : 0
; COMPUTE_PGM_RSRC2:SCRATCH_EN: 0
; COMPUTE_PGM_RSRC2:USER_SGPR: 6
; COMPUTE_PGM_RSRC2:TRAP_HANDLER: 0
; COMPUTE_PGM_RSRC2:TGID_X_EN: 1
; COMPUTE_PGM_RSRC2:TGID_Y_EN: 0
; COMPUTE_PGM_RSRC2:TGID_Z_EN: 0
; COMPUTE_PGM_RSRC2:TIDIG_COMP_CNT: 0
; COMPUTE_PGM_RSRC3_GFX90A:ACCUM_OFFSET: 0
; COMPUTE_PGM_RSRC3_GFX90A:TG_SPLIT: 0
	.section	.text._ZN7rocprim17ROCPRIM_400000_NS6detail17trampoline_kernelINS0_14default_configENS1_38merge_sort_block_merge_config_selectorIslEEZZNS1_27merge_sort_block_merge_implIS3_PsN6thrust23THRUST_200600_302600_NS10device_ptrIlEEjNS1_19radix_merge_compareILb0ELb0EsNS0_19identity_decomposerEEEEE10hipError_tT0_T1_T2_jT3_P12ihipStream_tbPNSt15iterator_traitsISG_E10value_typeEPNSM_ISH_E10value_typeEPSI_NS1_7vsmem_tEENKUlT_SG_SH_SI_E_clIS7_S7_PlSB_EESF_SV_SG_SH_SI_EUlSV_E_NS1_11comp_targetILNS1_3genE4ELNS1_11target_archE910ELNS1_3gpuE8ELNS1_3repE0EEENS1_48merge_mergepath_partition_config_static_selectorELNS0_4arch9wavefront6targetE1EEEvSH_,"axG",@progbits,_ZN7rocprim17ROCPRIM_400000_NS6detail17trampoline_kernelINS0_14default_configENS1_38merge_sort_block_merge_config_selectorIslEEZZNS1_27merge_sort_block_merge_implIS3_PsN6thrust23THRUST_200600_302600_NS10device_ptrIlEEjNS1_19radix_merge_compareILb0ELb0EsNS0_19identity_decomposerEEEEE10hipError_tT0_T1_T2_jT3_P12ihipStream_tbPNSt15iterator_traitsISG_E10value_typeEPNSM_ISH_E10value_typeEPSI_NS1_7vsmem_tEENKUlT_SG_SH_SI_E_clIS7_S7_PlSB_EESF_SV_SG_SH_SI_EUlSV_E_NS1_11comp_targetILNS1_3genE4ELNS1_11target_archE910ELNS1_3gpuE8ELNS1_3repE0EEENS1_48merge_mergepath_partition_config_static_selectorELNS0_4arch9wavefront6targetE1EEEvSH_,comdat
	.protected	_ZN7rocprim17ROCPRIM_400000_NS6detail17trampoline_kernelINS0_14default_configENS1_38merge_sort_block_merge_config_selectorIslEEZZNS1_27merge_sort_block_merge_implIS3_PsN6thrust23THRUST_200600_302600_NS10device_ptrIlEEjNS1_19radix_merge_compareILb0ELb0EsNS0_19identity_decomposerEEEEE10hipError_tT0_T1_T2_jT3_P12ihipStream_tbPNSt15iterator_traitsISG_E10value_typeEPNSM_ISH_E10value_typeEPSI_NS1_7vsmem_tEENKUlT_SG_SH_SI_E_clIS7_S7_PlSB_EESF_SV_SG_SH_SI_EUlSV_E_NS1_11comp_targetILNS1_3genE4ELNS1_11target_archE910ELNS1_3gpuE8ELNS1_3repE0EEENS1_48merge_mergepath_partition_config_static_selectorELNS0_4arch9wavefront6targetE1EEEvSH_ ; -- Begin function _ZN7rocprim17ROCPRIM_400000_NS6detail17trampoline_kernelINS0_14default_configENS1_38merge_sort_block_merge_config_selectorIslEEZZNS1_27merge_sort_block_merge_implIS3_PsN6thrust23THRUST_200600_302600_NS10device_ptrIlEEjNS1_19radix_merge_compareILb0ELb0EsNS0_19identity_decomposerEEEEE10hipError_tT0_T1_T2_jT3_P12ihipStream_tbPNSt15iterator_traitsISG_E10value_typeEPNSM_ISH_E10value_typeEPSI_NS1_7vsmem_tEENKUlT_SG_SH_SI_E_clIS7_S7_PlSB_EESF_SV_SG_SH_SI_EUlSV_E_NS1_11comp_targetILNS1_3genE4ELNS1_11target_archE910ELNS1_3gpuE8ELNS1_3repE0EEENS1_48merge_mergepath_partition_config_static_selectorELNS0_4arch9wavefront6targetE1EEEvSH_
	.globl	_ZN7rocprim17ROCPRIM_400000_NS6detail17trampoline_kernelINS0_14default_configENS1_38merge_sort_block_merge_config_selectorIslEEZZNS1_27merge_sort_block_merge_implIS3_PsN6thrust23THRUST_200600_302600_NS10device_ptrIlEEjNS1_19radix_merge_compareILb0ELb0EsNS0_19identity_decomposerEEEEE10hipError_tT0_T1_T2_jT3_P12ihipStream_tbPNSt15iterator_traitsISG_E10value_typeEPNSM_ISH_E10value_typeEPSI_NS1_7vsmem_tEENKUlT_SG_SH_SI_E_clIS7_S7_PlSB_EESF_SV_SG_SH_SI_EUlSV_E_NS1_11comp_targetILNS1_3genE4ELNS1_11target_archE910ELNS1_3gpuE8ELNS1_3repE0EEENS1_48merge_mergepath_partition_config_static_selectorELNS0_4arch9wavefront6targetE1EEEvSH_
	.p2align	8
	.type	_ZN7rocprim17ROCPRIM_400000_NS6detail17trampoline_kernelINS0_14default_configENS1_38merge_sort_block_merge_config_selectorIslEEZZNS1_27merge_sort_block_merge_implIS3_PsN6thrust23THRUST_200600_302600_NS10device_ptrIlEEjNS1_19radix_merge_compareILb0ELb0EsNS0_19identity_decomposerEEEEE10hipError_tT0_T1_T2_jT3_P12ihipStream_tbPNSt15iterator_traitsISG_E10value_typeEPNSM_ISH_E10value_typeEPSI_NS1_7vsmem_tEENKUlT_SG_SH_SI_E_clIS7_S7_PlSB_EESF_SV_SG_SH_SI_EUlSV_E_NS1_11comp_targetILNS1_3genE4ELNS1_11target_archE910ELNS1_3gpuE8ELNS1_3repE0EEENS1_48merge_mergepath_partition_config_static_selectorELNS0_4arch9wavefront6targetE1EEEvSH_,@function
_ZN7rocprim17ROCPRIM_400000_NS6detail17trampoline_kernelINS0_14default_configENS1_38merge_sort_block_merge_config_selectorIslEEZZNS1_27merge_sort_block_merge_implIS3_PsN6thrust23THRUST_200600_302600_NS10device_ptrIlEEjNS1_19radix_merge_compareILb0ELb0EsNS0_19identity_decomposerEEEEE10hipError_tT0_T1_T2_jT3_P12ihipStream_tbPNSt15iterator_traitsISG_E10value_typeEPNSM_ISH_E10value_typeEPSI_NS1_7vsmem_tEENKUlT_SG_SH_SI_E_clIS7_S7_PlSB_EESF_SV_SG_SH_SI_EUlSV_E_NS1_11comp_targetILNS1_3genE4ELNS1_11target_archE910ELNS1_3gpuE8ELNS1_3repE0EEENS1_48merge_mergepath_partition_config_static_selectorELNS0_4arch9wavefront6targetE1EEEvSH_: ; @_ZN7rocprim17ROCPRIM_400000_NS6detail17trampoline_kernelINS0_14default_configENS1_38merge_sort_block_merge_config_selectorIslEEZZNS1_27merge_sort_block_merge_implIS3_PsN6thrust23THRUST_200600_302600_NS10device_ptrIlEEjNS1_19radix_merge_compareILb0ELb0EsNS0_19identity_decomposerEEEEE10hipError_tT0_T1_T2_jT3_P12ihipStream_tbPNSt15iterator_traitsISG_E10value_typeEPNSM_ISH_E10value_typeEPSI_NS1_7vsmem_tEENKUlT_SG_SH_SI_E_clIS7_S7_PlSB_EESF_SV_SG_SH_SI_EUlSV_E_NS1_11comp_targetILNS1_3genE4ELNS1_11target_archE910ELNS1_3gpuE8ELNS1_3repE0EEENS1_48merge_mergepath_partition_config_static_selectorELNS0_4arch9wavefront6targetE1EEEvSH_
; %bb.0:
	s_load_dword s0, s[4:5], 0x0
	v_lshl_or_b32 v0, s6, 7, v0
	s_waitcnt lgkmcnt(0)
	v_cmp_gt_u32_e32 vcc, s0, v0
	s_and_saveexec_b64 s[0:1], vcc
	s_cbranch_execz .LBB1279_6
; %bb.1:
	s_load_dwordx2 s[2:3], s[4:5], 0x4
	s_load_dwordx2 s[0:1], s[4:5], 0x20
	s_waitcnt lgkmcnt(0)
	s_lshr_b32 s6, s2, 9
	s_and_b32 s6, s6, 0x7ffffe
	s_add_i32 s7, s6, -1
	s_sub_i32 s6, 0, s6
	v_and_b32_e32 v1, s6, v0
	v_lshlrev_b32_e32 v1, 10, v1
	v_min_u32_e32 v2, s3, v1
	v_add_u32_e32 v1, s2, v1
	v_min_u32_e32 v4, s3, v1
	v_add_u32_e32 v1, s2, v4
	v_and_b32_e32 v3, s7, v0
	v_min_u32_e32 v1, s3, v1
	v_sub_u32_e32 v5, v1, v2
	v_lshlrev_b32_e32 v3, 10, v3
	v_min_u32_e32 v6, v5, v3
	v_sub_u32_e32 v3, v4, v2
	v_sub_u32_e32 v1, v1, v4
	v_sub_u32_e64 v1, v6, v1 clamp
	v_min_u32_e32 v7, v6, v3
	v_cmp_lt_u32_e32 vcc, v1, v7
	s_and_saveexec_b64 s[2:3], vcc
	s_cbranch_execz .LBB1279_5
; %bb.2:
	s_load_dwordx2 s[4:5], s[4:5], 0x10
	v_mov_b32_e32 v5, 0
	v_mov_b32_e32 v3, v5
	v_lshlrev_b64 v[8:9], 1, v[2:3]
	v_lshlrev_b64 v[10:11], 1, v[4:5]
	s_waitcnt lgkmcnt(0)
	v_mov_b32_e32 v12, s5
	v_add_co_u32_e32 v3, vcc, s4, v8
	v_addc_co_u32_e32 v8, vcc, v12, v9, vcc
	v_add_co_u32_e32 v9, vcc, s4, v10
	v_addc_co_u32_e32 v10, vcc, v12, v11, vcc
	s_mov_b64 s[4:5], 0
.LBB1279_3:                             ; =>This Inner Loop Header: Depth=1
	v_add_u32_e32 v4, v7, v1
	v_and_b32_e32 v12, -2, v4
	v_lshrrev_b32_e32 v11, 1, v4
	v_add_co_u32_e32 v12, vcc, v3, v12
	v_xad_u32 v4, v11, -1, v6
	v_addc_co_u32_e32 v13, vcc, 0, v8, vcc
	global_load_ushort v14, v[12:13], off
	v_lshlrev_b64 v[12:13], 1, v[4:5]
	v_add_co_u32_e32 v12, vcc, v9, v12
	v_addc_co_u32_e32 v13, vcc, v10, v13, vcc
	global_load_ushort v4, v[12:13], off
	v_add_u32_e32 v12, 1, v11
	s_waitcnt vmcnt(0)
	v_cmp_gt_i16_e32 vcc, v14, v4
	v_cndmask_b32_e32 v7, v7, v11, vcc
	v_cndmask_b32_e32 v1, v12, v1, vcc
	v_cmp_ge_u32_e32 vcc, v1, v7
	s_or_b64 s[4:5], vcc, s[4:5]
	s_andn2_b64 exec, exec, s[4:5]
	s_cbranch_execnz .LBB1279_3
; %bb.4:
	s_or_b64 exec, exec, s[4:5]
.LBB1279_5:
	s_or_b64 exec, exec, s[2:3]
	v_add_u32_e32 v2, v1, v2
	v_mov_b32_e32 v1, 0
	v_lshlrev_b64 v[0:1], 2, v[0:1]
	v_mov_b32_e32 v3, s1
	v_add_co_u32_e32 v0, vcc, s0, v0
	v_addc_co_u32_e32 v1, vcc, v3, v1, vcc
	global_store_dword v[0:1], v2, off
.LBB1279_6:
	s_endpgm
	.section	.rodata,"a",@progbits
	.p2align	6, 0x0
	.amdhsa_kernel _ZN7rocprim17ROCPRIM_400000_NS6detail17trampoline_kernelINS0_14default_configENS1_38merge_sort_block_merge_config_selectorIslEEZZNS1_27merge_sort_block_merge_implIS3_PsN6thrust23THRUST_200600_302600_NS10device_ptrIlEEjNS1_19radix_merge_compareILb0ELb0EsNS0_19identity_decomposerEEEEE10hipError_tT0_T1_T2_jT3_P12ihipStream_tbPNSt15iterator_traitsISG_E10value_typeEPNSM_ISH_E10value_typeEPSI_NS1_7vsmem_tEENKUlT_SG_SH_SI_E_clIS7_S7_PlSB_EESF_SV_SG_SH_SI_EUlSV_E_NS1_11comp_targetILNS1_3genE4ELNS1_11target_archE910ELNS1_3gpuE8ELNS1_3repE0EEENS1_48merge_mergepath_partition_config_static_selectorELNS0_4arch9wavefront6targetE1EEEvSH_
		.amdhsa_group_segment_fixed_size 0
		.amdhsa_private_segment_fixed_size 0
		.amdhsa_kernarg_size 40
		.amdhsa_user_sgpr_count 6
		.amdhsa_user_sgpr_private_segment_buffer 1
		.amdhsa_user_sgpr_dispatch_ptr 0
		.amdhsa_user_sgpr_queue_ptr 0
		.amdhsa_user_sgpr_kernarg_segment_ptr 1
		.amdhsa_user_sgpr_dispatch_id 0
		.amdhsa_user_sgpr_flat_scratch_init 0
		.amdhsa_user_sgpr_kernarg_preload_length 0
		.amdhsa_user_sgpr_kernarg_preload_offset 0
		.amdhsa_user_sgpr_private_segment_size 0
		.amdhsa_uses_dynamic_stack 0
		.amdhsa_system_sgpr_private_segment_wavefront_offset 0
		.amdhsa_system_sgpr_workgroup_id_x 1
		.amdhsa_system_sgpr_workgroup_id_y 0
		.amdhsa_system_sgpr_workgroup_id_z 0
		.amdhsa_system_sgpr_workgroup_info 0
		.amdhsa_system_vgpr_workitem_id 0
		.amdhsa_next_free_vgpr 15
		.amdhsa_next_free_sgpr 8
		.amdhsa_accum_offset 16
		.amdhsa_reserve_vcc 1
		.amdhsa_reserve_flat_scratch 0
		.amdhsa_float_round_mode_32 0
		.amdhsa_float_round_mode_16_64 0
		.amdhsa_float_denorm_mode_32 3
		.amdhsa_float_denorm_mode_16_64 3
		.amdhsa_dx10_clamp 1
		.amdhsa_ieee_mode 1
		.amdhsa_fp16_overflow 0
		.amdhsa_tg_split 0
		.amdhsa_exception_fp_ieee_invalid_op 0
		.amdhsa_exception_fp_denorm_src 0
		.amdhsa_exception_fp_ieee_div_zero 0
		.amdhsa_exception_fp_ieee_overflow 0
		.amdhsa_exception_fp_ieee_underflow 0
		.amdhsa_exception_fp_ieee_inexact 0
		.amdhsa_exception_int_div_zero 0
	.end_amdhsa_kernel
	.section	.text._ZN7rocprim17ROCPRIM_400000_NS6detail17trampoline_kernelINS0_14default_configENS1_38merge_sort_block_merge_config_selectorIslEEZZNS1_27merge_sort_block_merge_implIS3_PsN6thrust23THRUST_200600_302600_NS10device_ptrIlEEjNS1_19radix_merge_compareILb0ELb0EsNS0_19identity_decomposerEEEEE10hipError_tT0_T1_T2_jT3_P12ihipStream_tbPNSt15iterator_traitsISG_E10value_typeEPNSM_ISH_E10value_typeEPSI_NS1_7vsmem_tEENKUlT_SG_SH_SI_E_clIS7_S7_PlSB_EESF_SV_SG_SH_SI_EUlSV_E_NS1_11comp_targetILNS1_3genE4ELNS1_11target_archE910ELNS1_3gpuE8ELNS1_3repE0EEENS1_48merge_mergepath_partition_config_static_selectorELNS0_4arch9wavefront6targetE1EEEvSH_,"axG",@progbits,_ZN7rocprim17ROCPRIM_400000_NS6detail17trampoline_kernelINS0_14default_configENS1_38merge_sort_block_merge_config_selectorIslEEZZNS1_27merge_sort_block_merge_implIS3_PsN6thrust23THRUST_200600_302600_NS10device_ptrIlEEjNS1_19radix_merge_compareILb0ELb0EsNS0_19identity_decomposerEEEEE10hipError_tT0_T1_T2_jT3_P12ihipStream_tbPNSt15iterator_traitsISG_E10value_typeEPNSM_ISH_E10value_typeEPSI_NS1_7vsmem_tEENKUlT_SG_SH_SI_E_clIS7_S7_PlSB_EESF_SV_SG_SH_SI_EUlSV_E_NS1_11comp_targetILNS1_3genE4ELNS1_11target_archE910ELNS1_3gpuE8ELNS1_3repE0EEENS1_48merge_mergepath_partition_config_static_selectorELNS0_4arch9wavefront6targetE1EEEvSH_,comdat
.Lfunc_end1279:
	.size	_ZN7rocprim17ROCPRIM_400000_NS6detail17trampoline_kernelINS0_14default_configENS1_38merge_sort_block_merge_config_selectorIslEEZZNS1_27merge_sort_block_merge_implIS3_PsN6thrust23THRUST_200600_302600_NS10device_ptrIlEEjNS1_19radix_merge_compareILb0ELb0EsNS0_19identity_decomposerEEEEE10hipError_tT0_T1_T2_jT3_P12ihipStream_tbPNSt15iterator_traitsISG_E10value_typeEPNSM_ISH_E10value_typeEPSI_NS1_7vsmem_tEENKUlT_SG_SH_SI_E_clIS7_S7_PlSB_EESF_SV_SG_SH_SI_EUlSV_E_NS1_11comp_targetILNS1_3genE4ELNS1_11target_archE910ELNS1_3gpuE8ELNS1_3repE0EEENS1_48merge_mergepath_partition_config_static_selectorELNS0_4arch9wavefront6targetE1EEEvSH_, .Lfunc_end1279-_ZN7rocprim17ROCPRIM_400000_NS6detail17trampoline_kernelINS0_14default_configENS1_38merge_sort_block_merge_config_selectorIslEEZZNS1_27merge_sort_block_merge_implIS3_PsN6thrust23THRUST_200600_302600_NS10device_ptrIlEEjNS1_19radix_merge_compareILb0ELb0EsNS0_19identity_decomposerEEEEE10hipError_tT0_T1_T2_jT3_P12ihipStream_tbPNSt15iterator_traitsISG_E10value_typeEPNSM_ISH_E10value_typeEPSI_NS1_7vsmem_tEENKUlT_SG_SH_SI_E_clIS7_S7_PlSB_EESF_SV_SG_SH_SI_EUlSV_E_NS1_11comp_targetILNS1_3genE4ELNS1_11target_archE910ELNS1_3gpuE8ELNS1_3repE0EEENS1_48merge_mergepath_partition_config_static_selectorELNS0_4arch9wavefront6targetE1EEEvSH_
                                        ; -- End function
	.section	.AMDGPU.csdata,"",@progbits
; Kernel info:
; codeLenInByte = 352
; NumSgprs: 12
; NumVgprs: 15
; NumAgprs: 0
; TotalNumVgprs: 15
; ScratchSize: 0
; MemoryBound: 0
; FloatMode: 240
; IeeeMode: 1
; LDSByteSize: 0 bytes/workgroup (compile time only)
; SGPRBlocks: 1
; VGPRBlocks: 1
; NumSGPRsForWavesPerEU: 12
; NumVGPRsForWavesPerEU: 15
; AccumOffset: 16
; Occupancy: 8
; WaveLimiterHint : 0
; COMPUTE_PGM_RSRC2:SCRATCH_EN: 0
; COMPUTE_PGM_RSRC2:USER_SGPR: 6
; COMPUTE_PGM_RSRC2:TRAP_HANDLER: 0
; COMPUTE_PGM_RSRC2:TGID_X_EN: 1
; COMPUTE_PGM_RSRC2:TGID_Y_EN: 0
; COMPUTE_PGM_RSRC2:TGID_Z_EN: 0
; COMPUTE_PGM_RSRC2:TIDIG_COMP_CNT: 0
; COMPUTE_PGM_RSRC3_GFX90A:ACCUM_OFFSET: 3
; COMPUTE_PGM_RSRC3_GFX90A:TG_SPLIT: 0
	.section	.text._ZN7rocprim17ROCPRIM_400000_NS6detail17trampoline_kernelINS0_14default_configENS1_38merge_sort_block_merge_config_selectorIslEEZZNS1_27merge_sort_block_merge_implIS3_PsN6thrust23THRUST_200600_302600_NS10device_ptrIlEEjNS1_19radix_merge_compareILb0ELb0EsNS0_19identity_decomposerEEEEE10hipError_tT0_T1_T2_jT3_P12ihipStream_tbPNSt15iterator_traitsISG_E10value_typeEPNSM_ISH_E10value_typeEPSI_NS1_7vsmem_tEENKUlT_SG_SH_SI_E_clIS7_S7_PlSB_EESF_SV_SG_SH_SI_EUlSV_E_NS1_11comp_targetILNS1_3genE3ELNS1_11target_archE908ELNS1_3gpuE7ELNS1_3repE0EEENS1_48merge_mergepath_partition_config_static_selectorELNS0_4arch9wavefront6targetE1EEEvSH_,"axG",@progbits,_ZN7rocprim17ROCPRIM_400000_NS6detail17trampoline_kernelINS0_14default_configENS1_38merge_sort_block_merge_config_selectorIslEEZZNS1_27merge_sort_block_merge_implIS3_PsN6thrust23THRUST_200600_302600_NS10device_ptrIlEEjNS1_19radix_merge_compareILb0ELb0EsNS0_19identity_decomposerEEEEE10hipError_tT0_T1_T2_jT3_P12ihipStream_tbPNSt15iterator_traitsISG_E10value_typeEPNSM_ISH_E10value_typeEPSI_NS1_7vsmem_tEENKUlT_SG_SH_SI_E_clIS7_S7_PlSB_EESF_SV_SG_SH_SI_EUlSV_E_NS1_11comp_targetILNS1_3genE3ELNS1_11target_archE908ELNS1_3gpuE7ELNS1_3repE0EEENS1_48merge_mergepath_partition_config_static_selectorELNS0_4arch9wavefront6targetE1EEEvSH_,comdat
	.protected	_ZN7rocprim17ROCPRIM_400000_NS6detail17trampoline_kernelINS0_14default_configENS1_38merge_sort_block_merge_config_selectorIslEEZZNS1_27merge_sort_block_merge_implIS3_PsN6thrust23THRUST_200600_302600_NS10device_ptrIlEEjNS1_19radix_merge_compareILb0ELb0EsNS0_19identity_decomposerEEEEE10hipError_tT0_T1_T2_jT3_P12ihipStream_tbPNSt15iterator_traitsISG_E10value_typeEPNSM_ISH_E10value_typeEPSI_NS1_7vsmem_tEENKUlT_SG_SH_SI_E_clIS7_S7_PlSB_EESF_SV_SG_SH_SI_EUlSV_E_NS1_11comp_targetILNS1_3genE3ELNS1_11target_archE908ELNS1_3gpuE7ELNS1_3repE0EEENS1_48merge_mergepath_partition_config_static_selectorELNS0_4arch9wavefront6targetE1EEEvSH_ ; -- Begin function _ZN7rocprim17ROCPRIM_400000_NS6detail17trampoline_kernelINS0_14default_configENS1_38merge_sort_block_merge_config_selectorIslEEZZNS1_27merge_sort_block_merge_implIS3_PsN6thrust23THRUST_200600_302600_NS10device_ptrIlEEjNS1_19radix_merge_compareILb0ELb0EsNS0_19identity_decomposerEEEEE10hipError_tT0_T1_T2_jT3_P12ihipStream_tbPNSt15iterator_traitsISG_E10value_typeEPNSM_ISH_E10value_typeEPSI_NS1_7vsmem_tEENKUlT_SG_SH_SI_E_clIS7_S7_PlSB_EESF_SV_SG_SH_SI_EUlSV_E_NS1_11comp_targetILNS1_3genE3ELNS1_11target_archE908ELNS1_3gpuE7ELNS1_3repE0EEENS1_48merge_mergepath_partition_config_static_selectorELNS0_4arch9wavefront6targetE1EEEvSH_
	.globl	_ZN7rocprim17ROCPRIM_400000_NS6detail17trampoline_kernelINS0_14default_configENS1_38merge_sort_block_merge_config_selectorIslEEZZNS1_27merge_sort_block_merge_implIS3_PsN6thrust23THRUST_200600_302600_NS10device_ptrIlEEjNS1_19radix_merge_compareILb0ELb0EsNS0_19identity_decomposerEEEEE10hipError_tT0_T1_T2_jT3_P12ihipStream_tbPNSt15iterator_traitsISG_E10value_typeEPNSM_ISH_E10value_typeEPSI_NS1_7vsmem_tEENKUlT_SG_SH_SI_E_clIS7_S7_PlSB_EESF_SV_SG_SH_SI_EUlSV_E_NS1_11comp_targetILNS1_3genE3ELNS1_11target_archE908ELNS1_3gpuE7ELNS1_3repE0EEENS1_48merge_mergepath_partition_config_static_selectorELNS0_4arch9wavefront6targetE1EEEvSH_
	.p2align	8
	.type	_ZN7rocprim17ROCPRIM_400000_NS6detail17trampoline_kernelINS0_14default_configENS1_38merge_sort_block_merge_config_selectorIslEEZZNS1_27merge_sort_block_merge_implIS3_PsN6thrust23THRUST_200600_302600_NS10device_ptrIlEEjNS1_19radix_merge_compareILb0ELb0EsNS0_19identity_decomposerEEEEE10hipError_tT0_T1_T2_jT3_P12ihipStream_tbPNSt15iterator_traitsISG_E10value_typeEPNSM_ISH_E10value_typeEPSI_NS1_7vsmem_tEENKUlT_SG_SH_SI_E_clIS7_S7_PlSB_EESF_SV_SG_SH_SI_EUlSV_E_NS1_11comp_targetILNS1_3genE3ELNS1_11target_archE908ELNS1_3gpuE7ELNS1_3repE0EEENS1_48merge_mergepath_partition_config_static_selectorELNS0_4arch9wavefront6targetE1EEEvSH_,@function
_ZN7rocprim17ROCPRIM_400000_NS6detail17trampoline_kernelINS0_14default_configENS1_38merge_sort_block_merge_config_selectorIslEEZZNS1_27merge_sort_block_merge_implIS3_PsN6thrust23THRUST_200600_302600_NS10device_ptrIlEEjNS1_19radix_merge_compareILb0ELb0EsNS0_19identity_decomposerEEEEE10hipError_tT0_T1_T2_jT3_P12ihipStream_tbPNSt15iterator_traitsISG_E10value_typeEPNSM_ISH_E10value_typeEPSI_NS1_7vsmem_tEENKUlT_SG_SH_SI_E_clIS7_S7_PlSB_EESF_SV_SG_SH_SI_EUlSV_E_NS1_11comp_targetILNS1_3genE3ELNS1_11target_archE908ELNS1_3gpuE7ELNS1_3repE0EEENS1_48merge_mergepath_partition_config_static_selectorELNS0_4arch9wavefront6targetE1EEEvSH_: ; @_ZN7rocprim17ROCPRIM_400000_NS6detail17trampoline_kernelINS0_14default_configENS1_38merge_sort_block_merge_config_selectorIslEEZZNS1_27merge_sort_block_merge_implIS3_PsN6thrust23THRUST_200600_302600_NS10device_ptrIlEEjNS1_19radix_merge_compareILb0ELb0EsNS0_19identity_decomposerEEEEE10hipError_tT0_T1_T2_jT3_P12ihipStream_tbPNSt15iterator_traitsISG_E10value_typeEPNSM_ISH_E10value_typeEPSI_NS1_7vsmem_tEENKUlT_SG_SH_SI_E_clIS7_S7_PlSB_EESF_SV_SG_SH_SI_EUlSV_E_NS1_11comp_targetILNS1_3genE3ELNS1_11target_archE908ELNS1_3gpuE7ELNS1_3repE0EEENS1_48merge_mergepath_partition_config_static_selectorELNS0_4arch9wavefront6targetE1EEEvSH_
; %bb.0:
	.section	.rodata,"a",@progbits
	.p2align	6, 0x0
	.amdhsa_kernel _ZN7rocprim17ROCPRIM_400000_NS6detail17trampoline_kernelINS0_14default_configENS1_38merge_sort_block_merge_config_selectorIslEEZZNS1_27merge_sort_block_merge_implIS3_PsN6thrust23THRUST_200600_302600_NS10device_ptrIlEEjNS1_19radix_merge_compareILb0ELb0EsNS0_19identity_decomposerEEEEE10hipError_tT0_T1_T2_jT3_P12ihipStream_tbPNSt15iterator_traitsISG_E10value_typeEPNSM_ISH_E10value_typeEPSI_NS1_7vsmem_tEENKUlT_SG_SH_SI_E_clIS7_S7_PlSB_EESF_SV_SG_SH_SI_EUlSV_E_NS1_11comp_targetILNS1_3genE3ELNS1_11target_archE908ELNS1_3gpuE7ELNS1_3repE0EEENS1_48merge_mergepath_partition_config_static_selectorELNS0_4arch9wavefront6targetE1EEEvSH_
		.amdhsa_group_segment_fixed_size 0
		.amdhsa_private_segment_fixed_size 0
		.amdhsa_kernarg_size 40
		.amdhsa_user_sgpr_count 6
		.amdhsa_user_sgpr_private_segment_buffer 1
		.amdhsa_user_sgpr_dispatch_ptr 0
		.amdhsa_user_sgpr_queue_ptr 0
		.amdhsa_user_sgpr_kernarg_segment_ptr 1
		.amdhsa_user_sgpr_dispatch_id 0
		.amdhsa_user_sgpr_flat_scratch_init 0
		.amdhsa_user_sgpr_kernarg_preload_length 0
		.amdhsa_user_sgpr_kernarg_preload_offset 0
		.amdhsa_user_sgpr_private_segment_size 0
		.amdhsa_uses_dynamic_stack 0
		.amdhsa_system_sgpr_private_segment_wavefront_offset 0
		.amdhsa_system_sgpr_workgroup_id_x 1
		.amdhsa_system_sgpr_workgroup_id_y 0
		.amdhsa_system_sgpr_workgroup_id_z 0
		.amdhsa_system_sgpr_workgroup_info 0
		.amdhsa_system_vgpr_workitem_id 0
		.amdhsa_next_free_vgpr 1
		.amdhsa_next_free_sgpr 0
		.amdhsa_accum_offset 4
		.amdhsa_reserve_vcc 0
		.amdhsa_reserve_flat_scratch 0
		.amdhsa_float_round_mode_32 0
		.amdhsa_float_round_mode_16_64 0
		.amdhsa_float_denorm_mode_32 3
		.amdhsa_float_denorm_mode_16_64 3
		.amdhsa_dx10_clamp 1
		.amdhsa_ieee_mode 1
		.amdhsa_fp16_overflow 0
		.amdhsa_tg_split 0
		.amdhsa_exception_fp_ieee_invalid_op 0
		.amdhsa_exception_fp_denorm_src 0
		.amdhsa_exception_fp_ieee_div_zero 0
		.amdhsa_exception_fp_ieee_overflow 0
		.amdhsa_exception_fp_ieee_underflow 0
		.amdhsa_exception_fp_ieee_inexact 0
		.amdhsa_exception_int_div_zero 0
	.end_amdhsa_kernel
	.section	.text._ZN7rocprim17ROCPRIM_400000_NS6detail17trampoline_kernelINS0_14default_configENS1_38merge_sort_block_merge_config_selectorIslEEZZNS1_27merge_sort_block_merge_implIS3_PsN6thrust23THRUST_200600_302600_NS10device_ptrIlEEjNS1_19radix_merge_compareILb0ELb0EsNS0_19identity_decomposerEEEEE10hipError_tT0_T1_T2_jT3_P12ihipStream_tbPNSt15iterator_traitsISG_E10value_typeEPNSM_ISH_E10value_typeEPSI_NS1_7vsmem_tEENKUlT_SG_SH_SI_E_clIS7_S7_PlSB_EESF_SV_SG_SH_SI_EUlSV_E_NS1_11comp_targetILNS1_3genE3ELNS1_11target_archE908ELNS1_3gpuE7ELNS1_3repE0EEENS1_48merge_mergepath_partition_config_static_selectorELNS0_4arch9wavefront6targetE1EEEvSH_,"axG",@progbits,_ZN7rocprim17ROCPRIM_400000_NS6detail17trampoline_kernelINS0_14default_configENS1_38merge_sort_block_merge_config_selectorIslEEZZNS1_27merge_sort_block_merge_implIS3_PsN6thrust23THRUST_200600_302600_NS10device_ptrIlEEjNS1_19radix_merge_compareILb0ELb0EsNS0_19identity_decomposerEEEEE10hipError_tT0_T1_T2_jT3_P12ihipStream_tbPNSt15iterator_traitsISG_E10value_typeEPNSM_ISH_E10value_typeEPSI_NS1_7vsmem_tEENKUlT_SG_SH_SI_E_clIS7_S7_PlSB_EESF_SV_SG_SH_SI_EUlSV_E_NS1_11comp_targetILNS1_3genE3ELNS1_11target_archE908ELNS1_3gpuE7ELNS1_3repE0EEENS1_48merge_mergepath_partition_config_static_selectorELNS0_4arch9wavefront6targetE1EEEvSH_,comdat
.Lfunc_end1280:
	.size	_ZN7rocprim17ROCPRIM_400000_NS6detail17trampoline_kernelINS0_14default_configENS1_38merge_sort_block_merge_config_selectorIslEEZZNS1_27merge_sort_block_merge_implIS3_PsN6thrust23THRUST_200600_302600_NS10device_ptrIlEEjNS1_19radix_merge_compareILb0ELb0EsNS0_19identity_decomposerEEEEE10hipError_tT0_T1_T2_jT3_P12ihipStream_tbPNSt15iterator_traitsISG_E10value_typeEPNSM_ISH_E10value_typeEPSI_NS1_7vsmem_tEENKUlT_SG_SH_SI_E_clIS7_S7_PlSB_EESF_SV_SG_SH_SI_EUlSV_E_NS1_11comp_targetILNS1_3genE3ELNS1_11target_archE908ELNS1_3gpuE7ELNS1_3repE0EEENS1_48merge_mergepath_partition_config_static_selectorELNS0_4arch9wavefront6targetE1EEEvSH_, .Lfunc_end1280-_ZN7rocprim17ROCPRIM_400000_NS6detail17trampoline_kernelINS0_14default_configENS1_38merge_sort_block_merge_config_selectorIslEEZZNS1_27merge_sort_block_merge_implIS3_PsN6thrust23THRUST_200600_302600_NS10device_ptrIlEEjNS1_19radix_merge_compareILb0ELb0EsNS0_19identity_decomposerEEEEE10hipError_tT0_T1_T2_jT3_P12ihipStream_tbPNSt15iterator_traitsISG_E10value_typeEPNSM_ISH_E10value_typeEPSI_NS1_7vsmem_tEENKUlT_SG_SH_SI_E_clIS7_S7_PlSB_EESF_SV_SG_SH_SI_EUlSV_E_NS1_11comp_targetILNS1_3genE3ELNS1_11target_archE908ELNS1_3gpuE7ELNS1_3repE0EEENS1_48merge_mergepath_partition_config_static_selectorELNS0_4arch9wavefront6targetE1EEEvSH_
                                        ; -- End function
	.section	.AMDGPU.csdata,"",@progbits
; Kernel info:
; codeLenInByte = 0
; NumSgprs: 4
; NumVgprs: 0
; NumAgprs: 0
; TotalNumVgprs: 0
; ScratchSize: 0
; MemoryBound: 0
; FloatMode: 240
; IeeeMode: 1
; LDSByteSize: 0 bytes/workgroup (compile time only)
; SGPRBlocks: 0
; VGPRBlocks: 0
; NumSGPRsForWavesPerEU: 4
; NumVGPRsForWavesPerEU: 1
; AccumOffset: 4
; Occupancy: 8
; WaveLimiterHint : 0
; COMPUTE_PGM_RSRC2:SCRATCH_EN: 0
; COMPUTE_PGM_RSRC2:USER_SGPR: 6
; COMPUTE_PGM_RSRC2:TRAP_HANDLER: 0
; COMPUTE_PGM_RSRC2:TGID_X_EN: 1
; COMPUTE_PGM_RSRC2:TGID_Y_EN: 0
; COMPUTE_PGM_RSRC2:TGID_Z_EN: 0
; COMPUTE_PGM_RSRC2:TIDIG_COMP_CNT: 0
; COMPUTE_PGM_RSRC3_GFX90A:ACCUM_OFFSET: 0
; COMPUTE_PGM_RSRC3_GFX90A:TG_SPLIT: 0
	.section	.text._ZN7rocprim17ROCPRIM_400000_NS6detail17trampoline_kernelINS0_14default_configENS1_38merge_sort_block_merge_config_selectorIslEEZZNS1_27merge_sort_block_merge_implIS3_PsN6thrust23THRUST_200600_302600_NS10device_ptrIlEEjNS1_19radix_merge_compareILb0ELb0EsNS0_19identity_decomposerEEEEE10hipError_tT0_T1_T2_jT3_P12ihipStream_tbPNSt15iterator_traitsISG_E10value_typeEPNSM_ISH_E10value_typeEPSI_NS1_7vsmem_tEENKUlT_SG_SH_SI_E_clIS7_S7_PlSB_EESF_SV_SG_SH_SI_EUlSV_E_NS1_11comp_targetILNS1_3genE2ELNS1_11target_archE906ELNS1_3gpuE6ELNS1_3repE0EEENS1_48merge_mergepath_partition_config_static_selectorELNS0_4arch9wavefront6targetE1EEEvSH_,"axG",@progbits,_ZN7rocprim17ROCPRIM_400000_NS6detail17trampoline_kernelINS0_14default_configENS1_38merge_sort_block_merge_config_selectorIslEEZZNS1_27merge_sort_block_merge_implIS3_PsN6thrust23THRUST_200600_302600_NS10device_ptrIlEEjNS1_19radix_merge_compareILb0ELb0EsNS0_19identity_decomposerEEEEE10hipError_tT0_T1_T2_jT3_P12ihipStream_tbPNSt15iterator_traitsISG_E10value_typeEPNSM_ISH_E10value_typeEPSI_NS1_7vsmem_tEENKUlT_SG_SH_SI_E_clIS7_S7_PlSB_EESF_SV_SG_SH_SI_EUlSV_E_NS1_11comp_targetILNS1_3genE2ELNS1_11target_archE906ELNS1_3gpuE6ELNS1_3repE0EEENS1_48merge_mergepath_partition_config_static_selectorELNS0_4arch9wavefront6targetE1EEEvSH_,comdat
	.protected	_ZN7rocprim17ROCPRIM_400000_NS6detail17trampoline_kernelINS0_14default_configENS1_38merge_sort_block_merge_config_selectorIslEEZZNS1_27merge_sort_block_merge_implIS3_PsN6thrust23THRUST_200600_302600_NS10device_ptrIlEEjNS1_19radix_merge_compareILb0ELb0EsNS0_19identity_decomposerEEEEE10hipError_tT0_T1_T2_jT3_P12ihipStream_tbPNSt15iterator_traitsISG_E10value_typeEPNSM_ISH_E10value_typeEPSI_NS1_7vsmem_tEENKUlT_SG_SH_SI_E_clIS7_S7_PlSB_EESF_SV_SG_SH_SI_EUlSV_E_NS1_11comp_targetILNS1_3genE2ELNS1_11target_archE906ELNS1_3gpuE6ELNS1_3repE0EEENS1_48merge_mergepath_partition_config_static_selectorELNS0_4arch9wavefront6targetE1EEEvSH_ ; -- Begin function _ZN7rocprim17ROCPRIM_400000_NS6detail17trampoline_kernelINS0_14default_configENS1_38merge_sort_block_merge_config_selectorIslEEZZNS1_27merge_sort_block_merge_implIS3_PsN6thrust23THRUST_200600_302600_NS10device_ptrIlEEjNS1_19radix_merge_compareILb0ELb0EsNS0_19identity_decomposerEEEEE10hipError_tT0_T1_T2_jT3_P12ihipStream_tbPNSt15iterator_traitsISG_E10value_typeEPNSM_ISH_E10value_typeEPSI_NS1_7vsmem_tEENKUlT_SG_SH_SI_E_clIS7_S7_PlSB_EESF_SV_SG_SH_SI_EUlSV_E_NS1_11comp_targetILNS1_3genE2ELNS1_11target_archE906ELNS1_3gpuE6ELNS1_3repE0EEENS1_48merge_mergepath_partition_config_static_selectorELNS0_4arch9wavefront6targetE1EEEvSH_
	.globl	_ZN7rocprim17ROCPRIM_400000_NS6detail17trampoline_kernelINS0_14default_configENS1_38merge_sort_block_merge_config_selectorIslEEZZNS1_27merge_sort_block_merge_implIS3_PsN6thrust23THRUST_200600_302600_NS10device_ptrIlEEjNS1_19radix_merge_compareILb0ELb0EsNS0_19identity_decomposerEEEEE10hipError_tT0_T1_T2_jT3_P12ihipStream_tbPNSt15iterator_traitsISG_E10value_typeEPNSM_ISH_E10value_typeEPSI_NS1_7vsmem_tEENKUlT_SG_SH_SI_E_clIS7_S7_PlSB_EESF_SV_SG_SH_SI_EUlSV_E_NS1_11comp_targetILNS1_3genE2ELNS1_11target_archE906ELNS1_3gpuE6ELNS1_3repE0EEENS1_48merge_mergepath_partition_config_static_selectorELNS0_4arch9wavefront6targetE1EEEvSH_
	.p2align	8
	.type	_ZN7rocprim17ROCPRIM_400000_NS6detail17trampoline_kernelINS0_14default_configENS1_38merge_sort_block_merge_config_selectorIslEEZZNS1_27merge_sort_block_merge_implIS3_PsN6thrust23THRUST_200600_302600_NS10device_ptrIlEEjNS1_19radix_merge_compareILb0ELb0EsNS0_19identity_decomposerEEEEE10hipError_tT0_T1_T2_jT3_P12ihipStream_tbPNSt15iterator_traitsISG_E10value_typeEPNSM_ISH_E10value_typeEPSI_NS1_7vsmem_tEENKUlT_SG_SH_SI_E_clIS7_S7_PlSB_EESF_SV_SG_SH_SI_EUlSV_E_NS1_11comp_targetILNS1_3genE2ELNS1_11target_archE906ELNS1_3gpuE6ELNS1_3repE0EEENS1_48merge_mergepath_partition_config_static_selectorELNS0_4arch9wavefront6targetE1EEEvSH_,@function
_ZN7rocprim17ROCPRIM_400000_NS6detail17trampoline_kernelINS0_14default_configENS1_38merge_sort_block_merge_config_selectorIslEEZZNS1_27merge_sort_block_merge_implIS3_PsN6thrust23THRUST_200600_302600_NS10device_ptrIlEEjNS1_19radix_merge_compareILb0ELb0EsNS0_19identity_decomposerEEEEE10hipError_tT0_T1_T2_jT3_P12ihipStream_tbPNSt15iterator_traitsISG_E10value_typeEPNSM_ISH_E10value_typeEPSI_NS1_7vsmem_tEENKUlT_SG_SH_SI_E_clIS7_S7_PlSB_EESF_SV_SG_SH_SI_EUlSV_E_NS1_11comp_targetILNS1_3genE2ELNS1_11target_archE906ELNS1_3gpuE6ELNS1_3repE0EEENS1_48merge_mergepath_partition_config_static_selectorELNS0_4arch9wavefront6targetE1EEEvSH_: ; @_ZN7rocprim17ROCPRIM_400000_NS6detail17trampoline_kernelINS0_14default_configENS1_38merge_sort_block_merge_config_selectorIslEEZZNS1_27merge_sort_block_merge_implIS3_PsN6thrust23THRUST_200600_302600_NS10device_ptrIlEEjNS1_19radix_merge_compareILb0ELb0EsNS0_19identity_decomposerEEEEE10hipError_tT0_T1_T2_jT3_P12ihipStream_tbPNSt15iterator_traitsISG_E10value_typeEPNSM_ISH_E10value_typeEPSI_NS1_7vsmem_tEENKUlT_SG_SH_SI_E_clIS7_S7_PlSB_EESF_SV_SG_SH_SI_EUlSV_E_NS1_11comp_targetILNS1_3genE2ELNS1_11target_archE906ELNS1_3gpuE6ELNS1_3repE0EEENS1_48merge_mergepath_partition_config_static_selectorELNS0_4arch9wavefront6targetE1EEEvSH_
; %bb.0:
	.section	.rodata,"a",@progbits
	.p2align	6, 0x0
	.amdhsa_kernel _ZN7rocprim17ROCPRIM_400000_NS6detail17trampoline_kernelINS0_14default_configENS1_38merge_sort_block_merge_config_selectorIslEEZZNS1_27merge_sort_block_merge_implIS3_PsN6thrust23THRUST_200600_302600_NS10device_ptrIlEEjNS1_19radix_merge_compareILb0ELb0EsNS0_19identity_decomposerEEEEE10hipError_tT0_T1_T2_jT3_P12ihipStream_tbPNSt15iterator_traitsISG_E10value_typeEPNSM_ISH_E10value_typeEPSI_NS1_7vsmem_tEENKUlT_SG_SH_SI_E_clIS7_S7_PlSB_EESF_SV_SG_SH_SI_EUlSV_E_NS1_11comp_targetILNS1_3genE2ELNS1_11target_archE906ELNS1_3gpuE6ELNS1_3repE0EEENS1_48merge_mergepath_partition_config_static_selectorELNS0_4arch9wavefront6targetE1EEEvSH_
		.amdhsa_group_segment_fixed_size 0
		.amdhsa_private_segment_fixed_size 0
		.amdhsa_kernarg_size 40
		.amdhsa_user_sgpr_count 6
		.amdhsa_user_sgpr_private_segment_buffer 1
		.amdhsa_user_sgpr_dispatch_ptr 0
		.amdhsa_user_sgpr_queue_ptr 0
		.amdhsa_user_sgpr_kernarg_segment_ptr 1
		.amdhsa_user_sgpr_dispatch_id 0
		.amdhsa_user_sgpr_flat_scratch_init 0
		.amdhsa_user_sgpr_kernarg_preload_length 0
		.amdhsa_user_sgpr_kernarg_preload_offset 0
		.amdhsa_user_sgpr_private_segment_size 0
		.amdhsa_uses_dynamic_stack 0
		.amdhsa_system_sgpr_private_segment_wavefront_offset 0
		.amdhsa_system_sgpr_workgroup_id_x 1
		.amdhsa_system_sgpr_workgroup_id_y 0
		.amdhsa_system_sgpr_workgroup_id_z 0
		.amdhsa_system_sgpr_workgroup_info 0
		.amdhsa_system_vgpr_workitem_id 0
		.amdhsa_next_free_vgpr 1
		.amdhsa_next_free_sgpr 0
		.amdhsa_accum_offset 4
		.amdhsa_reserve_vcc 0
		.amdhsa_reserve_flat_scratch 0
		.amdhsa_float_round_mode_32 0
		.amdhsa_float_round_mode_16_64 0
		.amdhsa_float_denorm_mode_32 3
		.amdhsa_float_denorm_mode_16_64 3
		.amdhsa_dx10_clamp 1
		.amdhsa_ieee_mode 1
		.amdhsa_fp16_overflow 0
		.amdhsa_tg_split 0
		.amdhsa_exception_fp_ieee_invalid_op 0
		.amdhsa_exception_fp_denorm_src 0
		.amdhsa_exception_fp_ieee_div_zero 0
		.amdhsa_exception_fp_ieee_overflow 0
		.amdhsa_exception_fp_ieee_underflow 0
		.amdhsa_exception_fp_ieee_inexact 0
		.amdhsa_exception_int_div_zero 0
	.end_amdhsa_kernel
	.section	.text._ZN7rocprim17ROCPRIM_400000_NS6detail17trampoline_kernelINS0_14default_configENS1_38merge_sort_block_merge_config_selectorIslEEZZNS1_27merge_sort_block_merge_implIS3_PsN6thrust23THRUST_200600_302600_NS10device_ptrIlEEjNS1_19radix_merge_compareILb0ELb0EsNS0_19identity_decomposerEEEEE10hipError_tT0_T1_T2_jT3_P12ihipStream_tbPNSt15iterator_traitsISG_E10value_typeEPNSM_ISH_E10value_typeEPSI_NS1_7vsmem_tEENKUlT_SG_SH_SI_E_clIS7_S7_PlSB_EESF_SV_SG_SH_SI_EUlSV_E_NS1_11comp_targetILNS1_3genE2ELNS1_11target_archE906ELNS1_3gpuE6ELNS1_3repE0EEENS1_48merge_mergepath_partition_config_static_selectorELNS0_4arch9wavefront6targetE1EEEvSH_,"axG",@progbits,_ZN7rocprim17ROCPRIM_400000_NS6detail17trampoline_kernelINS0_14default_configENS1_38merge_sort_block_merge_config_selectorIslEEZZNS1_27merge_sort_block_merge_implIS3_PsN6thrust23THRUST_200600_302600_NS10device_ptrIlEEjNS1_19radix_merge_compareILb0ELb0EsNS0_19identity_decomposerEEEEE10hipError_tT0_T1_T2_jT3_P12ihipStream_tbPNSt15iterator_traitsISG_E10value_typeEPNSM_ISH_E10value_typeEPSI_NS1_7vsmem_tEENKUlT_SG_SH_SI_E_clIS7_S7_PlSB_EESF_SV_SG_SH_SI_EUlSV_E_NS1_11comp_targetILNS1_3genE2ELNS1_11target_archE906ELNS1_3gpuE6ELNS1_3repE0EEENS1_48merge_mergepath_partition_config_static_selectorELNS0_4arch9wavefront6targetE1EEEvSH_,comdat
.Lfunc_end1281:
	.size	_ZN7rocprim17ROCPRIM_400000_NS6detail17trampoline_kernelINS0_14default_configENS1_38merge_sort_block_merge_config_selectorIslEEZZNS1_27merge_sort_block_merge_implIS3_PsN6thrust23THRUST_200600_302600_NS10device_ptrIlEEjNS1_19radix_merge_compareILb0ELb0EsNS0_19identity_decomposerEEEEE10hipError_tT0_T1_T2_jT3_P12ihipStream_tbPNSt15iterator_traitsISG_E10value_typeEPNSM_ISH_E10value_typeEPSI_NS1_7vsmem_tEENKUlT_SG_SH_SI_E_clIS7_S7_PlSB_EESF_SV_SG_SH_SI_EUlSV_E_NS1_11comp_targetILNS1_3genE2ELNS1_11target_archE906ELNS1_3gpuE6ELNS1_3repE0EEENS1_48merge_mergepath_partition_config_static_selectorELNS0_4arch9wavefront6targetE1EEEvSH_, .Lfunc_end1281-_ZN7rocprim17ROCPRIM_400000_NS6detail17trampoline_kernelINS0_14default_configENS1_38merge_sort_block_merge_config_selectorIslEEZZNS1_27merge_sort_block_merge_implIS3_PsN6thrust23THRUST_200600_302600_NS10device_ptrIlEEjNS1_19radix_merge_compareILb0ELb0EsNS0_19identity_decomposerEEEEE10hipError_tT0_T1_T2_jT3_P12ihipStream_tbPNSt15iterator_traitsISG_E10value_typeEPNSM_ISH_E10value_typeEPSI_NS1_7vsmem_tEENKUlT_SG_SH_SI_E_clIS7_S7_PlSB_EESF_SV_SG_SH_SI_EUlSV_E_NS1_11comp_targetILNS1_3genE2ELNS1_11target_archE906ELNS1_3gpuE6ELNS1_3repE0EEENS1_48merge_mergepath_partition_config_static_selectorELNS0_4arch9wavefront6targetE1EEEvSH_
                                        ; -- End function
	.section	.AMDGPU.csdata,"",@progbits
; Kernel info:
; codeLenInByte = 0
; NumSgprs: 4
; NumVgprs: 0
; NumAgprs: 0
; TotalNumVgprs: 0
; ScratchSize: 0
; MemoryBound: 0
; FloatMode: 240
; IeeeMode: 1
; LDSByteSize: 0 bytes/workgroup (compile time only)
; SGPRBlocks: 0
; VGPRBlocks: 0
; NumSGPRsForWavesPerEU: 4
; NumVGPRsForWavesPerEU: 1
; AccumOffset: 4
; Occupancy: 8
; WaveLimiterHint : 0
; COMPUTE_PGM_RSRC2:SCRATCH_EN: 0
; COMPUTE_PGM_RSRC2:USER_SGPR: 6
; COMPUTE_PGM_RSRC2:TRAP_HANDLER: 0
; COMPUTE_PGM_RSRC2:TGID_X_EN: 1
; COMPUTE_PGM_RSRC2:TGID_Y_EN: 0
; COMPUTE_PGM_RSRC2:TGID_Z_EN: 0
; COMPUTE_PGM_RSRC2:TIDIG_COMP_CNT: 0
; COMPUTE_PGM_RSRC3_GFX90A:ACCUM_OFFSET: 0
; COMPUTE_PGM_RSRC3_GFX90A:TG_SPLIT: 0
	.section	.text._ZN7rocprim17ROCPRIM_400000_NS6detail17trampoline_kernelINS0_14default_configENS1_38merge_sort_block_merge_config_selectorIslEEZZNS1_27merge_sort_block_merge_implIS3_PsN6thrust23THRUST_200600_302600_NS10device_ptrIlEEjNS1_19radix_merge_compareILb0ELb0EsNS0_19identity_decomposerEEEEE10hipError_tT0_T1_T2_jT3_P12ihipStream_tbPNSt15iterator_traitsISG_E10value_typeEPNSM_ISH_E10value_typeEPSI_NS1_7vsmem_tEENKUlT_SG_SH_SI_E_clIS7_S7_PlSB_EESF_SV_SG_SH_SI_EUlSV_E_NS1_11comp_targetILNS1_3genE9ELNS1_11target_archE1100ELNS1_3gpuE3ELNS1_3repE0EEENS1_48merge_mergepath_partition_config_static_selectorELNS0_4arch9wavefront6targetE1EEEvSH_,"axG",@progbits,_ZN7rocprim17ROCPRIM_400000_NS6detail17trampoline_kernelINS0_14default_configENS1_38merge_sort_block_merge_config_selectorIslEEZZNS1_27merge_sort_block_merge_implIS3_PsN6thrust23THRUST_200600_302600_NS10device_ptrIlEEjNS1_19radix_merge_compareILb0ELb0EsNS0_19identity_decomposerEEEEE10hipError_tT0_T1_T2_jT3_P12ihipStream_tbPNSt15iterator_traitsISG_E10value_typeEPNSM_ISH_E10value_typeEPSI_NS1_7vsmem_tEENKUlT_SG_SH_SI_E_clIS7_S7_PlSB_EESF_SV_SG_SH_SI_EUlSV_E_NS1_11comp_targetILNS1_3genE9ELNS1_11target_archE1100ELNS1_3gpuE3ELNS1_3repE0EEENS1_48merge_mergepath_partition_config_static_selectorELNS0_4arch9wavefront6targetE1EEEvSH_,comdat
	.protected	_ZN7rocprim17ROCPRIM_400000_NS6detail17trampoline_kernelINS0_14default_configENS1_38merge_sort_block_merge_config_selectorIslEEZZNS1_27merge_sort_block_merge_implIS3_PsN6thrust23THRUST_200600_302600_NS10device_ptrIlEEjNS1_19radix_merge_compareILb0ELb0EsNS0_19identity_decomposerEEEEE10hipError_tT0_T1_T2_jT3_P12ihipStream_tbPNSt15iterator_traitsISG_E10value_typeEPNSM_ISH_E10value_typeEPSI_NS1_7vsmem_tEENKUlT_SG_SH_SI_E_clIS7_S7_PlSB_EESF_SV_SG_SH_SI_EUlSV_E_NS1_11comp_targetILNS1_3genE9ELNS1_11target_archE1100ELNS1_3gpuE3ELNS1_3repE0EEENS1_48merge_mergepath_partition_config_static_selectorELNS0_4arch9wavefront6targetE1EEEvSH_ ; -- Begin function _ZN7rocprim17ROCPRIM_400000_NS6detail17trampoline_kernelINS0_14default_configENS1_38merge_sort_block_merge_config_selectorIslEEZZNS1_27merge_sort_block_merge_implIS3_PsN6thrust23THRUST_200600_302600_NS10device_ptrIlEEjNS1_19radix_merge_compareILb0ELb0EsNS0_19identity_decomposerEEEEE10hipError_tT0_T1_T2_jT3_P12ihipStream_tbPNSt15iterator_traitsISG_E10value_typeEPNSM_ISH_E10value_typeEPSI_NS1_7vsmem_tEENKUlT_SG_SH_SI_E_clIS7_S7_PlSB_EESF_SV_SG_SH_SI_EUlSV_E_NS1_11comp_targetILNS1_3genE9ELNS1_11target_archE1100ELNS1_3gpuE3ELNS1_3repE0EEENS1_48merge_mergepath_partition_config_static_selectorELNS0_4arch9wavefront6targetE1EEEvSH_
	.globl	_ZN7rocprim17ROCPRIM_400000_NS6detail17trampoline_kernelINS0_14default_configENS1_38merge_sort_block_merge_config_selectorIslEEZZNS1_27merge_sort_block_merge_implIS3_PsN6thrust23THRUST_200600_302600_NS10device_ptrIlEEjNS1_19radix_merge_compareILb0ELb0EsNS0_19identity_decomposerEEEEE10hipError_tT0_T1_T2_jT3_P12ihipStream_tbPNSt15iterator_traitsISG_E10value_typeEPNSM_ISH_E10value_typeEPSI_NS1_7vsmem_tEENKUlT_SG_SH_SI_E_clIS7_S7_PlSB_EESF_SV_SG_SH_SI_EUlSV_E_NS1_11comp_targetILNS1_3genE9ELNS1_11target_archE1100ELNS1_3gpuE3ELNS1_3repE0EEENS1_48merge_mergepath_partition_config_static_selectorELNS0_4arch9wavefront6targetE1EEEvSH_
	.p2align	8
	.type	_ZN7rocprim17ROCPRIM_400000_NS6detail17trampoline_kernelINS0_14default_configENS1_38merge_sort_block_merge_config_selectorIslEEZZNS1_27merge_sort_block_merge_implIS3_PsN6thrust23THRUST_200600_302600_NS10device_ptrIlEEjNS1_19radix_merge_compareILb0ELb0EsNS0_19identity_decomposerEEEEE10hipError_tT0_T1_T2_jT3_P12ihipStream_tbPNSt15iterator_traitsISG_E10value_typeEPNSM_ISH_E10value_typeEPSI_NS1_7vsmem_tEENKUlT_SG_SH_SI_E_clIS7_S7_PlSB_EESF_SV_SG_SH_SI_EUlSV_E_NS1_11comp_targetILNS1_3genE9ELNS1_11target_archE1100ELNS1_3gpuE3ELNS1_3repE0EEENS1_48merge_mergepath_partition_config_static_selectorELNS0_4arch9wavefront6targetE1EEEvSH_,@function
_ZN7rocprim17ROCPRIM_400000_NS6detail17trampoline_kernelINS0_14default_configENS1_38merge_sort_block_merge_config_selectorIslEEZZNS1_27merge_sort_block_merge_implIS3_PsN6thrust23THRUST_200600_302600_NS10device_ptrIlEEjNS1_19radix_merge_compareILb0ELb0EsNS0_19identity_decomposerEEEEE10hipError_tT0_T1_T2_jT3_P12ihipStream_tbPNSt15iterator_traitsISG_E10value_typeEPNSM_ISH_E10value_typeEPSI_NS1_7vsmem_tEENKUlT_SG_SH_SI_E_clIS7_S7_PlSB_EESF_SV_SG_SH_SI_EUlSV_E_NS1_11comp_targetILNS1_3genE9ELNS1_11target_archE1100ELNS1_3gpuE3ELNS1_3repE0EEENS1_48merge_mergepath_partition_config_static_selectorELNS0_4arch9wavefront6targetE1EEEvSH_: ; @_ZN7rocprim17ROCPRIM_400000_NS6detail17trampoline_kernelINS0_14default_configENS1_38merge_sort_block_merge_config_selectorIslEEZZNS1_27merge_sort_block_merge_implIS3_PsN6thrust23THRUST_200600_302600_NS10device_ptrIlEEjNS1_19radix_merge_compareILb0ELb0EsNS0_19identity_decomposerEEEEE10hipError_tT0_T1_T2_jT3_P12ihipStream_tbPNSt15iterator_traitsISG_E10value_typeEPNSM_ISH_E10value_typeEPSI_NS1_7vsmem_tEENKUlT_SG_SH_SI_E_clIS7_S7_PlSB_EESF_SV_SG_SH_SI_EUlSV_E_NS1_11comp_targetILNS1_3genE9ELNS1_11target_archE1100ELNS1_3gpuE3ELNS1_3repE0EEENS1_48merge_mergepath_partition_config_static_selectorELNS0_4arch9wavefront6targetE1EEEvSH_
; %bb.0:
	.section	.rodata,"a",@progbits
	.p2align	6, 0x0
	.amdhsa_kernel _ZN7rocprim17ROCPRIM_400000_NS6detail17trampoline_kernelINS0_14default_configENS1_38merge_sort_block_merge_config_selectorIslEEZZNS1_27merge_sort_block_merge_implIS3_PsN6thrust23THRUST_200600_302600_NS10device_ptrIlEEjNS1_19radix_merge_compareILb0ELb0EsNS0_19identity_decomposerEEEEE10hipError_tT0_T1_T2_jT3_P12ihipStream_tbPNSt15iterator_traitsISG_E10value_typeEPNSM_ISH_E10value_typeEPSI_NS1_7vsmem_tEENKUlT_SG_SH_SI_E_clIS7_S7_PlSB_EESF_SV_SG_SH_SI_EUlSV_E_NS1_11comp_targetILNS1_3genE9ELNS1_11target_archE1100ELNS1_3gpuE3ELNS1_3repE0EEENS1_48merge_mergepath_partition_config_static_selectorELNS0_4arch9wavefront6targetE1EEEvSH_
		.amdhsa_group_segment_fixed_size 0
		.amdhsa_private_segment_fixed_size 0
		.amdhsa_kernarg_size 40
		.amdhsa_user_sgpr_count 6
		.amdhsa_user_sgpr_private_segment_buffer 1
		.amdhsa_user_sgpr_dispatch_ptr 0
		.amdhsa_user_sgpr_queue_ptr 0
		.amdhsa_user_sgpr_kernarg_segment_ptr 1
		.amdhsa_user_sgpr_dispatch_id 0
		.amdhsa_user_sgpr_flat_scratch_init 0
		.amdhsa_user_sgpr_kernarg_preload_length 0
		.amdhsa_user_sgpr_kernarg_preload_offset 0
		.amdhsa_user_sgpr_private_segment_size 0
		.amdhsa_uses_dynamic_stack 0
		.amdhsa_system_sgpr_private_segment_wavefront_offset 0
		.amdhsa_system_sgpr_workgroup_id_x 1
		.amdhsa_system_sgpr_workgroup_id_y 0
		.amdhsa_system_sgpr_workgroup_id_z 0
		.amdhsa_system_sgpr_workgroup_info 0
		.amdhsa_system_vgpr_workitem_id 0
		.amdhsa_next_free_vgpr 1
		.amdhsa_next_free_sgpr 0
		.amdhsa_accum_offset 4
		.amdhsa_reserve_vcc 0
		.amdhsa_reserve_flat_scratch 0
		.amdhsa_float_round_mode_32 0
		.amdhsa_float_round_mode_16_64 0
		.amdhsa_float_denorm_mode_32 3
		.amdhsa_float_denorm_mode_16_64 3
		.amdhsa_dx10_clamp 1
		.amdhsa_ieee_mode 1
		.amdhsa_fp16_overflow 0
		.amdhsa_tg_split 0
		.amdhsa_exception_fp_ieee_invalid_op 0
		.amdhsa_exception_fp_denorm_src 0
		.amdhsa_exception_fp_ieee_div_zero 0
		.amdhsa_exception_fp_ieee_overflow 0
		.amdhsa_exception_fp_ieee_underflow 0
		.amdhsa_exception_fp_ieee_inexact 0
		.amdhsa_exception_int_div_zero 0
	.end_amdhsa_kernel
	.section	.text._ZN7rocprim17ROCPRIM_400000_NS6detail17trampoline_kernelINS0_14default_configENS1_38merge_sort_block_merge_config_selectorIslEEZZNS1_27merge_sort_block_merge_implIS3_PsN6thrust23THRUST_200600_302600_NS10device_ptrIlEEjNS1_19radix_merge_compareILb0ELb0EsNS0_19identity_decomposerEEEEE10hipError_tT0_T1_T2_jT3_P12ihipStream_tbPNSt15iterator_traitsISG_E10value_typeEPNSM_ISH_E10value_typeEPSI_NS1_7vsmem_tEENKUlT_SG_SH_SI_E_clIS7_S7_PlSB_EESF_SV_SG_SH_SI_EUlSV_E_NS1_11comp_targetILNS1_3genE9ELNS1_11target_archE1100ELNS1_3gpuE3ELNS1_3repE0EEENS1_48merge_mergepath_partition_config_static_selectorELNS0_4arch9wavefront6targetE1EEEvSH_,"axG",@progbits,_ZN7rocprim17ROCPRIM_400000_NS6detail17trampoline_kernelINS0_14default_configENS1_38merge_sort_block_merge_config_selectorIslEEZZNS1_27merge_sort_block_merge_implIS3_PsN6thrust23THRUST_200600_302600_NS10device_ptrIlEEjNS1_19radix_merge_compareILb0ELb0EsNS0_19identity_decomposerEEEEE10hipError_tT0_T1_T2_jT3_P12ihipStream_tbPNSt15iterator_traitsISG_E10value_typeEPNSM_ISH_E10value_typeEPSI_NS1_7vsmem_tEENKUlT_SG_SH_SI_E_clIS7_S7_PlSB_EESF_SV_SG_SH_SI_EUlSV_E_NS1_11comp_targetILNS1_3genE9ELNS1_11target_archE1100ELNS1_3gpuE3ELNS1_3repE0EEENS1_48merge_mergepath_partition_config_static_selectorELNS0_4arch9wavefront6targetE1EEEvSH_,comdat
.Lfunc_end1282:
	.size	_ZN7rocprim17ROCPRIM_400000_NS6detail17trampoline_kernelINS0_14default_configENS1_38merge_sort_block_merge_config_selectorIslEEZZNS1_27merge_sort_block_merge_implIS3_PsN6thrust23THRUST_200600_302600_NS10device_ptrIlEEjNS1_19radix_merge_compareILb0ELb0EsNS0_19identity_decomposerEEEEE10hipError_tT0_T1_T2_jT3_P12ihipStream_tbPNSt15iterator_traitsISG_E10value_typeEPNSM_ISH_E10value_typeEPSI_NS1_7vsmem_tEENKUlT_SG_SH_SI_E_clIS7_S7_PlSB_EESF_SV_SG_SH_SI_EUlSV_E_NS1_11comp_targetILNS1_3genE9ELNS1_11target_archE1100ELNS1_3gpuE3ELNS1_3repE0EEENS1_48merge_mergepath_partition_config_static_selectorELNS0_4arch9wavefront6targetE1EEEvSH_, .Lfunc_end1282-_ZN7rocprim17ROCPRIM_400000_NS6detail17trampoline_kernelINS0_14default_configENS1_38merge_sort_block_merge_config_selectorIslEEZZNS1_27merge_sort_block_merge_implIS3_PsN6thrust23THRUST_200600_302600_NS10device_ptrIlEEjNS1_19radix_merge_compareILb0ELb0EsNS0_19identity_decomposerEEEEE10hipError_tT0_T1_T2_jT3_P12ihipStream_tbPNSt15iterator_traitsISG_E10value_typeEPNSM_ISH_E10value_typeEPSI_NS1_7vsmem_tEENKUlT_SG_SH_SI_E_clIS7_S7_PlSB_EESF_SV_SG_SH_SI_EUlSV_E_NS1_11comp_targetILNS1_3genE9ELNS1_11target_archE1100ELNS1_3gpuE3ELNS1_3repE0EEENS1_48merge_mergepath_partition_config_static_selectorELNS0_4arch9wavefront6targetE1EEEvSH_
                                        ; -- End function
	.section	.AMDGPU.csdata,"",@progbits
; Kernel info:
; codeLenInByte = 0
; NumSgprs: 4
; NumVgprs: 0
; NumAgprs: 0
; TotalNumVgprs: 0
; ScratchSize: 0
; MemoryBound: 0
; FloatMode: 240
; IeeeMode: 1
; LDSByteSize: 0 bytes/workgroup (compile time only)
; SGPRBlocks: 0
; VGPRBlocks: 0
; NumSGPRsForWavesPerEU: 4
; NumVGPRsForWavesPerEU: 1
; AccumOffset: 4
; Occupancy: 8
; WaveLimiterHint : 0
; COMPUTE_PGM_RSRC2:SCRATCH_EN: 0
; COMPUTE_PGM_RSRC2:USER_SGPR: 6
; COMPUTE_PGM_RSRC2:TRAP_HANDLER: 0
; COMPUTE_PGM_RSRC2:TGID_X_EN: 1
; COMPUTE_PGM_RSRC2:TGID_Y_EN: 0
; COMPUTE_PGM_RSRC2:TGID_Z_EN: 0
; COMPUTE_PGM_RSRC2:TIDIG_COMP_CNT: 0
; COMPUTE_PGM_RSRC3_GFX90A:ACCUM_OFFSET: 0
; COMPUTE_PGM_RSRC3_GFX90A:TG_SPLIT: 0
	.section	.text._ZN7rocprim17ROCPRIM_400000_NS6detail17trampoline_kernelINS0_14default_configENS1_38merge_sort_block_merge_config_selectorIslEEZZNS1_27merge_sort_block_merge_implIS3_PsN6thrust23THRUST_200600_302600_NS10device_ptrIlEEjNS1_19radix_merge_compareILb0ELb0EsNS0_19identity_decomposerEEEEE10hipError_tT0_T1_T2_jT3_P12ihipStream_tbPNSt15iterator_traitsISG_E10value_typeEPNSM_ISH_E10value_typeEPSI_NS1_7vsmem_tEENKUlT_SG_SH_SI_E_clIS7_S7_PlSB_EESF_SV_SG_SH_SI_EUlSV_E_NS1_11comp_targetILNS1_3genE8ELNS1_11target_archE1030ELNS1_3gpuE2ELNS1_3repE0EEENS1_48merge_mergepath_partition_config_static_selectorELNS0_4arch9wavefront6targetE1EEEvSH_,"axG",@progbits,_ZN7rocprim17ROCPRIM_400000_NS6detail17trampoline_kernelINS0_14default_configENS1_38merge_sort_block_merge_config_selectorIslEEZZNS1_27merge_sort_block_merge_implIS3_PsN6thrust23THRUST_200600_302600_NS10device_ptrIlEEjNS1_19radix_merge_compareILb0ELb0EsNS0_19identity_decomposerEEEEE10hipError_tT0_T1_T2_jT3_P12ihipStream_tbPNSt15iterator_traitsISG_E10value_typeEPNSM_ISH_E10value_typeEPSI_NS1_7vsmem_tEENKUlT_SG_SH_SI_E_clIS7_S7_PlSB_EESF_SV_SG_SH_SI_EUlSV_E_NS1_11comp_targetILNS1_3genE8ELNS1_11target_archE1030ELNS1_3gpuE2ELNS1_3repE0EEENS1_48merge_mergepath_partition_config_static_selectorELNS0_4arch9wavefront6targetE1EEEvSH_,comdat
	.protected	_ZN7rocprim17ROCPRIM_400000_NS6detail17trampoline_kernelINS0_14default_configENS1_38merge_sort_block_merge_config_selectorIslEEZZNS1_27merge_sort_block_merge_implIS3_PsN6thrust23THRUST_200600_302600_NS10device_ptrIlEEjNS1_19radix_merge_compareILb0ELb0EsNS0_19identity_decomposerEEEEE10hipError_tT0_T1_T2_jT3_P12ihipStream_tbPNSt15iterator_traitsISG_E10value_typeEPNSM_ISH_E10value_typeEPSI_NS1_7vsmem_tEENKUlT_SG_SH_SI_E_clIS7_S7_PlSB_EESF_SV_SG_SH_SI_EUlSV_E_NS1_11comp_targetILNS1_3genE8ELNS1_11target_archE1030ELNS1_3gpuE2ELNS1_3repE0EEENS1_48merge_mergepath_partition_config_static_selectorELNS0_4arch9wavefront6targetE1EEEvSH_ ; -- Begin function _ZN7rocprim17ROCPRIM_400000_NS6detail17trampoline_kernelINS0_14default_configENS1_38merge_sort_block_merge_config_selectorIslEEZZNS1_27merge_sort_block_merge_implIS3_PsN6thrust23THRUST_200600_302600_NS10device_ptrIlEEjNS1_19radix_merge_compareILb0ELb0EsNS0_19identity_decomposerEEEEE10hipError_tT0_T1_T2_jT3_P12ihipStream_tbPNSt15iterator_traitsISG_E10value_typeEPNSM_ISH_E10value_typeEPSI_NS1_7vsmem_tEENKUlT_SG_SH_SI_E_clIS7_S7_PlSB_EESF_SV_SG_SH_SI_EUlSV_E_NS1_11comp_targetILNS1_3genE8ELNS1_11target_archE1030ELNS1_3gpuE2ELNS1_3repE0EEENS1_48merge_mergepath_partition_config_static_selectorELNS0_4arch9wavefront6targetE1EEEvSH_
	.globl	_ZN7rocprim17ROCPRIM_400000_NS6detail17trampoline_kernelINS0_14default_configENS1_38merge_sort_block_merge_config_selectorIslEEZZNS1_27merge_sort_block_merge_implIS3_PsN6thrust23THRUST_200600_302600_NS10device_ptrIlEEjNS1_19radix_merge_compareILb0ELb0EsNS0_19identity_decomposerEEEEE10hipError_tT0_T1_T2_jT3_P12ihipStream_tbPNSt15iterator_traitsISG_E10value_typeEPNSM_ISH_E10value_typeEPSI_NS1_7vsmem_tEENKUlT_SG_SH_SI_E_clIS7_S7_PlSB_EESF_SV_SG_SH_SI_EUlSV_E_NS1_11comp_targetILNS1_3genE8ELNS1_11target_archE1030ELNS1_3gpuE2ELNS1_3repE0EEENS1_48merge_mergepath_partition_config_static_selectorELNS0_4arch9wavefront6targetE1EEEvSH_
	.p2align	8
	.type	_ZN7rocprim17ROCPRIM_400000_NS6detail17trampoline_kernelINS0_14default_configENS1_38merge_sort_block_merge_config_selectorIslEEZZNS1_27merge_sort_block_merge_implIS3_PsN6thrust23THRUST_200600_302600_NS10device_ptrIlEEjNS1_19radix_merge_compareILb0ELb0EsNS0_19identity_decomposerEEEEE10hipError_tT0_T1_T2_jT3_P12ihipStream_tbPNSt15iterator_traitsISG_E10value_typeEPNSM_ISH_E10value_typeEPSI_NS1_7vsmem_tEENKUlT_SG_SH_SI_E_clIS7_S7_PlSB_EESF_SV_SG_SH_SI_EUlSV_E_NS1_11comp_targetILNS1_3genE8ELNS1_11target_archE1030ELNS1_3gpuE2ELNS1_3repE0EEENS1_48merge_mergepath_partition_config_static_selectorELNS0_4arch9wavefront6targetE1EEEvSH_,@function
_ZN7rocprim17ROCPRIM_400000_NS6detail17trampoline_kernelINS0_14default_configENS1_38merge_sort_block_merge_config_selectorIslEEZZNS1_27merge_sort_block_merge_implIS3_PsN6thrust23THRUST_200600_302600_NS10device_ptrIlEEjNS1_19radix_merge_compareILb0ELb0EsNS0_19identity_decomposerEEEEE10hipError_tT0_T1_T2_jT3_P12ihipStream_tbPNSt15iterator_traitsISG_E10value_typeEPNSM_ISH_E10value_typeEPSI_NS1_7vsmem_tEENKUlT_SG_SH_SI_E_clIS7_S7_PlSB_EESF_SV_SG_SH_SI_EUlSV_E_NS1_11comp_targetILNS1_3genE8ELNS1_11target_archE1030ELNS1_3gpuE2ELNS1_3repE0EEENS1_48merge_mergepath_partition_config_static_selectorELNS0_4arch9wavefront6targetE1EEEvSH_: ; @_ZN7rocprim17ROCPRIM_400000_NS6detail17trampoline_kernelINS0_14default_configENS1_38merge_sort_block_merge_config_selectorIslEEZZNS1_27merge_sort_block_merge_implIS3_PsN6thrust23THRUST_200600_302600_NS10device_ptrIlEEjNS1_19radix_merge_compareILb0ELb0EsNS0_19identity_decomposerEEEEE10hipError_tT0_T1_T2_jT3_P12ihipStream_tbPNSt15iterator_traitsISG_E10value_typeEPNSM_ISH_E10value_typeEPSI_NS1_7vsmem_tEENKUlT_SG_SH_SI_E_clIS7_S7_PlSB_EESF_SV_SG_SH_SI_EUlSV_E_NS1_11comp_targetILNS1_3genE8ELNS1_11target_archE1030ELNS1_3gpuE2ELNS1_3repE0EEENS1_48merge_mergepath_partition_config_static_selectorELNS0_4arch9wavefront6targetE1EEEvSH_
; %bb.0:
	.section	.rodata,"a",@progbits
	.p2align	6, 0x0
	.amdhsa_kernel _ZN7rocprim17ROCPRIM_400000_NS6detail17trampoline_kernelINS0_14default_configENS1_38merge_sort_block_merge_config_selectorIslEEZZNS1_27merge_sort_block_merge_implIS3_PsN6thrust23THRUST_200600_302600_NS10device_ptrIlEEjNS1_19radix_merge_compareILb0ELb0EsNS0_19identity_decomposerEEEEE10hipError_tT0_T1_T2_jT3_P12ihipStream_tbPNSt15iterator_traitsISG_E10value_typeEPNSM_ISH_E10value_typeEPSI_NS1_7vsmem_tEENKUlT_SG_SH_SI_E_clIS7_S7_PlSB_EESF_SV_SG_SH_SI_EUlSV_E_NS1_11comp_targetILNS1_3genE8ELNS1_11target_archE1030ELNS1_3gpuE2ELNS1_3repE0EEENS1_48merge_mergepath_partition_config_static_selectorELNS0_4arch9wavefront6targetE1EEEvSH_
		.amdhsa_group_segment_fixed_size 0
		.amdhsa_private_segment_fixed_size 0
		.amdhsa_kernarg_size 40
		.amdhsa_user_sgpr_count 6
		.amdhsa_user_sgpr_private_segment_buffer 1
		.amdhsa_user_sgpr_dispatch_ptr 0
		.amdhsa_user_sgpr_queue_ptr 0
		.amdhsa_user_sgpr_kernarg_segment_ptr 1
		.amdhsa_user_sgpr_dispatch_id 0
		.amdhsa_user_sgpr_flat_scratch_init 0
		.amdhsa_user_sgpr_kernarg_preload_length 0
		.amdhsa_user_sgpr_kernarg_preload_offset 0
		.amdhsa_user_sgpr_private_segment_size 0
		.amdhsa_uses_dynamic_stack 0
		.amdhsa_system_sgpr_private_segment_wavefront_offset 0
		.amdhsa_system_sgpr_workgroup_id_x 1
		.amdhsa_system_sgpr_workgroup_id_y 0
		.amdhsa_system_sgpr_workgroup_id_z 0
		.amdhsa_system_sgpr_workgroup_info 0
		.amdhsa_system_vgpr_workitem_id 0
		.amdhsa_next_free_vgpr 1
		.amdhsa_next_free_sgpr 0
		.amdhsa_accum_offset 4
		.amdhsa_reserve_vcc 0
		.amdhsa_reserve_flat_scratch 0
		.amdhsa_float_round_mode_32 0
		.amdhsa_float_round_mode_16_64 0
		.amdhsa_float_denorm_mode_32 3
		.amdhsa_float_denorm_mode_16_64 3
		.amdhsa_dx10_clamp 1
		.amdhsa_ieee_mode 1
		.amdhsa_fp16_overflow 0
		.amdhsa_tg_split 0
		.amdhsa_exception_fp_ieee_invalid_op 0
		.amdhsa_exception_fp_denorm_src 0
		.amdhsa_exception_fp_ieee_div_zero 0
		.amdhsa_exception_fp_ieee_overflow 0
		.amdhsa_exception_fp_ieee_underflow 0
		.amdhsa_exception_fp_ieee_inexact 0
		.amdhsa_exception_int_div_zero 0
	.end_amdhsa_kernel
	.section	.text._ZN7rocprim17ROCPRIM_400000_NS6detail17trampoline_kernelINS0_14default_configENS1_38merge_sort_block_merge_config_selectorIslEEZZNS1_27merge_sort_block_merge_implIS3_PsN6thrust23THRUST_200600_302600_NS10device_ptrIlEEjNS1_19radix_merge_compareILb0ELb0EsNS0_19identity_decomposerEEEEE10hipError_tT0_T1_T2_jT3_P12ihipStream_tbPNSt15iterator_traitsISG_E10value_typeEPNSM_ISH_E10value_typeEPSI_NS1_7vsmem_tEENKUlT_SG_SH_SI_E_clIS7_S7_PlSB_EESF_SV_SG_SH_SI_EUlSV_E_NS1_11comp_targetILNS1_3genE8ELNS1_11target_archE1030ELNS1_3gpuE2ELNS1_3repE0EEENS1_48merge_mergepath_partition_config_static_selectorELNS0_4arch9wavefront6targetE1EEEvSH_,"axG",@progbits,_ZN7rocprim17ROCPRIM_400000_NS6detail17trampoline_kernelINS0_14default_configENS1_38merge_sort_block_merge_config_selectorIslEEZZNS1_27merge_sort_block_merge_implIS3_PsN6thrust23THRUST_200600_302600_NS10device_ptrIlEEjNS1_19radix_merge_compareILb0ELb0EsNS0_19identity_decomposerEEEEE10hipError_tT0_T1_T2_jT3_P12ihipStream_tbPNSt15iterator_traitsISG_E10value_typeEPNSM_ISH_E10value_typeEPSI_NS1_7vsmem_tEENKUlT_SG_SH_SI_E_clIS7_S7_PlSB_EESF_SV_SG_SH_SI_EUlSV_E_NS1_11comp_targetILNS1_3genE8ELNS1_11target_archE1030ELNS1_3gpuE2ELNS1_3repE0EEENS1_48merge_mergepath_partition_config_static_selectorELNS0_4arch9wavefront6targetE1EEEvSH_,comdat
.Lfunc_end1283:
	.size	_ZN7rocprim17ROCPRIM_400000_NS6detail17trampoline_kernelINS0_14default_configENS1_38merge_sort_block_merge_config_selectorIslEEZZNS1_27merge_sort_block_merge_implIS3_PsN6thrust23THRUST_200600_302600_NS10device_ptrIlEEjNS1_19radix_merge_compareILb0ELb0EsNS0_19identity_decomposerEEEEE10hipError_tT0_T1_T2_jT3_P12ihipStream_tbPNSt15iterator_traitsISG_E10value_typeEPNSM_ISH_E10value_typeEPSI_NS1_7vsmem_tEENKUlT_SG_SH_SI_E_clIS7_S7_PlSB_EESF_SV_SG_SH_SI_EUlSV_E_NS1_11comp_targetILNS1_3genE8ELNS1_11target_archE1030ELNS1_3gpuE2ELNS1_3repE0EEENS1_48merge_mergepath_partition_config_static_selectorELNS0_4arch9wavefront6targetE1EEEvSH_, .Lfunc_end1283-_ZN7rocprim17ROCPRIM_400000_NS6detail17trampoline_kernelINS0_14default_configENS1_38merge_sort_block_merge_config_selectorIslEEZZNS1_27merge_sort_block_merge_implIS3_PsN6thrust23THRUST_200600_302600_NS10device_ptrIlEEjNS1_19radix_merge_compareILb0ELb0EsNS0_19identity_decomposerEEEEE10hipError_tT0_T1_T2_jT3_P12ihipStream_tbPNSt15iterator_traitsISG_E10value_typeEPNSM_ISH_E10value_typeEPSI_NS1_7vsmem_tEENKUlT_SG_SH_SI_E_clIS7_S7_PlSB_EESF_SV_SG_SH_SI_EUlSV_E_NS1_11comp_targetILNS1_3genE8ELNS1_11target_archE1030ELNS1_3gpuE2ELNS1_3repE0EEENS1_48merge_mergepath_partition_config_static_selectorELNS0_4arch9wavefront6targetE1EEEvSH_
                                        ; -- End function
	.section	.AMDGPU.csdata,"",@progbits
; Kernel info:
; codeLenInByte = 0
; NumSgprs: 4
; NumVgprs: 0
; NumAgprs: 0
; TotalNumVgprs: 0
; ScratchSize: 0
; MemoryBound: 0
; FloatMode: 240
; IeeeMode: 1
; LDSByteSize: 0 bytes/workgroup (compile time only)
; SGPRBlocks: 0
; VGPRBlocks: 0
; NumSGPRsForWavesPerEU: 4
; NumVGPRsForWavesPerEU: 1
; AccumOffset: 4
; Occupancy: 8
; WaveLimiterHint : 0
; COMPUTE_PGM_RSRC2:SCRATCH_EN: 0
; COMPUTE_PGM_RSRC2:USER_SGPR: 6
; COMPUTE_PGM_RSRC2:TRAP_HANDLER: 0
; COMPUTE_PGM_RSRC2:TGID_X_EN: 1
; COMPUTE_PGM_RSRC2:TGID_Y_EN: 0
; COMPUTE_PGM_RSRC2:TGID_Z_EN: 0
; COMPUTE_PGM_RSRC2:TIDIG_COMP_CNT: 0
; COMPUTE_PGM_RSRC3_GFX90A:ACCUM_OFFSET: 0
; COMPUTE_PGM_RSRC3_GFX90A:TG_SPLIT: 0
	.section	.text._ZN7rocprim17ROCPRIM_400000_NS6detail17trampoline_kernelINS0_14default_configENS1_38merge_sort_block_merge_config_selectorIslEEZZNS1_27merge_sort_block_merge_implIS3_PsN6thrust23THRUST_200600_302600_NS10device_ptrIlEEjNS1_19radix_merge_compareILb0ELb0EsNS0_19identity_decomposerEEEEE10hipError_tT0_T1_T2_jT3_P12ihipStream_tbPNSt15iterator_traitsISG_E10value_typeEPNSM_ISH_E10value_typeEPSI_NS1_7vsmem_tEENKUlT_SG_SH_SI_E_clIS7_S7_PlSB_EESF_SV_SG_SH_SI_EUlSV_E0_NS1_11comp_targetILNS1_3genE0ELNS1_11target_archE4294967295ELNS1_3gpuE0ELNS1_3repE0EEENS1_38merge_mergepath_config_static_selectorELNS0_4arch9wavefront6targetE1EEEvSH_,"axG",@progbits,_ZN7rocprim17ROCPRIM_400000_NS6detail17trampoline_kernelINS0_14default_configENS1_38merge_sort_block_merge_config_selectorIslEEZZNS1_27merge_sort_block_merge_implIS3_PsN6thrust23THRUST_200600_302600_NS10device_ptrIlEEjNS1_19radix_merge_compareILb0ELb0EsNS0_19identity_decomposerEEEEE10hipError_tT0_T1_T2_jT3_P12ihipStream_tbPNSt15iterator_traitsISG_E10value_typeEPNSM_ISH_E10value_typeEPSI_NS1_7vsmem_tEENKUlT_SG_SH_SI_E_clIS7_S7_PlSB_EESF_SV_SG_SH_SI_EUlSV_E0_NS1_11comp_targetILNS1_3genE0ELNS1_11target_archE4294967295ELNS1_3gpuE0ELNS1_3repE0EEENS1_38merge_mergepath_config_static_selectorELNS0_4arch9wavefront6targetE1EEEvSH_,comdat
	.protected	_ZN7rocprim17ROCPRIM_400000_NS6detail17trampoline_kernelINS0_14default_configENS1_38merge_sort_block_merge_config_selectorIslEEZZNS1_27merge_sort_block_merge_implIS3_PsN6thrust23THRUST_200600_302600_NS10device_ptrIlEEjNS1_19radix_merge_compareILb0ELb0EsNS0_19identity_decomposerEEEEE10hipError_tT0_T1_T2_jT3_P12ihipStream_tbPNSt15iterator_traitsISG_E10value_typeEPNSM_ISH_E10value_typeEPSI_NS1_7vsmem_tEENKUlT_SG_SH_SI_E_clIS7_S7_PlSB_EESF_SV_SG_SH_SI_EUlSV_E0_NS1_11comp_targetILNS1_3genE0ELNS1_11target_archE4294967295ELNS1_3gpuE0ELNS1_3repE0EEENS1_38merge_mergepath_config_static_selectorELNS0_4arch9wavefront6targetE1EEEvSH_ ; -- Begin function _ZN7rocprim17ROCPRIM_400000_NS6detail17trampoline_kernelINS0_14default_configENS1_38merge_sort_block_merge_config_selectorIslEEZZNS1_27merge_sort_block_merge_implIS3_PsN6thrust23THRUST_200600_302600_NS10device_ptrIlEEjNS1_19radix_merge_compareILb0ELb0EsNS0_19identity_decomposerEEEEE10hipError_tT0_T1_T2_jT3_P12ihipStream_tbPNSt15iterator_traitsISG_E10value_typeEPNSM_ISH_E10value_typeEPSI_NS1_7vsmem_tEENKUlT_SG_SH_SI_E_clIS7_S7_PlSB_EESF_SV_SG_SH_SI_EUlSV_E0_NS1_11comp_targetILNS1_3genE0ELNS1_11target_archE4294967295ELNS1_3gpuE0ELNS1_3repE0EEENS1_38merge_mergepath_config_static_selectorELNS0_4arch9wavefront6targetE1EEEvSH_
	.globl	_ZN7rocprim17ROCPRIM_400000_NS6detail17trampoline_kernelINS0_14default_configENS1_38merge_sort_block_merge_config_selectorIslEEZZNS1_27merge_sort_block_merge_implIS3_PsN6thrust23THRUST_200600_302600_NS10device_ptrIlEEjNS1_19radix_merge_compareILb0ELb0EsNS0_19identity_decomposerEEEEE10hipError_tT0_T1_T2_jT3_P12ihipStream_tbPNSt15iterator_traitsISG_E10value_typeEPNSM_ISH_E10value_typeEPSI_NS1_7vsmem_tEENKUlT_SG_SH_SI_E_clIS7_S7_PlSB_EESF_SV_SG_SH_SI_EUlSV_E0_NS1_11comp_targetILNS1_3genE0ELNS1_11target_archE4294967295ELNS1_3gpuE0ELNS1_3repE0EEENS1_38merge_mergepath_config_static_selectorELNS0_4arch9wavefront6targetE1EEEvSH_
	.p2align	8
	.type	_ZN7rocprim17ROCPRIM_400000_NS6detail17trampoline_kernelINS0_14default_configENS1_38merge_sort_block_merge_config_selectorIslEEZZNS1_27merge_sort_block_merge_implIS3_PsN6thrust23THRUST_200600_302600_NS10device_ptrIlEEjNS1_19radix_merge_compareILb0ELb0EsNS0_19identity_decomposerEEEEE10hipError_tT0_T1_T2_jT3_P12ihipStream_tbPNSt15iterator_traitsISG_E10value_typeEPNSM_ISH_E10value_typeEPSI_NS1_7vsmem_tEENKUlT_SG_SH_SI_E_clIS7_S7_PlSB_EESF_SV_SG_SH_SI_EUlSV_E0_NS1_11comp_targetILNS1_3genE0ELNS1_11target_archE4294967295ELNS1_3gpuE0ELNS1_3repE0EEENS1_38merge_mergepath_config_static_selectorELNS0_4arch9wavefront6targetE1EEEvSH_,@function
_ZN7rocprim17ROCPRIM_400000_NS6detail17trampoline_kernelINS0_14default_configENS1_38merge_sort_block_merge_config_selectorIslEEZZNS1_27merge_sort_block_merge_implIS3_PsN6thrust23THRUST_200600_302600_NS10device_ptrIlEEjNS1_19radix_merge_compareILb0ELb0EsNS0_19identity_decomposerEEEEE10hipError_tT0_T1_T2_jT3_P12ihipStream_tbPNSt15iterator_traitsISG_E10value_typeEPNSM_ISH_E10value_typeEPSI_NS1_7vsmem_tEENKUlT_SG_SH_SI_E_clIS7_S7_PlSB_EESF_SV_SG_SH_SI_EUlSV_E0_NS1_11comp_targetILNS1_3genE0ELNS1_11target_archE4294967295ELNS1_3gpuE0ELNS1_3repE0EEENS1_38merge_mergepath_config_static_selectorELNS0_4arch9wavefront6targetE1EEEvSH_: ; @_ZN7rocprim17ROCPRIM_400000_NS6detail17trampoline_kernelINS0_14default_configENS1_38merge_sort_block_merge_config_selectorIslEEZZNS1_27merge_sort_block_merge_implIS3_PsN6thrust23THRUST_200600_302600_NS10device_ptrIlEEjNS1_19radix_merge_compareILb0ELb0EsNS0_19identity_decomposerEEEEE10hipError_tT0_T1_T2_jT3_P12ihipStream_tbPNSt15iterator_traitsISG_E10value_typeEPNSM_ISH_E10value_typeEPSI_NS1_7vsmem_tEENKUlT_SG_SH_SI_E_clIS7_S7_PlSB_EESF_SV_SG_SH_SI_EUlSV_E0_NS1_11comp_targetILNS1_3genE0ELNS1_11target_archE4294967295ELNS1_3gpuE0ELNS1_3repE0EEENS1_38merge_mergepath_config_static_selectorELNS0_4arch9wavefront6targetE1EEEvSH_
; %bb.0:
	.section	.rodata,"a",@progbits
	.p2align	6, 0x0
	.amdhsa_kernel _ZN7rocprim17ROCPRIM_400000_NS6detail17trampoline_kernelINS0_14default_configENS1_38merge_sort_block_merge_config_selectorIslEEZZNS1_27merge_sort_block_merge_implIS3_PsN6thrust23THRUST_200600_302600_NS10device_ptrIlEEjNS1_19radix_merge_compareILb0ELb0EsNS0_19identity_decomposerEEEEE10hipError_tT0_T1_T2_jT3_P12ihipStream_tbPNSt15iterator_traitsISG_E10value_typeEPNSM_ISH_E10value_typeEPSI_NS1_7vsmem_tEENKUlT_SG_SH_SI_E_clIS7_S7_PlSB_EESF_SV_SG_SH_SI_EUlSV_E0_NS1_11comp_targetILNS1_3genE0ELNS1_11target_archE4294967295ELNS1_3gpuE0ELNS1_3repE0EEENS1_38merge_mergepath_config_static_selectorELNS0_4arch9wavefront6targetE1EEEvSH_
		.amdhsa_group_segment_fixed_size 0
		.amdhsa_private_segment_fixed_size 0
		.amdhsa_kernarg_size 64
		.amdhsa_user_sgpr_count 6
		.amdhsa_user_sgpr_private_segment_buffer 1
		.amdhsa_user_sgpr_dispatch_ptr 0
		.amdhsa_user_sgpr_queue_ptr 0
		.amdhsa_user_sgpr_kernarg_segment_ptr 1
		.amdhsa_user_sgpr_dispatch_id 0
		.amdhsa_user_sgpr_flat_scratch_init 0
		.amdhsa_user_sgpr_kernarg_preload_length 0
		.amdhsa_user_sgpr_kernarg_preload_offset 0
		.amdhsa_user_sgpr_private_segment_size 0
		.amdhsa_uses_dynamic_stack 0
		.amdhsa_system_sgpr_private_segment_wavefront_offset 0
		.amdhsa_system_sgpr_workgroup_id_x 1
		.amdhsa_system_sgpr_workgroup_id_y 0
		.amdhsa_system_sgpr_workgroup_id_z 0
		.amdhsa_system_sgpr_workgroup_info 0
		.amdhsa_system_vgpr_workitem_id 0
		.amdhsa_next_free_vgpr 1
		.amdhsa_next_free_sgpr 0
		.amdhsa_accum_offset 4
		.amdhsa_reserve_vcc 0
		.amdhsa_reserve_flat_scratch 0
		.amdhsa_float_round_mode_32 0
		.amdhsa_float_round_mode_16_64 0
		.amdhsa_float_denorm_mode_32 3
		.amdhsa_float_denorm_mode_16_64 3
		.amdhsa_dx10_clamp 1
		.amdhsa_ieee_mode 1
		.amdhsa_fp16_overflow 0
		.amdhsa_tg_split 0
		.amdhsa_exception_fp_ieee_invalid_op 0
		.amdhsa_exception_fp_denorm_src 0
		.amdhsa_exception_fp_ieee_div_zero 0
		.amdhsa_exception_fp_ieee_overflow 0
		.amdhsa_exception_fp_ieee_underflow 0
		.amdhsa_exception_fp_ieee_inexact 0
		.amdhsa_exception_int_div_zero 0
	.end_amdhsa_kernel
	.section	.text._ZN7rocprim17ROCPRIM_400000_NS6detail17trampoline_kernelINS0_14default_configENS1_38merge_sort_block_merge_config_selectorIslEEZZNS1_27merge_sort_block_merge_implIS3_PsN6thrust23THRUST_200600_302600_NS10device_ptrIlEEjNS1_19radix_merge_compareILb0ELb0EsNS0_19identity_decomposerEEEEE10hipError_tT0_T1_T2_jT3_P12ihipStream_tbPNSt15iterator_traitsISG_E10value_typeEPNSM_ISH_E10value_typeEPSI_NS1_7vsmem_tEENKUlT_SG_SH_SI_E_clIS7_S7_PlSB_EESF_SV_SG_SH_SI_EUlSV_E0_NS1_11comp_targetILNS1_3genE0ELNS1_11target_archE4294967295ELNS1_3gpuE0ELNS1_3repE0EEENS1_38merge_mergepath_config_static_selectorELNS0_4arch9wavefront6targetE1EEEvSH_,"axG",@progbits,_ZN7rocprim17ROCPRIM_400000_NS6detail17trampoline_kernelINS0_14default_configENS1_38merge_sort_block_merge_config_selectorIslEEZZNS1_27merge_sort_block_merge_implIS3_PsN6thrust23THRUST_200600_302600_NS10device_ptrIlEEjNS1_19radix_merge_compareILb0ELb0EsNS0_19identity_decomposerEEEEE10hipError_tT0_T1_T2_jT3_P12ihipStream_tbPNSt15iterator_traitsISG_E10value_typeEPNSM_ISH_E10value_typeEPSI_NS1_7vsmem_tEENKUlT_SG_SH_SI_E_clIS7_S7_PlSB_EESF_SV_SG_SH_SI_EUlSV_E0_NS1_11comp_targetILNS1_3genE0ELNS1_11target_archE4294967295ELNS1_3gpuE0ELNS1_3repE0EEENS1_38merge_mergepath_config_static_selectorELNS0_4arch9wavefront6targetE1EEEvSH_,comdat
.Lfunc_end1284:
	.size	_ZN7rocprim17ROCPRIM_400000_NS6detail17trampoline_kernelINS0_14default_configENS1_38merge_sort_block_merge_config_selectorIslEEZZNS1_27merge_sort_block_merge_implIS3_PsN6thrust23THRUST_200600_302600_NS10device_ptrIlEEjNS1_19radix_merge_compareILb0ELb0EsNS0_19identity_decomposerEEEEE10hipError_tT0_T1_T2_jT3_P12ihipStream_tbPNSt15iterator_traitsISG_E10value_typeEPNSM_ISH_E10value_typeEPSI_NS1_7vsmem_tEENKUlT_SG_SH_SI_E_clIS7_S7_PlSB_EESF_SV_SG_SH_SI_EUlSV_E0_NS1_11comp_targetILNS1_3genE0ELNS1_11target_archE4294967295ELNS1_3gpuE0ELNS1_3repE0EEENS1_38merge_mergepath_config_static_selectorELNS0_4arch9wavefront6targetE1EEEvSH_, .Lfunc_end1284-_ZN7rocprim17ROCPRIM_400000_NS6detail17trampoline_kernelINS0_14default_configENS1_38merge_sort_block_merge_config_selectorIslEEZZNS1_27merge_sort_block_merge_implIS3_PsN6thrust23THRUST_200600_302600_NS10device_ptrIlEEjNS1_19radix_merge_compareILb0ELb0EsNS0_19identity_decomposerEEEEE10hipError_tT0_T1_T2_jT3_P12ihipStream_tbPNSt15iterator_traitsISG_E10value_typeEPNSM_ISH_E10value_typeEPSI_NS1_7vsmem_tEENKUlT_SG_SH_SI_E_clIS7_S7_PlSB_EESF_SV_SG_SH_SI_EUlSV_E0_NS1_11comp_targetILNS1_3genE0ELNS1_11target_archE4294967295ELNS1_3gpuE0ELNS1_3repE0EEENS1_38merge_mergepath_config_static_selectorELNS0_4arch9wavefront6targetE1EEEvSH_
                                        ; -- End function
	.section	.AMDGPU.csdata,"",@progbits
; Kernel info:
; codeLenInByte = 0
; NumSgprs: 4
; NumVgprs: 0
; NumAgprs: 0
; TotalNumVgprs: 0
; ScratchSize: 0
; MemoryBound: 0
; FloatMode: 240
; IeeeMode: 1
; LDSByteSize: 0 bytes/workgroup (compile time only)
; SGPRBlocks: 0
; VGPRBlocks: 0
; NumSGPRsForWavesPerEU: 4
; NumVGPRsForWavesPerEU: 1
; AccumOffset: 4
; Occupancy: 8
; WaveLimiterHint : 0
; COMPUTE_PGM_RSRC2:SCRATCH_EN: 0
; COMPUTE_PGM_RSRC2:USER_SGPR: 6
; COMPUTE_PGM_RSRC2:TRAP_HANDLER: 0
; COMPUTE_PGM_RSRC2:TGID_X_EN: 1
; COMPUTE_PGM_RSRC2:TGID_Y_EN: 0
; COMPUTE_PGM_RSRC2:TGID_Z_EN: 0
; COMPUTE_PGM_RSRC2:TIDIG_COMP_CNT: 0
; COMPUTE_PGM_RSRC3_GFX90A:ACCUM_OFFSET: 0
; COMPUTE_PGM_RSRC3_GFX90A:TG_SPLIT: 0
	.section	.text._ZN7rocprim17ROCPRIM_400000_NS6detail17trampoline_kernelINS0_14default_configENS1_38merge_sort_block_merge_config_selectorIslEEZZNS1_27merge_sort_block_merge_implIS3_PsN6thrust23THRUST_200600_302600_NS10device_ptrIlEEjNS1_19radix_merge_compareILb0ELb0EsNS0_19identity_decomposerEEEEE10hipError_tT0_T1_T2_jT3_P12ihipStream_tbPNSt15iterator_traitsISG_E10value_typeEPNSM_ISH_E10value_typeEPSI_NS1_7vsmem_tEENKUlT_SG_SH_SI_E_clIS7_S7_PlSB_EESF_SV_SG_SH_SI_EUlSV_E0_NS1_11comp_targetILNS1_3genE10ELNS1_11target_archE1201ELNS1_3gpuE5ELNS1_3repE0EEENS1_38merge_mergepath_config_static_selectorELNS0_4arch9wavefront6targetE1EEEvSH_,"axG",@progbits,_ZN7rocprim17ROCPRIM_400000_NS6detail17trampoline_kernelINS0_14default_configENS1_38merge_sort_block_merge_config_selectorIslEEZZNS1_27merge_sort_block_merge_implIS3_PsN6thrust23THRUST_200600_302600_NS10device_ptrIlEEjNS1_19radix_merge_compareILb0ELb0EsNS0_19identity_decomposerEEEEE10hipError_tT0_T1_T2_jT3_P12ihipStream_tbPNSt15iterator_traitsISG_E10value_typeEPNSM_ISH_E10value_typeEPSI_NS1_7vsmem_tEENKUlT_SG_SH_SI_E_clIS7_S7_PlSB_EESF_SV_SG_SH_SI_EUlSV_E0_NS1_11comp_targetILNS1_3genE10ELNS1_11target_archE1201ELNS1_3gpuE5ELNS1_3repE0EEENS1_38merge_mergepath_config_static_selectorELNS0_4arch9wavefront6targetE1EEEvSH_,comdat
	.protected	_ZN7rocprim17ROCPRIM_400000_NS6detail17trampoline_kernelINS0_14default_configENS1_38merge_sort_block_merge_config_selectorIslEEZZNS1_27merge_sort_block_merge_implIS3_PsN6thrust23THRUST_200600_302600_NS10device_ptrIlEEjNS1_19radix_merge_compareILb0ELb0EsNS0_19identity_decomposerEEEEE10hipError_tT0_T1_T2_jT3_P12ihipStream_tbPNSt15iterator_traitsISG_E10value_typeEPNSM_ISH_E10value_typeEPSI_NS1_7vsmem_tEENKUlT_SG_SH_SI_E_clIS7_S7_PlSB_EESF_SV_SG_SH_SI_EUlSV_E0_NS1_11comp_targetILNS1_3genE10ELNS1_11target_archE1201ELNS1_3gpuE5ELNS1_3repE0EEENS1_38merge_mergepath_config_static_selectorELNS0_4arch9wavefront6targetE1EEEvSH_ ; -- Begin function _ZN7rocprim17ROCPRIM_400000_NS6detail17trampoline_kernelINS0_14default_configENS1_38merge_sort_block_merge_config_selectorIslEEZZNS1_27merge_sort_block_merge_implIS3_PsN6thrust23THRUST_200600_302600_NS10device_ptrIlEEjNS1_19radix_merge_compareILb0ELb0EsNS0_19identity_decomposerEEEEE10hipError_tT0_T1_T2_jT3_P12ihipStream_tbPNSt15iterator_traitsISG_E10value_typeEPNSM_ISH_E10value_typeEPSI_NS1_7vsmem_tEENKUlT_SG_SH_SI_E_clIS7_S7_PlSB_EESF_SV_SG_SH_SI_EUlSV_E0_NS1_11comp_targetILNS1_3genE10ELNS1_11target_archE1201ELNS1_3gpuE5ELNS1_3repE0EEENS1_38merge_mergepath_config_static_selectorELNS0_4arch9wavefront6targetE1EEEvSH_
	.globl	_ZN7rocprim17ROCPRIM_400000_NS6detail17trampoline_kernelINS0_14default_configENS1_38merge_sort_block_merge_config_selectorIslEEZZNS1_27merge_sort_block_merge_implIS3_PsN6thrust23THRUST_200600_302600_NS10device_ptrIlEEjNS1_19radix_merge_compareILb0ELb0EsNS0_19identity_decomposerEEEEE10hipError_tT0_T1_T2_jT3_P12ihipStream_tbPNSt15iterator_traitsISG_E10value_typeEPNSM_ISH_E10value_typeEPSI_NS1_7vsmem_tEENKUlT_SG_SH_SI_E_clIS7_S7_PlSB_EESF_SV_SG_SH_SI_EUlSV_E0_NS1_11comp_targetILNS1_3genE10ELNS1_11target_archE1201ELNS1_3gpuE5ELNS1_3repE0EEENS1_38merge_mergepath_config_static_selectorELNS0_4arch9wavefront6targetE1EEEvSH_
	.p2align	8
	.type	_ZN7rocprim17ROCPRIM_400000_NS6detail17trampoline_kernelINS0_14default_configENS1_38merge_sort_block_merge_config_selectorIslEEZZNS1_27merge_sort_block_merge_implIS3_PsN6thrust23THRUST_200600_302600_NS10device_ptrIlEEjNS1_19radix_merge_compareILb0ELb0EsNS0_19identity_decomposerEEEEE10hipError_tT0_T1_T2_jT3_P12ihipStream_tbPNSt15iterator_traitsISG_E10value_typeEPNSM_ISH_E10value_typeEPSI_NS1_7vsmem_tEENKUlT_SG_SH_SI_E_clIS7_S7_PlSB_EESF_SV_SG_SH_SI_EUlSV_E0_NS1_11comp_targetILNS1_3genE10ELNS1_11target_archE1201ELNS1_3gpuE5ELNS1_3repE0EEENS1_38merge_mergepath_config_static_selectorELNS0_4arch9wavefront6targetE1EEEvSH_,@function
_ZN7rocprim17ROCPRIM_400000_NS6detail17trampoline_kernelINS0_14default_configENS1_38merge_sort_block_merge_config_selectorIslEEZZNS1_27merge_sort_block_merge_implIS3_PsN6thrust23THRUST_200600_302600_NS10device_ptrIlEEjNS1_19radix_merge_compareILb0ELb0EsNS0_19identity_decomposerEEEEE10hipError_tT0_T1_T2_jT3_P12ihipStream_tbPNSt15iterator_traitsISG_E10value_typeEPNSM_ISH_E10value_typeEPSI_NS1_7vsmem_tEENKUlT_SG_SH_SI_E_clIS7_S7_PlSB_EESF_SV_SG_SH_SI_EUlSV_E0_NS1_11comp_targetILNS1_3genE10ELNS1_11target_archE1201ELNS1_3gpuE5ELNS1_3repE0EEENS1_38merge_mergepath_config_static_selectorELNS0_4arch9wavefront6targetE1EEEvSH_: ; @_ZN7rocprim17ROCPRIM_400000_NS6detail17trampoline_kernelINS0_14default_configENS1_38merge_sort_block_merge_config_selectorIslEEZZNS1_27merge_sort_block_merge_implIS3_PsN6thrust23THRUST_200600_302600_NS10device_ptrIlEEjNS1_19radix_merge_compareILb0ELb0EsNS0_19identity_decomposerEEEEE10hipError_tT0_T1_T2_jT3_P12ihipStream_tbPNSt15iterator_traitsISG_E10value_typeEPNSM_ISH_E10value_typeEPSI_NS1_7vsmem_tEENKUlT_SG_SH_SI_E_clIS7_S7_PlSB_EESF_SV_SG_SH_SI_EUlSV_E0_NS1_11comp_targetILNS1_3genE10ELNS1_11target_archE1201ELNS1_3gpuE5ELNS1_3repE0EEENS1_38merge_mergepath_config_static_selectorELNS0_4arch9wavefront6targetE1EEEvSH_
; %bb.0:
	.section	.rodata,"a",@progbits
	.p2align	6, 0x0
	.amdhsa_kernel _ZN7rocprim17ROCPRIM_400000_NS6detail17trampoline_kernelINS0_14default_configENS1_38merge_sort_block_merge_config_selectorIslEEZZNS1_27merge_sort_block_merge_implIS3_PsN6thrust23THRUST_200600_302600_NS10device_ptrIlEEjNS1_19radix_merge_compareILb0ELb0EsNS0_19identity_decomposerEEEEE10hipError_tT0_T1_T2_jT3_P12ihipStream_tbPNSt15iterator_traitsISG_E10value_typeEPNSM_ISH_E10value_typeEPSI_NS1_7vsmem_tEENKUlT_SG_SH_SI_E_clIS7_S7_PlSB_EESF_SV_SG_SH_SI_EUlSV_E0_NS1_11comp_targetILNS1_3genE10ELNS1_11target_archE1201ELNS1_3gpuE5ELNS1_3repE0EEENS1_38merge_mergepath_config_static_selectorELNS0_4arch9wavefront6targetE1EEEvSH_
		.amdhsa_group_segment_fixed_size 0
		.amdhsa_private_segment_fixed_size 0
		.amdhsa_kernarg_size 64
		.amdhsa_user_sgpr_count 6
		.amdhsa_user_sgpr_private_segment_buffer 1
		.amdhsa_user_sgpr_dispatch_ptr 0
		.amdhsa_user_sgpr_queue_ptr 0
		.amdhsa_user_sgpr_kernarg_segment_ptr 1
		.amdhsa_user_sgpr_dispatch_id 0
		.amdhsa_user_sgpr_flat_scratch_init 0
		.amdhsa_user_sgpr_kernarg_preload_length 0
		.amdhsa_user_sgpr_kernarg_preload_offset 0
		.amdhsa_user_sgpr_private_segment_size 0
		.amdhsa_uses_dynamic_stack 0
		.amdhsa_system_sgpr_private_segment_wavefront_offset 0
		.amdhsa_system_sgpr_workgroup_id_x 1
		.amdhsa_system_sgpr_workgroup_id_y 0
		.amdhsa_system_sgpr_workgroup_id_z 0
		.amdhsa_system_sgpr_workgroup_info 0
		.amdhsa_system_vgpr_workitem_id 0
		.amdhsa_next_free_vgpr 1
		.amdhsa_next_free_sgpr 0
		.amdhsa_accum_offset 4
		.amdhsa_reserve_vcc 0
		.amdhsa_reserve_flat_scratch 0
		.amdhsa_float_round_mode_32 0
		.amdhsa_float_round_mode_16_64 0
		.amdhsa_float_denorm_mode_32 3
		.amdhsa_float_denorm_mode_16_64 3
		.amdhsa_dx10_clamp 1
		.amdhsa_ieee_mode 1
		.amdhsa_fp16_overflow 0
		.amdhsa_tg_split 0
		.amdhsa_exception_fp_ieee_invalid_op 0
		.amdhsa_exception_fp_denorm_src 0
		.amdhsa_exception_fp_ieee_div_zero 0
		.amdhsa_exception_fp_ieee_overflow 0
		.amdhsa_exception_fp_ieee_underflow 0
		.amdhsa_exception_fp_ieee_inexact 0
		.amdhsa_exception_int_div_zero 0
	.end_amdhsa_kernel
	.section	.text._ZN7rocprim17ROCPRIM_400000_NS6detail17trampoline_kernelINS0_14default_configENS1_38merge_sort_block_merge_config_selectorIslEEZZNS1_27merge_sort_block_merge_implIS3_PsN6thrust23THRUST_200600_302600_NS10device_ptrIlEEjNS1_19radix_merge_compareILb0ELb0EsNS0_19identity_decomposerEEEEE10hipError_tT0_T1_T2_jT3_P12ihipStream_tbPNSt15iterator_traitsISG_E10value_typeEPNSM_ISH_E10value_typeEPSI_NS1_7vsmem_tEENKUlT_SG_SH_SI_E_clIS7_S7_PlSB_EESF_SV_SG_SH_SI_EUlSV_E0_NS1_11comp_targetILNS1_3genE10ELNS1_11target_archE1201ELNS1_3gpuE5ELNS1_3repE0EEENS1_38merge_mergepath_config_static_selectorELNS0_4arch9wavefront6targetE1EEEvSH_,"axG",@progbits,_ZN7rocprim17ROCPRIM_400000_NS6detail17trampoline_kernelINS0_14default_configENS1_38merge_sort_block_merge_config_selectorIslEEZZNS1_27merge_sort_block_merge_implIS3_PsN6thrust23THRUST_200600_302600_NS10device_ptrIlEEjNS1_19radix_merge_compareILb0ELb0EsNS0_19identity_decomposerEEEEE10hipError_tT0_T1_T2_jT3_P12ihipStream_tbPNSt15iterator_traitsISG_E10value_typeEPNSM_ISH_E10value_typeEPSI_NS1_7vsmem_tEENKUlT_SG_SH_SI_E_clIS7_S7_PlSB_EESF_SV_SG_SH_SI_EUlSV_E0_NS1_11comp_targetILNS1_3genE10ELNS1_11target_archE1201ELNS1_3gpuE5ELNS1_3repE0EEENS1_38merge_mergepath_config_static_selectorELNS0_4arch9wavefront6targetE1EEEvSH_,comdat
.Lfunc_end1285:
	.size	_ZN7rocprim17ROCPRIM_400000_NS6detail17trampoline_kernelINS0_14default_configENS1_38merge_sort_block_merge_config_selectorIslEEZZNS1_27merge_sort_block_merge_implIS3_PsN6thrust23THRUST_200600_302600_NS10device_ptrIlEEjNS1_19radix_merge_compareILb0ELb0EsNS0_19identity_decomposerEEEEE10hipError_tT0_T1_T2_jT3_P12ihipStream_tbPNSt15iterator_traitsISG_E10value_typeEPNSM_ISH_E10value_typeEPSI_NS1_7vsmem_tEENKUlT_SG_SH_SI_E_clIS7_S7_PlSB_EESF_SV_SG_SH_SI_EUlSV_E0_NS1_11comp_targetILNS1_3genE10ELNS1_11target_archE1201ELNS1_3gpuE5ELNS1_3repE0EEENS1_38merge_mergepath_config_static_selectorELNS0_4arch9wavefront6targetE1EEEvSH_, .Lfunc_end1285-_ZN7rocprim17ROCPRIM_400000_NS6detail17trampoline_kernelINS0_14default_configENS1_38merge_sort_block_merge_config_selectorIslEEZZNS1_27merge_sort_block_merge_implIS3_PsN6thrust23THRUST_200600_302600_NS10device_ptrIlEEjNS1_19radix_merge_compareILb0ELb0EsNS0_19identity_decomposerEEEEE10hipError_tT0_T1_T2_jT3_P12ihipStream_tbPNSt15iterator_traitsISG_E10value_typeEPNSM_ISH_E10value_typeEPSI_NS1_7vsmem_tEENKUlT_SG_SH_SI_E_clIS7_S7_PlSB_EESF_SV_SG_SH_SI_EUlSV_E0_NS1_11comp_targetILNS1_3genE10ELNS1_11target_archE1201ELNS1_3gpuE5ELNS1_3repE0EEENS1_38merge_mergepath_config_static_selectorELNS0_4arch9wavefront6targetE1EEEvSH_
                                        ; -- End function
	.section	.AMDGPU.csdata,"",@progbits
; Kernel info:
; codeLenInByte = 0
; NumSgprs: 4
; NumVgprs: 0
; NumAgprs: 0
; TotalNumVgprs: 0
; ScratchSize: 0
; MemoryBound: 0
; FloatMode: 240
; IeeeMode: 1
; LDSByteSize: 0 bytes/workgroup (compile time only)
; SGPRBlocks: 0
; VGPRBlocks: 0
; NumSGPRsForWavesPerEU: 4
; NumVGPRsForWavesPerEU: 1
; AccumOffset: 4
; Occupancy: 8
; WaveLimiterHint : 0
; COMPUTE_PGM_RSRC2:SCRATCH_EN: 0
; COMPUTE_PGM_RSRC2:USER_SGPR: 6
; COMPUTE_PGM_RSRC2:TRAP_HANDLER: 0
; COMPUTE_PGM_RSRC2:TGID_X_EN: 1
; COMPUTE_PGM_RSRC2:TGID_Y_EN: 0
; COMPUTE_PGM_RSRC2:TGID_Z_EN: 0
; COMPUTE_PGM_RSRC2:TIDIG_COMP_CNT: 0
; COMPUTE_PGM_RSRC3_GFX90A:ACCUM_OFFSET: 0
; COMPUTE_PGM_RSRC3_GFX90A:TG_SPLIT: 0
	.section	.text._ZN7rocprim17ROCPRIM_400000_NS6detail17trampoline_kernelINS0_14default_configENS1_38merge_sort_block_merge_config_selectorIslEEZZNS1_27merge_sort_block_merge_implIS3_PsN6thrust23THRUST_200600_302600_NS10device_ptrIlEEjNS1_19radix_merge_compareILb0ELb0EsNS0_19identity_decomposerEEEEE10hipError_tT0_T1_T2_jT3_P12ihipStream_tbPNSt15iterator_traitsISG_E10value_typeEPNSM_ISH_E10value_typeEPSI_NS1_7vsmem_tEENKUlT_SG_SH_SI_E_clIS7_S7_PlSB_EESF_SV_SG_SH_SI_EUlSV_E0_NS1_11comp_targetILNS1_3genE5ELNS1_11target_archE942ELNS1_3gpuE9ELNS1_3repE0EEENS1_38merge_mergepath_config_static_selectorELNS0_4arch9wavefront6targetE1EEEvSH_,"axG",@progbits,_ZN7rocprim17ROCPRIM_400000_NS6detail17trampoline_kernelINS0_14default_configENS1_38merge_sort_block_merge_config_selectorIslEEZZNS1_27merge_sort_block_merge_implIS3_PsN6thrust23THRUST_200600_302600_NS10device_ptrIlEEjNS1_19radix_merge_compareILb0ELb0EsNS0_19identity_decomposerEEEEE10hipError_tT0_T1_T2_jT3_P12ihipStream_tbPNSt15iterator_traitsISG_E10value_typeEPNSM_ISH_E10value_typeEPSI_NS1_7vsmem_tEENKUlT_SG_SH_SI_E_clIS7_S7_PlSB_EESF_SV_SG_SH_SI_EUlSV_E0_NS1_11comp_targetILNS1_3genE5ELNS1_11target_archE942ELNS1_3gpuE9ELNS1_3repE0EEENS1_38merge_mergepath_config_static_selectorELNS0_4arch9wavefront6targetE1EEEvSH_,comdat
	.protected	_ZN7rocprim17ROCPRIM_400000_NS6detail17trampoline_kernelINS0_14default_configENS1_38merge_sort_block_merge_config_selectorIslEEZZNS1_27merge_sort_block_merge_implIS3_PsN6thrust23THRUST_200600_302600_NS10device_ptrIlEEjNS1_19radix_merge_compareILb0ELb0EsNS0_19identity_decomposerEEEEE10hipError_tT0_T1_T2_jT3_P12ihipStream_tbPNSt15iterator_traitsISG_E10value_typeEPNSM_ISH_E10value_typeEPSI_NS1_7vsmem_tEENKUlT_SG_SH_SI_E_clIS7_S7_PlSB_EESF_SV_SG_SH_SI_EUlSV_E0_NS1_11comp_targetILNS1_3genE5ELNS1_11target_archE942ELNS1_3gpuE9ELNS1_3repE0EEENS1_38merge_mergepath_config_static_selectorELNS0_4arch9wavefront6targetE1EEEvSH_ ; -- Begin function _ZN7rocprim17ROCPRIM_400000_NS6detail17trampoline_kernelINS0_14default_configENS1_38merge_sort_block_merge_config_selectorIslEEZZNS1_27merge_sort_block_merge_implIS3_PsN6thrust23THRUST_200600_302600_NS10device_ptrIlEEjNS1_19radix_merge_compareILb0ELb0EsNS0_19identity_decomposerEEEEE10hipError_tT0_T1_T2_jT3_P12ihipStream_tbPNSt15iterator_traitsISG_E10value_typeEPNSM_ISH_E10value_typeEPSI_NS1_7vsmem_tEENKUlT_SG_SH_SI_E_clIS7_S7_PlSB_EESF_SV_SG_SH_SI_EUlSV_E0_NS1_11comp_targetILNS1_3genE5ELNS1_11target_archE942ELNS1_3gpuE9ELNS1_3repE0EEENS1_38merge_mergepath_config_static_selectorELNS0_4arch9wavefront6targetE1EEEvSH_
	.globl	_ZN7rocprim17ROCPRIM_400000_NS6detail17trampoline_kernelINS0_14default_configENS1_38merge_sort_block_merge_config_selectorIslEEZZNS1_27merge_sort_block_merge_implIS3_PsN6thrust23THRUST_200600_302600_NS10device_ptrIlEEjNS1_19radix_merge_compareILb0ELb0EsNS0_19identity_decomposerEEEEE10hipError_tT0_T1_T2_jT3_P12ihipStream_tbPNSt15iterator_traitsISG_E10value_typeEPNSM_ISH_E10value_typeEPSI_NS1_7vsmem_tEENKUlT_SG_SH_SI_E_clIS7_S7_PlSB_EESF_SV_SG_SH_SI_EUlSV_E0_NS1_11comp_targetILNS1_3genE5ELNS1_11target_archE942ELNS1_3gpuE9ELNS1_3repE0EEENS1_38merge_mergepath_config_static_selectorELNS0_4arch9wavefront6targetE1EEEvSH_
	.p2align	8
	.type	_ZN7rocprim17ROCPRIM_400000_NS6detail17trampoline_kernelINS0_14default_configENS1_38merge_sort_block_merge_config_selectorIslEEZZNS1_27merge_sort_block_merge_implIS3_PsN6thrust23THRUST_200600_302600_NS10device_ptrIlEEjNS1_19radix_merge_compareILb0ELb0EsNS0_19identity_decomposerEEEEE10hipError_tT0_T1_T2_jT3_P12ihipStream_tbPNSt15iterator_traitsISG_E10value_typeEPNSM_ISH_E10value_typeEPSI_NS1_7vsmem_tEENKUlT_SG_SH_SI_E_clIS7_S7_PlSB_EESF_SV_SG_SH_SI_EUlSV_E0_NS1_11comp_targetILNS1_3genE5ELNS1_11target_archE942ELNS1_3gpuE9ELNS1_3repE0EEENS1_38merge_mergepath_config_static_selectorELNS0_4arch9wavefront6targetE1EEEvSH_,@function
_ZN7rocprim17ROCPRIM_400000_NS6detail17trampoline_kernelINS0_14default_configENS1_38merge_sort_block_merge_config_selectorIslEEZZNS1_27merge_sort_block_merge_implIS3_PsN6thrust23THRUST_200600_302600_NS10device_ptrIlEEjNS1_19radix_merge_compareILb0ELb0EsNS0_19identity_decomposerEEEEE10hipError_tT0_T1_T2_jT3_P12ihipStream_tbPNSt15iterator_traitsISG_E10value_typeEPNSM_ISH_E10value_typeEPSI_NS1_7vsmem_tEENKUlT_SG_SH_SI_E_clIS7_S7_PlSB_EESF_SV_SG_SH_SI_EUlSV_E0_NS1_11comp_targetILNS1_3genE5ELNS1_11target_archE942ELNS1_3gpuE9ELNS1_3repE0EEENS1_38merge_mergepath_config_static_selectorELNS0_4arch9wavefront6targetE1EEEvSH_: ; @_ZN7rocprim17ROCPRIM_400000_NS6detail17trampoline_kernelINS0_14default_configENS1_38merge_sort_block_merge_config_selectorIslEEZZNS1_27merge_sort_block_merge_implIS3_PsN6thrust23THRUST_200600_302600_NS10device_ptrIlEEjNS1_19radix_merge_compareILb0ELb0EsNS0_19identity_decomposerEEEEE10hipError_tT0_T1_T2_jT3_P12ihipStream_tbPNSt15iterator_traitsISG_E10value_typeEPNSM_ISH_E10value_typeEPSI_NS1_7vsmem_tEENKUlT_SG_SH_SI_E_clIS7_S7_PlSB_EESF_SV_SG_SH_SI_EUlSV_E0_NS1_11comp_targetILNS1_3genE5ELNS1_11target_archE942ELNS1_3gpuE9ELNS1_3repE0EEENS1_38merge_mergepath_config_static_selectorELNS0_4arch9wavefront6targetE1EEEvSH_
; %bb.0:
	.section	.rodata,"a",@progbits
	.p2align	6, 0x0
	.amdhsa_kernel _ZN7rocprim17ROCPRIM_400000_NS6detail17trampoline_kernelINS0_14default_configENS1_38merge_sort_block_merge_config_selectorIslEEZZNS1_27merge_sort_block_merge_implIS3_PsN6thrust23THRUST_200600_302600_NS10device_ptrIlEEjNS1_19radix_merge_compareILb0ELb0EsNS0_19identity_decomposerEEEEE10hipError_tT0_T1_T2_jT3_P12ihipStream_tbPNSt15iterator_traitsISG_E10value_typeEPNSM_ISH_E10value_typeEPSI_NS1_7vsmem_tEENKUlT_SG_SH_SI_E_clIS7_S7_PlSB_EESF_SV_SG_SH_SI_EUlSV_E0_NS1_11comp_targetILNS1_3genE5ELNS1_11target_archE942ELNS1_3gpuE9ELNS1_3repE0EEENS1_38merge_mergepath_config_static_selectorELNS0_4arch9wavefront6targetE1EEEvSH_
		.amdhsa_group_segment_fixed_size 0
		.amdhsa_private_segment_fixed_size 0
		.amdhsa_kernarg_size 64
		.amdhsa_user_sgpr_count 6
		.amdhsa_user_sgpr_private_segment_buffer 1
		.amdhsa_user_sgpr_dispatch_ptr 0
		.amdhsa_user_sgpr_queue_ptr 0
		.amdhsa_user_sgpr_kernarg_segment_ptr 1
		.amdhsa_user_sgpr_dispatch_id 0
		.amdhsa_user_sgpr_flat_scratch_init 0
		.amdhsa_user_sgpr_kernarg_preload_length 0
		.amdhsa_user_sgpr_kernarg_preload_offset 0
		.amdhsa_user_sgpr_private_segment_size 0
		.amdhsa_uses_dynamic_stack 0
		.amdhsa_system_sgpr_private_segment_wavefront_offset 0
		.amdhsa_system_sgpr_workgroup_id_x 1
		.amdhsa_system_sgpr_workgroup_id_y 0
		.amdhsa_system_sgpr_workgroup_id_z 0
		.amdhsa_system_sgpr_workgroup_info 0
		.amdhsa_system_vgpr_workitem_id 0
		.amdhsa_next_free_vgpr 1
		.amdhsa_next_free_sgpr 0
		.amdhsa_accum_offset 4
		.amdhsa_reserve_vcc 0
		.amdhsa_reserve_flat_scratch 0
		.amdhsa_float_round_mode_32 0
		.amdhsa_float_round_mode_16_64 0
		.amdhsa_float_denorm_mode_32 3
		.amdhsa_float_denorm_mode_16_64 3
		.amdhsa_dx10_clamp 1
		.amdhsa_ieee_mode 1
		.amdhsa_fp16_overflow 0
		.amdhsa_tg_split 0
		.amdhsa_exception_fp_ieee_invalid_op 0
		.amdhsa_exception_fp_denorm_src 0
		.amdhsa_exception_fp_ieee_div_zero 0
		.amdhsa_exception_fp_ieee_overflow 0
		.amdhsa_exception_fp_ieee_underflow 0
		.amdhsa_exception_fp_ieee_inexact 0
		.amdhsa_exception_int_div_zero 0
	.end_amdhsa_kernel
	.section	.text._ZN7rocprim17ROCPRIM_400000_NS6detail17trampoline_kernelINS0_14default_configENS1_38merge_sort_block_merge_config_selectorIslEEZZNS1_27merge_sort_block_merge_implIS3_PsN6thrust23THRUST_200600_302600_NS10device_ptrIlEEjNS1_19radix_merge_compareILb0ELb0EsNS0_19identity_decomposerEEEEE10hipError_tT0_T1_T2_jT3_P12ihipStream_tbPNSt15iterator_traitsISG_E10value_typeEPNSM_ISH_E10value_typeEPSI_NS1_7vsmem_tEENKUlT_SG_SH_SI_E_clIS7_S7_PlSB_EESF_SV_SG_SH_SI_EUlSV_E0_NS1_11comp_targetILNS1_3genE5ELNS1_11target_archE942ELNS1_3gpuE9ELNS1_3repE0EEENS1_38merge_mergepath_config_static_selectorELNS0_4arch9wavefront6targetE1EEEvSH_,"axG",@progbits,_ZN7rocprim17ROCPRIM_400000_NS6detail17trampoline_kernelINS0_14default_configENS1_38merge_sort_block_merge_config_selectorIslEEZZNS1_27merge_sort_block_merge_implIS3_PsN6thrust23THRUST_200600_302600_NS10device_ptrIlEEjNS1_19radix_merge_compareILb0ELb0EsNS0_19identity_decomposerEEEEE10hipError_tT0_T1_T2_jT3_P12ihipStream_tbPNSt15iterator_traitsISG_E10value_typeEPNSM_ISH_E10value_typeEPSI_NS1_7vsmem_tEENKUlT_SG_SH_SI_E_clIS7_S7_PlSB_EESF_SV_SG_SH_SI_EUlSV_E0_NS1_11comp_targetILNS1_3genE5ELNS1_11target_archE942ELNS1_3gpuE9ELNS1_3repE0EEENS1_38merge_mergepath_config_static_selectorELNS0_4arch9wavefront6targetE1EEEvSH_,comdat
.Lfunc_end1286:
	.size	_ZN7rocprim17ROCPRIM_400000_NS6detail17trampoline_kernelINS0_14default_configENS1_38merge_sort_block_merge_config_selectorIslEEZZNS1_27merge_sort_block_merge_implIS3_PsN6thrust23THRUST_200600_302600_NS10device_ptrIlEEjNS1_19radix_merge_compareILb0ELb0EsNS0_19identity_decomposerEEEEE10hipError_tT0_T1_T2_jT3_P12ihipStream_tbPNSt15iterator_traitsISG_E10value_typeEPNSM_ISH_E10value_typeEPSI_NS1_7vsmem_tEENKUlT_SG_SH_SI_E_clIS7_S7_PlSB_EESF_SV_SG_SH_SI_EUlSV_E0_NS1_11comp_targetILNS1_3genE5ELNS1_11target_archE942ELNS1_3gpuE9ELNS1_3repE0EEENS1_38merge_mergepath_config_static_selectorELNS0_4arch9wavefront6targetE1EEEvSH_, .Lfunc_end1286-_ZN7rocprim17ROCPRIM_400000_NS6detail17trampoline_kernelINS0_14default_configENS1_38merge_sort_block_merge_config_selectorIslEEZZNS1_27merge_sort_block_merge_implIS3_PsN6thrust23THRUST_200600_302600_NS10device_ptrIlEEjNS1_19radix_merge_compareILb0ELb0EsNS0_19identity_decomposerEEEEE10hipError_tT0_T1_T2_jT3_P12ihipStream_tbPNSt15iterator_traitsISG_E10value_typeEPNSM_ISH_E10value_typeEPSI_NS1_7vsmem_tEENKUlT_SG_SH_SI_E_clIS7_S7_PlSB_EESF_SV_SG_SH_SI_EUlSV_E0_NS1_11comp_targetILNS1_3genE5ELNS1_11target_archE942ELNS1_3gpuE9ELNS1_3repE0EEENS1_38merge_mergepath_config_static_selectorELNS0_4arch9wavefront6targetE1EEEvSH_
                                        ; -- End function
	.section	.AMDGPU.csdata,"",@progbits
; Kernel info:
; codeLenInByte = 0
; NumSgprs: 4
; NumVgprs: 0
; NumAgprs: 0
; TotalNumVgprs: 0
; ScratchSize: 0
; MemoryBound: 0
; FloatMode: 240
; IeeeMode: 1
; LDSByteSize: 0 bytes/workgroup (compile time only)
; SGPRBlocks: 0
; VGPRBlocks: 0
; NumSGPRsForWavesPerEU: 4
; NumVGPRsForWavesPerEU: 1
; AccumOffset: 4
; Occupancy: 8
; WaveLimiterHint : 0
; COMPUTE_PGM_RSRC2:SCRATCH_EN: 0
; COMPUTE_PGM_RSRC2:USER_SGPR: 6
; COMPUTE_PGM_RSRC2:TRAP_HANDLER: 0
; COMPUTE_PGM_RSRC2:TGID_X_EN: 1
; COMPUTE_PGM_RSRC2:TGID_Y_EN: 0
; COMPUTE_PGM_RSRC2:TGID_Z_EN: 0
; COMPUTE_PGM_RSRC2:TIDIG_COMP_CNT: 0
; COMPUTE_PGM_RSRC3_GFX90A:ACCUM_OFFSET: 0
; COMPUTE_PGM_RSRC3_GFX90A:TG_SPLIT: 0
	.section	.text._ZN7rocprim17ROCPRIM_400000_NS6detail17trampoline_kernelINS0_14default_configENS1_38merge_sort_block_merge_config_selectorIslEEZZNS1_27merge_sort_block_merge_implIS3_PsN6thrust23THRUST_200600_302600_NS10device_ptrIlEEjNS1_19radix_merge_compareILb0ELb0EsNS0_19identity_decomposerEEEEE10hipError_tT0_T1_T2_jT3_P12ihipStream_tbPNSt15iterator_traitsISG_E10value_typeEPNSM_ISH_E10value_typeEPSI_NS1_7vsmem_tEENKUlT_SG_SH_SI_E_clIS7_S7_PlSB_EESF_SV_SG_SH_SI_EUlSV_E0_NS1_11comp_targetILNS1_3genE4ELNS1_11target_archE910ELNS1_3gpuE8ELNS1_3repE0EEENS1_38merge_mergepath_config_static_selectorELNS0_4arch9wavefront6targetE1EEEvSH_,"axG",@progbits,_ZN7rocprim17ROCPRIM_400000_NS6detail17trampoline_kernelINS0_14default_configENS1_38merge_sort_block_merge_config_selectorIslEEZZNS1_27merge_sort_block_merge_implIS3_PsN6thrust23THRUST_200600_302600_NS10device_ptrIlEEjNS1_19radix_merge_compareILb0ELb0EsNS0_19identity_decomposerEEEEE10hipError_tT0_T1_T2_jT3_P12ihipStream_tbPNSt15iterator_traitsISG_E10value_typeEPNSM_ISH_E10value_typeEPSI_NS1_7vsmem_tEENKUlT_SG_SH_SI_E_clIS7_S7_PlSB_EESF_SV_SG_SH_SI_EUlSV_E0_NS1_11comp_targetILNS1_3genE4ELNS1_11target_archE910ELNS1_3gpuE8ELNS1_3repE0EEENS1_38merge_mergepath_config_static_selectorELNS0_4arch9wavefront6targetE1EEEvSH_,comdat
	.protected	_ZN7rocprim17ROCPRIM_400000_NS6detail17trampoline_kernelINS0_14default_configENS1_38merge_sort_block_merge_config_selectorIslEEZZNS1_27merge_sort_block_merge_implIS3_PsN6thrust23THRUST_200600_302600_NS10device_ptrIlEEjNS1_19radix_merge_compareILb0ELb0EsNS0_19identity_decomposerEEEEE10hipError_tT0_T1_T2_jT3_P12ihipStream_tbPNSt15iterator_traitsISG_E10value_typeEPNSM_ISH_E10value_typeEPSI_NS1_7vsmem_tEENKUlT_SG_SH_SI_E_clIS7_S7_PlSB_EESF_SV_SG_SH_SI_EUlSV_E0_NS1_11comp_targetILNS1_3genE4ELNS1_11target_archE910ELNS1_3gpuE8ELNS1_3repE0EEENS1_38merge_mergepath_config_static_selectorELNS0_4arch9wavefront6targetE1EEEvSH_ ; -- Begin function _ZN7rocprim17ROCPRIM_400000_NS6detail17trampoline_kernelINS0_14default_configENS1_38merge_sort_block_merge_config_selectorIslEEZZNS1_27merge_sort_block_merge_implIS3_PsN6thrust23THRUST_200600_302600_NS10device_ptrIlEEjNS1_19radix_merge_compareILb0ELb0EsNS0_19identity_decomposerEEEEE10hipError_tT0_T1_T2_jT3_P12ihipStream_tbPNSt15iterator_traitsISG_E10value_typeEPNSM_ISH_E10value_typeEPSI_NS1_7vsmem_tEENKUlT_SG_SH_SI_E_clIS7_S7_PlSB_EESF_SV_SG_SH_SI_EUlSV_E0_NS1_11comp_targetILNS1_3genE4ELNS1_11target_archE910ELNS1_3gpuE8ELNS1_3repE0EEENS1_38merge_mergepath_config_static_selectorELNS0_4arch9wavefront6targetE1EEEvSH_
	.globl	_ZN7rocprim17ROCPRIM_400000_NS6detail17trampoline_kernelINS0_14default_configENS1_38merge_sort_block_merge_config_selectorIslEEZZNS1_27merge_sort_block_merge_implIS3_PsN6thrust23THRUST_200600_302600_NS10device_ptrIlEEjNS1_19radix_merge_compareILb0ELb0EsNS0_19identity_decomposerEEEEE10hipError_tT0_T1_T2_jT3_P12ihipStream_tbPNSt15iterator_traitsISG_E10value_typeEPNSM_ISH_E10value_typeEPSI_NS1_7vsmem_tEENKUlT_SG_SH_SI_E_clIS7_S7_PlSB_EESF_SV_SG_SH_SI_EUlSV_E0_NS1_11comp_targetILNS1_3genE4ELNS1_11target_archE910ELNS1_3gpuE8ELNS1_3repE0EEENS1_38merge_mergepath_config_static_selectorELNS0_4arch9wavefront6targetE1EEEvSH_
	.p2align	8
	.type	_ZN7rocprim17ROCPRIM_400000_NS6detail17trampoline_kernelINS0_14default_configENS1_38merge_sort_block_merge_config_selectorIslEEZZNS1_27merge_sort_block_merge_implIS3_PsN6thrust23THRUST_200600_302600_NS10device_ptrIlEEjNS1_19radix_merge_compareILb0ELb0EsNS0_19identity_decomposerEEEEE10hipError_tT0_T1_T2_jT3_P12ihipStream_tbPNSt15iterator_traitsISG_E10value_typeEPNSM_ISH_E10value_typeEPSI_NS1_7vsmem_tEENKUlT_SG_SH_SI_E_clIS7_S7_PlSB_EESF_SV_SG_SH_SI_EUlSV_E0_NS1_11comp_targetILNS1_3genE4ELNS1_11target_archE910ELNS1_3gpuE8ELNS1_3repE0EEENS1_38merge_mergepath_config_static_selectorELNS0_4arch9wavefront6targetE1EEEvSH_,@function
_ZN7rocprim17ROCPRIM_400000_NS6detail17trampoline_kernelINS0_14default_configENS1_38merge_sort_block_merge_config_selectorIslEEZZNS1_27merge_sort_block_merge_implIS3_PsN6thrust23THRUST_200600_302600_NS10device_ptrIlEEjNS1_19radix_merge_compareILb0ELb0EsNS0_19identity_decomposerEEEEE10hipError_tT0_T1_T2_jT3_P12ihipStream_tbPNSt15iterator_traitsISG_E10value_typeEPNSM_ISH_E10value_typeEPSI_NS1_7vsmem_tEENKUlT_SG_SH_SI_E_clIS7_S7_PlSB_EESF_SV_SG_SH_SI_EUlSV_E0_NS1_11comp_targetILNS1_3genE4ELNS1_11target_archE910ELNS1_3gpuE8ELNS1_3repE0EEENS1_38merge_mergepath_config_static_selectorELNS0_4arch9wavefront6targetE1EEEvSH_: ; @_ZN7rocprim17ROCPRIM_400000_NS6detail17trampoline_kernelINS0_14default_configENS1_38merge_sort_block_merge_config_selectorIslEEZZNS1_27merge_sort_block_merge_implIS3_PsN6thrust23THRUST_200600_302600_NS10device_ptrIlEEjNS1_19radix_merge_compareILb0ELb0EsNS0_19identity_decomposerEEEEE10hipError_tT0_T1_T2_jT3_P12ihipStream_tbPNSt15iterator_traitsISG_E10value_typeEPNSM_ISH_E10value_typeEPSI_NS1_7vsmem_tEENKUlT_SG_SH_SI_E_clIS7_S7_PlSB_EESF_SV_SG_SH_SI_EUlSV_E0_NS1_11comp_targetILNS1_3genE4ELNS1_11target_archE910ELNS1_3gpuE8ELNS1_3repE0EEENS1_38merge_mergepath_config_static_selectorELNS0_4arch9wavefront6targetE1EEEvSH_
; %bb.0:
	s_load_dwordx2 s[22:23], s[4:5], 0x40
	s_load_dword s2, s[4:5], 0x30
	s_add_u32 s0, s4, 64
	s_addc_u32 s1, s5, 0
	s_waitcnt lgkmcnt(0)
	s_mul_i32 s3, s23, s8
	s_add_i32 s3, s3, s7
	s_mul_i32 s3, s3, s22
	s_add_i32 s20, s3, s6
	s_cmp_ge_u32 s20, s2
	s_cbranch_scc1 .LBB1287_53
; %bb.1:
	s_load_dwordx8 s[8:15], s[4:5], 0x10
	s_load_dwordx2 s[26:27], s[4:5], 0x8
	s_load_dwordx2 s[2:3], s[4:5], 0x38
	s_mov_b32 s21, 0
	v_mov_b32_e32 v3, 0
	s_waitcnt lgkmcnt(0)
	s_lshr_b32 s7, s14, 10
	s_cmp_lg_u32 s20, s7
	s_cselect_b64 s[18:19], -1, 0
	s_lshl_b64 s[4:5], s[20:21], 2
	s_add_u32 s2, s2, s4
	s_addc_u32 s3, s3, s5
	s_lshr_b32 s4, s15, 9
	s_and_b32 s4, s4, 0x7ffffe
	s_load_dwordx2 s[2:3], s[2:3], 0x0
	s_sub_i32 s5, 0, s4
	s_and_b32 s4, s20, s5
	s_lshl_b32 s17, s4, 10
	s_lshl_b32 s16, s20, 10
	;; [unrolled: 1-line block ×3, first 2 shown]
	s_sub_i32 s23, s16, s17
	s_add_i32 s24, s4, s15
	s_add_i32 s23, s24, s23
	s_waitcnt lgkmcnt(0)
	s_sub_i32 s4, s23, s2
	s_sub_i32 s23, s23, s3
	;; [unrolled: 1-line block ×3, first 2 shown]
	s_min_u32 s4, s14, s4
	s_addk_i32 s23, 0x400
	s_or_b32 s5, s20, s5
	s_min_u32 s24, s14, s17
	s_add_i32 s17, s17, s15
	s_cmp_eq_u32 s5, -1
	s_cselect_b32 s3, s24, s3
	s_cselect_b32 s5, s17, s23
	s_sub_i32 s15, s3, s2
	s_mov_b32 s3, s21
	s_min_u32 s17, s5, s14
	s_lshl_b64 s[24:25], s[2:3], 1
	s_add_u32 s24, s26, s24
	s_mov_b32 s5, s21
	s_addc_u32 s25, s27, s25
	s_lshl_b64 s[28:29], s[4:5], 1
	s_add_u32 s21, s26, s28
	s_addc_u32 s23, s27, s29
	s_cmp_lt_u32 s6, s22
	s_cselect_b32 s6, 12, 18
	global_load_dword v1, v3, s[0:1] offset:14
	s_add_u32 s0, s0, s6
	s_addc_u32 s1, s1, 0
	global_load_ushort v2, v3, s[0:1]
	s_cmp_eq_u32 s20, s7
	s_waitcnt vmcnt(1)
	v_lshrrev_b32_e32 v4, 16, v1
	v_and_b32_e32 v1, 0xffff, v1
	v_mul_lo_u32 v1, v1, v4
	s_waitcnt vmcnt(0)
	v_mul_lo_u32 v17, v1, v2
	v_add_u32_e32 v6, v17, v0
	v_lshlrev_b32_e32 v1, 1, v0
	v_add_u32_e32 v4, v6, v17
	s_cbranch_scc1 .LBB1287_3
; %bb.2:
	v_mov_b32_e32 v2, s25
	v_add_co_u32_e32 v5, vcc, s24, v1
	v_addc_co_u32_e32 v7, vcc, 0, v2, vcc
	v_subrev_u32_e32 v2, s15, v0
	v_lshlrev_b64 v[8:9], 1, v[2:3]
	v_mov_b32_e32 v2, s23
	v_add_co_u32_e32 v8, vcc, s21, v8
	v_addc_co_u32_e32 v2, vcc, v2, v9, vcc
	v_cmp_gt_u32_e32 vcc, s15, v0
	v_cndmask_b32_e32 v9, v2, v7, vcc
	v_cndmask_b32_e32 v8, v8, v5, vcc
	v_mov_b32_e32 v7, v3
	global_load_ushort v10, v[8:9], off
	v_lshlrev_b64 v[8:9], 1, v[6:7]
	v_mov_b32_e32 v2, s25
	v_add_co_u32_e32 v5, vcc, s24, v8
	v_addc_co_u32_e32 v7, vcc, v2, v9, vcc
	v_subrev_u32_e32 v2, s15, v6
	v_lshlrev_b64 v[8:9], 1, v[2:3]
	v_mov_b32_e32 v2, s23
	v_add_co_u32_e32 v8, vcc, s21, v8
	v_addc_co_u32_e32 v2, vcc, v2, v9, vcc
	v_cmp_gt_u32_e32 vcc, s15, v6
	v_cndmask_b32_e32 v9, v2, v7, vcc
	v_cndmask_b32_e32 v8, v8, v5, vcc
	v_mov_b32_e32 v5, v3
	global_load_ushort v7, v[8:9], off
	v_lshlrev_b64 v[8:9], 1, v[4:5]
	v_mov_b32_e32 v2, s25
	v_add_co_u32_e32 v5, vcc, s24, v8
	v_addc_co_u32_e32 v8, vcc, v2, v9, vcc
	v_subrev_u32_e32 v2, s15, v4
	v_lshlrev_b64 v[2:3], 1, v[2:3]
	v_mov_b32_e32 v9, s23
	v_add_co_u32_e32 v2, vcc, s21, v2
	v_addc_co_u32_e32 v3, vcc, v9, v3, vcc
	v_cmp_gt_u32_e32 vcc, s15, v4
	v_cndmask_b32_e32 v3, v3, v8, vcc
	v_cndmask_b32_e32 v2, v2, v5, vcc
	global_load_ushort v3, v[2:3], off
	s_mov_b32 s0, 0x5040100
	v_add_u32_e32 v8, v4, v17
	s_waitcnt vmcnt(1)
	v_perm_b32 v2, v7, v10, s0
	s_mov_b64 s[0:1], -1
	s_sub_i32 s17, s17, s4
	s_cbranch_execz .LBB1287_4
	s_branch .LBB1287_9
.LBB1287_3:
	s_mov_b64 s[0:1], 0
                                        ; implicit-def: $vgpr2_vgpr3
                                        ; implicit-def: $vgpr8
	s_sub_i32 s17, s17, s4
.LBB1287_4:
	s_add_i32 s6, s17, s15
	v_cmp_gt_u32_e32 vcc, s6, v0
                                        ; implicit-def: $vgpr2_vgpr3
	s_and_saveexec_b64 s[0:1], vcc
	s_cbranch_execz .LBB1287_13
; %bb.5:
	v_mov_b32_e32 v2, s25
	v_add_co_u32_e32 v5, vcc, s24, v1
	s_waitcnt vmcnt(0)
	v_mov_b32_e32 v3, 0
	v_addc_co_u32_e32 v7, vcc, 0, v2, vcc
	v_subrev_u32_e32 v2, s15, v0
	v_lshlrev_b64 v[2:3], 1, v[2:3]
	v_mov_b32_e32 v8, s23
	v_add_co_u32_e32 v2, vcc, s21, v2
	v_addc_co_u32_e32 v3, vcc, v8, v3, vcc
	v_cmp_gt_u32_e32 vcc, s15, v0
	v_cndmask_b32_e32 v3, v3, v7, vcc
	v_cndmask_b32_e32 v2, v2, v5, vcc
	global_load_ushort v2, v[2:3], off
	s_or_b64 exec, exec, s[0:1]
	v_cmp_gt_u32_e32 vcc, s6, v6
	s_and_saveexec_b64 s[0:1], vcc
	s_cbranch_execnz .LBB1287_14
.LBB1287_6:
	s_or_b64 exec, exec, s[0:1]
	v_cmp_gt_u32_e32 vcc, s6, v4
	s_and_saveexec_b64 s[0:1], vcc
	s_cbranch_execz .LBB1287_8
.LBB1287_7:
	v_mov_b32_e32 v5, 0
	v_lshlrev_b64 v[8:9], 1, v[4:5]
	v_mov_b32_e32 v7, s25
	v_add_co_u32_e32 v10, vcc, s24, v8
	v_addc_co_u32_e32 v7, vcc, v7, v9, vcc
	v_subrev_u32_e32 v8, s15, v4
	v_mov_b32_e32 v9, v5
	v_lshlrev_b64 v[8:9], 1, v[8:9]
	v_mov_b32_e32 v5, s23
	v_add_co_u32_e32 v8, vcc, s21, v8
	v_addc_co_u32_e32 v5, vcc, v5, v9, vcc
	v_cmp_gt_u32_e32 vcc, s15, v4
	v_cndmask_b32_e32 v9, v5, v7, vcc
	v_cndmask_b32_e32 v8, v8, v10, vcc
	global_load_ushort v5, v[8:9], off
	s_mov_b32 s7, 0xffff
	s_waitcnt vmcnt(0)
	v_bfi_b32 v3, s7, v5, v3
.LBB1287_8:
	s_or_b64 exec, exec, s[0:1]
	v_add_u32_e32 v8, v4, v17
	v_cmp_gt_u32_e64 s[0:1], s6, v8
.LBB1287_9:
	s_and_saveexec_b64 s[6:7], s[0:1]
	s_cbranch_execz .LBB1287_11
; %bb.10:
	v_mov_b32_e32 v9, 0
	v_lshlrev_b64 v[10:11], 1, v[8:9]
	v_mov_b32_e32 v5, s25
	v_add_co_u32_e32 v7, vcc, s24, v10
	v_addc_co_u32_e32 v5, vcc, v5, v11, vcc
	v_cmp_gt_u32_e32 vcc, s15, v8
	v_subrev_u32_e32 v8, s15, v8
	v_lshlrev_b64 v[8:9], 1, v[8:9]
	v_mov_b32_e32 v10, s23
	v_add_co_u32_e64 v8, s[0:1], s21, v8
	v_addc_co_u32_e64 v9, s[0:1], v10, v9, s[0:1]
	v_cndmask_b32_e32 v9, v9, v5, vcc
	v_cndmask_b32_e32 v8, v8, v7, vcc
	global_load_ushort v5, v[8:9], off
	s_mov_b32 s0, 0x5040100
	s_waitcnt vmcnt(0)
	v_perm_b32 v3, v5, v3, s0
.LBB1287_11:
	s_or_b64 exec, exec, s[6:7]
	s_lshl_b64 s[0:1], s[2:3], 3
	s_add_u32 s6, s10, s0
	s_addc_u32 s7, s11, s1
	s_lshl_b64 s[0:1], s[4:5], 3
	s_add_u32 s4, s10, s0
	s_waitcnt vmcnt(0)
	v_lshrrev_b32_e32 v18, 16, v2
	v_lshrrev_b32_e32 v19, 16, v3
	s_addc_u32 s5, s11, s1
	s_andn2_b64 vcc, exec, s[18:19]
	v_lshlrev_b32_e32 v16, 3, v0
	ds_write_b16 v1, v2
	ds_write_b16 v1, v18 offset:512
	ds_write_b16 v1, v3 offset:1024
	;; [unrolled: 1-line block ×3, first 2 shown]
	s_cbranch_vccnz .LBB1287_15
; %bb.12:
	v_mov_b32_e32 v15, 0
	v_mov_b32_e32 v5, s7
	v_add_co_u32_e32 v7, vcc, s6, v16
	v_subrev_u32_e32 v14, s15, v0
	v_addc_co_u32_e32 v5, vcc, 0, v5, vcc
	v_lshlrev_b64 v[8:9], 3, v[14:15]
	v_mov_b32_e32 v10, s5
	v_add_co_u32_e32 v8, vcc, s4, v8
	v_addc_co_u32_e32 v9, vcc, v10, v9, vcc
	v_cmp_gt_u32_e32 vcc, s15, v0
	v_cndmask_b32_e32 v8, v8, v7, vcc
	v_mov_b32_e32 v7, v15
	v_lshlrev_b64 v[10:11], 3, v[6:7]
	v_cndmask_b32_e32 v9, v9, v5, vcc
	v_mov_b32_e32 v5, s7
	v_add_co_u32_e32 v7, vcc, s6, v10
	v_subrev_u32_e32 v14, s15, v6
	v_addc_co_u32_e32 v5, vcc, v5, v11, vcc
	v_lshlrev_b64 v[10:11], 3, v[14:15]
	v_mov_b32_e32 v12, s5
	v_add_co_u32_e32 v10, vcc, s4, v10
	v_addc_co_u32_e32 v11, vcc, v12, v11, vcc
	v_cmp_gt_u32_e32 vcc, s15, v6
	v_cndmask_b32_e32 v11, v11, v5, vcc
	v_mov_b32_e32 v5, v15
	v_lshlrev_b64 v[12:13], 3, v[4:5]
	v_cndmask_b32_e32 v10, v10, v7, vcc
	v_mov_b32_e32 v5, s7
	v_add_co_u32_e32 v7, vcc, s6, v12
	v_subrev_u32_e32 v14, s15, v4
	v_addc_co_u32_e32 v5, vcc, v5, v13, vcc
	v_lshlrev_b64 v[12:13], 3, v[14:15]
	v_mov_b32_e32 v14, s5
	v_add_co_u32_e32 v12, vcc, s4, v12
	v_addc_co_u32_e32 v13, vcc, v14, v13, vcc
	v_add_u32_e32 v14, v4, v17
	v_cmp_gt_u32_e32 vcc, s15, v4
	v_lshlrev_b64 v[20:21], 3, v[14:15]
	v_cndmask_b32_e32 v13, v13, v5, vcc
	v_cndmask_b32_e32 v12, v12, v7, vcc
	v_mov_b32_e32 v5, s7
	v_add_co_u32_e32 v7, vcc, s6, v20
	v_addc_co_u32_e32 v5, vcc, v5, v21, vcc
	v_cmp_gt_u32_e32 vcc, s15, v14
	v_subrev_u32_e32 v14, s15, v14
	v_lshlrev_b64 v[14:15], 3, v[14:15]
	v_mov_b32_e32 v20, s5
	v_add_co_u32_e64 v14, s[0:1], s4, v14
	v_addc_co_u32_e64 v15, s[0:1], v20, v15, s[0:1]
	v_cndmask_b32_e32 v15, v15, v5, vcc
	v_cndmask_b32_e32 v14, v14, v7, vcc
	global_load_dwordx2 v[8:9], v[8:9], off
	s_add_i32 s20, s17, s15
	global_load_dwordx2 v[10:11], v[10:11], off
	s_nop 0
	global_load_dwordx2 v[12:13], v[12:13], off
	s_nop 0
	global_load_dwordx2 v[14:15], v[14:15], off
	s_cbranch_execz .LBB1287_16
	s_branch .LBB1287_25
.LBB1287_13:
	s_or_b64 exec, exec, s[0:1]
	v_cmp_gt_u32_e32 vcc, s6, v6
	s_and_saveexec_b64 s[0:1], vcc
	s_cbranch_execz .LBB1287_6
.LBB1287_14:
	v_mov_b32_e32 v7, 0
	v_lshlrev_b64 v[8:9], 1, v[6:7]
	v_mov_b32_e32 v5, s25
	v_add_co_u32_e32 v10, vcc, s24, v8
	v_addc_co_u32_e32 v5, vcc, v5, v9, vcc
	v_subrev_u32_e32 v8, s15, v6
	v_mov_b32_e32 v9, v7
	v_lshlrev_b64 v[8:9], 1, v[8:9]
	v_mov_b32_e32 v7, s23
	v_add_co_u32_e32 v8, vcc, s21, v8
	v_addc_co_u32_e32 v7, vcc, v7, v9, vcc
	v_cmp_gt_u32_e32 vcc, s15, v6
	v_cndmask_b32_e32 v9, v7, v5, vcc
	v_cndmask_b32_e32 v8, v8, v10, vcc
	global_load_ushort v5, v[8:9], off
	s_mov_b32 s7, 0x5040100
	s_waitcnt vmcnt(0)
	v_perm_b32 v2, v5, v2, s7
	s_or_b64 exec, exec, s[0:1]
	v_cmp_gt_u32_e32 vcc, s6, v4
	s_and_saveexec_b64 s[0:1], vcc
	s_cbranch_execnz .LBB1287_7
	s_branch .LBB1287_8
.LBB1287_15:
                                        ; implicit-def: $vgpr8_vgpr9
                                        ; implicit-def: $vgpr10_vgpr11
                                        ; implicit-def: $vgpr12_vgpr13
                                        ; implicit-def: $vgpr14_vgpr15
                                        ; implicit-def: $sgpr20
.LBB1287_16:
	s_add_i32 s20, s17, s15
	v_cmp_gt_u32_e32 vcc, s20, v0
                                        ; implicit-def: $vgpr8_vgpr9
	s_and_saveexec_b64 s[0:1], vcc
	s_cbranch_execz .LBB1287_18
; %bb.17:
	s_waitcnt vmcnt(3)
	v_mov_b32_e32 v9, 0
	v_mov_b32_e32 v5, s7
	v_add_co_u32_e32 v7, vcc, s6, v16
	v_subrev_u32_e32 v8, s15, v0
	v_addc_co_u32_e32 v5, vcc, 0, v5, vcc
	v_lshlrev_b64 v[8:9], 3, v[8:9]
	s_waitcnt vmcnt(2)
	v_mov_b32_e32 v10, s5
	v_add_co_u32_e32 v8, vcc, s4, v8
	v_addc_co_u32_e32 v9, vcc, v10, v9, vcc
	v_cmp_gt_u32_e32 vcc, s15, v0
	v_cndmask_b32_e32 v9, v9, v5, vcc
	v_cndmask_b32_e32 v8, v8, v7, vcc
	global_load_dwordx2 v[8:9], v[8:9], off
.LBB1287_18:
	s_or_b64 exec, exec, s[0:1]
	v_cmp_gt_u32_e32 vcc, s20, v6
                                        ; implicit-def: $vgpr10_vgpr11
	s_and_saveexec_b64 s[2:3], vcc
	s_cbranch_execz .LBB1287_20
; %bb.19:
	v_mov_b32_e32 v7, 0
	s_waitcnt vmcnt(2)
	v_lshlrev_b64 v[10:11], 3, v[6:7]
	v_mov_b32_e32 v5, s7
	v_add_co_u32_e32 v10, vcc, s6, v10
	v_addc_co_u32_e32 v5, vcc, v5, v11, vcc
	v_cmp_gt_u32_e32 vcc, s15, v6
	v_subrev_u32_e32 v6, s15, v6
	v_lshlrev_b64 v[6:7], 3, v[6:7]
	v_mov_b32_e32 v11, s5
	v_add_co_u32_e64 v6, s[0:1], s4, v6
	v_addc_co_u32_e64 v7, s[0:1], v11, v7, s[0:1]
	v_cndmask_b32_e32 v7, v7, v5, vcc
	v_cndmask_b32_e32 v6, v6, v10, vcc
	global_load_dwordx2 v[10:11], v[6:7], off
.LBB1287_20:
	s_or_b64 exec, exec, s[2:3]
	v_cmp_gt_u32_e32 vcc, s20, v4
                                        ; implicit-def: $vgpr12_vgpr13
	s_and_saveexec_b64 s[0:1], vcc
	s_cbranch_execz .LBB1287_22
; %bb.21:
	v_mov_b32_e32 v5, 0
	v_lshlrev_b64 v[6:7], 3, v[4:5]
	s_waitcnt vmcnt(1)
	v_mov_b32_e32 v12, s7
	v_add_co_u32_e32 v13, vcc, s6, v6
	v_addc_co_u32_e32 v12, vcc, v12, v7, vcc
	v_subrev_u32_e32 v6, s15, v4
	v_mov_b32_e32 v7, v5
	v_lshlrev_b64 v[6:7], 3, v[6:7]
	v_mov_b32_e32 v5, s5
	v_add_co_u32_e32 v6, vcc, s4, v6
	v_addc_co_u32_e32 v5, vcc, v5, v7, vcc
	v_cmp_gt_u32_e32 vcc, s15, v4
	v_cndmask_b32_e32 v7, v5, v12, vcc
	v_cndmask_b32_e32 v6, v6, v13, vcc
	global_load_dwordx2 v[12:13], v[6:7], off
.LBB1287_22:
	s_or_b64 exec, exec, s[0:1]
	v_add_u32_e32 v4, v4, v17
	v_cmp_gt_u32_e32 vcc, s20, v4
                                        ; implicit-def: $vgpr14_vgpr15
	s_and_saveexec_b64 s[2:3], vcc
	s_cbranch_execz .LBB1287_24
; %bb.23:
	v_mov_b32_e32 v5, 0
	v_lshlrev_b64 v[6:7], 3, v[4:5]
	s_waitcnt vmcnt(0)
	v_mov_b32_e32 v14, s7
	v_add_co_u32_e32 v6, vcc, s6, v6
	v_addc_co_u32_e32 v7, vcc, v14, v7, vcc
	v_cmp_gt_u32_e32 vcc, s15, v4
	v_subrev_u32_e32 v4, s15, v4
	v_lshlrev_b64 v[4:5], 3, v[4:5]
	v_mov_b32_e32 v14, s5
	v_add_co_u32_e64 v4, s[0:1], s4, v4
	v_addc_co_u32_e64 v5, s[0:1], v14, v5, s[0:1]
	v_cndmask_b32_e32 v5, v5, v7, vcc
	v_cndmask_b32_e32 v4, v4, v6, vcc
	global_load_dwordx2 v[14:15], v[4:5], off
.LBB1287_24:
	s_or_b64 exec, exec, s[2:3]
.LBB1287_25:
	v_lshlrev_b32_e32 v17, 2, v0
	v_min_u32_e32 v5, s20, v17
	v_sub_u32_e64 v4, v5, s17 clamp
	v_min_u32_e32 v6, s15, v5
	v_cmp_lt_u32_e32 vcc, v4, v6
	s_waitcnt lgkmcnt(0)
	s_barrier
	s_and_saveexec_b64 s[0:1], vcc
	s_cbranch_execz .LBB1287_29
; %bb.26:
	v_lshlrev_b32_e32 v7, 1, v5
	v_lshl_add_u32 v7, s15, 1, v7
	s_mov_b64 s[2:3], 0
.LBB1287_27:                            ; =>This Inner Loop Header: Depth=1
	v_add_u32_e32 v20, v6, v4
	v_lshrrev_b32_e32 v21, 1, v20
	v_not_b32_e32 v22, v21
	v_and_b32_e32 v20, -2, v20
	v_lshl_add_u32 v22, v22, 1, v7
	ds_read_u16 v20, v20
	ds_read_u16 v22, v22
	v_add_u32_e32 v23, 1, v21
	s_waitcnt lgkmcnt(0)
	v_cmp_gt_i16_e32 vcc, v20, v22
	v_cndmask_b32_e32 v6, v6, v21, vcc
	v_cndmask_b32_e32 v4, v23, v4, vcc
	v_cmp_ge_u32_e32 vcc, v4, v6
	s_or_b64 s[2:3], vcc, s[2:3]
	s_andn2_b64 exec, exec, s[2:3]
	s_cbranch_execnz .LBB1287_27
; %bb.28:
	s_or_b64 exec, exec, s[2:3]
.LBB1287_29:
	s_or_b64 exec, exec, s[0:1]
	v_sub_u32_e32 v5, v5, v4
	v_add_u32_e32 v20, s15, v5
	v_cmp_ge_u32_e32 vcc, s15, v4
	v_cmp_ge_u32_e64 s[0:1], s20, v20
	s_or_b64 s[0:1], vcc, s[0:1]
                                        ; implicit-def: $vgpr21
                                        ; implicit-def: $vgpr7
                                        ; implicit-def: $vgpr6
                                        ; implicit-def: $vgpr5
	s_and_saveexec_b64 s[10:11], s[0:1]
	s_cbranch_execz .LBB1287_35
; %bb.30:
	v_cmp_gt_u32_e32 vcc, s15, v4
                                        ; implicit-def: $vgpr2
	s_and_saveexec_b64 s[0:1], vcc
	s_cbranch_execz .LBB1287_32
; %bb.31:
	v_lshlrev_b32_e32 v2, 1, v4
	ds_read_u16 v2, v2
.LBB1287_32:
	s_or_b64 exec, exec, s[0:1]
	v_cmp_le_u32_e64 s[0:1], s20, v20
	v_cmp_gt_u32_e64 s[2:3], s20, v20
                                        ; implicit-def: $vgpr3
	s_and_saveexec_b64 s[4:5], s[2:3]
	s_cbranch_execz .LBB1287_34
; %bb.33:
	v_lshlrev_b32_e32 v3, 1, v20
	ds_read_u16 v3, v3
.LBB1287_34:
	s_or_b64 exec, exec, s[4:5]
	s_waitcnt lgkmcnt(0)
	v_cmp_le_i16_e64 s[2:3], v2, v3
	s_and_b64 s[2:3], vcc, s[2:3]
	s_or_b64 vcc, s[0:1], s[2:3]
	v_mov_b32_e32 v18, s20
	v_mov_b32_e32 v19, s15
	v_cndmask_b32_e32 v5, v20, v4, vcc
	v_cndmask_b32_e32 v6, v18, v19, vcc
	v_add_u32_e32 v7, 1, v5
	v_add_u32_e32 v6, -1, v6
	v_min_u32_e32 v6, v7, v6
	v_lshlrev_b32_e32 v6, 1, v6
	ds_read_u16 v6, v6
	v_cndmask_b32_e32 v4, v4, v7, vcc
	v_cndmask_b32_e32 v20, v7, v20, vcc
	v_cmp_gt_u32_e64 s[2:3], s15, v4
	v_cmp_le_u32_e64 s[0:1], s20, v20
	s_waitcnt lgkmcnt(0)
	v_cndmask_b32_e32 v21, v6, v3, vcc
	v_cndmask_b32_e32 v22, v2, v6, vcc
	v_cmp_le_i16_e64 s[4:5], v22, v21
	s_and_b64 s[2:3], s[2:3], s[4:5]
	s_or_b64 s[0:1], s[0:1], s[2:3]
	v_cndmask_b32_e64 v6, v20, v4, s[0:1]
	v_cndmask_b32_e64 v7, v18, v19, s[0:1]
	v_add_u32_e32 v23, 1, v6
	v_add_u32_e32 v7, -1, v7
	v_min_u32_e32 v7, v23, v7
	v_lshlrev_b32_e32 v7, 1, v7
	ds_read_u16 v7, v7
	v_cndmask_b32_e64 v4, v4, v23, s[0:1]
	v_cndmask_b32_e64 v20, v23, v20, s[0:1]
	v_cmp_gt_u32_e64 s[4:5], s15, v4
	v_cmp_le_u32_e64 s[2:3], s20, v20
	s_waitcnt lgkmcnt(0)
	v_cndmask_b32_e64 v24, v7, v21, s[0:1]
	v_cndmask_b32_e64 v25, v22, v7, s[0:1]
	v_cmp_le_i16_e64 s[6:7], v25, v24
	s_and_b64 s[4:5], s[4:5], s[6:7]
	s_or_b64 s[2:3], s[2:3], s[4:5]
	v_cndmask_b32_e64 v7, v20, v4, s[2:3]
	v_cndmask_b32_e64 v18, v18, v19, s[2:3]
	v_add_u32_e32 v19, 1, v7
	v_add_u32_e32 v18, -1, v18
	v_min_u32_e32 v18, v19, v18
	v_lshlrev_b32_e32 v18, 1, v18
	ds_read_u16 v23, v18
	v_cndmask_b32_e64 v18, v21, v22, s[0:1]
	v_cndmask_b32_e64 v4, v4, v19, s[2:3]
	v_cndmask_b32_e32 v2, v3, v2, vcc
	v_cndmask_b32_e64 v3, v24, v25, s[2:3]
	s_waitcnt lgkmcnt(0)
	v_cndmask_b32_e64 v22, v23, v24, s[2:3]
	v_cndmask_b32_e64 v23, v25, v23, s[2:3]
	;; [unrolled: 1-line block ×3, first 2 shown]
	v_cmp_gt_u32_e64 s[0:1], s15, v4
	v_cmp_le_i16_e64 s[2:3], v23, v22
	v_cmp_le_u32_e32 vcc, s20, v20
	s_and_b64 s[0:1], s[0:1], s[2:3]
	s_or_b64 vcc, vcc, s[0:1]
	v_cndmask_b32_e32 v21, v20, v4, vcc
	v_cndmask_b32_e32 v19, v22, v23, vcc
.LBB1287_35:
	s_or_b64 exec, exec, s[10:11]
	v_mad_u32_u24 v20, v0, 6, v1
	s_barrier
	s_waitcnt vmcnt(0)
	ds_write2st64_b64 v20, v[8:9], v[10:11] offset1:4
	ds_write2st64_b64 v20, v[12:13], v[14:15] offset0:8 offset1:12
	v_lshrrev_b32_e32 v12, 2, v0
	v_and_b32_e32 v12, 60, v12
	s_mov_b32 s2, 0x5040100
	v_lshlrev_b32_e32 v4, 3, v5
	v_lshlrev_b32_e32 v5, 3, v6
	;; [unrolled: 1-line block ×4, first 2 shown]
	v_add_u32_e32 v12, v20, v12
	v_perm_b32 v3, v19, v3, s2
	v_perm_b32 v2, v18, v2, s2
	s_waitcnt lgkmcnt(0)
	s_barrier
	ds_read_b64 v[8:9], v4
	ds_read_b64 v[10:11], v5
	;; [unrolled: 1-line block ×4, first 2 shown]
	s_waitcnt lgkmcnt(0)
	s_barrier
	s_barrier
	ds_write2_b32 v12, v2, v3 offset1:1
	v_lshrrev_b32_e32 v2, 4, v0
	v_and_b32_e32 v2, 12, v2
	v_or_b32_e32 v23, 0x100, v0
	v_add_u32_e32 v24, v1, v2
	v_lshrrev_b32_e32 v2, 4, v23
	v_and_b32_e32 v2, 28, v2
	v_or_b32_e32 v22, 0x200, v0
	s_mov_b32 s17, 0
	v_add_u32_e32 v25, v1, v2
	v_lshrrev_b32_e32 v2, 4, v22
	s_lshl_b64 s[0:1], s[16:17], 1
	v_and_b32_e32 v2, 44, v2
	v_or_b32_e32 v21, 0x300, v0
	s_add_u32 s0, s8, s0
	v_add_u32_e32 v26, v1, v2
	v_lshrrev_b32_e32 v2, 4, v21
	s_addc_u32 s1, s9, s1
	v_and_b32_e32 v2, 60, v2
	v_add_u32_e32 v27, v1, v2
	v_mov_b32_e32 v3, s1
	v_add_co_u32_e32 v2, vcc, s0, v1
	v_lshrrev_b32_e32 v12, 5, v23
	v_lshrrev_b32_e32 v13, 5, v22
	;; [unrolled: 1-line block ×3, first 2 shown]
	v_addc_co_u32_e32 v3, vcc, 0, v3, vcc
	v_lshrrev_b32_e32 v15, 3, v0
	v_lshrrev_b32_e32 v14, 5, v0
	s_and_b64 vcc, exec, s[18:19]
	v_lshlrev_b32_e32 v19, 3, v17
	v_lshl_add_u32 v1, v12, 3, v20
	v_lshl_add_u32 v17, v13, 3, v20
	;; [unrolled: 1-line block ×3, first 2 shown]
	s_waitcnt lgkmcnt(0)
	s_cbranch_vccz .LBB1287_37
; %bb.36:
	s_barrier
	ds_read_u16 v12, v24
	ds_read_u16 v13, v25 offset:512
	ds_read_u16 v28, v26 offset:1024
	;; [unrolled: 1-line block ×3, first 2 shown]
	s_lshl_b64 s[0:1], s[16:17], 3
	s_add_u32 s0, s12, s0
	s_waitcnt lgkmcnt(3)
	global_store_short v[2:3], v12, off
	s_waitcnt lgkmcnt(2)
	global_store_short v[2:3], v13, off offset:512
	s_waitcnt lgkmcnt(1)
	global_store_short v[2:3], v28, off offset:1024
	s_waitcnt lgkmcnt(0)
	global_store_short v[2:3], v29, off offset:1536
	v_lshl_add_u32 v12, v15, 3, v19
	s_barrier
	ds_write2_b64 v12, v[8:9], v[10:11] offset1:1
	ds_write2_b64 v12, v[4:5], v[6:7] offset0:2 offset1:3
	v_lshl_add_u32 v12, v14, 3, v20
	s_addc_u32 s1, s13, s1
	s_waitcnt lgkmcnt(0)
	s_barrier
	ds_read_b64 v[28:29], v12
	ds_read_b64 v[30:31], v1 offset:2048
	ds_read_b64 v[32:33], v17 offset:4096
	;; [unrolled: 1-line block ×3, first 2 shown]
	v_mov_b32_e32 v34, s1
	v_add_co_u32_e32 v35, vcc, s0, v16
	v_addc_co_u32_e32 v34, vcc, 0, v34, vcc
	s_waitcnt lgkmcnt(3)
	global_store_dwordx2 v16, v[28:29], s[0:1]
	s_waitcnt lgkmcnt(2)
	global_store_dwordx2 v16, v[30:31], s[0:1] offset:2048
	v_add_co_u32_e32 v28, vcc, 0x1000, v35
	v_addc_co_u32_e32 v29, vcc, 0, v34, vcc
	s_waitcnt lgkmcnt(1)
	global_store_dwordx2 v[28:29], v[32:33], off
	s_mov_b64 s[6:7], -1
	s_cbranch_execz .LBB1287_38
	s_branch .LBB1287_51
.LBB1287_37:
	s_mov_b64 s[6:7], 0
                                        ; implicit-def: $vgpr12_vgpr13
.LBB1287_38:
	s_barrier
	s_waitcnt lgkmcnt(0)
	ds_read_u16 v25, v25 offset:512
	ds_read_u16 v13, v26 offset:1024
	;; [unrolled: 1-line block ×3, first 2 shown]
	s_sub_i32 s6, s14, s16
	v_cmp_gt_u32_e32 vcc, s6, v0
	s_and_saveexec_b64 s[0:1], vcc
	s_cbranch_execz .LBB1287_42
; %bb.39:
	ds_read_u16 v0, v24
	s_waitcnt lgkmcnt(0)
	global_store_short v[2:3], v0, off
	s_or_b64 exec, exec, s[0:1]
	v_cmp_gt_u32_e64 s[0:1], s6, v23
	s_and_saveexec_b64 s[2:3], s[0:1]
	s_cbranch_execnz .LBB1287_43
.LBB1287_40:
	s_or_b64 exec, exec, s[2:3]
	v_cmp_gt_u32_e64 s[2:3], s6, v22
	s_and_saveexec_b64 s[4:5], s[2:3]
	s_cbranch_execz .LBB1287_44
.LBB1287_41:
	s_waitcnt lgkmcnt(1)
	global_store_short v[2:3], v13, off offset:1024
	s_or_b64 exec, exec, s[4:5]
	v_cmp_gt_u32_e64 s[6:7], s6, v21
	s_and_saveexec_b64 s[4:5], s[6:7]
	s_cbranch_execnz .LBB1287_45
	s_branch .LBB1287_46
.LBB1287_42:
	s_or_b64 exec, exec, s[0:1]
	v_cmp_gt_u32_e64 s[0:1], s6, v23
	s_and_saveexec_b64 s[2:3], s[0:1]
	s_cbranch_execz .LBB1287_40
.LBB1287_43:
	s_waitcnt lgkmcnt(2)
	global_store_short v[2:3], v25, off offset:512
	s_or_b64 exec, exec, s[2:3]
	v_cmp_gt_u32_e64 s[2:3], s6, v22
	s_and_saveexec_b64 s[4:5], s[2:3]
	s_cbranch_execnz .LBB1287_41
.LBB1287_44:
	s_or_b64 exec, exec, s[4:5]
	v_cmp_gt_u32_e64 s[6:7], s6, v21
	s_and_saveexec_b64 s[4:5], s[6:7]
	s_cbranch_execz .LBB1287_46
.LBB1287_45:
	s_waitcnt lgkmcnt(0)
	global_store_short v[2:3], v12, off offset:1536
.LBB1287_46:
	s_or_b64 exec, exec, s[4:5]
	v_lshl_add_u32 v0, v15, 3, v19
	s_waitcnt lgkmcnt(0)
	s_barrier
	ds_write2_b64 v0, v[8:9], v[10:11] offset1:1
	ds_write2_b64 v0, v[4:5], v[6:7] offset0:2 offset1:3
	s_waitcnt lgkmcnt(0)
	s_barrier
	ds_read_b64 v[4:5], v1 offset:2048
	ds_read_b64 v[0:1], v17 offset:4096
	;; [unrolled: 1-line block ×3, first 2 shown]
	s_lshl_b64 s[4:5], s[16:17], 3
	s_add_u32 s4, s12, s4
	s_addc_u32 s5, s13, s5
	v_mov_b32_e32 v3, s5
	v_add_co_u32_e64 v2, s[4:5], s4, v16
	v_addc_co_u32_e64 v3, s[4:5], 0, v3, s[4:5]
	s_and_saveexec_b64 s[4:5], vcc
	s_cbranch_execz .LBB1287_54
; %bb.47:
	v_lshl_add_u32 v6, v14, 3, v20
	ds_read_b64 v[6:7], v6
	s_waitcnt lgkmcnt(0)
	global_store_dwordx2 v[2:3], v[6:7], off
	s_or_b64 exec, exec, s[4:5]
	s_and_saveexec_b64 s[4:5], s[0:1]
	s_cbranch_execnz .LBB1287_55
.LBB1287_48:
	s_or_b64 exec, exec, s[4:5]
	s_and_saveexec_b64 s[0:1], s[2:3]
	s_cbranch_execz .LBB1287_50
.LBB1287_49:
	v_add_co_u32_e32 v2, vcc, 0x1000, v2
	v_addc_co_u32_e32 v3, vcc, 0, v3, vcc
	s_waitcnt lgkmcnt(1)
	global_store_dwordx2 v[2:3], v[0:1], off
.LBB1287_50:
	s_or_b64 exec, exec, s[0:1]
.LBB1287_51:
	s_and_saveexec_b64 s[0:1], s[6:7]
	s_cbranch_execz .LBB1287_53
; %bb.52:
	s_lshl_b64 s[0:1], s[16:17], 3
	s_add_u32 s0, s12, s0
	s_addc_u32 s1, s13, s1
	s_waitcnt lgkmcnt(1)
	v_mov_b32_e32 v0, s1
	v_add_co_u32_e32 v1, vcc, s0, v16
	v_addc_co_u32_e32 v2, vcc, 0, v0, vcc
	v_add_co_u32_e32 v0, vcc, 0x1000, v1
	v_addc_co_u32_e32 v1, vcc, 0, v2, vcc
	s_waitcnt lgkmcnt(0)
	global_store_dwordx2 v[0:1], v[12:13], off offset:2048
.LBB1287_53:
	s_endpgm
.LBB1287_54:
	s_or_b64 exec, exec, s[4:5]
	s_and_saveexec_b64 s[4:5], s[0:1]
	s_cbranch_execz .LBB1287_48
.LBB1287_55:
	s_waitcnt lgkmcnt(2)
	global_store_dwordx2 v[2:3], v[4:5], off offset:2048
	s_or_b64 exec, exec, s[4:5]
	s_and_saveexec_b64 s[0:1], s[2:3]
	s_cbranch_execnz .LBB1287_49
	s_branch .LBB1287_50
	.section	.rodata,"a",@progbits
	.p2align	6, 0x0
	.amdhsa_kernel _ZN7rocprim17ROCPRIM_400000_NS6detail17trampoline_kernelINS0_14default_configENS1_38merge_sort_block_merge_config_selectorIslEEZZNS1_27merge_sort_block_merge_implIS3_PsN6thrust23THRUST_200600_302600_NS10device_ptrIlEEjNS1_19radix_merge_compareILb0ELb0EsNS0_19identity_decomposerEEEEE10hipError_tT0_T1_T2_jT3_P12ihipStream_tbPNSt15iterator_traitsISG_E10value_typeEPNSM_ISH_E10value_typeEPSI_NS1_7vsmem_tEENKUlT_SG_SH_SI_E_clIS7_S7_PlSB_EESF_SV_SG_SH_SI_EUlSV_E0_NS1_11comp_targetILNS1_3genE4ELNS1_11target_archE910ELNS1_3gpuE8ELNS1_3repE0EEENS1_38merge_mergepath_config_static_selectorELNS0_4arch9wavefront6targetE1EEEvSH_
		.amdhsa_group_segment_fixed_size 8448
		.amdhsa_private_segment_fixed_size 0
		.amdhsa_kernarg_size 320
		.amdhsa_user_sgpr_count 6
		.amdhsa_user_sgpr_private_segment_buffer 1
		.amdhsa_user_sgpr_dispatch_ptr 0
		.amdhsa_user_sgpr_queue_ptr 0
		.amdhsa_user_sgpr_kernarg_segment_ptr 1
		.amdhsa_user_sgpr_dispatch_id 0
		.amdhsa_user_sgpr_flat_scratch_init 0
		.amdhsa_user_sgpr_kernarg_preload_length 0
		.amdhsa_user_sgpr_kernarg_preload_offset 0
		.amdhsa_user_sgpr_private_segment_size 0
		.amdhsa_uses_dynamic_stack 0
		.amdhsa_system_sgpr_private_segment_wavefront_offset 0
		.amdhsa_system_sgpr_workgroup_id_x 1
		.amdhsa_system_sgpr_workgroup_id_y 1
		.amdhsa_system_sgpr_workgroup_id_z 1
		.amdhsa_system_sgpr_workgroup_info 0
		.amdhsa_system_vgpr_workitem_id 0
		.amdhsa_next_free_vgpr 36
		.amdhsa_next_free_sgpr 30
		.amdhsa_accum_offset 36
		.amdhsa_reserve_vcc 1
		.amdhsa_reserve_flat_scratch 0
		.amdhsa_float_round_mode_32 0
		.amdhsa_float_round_mode_16_64 0
		.amdhsa_float_denorm_mode_32 3
		.amdhsa_float_denorm_mode_16_64 3
		.amdhsa_dx10_clamp 1
		.amdhsa_ieee_mode 1
		.amdhsa_fp16_overflow 0
		.amdhsa_tg_split 0
		.amdhsa_exception_fp_ieee_invalid_op 0
		.amdhsa_exception_fp_denorm_src 0
		.amdhsa_exception_fp_ieee_div_zero 0
		.amdhsa_exception_fp_ieee_overflow 0
		.amdhsa_exception_fp_ieee_underflow 0
		.amdhsa_exception_fp_ieee_inexact 0
		.amdhsa_exception_int_div_zero 0
	.end_amdhsa_kernel
	.section	.text._ZN7rocprim17ROCPRIM_400000_NS6detail17trampoline_kernelINS0_14default_configENS1_38merge_sort_block_merge_config_selectorIslEEZZNS1_27merge_sort_block_merge_implIS3_PsN6thrust23THRUST_200600_302600_NS10device_ptrIlEEjNS1_19radix_merge_compareILb0ELb0EsNS0_19identity_decomposerEEEEE10hipError_tT0_T1_T2_jT3_P12ihipStream_tbPNSt15iterator_traitsISG_E10value_typeEPNSM_ISH_E10value_typeEPSI_NS1_7vsmem_tEENKUlT_SG_SH_SI_E_clIS7_S7_PlSB_EESF_SV_SG_SH_SI_EUlSV_E0_NS1_11comp_targetILNS1_3genE4ELNS1_11target_archE910ELNS1_3gpuE8ELNS1_3repE0EEENS1_38merge_mergepath_config_static_selectorELNS0_4arch9wavefront6targetE1EEEvSH_,"axG",@progbits,_ZN7rocprim17ROCPRIM_400000_NS6detail17trampoline_kernelINS0_14default_configENS1_38merge_sort_block_merge_config_selectorIslEEZZNS1_27merge_sort_block_merge_implIS3_PsN6thrust23THRUST_200600_302600_NS10device_ptrIlEEjNS1_19radix_merge_compareILb0ELb0EsNS0_19identity_decomposerEEEEE10hipError_tT0_T1_T2_jT3_P12ihipStream_tbPNSt15iterator_traitsISG_E10value_typeEPNSM_ISH_E10value_typeEPSI_NS1_7vsmem_tEENKUlT_SG_SH_SI_E_clIS7_S7_PlSB_EESF_SV_SG_SH_SI_EUlSV_E0_NS1_11comp_targetILNS1_3genE4ELNS1_11target_archE910ELNS1_3gpuE8ELNS1_3repE0EEENS1_38merge_mergepath_config_static_selectorELNS0_4arch9wavefront6targetE1EEEvSH_,comdat
.Lfunc_end1287:
	.size	_ZN7rocprim17ROCPRIM_400000_NS6detail17trampoline_kernelINS0_14default_configENS1_38merge_sort_block_merge_config_selectorIslEEZZNS1_27merge_sort_block_merge_implIS3_PsN6thrust23THRUST_200600_302600_NS10device_ptrIlEEjNS1_19radix_merge_compareILb0ELb0EsNS0_19identity_decomposerEEEEE10hipError_tT0_T1_T2_jT3_P12ihipStream_tbPNSt15iterator_traitsISG_E10value_typeEPNSM_ISH_E10value_typeEPSI_NS1_7vsmem_tEENKUlT_SG_SH_SI_E_clIS7_S7_PlSB_EESF_SV_SG_SH_SI_EUlSV_E0_NS1_11comp_targetILNS1_3genE4ELNS1_11target_archE910ELNS1_3gpuE8ELNS1_3repE0EEENS1_38merge_mergepath_config_static_selectorELNS0_4arch9wavefront6targetE1EEEvSH_, .Lfunc_end1287-_ZN7rocprim17ROCPRIM_400000_NS6detail17trampoline_kernelINS0_14default_configENS1_38merge_sort_block_merge_config_selectorIslEEZZNS1_27merge_sort_block_merge_implIS3_PsN6thrust23THRUST_200600_302600_NS10device_ptrIlEEjNS1_19radix_merge_compareILb0ELb0EsNS0_19identity_decomposerEEEEE10hipError_tT0_T1_T2_jT3_P12ihipStream_tbPNSt15iterator_traitsISG_E10value_typeEPNSM_ISH_E10value_typeEPSI_NS1_7vsmem_tEENKUlT_SG_SH_SI_E_clIS7_S7_PlSB_EESF_SV_SG_SH_SI_EUlSV_E0_NS1_11comp_targetILNS1_3genE4ELNS1_11target_archE910ELNS1_3gpuE8ELNS1_3repE0EEENS1_38merge_mergepath_config_static_selectorELNS0_4arch9wavefront6targetE1EEEvSH_
                                        ; -- End function
	.section	.AMDGPU.csdata,"",@progbits
; Kernel info:
; codeLenInByte = 3452
; NumSgprs: 34
; NumVgprs: 36
; NumAgprs: 0
; TotalNumVgprs: 36
; ScratchSize: 0
; MemoryBound: 0
; FloatMode: 240
; IeeeMode: 1
; LDSByteSize: 8448 bytes/workgroup (compile time only)
; SGPRBlocks: 4
; VGPRBlocks: 4
; NumSGPRsForWavesPerEU: 34
; NumVGPRsForWavesPerEU: 36
; AccumOffset: 36
; Occupancy: 7
; WaveLimiterHint : 1
; COMPUTE_PGM_RSRC2:SCRATCH_EN: 0
; COMPUTE_PGM_RSRC2:USER_SGPR: 6
; COMPUTE_PGM_RSRC2:TRAP_HANDLER: 0
; COMPUTE_PGM_RSRC2:TGID_X_EN: 1
; COMPUTE_PGM_RSRC2:TGID_Y_EN: 1
; COMPUTE_PGM_RSRC2:TGID_Z_EN: 1
; COMPUTE_PGM_RSRC2:TIDIG_COMP_CNT: 0
; COMPUTE_PGM_RSRC3_GFX90A:ACCUM_OFFSET: 8
; COMPUTE_PGM_RSRC3_GFX90A:TG_SPLIT: 0
	.section	.text._ZN7rocprim17ROCPRIM_400000_NS6detail17trampoline_kernelINS0_14default_configENS1_38merge_sort_block_merge_config_selectorIslEEZZNS1_27merge_sort_block_merge_implIS3_PsN6thrust23THRUST_200600_302600_NS10device_ptrIlEEjNS1_19radix_merge_compareILb0ELb0EsNS0_19identity_decomposerEEEEE10hipError_tT0_T1_T2_jT3_P12ihipStream_tbPNSt15iterator_traitsISG_E10value_typeEPNSM_ISH_E10value_typeEPSI_NS1_7vsmem_tEENKUlT_SG_SH_SI_E_clIS7_S7_PlSB_EESF_SV_SG_SH_SI_EUlSV_E0_NS1_11comp_targetILNS1_3genE3ELNS1_11target_archE908ELNS1_3gpuE7ELNS1_3repE0EEENS1_38merge_mergepath_config_static_selectorELNS0_4arch9wavefront6targetE1EEEvSH_,"axG",@progbits,_ZN7rocprim17ROCPRIM_400000_NS6detail17trampoline_kernelINS0_14default_configENS1_38merge_sort_block_merge_config_selectorIslEEZZNS1_27merge_sort_block_merge_implIS3_PsN6thrust23THRUST_200600_302600_NS10device_ptrIlEEjNS1_19radix_merge_compareILb0ELb0EsNS0_19identity_decomposerEEEEE10hipError_tT0_T1_T2_jT3_P12ihipStream_tbPNSt15iterator_traitsISG_E10value_typeEPNSM_ISH_E10value_typeEPSI_NS1_7vsmem_tEENKUlT_SG_SH_SI_E_clIS7_S7_PlSB_EESF_SV_SG_SH_SI_EUlSV_E0_NS1_11comp_targetILNS1_3genE3ELNS1_11target_archE908ELNS1_3gpuE7ELNS1_3repE0EEENS1_38merge_mergepath_config_static_selectorELNS0_4arch9wavefront6targetE1EEEvSH_,comdat
	.protected	_ZN7rocprim17ROCPRIM_400000_NS6detail17trampoline_kernelINS0_14default_configENS1_38merge_sort_block_merge_config_selectorIslEEZZNS1_27merge_sort_block_merge_implIS3_PsN6thrust23THRUST_200600_302600_NS10device_ptrIlEEjNS1_19radix_merge_compareILb0ELb0EsNS0_19identity_decomposerEEEEE10hipError_tT0_T1_T2_jT3_P12ihipStream_tbPNSt15iterator_traitsISG_E10value_typeEPNSM_ISH_E10value_typeEPSI_NS1_7vsmem_tEENKUlT_SG_SH_SI_E_clIS7_S7_PlSB_EESF_SV_SG_SH_SI_EUlSV_E0_NS1_11comp_targetILNS1_3genE3ELNS1_11target_archE908ELNS1_3gpuE7ELNS1_3repE0EEENS1_38merge_mergepath_config_static_selectorELNS0_4arch9wavefront6targetE1EEEvSH_ ; -- Begin function _ZN7rocprim17ROCPRIM_400000_NS6detail17trampoline_kernelINS0_14default_configENS1_38merge_sort_block_merge_config_selectorIslEEZZNS1_27merge_sort_block_merge_implIS3_PsN6thrust23THRUST_200600_302600_NS10device_ptrIlEEjNS1_19radix_merge_compareILb0ELb0EsNS0_19identity_decomposerEEEEE10hipError_tT0_T1_T2_jT3_P12ihipStream_tbPNSt15iterator_traitsISG_E10value_typeEPNSM_ISH_E10value_typeEPSI_NS1_7vsmem_tEENKUlT_SG_SH_SI_E_clIS7_S7_PlSB_EESF_SV_SG_SH_SI_EUlSV_E0_NS1_11comp_targetILNS1_3genE3ELNS1_11target_archE908ELNS1_3gpuE7ELNS1_3repE0EEENS1_38merge_mergepath_config_static_selectorELNS0_4arch9wavefront6targetE1EEEvSH_
	.globl	_ZN7rocprim17ROCPRIM_400000_NS6detail17trampoline_kernelINS0_14default_configENS1_38merge_sort_block_merge_config_selectorIslEEZZNS1_27merge_sort_block_merge_implIS3_PsN6thrust23THRUST_200600_302600_NS10device_ptrIlEEjNS1_19radix_merge_compareILb0ELb0EsNS0_19identity_decomposerEEEEE10hipError_tT0_T1_T2_jT3_P12ihipStream_tbPNSt15iterator_traitsISG_E10value_typeEPNSM_ISH_E10value_typeEPSI_NS1_7vsmem_tEENKUlT_SG_SH_SI_E_clIS7_S7_PlSB_EESF_SV_SG_SH_SI_EUlSV_E0_NS1_11comp_targetILNS1_3genE3ELNS1_11target_archE908ELNS1_3gpuE7ELNS1_3repE0EEENS1_38merge_mergepath_config_static_selectorELNS0_4arch9wavefront6targetE1EEEvSH_
	.p2align	8
	.type	_ZN7rocprim17ROCPRIM_400000_NS6detail17trampoline_kernelINS0_14default_configENS1_38merge_sort_block_merge_config_selectorIslEEZZNS1_27merge_sort_block_merge_implIS3_PsN6thrust23THRUST_200600_302600_NS10device_ptrIlEEjNS1_19radix_merge_compareILb0ELb0EsNS0_19identity_decomposerEEEEE10hipError_tT0_T1_T2_jT3_P12ihipStream_tbPNSt15iterator_traitsISG_E10value_typeEPNSM_ISH_E10value_typeEPSI_NS1_7vsmem_tEENKUlT_SG_SH_SI_E_clIS7_S7_PlSB_EESF_SV_SG_SH_SI_EUlSV_E0_NS1_11comp_targetILNS1_3genE3ELNS1_11target_archE908ELNS1_3gpuE7ELNS1_3repE0EEENS1_38merge_mergepath_config_static_selectorELNS0_4arch9wavefront6targetE1EEEvSH_,@function
_ZN7rocprim17ROCPRIM_400000_NS6detail17trampoline_kernelINS0_14default_configENS1_38merge_sort_block_merge_config_selectorIslEEZZNS1_27merge_sort_block_merge_implIS3_PsN6thrust23THRUST_200600_302600_NS10device_ptrIlEEjNS1_19radix_merge_compareILb0ELb0EsNS0_19identity_decomposerEEEEE10hipError_tT0_T1_T2_jT3_P12ihipStream_tbPNSt15iterator_traitsISG_E10value_typeEPNSM_ISH_E10value_typeEPSI_NS1_7vsmem_tEENKUlT_SG_SH_SI_E_clIS7_S7_PlSB_EESF_SV_SG_SH_SI_EUlSV_E0_NS1_11comp_targetILNS1_3genE3ELNS1_11target_archE908ELNS1_3gpuE7ELNS1_3repE0EEENS1_38merge_mergepath_config_static_selectorELNS0_4arch9wavefront6targetE1EEEvSH_: ; @_ZN7rocprim17ROCPRIM_400000_NS6detail17trampoline_kernelINS0_14default_configENS1_38merge_sort_block_merge_config_selectorIslEEZZNS1_27merge_sort_block_merge_implIS3_PsN6thrust23THRUST_200600_302600_NS10device_ptrIlEEjNS1_19radix_merge_compareILb0ELb0EsNS0_19identity_decomposerEEEEE10hipError_tT0_T1_T2_jT3_P12ihipStream_tbPNSt15iterator_traitsISG_E10value_typeEPNSM_ISH_E10value_typeEPSI_NS1_7vsmem_tEENKUlT_SG_SH_SI_E_clIS7_S7_PlSB_EESF_SV_SG_SH_SI_EUlSV_E0_NS1_11comp_targetILNS1_3genE3ELNS1_11target_archE908ELNS1_3gpuE7ELNS1_3repE0EEENS1_38merge_mergepath_config_static_selectorELNS0_4arch9wavefront6targetE1EEEvSH_
; %bb.0:
	.section	.rodata,"a",@progbits
	.p2align	6, 0x0
	.amdhsa_kernel _ZN7rocprim17ROCPRIM_400000_NS6detail17trampoline_kernelINS0_14default_configENS1_38merge_sort_block_merge_config_selectorIslEEZZNS1_27merge_sort_block_merge_implIS3_PsN6thrust23THRUST_200600_302600_NS10device_ptrIlEEjNS1_19radix_merge_compareILb0ELb0EsNS0_19identity_decomposerEEEEE10hipError_tT0_T1_T2_jT3_P12ihipStream_tbPNSt15iterator_traitsISG_E10value_typeEPNSM_ISH_E10value_typeEPSI_NS1_7vsmem_tEENKUlT_SG_SH_SI_E_clIS7_S7_PlSB_EESF_SV_SG_SH_SI_EUlSV_E0_NS1_11comp_targetILNS1_3genE3ELNS1_11target_archE908ELNS1_3gpuE7ELNS1_3repE0EEENS1_38merge_mergepath_config_static_selectorELNS0_4arch9wavefront6targetE1EEEvSH_
		.amdhsa_group_segment_fixed_size 0
		.amdhsa_private_segment_fixed_size 0
		.amdhsa_kernarg_size 64
		.amdhsa_user_sgpr_count 6
		.amdhsa_user_sgpr_private_segment_buffer 1
		.amdhsa_user_sgpr_dispatch_ptr 0
		.amdhsa_user_sgpr_queue_ptr 0
		.amdhsa_user_sgpr_kernarg_segment_ptr 1
		.amdhsa_user_sgpr_dispatch_id 0
		.amdhsa_user_sgpr_flat_scratch_init 0
		.amdhsa_user_sgpr_kernarg_preload_length 0
		.amdhsa_user_sgpr_kernarg_preload_offset 0
		.amdhsa_user_sgpr_private_segment_size 0
		.amdhsa_uses_dynamic_stack 0
		.amdhsa_system_sgpr_private_segment_wavefront_offset 0
		.amdhsa_system_sgpr_workgroup_id_x 1
		.amdhsa_system_sgpr_workgroup_id_y 0
		.amdhsa_system_sgpr_workgroup_id_z 0
		.amdhsa_system_sgpr_workgroup_info 0
		.amdhsa_system_vgpr_workitem_id 0
		.amdhsa_next_free_vgpr 1
		.amdhsa_next_free_sgpr 0
		.amdhsa_accum_offset 4
		.amdhsa_reserve_vcc 0
		.amdhsa_reserve_flat_scratch 0
		.amdhsa_float_round_mode_32 0
		.amdhsa_float_round_mode_16_64 0
		.amdhsa_float_denorm_mode_32 3
		.amdhsa_float_denorm_mode_16_64 3
		.amdhsa_dx10_clamp 1
		.amdhsa_ieee_mode 1
		.amdhsa_fp16_overflow 0
		.amdhsa_tg_split 0
		.amdhsa_exception_fp_ieee_invalid_op 0
		.amdhsa_exception_fp_denorm_src 0
		.amdhsa_exception_fp_ieee_div_zero 0
		.amdhsa_exception_fp_ieee_overflow 0
		.amdhsa_exception_fp_ieee_underflow 0
		.amdhsa_exception_fp_ieee_inexact 0
		.amdhsa_exception_int_div_zero 0
	.end_amdhsa_kernel
	.section	.text._ZN7rocprim17ROCPRIM_400000_NS6detail17trampoline_kernelINS0_14default_configENS1_38merge_sort_block_merge_config_selectorIslEEZZNS1_27merge_sort_block_merge_implIS3_PsN6thrust23THRUST_200600_302600_NS10device_ptrIlEEjNS1_19radix_merge_compareILb0ELb0EsNS0_19identity_decomposerEEEEE10hipError_tT0_T1_T2_jT3_P12ihipStream_tbPNSt15iterator_traitsISG_E10value_typeEPNSM_ISH_E10value_typeEPSI_NS1_7vsmem_tEENKUlT_SG_SH_SI_E_clIS7_S7_PlSB_EESF_SV_SG_SH_SI_EUlSV_E0_NS1_11comp_targetILNS1_3genE3ELNS1_11target_archE908ELNS1_3gpuE7ELNS1_3repE0EEENS1_38merge_mergepath_config_static_selectorELNS0_4arch9wavefront6targetE1EEEvSH_,"axG",@progbits,_ZN7rocprim17ROCPRIM_400000_NS6detail17trampoline_kernelINS0_14default_configENS1_38merge_sort_block_merge_config_selectorIslEEZZNS1_27merge_sort_block_merge_implIS3_PsN6thrust23THRUST_200600_302600_NS10device_ptrIlEEjNS1_19radix_merge_compareILb0ELb0EsNS0_19identity_decomposerEEEEE10hipError_tT0_T1_T2_jT3_P12ihipStream_tbPNSt15iterator_traitsISG_E10value_typeEPNSM_ISH_E10value_typeEPSI_NS1_7vsmem_tEENKUlT_SG_SH_SI_E_clIS7_S7_PlSB_EESF_SV_SG_SH_SI_EUlSV_E0_NS1_11comp_targetILNS1_3genE3ELNS1_11target_archE908ELNS1_3gpuE7ELNS1_3repE0EEENS1_38merge_mergepath_config_static_selectorELNS0_4arch9wavefront6targetE1EEEvSH_,comdat
.Lfunc_end1288:
	.size	_ZN7rocprim17ROCPRIM_400000_NS6detail17trampoline_kernelINS0_14default_configENS1_38merge_sort_block_merge_config_selectorIslEEZZNS1_27merge_sort_block_merge_implIS3_PsN6thrust23THRUST_200600_302600_NS10device_ptrIlEEjNS1_19radix_merge_compareILb0ELb0EsNS0_19identity_decomposerEEEEE10hipError_tT0_T1_T2_jT3_P12ihipStream_tbPNSt15iterator_traitsISG_E10value_typeEPNSM_ISH_E10value_typeEPSI_NS1_7vsmem_tEENKUlT_SG_SH_SI_E_clIS7_S7_PlSB_EESF_SV_SG_SH_SI_EUlSV_E0_NS1_11comp_targetILNS1_3genE3ELNS1_11target_archE908ELNS1_3gpuE7ELNS1_3repE0EEENS1_38merge_mergepath_config_static_selectorELNS0_4arch9wavefront6targetE1EEEvSH_, .Lfunc_end1288-_ZN7rocprim17ROCPRIM_400000_NS6detail17trampoline_kernelINS0_14default_configENS1_38merge_sort_block_merge_config_selectorIslEEZZNS1_27merge_sort_block_merge_implIS3_PsN6thrust23THRUST_200600_302600_NS10device_ptrIlEEjNS1_19radix_merge_compareILb0ELb0EsNS0_19identity_decomposerEEEEE10hipError_tT0_T1_T2_jT3_P12ihipStream_tbPNSt15iterator_traitsISG_E10value_typeEPNSM_ISH_E10value_typeEPSI_NS1_7vsmem_tEENKUlT_SG_SH_SI_E_clIS7_S7_PlSB_EESF_SV_SG_SH_SI_EUlSV_E0_NS1_11comp_targetILNS1_3genE3ELNS1_11target_archE908ELNS1_3gpuE7ELNS1_3repE0EEENS1_38merge_mergepath_config_static_selectorELNS0_4arch9wavefront6targetE1EEEvSH_
                                        ; -- End function
	.section	.AMDGPU.csdata,"",@progbits
; Kernel info:
; codeLenInByte = 0
; NumSgprs: 4
; NumVgprs: 0
; NumAgprs: 0
; TotalNumVgprs: 0
; ScratchSize: 0
; MemoryBound: 0
; FloatMode: 240
; IeeeMode: 1
; LDSByteSize: 0 bytes/workgroup (compile time only)
; SGPRBlocks: 0
; VGPRBlocks: 0
; NumSGPRsForWavesPerEU: 4
; NumVGPRsForWavesPerEU: 1
; AccumOffset: 4
; Occupancy: 8
; WaveLimiterHint : 0
; COMPUTE_PGM_RSRC2:SCRATCH_EN: 0
; COMPUTE_PGM_RSRC2:USER_SGPR: 6
; COMPUTE_PGM_RSRC2:TRAP_HANDLER: 0
; COMPUTE_PGM_RSRC2:TGID_X_EN: 1
; COMPUTE_PGM_RSRC2:TGID_Y_EN: 0
; COMPUTE_PGM_RSRC2:TGID_Z_EN: 0
; COMPUTE_PGM_RSRC2:TIDIG_COMP_CNT: 0
; COMPUTE_PGM_RSRC3_GFX90A:ACCUM_OFFSET: 0
; COMPUTE_PGM_RSRC3_GFX90A:TG_SPLIT: 0
	.section	.text._ZN7rocprim17ROCPRIM_400000_NS6detail17trampoline_kernelINS0_14default_configENS1_38merge_sort_block_merge_config_selectorIslEEZZNS1_27merge_sort_block_merge_implIS3_PsN6thrust23THRUST_200600_302600_NS10device_ptrIlEEjNS1_19radix_merge_compareILb0ELb0EsNS0_19identity_decomposerEEEEE10hipError_tT0_T1_T2_jT3_P12ihipStream_tbPNSt15iterator_traitsISG_E10value_typeEPNSM_ISH_E10value_typeEPSI_NS1_7vsmem_tEENKUlT_SG_SH_SI_E_clIS7_S7_PlSB_EESF_SV_SG_SH_SI_EUlSV_E0_NS1_11comp_targetILNS1_3genE2ELNS1_11target_archE906ELNS1_3gpuE6ELNS1_3repE0EEENS1_38merge_mergepath_config_static_selectorELNS0_4arch9wavefront6targetE1EEEvSH_,"axG",@progbits,_ZN7rocprim17ROCPRIM_400000_NS6detail17trampoline_kernelINS0_14default_configENS1_38merge_sort_block_merge_config_selectorIslEEZZNS1_27merge_sort_block_merge_implIS3_PsN6thrust23THRUST_200600_302600_NS10device_ptrIlEEjNS1_19radix_merge_compareILb0ELb0EsNS0_19identity_decomposerEEEEE10hipError_tT0_T1_T2_jT3_P12ihipStream_tbPNSt15iterator_traitsISG_E10value_typeEPNSM_ISH_E10value_typeEPSI_NS1_7vsmem_tEENKUlT_SG_SH_SI_E_clIS7_S7_PlSB_EESF_SV_SG_SH_SI_EUlSV_E0_NS1_11comp_targetILNS1_3genE2ELNS1_11target_archE906ELNS1_3gpuE6ELNS1_3repE0EEENS1_38merge_mergepath_config_static_selectorELNS0_4arch9wavefront6targetE1EEEvSH_,comdat
	.protected	_ZN7rocprim17ROCPRIM_400000_NS6detail17trampoline_kernelINS0_14default_configENS1_38merge_sort_block_merge_config_selectorIslEEZZNS1_27merge_sort_block_merge_implIS3_PsN6thrust23THRUST_200600_302600_NS10device_ptrIlEEjNS1_19radix_merge_compareILb0ELb0EsNS0_19identity_decomposerEEEEE10hipError_tT0_T1_T2_jT3_P12ihipStream_tbPNSt15iterator_traitsISG_E10value_typeEPNSM_ISH_E10value_typeEPSI_NS1_7vsmem_tEENKUlT_SG_SH_SI_E_clIS7_S7_PlSB_EESF_SV_SG_SH_SI_EUlSV_E0_NS1_11comp_targetILNS1_3genE2ELNS1_11target_archE906ELNS1_3gpuE6ELNS1_3repE0EEENS1_38merge_mergepath_config_static_selectorELNS0_4arch9wavefront6targetE1EEEvSH_ ; -- Begin function _ZN7rocprim17ROCPRIM_400000_NS6detail17trampoline_kernelINS0_14default_configENS1_38merge_sort_block_merge_config_selectorIslEEZZNS1_27merge_sort_block_merge_implIS3_PsN6thrust23THRUST_200600_302600_NS10device_ptrIlEEjNS1_19radix_merge_compareILb0ELb0EsNS0_19identity_decomposerEEEEE10hipError_tT0_T1_T2_jT3_P12ihipStream_tbPNSt15iterator_traitsISG_E10value_typeEPNSM_ISH_E10value_typeEPSI_NS1_7vsmem_tEENKUlT_SG_SH_SI_E_clIS7_S7_PlSB_EESF_SV_SG_SH_SI_EUlSV_E0_NS1_11comp_targetILNS1_3genE2ELNS1_11target_archE906ELNS1_3gpuE6ELNS1_3repE0EEENS1_38merge_mergepath_config_static_selectorELNS0_4arch9wavefront6targetE1EEEvSH_
	.globl	_ZN7rocprim17ROCPRIM_400000_NS6detail17trampoline_kernelINS0_14default_configENS1_38merge_sort_block_merge_config_selectorIslEEZZNS1_27merge_sort_block_merge_implIS3_PsN6thrust23THRUST_200600_302600_NS10device_ptrIlEEjNS1_19radix_merge_compareILb0ELb0EsNS0_19identity_decomposerEEEEE10hipError_tT0_T1_T2_jT3_P12ihipStream_tbPNSt15iterator_traitsISG_E10value_typeEPNSM_ISH_E10value_typeEPSI_NS1_7vsmem_tEENKUlT_SG_SH_SI_E_clIS7_S7_PlSB_EESF_SV_SG_SH_SI_EUlSV_E0_NS1_11comp_targetILNS1_3genE2ELNS1_11target_archE906ELNS1_3gpuE6ELNS1_3repE0EEENS1_38merge_mergepath_config_static_selectorELNS0_4arch9wavefront6targetE1EEEvSH_
	.p2align	8
	.type	_ZN7rocprim17ROCPRIM_400000_NS6detail17trampoline_kernelINS0_14default_configENS1_38merge_sort_block_merge_config_selectorIslEEZZNS1_27merge_sort_block_merge_implIS3_PsN6thrust23THRUST_200600_302600_NS10device_ptrIlEEjNS1_19radix_merge_compareILb0ELb0EsNS0_19identity_decomposerEEEEE10hipError_tT0_T1_T2_jT3_P12ihipStream_tbPNSt15iterator_traitsISG_E10value_typeEPNSM_ISH_E10value_typeEPSI_NS1_7vsmem_tEENKUlT_SG_SH_SI_E_clIS7_S7_PlSB_EESF_SV_SG_SH_SI_EUlSV_E0_NS1_11comp_targetILNS1_3genE2ELNS1_11target_archE906ELNS1_3gpuE6ELNS1_3repE0EEENS1_38merge_mergepath_config_static_selectorELNS0_4arch9wavefront6targetE1EEEvSH_,@function
_ZN7rocprim17ROCPRIM_400000_NS6detail17trampoline_kernelINS0_14default_configENS1_38merge_sort_block_merge_config_selectorIslEEZZNS1_27merge_sort_block_merge_implIS3_PsN6thrust23THRUST_200600_302600_NS10device_ptrIlEEjNS1_19radix_merge_compareILb0ELb0EsNS0_19identity_decomposerEEEEE10hipError_tT0_T1_T2_jT3_P12ihipStream_tbPNSt15iterator_traitsISG_E10value_typeEPNSM_ISH_E10value_typeEPSI_NS1_7vsmem_tEENKUlT_SG_SH_SI_E_clIS7_S7_PlSB_EESF_SV_SG_SH_SI_EUlSV_E0_NS1_11comp_targetILNS1_3genE2ELNS1_11target_archE906ELNS1_3gpuE6ELNS1_3repE0EEENS1_38merge_mergepath_config_static_selectorELNS0_4arch9wavefront6targetE1EEEvSH_: ; @_ZN7rocprim17ROCPRIM_400000_NS6detail17trampoline_kernelINS0_14default_configENS1_38merge_sort_block_merge_config_selectorIslEEZZNS1_27merge_sort_block_merge_implIS3_PsN6thrust23THRUST_200600_302600_NS10device_ptrIlEEjNS1_19radix_merge_compareILb0ELb0EsNS0_19identity_decomposerEEEEE10hipError_tT0_T1_T2_jT3_P12ihipStream_tbPNSt15iterator_traitsISG_E10value_typeEPNSM_ISH_E10value_typeEPSI_NS1_7vsmem_tEENKUlT_SG_SH_SI_E_clIS7_S7_PlSB_EESF_SV_SG_SH_SI_EUlSV_E0_NS1_11comp_targetILNS1_3genE2ELNS1_11target_archE906ELNS1_3gpuE6ELNS1_3repE0EEENS1_38merge_mergepath_config_static_selectorELNS0_4arch9wavefront6targetE1EEEvSH_
; %bb.0:
	.section	.rodata,"a",@progbits
	.p2align	6, 0x0
	.amdhsa_kernel _ZN7rocprim17ROCPRIM_400000_NS6detail17trampoline_kernelINS0_14default_configENS1_38merge_sort_block_merge_config_selectorIslEEZZNS1_27merge_sort_block_merge_implIS3_PsN6thrust23THRUST_200600_302600_NS10device_ptrIlEEjNS1_19radix_merge_compareILb0ELb0EsNS0_19identity_decomposerEEEEE10hipError_tT0_T1_T2_jT3_P12ihipStream_tbPNSt15iterator_traitsISG_E10value_typeEPNSM_ISH_E10value_typeEPSI_NS1_7vsmem_tEENKUlT_SG_SH_SI_E_clIS7_S7_PlSB_EESF_SV_SG_SH_SI_EUlSV_E0_NS1_11comp_targetILNS1_3genE2ELNS1_11target_archE906ELNS1_3gpuE6ELNS1_3repE0EEENS1_38merge_mergepath_config_static_selectorELNS0_4arch9wavefront6targetE1EEEvSH_
		.amdhsa_group_segment_fixed_size 0
		.amdhsa_private_segment_fixed_size 0
		.amdhsa_kernarg_size 64
		.amdhsa_user_sgpr_count 6
		.amdhsa_user_sgpr_private_segment_buffer 1
		.amdhsa_user_sgpr_dispatch_ptr 0
		.amdhsa_user_sgpr_queue_ptr 0
		.amdhsa_user_sgpr_kernarg_segment_ptr 1
		.amdhsa_user_sgpr_dispatch_id 0
		.amdhsa_user_sgpr_flat_scratch_init 0
		.amdhsa_user_sgpr_kernarg_preload_length 0
		.amdhsa_user_sgpr_kernarg_preload_offset 0
		.amdhsa_user_sgpr_private_segment_size 0
		.amdhsa_uses_dynamic_stack 0
		.amdhsa_system_sgpr_private_segment_wavefront_offset 0
		.amdhsa_system_sgpr_workgroup_id_x 1
		.amdhsa_system_sgpr_workgroup_id_y 0
		.amdhsa_system_sgpr_workgroup_id_z 0
		.amdhsa_system_sgpr_workgroup_info 0
		.amdhsa_system_vgpr_workitem_id 0
		.amdhsa_next_free_vgpr 1
		.amdhsa_next_free_sgpr 0
		.amdhsa_accum_offset 4
		.amdhsa_reserve_vcc 0
		.amdhsa_reserve_flat_scratch 0
		.amdhsa_float_round_mode_32 0
		.amdhsa_float_round_mode_16_64 0
		.amdhsa_float_denorm_mode_32 3
		.amdhsa_float_denorm_mode_16_64 3
		.amdhsa_dx10_clamp 1
		.amdhsa_ieee_mode 1
		.amdhsa_fp16_overflow 0
		.amdhsa_tg_split 0
		.amdhsa_exception_fp_ieee_invalid_op 0
		.amdhsa_exception_fp_denorm_src 0
		.amdhsa_exception_fp_ieee_div_zero 0
		.amdhsa_exception_fp_ieee_overflow 0
		.amdhsa_exception_fp_ieee_underflow 0
		.amdhsa_exception_fp_ieee_inexact 0
		.amdhsa_exception_int_div_zero 0
	.end_amdhsa_kernel
	.section	.text._ZN7rocprim17ROCPRIM_400000_NS6detail17trampoline_kernelINS0_14default_configENS1_38merge_sort_block_merge_config_selectorIslEEZZNS1_27merge_sort_block_merge_implIS3_PsN6thrust23THRUST_200600_302600_NS10device_ptrIlEEjNS1_19radix_merge_compareILb0ELb0EsNS0_19identity_decomposerEEEEE10hipError_tT0_T1_T2_jT3_P12ihipStream_tbPNSt15iterator_traitsISG_E10value_typeEPNSM_ISH_E10value_typeEPSI_NS1_7vsmem_tEENKUlT_SG_SH_SI_E_clIS7_S7_PlSB_EESF_SV_SG_SH_SI_EUlSV_E0_NS1_11comp_targetILNS1_3genE2ELNS1_11target_archE906ELNS1_3gpuE6ELNS1_3repE0EEENS1_38merge_mergepath_config_static_selectorELNS0_4arch9wavefront6targetE1EEEvSH_,"axG",@progbits,_ZN7rocprim17ROCPRIM_400000_NS6detail17trampoline_kernelINS0_14default_configENS1_38merge_sort_block_merge_config_selectorIslEEZZNS1_27merge_sort_block_merge_implIS3_PsN6thrust23THRUST_200600_302600_NS10device_ptrIlEEjNS1_19radix_merge_compareILb0ELb0EsNS0_19identity_decomposerEEEEE10hipError_tT0_T1_T2_jT3_P12ihipStream_tbPNSt15iterator_traitsISG_E10value_typeEPNSM_ISH_E10value_typeEPSI_NS1_7vsmem_tEENKUlT_SG_SH_SI_E_clIS7_S7_PlSB_EESF_SV_SG_SH_SI_EUlSV_E0_NS1_11comp_targetILNS1_3genE2ELNS1_11target_archE906ELNS1_3gpuE6ELNS1_3repE0EEENS1_38merge_mergepath_config_static_selectorELNS0_4arch9wavefront6targetE1EEEvSH_,comdat
.Lfunc_end1289:
	.size	_ZN7rocprim17ROCPRIM_400000_NS6detail17trampoline_kernelINS0_14default_configENS1_38merge_sort_block_merge_config_selectorIslEEZZNS1_27merge_sort_block_merge_implIS3_PsN6thrust23THRUST_200600_302600_NS10device_ptrIlEEjNS1_19radix_merge_compareILb0ELb0EsNS0_19identity_decomposerEEEEE10hipError_tT0_T1_T2_jT3_P12ihipStream_tbPNSt15iterator_traitsISG_E10value_typeEPNSM_ISH_E10value_typeEPSI_NS1_7vsmem_tEENKUlT_SG_SH_SI_E_clIS7_S7_PlSB_EESF_SV_SG_SH_SI_EUlSV_E0_NS1_11comp_targetILNS1_3genE2ELNS1_11target_archE906ELNS1_3gpuE6ELNS1_3repE0EEENS1_38merge_mergepath_config_static_selectorELNS0_4arch9wavefront6targetE1EEEvSH_, .Lfunc_end1289-_ZN7rocprim17ROCPRIM_400000_NS6detail17trampoline_kernelINS0_14default_configENS1_38merge_sort_block_merge_config_selectorIslEEZZNS1_27merge_sort_block_merge_implIS3_PsN6thrust23THRUST_200600_302600_NS10device_ptrIlEEjNS1_19radix_merge_compareILb0ELb0EsNS0_19identity_decomposerEEEEE10hipError_tT0_T1_T2_jT3_P12ihipStream_tbPNSt15iterator_traitsISG_E10value_typeEPNSM_ISH_E10value_typeEPSI_NS1_7vsmem_tEENKUlT_SG_SH_SI_E_clIS7_S7_PlSB_EESF_SV_SG_SH_SI_EUlSV_E0_NS1_11comp_targetILNS1_3genE2ELNS1_11target_archE906ELNS1_3gpuE6ELNS1_3repE0EEENS1_38merge_mergepath_config_static_selectorELNS0_4arch9wavefront6targetE1EEEvSH_
                                        ; -- End function
	.section	.AMDGPU.csdata,"",@progbits
; Kernel info:
; codeLenInByte = 0
; NumSgprs: 4
; NumVgprs: 0
; NumAgprs: 0
; TotalNumVgprs: 0
; ScratchSize: 0
; MemoryBound: 0
; FloatMode: 240
; IeeeMode: 1
; LDSByteSize: 0 bytes/workgroup (compile time only)
; SGPRBlocks: 0
; VGPRBlocks: 0
; NumSGPRsForWavesPerEU: 4
; NumVGPRsForWavesPerEU: 1
; AccumOffset: 4
; Occupancy: 8
; WaveLimiterHint : 0
; COMPUTE_PGM_RSRC2:SCRATCH_EN: 0
; COMPUTE_PGM_RSRC2:USER_SGPR: 6
; COMPUTE_PGM_RSRC2:TRAP_HANDLER: 0
; COMPUTE_PGM_RSRC2:TGID_X_EN: 1
; COMPUTE_PGM_RSRC2:TGID_Y_EN: 0
; COMPUTE_PGM_RSRC2:TGID_Z_EN: 0
; COMPUTE_PGM_RSRC2:TIDIG_COMP_CNT: 0
; COMPUTE_PGM_RSRC3_GFX90A:ACCUM_OFFSET: 0
; COMPUTE_PGM_RSRC3_GFX90A:TG_SPLIT: 0
	.section	.text._ZN7rocprim17ROCPRIM_400000_NS6detail17trampoline_kernelINS0_14default_configENS1_38merge_sort_block_merge_config_selectorIslEEZZNS1_27merge_sort_block_merge_implIS3_PsN6thrust23THRUST_200600_302600_NS10device_ptrIlEEjNS1_19radix_merge_compareILb0ELb0EsNS0_19identity_decomposerEEEEE10hipError_tT0_T1_T2_jT3_P12ihipStream_tbPNSt15iterator_traitsISG_E10value_typeEPNSM_ISH_E10value_typeEPSI_NS1_7vsmem_tEENKUlT_SG_SH_SI_E_clIS7_S7_PlSB_EESF_SV_SG_SH_SI_EUlSV_E0_NS1_11comp_targetILNS1_3genE9ELNS1_11target_archE1100ELNS1_3gpuE3ELNS1_3repE0EEENS1_38merge_mergepath_config_static_selectorELNS0_4arch9wavefront6targetE1EEEvSH_,"axG",@progbits,_ZN7rocprim17ROCPRIM_400000_NS6detail17trampoline_kernelINS0_14default_configENS1_38merge_sort_block_merge_config_selectorIslEEZZNS1_27merge_sort_block_merge_implIS3_PsN6thrust23THRUST_200600_302600_NS10device_ptrIlEEjNS1_19radix_merge_compareILb0ELb0EsNS0_19identity_decomposerEEEEE10hipError_tT0_T1_T2_jT3_P12ihipStream_tbPNSt15iterator_traitsISG_E10value_typeEPNSM_ISH_E10value_typeEPSI_NS1_7vsmem_tEENKUlT_SG_SH_SI_E_clIS7_S7_PlSB_EESF_SV_SG_SH_SI_EUlSV_E0_NS1_11comp_targetILNS1_3genE9ELNS1_11target_archE1100ELNS1_3gpuE3ELNS1_3repE0EEENS1_38merge_mergepath_config_static_selectorELNS0_4arch9wavefront6targetE1EEEvSH_,comdat
	.protected	_ZN7rocprim17ROCPRIM_400000_NS6detail17trampoline_kernelINS0_14default_configENS1_38merge_sort_block_merge_config_selectorIslEEZZNS1_27merge_sort_block_merge_implIS3_PsN6thrust23THRUST_200600_302600_NS10device_ptrIlEEjNS1_19radix_merge_compareILb0ELb0EsNS0_19identity_decomposerEEEEE10hipError_tT0_T1_T2_jT3_P12ihipStream_tbPNSt15iterator_traitsISG_E10value_typeEPNSM_ISH_E10value_typeEPSI_NS1_7vsmem_tEENKUlT_SG_SH_SI_E_clIS7_S7_PlSB_EESF_SV_SG_SH_SI_EUlSV_E0_NS1_11comp_targetILNS1_3genE9ELNS1_11target_archE1100ELNS1_3gpuE3ELNS1_3repE0EEENS1_38merge_mergepath_config_static_selectorELNS0_4arch9wavefront6targetE1EEEvSH_ ; -- Begin function _ZN7rocprim17ROCPRIM_400000_NS6detail17trampoline_kernelINS0_14default_configENS1_38merge_sort_block_merge_config_selectorIslEEZZNS1_27merge_sort_block_merge_implIS3_PsN6thrust23THRUST_200600_302600_NS10device_ptrIlEEjNS1_19radix_merge_compareILb0ELb0EsNS0_19identity_decomposerEEEEE10hipError_tT0_T1_T2_jT3_P12ihipStream_tbPNSt15iterator_traitsISG_E10value_typeEPNSM_ISH_E10value_typeEPSI_NS1_7vsmem_tEENKUlT_SG_SH_SI_E_clIS7_S7_PlSB_EESF_SV_SG_SH_SI_EUlSV_E0_NS1_11comp_targetILNS1_3genE9ELNS1_11target_archE1100ELNS1_3gpuE3ELNS1_3repE0EEENS1_38merge_mergepath_config_static_selectorELNS0_4arch9wavefront6targetE1EEEvSH_
	.globl	_ZN7rocprim17ROCPRIM_400000_NS6detail17trampoline_kernelINS0_14default_configENS1_38merge_sort_block_merge_config_selectorIslEEZZNS1_27merge_sort_block_merge_implIS3_PsN6thrust23THRUST_200600_302600_NS10device_ptrIlEEjNS1_19radix_merge_compareILb0ELb0EsNS0_19identity_decomposerEEEEE10hipError_tT0_T1_T2_jT3_P12ihipStream_tbPNSt15iterator_traitsISG_E10value_typeEPNSM_ISH_E10value_typeEPSI_NS1_7vsmem_tEENKUlT_SG_SH_SI_E_clIS7_S7_PlSB_EESF_SV_SG_SH_SI_EUlSV_E0_NS1_11comp_targetILNS1_3genE9ELNS1_11target_archE1100ELNS1_3gpuE3ELNS1_3repE0EEENS1_38merge_mergepath_config_static_selectorELNS0_4arch9wavefront6targetE1EEEvSH_
	.p2align	8
	.type	_ZN7rocprim17ROCPRIM_400000_NS6detail17trampoline_kernelINS0_14default_configENS1_38merge_sort_block_merge_config_selectorIslEEZZNS1_27merge_sort_block_merge_implIS3_PsN6thrust23THRUST_200600_302600_NS10device_ptrIlEEjNS1_19radix_merge_compareILb0ELb0EsNS0_19identity_decomposerEEEEE10hipError_tT0_T1_T2_jT3_P12ihipStream_tbPNSt15iterator_traitsISG_E10value_typeEPNSM_ISH_E10value_typeEPSI_NS1_7vsmem_tEENKUlT_SG_SH_SI_E_clIS7_S7_PlSB_EESF_SV_SG_SH_SI_EUlSV_E0_NS1_11comp_targetILNS1_3genE9ELNS1_11target_archE1100ELNS1_3gpuE3ELNS1_3repE0EEENS1_38merge_mergepath_config_static_selectorELNS0_4arch9wavefront6targetE1EEEvSH_,@function
_ZN7rocprim17ROCPRIM_400000_NS6detail17trampoline_kernelINS0_14default_configENS1_38merge_sort_block_merge_config_selectorIslEEZZNS1_27merge_sort_block_merge_implIS3_PsN6thrust23THRUST_200600_302600_NS10device_ptrIlEEjNS1_19radix_merge_compareILb0ELb0EsNS0_19identity_decomposerEEEEE10hipError_tT0_T1_T2_jT3_P12ihipStream_tbPNSt15iterator_traitsISG_E10value_typeEPNSM_ISH_E10value_typeEPSI_NS1_7vsmem_tEENKUlT_SG_SH_SI_E_clIS7_S7_PlSB_EESF_SV_SG_SH_SI_EUlSV_E0_NS1_11comp_targetILNS1_3genE9ELNS1_11target_archE1100ELNS1_3gpuE3ELNS1_3repE0EEENS1_38merge_mergepath_config_static_selectorELNS0_4arch9wavefront6targetE1EEEvSH_: ; @_ZN7rocprim17ROCPRIM_400000_NS6detail17trampoline_kernelINS0_14default_configENS1_38merge_sort_block_merge_config_selectorIslEEZZNS1_27merge_sort_block_merge_implIS3_PsN6thrust23THRUST_200600_302600_NS10device_ptrIlEEjNS1_19radix_merge_compareILb0ELb0EsNS0_19identity_decomposerEEEEE10hipError_tT0_T1_T2_jT3_P12ihipStream_tbPNSt15iterator_traitsISG_E10value_typeEPNSM_ISH_E10value_typeEPSI_NS1_7vsmem_tEENKUlT_SG_SH_SI_E_clIS7_S7_PlSB_EESF_SV_SG_SH_SI_EUlSV_E0_NS1_11comp_targetILNS1_3genE9ELNS1_11target_archE1100ELNS1_3gpuE3ELNS1_3repE0EEENS1_38merge_mergepath_config_static_selectorELNS0_4arch9wavefront6targetE1EEEvSH_
; %bb.0:
	.section	.rodata,"a",@progbits
	.p2align	6, 0x0
	.amdhsa_kernel _ZN7rocprim17ROCPRIM_400000_NS6detail17trampoline_kernelINS0_14default_configENS1_38merge_sort_block_merge_config_selectorIslEEZZNS1_27merge_sort_block_merge_implIS3_PsN6thrust23THRUST_200600_302600_NS10device_ptrIlEEjNS1_19radix_merge_compareILb0ELb0EsNS0_19identity_decomposerEEEEE10hipError_tT0_T1_T2_jT3_P12ihipStream_tbPNSt15iterator_traitsISG_E10value_typeEPNSM_ISH_E10value_typeEPSI_NS1_7vsmem_tEENKUlT_SG_SH_SI_E_clIS7_S7_PlSB_EESF_SV_SG_SH_SI_EUlSV_E0_NS1_11comp_targetILNS1_3genE9ELNS1_11target_archE1100ELNS1_3gpuE3ELNS1_3repE0EEENS1_38merge_mergepath_config_static_selectorELNS0_4arch9wavefront6targetE1EEEvSH_
		.amdhsa_group_segment_fixed_size 0
		.amdhsa_private_segment_fixed_size 0
		.amdhsa_kernarg_size 64
		.amdhsa_user_sgpr_count 6
		.amdhsa_user_sgpr_private_segment_buffer 1
		.amdhsa_user_sgpr_dispatch_ptr 0
		.amdhsa_user_sgpr_queue_ptr 0
		.amdhsa_user_sgpr_kernarg_segment_ptr 1
		.amdhsa_user_sgpr_dispatch_id 0
		.amdhsa_user_sgpr_flat_scratch_init 0
		.amdhsa_user_sgpr_kernarg_preload_length 0
		.amdhsa_user_sgpr_kernarg_preload_offset 0
		.amdhsa_user_sgpr_private_segment_size 0
		.amdhsa_uses_dynamic_stack 0
		.amdhsa_system_sgpr_private_segment_wavefront_offset 0
		.amdhsa_system_sgpr_workgroup_id_x 1
		.amdhsa_system_sgpr_workgroup_id_y 0
		.amdhsa_system_sgpr_workgroup_id_z 0
		.amdhsa_system_sgpr_workgroup_info 0
		.amdhsa_system_vgpr_workitem_id 0
		.amdhsa_next_free_vgpr 1
		.amdhsa_next_free_sgpr 0
		.amdhsa_accum_offset 4
		.amdhsa_reserve_vcc 0
		.amdhsa_reserve_flat_scratch 0
		.amdhsa_float_round_mode_32 0
		.amdhsa_float_round_mode_16_64 0
		.amdhsa_float_denorm_mode_32 3
		.amdhsa_float_denorm_mode_16_64 3
		.amdhsa_dx10_clamp 1
		.amdhsa_ieee_mode 1
		.amdhsa_fp16_overflow 0
		.amdhsa_tg_split 0
		.amdhsa_exception_fp_ieee_invalid_op 0
		.amdhsa_exception_fp_denorm_src 0
		.amdhsa_exception_fp_ieee_div_zero 0
		.amdhsa_exception_fp_ieee_overflow 0
		.amdhsa_exception_fp_ieee_underflow 0
		.amdhsa_exception_fp_ieee_inexact 0
		.amdhsa_exception_int_div_zero 0
	.end_amdhsa_kernel
	.section	.text._ZN7rocprim17ROCPRIM_400000_NS6detail17trampoline_kernelINS0_14default_configENS1_38merge_sort_block_merge_config_selectorIslEEZZNS1_27merge_sort_block_merge_implIS3_PsN6thrust23THRUST_200600_302600_NS10device_ptrIlEEjNS1_19radix_merge_compareILb0ELb0EsNS0_19identity_decomposerEEEEE10hipError_tT0_T1_T2_jT3_P12ihipStream_tbPNSt15iterator_traitsISG_E10value_typeEPNSM_ISH_E10value_typeEPSI_NS1_7vsmem_tEENKUlT_SG_SH_SI_E_clIS7_S7_PlSB_EESF_SV_SG_SH_SI_EUlSV_E0_NS1_11comp_targetILNS1_3genE9ELNS1_11target_archE1100ELNS1_3gpuE3ELNS1_3repE0EEENS1_38merge_mergepath_config_static_selectorELNS0_4arch9wavefront6targetE1EEEvSH_,"axG",@progbits,_ZN7rocprim17ROCPRIM_400000_NS6detail17trampoline_kernelINS0_14default_configENS1_38merge_sort_block_merge_config_selectorIslEEZZNS1_27merge_sort_block_merge_implIS3_PsN6thrust23THRUST_200600_302600_NS10device_ptrIlEEjNS1_19radix_merge_compareILb0ELb0EsNS0_19identity_decomposerEEEEE10hipError_tT0_T1_T2_jT3_P12ihipStream_tbPNSt15iterator_traitsISG_E10value_typeEPNSM_ISH_E10value_typeEPSI_NS1_7vsmem_tEENKUlT_SG_SH_SI_E_clIS7_S7_PlSB_EESF_SV_SG_SH_SI_EUlSV_E0_NS1_11comp_targetILNS1_3genE9ELNS1_11target_archE1100ELNS1_3gpuE3ELNS1_3repE0EEENS1_38merge_mergepath_config_static_selectorELNS0_4arch9wavefront6targetE1EEEvSH_,comdat
.Lfunc_end1290:
	.size	_ZN7rocprim17ROCPRIM_400000_NS6detail17trampoline_kernelINS0_14default_configENS1_38merge_sort_block_merge_config_selectorIslEEZZNS1_27merge_sort_block_merge_implIS3_PsN6thrust23THRUST_200600_302600_NS10device_ptrIlEEjNS1_19radix_merge_compareILb0ELb0EsNS0_19identity_decomposerEEEEE10hipError_tT0_T1_T2_jT3_P12ihipStream_tbPNSt15iterator_traitsISG_E10value_typeEPNSM_ISH_E10value_typeEPSI_NS1_7vsmem_tEENKUlT_SG_SH_SI_E_clIS7_S7_PlSB_EESF_SV_SG_SH_SI_EUlSV_E0_NS1_11comp_targetILNS1_3genE9ELNS1_11target_archE1100ELNS1_3gpuE3ELNS1_3repE0EEENS1_38merge_mergepath_config_static_selectorELNS0_4arch9wavefront6targetE1EEEvSH_, .Lfunc_end1290-_ZN7rocprim17ROCPRIM_400000_NS6detail17trampoline_kernelINS0_14default_configENS1_38merge_sort_block_merge_config_selectorIslEEZZNS1_27merge_sort_block_merge_implIS3_PsN6thrust23THRUST_200600_302600_NS10device_ptrIlEEjNS1_19radix_merge_compareILb0ELb0EsNS0_19identity_decomposerEEEEE10hipError_tT0_T1_T2_jT3_P12ihipStream_tbPNSt15iterator_traitsISG_E10value_typeEPNSM_ISH_E10value_typeEPSI_NS1_7vsmem_tEENKUlT_SG_SH_SI_E_clIS7_S7_PlSB_EESF_SV_SG_SH_SI_EUlSV_E0_NS1_11comp_targetILNS1_3genE9ELNS1_11target_archE1100ELNS1_3gpuE3ELNS1_3repE0EEENS1_38merge_mergepath_config_static_selectorELNS0_4arch9wavefront6targetE1EEEvSH_
                                        ; -- End function
	.section	.AMDGPU.csdata,"",@progbits
; Kernel info:
; codeLenInByte = 0
; NumSgprs: 4
; NumVgprs: 0
; NumAgprs: 0
; TotalNumVgprs: 0
; ScratchSize: 0
; MemoryBound: 0
; FloatMode: 240
; IeeeMode: 1
; LDSByteSize: 0 bytes/workgroup (compile time only)
; SGPRBlocks: 0
; VGPRBlocks: 0
; NumSGPRsForWavesPerEU: 4
; NumVGPRsForWavesPerEU: 1
; AccumOffset: 4
; Occupancy: 8
; WaveLimiterHint : 0
; COMPUTE_PGM_RSRC2:SCRATCH_EN: 0
; COMPUTE_PGM_RSRC2:USER_SGPR: 6
; COMPUTE_PGM_RSRC2:TRAP_HANDLER: 0
; COMPUTE_PGM_RSRC2:TGID_X_EN: 1
; COMPUTE_PGM_RSRC2:TGID_Y_EN: 0
; COMPUTE_PGM_RSRC2:TGID_Z_EN: 0
; COMPUTE_PGM_RSRC2:TIDIG_COMP_CNT: 0
; COMPUTE_PGM_RSRC3_GFX90A:ACCUM_OFFSET: 0
; COMPUTE_PGM_RSRC3_GFX90A:TG_SPLIT: 0
	.section	.text._ZN7rocprim17ROCPRIM_400000_NS6detail17trampoline_kernelINS0_14default_configENS1_38merge_sort_block_merge_config_selectorIslEEZZNS1_27merge_sort_block_merge_implIS3_PsN6thrust23THRUST_200600_302600_NS10device_ptrIlEEjNS1_19radix_merge_compareILb0ELb0EsNS0_19identity_decomposerEEEEE10hipError_tT0_T1_T2_jT3_P12ihipStream_tbPNSt15iterator_traitsISG_E10value_typeEPNSM_ISH_E10value_typeEPSI_NS1_7vsmem_tEENKUlT_SG_SH_SI_E_clIS7_S7_PlSB_EESF_SV_SG_SH_SI_EUlSV_E0_NS1_11comp_targetILNS1_3genE8ELNS1_11target_archE1030ELNS1_3gpuE2ELNS1_3repE0EEENS1_38merge_mergepath_config_static_selectorELNS0_4arch9wavefront6targetE1EEEvSH_,"axG",@progbits,_ZN7rocprim17ROCPRIM_400000_NS6detail17trampoline_kernelINS0_14default_configENS1_38merge_sort_block_merge_config_selectorIslEEZZNS1_27merge_sort_block_merge_implIS3_PsN6thrust23THRUST_200600_302600_NS10device_ptrIlEEjNS1_19radix_merge_compareILb0ELb0EsNS0_19identity_decomposerEEEEE10hipError_tT0_T1_T2_jT3_P12ihipStream_tbPNSt15iterator_traitsISG_E10value_typeEPNSM_ISH_E10value_typeEPSI_NS1_7vsmem_tEENKUlT_SG_SH_SI_E_clIS7_S7_PlSB_EESF_SV_SG_SH_SI_EUlSV_E0_NS1_11comp_targetILNS1_3genE8ELNS1_11target_archE1030ELNS1_3gpuE2ELNS1_3repE0EEENS1_38merge_mergepath_config_static_selectorELNS0_4arch9wavefront6targetE1EEEvSH_,comdat
	.protected	_ZN7rocprim17ROCPRIM_400000_NS6detail17trampoline_kernelINS0_14default_configENS1_38merge_sort_block_merge_config_selectorIslEEZZNS1_27merge_sort_block_merge_implIS3_PsN6thrust23THRUST_200600_302600_NS10device_ptrIlEEjNS1_19radix_merge_compareILb0ELb0EsNS0_19identity_decomposerEEEEE10hipError_tT0_T1_T2_jT3_P12ihipStream_tbPNSt15iterator_traitsISG_E10value_typeEPNSM_ISH_E10value_typeEPSI_NS1_7vsmem_tEENKUlT_SG_SH_SI_E_clIS7_S7_PlSB_EESF_SV_SG_SH_SI_EUlSV_E0_NS1_11comp_targetILNS1_3genE8ELNS1_11target_archE1030ELNS1_3gpuE2ELNS1_3repE0EEENS1_38merge_mergepath_config_static_selectorELNS0_4arch9wavefront6targetE1EEEvSH_ ; -- Begin function _ZN7rocprim17ROCPRIM_400000_NS6detail17trampoline_kernelINS0_14default_configENS1_38merge_sort_block_merge_config_selectorIslEEZZNS1_27merge_sort_block_merge_implIS3_PsN6thrust23THRUST_200600_302600_NS10device_ptrIlEEjNS1_19radix_merge_compareILb0ELb0EsNS0_19identity_decomposerEEEEE10hipError_tT0_T1_T2_jT3_P12ihipStream_tbPNSt15iterator_traitsISG_E10value_typeEPNSM_ISH_E10value_typeEPSI_NS1_7vsmem_tEENKUlT_SG_SH_SI_E_clIS7_S7_PlSB_EESF_SV_SG_SH_SI_EUlSV_E0_NS1_11comp_targetILNS1_3genE8ELNS1_11target_archE1030ELNS1_3gpuE2ELNS1_3repE0EEENS1_38merge_mergepath_config_static_selectorELNS0_4arch9wavefront6targetE1EEEvSH_
	.globl	_ZN7rocprim17ROCPRIM_400000_NS6detail17trampoline_kernelINS0_14default_configENS1_38merge_sort_block_merge_config_selectorIslEEZZNS1_27merge_sort_block_merge_implIS3_PsN6thrust23THRUST_200600_302600_NS10device_ptrIlEEjNS1_19radix_merge_compareILb0ELb0EsNS0_19identity_decomposerEEEEE10hipError_tT0_T1_T2_jT3_P12ihipStream_tbPNSt15iterator_traitsISG_E10value_typeEPNSM_ISH_E10value_typeEPSI_NS1_7vsmem_tEENKUlT_SG_SH_SI_E_clIS7_S7_PlSB_EESF_SV_SG_SH_SI_EUlSV_E0_NS1_11comp_targetILNS1_3genE8ELNS1_11target_archE1030ELNS1_3gpuE2ELNS1_3repE0EEENS1_38merge_mergepath_config_static_selectorELNS0_4arch9wavefront6targetE1EEEvSH_
	.p2align	8
	.type	_ZN7rocprim17ROCPRIM_400000_NS6detail17trampoline_kernelINS0_14default_configENS1_38merge_sort_block_merge_config_selectorIslEEZZNS1_27merge_sort_block_merge_implIS3_PsN6thrust23THRUST_200600_302600_NS10device_ptrIlEEjNS1_19radix_merge_compareILb0ELb0EsNS0_19identity_decomposerEEEEE10hipError_tT0_T1_T2_jT3_P12ihipStream_tbPNSt15iterator_traitsISG_E10value_typeEPNSM_ISH_E10value_typeEPSI_NS1_7vsmem_tEENKUlT_SG_SH_SI_E_clIS7_S7_PlSB_EESF_SV_SG_SH_SI_EUlSV_E0_NS1_11comp_targetILNS1_3genE8ELNS1_11target_archE1030ELNS1_3gpuE2ELNS1_3repE0EEENS1_38merge_mergepath_config_static_selectorELNS0_4arch9wavefront6targetE1EEEvSH_,@function
_ZN7rocprim17ROCPRIM_400000_NS6detail17trampoline_kernelINS0_14default_configENS1_38merge_sort_block_merge_config_selectorIslEEZZNS1_27merge_sort_block_merge_implIS3_PsN6thrust23THRUST_200600_302600_NS10device_ptrIlEEjNS1_19radix_merge_compareILb0ELb0EsNS0_19identity_decomposerEEEEE10hipError_tT0_T1_T2_jT3_P12ihipStream_tbPNSt15iterator_traitsISG_E10value_typeEPNSM_ISH_E10value_typeEPSI_NS1_7vsmem_tEENKUlT_SG_SH_SI_E_clIS7_S7_PlSB_EESF_SV_SG_SH_SI_EUlSV_E0_NS1_11comp_targetILNS1_3genE8ELNS1_11target_archE1030ELNS1_3gpuE2ELNS1_3repE0EEENS1_38merge_mergepath_config_static_selectorELNS0_4arch9wavefront6targetE1EEEvSH_: ; @_ZN7rocprim17ROCPRIM_400000_NS6detail17trampoline_kernelINS0_14default_configENS1_38merge_sort_block_merge_config_selectorIslEEZZNS1_27merge_sort_block_merge_implIS3_PsN6thrust23THRUST_200600_302600_NS10device_ptrIlEEjNS1_19radix_merge_compareILb0ELb0EsNS0_19identity_decomposerEEEEE10hipError_tT0_T1_T2_jT3_P12ihipStream_tbPNSt15iterator_traitsISG_E10value_typeEPNSM_ISH_E10value_typeEPSI_NS1_7vsmem_tEENKUlT_SG_SH_SI_E_clIS7_S7_PlSB_EESF_SV_SG_SH_SI_EUlSV_E0_NS1_11comp_targetILNS1_3genE8ELNS1_11target_archE1030ELNS1_3gpuE2ELNS1_3repE0EEENS1_38merge_mergepath_config_static_selectorELNS0_4arch9wavefront6targetE1EEEvSH_
; %bb.0:
	.section	.rodata,"a",@progbits
	.p2align	6, 0x0
	.amdhsa_kernel _ZN7rocprim17ROCPRIM_400000_NS6detail17trampoline_kernelINS0_14default_configENS1_38merge_sort_block_merge_config_selectorIslEEZZNS1_27merge_sort_block_merge_implIS3_PsN6thrust23THRUST_200600_302600_NS10device_ptrIlEEjNS1_19radix_merge_compareILb0ELb0EsNS0_19identity_decomposerEEEEE10hipError_tT0_T1_T2_jT3_P12ihipStream_tbPNSt15iterator_traitsISG_E10value_typeEPNSM_ISH_E10value_typeEPSI_NS1_7vsmem_tEENKUlT_SG_SH_SI_E_clIS7_S7_PlSB_EESF_SV_SG_SH_SI_EUlSV_E0_NS1_11comp_targetILNS1_3genE8ELNS1_11target_archE1030ELNS1_3gpuE2ELNS1_3repE0EEENS1_38merge_mergepath_config_static_selectorELNS0_4arch9wavefront6targetE1EEEvSH_
		.amdhsa_group_segment_fixed_size 0
		.amdhsa_private_segment_fixed_size 0
		.amdhsa_kernarg_size 64
		.amdhsa_user_sgpr_count 6
		.amdhsa_user_sgpr_private_segment_buffer 1
		.amdhsa_user_sgpr_dispatch_ptr 0
		.amdhsa_user_sgpr_queue_ptr 0
		.amdhsa_user_sgpr_kernarg_segment_ptr 1
		.amdhsa_user_sgpr_dispatch_id 0
		.amdhsa_user_sgpr_flat_scratch_init 0
		.amdhsa_user_sgpr_kernarg_preload_length 0
		.amdhsa_user_sgpr_kernarg_preload_offset 0
		.amdhsa_user_sgpr_private_segment_size 0
		.amdhsa_uses_dynamic_stack 0
		.amdhsa_system_sgpr_private_segment_wavefront_offset 0
		.amdhsa_system_sgpr_workgroup_id_x 1
		.amdhsa_system_sgpr_workgroup_id_y 0
		.amdhsa_system_sgpr_workgroup_id_z 0
		.amdhsa_system_sgpr_workgroup_info 0
		.amdhsa_system_vgpr_workitem_id 0
		.amdhsa_next_free_vgpr 1
		.amdhsa_next_free_sgpr 0
		.amdhsa_accum_offset 4
		.amdhsa_reserve_vcc 0
		.amdhsa_reserve_flat_scratch 0
		.amdhsa_float_round_mode_32 0
		.amdhsa_float_round_mode_16_64 0
		.amdhsa_float_denorm_mode_32 3
		.amdhsa_float_denorm_mode_16_64 3
		.amdhsa_dx10_clamp 1
		.amdhsa_ieee_mode 1
		.amdhsa_fp16_overflow 0
		.amdhsa_tg_split 0
		.amdhsa_exception_fp_ieee_invalid_op 0
		.amdhsa_exception_fp_denorm_src 0
		.amdhsa_exception_fp_ieee_div_zero 0
		.amdhsa_exception_fp_ieee_overflow 0
		.amdhsa_exception_fp_ieee_underflow 0
		.amdhsa_exception_fp_ieee_inexact 0
		.amdhsa_exception_int_div_zero 0
	.end_amdhsa_kernel
	.section	.text._ZN7rocprim17ROCPRIM_400000_NS6detail17trampoline_kernelINS0_14default_configENS1_38merge_sort_block_merge_config_selectorIslEEZZNS1_27merge_sort_block_merge_implIS3_PsN6thrust23THRUST_200600_302600_NS10device_ptrIlEEjNS1_19radix_merge_compareILb0ELb0EsNS0_19identity_decomposerEEEEE10hipError_tT0_T1_T2_jT3_P12ihipStream_tbPNSt15iterator_traitsISG_E10value_typeEPNSM_ISH_E10value_typeEPSI_NS1_7vsmem_tEENKUlT_SG_SH_SI_E_clIS7_S7_PlSB_EESF_SV_SG_SH_SI_EUlSV_E0_NS1_11comp_targetILNS1_3genE8ELNS1_11target_archE1030ELNS1_3gpuE2ELNS1_3repE0EEENS1_38merge_mergepath_config_static_selectorELNS0_4arch9wavefront6targetE1EEEvSH_,"axG",@progbits,_ZN7rocprim17ROCPRIM_400000_NS6detail17trampoline_kernelINS0_14default_configENS1_38merge_sort_block_merge_config_selectorIslEEZZNS1_27merge_sort_block_merge_implIS3_PsN6thrust23THRUST_200600_302600_NS10device_ptrIlEEjNS1_19radix_merge_compareILb0ELb0EsNS0_19identity_decomposerEEEEE10hipError_tT0_T1_T2_jT3_P12ihipStream_tbPNSt15iterator_traitsISG_E10value_typeEPNSM_ISH_E10value_typeEPSI_NS1_7vsmem_tEENKUlT_SG_SH_SI_E_clIS7_S7_PlSB_EESF_SV_SG_SH_SI_EUlSV_E0_NS1_11comp_targetILNS1_3genE8ELNS1_11target_archE1030ELNS1_3gpuE2ELNS1_3repE0EEENS1_38merge_mergepath_config_static_selectorELNS0_4arch9wavefront6targetE1EEEvSH_,comdat
.Lfunc_end1291:
	.size	_ZN7rocprim17ROCPRIM_400000_NS6detail17trampoline_kernelINS0_14default_configENS1_38merge_sort_block_merge_config_selectorIslEEZZNS1_27merge_sort_block_merge_implIS3_PsN6thrust23THRUST_200600_302600_NS10device_ptrIlEEjNS1_19radix_merge_compareILb0ELb0EsNS0_19identity_decomposerEEEEE10hipError_tT0_T1_T2_jT3_P12ihipStream_tbPNSt15iterator_traitsISG_E10value_typeEPNSM_ISH_E10value_typeEPSI_NS1_7vsmem_tEENKUlT_SG_SH_SI_E_clIS7_S7_PlSB_EESF_SV_SG_SH_SI_EUlSV_E0_NS1_11comp_targetILNS1_3genE8ELNS1_11target_archE1030ELNS1_3gpuE2ELNS1_3repE0EEENS1_38merge_mergepath_config_static_selectorELNS0_4arch9wavefront6targetE1EEEvSH_, .Lfunc_end1291-_ZN7rocprim17ROCPRIM_400000_NS6detail17trampoline_kernelINS0_14default_configENS1_38merge_sort_block_merge_config_selectorIslEEZZNS1_27merge_sort_block_merge_implIS3_PsN6thrust23THRUST_200600_302600_NS10device_ptrIlEEjNS1_19radix_merge_compareILb0ELb0EsNS0_19identity_decomposerEEEEE10hipError_tT0_T1_T2_jT3_P12ihipStream_tbPNSt15iterator_traitsISG_E10value_typeEPNSM_ISH_E10value_typeEPSI_NS1_7vsmem_tEENKUlT_SG_SH_SI_E_clIS7_S7_PlSB_EESF_SV_SG_SH_SI_EUlSV_E0_NS1_11comp_targetILNS1_3genE8ELNS1_11target_archE1030ELNS1_3gpuE2ELNS1_3repE0EEENS1_38merge_mergepath_config_static_selectorELNS0_4arch9wavefront6targetE1EEEvSH_
                                        ; -- End function
	.section	.AMDGPU.csdata,"",@progbits
; Kernel info:
; codeLenInByte = 0
; NumSgprs: 4
; NumVgprs: 0
; NumAgprs: 0
; TotalNumVgprs: 0
; ScratchSize: 0
; MemoryBound: 0
; FloatMode: 240
; IeeeMode: 1
; LDSByteSize: 0 bytes/workgroup (compile time only)
; SGPRBlocks: 0
; VGPRBlocks: 0
; NumSGPRsForWavesPerEU: 4
; NumVGPRsForWavesPerEU: 1
; AccumOffset: 4
; Occupancy: 8
; WaveLimiterHint : 0
; COMPUTE_PGM_RSRC2:SCRATCH_EN: 0
; COMPUTE_PGM_RSRC2:USER_SGPR: 6
; COMPUTE_PGM_RSRC2:TRAP_HANDLER: 0
; COMPUTE_PGM_RSRC2:TGID_X_EN: 1
; COMPUTE_PGM_RSRC2:TGID_Y_EN: 0
; COMPUTE_PGM_RSRC2:TGID_Z_EN: 0
; COMPUTE_PGM_RSRC2:TIDIG_COMP_CNT: 0
; COMPUTE_PGM_RSRC3_GFX90A:ACCUM_OFFSET: 0
; COMPUTE_PGM_RSRC3_GFX90A:TG_SPLIT: 0
	.section	.text._ZN7rocprim17ROCPRIM_400000_NS6detail17trampoline_kernelINS0_14default_configENS1_38merge_sort_block_merge_config_selectorIslEEZZNS1_27merge_sort_block_merge_implIS3_PsN6thrust23THRUST_200600_302600_NS10device_ptrIlEEjNS1_19radix_merge_compareILb0ELb0EsNS0_19identity_decomposerEEEEE10hipError_tT0_T1_T2_jT3_P12ihipStream_tbPNSt15iterator_traitsISG_E10value_typeEPNSM_ISH_E10value_typeEPSI_NS1_7vsmem_tEENKUlT_SG_SH_SI_E_clIS7_S7_PlSB_EESF_SV_SG_SH_SI_EUlSV_E1_NS1_11comp_targetILNS1_3genE0ELNS1_11target_archE4294967295ELNS1_3gpuE0ELNS1_3repE0EEENS1_36merge_oddeven_config_static_selectorELNS0_4arch9wavefront6targetE1EEEvSH_,"axG",@progbits,_ZN7rocprim17ROCPRIM_400000_NS6detail17trampoline_kernelINS0_14default_configENS1_38merge_sort_block_merge_config_selectorIslEEZZNS1_27merge_sort_block_merge_implIS3_PsN6thrust23THRUST_200600_302600_NS10device_ptrIlEEjNS1_19radix_merge_compareILb0ELb0EsNS0_19identity_decomposerEEEEE10hipError_tT0_T1_T2_jT3_P12ihipStream_tbPNSt15iterator_traitsISG_E10value_typeEPNSM_ISH_E10value_typeEPSI_NS1_7vsmem_tEENKUlT_SG_SH_SI_E_clIS7_S7_PlSB_EESF_SV_SG_SH_SI_EUlSV_E1_NS1_11comp_targetILNS1_3genE0ELNS1_11target_archE4294967295ELNS1_3gpuE0ELNS1_3repE0EEENS1_36merge_oddeven_config_static_selectorELNS0_4arch9wavefront6targetE1EEEvSH_,comdat
	.protected	_ZN7rocprim17ROCPRIM_400000_NS6detail17trampoline_kernelINS0_14default_configENS1_38merge_sort_block_merge_config_selectorIslEEZZNS1_27merge_sort_block_merge_implIS3_PsN6thrust23THRUST_200600_302600_NS10device_ptrIlEEjNS1_19radix_merge_compareILb0ELb0EsNS0_19identity_decomposerEEEEE10hipError_tT0_T1_T2_jT3_P12ihipStream_tbPNSt15iterator_traitsISG_E10value_typeEPNSM_ISH_E10value_typeEPSI_NS1_7vsmem_tEENKUlT_SG_SH_SI_E_clIS7_S7_PlSB_EESF_SV_SG_SH_SI_EUlSV_E1_NS1_11comp_targetILNS1_3genE0ELNS1_11target_archE4294967295ELNS1_3gpuE0ELNS1_3repE0EEENS1_36merge_oddeven_config_static_selectorELNS0_4arch9wavefront6targetE1EEEvSH_ ; -- Begin function _ZN7rocprim17ROCPRIM_400000_NS6detail17trampoline_kernelINS0_14default_configENS1_38merge_sort_block_merge_config_selectorIslEEZZNS1_27merge_sort_block_merge_implIS3_PsN6thrust23THRUST_200600_302600_NS10device_ptrIlEEjNS1_19radix_merge_compareILb0ELb0EsNS0_19identity_decomposerEEEEE10hipError_tT0_T1_T2_jT3_P12ihipStream_tbPNSt15iterator_traitsISG_E10value_typeEPNSM_ISH_E10value_typeEPSI_NS1_7vsmem_tEENKUlT_SG_SH_SI_E_clIS7_S7_PlSB_EESF_SV_SG_SH_SI_EUlSV_E1_NS1_11comp_targetILNS1_3genE0ELNS1_11target_archE4294967295ELNS1_3gpuE0ELNS1_3repE0EEENS1_36merge_oddeven_config_static_selectorELNS0_4arch9wavefront6targetE1EEEvSH_
	.globl	_ZN7rocprim17ROCPRIM_400000_NS6detail17trampoline_kernelINS0_14default_configENS1_38merge_sort_block_merge_config_selectorIslEEZZNS1_27merge_sort_block_merge_implIS3_PsN6thrust23THRUST_200600_302600_NS10device_ptrIlEEjNS1_19radix_merge_compareILb0ELb0EsNS0_19identity_decomposerEEEEE10hipError_tT0_T1_T2_jT3_P12ihipStream_tbPNSt15iterator_traitsISG_E10value_typeEPNSM_ISH_E10value_typeEPSI_NS1_7vsmem_tEENKUlT_SG_SH_SI_E_clIS7_S7_PlSB_EESF_SV_SG_SH_SI_EUlSV_E1_NS1_11comp_targetILNS1_3genE0ELNS1_11target_archE4294967295ELNS1_3gpuE0ELNS1_3repE0EEENS1_36merge_oddeven_config_static_selectorELNS0_4arch9wavefront6targetE1EEEvSH_
	.p2align	8
	.type	_ZN7rocprim17ROCPRIM_400000_NS6detail17trampoline_kernelINS0_14default_configENS1_38merge_sort_block_merge_config_selectorIslEEZZNS1_27merge_sort_block_merge_implIS3_PsN6thrust23THRUST_200600_302600_NS10device_ptrIlEEjNS1_19radix_merge_compareILb0ELb0EsNS0_19identity_decomposerEEEEE10hipError_tT0_T1_T2_jT3_P12ihipStream_tbPNSt15iterator_traitsISG_E10value_typeEPNSM_ISH_E10value_typeEPSI_NS1_7vsmem_tEENKUlT_SG_SH_SI_E_clIS7_S7_PlSB_EESF_SV_SG_SH_SI_EUlSV_E1_NS1_11comp_targetILNS1_3genE0ELNS1_11target_archE4294967295ELNS1_3gpuE0ELNS1_3repE0EEENS1_36merge_oddeven_config_static_selectorELNS0_4arch9wavefront6targetE1EEEvSH_,@function
_ZN7rocprim17ROCPRIM_400000_NS6detail17trampoline_kernelINS0_14default_configENS1_38merge_sort_block_merge_config_selectorIslEEZZNS1_27merge_sort_block_merge_implIS3_PsN6thrust23THRUST_200600_302600_NS10device_ptrIlEEjNS1_19radix_merge_compareILb0ELb0EsNS0_19identity_decomposerEEEEE10hipError_tT0_T1_T2_jT3_P12ihipStream_tbPNSt15iterator_traitsISG_E10value_typeEPNSM_ISH_E10value_typeEPSI_NS1_7vsmem_tEENKUlT_SG_SH_SI_E_clIS7_S7_PlSB_EESF_SV_SG_SH_SI_EUlSV_E1_NS1_11comp_targetILNS1_3genE0ELNS1_11target_archE4294967295ELNS1_3gpuE0ELNS1_3repE0EEENS1_36merge_oddeven_config_static_selectorELNS0_4arch9wavefront6targetE1EEEvSH_: ; @_ZN7rocprim17ROCPRIM_400000_NS6detail17trampoline_kernelINS0_14default_configENS1_38merge_sort_block_merge_config_selectorIslEEZZNS1_27merge_sort_block_merge_implIS3_PsN6thrust23THRUST_200600_302600_NS10device_ptrIlEEjNS1_19radix_merge_compareILb0ELb0EsNS0_19identity_decomposerEEEEE10hipError_tT0_T1_T2_jT3_P12ihipStream_tbPNSt15iterator_traitsISG_E10value_typeEPNSM_ISH_E10value_typeEPSI_NS1_7vsmem_tEENKUlT_SG_SH_SI_E_clIS7_S7_PlSB_EESF_SV_SG_SH_SI_EUlSV_E1_NS1_11comp_targetILNS1_3genE0ELNS1_11target_archE4294967295ELNS1_3gpuE0ELNS1_3repE0EEENS1_36merge_oddeven_config_static_selectorELNS0_4arch9wavefront6targetE1EEEvSH_
; %bb.0:
	.section	.rodata,"a",@progbits
	.p2align	6, 0x0
	.amdhsa_kernel _ZN7rocprim17ROCPRIM_400000_NS6detail17trampoline_kernelINS0_14default_configENS1_38merge_sort_block_merge_config_selectorIslEEZZNS1_27merge_sort_block_merge_implIS3_PsN6thrust23THRUST_200600_302600_NS10device_ptrIlEEjNS1_19radix_merge_compareILb0ELb0EsNS0_19identity_decomposerEEEEE10hipError_tT0_T1_T2_jT3_P12ihipStream_tbPNSt15iterator_traitsISG_E10value_typeEPNSM_ISH_E10value_typeEPSI_NS1_7vsmem_tEENKUlT_SG_SH_SI_E_clIS7_S7_PlSB_EESF_SV_SG_SH_SI_EUlSV_E1_NS1_11comp_targetILNS1_3genE0ELNS1_11target_archE4294967295ELNS1_3gpuE0ELNS1_3repE0EEENS1_36merge_oddeven_config_static_selectorELNS0_4arch9wavefront6targetE1EEEvSH_
		.amdhsa_group_segment_fixed_size 0
		.amdhsa_private_segment_fixed_size 0
		.amdhsa_kernarg_size 48
		.amdhsa_user_sgpr_count 6
		.amdhsa_user_sgpr_private_segment_buffer 1
		.amdhsa_user_sgpr_dispatch_ptr 0
		.amdhsa_user_sgpr_queue_ptr 0
		.amdhsa_user_sgpr_kernarg_segment_ptr 1
		.amdhsa_user_sgpr_dispatch_id 0
		.amdhsa_user_sgpr_flat_scratch_init 0
		.amdhsa_user_sgpr_kernarg_preload_length 0
		.amdhsa_user_sgpr_kernarg_preload_offset 0
		.amdhsa_user_sgpr_private_segment_size 0
		.amdhsa_uses_dynamic_stack 0
		.amdhsa_system_sgpr_private_segment_wavefront_offset 0
		.amdhsa_system_sgpr_workgroup_id_x 1
		.amdhsa_system_sgpr_workgroup_id_y 0
		.amdhsa_system_sgpr_workgroup_id_z 0
		.amdhsa_system_sgpr_workgroup_info 0
		.amdhsa_system_vgpr_workitem_id 0
		.amdhsa_next_free_vgpr 1
		.amdhsa_next_free_sgpr 0
		.amdhsa_accum_offset 4
		.amdhsa_reserve_vcc 0
		.amdhsa_reserve_flat_scratch 0
		.amdhsa_float_round_mode_32 0
		.amdhsa_float_round_mode_16_64 0
		.amdhsa_float_denorm_mode_32 3
		.amdhsa_float_denorm_mode_16_64 3
		.amdhsa_dx10_clamp 1
		.amdhsa_ieee_mode 1
		.amdhsa_fp16_overflow 0
		.amdhsa_tg_split 0
		.amdhsa_exception_fp_ieee_invalid_op 0
		.amdhsa_exception_fp_denorm_src 0
		.amdhsa_exception_fp_ieee_div_zero 0
		.amdhsa_exception_fp_ieee_overflow 0
		.amdhsa_exception_fp_ieee_underflow 0
		.amdhsa_exception_fp_ieee_inexact 0
		.amdhsa_exception_int_div_zero 0
	.end_amdhsa_kernel
	.section	.text._ZN7rocprim17ROCPRIM_400000_NS6detail17trampoline_kernelINS0_14default_configENS1_38merge_sort_block_merge_config_selectorIslEEZZNS1_27merge_sort_block_merge_implIS3_PsN6thrust23THRUST_200600_302600_NS10device_ptrIlEEjNS1_19radix_merge_compareILb0ELb0EsNS0_19identity_decomposerEEEEE10hipError_tT0_T1_T2_jT3_P12ihipStream_tbPNSt15iterator_traitsISG_E10value_typeEPNSM_ISH_E10value_typeEPSI_NS1_7vsmem_tEENKUlT_SG_SH_SI_E_clIS7_S7_PlSB_EESF_SV_SG_SH_SI_EUlSV_E1_NS1_11comp_targetILNS1_3genE0ELNS1_11target_archE4294967295ELNS1_3gpuE0ELNS1_3repE0EEENS1_36merge_oddeven_config_static_selectorELNS0_4arch9wavefront6targetE1EEEvSH_,"axG",@progbits,_ZN7rocprim17ROCPRIM_400000_NS6detail17trampoline_kernelINS0_14default_configENS1_38merge_sort_block_merge_config_selectorIslEEZZNS1_27merge_sort_block_merge_implIS3_PsN6thrust23THRUST_200600_302600_NS10device_ptrIlEEjNS1_19radix_merge_compareILb0ELb0EsNS0_19identity_decomposerEEEEE10hipError_tT0_T1_T2_jT3_P12ihipStream_tbPNSt15iterator_traitsISG_E10value_typeEPNSM_ISH_E10value_typeEPSI_NS1_7vsmem_tEENKUlT_SG_SH_SI_E_clIS7_S7_PlSB_EESF_SV_SG_SH_SI_EUlSV_E1_NS1_11comp_targetILNS1_3genE0ELNS1_11target_archE4294967295ELNS1_3gpuE0ELNS1_3repE0EEENS1_36merge_oddeven_config_static_selectorELNS0_4arch9wavefront6targetE1EEEvSH_,comdat
.Lfunc_end1292:
	.size	_ZN7rocprim17ROCPRIM_400000_NS6detail17trampoline_kernelINS0_14default_configENS1_38merge_sort_block_merge_config_selectorIslEEZZNS1_27merge_sort_block_merge_implIS3_PsN6thrust23THRUST_200600_302600_NS10device_ptrIlEEjNS1_19radix_merge_compareILb0ELb0EsNS0_19identity_decomposerEEEEE10hipError_tT0_T1_T2_jT3_P12ihipStream_tbPNSt15iterator_traitsISG_E10value_typeEPNSM_ISH_E10value_typeEPSI_NS1_7vsmem_tEENKUlT_SG_SH_SI_E_clIS7_S7_PlSB_EESF_SV_SG_SH_SI_EUlSV_E1_NS1_11comp_targetILNS1_3genE0ELNS1_11target_archE4294967295ELNS1_3gpuE0ELNS1_3repE0EEENS1_36merge_oddeven_config_static_selectorELNS0_4arch9wavefront6targetE1EEEvSH_, .Lfunc_end1292-_ZN7rocprim17ROCPRIM_400000_NS6detail17trampoline_kernelINS0_14default_configENS1_38merge_sort_block_merge_config_selectorIslEEZZNS1_27merge_sort_block_merge_implIS3_PsN6thrust23THRUST_200600_302600_NS10device_ptrIlEEjNS1_19radix_merge_compareILb0ELb0EsNS0_19identity_decomposerEEEEE10hipError_tT0_T1_T2_jT3_P12ihipStream_tbPNSt15iterator_traitsISG_E10value_typeEPNSM_ISH_E10value_typeEPSI_NS1_7vsmem_tEENKUlT_SG_SH_SI_E_clIS7_S7_PlSB_EESF_SV_SG_SH_SI_EUlSV_E1_NS1_11comp_targetILNS1_3genE0ELNS1_11target_archE4294967295ELNS1_3gpuE0ELNS1_3repE0EEENS1_36merge_oddeven_config_static_selectorELNS0_4arch9wavefront6targetE1EEEvSH_
                                        ; -- End function
	.section	.AMDGPU.csdata,"",@progbits
; Kernel info:
; codeLenInByte = 0
; NumSgprs: 4
; NumVgprs: 0
; NumAgprs: 0
; TotalNumVgprs: 0
; ScratchSize: 0
; MemoryBound: 0
; FloatMode: 240
; IeeeMode: 1
; LDSByteSize: 0 bytes/workgroup (compile time only)
; SGPRBlocks: 0
; VGPRBlocks: 0
; NumSGPRsForWavesPerEU: 4
; NumVGPRsForWavesPerEU: 1
; AccumOffset: 4
; Occupancy: 8
; WaveLimiterHint : 0
; COMPUTE_PGM_RSRC2:SCRATCH_EN: 0
; COMPUTE_PGM_RSRC2:USER_SGPR: 6
; COMPUTE_PGM_RSRC2:TRAP_HANDLER: 0
; COMPUTE_PGM_RSRC2:TGID_X_EN: 1
; COMPUTE_PGM_RSRC2:TGID_Y_EN: 0
; COMPUTE_PGM_RSRC2:TGID_Z_EN: 0
; COMPUTE_PGM_RSRC2:TIDIG_COMP_CNT: 0
; COMPUTE_PGM_RSRC3_GFX90A:ACCUM_OFFSET: 0
; COMPUTE_PGM_RSRC3_GFX90A:TG_SPLIT: 0
	.section	.text._ZN7rocprim17ROCPRIM_400000_NS6detail17trampoline_kernelINS0_14default_configENS1_38merge_sort_block_merge_config_selectorIslEEZZNS1_27merge_sort_block_merge_implIS3_PsN6thrust23THRUST_200600_302600_NS10device_ptrIlEEjNS1_19radix_merge_compareILb0ELb0EsNS0_19identity_decomposerEEEEE10hipError_tT0_T1_T2_jT3_P12ihipStream_tbPNSt15iterator_traitsISG_E10value_typeEPNSM_ISH_E10value_typeEPSI_NS1_7vsmem_tEENKUlT_SG_SH_SI_E_clIS7_S7_PlSB_EESF_SV_SG_SH_SI_EUlSV_E1_NS1_11comp_targetILNS1_3genE10ELNS1_11target_archE1201ELNS1_3gpuE5ELNS1_3repE0EEENS1_36merge_oddeven_config_static_selectorELNS0_4arch9wavefront6targetE1EEEvSH_,"axG",@progbits,_ZN7rocprim17ROCPRIM_400000_NS6detail17trampoline_kernelINS0_14default_configENS1_38merge_sort_block_merge_config_selectorIslEEZZNS1_27merge_sort_block_merge_implIS3_PsN6thrust23THRUST_200600_302600_NS10device_ptrIlEEjNS1_19radix_merge_compareILb0ELb0EsNS0_19identity_decomposerEEEEE10hipError_tT0_T1_T2_jT3_P12ihipStream_tbPNSt15iterator_traitsISG_E10value_typeEPNSM_ISH_E10value_typeEPSI_NS1_7vsmem_tEENKUlT_SG_SH_SI_E_clIS7_S7_PlSB_EESF_SV_SG_SH_SI_EUlSV_E1_NS1_11comp_targetILNS1_3genE10ELNS1_11target_archE1201ELNS1_3gpuE5ELNS1_3repE0EEENS1_36merge_oddeven_config_static_selectorELNS0_4arch9wavefront6targetE1EEEvSH_,comdat
	.protected	_ZN7rocprim17ROCPRIM_400000_NS6detail17trampoline_kernelINS0_14default_configENS1_38merge_sort_block_merge_config_selectorIslEEZZNS1_27merge_sort_block_merge_implIS3_PsN6thrust23THRUST_200600_302600_NS10device_ptrIlEEjNS1_19radix_merge_compareILb0ELb0EsNS0_19identity_decomposerEEEEE10hipError_tT0_T1_T2_jT3_P12ihipStream_tbPNSt15iterator_traitsISG_E10value_typeEPNSM_ISH_E10value_typeEPSI_NS1_7vsmem_tEENKUlT_SG_SH_SI_E_clIS7_S7_PlSB_EESF_SV_SG_SH_SI_EUlSV_E1_NS1_11comp_targetILNS1_3genE10ELNS1_11target_archE1201ELNS1_3gpuE5ELNS1_3repE0EEENS1_36merge_oddeven_config_static_selectorELNS0_4arch9wavefront6targetE1EEEvSH_ ; -- Begin function _ZN7rocprim17ROCPRIM_400000_NS6detail17trampoline_kernelINS0_14default_configENS1_38merge_sort_block_merge_config_selectorIslEEZZNS1_27merge_sort_block_merge_implIS3_PsN6thrust23THRUST_200600_302600_NS10device_ptrIlEEjNS1_19radix_merge_compareILb0ELb0EsNS0_19identity_decomposerEEEEE10hipError_tT0_T1_T2_jT3_P12ihipStream_tbPNSt15iterator_traitsISG_E10value_typeEPNSM_ISH_E10value_typeEPSI_NS1_7vsmem_tEENKUlT_SG_SH_SI_E_clIS7_S7_PlSB_EESF_SV_SG_SH_SI_EUlSV_E1_NS1_11comp_targetILNS1_3genE10ELNS1_11target_archE1201ELNS1_3gpuE5ELNS1_3repE0EEENS1_36merge_oddeven_config_static_selectorELNS0_4arch9wavefront6targetE1EEEvSH_
	.globl	_ZN7rocprim17ROCPRIM_400000_NS6detail17trampoline_kernelINS0_14default_configENS1_38merge_sort_block_merge_config_selectorIslEEZZNS1_27merge_sort_block_merge_implIS3_PsN6thrust23THRUST_200600_302600_NS10device_ptrIlEEjNS1_19radix_merge_compareILb0ELb0EsNS0_19identity_decomposerEEEEE10hipError_tT0_T1_T2_jT3_P12ihipStream_tbPNSt15iterator_traitsISG_E10value_typeEPNSM_ISH_E10value_typeEPSI_NS1_7vsmem_tEENKUlT_SG_SH_SI_E_clIS7_S7_PlSB_EESF_SV_SG_SH_SI_EUlSV_E1_NS1_11comp_targetILNS1_3genE10ELNS1_11target_archE1201ELNS1_3gpuE5ELNS1_3repE0EEENS1_36merge_oddeven_config_static_selectorELNS0_4arch9wavefront6targetE1EEEvSH_
	.p2align	8
	.type	_ZN7rocprim17ROCPRIM_400000_NS6detail17trampoline_kernelINS0_14default_configENS1_38merge_sort_block_merge_config_selectorIslEEZZNS1_27merge_sort_block_merge_implIS3_PsN6thrust23THRUST_200600_302600_NS10device_ptrIlEEjNS1_19radix_merge_compareILb0ELb0EsNS0_19identity_decomposerEEEEE10hipError_tT0_T1_T2_jT3_P12ihipStream_tbPNSt15iterator_traitsISG_E10value_typeEPNSM_ISH_E10value_typeEPSI_NS1_7vsmem_tEENKUlT_SG_SH_SI_E_clIS7_S7_PlSB_EESF_SV_SG_SH_SI_EUlSV_E1_NS1_11comp_targetILNS1_3genE10ELNS1_11target_archE1201ELNS1_3gpuE5ELNS1_3repE0EEENS1_36merge_oddeven_config_static_selectorELNS0_4arch9wavefront6targetE1EEEvSH_,@function
_ZN7rocprim17ROCPRIM_400000_NS6detail17trampoline_kernelINS0_14default_configENS1_38merge_sort_block_merge_config_selectorIslEEZZNS1_27merge_sort_block_merge_implIS3_PsN6thrust23THRUST_200600_302600_NS10device_ptrIlEEjNS1_19radix_merge_compareILb0ELb0EsNS0_19identity_decomposerEEEEE10hipError_tT0_T1_T2_jT3_P12ihipStream_tbPNSt15iterator_traitsISG_E10value_typeEPNSM_ISH_E10value_typeEPSI_NS1_7vsmem_tEENKUlT_SG_SH_SI_E_clIS7_S7_PlSB_EESF_SV_SG_SH_SI_EUlSV_E1_NS1_11comp_targetILNS1_3genE10ELNS1_11target_archE1201ELNS1_3gpuE5ELNS1_3repE0EEENS1_36merge_oddeven_config_static_selectorELNS0_4arch9wavefront6targetE1EEEvSH_: ; @_ZN7rocprim17ROCPRIM_400000_NS6detail17trampoline_kernelINS0_14default_configENS1_38merge_sort_block_merge_config_selectorIslEEZZNS1_27merge_sort_block_merge_implIS3_PsN6thrust23THRUST_200600_302600_NS10device_ptrIlEEjNS1_19radix_merge_compareILb0ELb0EsNS0_19identity_decomposerEEEEE10hipError_tT0_T1_T2_jT3_P12ihipStream_tbPNSt15iterator_traitsISG_E10value_typeEPNSM_ISH_E10value_typeEPSI_NS1_7vsmem_tEENKUlT_SG_SH_SI_E_clIS7_S7_PlSB_EESF_SV_SG_SH_SI_EUlSV_E1_NS1_11comp_targetILNS1_3genE10ELNS1_11target_archE1201ELNS1_3gpuE5ELNS1_3repE0EEENS1_36merge_oddeven_config_static_selectorELNS0_4arch9wavefront6targetE1EEEvSH_
; %bb.0:
	.section	.rodata,"a",@progbits
	.p2align	6, 0x0
	.amdhsa_kernel _ZN7rocprim17ROCPRIM_400000_NS6detail17trampoline_kernelINS0_14default_configENS1_38merge_sort_block_merge_config_selectorIslEEZZNS1_27merge_sort_block_merge_implIS3_PsN6thrust23THRUST_200600_302600_NS10device_ptrIlEEjNS1_19radix_merge_compareILb0ELb0EsNS0_19identity_decomposerEEEEE10hipError_tT0_T1_T2_jT3_P12ihipStream_tbPNSt15iterator_traitsISG_E10value_typeEPNSM_ISH_E10value_typeEPSI_NS1_7vsmem_tEENKUlT_SG_SH_SI_E_clIS7_S7_PlSB_EESF_SV_SG_SH_SI_EUlSV_E1_NS1_11comp_targetILNS1_3genE10ELNS1_11target_archE1201ELNS1_3gpuE5ELNS1_3repE0EEENS1_36merge_oddeven_config_static_selectorELNS0_4arch9wavefront6targetE1EEEvSH_
		.amdhsa_group_segment_fixed_size 0
		.amdhsa_private_segment_fixed_size 0
		.amdhsa_kernarg_size 48
		.amdhsa_user_sgpr_count 6
		.amdhsa_user_sgpr_private_segment_buffer 1
		.amdhsa_user_sgpr_dispatch_ptr 0
		.amdhsa_user_sgpr_queue_ptr 0
		.amdhsa_user_sgpr_kernarg_segment_ptr 1
		.amdhsa_user_sgpr_dispatch_id 0
		.amdhsa_user_sgpr_flat_scratch_init 0
		.amdhsa_user_sgpr_kernarg_preload_length 0
		.amdhsa_user_sgpr_kernarg_preload_offset 0
		.amdhsa_user_sgpr_private_segment_size 0
		.amdhsa_uses_dynamic_stack 0
		.amdhsa_system_sgpr_private_segment_wavefront_offset 0
		.amdhsa_system_sgpr_workgroup_id_x 1
		.amdhsa_system_sgpr_workgroup_id_y 0
		.amdhsa_system_sgpr_workgroup_id_z 0
		.amdhsa_system_sgpr_workgroup_info 0
		.amdhsa_system_vgpr_workitem_id 0
		.amdhsa_next_free_vgpr 1
		.amdhsa_next_free_sgpr 0
		.amdhsa_accum_offset 4
		.amdhsa_reserve_vcc 0
		.amdhsa_reserve_flat_scratch 0
		.amdhsa_float_round_mode_32 0
		.amdhsa_float_round_mode_16_64 0
		.amdhsa_float_denorm_mode_32 3
		.amdhsa_float_denorm_mode_16_64 3
		.amdhsa_dx10_clamp 1
		.amdhsa_ieee_mode 1
		.amdhsa_fp16_overflow 0
		.amdhsa_tg_split 0
		.amdhsa_exception_fp_ieee_invalid_op 0
		.amdhsa_exception_fp_denorm_src 0
		.amdhsa_exception_fp_ieee_div_zero 0
		.amdhsa_exception_fp_ieee_overflow 0
		.amdhsa_exception_fp_ieee_underflow 0
		.amdhsa_exception_fp_ieee_inexact 0
		.amdhsa_exception_int_div_zero 0
	.end_amdhsa_kernel
	.section	.text._ZN7rocprim17ROCPRIM_400000_NS6detail17trampoline_kernelINS0_14default_configENS1_38merge_sort_block_merge_config_selectorIslEEZZNS1_27merge_sort_block_merge_implIS3_PsN6thrust23THRUST_200600_302600_NS10device_ptrIlEEjNS1_19radix_merge_compareILb0ELb0EsNS0_19identity_decomposerEEEEE10hipError_tT0_T1_T2_jT3_P12ihipStream_tbPNSt15iterator_traitsISG_E10value_typeEPNSM_ISH_E10value_typeEPSI_NS1_7vsmem_tEENKUlT_SG_SH_SI_E_clIS7_S7_PlSB_EESF_SV_SG_SH_SI_EUlSV_E1_NS1_11comp_targetILNS1_3genE10ELNS1_11target_archE1201ELNS1_3gpuE5ELNS1_3repE0EEENS1_36merge_oddeven_config_static_selectorELNS0_4arch9wavefront6targetE1EEEvSH_,"axG",@progbits,_ZN7rocprim17ROCPRIM_400000_NS6detail17trampoline_kernelINS0_14default_configENS1_38merge_sort_block_merge_config_selectorIslEEZZNS1_27merge_sort_block_merge_implIS3_PsN6thrust23THRUST_200600_302600_NS10device_ptrIlEEjNS1_19radix_merge_compareILb0ELb0EsNS0_19identity_decomposerEEEEE10hipError_tT0_T1_T2_jT3_P12ihipStream_tbPNSt15iterator_traitsISG_E10value_typeEPNSM_ISH_E10value_typeEPSI_NS1_7vsmem_tEENKUlT_SG_SH_SI_E_clIS7_S7_PlSB_EESF_SV_SG_SH_SI_EUlSV_E1_NS1_11comp_targetILNS1_3genE10ELNS1_11target_archE1201ELNS1_3gpuE5ELNS1_3repE0EEENS1_36merge_oddeven_config_static_selectorELNS0_4arch9wavefront6targetE1EEEvSH_,comdat
.Lfunc_end1293:
	.size	_ZN7rocprim17ROCPRIM_400000_NS6detail17trampoline_kernelINS0_14default_configENS1_38merge_sort_block_merge_config_selectorIslEEZZNS1_27merge_sort_block_merge_implIS3_PsN6thrust23THRUST_200600_302600_NS10device_ptrIlEEjNS1_19radix_merge_compareILb0ELb0EsNS0_19identity_decomposerEEEEE10hipError_tT0_T1_T2_jT3_P12ihipStream_tbPNSt15iterator_traitsISG_E10value_typeEPNSM_ISH_E10value_typeEPSI_NS1_7vsmem_tEENKUlT_SG_SH_SI_E_clIS7_S7_PlSB_EESF_SV_SG_SH_SI_EUlSV_E1_NS1_11comp_targetILNS1_3genE10ELNS1_11target_archE1201ELNS1_3gpuE5ELNS1_3repE0EEENS1_36merge_oddeven_config_static_selectorELNS0_4arch9wavefront6targetE1EEEvSH_, .Lfunc_end1293-_ZN7rocprim17ROCPRIM_400000_NS6detail17trampoline_kernelINS0_14default_configENS1_38merge_sort_block_merge_config_selectorIslEEZZNS1_27merge_sort_block_merge_implIS3_PsN6thrust23THRUST_200600_302600_NS10device_ptrIlEEjNS1_19radix_merge_compareILb0ELb0EsNS0_19identity_decomposerEEEEE10hipError_tT0_T1_T2_jT3_P12ihipStream_tbPNSt15iterator_traitsISG_E10value_typeEPNSM_ISH_E10value_typeEPSI_NS1_7vsmem_tEENKUlT_SG_SH_SI_E_clIS7_S7_PlSB_EESF_SV_SG_SH_SI_EUlSV_E1_NS1_11comp_targetILNS1_3genE10ELNS1_11target_archE1201ELNS1_3gpuE5ELNS1_3repE0EEENS1_36merge_oddeven_config_static_selectorELNS0_4arch9wavefront6targetE1EEEvSH_
                                        ; -- End function
	.section	.AMDGPU.csdata,"",@progbits
; Kernel info:
; codeLenInByte = 0
; NumSgprs: 4
; NumVgprs: 0
; NumAgprs: 0
; TotalNumVgprs: 0
; ScratchSize: 0
; MemoryBound: 0
; FloatMode: 240
; IeeeMode: 1
; LDSByteSize: 0 bytes/workgroup (compile time only)
; SGPRBlocks: 0
; VGPRBlocks: 0
; NumSGPRsForWavesPerEU: 4
; NumVGPRsForWavesPerEU: 1
; AccumOffset: 4
; Occupancy: 8
; WaveLimiterHint : 0
; COMPUTE_PGM_RSRC2:SCRATCH_EN: 0
; COMPUTE_PGM_RSRC2:USER_SGPR: 6
; COMPUTE_PGM_RSRC2:TRAP_HANDLER: 0
; COMPUTE_PGM_RSRC2:TGID_X_EN: 1
; COMPUTE_PGM_RSRC2:TGID_Y_EN: 0
; COMPUTE_PGM_RSRC2:TGID_Z_EN: 0
; COMPUTE_PGM_RSRC2:TIDIG_COMP_CNT: 0
; COMPUTE_PGM_RSRC3_GFX90A:ACCUM_OFFSET: 0
; COMPUTE_PGM_RSRC3_GFX90A:TG_SPLIT: 0
	.section	.text._ZN7rocprim17ROCPRIM_400000_NS6detail17trampoline_kernelINS0_14default_configENS1_38merge_sort_block_merge_config_selectorIslEEZZNS1_27merge_sort_block_merge_implIS3_PsN6thrust23THRUST_200600_302600_NS10device_ptrIlEEjNS1_19radix_merge_compareILb0ELb0EsNS0_19identity_decomposerEEEEE10hipError_tT0_T1_T2_jT3_P12ihipStream_tbPNSt15iterator_traitsISG_E10value_typeEPNSM_ISH_E10value_typeEPSI_NS1_7vsmem_tEENKUlT_SG_SH_SI_E_clIS7_S7_PlSB_EESF_SV_SG_SH_SI_EUlSV_E1_NS1_11comp_targetILNS1_3genE5ELNS1_11target_archE942ELNS1_3gpuE9ELNS1_3repE0EEENS1_36merge_oddeven_config_static_selectorELNS0_4arch9wavefront6targetE1EEEvSH_,"axG",@progbits,_ZN7rocprim17ROCPRIM_400000_NS6detail17trampoline_kernelINS0_14default_configENS1_38merge_sort_block_merge_config_selectorIslEEZZNS1_27merge_sort_block_merge_implIS3_PsN6thrust23THRUST_200600_302600_NS10device_ptrIlEEjNS1_19radix_merge_compareILb0ELb0EsNS0_19identity_decomposerEEEEE10hipError_tT0_T1_T2_jT3_P12ihipStream_tbPNSt15iterator_traitsISG_E10value_typeEPNSM_ISH_E10value_typeEPSI_NS1_7vsmem_tEENKUlT_SG_SH_SI_E_clIS7_S7_PlSB_EESF_SV_SG_SH_SI_EUlSV_E1_NS1_11comp_targetILNS1_3genE5ELNS1_11target_archE942ELNS1_3gpuE9ELNS1_3repE0EEENS1_36merge_oddeven_config_static_selectorELNS0_4arch9wavefront6targetE1EEEvSH_,comdat
	.protected	_ZN7rocprim17ROCPRIM_400000_NS6detail17trampoline_kernelINS0_14default_configENS1_38merge_sort_block_merge_config_selectorIslEEZZNS1_27merge_sort_block_merge_implIS3_PsN6thrust23THRUST_200600_302600_NS10device_ptrIlEEjNS1_19radix_merge_compareILb0ELb0EsNS0_19identity_decomposerEEEEE10hipError_tT0_T1_T2_jT3_P12ihipStream_tbPNSt15iterator_traitsISG_E10value_typeEPNSM_ISH_E10value_typeEPSI_NS1_7vsmem_tEENKUlT_SG_SH_SI_E_clIS7_S7_PlSB_EESF_SV_SG_SH_SI_EUlSV_E1_NS1_11comp_targetILNS1_3genE5ELNS1_11target_archE942ELNS1_3gpuE9ELNS1_3repE0EEENS1_36merge_oddeven_config_static_selectorELNS0_4arch9wavefront6targetE1EEEvSH_ ; -- Begin function _ZN7rocprim17ROCPRIM_400000_NS6detail17trampoline_kernelINS0_14default_configENS1_38merge_sort_block_merge_config_selectorIslEEZZNS1_27merge_sort_block_merge_implIS3_PsN6thrust23THRUST_200600_302600_NS10device_ptrIlEEjNS1_19radix_merge_compareILb0ELb0EsNS0_19identity_decomposerEEEEE10hipError_tT0_T1_T2_jT3_P12ihipStream_tbPNSt15iterator_traitsISG_E10value_typeEPNSM_ISH_E10value_typeEPSI_NS1_7vsmem_tEENKUlT_SG_SH_SI_E_clIS7_S7_PlSB_EESF_SV_SG_SH_SI_EUlSV_E1_NS1_11comp_targetILNS1_3genE5ELNS1_11target_archE942ELNS1_3gpuE9ELNS1_3repE0EEENS1_36merge_oddeven_config_static_selectorELNS0_4arch9wavefront6targetE1EEEvSH_
	.globl	_ZN7rocprim17ROCPRIM_400000_NS6detail17trampoline_kernelINS0_14default_configENS1_38merge_sort_block_merge_config_selectorIslEEZZNS1_27merge_sort_block_merge_implIS3_PsN6thrust23THRUST_200600_302600_NS10device_ptrIlEEjNS1_19radix_merge_compareILb0ELb0EsNS0_19identity_decomposerEEEEE10hipError_tT0_T1_T2_jT3_P12ihipStream_tbPNSt15iterator_traitsISG_E10value_typeEPNSM_ISH_E10value_typeEPSI_NS1_7vsmem_tEENKUlT_SG_SH_SI_E_clIS7_S7_PlSB_EESF_SV_SG_SH_SI_EUlSV_E1_NS1_11comp_targetILNS1_3genE5ELNS1_11target_archE942ELNS1_3gpuE9ELNS1_3repE0EEENS1_36merge_oddeven_config_static_selectorELNS0_4arch9wavefront6targetE1EEEvSH_
	.p2align	8
	.type	_ZN7rocprim17ROCPRIM_400000_NS6detail17trampoline_kernelINS0_14default_configENS1_38merge_sort_block_merge_config_selectorIslEEZZNS1_27merge_sort_block_merge_implIS3_PsN6thrust23THRUST_200600_302600_NS10device_ptrIlEEjNS1_19radix_merge_compareILb0ELb0EsNS0_19identity_decomposerEEEEE10hipError_tT0_T1_T2_jT3_P12ihipStream_tbPNSt15iterator_traitsISG_E10value_typeEPNSM_ISH_E10value_typeEPSI_NS1_7vsmem_tEENKUlT_SG_SH_SI_E_clIS7_S7_PlSB_EESF_SV_SG_SH_SI_EUlSV_E1_NS1_11comp_targetILNS1_3genE5ELNS1_11target_archE942ELNS1_3gpuE9ELNS1_3repE0EEENS1_36merge_oddeven_config_static_selectorELNS0_4arch9wavefront6targetE1EEEvSH_,@function
_ZN7rocprim17ROCPRIM_400000_NS6detail17trampoline_kernelINS0_14default_configENS1_38merge_sort_block_merge_config_selectorIslEEZZNS1_27merge_sort_block_merge_implIS3_PsN6thrust23THRUST_200600_302600_NS10device_ptrIlEEjNS1_19radix_merge_compareILb0ELb0EsNS0_19identity_decomposerEEEEE10hipError_tT0_T1_T2_jT3_P12ihipStream_tbPNSt15iterator_traitsISG_E10value_typeEPNSM_ISH_E10value_typeEPSI_NS1_7vsmem_tEENKUlT_SG_SH_SI_E_clIS7_S7_PlSB_EESF_SV_SG_SH_SI_EUlSV_E1_NS1_11comp_targetILNS1_3genE5ELNS1_11target_archE942ELNS1_3gpuE9ELNS1_3repE0EEENS1_36merge_oddeven_config_static_selectorELNS0_4arch9wavefront6targetE1EEEvSH_: ; @_ZN7rocprim17ROCPRIM_400000_NS6detail17trampoline_kernelINS0_14default_configENS1_38merge_sort_block_merge_config_selectorIslEEZZNS1_27merge_sort_block_merge_implIS3_PsN6thrust23THRUST_200600_302600_NS10device_ptrIlEEjNS1_19radix_merge_compareILb0ELb0EsNS0_19identity_decomposerEEEEE10hipError_tT0_T1_T2_jT3_P12ihipStream_tbPNSt15iterator_traitsISG_E10value_typeEPNSM_ISH_E10value_typeEPSI_NS1_7vsmem_tEENKUlT_SG_SH_SI_E_clIS7_S7_PlSB_EESF_SV_SG_SH_SI_EUlSV_E1_NS1_11comp_targetILNS1_3genE5ELNS1_11target_archE942ELNS1_3gpuE9ELNS1_3repE0EEENS1_36merge_oddeven_config_static_selectorELNS0_4arch9wavefront6targetE1EEEvSH_
; %bb.0:
	.section	.rodata,"a",@progbits
	.p2align	6, 0x0
	.amdhsa_kernel _ZN7rocprim17ROCPRIM_400000_NS6detail17trampoline_kernelINS0_14default_configENS1_38merge_sort_block_merge_config_selectorIslEEZZNS1_27merge_sort_block_merge_implIS3_PsN6thrust23THRUST_200600_302600_NS10device_ptrIlEEjNS1_19radix_merge_compareILb0ELb0EsNS0_19identity_decomposerEEEEE10hipError_tT0_T1_T2_jT3_P12ihipStream_tbPNSt15iterator_traitsISG_E10value_typeEPNSM_ISH_E10value_typeEPSI_NS1_7vsmem_tEENKUlT_SG_SH_SI_E_clIS7_S7_PlSB_EESF_SV_SG_SH_SI_EUlSV_E1_NS1_11comp_targetILNS1_3genE5ELNS1_11target_archE942ELNS1_3gpuE9ELNS1_3repE0EEENS1_36merge_oddeven_config_static_selectorELNS0_4arch9wavefront6targetE1EEEvSH_
		.amdhsa_group_segment_fixed_size 0
		.amdhsa_private_segment_fixed_size 0
		.amdhsa_kernarg_size 48
		.amdhsa_user_sgpr_count 6
		.amdhsa_user_sgpr_private_segment_buffer 1
		.amdhsa_user_sgpr_dispatch_ptr 0
		.amdhsa_user_sgpr_queue_ptr 0
		.amdhsa_user_sgpr_kernarg_segment_ptr 1
		.amdhsa_user_sgpr_dispatch_id 0
		.amdhsa_user_sgpr_flat_scratch_init 0
		.amdhsa_user_sgpr_kernarg_preload_length 0
		.amdhsa_user_sgpr_kernarg_preload_offset 0
		.amdhsa_user_sgpr_private_segment_size 0
		.amdhsa_uses_dynamic_stack 0
		.amdhsa_system_sgpr_private_segment_wavefront_offset 0
		.amdhsa_system_sgpr_workgroup_id_x 1
		.amdhsa_system_sgpr_workgroup_id_y 0
		.amdhsa_system_sgpr_workgroup_id_z 0
		.amdhsa_system_sgpr_workgroup_info 0
		.amdhsa_system_vgpr_workitem_id 0
		.amdhsa_next_free_vgpr 1
		.amdhsa_next_free_sgpr 0
		.amdhsa_accum_offset 4
		.amdhsa_reserve_vcc 0
		.amdhsa_reserve_flat_scratch 0
		.amdhsa_float_round_mode_32 0
		.amdhsa_float_round_mode_16_64 0
		.amdhsa_float_denorm_mode_32 3
		.amdhsa_float_denorm_mode_16_64 3
		.amdhsa_dx10_clamp 1
		.amdhsa_ieee_mode 1
		.amdhsa_fp16_overflow 0
		.amdhsa_tg_split 0
		.amdhsa_exception_fp_ieee_invalid_op 0
		.amdhsa_exception_fp_denorm_src 0
		.amdhsa_exception_fp_ieee_div_zero 0
		.amdhsa_exception_fp_ieee_overflow 0
		.amdhsa_exception_fp_ieee_underflow 0
		.amdhsa_exception_fp_ieee_inexact 0
		.amdhsa_exception_int_div_zero 0
	.end_amdhsa_kernel
	.section	.text._ZN7rocprim17ROCPRIM_400000_NS6detail17trampoline_kernelINS0_14default_configENS1_38merge_sort_block_merge_config_selectorIslEEZZNS1_27merge_sort_block_merge_implIS3_PsN6thrust23THRUST_200600_302600_NS10device_ptrIlEEjNS1_19radix_merge_compareILb0ELb0EsNS0_19identity_decomposerEEEEE10hipError_tT0_T1_T2_jT3_P12ihipStream_tbPNSt15iterator_traitsISG_E10value_typeEPNSM_ISH_E10value_typeEPSI_NS1_7vsmem_tEENKUlT_SG_SH_SI_E_clIS7_S7_PlSB_EESF_SV_SG_SH_SI_EUlSV_E1_NS1_11comp_targetILNS1_3genE5ELNS1_11target_archE942ELNS1_3gpuE9ELNS1_3repE0EEENS1_36merge_oddeven_config_static_selectorELNS0_4arch9wavefront6targetE1EEEvSH_,"axG",@progbits,_ZN7rocprim17ROCPRIM_400000_NS6detail17trampoline_kernelINS0_14default_configENS1_38merge_sort_block_merge_config_selectorIslEEZZNS1_27merge_sort_block_merge_implIS3_PsN6thrust23THRUST_200600_302600_NS10device_ptrIlEEjNS1_19radix_merge_compareILb0ELb0EsNS0_19identity_decomposerEEEEE10hipError_tT0_T1_T2_jT3_P12ihipStream_tbPNSt15iterator_traitsISG_E10value_typeEPNSM_ISH_E10value_typeEPSI_NS1_7vsmem_tEENKUlT_SG_SH_SI_E_clIS7_S7_PlSB_EESF_SV_SG_SH_SI_EUlSV_E1_NS1_11comp_targetILNS1_3genE5ELNS1_11target_archE942ELNS1_3gpuE9ELNS1_3repE0EEENS1_36merge_oddeven_config_static_selectorELNS0_4arch9wavefront6targetE1EEEvSH_,comdat
.Lfunc_end1294:
	.size	_ZN7rocprim17ROCPRIM_400000_NS6detail17trampoline_kernelINS0_14default_configENS1_38merge_sort_block_merge_config_selectorIslEEZZNS1_27merge_sort_block_merge_implIS3_PsN6thrust23THRUST_200600_302600_NS10device_ptrIlEEjNS1_19radix_merge_compareILb0ELb0EsNS0_19identity_decomposerEEEEE10hipError_tT0_T1_T2_jT3_P12ihipStream_tbPNSt15iterator_traitsISG_E10value_typeEPNSM_ISH_E10value_typeEPSI_NS1_7vsmem_tEENKUlT_SG_SH_SI_E_clIS7_S7_PlSB_EESF_SV_SG_SH_SI_EUlSV_E1_NS1_11comp_targetILNS1_3genE5ELNS1_11target_archE942ELNS1_3gpuE9ELNS1_3repE0EEENS1_36merge_oddeven_config_static_selectorELNS0_4arch9wavefront6targetE1EEEvSH_, .Lfunc_end1294-_ZN7rocprim17ROCPRIM_400000_NS6detail17trampoline_kernelINS0_14default_configENS1_38merge_sort_block_merge_config_selectorIslEEZZNS1_27merge_sort_block_merge_implIS3_PsN6thrust23THRUST_200600_302600_NS10device_ptrIlEEjNS1_19radix_merge_compareILb0ELb0EsNS0_19identity_decomposerEEEEE10hipError_tT0_T1_T2_jT3_P12ihipStream_tbPNSt15iterator_traitsISG_E10value_typeEPNSM_ISH_E10value_typeEPSI_NS1_7vsmem_tEENKUlT_SG_SH_SI_E_clIS7_S7_PlSB_EESF_SV_SG_SH_SI_EUlSV_E1_NS1_11comp_targetILNS1_3genE5ELNS1_11target_archE942ELNS1_3gpuE9ELNS1_3repE0EEENS1_36merge_oddeven_config_static_selectorELNS0_4arch9wavefront6targetE1EEEvSH_
                                        ; -- End function
	.section	.AMDGPU.csdata,"",@progbits
; Kernel info:
; codeLenInByte = 0
; NumSgprs: 4
; NumVgprs: 0
; NumAgprs: 0
; TotalNumVgprs: 0
; ScratchSize: 0
; MemoryBound: 0
; FloatMode: 240
; IeeeMode: 1
; LDSByteSize: 0 bytes/workgroup (compile time only)
; SGPRBlocks: 0
; VGPRBlocks: 0
; NumSGPRsForWavesPerEU: 4
; NumVGPRsForWavesPerEU: 1
; AccumOffset: 4
; Occupancy: 8
; WaveLimiterHint : 0
; COMPUTE_PGM_RSRC2:SCRATCH_EN: 0
; COMPUTE_PGM_RSRC2:USER_SGPR: 6
; COMPUTE_PGM_RSRC2:TRAP_HANDLER: 0
; COMPUTE_PGM_RSRC2:TGID_X_EN: 1
; COMPUTE_PGM_RSRC2:TGID_Y_EN: 0
; COMPUTE_PGM_RSRC2:TGID_Z_EN: 0
; COMPUTE_PGM_RSRC2:TIDIG_COMP_CNT: 0
; COMPUTE_PGM_RSRC3_GFX90A:ACCUM_OFFSET: 0
; COMPUTE_PGM_RSRC3_GFX90A:TG_SPLIT: 0
	.section	.text._ZN7rocprim17ROCPRIM_400000_NS6detail17trampoline_kernelINS0_14default_configENS1_38merge_sort_block_merge_config_selectorIslEEZZNS1_27merge_sort_block_merge_implIS3_PsN6thrust23THRUST_200600_302600_NS10device_ptrIlEEjNS1_19radix_merge_compareILb0ELb0EsNS0_19identity_decomposerEEEEE10hipError_tT0_T1_T2_jT3_P12ihipStream_tbPNSt15iterator_traitsISG_E10value_typeEPNSM_ISH_E10value_typeEPSI_NS1_7vsmem_tEENKUlT_SG_SH_SI_E_clIS7_S7_PlSB_EESF_SV_SG_SH_SI_EUlSV_E1_NS1_11comp_targetILNS1_3genE4ELNS1_11target_archE910ELNS1_3gpuE8ELNS1_3repE0EEENS1_36merge_oddeven_config_static_selectorELNS0_4arch9wavefront6targetE1EEEvSH_,"axG",@progbits,_ZN7rocprim17ROCPRIM_400000_NS6detail17trampoline_kernelINS0_14default_configENS1_38merge_sort_block_merge_config_selectorIslEEZZNS1_27merge_sort_block_merge_implIS3_PsN6thrust23THRUST_200600_302600_NS10device_ptrIlEEjNS1_19radix_merge_compareILb0ELb0EsNS0_19identity_decomposerEEEEE10hipError_tT0_T1_T2_jT3_P12ihipStream_tbPNSt15iterator_traitsISG_E10value_typeEPNSM_ISH_E10value_typeEPSI_NS1_7vsmem_tEENKUlT_SG_SH_SI_E_clIS7_S7_PlSB_EESF_SV_SG_SH_SI_EUlSV_E1_NS1_11comp_targetILNS1_3genE4ELNS1_11target_archE910ELNS1_3gpuE8ELNS1_3repE0EEENS1_36merge_oddeven_config_static_selectorELNS0_4arch9wavefront6targetE1EEEvSH_,comdat
	.protected	_ZN7rocprim17ROCPRIM_400000_NS6detail17trampoline_kernelINS0_14default_configENS1_38merge_sort_block_merge_config_selectorIslEEZZNS1_27merge_sort_block_merge_implIS3_PsN6thrust23THRUST_200600_302600_NS10device_ptrIlEEjNS1_19radix_merge_compareILb0ELb0EsNS0_19identity_decomposerEEEEE10hipError_tT0_T1_T2_jT3_P12ihipStream_tbPNSt15iterator_traitsISG_E10value_typeEPNSM_ISH_E10value_typeEPSI_NS1_7vsmem_tEENKUlT_SG_SH_SI_E_clIS7_S7_PlSB_EESF_SV_SG_SH_SI_EUlSV_E1_NS1_11comp_targetILNS1_3genE4ELNS1_11target_archE910ELNS1_3gpuE8ELNS1_3repE0EEENS1_36merge_oddeven_config_static_selectorELNS0_4arch9wavefront6targetE1EEEvSH_ ; -- Begin function _ZN7rocprim17ROCPRIM_400000_NS6detail17trampoline_kernelINS0_14default_configENS1_38merge_sort_block_merge_config_selectorIslEEZZNS1_27merge_sort_block_merge_implIS3_PsN6thrust23THRUST_200600_302600_NS10device_ptrIlEEjNS1_19radix_merge_compareILb0ELb0EsNS0_19identity_decomposerEEEEE10hipError_tT0_T1_T2_jT3_P12ihipStream_tbPNSt15iterator_traitsISG_E10value_typeEPNSM_ISH_E10value_typeEPSI_NS1_7vsmem_tEENKUlT_SG_SH_SI_E_clIS7_S7_PlSB_EESF_SV_SG_SH_SI_EUlSV_E1_NS1_11comp_targetILNS1_3genE4ELNS1_11target_archE910ELNS1_3gpuE8ELNS1_3repE0EEENS1_36merge_oddeven_config_static_selectorELNS0_4arch9wavefront6targetE1EEEvSH_
	.globl	_ZN7rocprim17ROCPRIM_400000_NS6detail17trampoline_kernelINS0_14default_configENS1_38merge_sort_block_merge_config_selectorIslEEZZNS1_27merge_sort_block_merge_implIS3_PsN6thrust23THRUST_200600_302600_NS10device_ptrIlEEjNS1_19radix_merge_compareILb0ELb0EsNS0_19identity_decomposerEEEEE10hipError_tT0_T1_T2_jT3_P12ihipStream_tbPNSt15iterator_traitsISG_E10value_typeEPNSM_ISH_E10value_typeEPSI_NS1_7vsmem_tEENKUlT_SG_SH_SI_E_clIS7_S7_PlSB_EESF_SV_SG_SH_SI_EUlSV_E1_NS1_11comp_targetILNS1_3genE4ELNS1_11target_archE910ELNS1_3gpuE8ELNS1_3repE0EEENS1_36merge_oddeven_config_static_selectorELNS0_4arch9wavefront6targetE1EEEvSH_
	.p2align	8
	.type	_ZN7rocprim17ROCPRIM_400000_NS6detail17trampoline_kernelINS0_14default_configENS1_38merge_sort_block_merge_config_selectorIslEEZZNS1_27merge_sort_block_merge_implIS3_PsN6thrust23THRUST_200600_302600_NS10device_ptrIlEEjNS1_19radix_merge_compareILb0ELb0EsNS0_19identity_decomposerEEEEE10hipError_tT0_T1_T2_jT3_P12ihipStream_tbPNSt15iterator_traitsISG_E10value_typeEPNSM_ISH_E10value_typeEPSI_NS1_7vsmem_tEENKUlT_SG_SH_SI_E_clIS7_S7_PlSB_EESF_SV_SG_SH_SI_EUlSV_E1_NS1_11comp_targetILNS1_3genE4ELNS1_11target_archE910ELNS1_3gpuE8ELNS1_3repE0EEENS1_36merge_oddeven_config_static_selectorELNS0_4arch9wavefront6targetE1EEEvSH_,@function
_ZN7rocprim17ROCPRIM_400000_NS6detail17trampoline_kernelINS0_14default_configENS1_38merge_sort_block_merge_config_selectorIslEEZZNS1_27merge_sort_block_merge_implIS3_PsN6thrust23THRUST_200600_302600_NS10device_ptrIlEEjNS1_19radix_merge_compareILb0ELb0EsNS0_19identity_decomposerEEEEE10hipError_tT0_T1_T2_jT3_P12ihipStream_tbPNSt15iterator_traitsISG_E10value_typeEPNSM_ISH_E10value_typeEPSI_NS1_7vsmem_tEENKUlT_SG_SH_SI_E_clIS7_S7_PlSB_EESF_SV_SG_SH_SI_EUlSV_E1_NS1_11comp_targetILNS1_3genE4ELNS1_11target_archE910ELNS1_3gpuE8ELNS1_3repE0EEENS1_36merge_oddeven_config_static_selectorELNS0_4arch9wavefront6targetE1EEEvSH_: ; @_ZN7rocprim17ROCPRIM_400000_NS6detail17trampoline_kernelINS0_14default_configENS1_38merge_sort_block_merge_config_selectorIslEEZZNS1_27merge_sort_block_merge_implIS3_PsN6thrust23THRUST_200600_302600_NS10device_ptrIlEEjNS1_19radix_merge_compareILb0ELb0EsNS0_19identity_decomposerEEEEE10hipError_tT0_T1_T2_jT3_P12ihipStream_tbPNSt15iterator_traitsISG_E10value_typeEPNSM_ISH_E10value_typeEPSI_NS1_7vsmem_tEENKUlT_SG_SH_SI_E_clIS7_S7_PlSB_EESF_SV_SG_SH_SI_EUlSV_E1_NS1_11comp_targetILNS1_3genE4ELNS1_11target_archE910ELNS1_3gpuE8ELNS1_3repE0EEENS1_36merge_oddeven_config_static_selectorELNS0_4arch9wavefront6targetE1EEEvSH_
; %bb.0:
	s_load_dword s20, s[4:5], 0x20
	s_waitcnt lgkmcnt(0)
	s_lshr_b32 s2, s20, 8
	s_cmp_lg_u32 s6, s2
	s_cselect_b64 s[0:1], -1, 0
	s_cmp_eq_u32 s6, s2
	s_cselect_b64 s[16:17], -1, 0
	s_lshl_b32 s18, s6, 8
	s_sub_i32 s2, s20, s18
	v_cmp_gt_u32_e64 s[2:3], s2, v0
	s_or_b64 s[0:1], s[0:1], s[2:3]
	s_and_saveexec_b64 s[8:9], s[0:1]
	s_cbranch_execz .LBB1295_26
; %bb.1:
	s_load_dwordx8 s[8:15], s[4:5], 0x0
	s_mov_b32 s19, 0
	s_lshl_b64 s[0:1], s[18:19], 1
	v_lshlrev_b32_e32 v4, 3, v0
	v_lshlrev_b32_e32 v1, 1, v0
	s_waitcnt lgkmcnt(0)
	s_add_u32 s0, s8, s0
	s_addc_u32 s1, s9, s1
	s_lshl_b64 s[22:23], s[18:19], 3
	s_add_u32 s12, s12, s22
	s_addc_u32 s13, s13, s23
	global_load_dwordx2 v[2:3], v4, s[12:13]
	global_load_ushort v6, v1, s[0:1]
	s_load_dword s21, s[4:5], 0x24
	v_add_u32_e32 v4, s18, v0
	s_waitcnt lgkmcnt(0)
	s_lshr_b32 s0, s21, 8
	s_sub_i32 s1, 0, s0
	s_and_b32 s1, s6, s1
	s_and_b32 s0, s1, s0
	s_lshl_b32 s22, s1, 8
	s_sub_i32 s6, 0, s21
	s_cmp_eq_u32 s0, 0
	s_cselect_b64 s[0:1], -1, 0
	s_and_b64 s[4:5], s[0:1], exec
	s_cselect_b32 s19, s21, s6
	s_add_i32 s19, s19, s22
	s_cmp_lt_u32 s19, s20
	s_cbranch_scc1 .LBB1295_6
; %bb.2:
	s_and_b64 vcc, exec, s[16:17]
	s_cbranch_vccz .LBB1295_7
; %bb.3:
	v_cmp_gt_u32_e32 vcc, s20, v4
	s_mov_b64 s[6:7], 0
	s_mov_b64 s[4:5], 0
                                        ; implicit-def: $vgpr0_vgpr1
	s_and_saveexec_b64 s[12:13], vcc
	s_cbranch_execz .LBB1295_5
; %bb.4:
	v_mov_b32_e32 v5, 0
	v_lshlrev_b64 v[0:1], 3, v[4:5]
	v_mov_b32_e32 v7, s15
	v_add_co_u32_e32 v0, vcc, s14, v0
	v_addc_co_u32_e32 v1, vcc, v7, v1, vcc
	v_lshlrev_b64 v[8:9], 1, v[4:5]
	v_mov_b32_e32 v5, s11
	v_add_co_u32_e32 v8, vcc, s10, v8
	s_mov_b64 s[4:5], exec
	v_addc_co_u32_e32 v9, vcc, v5, v9, vcc
	s_waitcnt vmcnt(0)
	global_store_short v[8:9], v6, off
.LBB1295_5:
	s_or_b64 exec, exec, s[12:13]
	s_and_b64 vcc, exec, s[6:7]
	s_cbranch_vccnz .LBB1295_8
	s_branch .LBB1295_9
.LBB1295_6:
	s_mov_b64 s[4:5], 0
                                        ; implicit-def: $vgpr0_vgpr1
	s_cbranch_execnz .LBB1295_10
	s_branch .LBB1295_24
.LBB1295_7:
	s_mov_b64 s[4:5], 0
                                        ; implicit-def: $vgpr0_vgpr1
	s_cbranch_execz .LBB1295_9
.LBB1295_8:
	v_mov_b32_e32 v5, 0
	v_lshlrev_b64 v[0:1], 1, v[4:5]
	v_mov_b32_e32 v7, s11
	v_add_co_u32_e32 v0, vcc, s10, v0
	v_addc_co_u32_e32 v1, vcc, v7, v1, vcc
	s_waitcnt vmcnt(0)
	global_store_short v[0:1], v6, off
	v_lshlrev_b64 v[0:1], 3, v[4:5]
	v_mov_b32_e32 v5, s15
	v_add_co_u32_e32 v0, vcc, s14, v0
	v_addc_co_u32_e32 v1, vcc, v5, v1, vcc
	s_or_b64 s[4:5], s[4:5], exec
.LBB1295_9:
	s_branch .LBB1295_24
.LBB1295_10:
	s_min_u32 s12, s19, s20
	s_add_i32 s6, s12, s21
	s_min_u32 s13, s6, s20
	s_min_u32 s6, s22, s12
	s_add_i32 s22, s22, s12
	v_subrev_u32_e32 v0, s22, v4
	v_add_u32_e32 v4, s6, v0
	s_and_b64 vcc, exec, s[16:17]
	s_cbranch_vccz .LBB1295_18
; %bb.11:
                                        ; implicit-def: $vgpr0_vgpr1
	s_and_saveexec_b64 s[6:7], s[2:3]
	s_cbranch_execz .LBB1295_17
; %bb.12:
	s_cmp_ge_u32 s19, s13
	v_mov_b32_e32 v0, s12
	s_cbranch_scc1 .LBB1295_16
; %bb.13:
	s_mov_b64 s[2:3], 0
	v_mov_b32_e32 v1, s13
	v_mov_b32_e32 v0, s12
.LBB1295_14:                            ; =>This Inner Loop Header: Depth=1
	v_add_u32_e32 v5, v0, v1
	v_and_b32_e32 v7, -2, v5
	global_load_ushort v7, v7, s[8:9]
	v_lshrrev_b32_e32 v5, 1, v5
	v_add_u32_e32 v8, 1, v5
	s_waitcnt vmcnt(0)
	v_cmp_gt_i16_e32 vcc, v6, v7
	v_cndmask_b32_e64 v9, 0, 1, vcc
	v_cmp_le_i16_e32 vcc, v7, v6
	v_cndmask_b32_e64 v7, 0, 1, vcc
	v_cndmask_b32_e64 v7, v7, v9, s[0:1]
	v_and_b32_e32 v7, 1, v7
	v_cmp_eq_u32_e32 vcc, 1, v7
	v_cndmask_b32_e32 v1, v5, v1, vcc
	v_cndmask_b32_e32 v0, v0, v8, vcc
	v_cmp_ge_u32_e32 vcc, v0, v1
	s_or_b64 s[2:3], vcc, s[2:3]
	s_andn2_b64 exec, exec, s[2:3]
	s_cbranch_execnz .LBB1295_14
; %bb.15:
	s_or_b64 exec, exec, s[2:3]
.LBB1295_16:
	v_add_u32_e32 v0, v0, v4
	v_mov_b32_e32 v1, 0
	v_lshlrev_b64 v[8:9], 1, v[0:1]
	v_mov_b32_e32 v5, s11
	v_add_co_u32_e32 v8, vcc, s10, v8
	v_addc_co_u32_e32 v9, vcc, v5, v9, vcc
	v_lshlrev_b64 v[0:1], 3, v[0:1]
	v_mov_b32_e32 v5, s15
	v_add_co_u32_e32 v0, vcc, s14, v0
	s_waitcnt vmcnt(0)
	global_store_short v[8:9], v6, off
	v_addc_co_u32_e32 v1, vcc, v5, v1, vcc
	s_or_b64 s[4:5], s[4:5], exec
.LBB1295_17:
	s_or_b64 exec, exec, s[6:7]
	s_branch .LBB1295_24
.LBB1295_18:
                                        ; implicit-def: $vgpr0_vgpr1
	s_cbranch_execz .LBB1295_24
; %bb.19:
	s_cmp_ge_u32 s19, s13
	v_mov_b32_e32 v0, s12
	s_cbranch_scc1 .LBB1295_23
; %bb.20:
	s_mov_b64 s[2:3], 0
	v_mov_b32_e32 v1, s13
	v_mov_b32_e32 v0, s12
.LBB1295_21:                            ; =>This Inner Loop Header: Depth=1
	v_add_u32_e32 v5, v0, v1
	v_and_b32_e32 v7, -2, v5
	global_load_ushort v7, v7, s[8:9]
	v_lshrrev_b32_e32 v5, 1, v5
	v_add_u32_e32 v8, 1, v5
	s_waitcnt vmcnt(0)
	v_cmp_gt_i16_e32 vcc, v6, v7
	v_cndmask_b32_e64 v9, 0, 1, vcc
	v_cmp_le_i16_e32 vcc, v7, v6
	v_cndmask_b32_e64 v7, 0, 1, vcc
	v_cndmask_b32_e64 v7, v7, v9, s[0:1]
	v_and_b32_e32 v7, 1, v7
	v_cmp_eq_u32_e32 vcc, 1, v7
	v_cndmask_b32_e32 v1, v5, v1, vcc
	v_cndmask_b32_e32 v0, v0, v8, vcc
	v_cmp_ge_u32_e32 vcc, v0, v1
	s_or_b64 s[2:3], vcc, s[2:3]
	s_andn2_b64 exec, exec, s[2:3]
	s_cbranch_execnz .LBB1295_21
; %bb.22:
	s_or_b64 exec, exec, s[2:3]
.LBB1295_23:
	v_add_u32_e32 v0, v0, v4
	v_mov_b32_e32 v1, 0
	v_lshlrev_b64 v[4:5], 1, v[0:1]
	v_mov_b32_e32 v7, s11
	v_add_co_u32_e32 v4, vcc, s10, v4
	v_addc_co_u32_e32 v5, vcc, v7, v5, vcc
	v_lshlrev_b64 v[0:1], 3, v[0:1]
	s_waitcnt vmcnt(0)
	global_store_short v[4:5], v6, off
	v_mov_b32_e32 v4, s15
	v_add_co_u32_e32 v0, vcc, s14, v0
	v_addc_co_u32_e32 v1, vcc, v4, v1, vcc
	s_mov_b64 s[4:5], -1
.LBB1295_24:
	s_and_b64 exec, exec, s[4:5]
	s_cbranch_execz .LBB1295_26
; %bb.25:
	s_waitcnt vmcnt(1)
	global_store_dwordx2 v[0:1], v[2:3], off
.LBB1295_26:
	s_endpgm
	.section	.rodata,"a",@progbits
	.p2align	6, 0x0
	.amdhsa_kernel _ZN7rocprim17ROCPRIM_400000_NS6detail17trampoline_kernelINS0_14default_configENS1_38merge_sort_block_merge_config_selectorIslEEZZNS1_27merge_sort_block_merge_implIS3_PsN6thrust23THRUST_200600_302600_NS10device_ptrIlEEjNS1_19radix_merge_compareILb0ELb0EsNS0_19identity_decomposerEEEEE10hipError_tT0_T1_T2_jT3_P12ihipStream_tbPNSt15iterator_traitsISG_E10value_typeEPNSM_ISH_E10value_typeEPSI_NS1_7vsmem_tEENKUlT_SG_SH_SI_E_clIS7_S7_PlSB_EESF_SV_SG_SH_SI_EUlSV_E1_NS1_11comp_targetILNS1_3genE4ELNS1_11target_archE910ELNS1_3gpuE8ELNS1_3repE0EEENS1_36merge_oddeven_config_static_selectorELNS0_4arch9wavefront6targetE1EEEvSH_
		.amdhsa_group_segment_fixed_size 0
		.amdhsa_private_segment_fixed_size 0
		.amdhsa_kernarg_size 48
		.amdhsa_user_sgpr_count 6
		.amdhsa_user_sgpr_private_segment_buffer 1
		.amdhsa_user_sgpr_dispatch_ptr 0
		.amdhsa_user_sgpr_queue_ptr 0
		.amdhsa_user_sgpr_kernarg_segment_ptr 1
		.amdhsa_user_sgpr_dispatch_id 0
		.amdhsa_user_sgpr_flat_scratch_init 0
		.amdhsa_user_sgpr_kernarg_preload_length 0
		.amdhsa_user_sgpr_kernarg_preload_offset 0
		.amdhsa_user_sgpr_private_segment_size 0
		.amdhsa_uses_dynamic_stack 0
		.amdhsa_system_sgpr_private_segment_wavefront_offset 0
		.amdhsa_system_sgpr_workgroup_id_x 1
		.amdhsa_system_sgpr_workgroup_id_y 0
		.amdhsa_system_sgpr_workgroup_id_z 0
		.amdhsa_system_sgpr_workgroup_info 0
		.amdhsa_system_vgpr_workitem_id 0
		.amdhsa_next_free_vgpr 10
		.amdhsa_next_free_sgpr 24
		.amdhsa_accum_offset 12
		.amdhsa_reserve_vcc 1
		.amdhsa_reserve_flat_scratch 0
		.amdhsa_float_round_mode_32 0
		.amdhsa_float_round_mode_16_64 0
		.amdhsa_float_denorm_mode_32 3
		.amdhsa_float_denorm_mode_16_64 3
		.amdhsa_dx10_clamp 1
		.amdhsa_ieee_mode 1
		.amdhsa_fp16_overflow 0
		.amdhsa_tg_split 0
		.amdhsa_exception_fp_ieee_invalid_op 0
		.amdhsa_exception_fp_denorm_src 0
		.amdhsa_exception_fp_ieee_div_zero 0
		.amdhsa_exception_fp_ieee_overflow 0
		.amdhsa_exception_fp_ieee_underflow 0
		.amdhsa_exception_fp_ieee_inexact 0
		.amdhsa_exception_int_div_zero 0
	.end_amdhsa_kernel
	.section	.text._ZN7rocprim17ROCPRIM_400000_NS6detail17trampoline_kernelINS0_14default_configENS1_38merge_sort_block_merge_config_selectorIslEEZZNS1_27merge_sort_block_merge_implIS3_PsN6thrust23THRUST_200600_302600_NS10device_ptrIlEEjNS1_19radix_merge_compareILb0ELb0EsNS0_19identity_decomposerEEEEE10hipError_tT0_T1_T2_jT3_P12ihipStream_tbPNSt15iterator_traitsISG_E10value_typeEPNSM_ISH_E10value_typeEPSI_NS1_7vsmem_tEENKUlT_SG_SH_SI_E_clIS7_S7_PlSB_EESF_SV_SG_SH_SI_EUlSV_E1_NS1_11comp_targetILNS1_3genE4ELNS1_11target_archE910ELNS1_3gpuE8ELNS1_3repE0EEENS1_36merge_oddeven_config_static_selectorELNS0_4arch9wavefront6targetE1EEEvSH_,"axG",@progbits,_ZN7rocprim17ROCPRIM_400000_NS6detail17trampoline_kernelINS0_14default_configENS1_38merge_sort_block_merge_config_selectorIslEEZZNS1_27merge_sort_block_merge_implIS3_PsN6thrust23THRUST_200600_302600_NS10device_ptrIlEEjNS1_19radix_merge_compareILb0ELb0EsNS0_19identity_decomposerEEEEE10hipError_tT0_T1_T2_jT3_P12ihipStream_tbPNSt15iterator_traitsISG_E10value_typeEPNSM_ISH_E10value_typeEPSI_NS1_7vsmem_tEENKUlT_SG_SH_SI_E_clIS7_S7_PlSB_EESF_SV_SG_SH_SI_EUlSV_E1_NS1_11comp_targetILNS1_3genE4ELNS1_11target_archE910ELNS1_3gpuE8ELNS1_3repE0EEENS1_36merge_oddeven_config_static_selectorELNS0_4arch9wavefront6targetE1EEEvSH_,comdat
.Lfunc_end1295:
	.size	_ZN7rocprim17ROCPRIM_400000_NS6detail17trampoline_kernelINS0_14default_configENS1_38merge_sort_block_merge_config_selectorIslEEZZNS1_27merge_sort_block_merge_implIS3_PsN6thrust23THRUST_200600_302600_NS10device_ptrIlEEjNS1_19radix_merge_compareILb0ELb0EsNS0_19identity_decomposerEEEEE10hipError_tT0_T1_T2_jT3_P12ihipStream_tbPNSt15iterator_traitsISG_E10value_typeEPNSM_ISH_E10value_typeEPSI_NS1_7vsmem_tEENKUlT_SG_SH_SI_E_clIS7_S7_PlSB_EESF_SV_SG_SH_SI_EUlSV_E1_NS1_11comp_targetILNS1_3genE4ELNS1_11target_archE910ELNS1_3gpuE8ELNS1_3repE0EEENS1_36merge_oddeven_config_static_selectorELNS0_4arch9wavefront6targetE1EEEvSH_, .Lfunc_end1295-_ZN7rocprim17ROCPRIM_400000_NS6detail17trampoline_kernelINS0_14default_configENS1_38merge_sort_block_merge_config_selectorIslEEZZNS1_27merge_sort_block_merge_implIS3_PsN6thrust23THRUST_200600_302600_NS10device_ptrIlEEjNS1_19radix_merge_compareILb0ELb0EsNS0_19identity_decomposerEEEEE10hipError_tT0_T1_T2_jT3_P12ihipStream_tbPNSt15iterator_traitsISG_E10value_typeEPNSM_ISH_E10value_typeEPSI_NS1_7vsmem_tEENKUlT_SG_SH_SI_E_clIS7_S7_PlSB_EESF_SV_SG_SH_SI_EUlSV_E1_NS1_11comp_targetILNS1_3genE4ELNS1_11target_archE910ELNS1_3gpuE8ELNS1_3repE0EEENS1_36merge_oddeven_config_static_selectorELNS0_4arch9wavefront6targetE1EEEvSH_
                                        ; -- End function
	.section	.AMDGPU.csdata,"",@progbits
; Kernel info:
; codeLenInByte = 828
; NumSgprs: 28
; NumVgprs: 10
; NumAgprs: 0
; TotalNumVgprs: 10
; ScratchSize: 0
; MemoryBound: 0
; FloatMode: 240
; IeeeMode: 1
; LDSByteSize: 0 bytes/workgroup (compile time only)
; SGPRBlocks: 3
; VGPRBlocks: 1
; NumSGPRsForWavesPerEU: 28
; NumVGPRsForWavesPerEU: 10
; AccumOffset: 12
; Occupancy: 8
; WaveLimiterHint : 0
; COMPUTE_PGM_RSRC2:SCRATCH_EN: 0
; COMPUTE_PGM_RSRC2:USER_SGPR: 6
; COMPUTE_PGM_RSRC2:TRAP_HANDLER: 0
; COMPUTE_PGM_RSRC2:TGID_X_EN: 1
; COMPUTE_PGM_RSRC2:TGID_Y_EN: 0
; COMPUTE_PGM_RSRC2:TGID_Z_EN: 0
; COMPUTE_PGM_RSRC2:TIDIG_COMP_CNT: 0
; COMPUTE_PGM_RSRC3_GFX90A:ACCUM_OFFSET: 2
; COMPUTE_PGM_RSRC3_GFX90A:TG_SPLIT: 0
	.section	.text._ZN7rocprim17ROCPRIM_400000_NS6detail17trampoline_kernelINS0_14default_configENS1_38merge_sort_block_merge_config_selectorIslEEZZNS1_27merge_sort_block_merge_implIS3_PsN6thrust23THRUST_200600_302600_NS10device_ptrIlEEjNS1_19radix_merge_compareILb0ELb0EsNS0_19identity_decomposerEEEEE10hipError_tT0_T1_T2_jT3_P12ihipStream_tbPNSt15iterator_traitsISG_E10value_typeEPNSM_ISH_E10value_typeEPSI_NS1_7vsmem_tEENKUlT_SG_SH_SI_E_clIS7_S7_PlSB_EESF_SV_SG_SH_SI_EUlSV_E1_NS1_11comp_targetILNS1_3genE3ELNS1_11target_archE908ELNS1_3gpuE7ELNS1_3repE0EEENS1_36merge_oddeven_config_static_selectorELNS0_4arch9wavefront6targetE1EEEvSH_,"axG",@progbits,_ZN7rocprim17ROCPRIM_400000_NS6detail17trampoline_kernelINS0_14default_configENS1_38merge_sort_block_merge_config_selectorIslEEZZNS1_27merge_sort_block_merge_implIS3_PsN6thrust23THRUST_200600_302600_NS10device_ptrIlEEjNS1_19radix_merge_compareILb0ELb0EsNS0_19identity_decomposerEEEEE10hipError_tT0_T1_T2_jT3_P12ihipStream_tbPNSt15iterator_traitsISG_E10value_typeEPNSM_ISH_E10value_typeEPSI_NS1_7vsmem_tEENKUlT_SG_SH_SI_E_clIS7_S7_PlSB_EESF_SV_SG_SH_SI_EUlSV_E1_NS1_11comp_targetILNS1_3genE3ELNS1_11target_archE908ELNS1_3gpuE7ELNS1_3repE0EEENS1_36merge_oddeven_config_static_selectorELNS0_4arch9wavefront6targetE1EEEvSH_,comdat
	.protected	_ZN7rocprim17ROCPRIM_400000_NS6detail17trampoline_kernelINS0_14default_configENS1_38merge_sort_block_merge_config_selectorIslEEZZNS1_27merge_sort_block_merge_implIS3_PsN6thrust23THRUST_200600_302600_NS10device_ptrIlEEjNS1_19radix_merge_compareILb0ELb0EsNS0_19identity_decomposerEEEEE10hipError_tT0_T1_T2_jT3_P12ihipStream_tbPNSt15iterator_traitsISG_E10value_typeEPNSM_ISH_E10value_typeEPSI_NS1_7vsmem_tEENKUlT_SG_SH_SI_E_clIS7_S7_PlSB_EESF_SV_SG_SH_SI_EUlSV_E1_NS1_11comp_targetILNS1_3genE3ELNS1_11target_archE908ELNS1_3gpuE7ELNS1_3repE0EEENS1_36merge_oddeven_config_static_selectorELNS0_4arch9wavefront6targetE1EEEvSH_ ; -- Begin function _ZN7rocprim17ROCPRIM_400000_NS6detail17trampoline_kernelINS0_14default_configENS1_38merge_sort_block_merge_config_selectorIslEEZZNS1_27merge_sort_block_merge_implIS3_PsN6thrust23THRUST_200600_302600_NS10device_ptrIlEEjNS1_19radix_merge_compareILb0ELb0EsNS0_19identity_decomposerEEEEE10hipError_tT0_T1_T2_jT3_P12ihipStream_tbPNSt15iterator_traitsISG_E10value_typeEPNSM_ISH_E10value_typeEPSI_NS1_7vsmem_tEENKUlT_SG_SH_SI_E_clIS7_S7_PlSB_EESF_SV_SG_SH_SI_EUlSV_E1_NS1_11comp_targetILNS1_3genE3ELNS1_11target_archE908ELNS1_3gpuE7ELNS1_3repE0EEENS1_36merge_oddeven_config_static_selectorELNS0_4arch9wavefront6targetE1EEEvSH_
	.globl	_ZN7rocprim17ROCPRIM_400000_NS6detail17trampoline_kernelINS0_14default_configENS1_38merge_sort_block_merge_config_selectorIslEEZZNS1_27merge_sort_block_merge_implIS3_PsN6thrust23THRUST_200600_302600_NS10device_ptrIlEEjNS1_19radix_merge_compareILb0ELb0EsNS0_19identity_decomposerEEEEE10hipError_tT0_T1_T2_jT3_P12ihipStream_tbPNSt15iterator_traitsISG_E10value_typeEPNSM_ISH_E10value_typeEPSI_NS1_7vsmem_tEENKUlT_SG_SH_SI_E_clIS7_S7_PlSB_EESF_SV_SG_SH_SI_EUlSV_E1_NS1_11comp_targetILNS1_3genE3ELNS1_11target_archE908ELNS1_3gpuE7ELNS1_3repE0EEENS1_36merge_oddeven_config_static_selectorELNS0_4arch9wavefront6targetE1EEEvSH_
	.p2align	8
	.type	_ZN7rocprim17ROCPRIM_400000_NS6detail17trampoline_kernelINS0_14default_configENS1_38merge_sort_block_merge_config_selectorIslEEZZNS1_27merge_sort_block_merge_implIS3_PsN6thrust23THRUST_200600_302600_NS10device_ptrIlEEjNS1_19radix_merge_compareILb0ELb0EsNS0_19identity_decomposerEEEEE10hipError_tT0_T1_T2_jT3_P12ihipStream_tbPNSt15iterator_traitsISG_E10value_typeEPNSM_ISH_E10value_typeEPSI_NS1_7vsmem_tEENKUlT_SG_SH_SI_E_clIS7_S7_PlSB_EESF_SV_SG_SH_SI_EUlSV_E1_NS1_11comp_targetILNS1_3genE3ELNS1_11target_archE908ELNS1_3gpuE7ELNS1_3repE0EEENS1_36merge_oddeven_config_static_selectorELNS0_4arch9wavefront6targetE1EEEvSH_,@function
_ZN7rocprim17ROCPRIM_400000_NS6detail17trampoline_kernelINS0_14default_configENS1_38merge_sort_block_merge_config_selectorIslEEZZNS1_27merge_sort_block_merge_implIS3_PsN6thrust23THRUST_200600_302600_NS10device_ptrIlEEjNS1_19radix_merge_compareILb0ELb0EsNS0_19identity_decomposerEEEEE10hipError_tT0_T1_T2_jT3_P12ihipStream_tbPNSt15iterator_traitsISG_E10value_typeEPNSM_ISH_E10value_typeEPSI_NS1_7vsmem_tEENKUlT_SG_SH_SI_E_clIS7_S7_PlSB_EESF_SV_SG_SH_SI_EUlSV_E1_NS1_11comp_targetILNS1_3genE3ELNS1_11target_archE908ELNS1_3gpuE7ELNS1_3repE0EEENS1_36merge_oddeven_config_static_selectorELNS0_4arch9wavefront6targetE1EEEvSH_: ; @_ZN7rocprim17ROCPRIM_400000_NS6detail17trampoline_kernelINS0_14default_configENS1_38merge_sort_block_merge_config_selectorIslEEZZNS1_27merge_sort_block_merge_implIS3_PsN6thrust23THRUST_200600_302600_NS10device_ptrIlEEjNS1_19radix_merge_compareILb0ELb0EsNS0_19identity_decomposerEEEEE10hipError_tT0_T1_T2_jT3_P12ihipStream_tbPNSt15iterator_traitsISG_E10value_typeEPNSM_ISH_E10value_typeEPSI_NS1_7vsmem_tEENKUlT_SG_SH_SI_E_clIS7_S7_PlSB_EESF_SV_SG_SH_SI_EUlSV_E1_NS1_11comp_targetILNS1_3genE3ELNS1_11target_archE908ELNS1_3gpuE7ELNS1_3repE0EEENS1_36merge_oddeven_config_static_selectorELNS0_4arch9wavefront6targetE1EEEvSH_
; %bb.0:
	.section	.rodata,"a",@progbits
	.p2align	6, 0x0
	.amdhsa_kernel _ZN7rocprim17ROCPRIM_400000_NS6detail17trampoline_kernelINS0_14default_configENS1_38merge_sort_block_merge_config_selectorIslEEZZNS1_27merge_sort_block_merge_implIS3_PsN6thrust23THRUST_200600_302600_NS10device_ptrIlEEjNS1_19radix_merge_compareILb0ELb0EsNS0_19identity_decomposerEEEEE10hipError_tT0_T1_T2_jT3_P12ihipStream_tbPNSt15iterator_traitsISG_E10value_typeEPNSM_ISH_E10value_typeEPSI_NS1_7vsmem_tEENKUlT_SG_SH_SI_E_clIS7_S7_PlSB_EESF_SV_SG_SH_SI_EUlSV_E1_NS1_11comp_targetILNS1_3genE3ELNS1_11target_archE908ELNS1_3gpuE7ELNS1_3repE0EEENS1_36merge_oddeven_config_static_selectorELNS0_4arch9wavefront6targetE1EEEvSH_
		.amdhsa_group_segment_fixed_size 0
		.amdhsa_private_segment_fixed_size 0
		.amdhsa_kernarg_size 48
		.amdhsa_user_sgpr_count 6
		.amdhsa_user_sgpr_private_segment_buffer 1
		.amdhsa_user_sgpr_dispatch_ptr 0
		.amdhsa_user_sgpr_queue_ptr 0
		.amdhsa_user_sgpr_kernarg_segment_ptr 1
		.amdhsa_user_sgpr_dispatch_id 0
		.amdhsa_user_sgpr_flat_scratch_init 0
		.amdhsa_user_sgpr_kernarg_preload_length 0
		.amdhsa_user_sgpr_kernarg_preload_offset 0
		.amdhsa_user_sgpr_private_segment_size 0
		.amdhsa_uses_dynamic_stack 0
		.amdhsa_system_sgpr_private_segment_wavefront_offset 0
		.amdhsa_system_sgpr_workgroup_id_x 1
		.amdhsa_system_sgpr_workgroup_id_y 0
		.amdhsa_system_sgpr_workgroup_id_z 0
		.amdhsa_system_sgpr_workgroup_info 0
		.amdhsa_system_vgpr_workitem_id 0
		.amdhsa_next_free_vgpr 1
		.amdhsa_next_free_sgpr 0
		.amdhsa_accum_offset 4
		.amdhsa_reserve_vcc 0
		.amdhsa_reserve_flat_scratch 0
		.amdhsa_float_round_mode_32 0
		.amdhsa_float_round_mode_16_64 0
		.amdhsa_float_denorm_mode_32 3
		.amdhsa_float_denorm_mode_16_64 3
		.amdhsa_dx10_clamp 1
		.amdhsa_ieee_mode 1
		.amdhsa_fp16_overflow 0
		.amdhsa_tg_split 0
		.amdhsa_exception_fp_ieee_invalid_op 0
		.amdhsa_exception_fp_denorm_src 0
		.amdhsa_exception_fp_ieee_div_zero 0
		.amdhsa_exception_fp_ieee_overflow 0
		.amdhsa_exception_fp_ieee_underflow 0
		.amdhsa_exception_fp_ieee_inexact 0
		.amdhsa_exception_int_div_zero 0
	.end_amdhsa_kernel
	.section	.text._ZN7rocprim17ROCPRIM_400000_NS6detail17trampoline_kernelINS0_14default_configENS1_38merge_sort_block_merge_config_selectorIslEEZZNS1_27merge_sort_block_merge_implIS3_PsN6thrust23THRUST_200600_302600_NS10device_ptrIlEEjNS1_19radix_merge_compareILb0ELb0EsNS0_19identity_decomposerEEEEE10hipError_tT0_T1_T2_jT3_P12ihipStream_tbPNSt15iterator_traitsISG_E10value_typeEPNSM_ISH_E10value_typeEPSI_NS1_7vsmem_tEENKUlT_SG_SH_SI_E_clIS7_S7_PlSB_EESF_SV_SG_SH_SI_EUlSV_E1_NS1_11comp_targetILNS1_3genE3ELNS1_11target_archE908ELNS1_3gpuE7ELNS1_3repE0EEENS1_36merge_oddeven_config_static_selectorELNS0_4arch9wavefront6targetE1EEEvSH_,"axG",@progbits,_ZN7rocprim17ROCPRIM_400000_NS6detail17trampoline_kernelINS0_14default_configENS1_38merge_sort_block_merge_config_selectorIslEEZZNS1_27merge_sort_block_merge_implIS3_PsN6thrust23THRUST_200600_302600_NS10device_ptrIlEEjNS1_19radix_merge_compareILb0ELb0EsNS0_19identity_decomposerEEEEE10hipError_tT0_T1_T2_jT3_P12ihipStream_tbPNSt15iterator_traitsISG_E10value_typeEPNSM_ISH_E10value_typeEPSI_NS1_7vsmem_tEENKUlT_SG_SH_SI_E_clIS7_S7_PlSB_EESF_SV_SG_SH_SI_EUlSV_E1_NS1_11comp_targetILNS1_3genE3ELNS1_11target_archE908ELNS1_3gpuE7ELNS1_3repE0EEENS1_36merge_oddeven_config_static_selectorELNS0_4arch9wavefront6targetE1EEEvSH_,comdat
.Lfunc_end1296:
	.size	_ZN7rocprim17ROCPRIM_400000_NS6detail17trampoline_kernelINS0_14default_configENS1_38merge_sort_block_merge_config_selectorIslEEZZNS1_27merge_sort_block_merge_implIS3_PsN6thrust23THRUST_200600_302600_NS10device_ptrIlEEjNS1_19radix_merge_compareILb0ELb0EsNS0_19identity_decomposerEEEEE10hipError_tT0_T1_T2_jT3_P12ihipStream_tbPNSt15iterator_traitsISG_E10value_typeEPNSM_ISH_E10value_typeEPSI_NS1_7vsmem_tEENKUlT_SG_SH_SI_E_clIS7_S7_PlSB_EESF_SV_SG_SH_SI_EUlSV_E1_NS1_11comp_targetILNS1_3genE3ELNS1_11target_archE908ELNS1_3gpuE7ELNS1_3repE0EEENS1_36merge_oddeven_config_static_selectorELNS0_4arch9wavefront6targetE1EEEvSH_, .Lfunc_end1296-_ZN7rocprim17ROCPRIM_400000_NS6detail17trampoline_kernelINS0_14default_configENS1_38merge_sort_block_merge_config_selectorIslEEZZNS1_27merge_sort_block_merge_implIS3_PsN6thrust23THRUST_200600_302600_NS10device_ptrIlEEjNS1_19radix_merge_compareILb0ELb0EsNS0_19identity_decomposerEEEEE10hipError_tT0_T1_T2_jT3_P12ihipStream_tbPNSt15iterator_traitsISG_E10value_typeEPNSM_ISH_E10value_typeEPSI_NS1_7vsmem_tEENKUlT_SG_SH_SI_E_clIS7_S7_PlSB_EESF_SV_SG_SH_SI_EUlSV_E1_NS1_11comp_targetILNS1_3genE3ELNS1_11target_archE908ELNS1_3gpuE7ELNS1_3repE0EEENS1_36merge_oddeven_config_static_selectorELNS0_4arch9wavefront6targetE1EEEvSH_
                                        ; -- End function
	.section	.AMDGPU.csdata,"",@progbits
; Kernel info:
; codeLenInByte = 0
; NumSgprs: 4
; NumVgprs: 0
; NumAgprs: 0
; TotalNumVgprs: 0
; ScratchSize: 0
; MemoryBound: 0
; FloatMode: 240
; IeeeMode: 1
; LDSByteSize: 0 bytes/workgroup (compile time only)
; SGPRBlocks: 0
; VGPRBlocks: 0
; NumSGPRsForWavesPerEU: 4
; NumVGPRsForWavesPerEU: 1
; AccumOffset: 4
; Occupancy: 8
; WaveLimiterHint : 0
; COMPUTE_PGM_RSRC2:SCRATCH_EN: 0
; COMPUTE_PGM_RSRC2:USER_SGPR: 6
; COMPUTE_PGM_RSRC2:TRAP_HANDLER: 0
; COMPUTE_PGM_RSRC2:TGID_X_EN: 1
; COMPUTE_PGM_RSRC2:TGID_Y_EN: 0
; COMPUTE_PGM_RSRC2:TGID_Z_EN: 0
; COMPUTE_PGM_RSRC2:TIDIG_COMP_CNT: 0
; COMPUTE_PGM_RSRC3_GFX90A:ACCUM_OFFSET: 0
; COMPUTE_PGM_RSRC3_GFX90A:TG_SPLIT: 0
	.section	.text._ZN7rocprim17ROCPRIM_400000_NS6detail17trampoline_kernelINS0_14default_configENS1_38merge_sort_block_merge_config_selectorIslEEZZNS1_27merge_sort_block_merge_implIS3_PsN6thrust23THRUST_200600_302600_NS10device_ptrIlEEjNS1_19radix_merge_compareILb0ELb0EsNS0_19identity_decomposerEEEEE10hipError_tT0_T1_T2_jT3_P12ihipStream_tbPNSt15iterator_traitsISG_E10value_typeEPNSM_ISH_E10value_typeEPSI_NS1_7vsmem_tEENKUlT_SG_SH_SI_E_clIS7_S7_PlSB_EESF_SV_SG_SH_SI_EUlSV_E1_NS1_11comp_targetILNS1_3genE2ELNS1_11target_archE906ELNS1_3gpuE6ELNS1_3repE0EEENS1_36merge_oddeven_config_static_selectorELNS0_4arch9wavefront6targetE1EEEvSH_,"axG",@progbits,_ZN7rocprim17ROCPRIM_400000_NS6detail17trampoline_kernelINS0_14default_configENS1_38merge_sort_block_merge_config_selectorIslEEZZNS1_27merge_sort_block_merge_implIS3_PsN6thrust23THRUST_200600_302600_NS10device_ptrIlEEjNS1_19radix_merge_compareILb0ELb0EsNS0_19identity_decomposerEEEEE10hipError_tT0_T1_T2_jT3_P12ihipStream_tbPNSt15iterator_traitsISG_E10value_typeEPNSM_ISH_E10value_typeEPSI_NS1_7vsmem_tEENKUlT_SG_SH_SI_E_clIS7_S7_PlSB_EESF_SV_SG_SH_SI_EUlSV_E1_NS1_11comp_targetILNS1_3genE2ELNS1_11target_archE906ELNS1_3gpuE6ELNS1_3repE0EEENS1_36merge_oddeven_config_static_selectorELNS0_4arch9wavefront6targetE1EEEvSH_,comdat
	.protected	_ZN7rocprim17ROCPRIM_400000_NS6detail17trampoline_kernelINS0_14default_configENS1_38merge_sort_block_merge_config_selectorIslEEZZNS1_27merge_sort_block_merge_implIS3_PsN6thrust23THRUST_200600_302600_NS10device_ptrIlEEjNS1_19radix_merge_compareILb0ELb0EsNS0_19identity_decomposerEEEEE10hipError_tT0_T1_T2_jT3_P12ihipStream_tbPNSt15iterator_traitsISG_E10value_typeEPNSM_ISH_E10value_typeEPSI_NS1_7vsmem_tEENKUlT_SG_SH_SI_E_clIS7_S7_PlSB_EESF_SV_SG_SH_SI_EUlSV_E1_NS1_11comp_targetILNS1_3genE2ELNS1_11target_archE906ELNS1_3gpuE6ELNS1_3repE0EEENS1_36merge_oddeven_config_static_selectorELNS0_4arch9wavefront6targetE1EEEvSH_ ; -- Begin function _ZN7rocprim17ROCPRIM_400000_NS6detail17trampoline_kernelINS0_14default_configENS1_38merge_sort_block_merge_config_selectorIslEEZZNS1_27merge_sort_block_merge_implIS3_PsN6thrust23THRUST_200600_302600_NS10device_ptrIlEEjNS1_19radix_merge_compareILb0ELb0EsNS0_19identity_decomposerEEEEE10hipError_tT0_T1_T2_jT3_P12ihipStream_tbPNSt15iterator_traitsISG_E10value_typeEPNSM_ISH_E10value_typeEPSI_NS1_7vsmem_tEENKUlT_SG_SH_SI_E_clIS7_S7_PlSB_EESF_SV_SG_SH_SI_EUlSV_E1_NS1_11comp_targetILNS1_3genE2ELNS1_11target_archE906ELNS1_3gpuE6ELNS1_3repE0EEENS1_36merge_oddeven_config_static_selectorELNS0_4arch9wavefront6targetE1EEEvSH_
	.globl	_ZN7rocprim17ROCPRIM_400000_NS6detail17trampoline_kernelINS0_14default_configENS1_38merge_sort_block_merge_config_selectorIslEEZZNS1_27merge_sort_block_merge_implIS3_PsN6thrust23THRUST_200600_302600_NS10device_ptrIlEEjNS1_19radix_merge_compareILb0ELb0EsNS0_19identity_decomposerEEEEE10hipError_tT0_T1_T2_jT3_P12ihipStream_tbPNSt15iterator_traitsISG_E10value_typeEPNSM_ISH_E10value_typeEPSI_NS1_7vsmem_tEENKUlT_SG_SH_SI_E_clIS7_S7_PlSB_EESF_SV_SG_SH_SI_EUlSV_E1_NS1_11comp_targetILNS1_3genE2ELNS1_11target_archE906ELNS1_3gpuE6ELNS1_3repE0EEENS1_36merge_oddeven_config_static_selectorELNS0_4arch9wavefront6targetE1EEEvSH_
	.p2align	8
	.type	_ZN7rocprim17ROCPRIM_400000_NS6detail17trampoline_kernelINS0_14default_configENS1_38merge_sort_block_merge_config_selectorIslEEZZNS1_27merge_sort_block_merge_implIS3_PsN6thrust23THRUST_200600_302600_NS10device_ptrIlEEjNS1_19radix_merge_compareILb0ELb0EsNS0_19identity_decomposerEEEEE10hipError_tT0_T1_T2_jT3_P12ihipStream_tbPNSt15iterator_traitsISG_E10value_typeEPNSM_ISH_E10value_typeEPSI_NS1_7vsmem_tEENKUlT_SG_SH_SI_E_clIS7_S7_PlSB_EESF_SV_SG_SH_SI_EUlSV_E1_NS1_11comp_targetILNS1_3genE2ELNS1_11target_archE906ELNS1_3gpuE6ELNS1_3repE0EEENS1_36merge_oddeven_config_static_selectorELNS0_4arch9wavefront6targetE1EEEvSH_,@function
_ZN7rocprim17ROCPRIM_400000_NS6detail17trampoline_kernelINS0_14default_configENS1_38merge_sort_block_merge_config_selectorIslEEZZNS1_27merge_sort_block_merge_implIS3_PsN6thrust23THRUST_200600_302600_NS10device_ptrIlEEjNS1_19radix_merge_compareILb0ELb0EsNS0_19identity_decomposerEEEEE10hipError_tT0_T1_T2_jT3_P12ihipStream_tbPNSt15iterator_traitsISG_E10value_typeEPNSM_ISH_E10value_typeEPSI_NS1_7vsmem_tEENKUlT_SG_SH_SI_E_clIS7_S7_PlSB_EESF_SV_SG_SH_SI_EUlSV_E1_NS1_11comp_targetILNS1_3genE2ELNS1_11target_archE906ELNS1_3gpuE6ELNS1_3repE0EEENS1_36merge_oddeven_config_static_selectorELNS0_4arch9wavefront6targetE1EEEvSH_: ; @_ZN7rocprim17ROCPRIM_400000_NS6detail17trampoline_kernelINS0_14default_configENS1_38merge_sort_block_merge_config_selectorIslEEZZNS1_27merge_sort_block_merge_implIS3_PsN6thrust23THRUST_200600_302600_NS10device_ptrIlEEjNS1_19radix_merge_compareILb0ELb0EsNS0_19identity_decomposerEEEEE10hipError_tT0_T1_T2_jT3_P12ihipStream_tbPNSt15iterator_traitsISG_E10value_typeEPNSM_ISH_E10value_typeEPSI_NS1_7vsmem_tEENKUlT_SG_SH_SI_E_clIS7_S7_PlSB_EESF_SV_SG_SH_SI_EUlSV_E1_NS1_11comp_targetILNS1_3genE2ELNS1_11target_archE906ELNS1_3gpuE6ELNS1_3repE0EEENS1_36merge_oddeven_config_static_selectorELNS0_4arch9wavefront6targetE1EEEvSH_
; %bb.0:
	.section	.rodata,"a",@progbits
	.p2align	6, 0x0
	.amdhsa_kernel _ZN7rocprim17ROCPRIM_400000_NS6detail17trampoline_kernelINS0_14default_configENS1_38merge_sort_block_merge_config_selectorIslEEZZNS1_27merge_sort_block_merge_implIS3_PsN6thrust23THRUST_200600_302600_NS10device_ptrIlEEjNS1_19radix_merge_compareILb0ELb0EsNS0_19identity_decomposerEEEEE10hipError_tT0_T1_T2_jT3_P12ihipStream_tbPNSt15iterator_traitsISG_E10value_typeEPNSM_ISH_E10value_typeEPSI_NS1_7vsmem_tEENKUlT_SG_SH_SI_E_clIS7_S7_PlSB_EESF_SV_SG_SH_SI_EUlSV_E1_NS1_11comp_targetILNS1_3genE2ELNS1_11target_archE906ELNS1_3gpuE6ELNS1_3repE0EEENS1_36merge_oddeven_config_static_selectorELNS0_4arch9wavefront6targetE1EEEvSH_
		.amdhsa_group_segment_fixed_size 0
		.amdhsa_private_segment_fixed_size 0
		.amdhsa_kernarg_size 48
		.amdhsa_user_sgpr_count 6
		.amdhsa_user_sgpr_private_segment_buffer 1
		.amdhsa_user_sgpr_dispatch_ptr 0
		.amdhsa_user_sgpr_queue_ptr 0
		.amdhsa_user_sgpr_kernarg_segment_ptr 1
		.amdhsa_user_sgpr_dispatch_id 0
		.amdhsa_user_sgpr_flat_scratch_init 0
		.amdhsa_user_sgpr_kernarg_preload_length 0
		.amdhsa_user_sgpr_kernarg_preload_offset 0
		.amdhsa_user_sgpr_private_segment_size 0
		.amdhsa_uses_dynamic_stack 0
		.amdhsa_system_sgpr_private_segment_wavefront_offset 0
		.amdhsa_system_sgpr_workgroup_id_x 1
		.amdhsa_system_sgpr_workgroup_id_y 0
		.amdhsa_system_sgpr_workgroup_id_z 0
		.amdhsa_system_sgpr_workgroup_info 0
		.amdhsa_system_vgpr_workitem_id 0
		.amdhsa_next_free_vgpr 1
		.amdhsa_next_free_sgpr 0
		.amdhsa_accum_offset 4
		.amdhsa_reserve_vcc 0
		.amdhsa_reserve_flat_scratch 0
		.amdhsa_float_round_mode_32 0
		.amdhsa_float_round_mode_16_64 0
		.amdhsa_float_denorm_mode_32 3
		.amdhsa_float_denorm_mode_16_64 3
		.amdhsa_dx10_clamp 1
		.amdhsa_ieee_mode 1
		.amdhsa_fp16_overflow 0
		.amdhsa_tg_split 0
		.amdhsa_exception_fp_ieee_invalid_op 0
		.amdhsa_exception_fp_denorm_src 0
		.amdhsa_exception_fp_ieee_div_zero 0
		.amdhsa_exception_fp_ieee_overflow 0
		.amdhsa_exception_fp_ieee_underflow 0
		.amdhsa_exception_fp_ieee_inexact 0
		.amdhsa_exception_int_div_zero 0
	.end_amdhsa_kernel
	.section	.text._ZN7rocprim17ROCPRIM_400000_NS6detail17trampoline_kernelINS0_14default_configENS1_38merge_sort_block_merge_config_selectorIslEEZZNS1_27merge_sort_block_merge_implIS3_PsN6thrust23THRUST_200600_302600_NS10device_ptrIlEEjNS1_19radix_merge_compareILb0ELb0EsNS0_19identity_decomposerEEEEE10hipError_tT0_T1_T2_jT3_P12ihipStream_tbPNSt15iterator_traitsISG_E10value_typeEPNSM_ISH_E10value_typeEPSI_NS1_7vsmem_tEENKUlT_SG_SH_SI_E_clIS7_S7_PlSB_EESF_SV_SG_SH_SI_EUlSV_E1_NS1_11comp_targetILNS1_3genE2ELNS1_11target_archE906ELNS1_3gpuE6ELNS1_3repE0EEENS1_36merge_oddeven_config_static_selectorELNS0_4arch9wavefront6targetE1EEEvSH_,"axG",@progbits,_ZN7rocprim17ROCPRIM_400000_NS6detail17trampoline_kernelINS0_14default_configENS1_38merge_sort_block_merge_config_selectorIslEEZZNS1_27merge_sort_block_merge_implIS3_PsN6thrust23THRUST_200600_302600_NS10device_ptrIlEEjNS1_19radix_merge_compareILb0ELb0EsNS0_19identity_decomposerEEEEE10hipError_tT0_T1_T2_jT3_P12ihipStream_tbPNSt15iterator_traitsISG_E10value_typeEPNSM_ISH_E10value_typeEPSI_NS1_7vsmem_tEENKUlT_SG_SH_SI_E_clIS7_S7_PlSB_EESF_SV_SG_SH_SI_EUlSV_E1_NS1_11comp_targetILNS1_3genE2ELNS1_11target_archE906ELNS1_3gpuE6ELNS1_3repE0EEENS1_36merge_oddeven_config_static_selectorELNS0_4arch9wavefront6targetE1EEEvSH_,comdat
.Lfunc_end1297:
	.size	_ZN7rocprim17ROCPRIM_400000_NS6detail17trampoline_kernelINS0_14default_configENS1_38merge_sort_block_merge_config_selectorIslEEZZNS1_27merge_sort_block_merge_implIS3_PsN6thrust23THRUST_200600_302600_NS10device_ptrIlEEjNS1_19radix_merge_compareILb0ELb0EsNS0_19identity_decomposerEEEEE10hipError_tT0_T1_T2_jT3_P12ihipStream_tbPNSt15iterator_traitsISG_E10value_typeEPNSM_ISH_E10value_typeEPSI_NS1_7vsmem_tEENKUlT_SG_SH_SI_E_clIS7_S7_PlSB_EESF_SV_SG_SH_SI_EUlSV_E1_NS1_11comp_targetILNS1_3genE2ELNS1_11target_archE906ELNS1_3gpuE6ELNS1_3repE0EEENS1_36merge_oddeven_config_static_selectorELNS0_4arch9wavefront6targetE1EEEvSH_, .Lfunc_end1297-_ZN7rocprim17ROCPRIM_400000_NS6detail17trampoline_kernelINS0_14default_configENS1_38merge_sort_block_merge_config_selectorIslEEZZNS1_27merge_sort_block_merge_implIS3_PsN6thrust23THRUST_200600_302600_NS10device_ptrIlEEjNS1_19radix_merge_compareILb0ELb0EsNS0_19identity_decomposerEEEEE10hipError_tT0_T1_T2_jT3_P12ihipStream_tbPNSt15iterator_traitsISG_E10value_typeEPNSM_ISH_E10value_typeEPSI_NS1_7vsmem_tEENKUlT_SG_SH_SI_E_clIS7_S7_PlSB_EESF_SV_SG_SH_SI_EUlSV_E1_NS1_11comp_targetILNS1_3genE2ELNS1_11target_archE906ELNS1_3gpuE6ELNS1_3repE0EEENS1_36merge_oddeven_config_static_selectorELNS0_4arch9wavefront6targetE1EEEvSH_
                                        ; -- End function
	.section	.AMDGPU.csdata,"",@progbits
; Kernel info:
; codeLenInByte = 0
; NumSgprs: 4
; NumVgprs: 0
; NumAgprs: 0
; TotalNumVgprs: 0
; ScratchSize: 0
; MemoryBound: 0
; FloatMode: 240
; IeeeMode: 1
; LDSByteSize: 0 bytes/workgroup (compile time only)
; SGPRBlocks: 0
; VGPRBlocks: 0
; NumSGPRsForWavesPerEU: 4
; NumVGPRsForWavesPerEU: 1
; AccumOffset: 4
; Occupancy: 8
; WaveLimiterHint : 0
; COMPUTE_PGM_RSRC2:SCRATCH_EN: 0
; COMPUTE_PGM_RSRC2:USER_SGPR: 6
; COMPUTE_PGM_RSRC2:TRAP_HANDLER: 0
; COMPUTE_PGM_RSRC2:TGID_X_EN: 1
; COMPUTE_PGM_RSRC2:TGID_Y_EN: 0
; COMPUTE_PGM_RSRC2:TGID_Z_EN: 0
; COMPUTE_PGM_RSRC2:TIDIG_COMP_CNT: 0
; COMPUTE_PGM_RSRC3_GFX90A:ACCUM_OFFSET: 0
; COMPUTE_PGM_RSRC3_GFX90A:TG_SPLIT: 0
	.section	.text._ZN7rocprim17ROCPRIM_400000_NS6detail17trampoline_kernelINS0_14default_configENS1_38merge_sort_block_merge_config_selectorIslEEZZNS1_27merge_sort_block_merge_implIS3_PsN6thrust23THRUST_200600_302600_NS10device_ptrIlEEjNS1_19radix_merge_compareILb0ELb0EsNS0_19identity_decomposerEEEEE10hipError_tT0_T1_T2_jT3_P12ihipStream_tbPNSt15iterator_traitsISG_E10value_typeEPNSM_ISH_E10value_typeEPSI_NS1_7vsmem_tEENKUlT_SG_SH_SI_E_clIS7_S7_PlSB_EESF_SV_SG_SH_SI_EUlSV_E1_NS1_11comp_targetILNS1_3genE9ELNS1_11target_archE1100ELNS1_3gpuE3ELNS1_3repE0EEENS1_36merge_oddeven_config_static_selectorELNS0_4arch9wavefront6targetE1EEEvSH_,"axG",@progbits,_ZN7rocprim17ROCPRIM_400000_NS6detail17trampoline_kernelINS0_14default_configENS1_38merge_sort_block_merge_config_selectorIslEEZZNS1_27merge_sort_block_merge_implIS3_PsN6thrust23THRUST_200600_302600_NS10device_ptrIlEEjNS1_19radix_merge_compareILb0ELb0EsNS0_19identity_decomposerEEEEE10hipError_tT0_T1_T2_jT3_P12ihipStream_tbPNSt15iterator_traitsISG_E10value_typeEPNSM_ISH_E10value_typeEPSI_NS1_7vsmem_tEENKUlT_SG_SH_SI_E_clIS7_S7_PlSB_EESF_SV_SG_SH_SI_EUlSV_E1_NS1_11comp_targetILNS1_3genE9ELNS1_11target_archE1100ELNS1_3gpuE3ELNS1_3repE0EEENS1_36merge_oddeven_config_static_selectorELNS0_4arch9wavefront6targetE1EEEvSH_,comdat
	.protected	_ZN7rocprim17ROCPRIM_400000_NS6detail17trampoline_kernelINS0_14default_configENS1_38merge_sort_block_merge_config_selectorIslEEZZNS1_27merge_sort_block_merge_implIS3_PsN6thrust23THRUST_200600_302600_NS10device_ptrIlEEjNS1_19radix_merge_compareILb0ELb0EsNS0_19identity_decomposerEEEEE10hipError_tT0_T1_T2_jT3_P12ihipStream_tbPNSt15iterator_traitsISG_E10value_typeEPNSM_ISH_E10value_typeEPSI_NS1_7vsmem_tEENKUlT_SG_SH_SI_E_clIS7_S7_PlSB_EESF_SV_SG_SH_SI_EUlSV_E1_NS1_11comp_targetILNS1_3genE9ELNS1_11target_archE1100ELNS1_3gpuE3ELNS1_3repE0EEENS1_36merge_oddeven_config_static_selectorELNS0_4arch9wavefront6targetE1EEEvSH_ ; -- Begin function _ZN7rocprim17ROCPRIM_400000_NS6detail17trampoline_kernelINS0_14default_configENS1_38merge_sort_block_merge_config_selectorIslEEZZNS1_27merge_sort_block_merge_implIS3_PsN6thrust23THRUST_200600_302600_NS10device_ptrIlEEjNS1_19radix_merge_compareILb0ELb0EsNS0_19identity_decomposerEEEEE10hipError_tT0_T1_T2_jT3_P12ihipStream_tbPNSt15iterator_traitsISG_E10value_typeEPNSM_ISH_E10value_typeEPSI_NS1_7vsmem_tEENKUlT_SG_SH_SI_E_clIS7_S7_PlSB_EESF_SV_SG_SH_SI_EUlSV_E1_NS1_11comp_targetILNS1_3genE9ELNS1_11target_archE1100ELNS1_3gpuE3ELNS1_3repE0EEENS1_36merge_oddeven_config_static_selectorELNS0_4arch9wavefront6targetE1EEEvSH_
	.globl	_ZN7rocprim17ROCPRIM_400000_NS6detail17trampoline_kernelINS0_14default_configENS1_38merge_sort_block_merge_config_selectorIslEEZZNS1_27merge_sort_block_merge_implIS3_PsN6thrust23THRUST_200600_302600_NS10device_ptrIlEEjNS1_19radix_merge_compareILb0ELb0EsNS0_19identity_decomposerEEEEE10hipError_tT0_T1_T2_jT3_P12ihipStream_tbPNSt15iterator_traitsISG_E10value_typeEPNSM_ISH_E10value_typeEPSI_NS1_7vsmem_tEENKUlT_SG_SH_SI_E_clIS7_S7_PlSB_EESF_SV_SG_SH_SI_EUlSV_E1_NS1_11comp_targetILNS1_3genE9ELNS1_11target_archE1100ELNS1_3gpuE3ELNS1_3repE0EEENS1_36merge_oddeven_config_static_selectorELNS0_4arch9wavefront6targetE1EEEvSH_
	.p2align	8
	.type	_ZN7rocprim17ROCPRIM_400000_NS6detail17trampoline_kernelINS0_14default_configENS1_38merge_sort_block_merge_config_selectorIslEEZZNS1_27merge_sort_block_merge_implIS3_PsN6thrust23THRUST_200600_302600_NS10device_ptrIlEEjNS1_19radix_merge_compareILb0ELb0EsNS0_19identity_decomposerEEEEE10hipError_tT0_T1_T2_jT3_P12ihipStream_tbPNSt15iterator_traitsISG_E10value_typeEPNSM_ISH_E10value_typeEPSI_NS1_7vsmem_tEENKUlT_SG_SH_SI_E_clIS7_S7_PlSB_EESF_SV_SG_SH_SI_EUlSV_E1_NS1_11comp_targetILNS1_3genE9ELNS1_11target_archE1100ELNS1_3gpuE3ELNS1_3repE0EEENS1_36merge_oddeven_config_static_selectorELNS0_4arch9wavefront6targetE1EEEvSH_,@function
_ZN7rocprim17ROCPRIM_400000_NS6detail17trampoline_kernelINS0_14default_configENS1_38merge_sort_block_merge_config_selectorIslEEZZNS1_27merge_sort_block_merge_implIS3_PsN6thrust23THRUST_200600_302600_NS10device_ptrIlEEjNS1_19radix_merge_compareILb0ELb0EsNS0_19identity_decomposerEEEEE10hipError_tT0_T1_T2_jT3_P12ihipStream_tbPNSt15iterator_traitsISG_E10value_typeEPNSM_ISH_E10value_typeEPSI_NS1_7vsmem_tEENKUlT_SG_SH_SI_E_clIS7_S7_PlSB_EESF_SV_SG_SH_SI_EUlSV_E1_NS1_11comp_targetILNS1_3genE9ELNS1_11target_archE1100ELNS1_3gpuE3ELNS1_3repE0EEENS1_36merge_oddeven_config_static_selectorELNS0_4arch9wavefront6targetE1EEEvSH_: ; @_ZN7rocprim17ROCPRIM_400000_NS6detail17trampoline_kernelINS0_14default_configENS1_38merge_sort_block_merge_config_selectorIslEEZZNS1_27merge_sort_block_merge_implIS3_PsN6thrust23THRUST_200600_302600_NS10device_ptrIlEEjNS1_19radix_merge_compareILb0ELb0EsNS0_19identity_decomposerEEEEE10hipError_tT0_T1_T2_jT3_P12ihipStream_tbPNSt15iterator_traitsISG_E10value_typeEPNSM_ISH_E10value_typeEPSI_NS1_7vsmem_tEENKUlT_SG_SH_SI_E_clIS7_S7_PlSB_EESF_SV_SG_SH_SI_EUlSV_E1_NS1_11comp_targetILNS1_3genE9ELNS1_11target_archE1100ELNS1_3gpuE3ELNS1_3repE0EEENS1_36merge_oddeven_config_static_selectorELNS0_4arch9wavefront6targetE1EEEvSH_
; %bb.0:
	.section	.rodata,"a",@progbits
	.p2align	6, 0x0
	.amdhsa_kernel _ZN7rocprim17ROCPRIM_400000_NS6detail17trampoline_kernelINS0_14default_configENS1_38merge_sort_block_merge_config_selectorIslEEZZNS1_27merge_sort_block_merge_implIS3_PsN6thrust23THRUST_200600_302600_NS10device_ptrIlEEjNS1_19radix_merge_compareILb0ELb0EsNS0_19identity_decomposerEEEEE10hipError_tT0_T1_T2_jT3_P12ihipStream_tbPNSt15iterator_traitsISG_E10value_typeEPNSM_ISH_E10value_typeEPSI_NS1_7vsmem_tEENKUlT_SG_SH_SI_E_clIS7_S7_PlSB_EESF_SV_SG_SH_SI_EUlSV_E1_NS1_11comp_targetILNS1_3genE9ELNS1_11target_archE1100ELNS1_3gpuE3ELNS1_3repE0EEENS1_36merge_oddeven_config_static_selectorELNS0_4arch9wavefront6targetE1EEEvSH_
		.amdhsa_group_segment_fixed_size 0
		.amdhsa_private_segment_fixed_size 0
		.amdhsa_kernarg_size 48
		.amdhsa_user_sgpr_count 6
		.amdhsa_user_sgpr_private_segment_buffer 1
		.amdhsa_user_sgpr_dispatch_ptr 0
		.amdhsa_user_sgpr_queue_ptr 0
		.amdhsa_user_sgpr_kernarg_segment_ptr 1
		.amdhsa_user_sgpr_dispatch_id 0
		.amdhsa_user_sgpr_flat_scratch_init 0
		.amdhsa_user_sgpr_kernarg_preload_length 0
		.amdhsa_user_sgpr_kernarg_preload_offset 0
		.amdhsa_user_sgpr_private_segment_size 0
		.amdhsa_uses_dynamic_stack 0
		.amdhsa_system_sgpr_private_segment_wavefront_offset 0
		.amdhsa_system_sgpr_workgroup_id_x 1
		.amdhsa_system_sgpr_workgroup_id_y 0
		.amdhsa_system_sgpr_workgroup_id_z 0
		.amdhsa_system_sgpr_workgroup_info 0
		.amdhsa_system_vgpr_workitem_id 0
		.amdhsa_next_free_vgpr 1
		.amdhsa_next_free_sgpr 0
		.amdhsa_accum_offset 4
		.amdhsa_reserve_vcc 0
		.amdhsa_reserve_flat_scratch 0
		.amdhsa_float_round_mode_32 0
		.amdhsa_float_round_mode_16_64 0
		.amdhsa_float_denorm_mode_32 3
		.amdhsa_float_denorm_mode_16_64 3
		.amdhsa_dx10_clamp 1
		.amdhsa_ieee_mode 1
		.amdhsa_fp16_overflow 0
		.amdhsa_tg_split 0
		.amdhsa_exception_fp_ieee_invalid_op 0
		.amdhsa_exception_fp_denorm_src 0
		.amdhsa_exception_fp_ieee_div_zero 0
		.amdhsa_exception_fp_ieee_overflow 0
		.amdhsa_exception_fp_ieee_underflow 0
		.amdhsa_exception_fp_ieee_inexact 0
		.amdhsa_exception_int_div_zero 0
	.end_amdhsa_kernel
	.section	.text._ZN7rocprim17ROCPRIM_400000_NS6detail17trampoline_kernelINS0_14default_configENS1_38merge_sort_block_merge_config_selectorIslEEZZNS1_27merge_sort_block_merge_implIS3_PsN6thrust23THRUST_200600_302600_NS10device_ptrIlEEjNS1_19radix_merge_compareILb0ELb0EsNS0_19identity_decomposerEEEEE10hipError_tT0_T1_T2_jT3_P12ihipStream_tbPNSt15iterator_traitsISG_E10value_typeEPNSM_ISH_E10value_typeEPSI_NS1_7vsmem_tEENKUlT_SG_SH_SI_E_clIS7_S7_PlSB_EESF_SV_SG_SH_SI_EUlSV_E1_NS1_11comp_targetILNS1_3genE9ELNS1_11target_archE1100ELNS1_3gpuE3ELNS1_3repE0EEENS1_36merge_oddeven_config_static_selectorELNS0_4arch9wavefront6targetE1EEEvSH_,"axG",@progbits,_ZN7rocprim17ROCPRIM_400000_NS6detail17trampoline_kernelINS0_14default_configENS1_38merge_sort_block_merge_config_selectorIslEEZZNS1_27merge_sort_block_merge_implIS3_PsN6thrust23THRUST_200600_302600_NS10device_ptrIlEEjNS1_19radix_merge_compareILb0ELb0EsNS0_19identity_decomposerEEEEE10hipError_tT0_T1_T2_jT3_P12ihipStream_tbPNSt15iterator_traitsISG_E10value_typeEPNSM_ISH_E10value_typeEPSI_NS1_7vsmem_tEENKUlT_SG_SH_SI_E_clIS7_S7_PlSB_EESF_SV_SG_SH_SI_EUlSV_E1_NS1_11comp_targetILNS1_3genE9ELNS1_11target_archE1100ELNS1_3gpuE3ELNS1_3repE0EEENS1_36merge_oddeven_config_static_selectorELNS0_4arch9wavefront6targetE1EEEvSH_,comdat
.Lfunc_end1298:
	.size	_ZN7rocprim17ROCPRIM_400000_NS6detail17trampoline_kernelINS0_14default_configENS1_38merge_sort_block_merge_config_selectorIslEEZZNS1_27merge_sort_block_merge_implIS3_PsN6thrust23THRUST_200600_302600_NS10device_ptrIlEEjNS1_19radix_merge_compareILb0ELb0EsNS0_19identity_decomposerEEEEE10hipError_tT0_T1_T2_jT3_P12ihipStream_tbPNSt15iterator_traitsISG_E10value_typeEPNSM_ISH_E10value_typeEPSI_NS1_7vsmem_tEENKUlT_SG_SH_SI_E_clIS7_S7_PlSB_EESF_SV_SG_SH_SI_EUlSV_E1_NS1_11comp_targetILNS1_3genE9ELNS1_11target_archE1100ELNS1_3gpuE3ELNS1_3repE0EEENS1_36merge_oddeven_config_static_selectorELNS0_4arch9wavefront6targetE1EEEvSH_, .Lfunc_end1298-_ZN7rocprim17ROCPRIM_400000_NS6detail17trampoline_kernelINS0_14default_configENS1_38merge_sort_block_merge_config_selectorIslEEZZNS1_27merge_sort_block_merge_implIS3_PsN6thrust23THRUST_200600_302600_NS10device_ptrIlEEjNS1_19radix_merge_compareILb0ELb0EsNS0_19identity_decomposerEEEEE10hipError_tT0_T1_T2_jT3_P12ihipStream_tbPNSt15iterator_traitsISG_E10value_typeEPNSM_ISH_E10value_typeEPSI_NS1_7vsmem_tEENKUlT_SG_SH_SI_E_clIS7_S7_PlSB_EESF_SV_SG_SH_SI_EUlSV_E1_NS1_11comp_targetILNS1_3genE9ELNS1_11target_archE1100ELNS1_3gpuE3ELNS1_3repE0EEENS1_36merge_oddeven_config_static_selectorELNS0_4arch9wavefront6targetE1EEEvSH_
                                        ; -- End function
	.section	.AMDGPU.csdata,"",@progbits
; Kernel info:
; codeLenInByte = 0
; NumSgprs: 4
; NumVgprs: 0
; NumAgprs: 0
; TotalNumVgprs: 0
; ScratchSize: 0
; MemoryBound: 0
; FloatMode: 240
; IeeeMode: 1
; LDSByteSize: 0 bytes/workgroup (compile time only)
; SGPRBlocks: 0
; VGPRBlocks: 0
; NumSGPRsForWavesPerEU: 4
; NumVGPRsForWavesPerEU: 1
; AccumOffset: 4
; Occupancy: 8
; WaveLimiterHint : 0
; COMPUTE_PGM_RSRC2:SCRATCH_EN: 0
; COMPUTE_PGM_RSRC2:USER_SGPR: 6
; COMPUTE_PGM_RSRC2:TRAP_HANDLER: 0
; COMPUTE_PGM_RSRC2:TGID_X_EN: 1
; COMPUTE_PGM_RSRC2:TGID_Y_EN: 0
; COMPUTE_PGM_RSRC2:TGID_Z_EN: 0
; COMPUTE_PGM_RSRC2:TIDIG_COMP_CNT: 0
; COMPUTE_PGM_RSRC3_GFX90A:ACCUM_OFFSET: 0
; COMPUTE_PGM_RSRC3_GFX90A:TG_SPLIT: 0
	.section	.text._ZN7rocprim17ROCPRIM_400000_NS6detail17trampoline_kernelINS0_14default_configENS1_38merge_sort_block_merge_config_selectorIslEEZZNS1_27merge_sort_block_merge_implIS3_PsN6thrust23THRUST_200600_302600_NS10device_ptrIlEEjNS1_19radix_merge_compareILb0ELb0EsNS0_19identity_decomposerEEEEE10hipError_tT0_T1_T2_jT3_P12ihipStream_tbPNSt15iterator_traitsISG_E10value_typeEPNSM_ISH_E10value_typeEPSI_NS1_7vsmem_tEENKUlT_SG_SH_SI_E_clIS7_S7_PlSB_EESF_SV_SG_SH_SI_EUlSV_E1_NS1_11comp_targetILNS1_3genE8ELNS1_11target_archE1030ELNS1_3gpuE2ELNS1_3repE0EEENS1_36merge_oddeven_config_static_selectorELNS0_4arch9wavefront6targetE1EEEvSH_,"axG",@progbits,_ZN7rocprim17ROCPRIM_400000_NS6detail17trampoline_kernelINS0_14default_configENS1_38merge_sort_block_merge_config_selectorIslEEZZNS1_27merge_sort_block_merge_implIS3_PsN6thrust23THRUST_200600_302600_NS10device_ptrIlEEjNS1_19radix_merge_compareILb0ELb0EsNS0_19identity_decomposerEEEEE10hipError_tT0_T1_T2_jT3_P12ihipStream_tbPNSt15iterator_traitsISG_E10value_typeEPNSM_ISH_E10value_typeEPSI_NS1_7vsmem_tEENKUlT_SG_SH_SI_E_clIS7_S7_PlSB_EESF_SV_SG_SH_SI_EUlSV_E1_NS1_11comp_targetILNS1_3genE8ELNS1_11target_archE1030ELNS1_3gpuE2ELNS1_3repE0EEENS1_36merge_oddeven_config_static_selectorELNS0_4arch9wavefront6targetE1EEEvSH_,comdat
	.protected	_ZN7rocprim17ROCPRIM_400000_NS6detail17trampoline_kernelINS0_14default_configENS1_38merge_sort_block_merge_config_selectorIslEEZZNS1_27merge_sort_block_merge_implIS3_PsN6thrust23THRUST_200600_302600_NS10device_ptrIlEEjNS1_19radix_merge_compareILb0ELb0EsNS0_19identity_decomposerEEEEE10hipError_tT0_T1_T2_jT3_P12ihipStream_tbPNSt15iterator_traitsISG_E10value_typeEPNSM_ISH_E10value_typeEPSI_NS1_7vsmem_tEENKUlT_SG_SH_SI_E_clIS7_S7_PlSB_EESF_SV_SG_SH_SI_EUlSV_E1_NS1_11comp_targetILNS1_3genE8ELNS1_11target_archE1030ELNS1_3gpuE2ELNS1_3repE0EEENS1_36merge_oddeven_config_static_selectorELNS0_4arch9wavefront6targetE1EEEvSH_ ; -- Begin function _ZN7rocprim17ROCPRIM_400000_NS6detail17trampoline_kernelINS0_14default_configENS1_38merge_sort_block_merge_config_selectorIslEEZZNS1_27merge_sort_block_merge_implIS3_PsN6thrust23THRUST_200600_302600_NS10device_ptrIlEEjNS1_19radix_merge_compareILb0ELb0EsNS0_19identity_decomposerEEEEE10hipError_tT0_T1_T2_jT3_P12ihipStream_tbPNSt15iterator_traitsISG_E10value_typeEPNSM_ISH_E10value_typeEPSI_NS1_7vsmem_tEENKUlT_SG_SH_SI_E_clIS7_S7_PlSB_EESF_SV_SG_SH_SI_EUlSV_E1_NS1_11comp_targetILNS1_3genE8ELNS1_11target_archE1030ELNS1_3gpuE2ELNS1_3repE0EEENS1_36merge_oddeven_config_static_selectorELNS0_4arch9wavefront6targetE1EEEvSH_
	.globl	_ZN7rocprim17ROCPRIM_400000_NS6detail17trampoline_kernelINS0_14default_configENS1_38merge_sort_block_merge_config_selectorIslEEZZNS1_27merge_sort_block_merge_implIS3_PsN6thrust23THRUST_200600_302600_NS10device_ptrIlEEjNS1_19radix_merge_compareILb0ELb0EsNS0_19identity_decomposerEEEEE10hipError_tT0_T1_T2_jT3_P12ihipStream_tbPNSt15iterator_traitsISG_E10value_typeEPNSM_ISH_E10value_typeEPSI_NS1_7vsmem_tEENKUlT_SG_SH_SI_E_clIS7_S7_PlSB_EESF_SV_SG_SH_SI_EUlSV_E1_NS1_11comp_targetILNS1_3genE8ELNS1_11target_archE1030ELNS1_3gpuE2ELNS1_3repE0EEENS1_36merge_oddeven_config_static_selectorELNS0_4arch9wavefront6targetE1EEEvSH_
	.p2align	8
	.type	_ZN7rocprim17ROCPRIM_400000_NS6detail17trampoline_kernelINS0_14default_configENS1_38merge_sort_block_merge_config_selectorIslEEZZNS1_27merge_sort_block_merge_implIS3_PsN6thrust23THRUST_200600_302600_NS10device_ptrIlEEjNS1_19radix_merge_compareILb0ELb0EsNS0_19identity_decomposerEEEEE10hipError_tT0_T1_T2_jT3_P12ihipStream_tbPNSt15iterator_traitsISG_E10value_typeEPNSM_ISH_E10value_typeEPSI_NS1_7vsmem_tEENKUlT_SG_SH_SI_E_clIS7_S7_PlSB_EESF_SV_SG_SH_SI_EUlSV_E1_NS1_11comp_targetILNS1_3genE8ELNS1_11target_archE1030ELNS1_3gpuE2ELNS1_3repE0EEENS1_36merge_oddeven_config_static_selectorELNS0_4arch9wavefront6targetE1EEEvSH_,@function
_ZN7rocprim17ROCPRIM_400000_NS6detail17trampoline_kernelINS0_14default_configENS1_38merge_sort_block_merge_config_selectorIslEEZZNS1_27merge_sort_block_merge_implIS3_PsN6thrust23THRUST_200600_302600_NS10device_ptrIlEEjNS1_19radix_merge_compareILb0ELb0EsNS0_19identity_decomposerEEEEE10hipError_tT0_T1_T2_jT3_P12ihipStream_tbPNSt15iterator_traitsISG_E10value_typeEPNSM_ISH_E10value_typeEPSI_NS1_7vsmem_tEENKUlT_SG_SH_SI_E_clIS7_S7_PlSB_EESF_SV_SG_SH_SI_EUlSV_E1_NS1_11comp_targetILNS1_3genE8ELNS1_11target_archE1030ELNS1_3gpuE2ELNS1_3repE0EEENS1_36merge_oddeven_config_static_selectorELNS0_4arch9wavefront6targetE1EEEvSH_: ; @_ZN7rocprim17ROCPRIM_400000_NS6detail17trampoline_kernelINS0_14default_configENS1_38merge_sort_block_merge_config_selectorIslEEZZNS1_27merge_sort_block_merge_implIS3_PsN6thrust23THRUST_200600_302600_NS10device_ptrIlEEjNS1_19radix_merge_compareILb0ELb0EsNS0_19identity_decomposerEEEEE10hipError_tT0_T1_T2_jT3_P12ihipStream_tbPNSt15iterator_traitsISG_E10value_typeEPNSM_ISH_E10value_typeEPSI_NS1_7vsmem_tEENKUlT_SG_SH_SI_E_clIS7_S7_PlSB_EESF_SV_SG_SH_SI_EUlSV_E1_NS1_11comp_targetILNS1_3genE8ELNS1_11target_archE1030ELNS1_3gpuE2ELNS1_3repE0EEENS1_36merge_oddeven_config_static_selectorELNS0_4arch9wavefront6targetE1EEEvSH_
; %bb.0:
	.section	.rodata,"a",@progbits
	.p2align	6, 0x0
	.amdhsa_kernel _ZN7rocprim17ROCPRIM_400000_NS6detail17trampoline_kernelINS0_14default_configENS1_38merge_sort_block_merge_config_selectorIslEEZZNS1_27merge_sort_block_merge_implIS3_PsN6thrust23THRUST_200600_302600_NS10device_ptrIlEEjNS1_19radix_merge_compareILb0ELb0EsNS0_19identity_decomposerEEEEE10hipError_tT0_T1_T2_jT3_P12ihipStream_tbPNSt15iterator_traitsISG_E10value_typeEPNSM_ISH_E10value_typeEPSI_NS1_7vsmem_tEENKUlT_SG_SH_SI_E_clIS7_S7_PlSB_EESF_SV_SG_SH_SI_EUlSV_E1_NS1_11comp_targetILNS1_3genE8ELNS1_11target_archE1030ELNS1_3gpuE2ELNS1_3repE0EEENS1_36merge_oddeven_config_static_selectorELNS0_4arch9wavefront6targetE1EEEvSH_
		.amdhsa_group_segment_fixed_size 0
		.amdhsa_private_segment_fixed_size 0
		.amdhsa_kernarg_size 48
		.amdhsa_user_sgpr_count 6
		.amdhsa_user_sgpr_private_segment_buffer 1
		.amdhsa_user_sgpr_dispatch_ptr 0
		.amdhsa_user_sgpr_queue_ptr 0
		.amdhsa_user_sgpr_kernarg_segment_ptr 1
		.amdhsa_user_sgpr_dispatch_id 0
		.amdhsa_user_sgpr_flat_scratch_init 0
		.amdhsa_user_sgpr_kernarg_preload_length 0
		.amdhsa_user_sgpr_kernarg_preload_offset 0
		.amdhsa_user_sgpr_private_segment_size 0
		.amdhsa_uses_dynamic_stack 0
		.amdhsa_system_sgpr_private_segment_wavefront_offset 0
		.amdhsa_system_sgpr_workgroup_id_x 1
		.amdhsa_system_sgpr_workgroup_id_y 0
		.amdhsa_system_sgpr_workgroup_id_z 0
		.amdhsa_system_sgpr_workgroup_info 0
		.amdhsa_system_vgpr_workitem_id 0
		.amdhsa_next_free_vgpr 1
		.amdhsa_next_free_sgpr 0
		.amdhsa_accum_offset 4
		.amdhsa_reserve_vcc 0
		.amdhsa_reserve_flat_scratch 0
		.amdhsa_float_round_mode_32 0
		.amdhsa_float_round_mode_16_64 0
		.amdhsa_float_denorm_mode_32 3
		.amdhsa_float_denorm_mode_16_64 3
		.amdhsa_dx10_clamp 1
		.amdhsa_ieee_mode 1
		.amdhsa_fp16_overflow 0
		.amdhsa_tg_split 0
		.amdhsa_exception_fp_ieee_invalid_op 0
		.amdhsa_exception_fp_denorm_src 0
		.amdhsa_exception_fp_ieee_div_zero 0
		.amdhsa_exception_fp_ieee_overflow 0
		.amdhsa_exception_fp_ieee_underflow 0
		.amdhsa_exception_fp_ieee_inexact 0
		.amdhsa_exception_int_div_zero 0
	.end_amdhsa_kernel
	.section	.text._ZN7rocprim17ROCPRIM_400000_NS6detail17trampoline_kernelINS0_14default_configENS1_38merge_sort_block_merge_config_selectorIslEEZZNS1_27merge_sort_block_merge_implIS3_PsN6thrust23THRUST_200600_302600_NS10device_ptrIlEEjNS1_19radix_merge_compareILb0ELb0EsNS0_19identity_decomposerEEEEE10hipError_tT0_T1_T2_jT3_P12ihipStream_tbPNSt15iterator_traitsISG_E10value_typeEPNSM_ISH_E10value_typeEPSI_NS1_7vsmem_tEENKUlT_SG_SH_SI_E_clIS7_S7_PlSB_EESF_SV_SG_SH_SI_EUlSV_E1_NS1_11comp_targetILNS1_3genE8ELNS1_11target_archE1030ELNS1_3gpuE2ELNS1_3repE0EEENS1_36merge_oddeven_config_static_selectorELNS0_4arch9wavefront6targetE1EEEvSH_,"axG",@progbits,_ZN7rocprim17ROCPRIM_400000_NS6detail17trampoline_kernelINS0_14default_configENS1_38merge_sort_block_merge_config_selectorIslEEZZNS1_27merge_sort_block_merge_implIS3_PsN6thrust23THRUST_200600_302600_NS10device_ptrIlEEjNS1_19radix_merge_compareILb0ELb0EsNS0_19identity_decomposerEEEEE10hipError_tT0_T1_T2_jT3_P12ihipStream_tbPNSt15iterator_traitsISG_E10value_typeEPNSM_ISH_E10value_typeEPSI_NS1_7vsmem_tEENKUlT_SG_SH_SI_E_clIS7_S7_PlSB_EESF_SV_SG_SH_SI_EUlSV_E1_NS1_11comp_targetILNS1_3genE8ELNS1_11target_archE1030ELNS1_3gpuE2ELNS1_3repE0EEENS1_36merge_oddeven_config_static_selectorELNS0_4arch9wavefront6targetE1EEEvSH_,comdat
.Lfunc_end1299:
	.size	_ZN7rocprim17ROCPRIM_400000_NS6detail17trampoline_kernelINS0_14default_configENS1_38merge_sort_block_merge_config_selectorIslEEZZNS1_27merge_sort_block_merge_implIS3_PsN6thrust23THRUST_200600_302600_NS10device_ptrIlEEjNS1_19radix_merge_compareILb0ELb0EsNS0_19identity_decomposerEEEEE10hipError_tT0_T1_T2_jT3_P12ihipStream_tbPNSt15iterator_traitsISG_E10value_typeEPNSM_ISH_E10value_typeEPSI_NS1_7vsmem_tEENKUlT_SG_SH_SI_E_clIS7_S7_PlSB_EESF_SV_SG_SH_SI_EUlSV_E1_NS1_11comp_targetILNS1_3genE8ELNS1_11target_archE1030ELNS1_3gpuE2ELNS1_3repE0EEENS1_36merge_oddeven_config_static_selectorELNS0_4arch9wavefront6targetE1EEEvSH_, .Lfunc_end1299-_ZN7rocprim17ROCPRIM_400000_NS6detail17trampoline_kernelINS0_14default_configENS1_38merge_sort_block_merge_config_selectorIslEEZZNS1_27merge_sort_block_merge_implIS3_PsN6thrust23THRUST_200600_302600_NS10device_ptrIlEEjNS1_19radix_merge_compareILb0ELb0EsNS0_19identity_decomposerEEEEE10hipError_tT0_T1_T2_jT3_P12ihipStream_tbPNSt15iterator_traitsISG_E10value_typeEPNSM_ISH_E10value_typeEPSI_NS1_7vsmem_tEENKUlT_SG_SH_SI_E_clIS7_S7_PlSB_EESF_SV_SG_SH_SI_EUlSV_E1_NS1_11comp_targetILNS1_3genE8ELNS1_11target_archE1030ELNS1_3gpuE2ELNS1_3repE0EEENS1_36merge_oddeven_config_static_selectorELNS0_4arch9wavefront6targetE1EEEvSH_
                                        ; -- End function
	.section	.AMDGPU.csdata,"",@progbits
; Kernel info:
; codeLenInByte = 0
; NumSgprs: 4
; NumVgprs: 0
; NumAgprs: 0
; TotalNumVgprs: 0
; ScratchSize: 0
; MemoryBound: 0
; FloatMode: 240
; IeeeMode: 1
; LDSByteSize: 0 bytes/workgroup (compile time only)
; SGPRBlocks: 0
; VGPRBlocks: 0
; NumSGPRsForWavesPerEU: 4
; NumVGPRsForWavesPerEU: 1
; AccumOffset: 4
; Occupancy: 8
; WaveLimiterHint : 0
; COMPUTE_PGM_RSRC2:SCRATCH_EN: 0
; COMPUTE_PGM_RSRC2:USER_SGPR: 6
; COMPUTE_PGM_RSRC2:TRAP_HANDLER: 0
; COMPUTE_PGM_RSRC2:TGID_X_EN: 1
; COMPUTE_PGM_RSRC2:TGID_Y_EN: 0
; COMPUTE_PGM_RSRC2:TGID_Z_EN: 0
; COMPUTE_PGM_RSRC2:TIDIG_COMP_CNT: 0
; COMPUTE_PGM_RSRC3_GFX90A:ACCUM_OFFSET: 0
; COMPUTE_PGM_RSRC3_GFX90A:TG_SPLIT: 0
	.section	.text._ZN7rocprim17ROCPRIM_400000_NS6detail17trampoline_kernelINS0_14default_configENS1_38merge_sort_block_merge_config_selectorIslEEZZNS1_27merge_sort_block_merge_implIS3_PsN6thrust23THRUST_200600_302600_NS10device_ptrIlEEjNS1_19radix_merge_compareILb0ELb0EsNS0_19identity_decomposerEEEEE10hipError_tT0_T1_T2_jT3_P12ihipStream_tbPNSt15iterator_traitsISG_E10value_typeEPNSM_ISH_E10value_typeEPSI_NS1_7vsmem_tEENKUlT_SG_SH_SI_E_clIS7_S7_SB_PlEESF_SV_SG_SH_SI_EUlSV_E_NS1_11comp_targetILNS1_3genE0ELNS1_11target_archE4294967295ELNS1_3gpuE0ELNS1_3repE0EEENS1_48merge_mergepath_partition_config_static_selectorELNS0_4arch9wavefront6targetE1EEEvSH_,"axG",@progbits,_ZN7rocprim17ROCPRIM_400000_NS6detail17trampoline_kernelINS0_14default_configENS1_38merge_sort_block_merge_config_selectorIslEEZZNS1_27merge_sort_block_merge_implIS3_PsN6thrust23THRUST_200600_302600_NS10device_ptrIlEEjNS1_19radix_merge_compareILb0ELb0EsNS0_19identity_decomposerEEEEE10hipError_tT0_T1_T2_jT3_P12ihipStream_tbPNSt15iterator_traitsISG_E10value_typeEPNSM_ISH_E10value_typeEPSI_NS1_7vsmem_tEENKUlT_SG_SH_SI_E_clIS7_S7_SB_PlEESF_SV_SG_SH_SI_EUlSV_E_NS1_11comp_targetILNS1_3genE0ELNS1_11target_archE4294967295ELNS1_3gpuE0ELNS1_3repE0EEENS1_48merge_mergepath_partition_config_static_selectorELNS0_4arch9wavefront6targetE1EEEvSH_,comdat
	.protected	_ZN7rocprim17ROCPRIM_400000_NS6detail17trampoline_kernelINS0_14default_configENS1_38merge_sort_block_merge_config_selectorIslEEZZNS1_27merge_sort_block_merge_implIS3_PsN6thrust23THRUST_200600_302600_NS10device_ptrIlEEjNS1_19radix_merge_compareILb0ELb0EsNS0_19identity_decomposerEEEEE10hipError_tT0_T1_T2_jT3_P12ihipStream_tbPNSt15iterator_traitsISG_E10value_typeEPNSM_ISH_E10value_typeEPSI_NS1_7vsmem_tEENKUlT_SG_SH_SI_E_clIS7_S7_SB_PlEESF_SV_SG_SH_SI_EUlSV_E_NS1_11comp_targetILNS1_3genE0ELNS1_11target_archE4294967295ELNS1_3gpuE0ELNS1_3repE0EEENS1_48merge_mergepath_partition_config_static_selectorELNS0_4arch9wavefront6targetE1EEEvSH_ ; -- Begin function _ZN7rocprim17ROCPRIM_400000_NS6detail17trampoline_kernelINS0_14default_configENS1_38merge_sort_block_merge_config_selectorIslEEZZNS1_27merge_sort_block_merge_implIS3_PsN6thrust23THRUST_200600_302600_NS10device_ptrIlEEjNS1_19radix_merge_compareILb0ELb0EsNS0_19identity_decomposerEEEEE10hipError_tT0_T1_T2_jT3_P12ihipStream_tbPNSt15iterator_traitsISG_E10value_typeEPNSM_ISH_E10value_typeEPSI_NS1_7vsmem_tEENKUlT_SG_SH_SI_E_clIS7_S7_SB_PlEESF_SV_SG_SH_SI_EUlSV_E_NS1_11comp_targetILNS1_3genE0ELNS1_11target_archE4294967295ELNS1_3gpuE0ELNS1_3repE0EEENS1_48merge_mergepath_partition_config_static_selectorELNS0_4arch9wavefront6targetE1EEEvSH_
	.globl	_ZN7rocprim17ROCPRIM_400000_NS6detail17trampoline_kernelINS0_14default_configENS1_38merge_sort_block_merge_config_selectorIslEEZZNS1_27merge_sort_block_merge_implIS3_PsN6thrust23THRUST_200600_302600_NS10device_ptrIlEEjNS1_19radix_merge_compareILb0ELb0EsNS0_19identity_decomposerEEEEE10hipError_tT0_T1_T2_jT3_P12ihipStream_tbPNSt15iterator_traitsISG_E10value_typeEPNSM_ISH_E10value_typeEPSI_NS1_7vsmem_tEENKUlT_SG_SH_SI_E_clIS7_S7_SB_PlEESF_SV_SG_SH_SI_EUlSV_E_NS1_11comp_targetILNS1_3genE0ELNS1_11target_archE4294967295ELNS1_3gpuE0ELNS1_3repE0EEENS1_48merge_mergepath_partition_config_static_selectorELNS0_4arch9wavefront6targetE1EEEvSH_
	.p2align	8
	.type	_ZN7rocprim17ROCPRIM_400000_NS6detail17trampoline_kernelINS0_14default_configENS1_38merge_sort_block_merge_config_selectorIslEEZZNS1_27merge_sort_block_merge_implIS3_PsN6thrust23THRUST_200600_302600_NS10device_ptrIlEEjNS1_19radix_merge_compareILb0ELb0EsNS0_19identity_decomposerEEEEE10hipError_tT0_T1_T2_jT3_P12ihipStream_tbPNSt15iterator_traitsISG_E10value_typeEPNSM_ISH_E10value_typeEPSI_NS1_7vsmem_tEENKUlT_SG_SH_SI_E_clIS7_S7_SB_PlEESF_SV_SG_SH_SI_EUlSV_E_NS1_11comp_targetILNS1_3genE0ELNS1_11target_archE4294967295ELNS1_3gpuE0ELNS1_3repE0EEENS1_48merge_mergepath_partition_config_static_selectorELNS0_4arch9wavefront6targetE1EEEvSH_,@function
_ZN7rocprim17ROCPRIM_400000_NS6detail17trampoline_kernelINS0_14default_configENS1_38merge_sort_block_merge_config_selectorIslEEZZNS1_27merge_sort_block_merge_implIS3_PsN6thrust23THRUST_200600_302600_NS10device_ptrIlEEjNS1_19radix_merge_compareILb0ELb0EsNS0_19identity_decomposerEEEEE10hipError_tT0_T1_T2_jT3_P12ihipStream_tbPNSt15iterator_traitsISG_E10value_typeEPNSM_ISH_E10value_typeEPSI_NS1_7vsmem_tEENKUlT_SG_SH_SI_E_clIS7_S7_SB_PlEESF_SV_SG_SH_SI_EUlSV_E_NS1_11comp_targetILNS1_3genE0ELNS1_11target_archE4294967295ELNS1_3gpuE0ELNS1_3repE0EEENS1_48merge_mergepath_partition_config_static_selectorELNS0_4arch9wavefront6targetE1EEEvSH_: ; @_ZN7rocprim17ROCPRIM_400000_NS6detail17trampoline_kernelINS0_14default_configENS1_38merge_sort_block_merge_config_selectorIslEEZZNS1_27merge_sort_block_merge_implIS3_PsN6thrust23THRUST_200600_302600_NS10device_ptrIlEEjNS1_19radix_merge_compareILb0ELb0EsNS0_19identity_decomposerEEEEE10hipError_tT0_T1_T2_jT3_P12ihipStream_tbPNSt15iterator_traitsISG_E10value_typeEPNSM_ISH_E10value_typeEPSI_NS1_7vsmem_tEENKUlT_SG_SH_SI_E_clIS7_S7_SB_PlEESF_SV_SG_SH_SI_EUlSV_E_NS1_11comp_targetILNS1_3genE0ELNS1_11target_archE4294967295ELNS1_3gpuE0ELNS1_3repE0EEENS1_48merge_mergepath_partition_config_static_selectorELNS0_4arch9wavefront6targetE1EEEvSH_
; %bb.0:
	.section	.rodata,"a",@progbits
	.p2align	6, 0x0
	.amdhsa_kernel _ZN7rocprim17ROCPRIM_400000_NS6detail17trampoline_kernelINS0_14default_configENS1_38merge_sort_block_merge_config_selectorIslEEZZNS1_27merge_sort_block_merge_implIS3_PsN6thrust23THRUST_200600_302600_NS10device_ptrIlEEjNS1_19radix_merge_compareILb0ELb0EsNS0_19identity_decomposerEEEEE10hipError_tT0_T1_T2_jT3_P12ihipStream_tbPNSt15iterator_traitsISG_E10value_typeEPNSM_ISH_E10value_typeEPSI_NS1_7vsmem_tEENKUlT_SG_SH_SI_E_clIS7_S7_SB_PlEESF_SV_SG_SH_SI_EUlSV_E_NS1_11comp_targetILNS1_3genE0ELNS1_11target_archE4294967295ELNS1_3gpuE0ELNS1_3repE0EEENS1_48merge_mergepath_partition_config_static_selectorELNS0_4arch9wavefront6targetE1EEEvSH_
		.amdhsa_group_segment_fixed_size 0
		.amdhsa_private_segment_fixed_size 0
		.amdhsa_kernarg_size 40
		.amdhsa_user_sgpr_count 6
		.amdhsa_user_sgpr_private_segment_buffer 1
		.amdhsa_user_sgpr_dispatch_ptr 0
		.amdhsa_user_sgpr_queue_ptr 0
		.amdhsa_user_sgpr_kernarg_segment_ptr 1
		.amdhsa_user_sgpr_dispatch_id 0
		.amdhsa_user_sgpr_flat_scratch_init 0
		.amdhsa_user_sgpr_kernarg_preload_length 0
		.amdhsa_user_sgpr_kernarg_preload_offset 0
		.amdhsa_user_sgpr_private_segment_size 0
		.amdhsa_uses_dynamic_stack 0
		.amdhsa_system_sgpr_private_segment_wavefront_offset 0
		.amdhsa_system_sgpr_workgroup_id_x 1
		.amdhsa_system_sgpr_workgroup_id_y 0
		.amdhsa_system_sgpr_workgroup_id_z 0
		.amdhsa_system_sgpr_workgroup_info 0
		.amdhsa_system_vgpr_workitem_id 0
		.amdhsa_next_free_vgpr 1
		.amdhsa_next_free_sgpr 0
		.amdhsa_accum_offset 4
		.amdhsa_reserve_vcc 0
		.amdhsa_reserve_flat_scratch 0
		.amdhsa_float_round_mode_32 0
		.amdhsa_float_round_mode_16_64 0
		.amdhsa_float_denorm_mode_32 3
		.amdhsa_float_denorm_mode_16_64 3
		.amdhsa_dx10_clamp 1
		.amdhsa_ieee_mode 1
		.amdhsa_fp16_overflow 0
		.amdhsa_tg_split 0
		.amdhsa_exception_fp_ieee_invalid_op 0
		.amdhsa_exception_fp_denorm_src 0
		.amdhsa_exception_fp_ieee_div_zero 0
		.amdhsa_exception_fp_ieee_overflow 0
		.amdhsa_exception_fp_ieee_underflow 0
		.amdhsa_exception_fp_ieee_inexact 0
		.amdhsa_exception_int_div_zero 0
	.end_amdhsa_kernel
	.section	.text._ZN7rocprim17ROCPRIM_400000_NS6detail17trampoline_kernelINS0_14default_configENS1_38merge_sort_block_merge_config_selectorIslEEZZNS1_27merge_sort_block_merge_implIS3_PsN6thrust23THRUST_200600_302600_NS10device_ptrIlEEjNS1_19radix_merge_compareILb0ELb0EsNS0_19identity_decomposerEEEEE10hipError_tT0_T1_T2_jT3_P12ihipStream_tbPNSt15iterator_traitsISG_E10value_typeEPNSM_ISH_E10value_typeEPSI_NS1_7vsmem_tEENKUlT_SG_SH_SI_E_clIS7_S7_SB_PlEESF_SV_SG_SH_SI_EUlSV_E_NS1_11comp_targetILNS1_3genE0ELNS1_11target_archE4294967295ELNS1_3gpuE0ELNS1_3repE0EEENS1_48merge_mergepath_partition_config_static_selectorELNS0_4arch9wavefront6targetE1EEEvSH_,"axG",@progbits,_ZN7rocprim17ROCPRIM_400000_NS6detail17trampoline_kernelINS0_14default_configENS1_38merge_sort_block_merge_config_selectorIslEEZZNS1_27merge_sort_block_merge_implIS3_PsN6thrust23THRUST_200600_302600_NS10device_ptrIlEEjNS1_19radix_merge_compareILb0ELb0EsNS0_19identity_decomposerEEEEE10hipError_tT0_T1_T2_jT3_P12ihipStream_tbPNSt15iterator_traitsISG_E10value_typeEPNSM_ISH_E10value_typeEPSI_NS1_7vsmem_tEENKUlT_SG_SH_SI_E_clIS7_S7_SB_PlEESF_SV_SG_SH_SI_EUlSV_E_NS1_11comp_targetILNS1_3genE0ELNS1_11target_archE4294967295ELNS1_3gpuE0ELNS1_3repE0EEENS1_48merge_mergepath_partition_config_static_selectorELNS0_4arch9wavefront6targetE1EEEvSH_,comdat
.Lfunc_end1300:
	.size	_ZN7rocprim17ROCPRIM_400000_NS6detail17trampoline_kernelINS0_14default_configENS1_38merge_sort_block_merge_config_selectorIslEEZZNS1_27merge_sort_block_merge_implIS3_PsN6thrust23THRUST_200600_302600_NS10device_ptrIlEEjNS1_19radix_merge_compareILb0ELb0EsNS0_19identity_decomposerEEEEE10hipError_tT0_T1_T2_jT3_P12ihipStream_tbPNSt15iterator_traitsISG_E10value_typeEPNSM_ISH_E10value_typeEPSI_NS1_7vsmem_tEENKUlT_SG_SH_SI_E_clIS7_S7_SB_PlEESF_SV_SG_SH_SI_EUlSV_E_NS1_11comp_targetILNS1_3genE0ELNS1_11target_archE4294967295ELNS1_3gpuE0ELNS1_3repE0EEENS1_48merge_mergepath_partition_config_static_selectorELNS0_4arch9wavefront6targetE1EEEvSH_, .Lfunc_end1300-_ZN7rocprim17ROCPRIM_400000_NS6detail17trampoline_kernelINS0_14default_configENS1_38merge_sort_block_merge_config_selectorIslEEZZNS1_27merge_sort_block_merge_implIS3_PsN6thrust23THRUST_200600_302600_NS10device_ptrIlEEjNS1_19radix_merge_compareILb0ELb0EsNS0_19identity_decomposerEEEEE10hipError_tT0_T1_T2_jT3_P12ihipStream_tbPNSt15iterator_traitsISG_E10value_typeEPNSM_ISH_E10value_typeEPSI_NS1_7vsmem_tEENKUlT_SG_SH_SI_E_clIS7_S7_SB_PlEESF_SV_SG_SH_SI_EUlSV_E_NS1_11comp_targetILNS1_3genE0ELNS1_11target_archE4294967295ELNS1_3gpuE0ELNS1_3repE0EEENS1_48merge_mergepath_partition_config_static_selectorELNS0_4arch9wavefront6targetE1EEEvSH_
                                        ; -- End function
	.section	.AMDGPU.csdata,"",@progbits
; Kernel info:
; codeLenInByte = 0
; NumSgprs: 4
; NumVgprs: 0
; NumAgprs: 0
; TotalNumVgprs: 0
; ScratchSize: 0
; MemoryBound: 0
; FloatMode: 240
; IeeeMode: 1
; LDSByteSize: 0 bytes/workgroup (compile time only)
; SGPRBlocks: 0
; VGPRBlocks: 0
; NumSGPRsForWavesPerEU: 4
; NumVGPRsForWavesPerEU: 1
; AccumOffset: 4
; Occupancy: 8
; WaveLimiterHint : 0
; COMPUTE_PGM_RSRC2:SCRATCH_EN: 0
; COMPUTE_PGM_RSRC2:USER_SGPR: 6
; COMPUTE_PGM_RSRC2:TRAP_HANDLER: 0
; COMPUTE_PGM_RSRC2:TGID_X_EN: 1
; COMPUTE_PGM_RSRC2:TGID_Y_EN: 0
; COMPUTE_PGM_RSRC2:TGID_Z_EN: 0
; COMPUTE_PGM_RSRC2:TIDIG_COMP_CNT: 0
; COMPUTE_PGM_RSRC3_GFX90A:ACCUM_OFFSET: 0
; COMPUTE_PGM_RSRC3_GFX90A:TG_SPLIT: 0
	.section	.text._ZN7rocprim17ROCPRIM_400000_NS6detail17trampoline_kernelINS0_14default_configENS1_38merge_sort_block_merge_config_selectorIslEEZZNS1_27merge_sort_block_merge_implIS3_PsN6thrust23THRUST_200600_302600_NS10device_ptrIlEEjNS1_19radix_merge_compareILb0ELb0EsNS0_19identity_decomposerEEEEE10hipError_tT0_T1_T2_jT3_P12ihipStream_tbPNSt15iterator_traitsISG_E10value_typeEPNSM_ISH_E10value_typeEPSI_NS1_7vsmem_tEENKUlT_SG_SH_SI_E_clIS7_S7_SB_PlEESF_SV_SG_SH_SI_EUlSV_E_NS1_11comp_targetILNS1_3genE10ELNS1_11target_archE1201ELNS1_3gpuE5ELNS1_3repE0EEENS1_48merge_mergepath_partition_config_static_selectorELNS0_4arch9wavefront6targetE1EEEvSH_,"axG",@progbits,_ZN7rocprim17ROCPRIM_400000_NS6detail17trampoline_kernelINS0_14default_configENS1_38merge_sort_block_merge_config_selectorIslEEZZNS1_27merge_sort_block_merge_implIS3_PsN6thrust23THRUST_200600_302600_NS10device_ptrIlEEjNS1_19radix_merge_compareILb0ELb0EsNS0_19identity_decomposerEEEEE10hipError_tT0_T1_T2_jT3_P12ihipStream_tbPNSt15iterator_traitsISG_E10value_typeEPNSM_ISH_E10value_typeEPSI_NS1_7vsmem_tEENKUlT_SG_SH_SI_E_clIS7_S7_SB_PlEESF_SV_SG_SH_SI_EUlSV_E_NS1_11comp_targetILNS1_3genE10ELNS1_11target_archE1201ELNS1_3gpuE5ELNS1_3repE0EEENS1_48merge_mergepath_partition_config_static_selectorELNS0_4arch9wavefront6targetE1EEEvSH_,comdat
	.protected	_ZN7rocprim17ROCPRIM_400000_NS6detail17trampoline_kernelINS0_14default_configENS1_38merge_sort_block_merge_config_selectorIslEEZZNS1_27merge_sort_block_merge_implIS3_PsN6thrust23THRUST_200600_302600_NS10device_ptrIlEEjNS1_19radix_merge_compareILb0ELb0EsNS0_19identity_decomposerEEEEE10hipError_tT0_T1_T2_jT3_P12ihipStream_tbPNSt15iterator_traitsISG_E10value_typeEPNSM_ISH_E10value_typeEPSI_NS1_7vsmem_tEENKUlT_SG_SH_SI_E_clIS7_S7_SB_PlEESF_SV_SG_SH_SI_EUlSV_E_NS1_11comp_targetILNS1_3genE10ELNS1_11target_archE1201ELNS1_3gpuE5ELNS1_3repE0EEENS1_48merge_mergepath_partition_config_static_selectorELNS0_4arch9wavefront6targetE1EEEvSH_ ; -- Begin function _ZN7rocprim17ROCPRIM_400000_NS6detail17trampoline_kernelINS0_14default_configENS1_38merge_sort_block_merge_config_selectorIslEEZZNS1_27merge_sort_block_merge_implIS3_PsN6thrust23THRUST_200600_302600_NS10device_ptrIlEEjNS1_19radix_merge_compareILb0ELb0EsNS0_19identity_decomposerEEEEE10hipError_tT0_T1_T2_jT3_P12ihipStream_tbPNSt15iterator_traitsISG_E10value_typeEPNSM_ISH_E10value_typeEPSI_NS1_7vsmem_tEENKUlT_SG_SH_SI_E_clIS7_S7_SB_PlEESF_SV_SG_SH_SI_EUlSV_E_NS1_11comp_targetILNS1_3genE10ELNS1_11target_archE1201ELNS1_3gpuE5ELNS1_3repE0EEENS1_48merge_mergepath_partition_config_static_selectorELNS0_4arch9wavefront6targetE1EEEvSH_
	.globl	_ZN7rocprim17ROCPRIM_400000_NS6detail17trampoline_kernelINS0_14default_configENS1_38merge_sort_block_merge_config_selectorIslEEZZNS1_27merge_sort_block_merge_implIS3_PsN6thrust23THRUST_200600_302600_NS10device_ptrIlEEjNS1_19radix_merge_compareILb0ELb0EsNS0_19identity_decomposerEEEEE10hipError_tT0_T1_T2_jT3_P12ihipStream_tbPNSt15iterator_traitsISG_E10value_typeEPNSM_ISH_E10value_typeEPSI_NS1_7vsmem_tEENKUlT_SG_SH_SI_E_clIS7_S7_SB_PlEESF_SV_SG_SH_SI_EUlSV_E_NS1_11comp_targetILNS1_3genE10ELNS1_11target_archE1201ELNS1_3gpuE5ELNS1_3repE0EEENS1_48merge_mergepath_partition_config_static_selectorELNS0_4arch9wavefront6targetE1EEEvSH_
	.p2align	8
	.type	_ZN7rocprim17ROCPRIM_400000_NS6detail17trampoline_kernelINS0_14default_configENS1_38merge_sort_block_merge_config_selectorIslEEZZNS1_27merge_sort_block_merge_implIS3_PsN6thrust23THRUST_200600_302600_NS10device_ptrIlEEjNS1_19radix_merge_compareILb0ELb0EsNS0_19identity_decomposerEEEEE10hipError_tT0_T1_T2_jT3_P12ihipStream_tbPNSt15iterator_traitsISG_E10value_typeEPNSM_ISH_E10value_typeEPSI_NS1_7vsmem_tEENKUlT_SG_SH_SI_E_clIS7_S7_SB_PlEESF_SV_SG_SH_SI_EUlSV_E_NS1_11comp_targetILNS1_3genE10ELNS1_11target_archE1201ELNS1_3gpuE5ELNS1_3repE0EEENS1_48merge_mergepath_partition_config_static_selectorELNS0_4arch9wavefront6targetE1EEEvSH_,@function
_ZN7rocprim17ROCPRIM_400000_NS6detail17trampoline_kernelINS0_14default_configENS1_38merge_sort_block_merge_config_selectorIslEEZZNS1_27merge_sort_block_merge_implIS3_PsN6thrust23THRUST_200600_302600_NS10device_ptrIlEEjNS1_19radix_merge_compareILb0ELb0EsNS0_19identity_decomposerEEEEE10hipError_tT0_T1_T2_jT3_P12ihipStream_tbPNSt15iterator_traitsISG_E10value_typeEPNSM_ISH_E10value_typeEPSI_NS1_7vsmem_tEENKUlT_SG_SH_SI_E_clIS7_S7_SB_PlEESF_SV_SG_SH_SI_EUlSV_E_NS1_11comp_targetILNS1_3genE10ELNS1_11target_archE1201ELNS1_3gpuE5ELNS1_3repE0EEENS1_48merge_mergepath_partition_config_static_selectorELNS0_4arch9wavefront6targetE1EEEvSH_: ; @_ZN7rocprim17ROCPRIM_400000_NS6detail17trampoline_kernelINS0_14default_configENS1_38merge_sort_block_merge_config_selectorIslEEZZNS1_27merge_sort_block_merge_implIS3_PsN6thrust23THRUST_200600_302600_NS10device_ptrIlEEjNS1_19radix_merge_compareILb0ELb0EsNS0_19identity_decomposerEEEEE10hipError_tT0_T1_T2_jT3_P12ihipStream_tbPNSt15iterator_traitsISG_E10value_typeEPNSM_ISH_E10value_typeEPSI_NS1_7vsmem_tEENKUlT_SG_SH_SI_E_clIS7_S7_SB_PlEESF_SV_SG_SH_SI_EUlSV_E_NS1_11comp_targetILNS1_3genE10ELNS1_11target_archE1201ELNS1_3gpuE5ELNS1_3repE0EEENS1_48merge_mergepath_partition_config_static_selectorELNS0_4arch9wavefront6targetE1EEEvSH_
; %bb.0:
	.section	.rodata,"a",@progbits
	.p2align	6, 0x0
	.amdhsa_kernel _ZN7rocprim17ROCPRIM_400000_NS6detail17trampoline_kernelINS0_14default_configENS1_38merge_sort_block_merge_config_selectorIslEEZZNS1_27merge_sort_block_merge_implIS3_PsN6thrust23THRUST_200600_302600_NS10device_ptrIlEEjNS1_19radix_merge_compareILb0ELb0EsNS0_19identity_decomposerEEEEE10hipError_tT0_T1_T2_jT3_P12ihipStream_tbPNSt15iterator_traitsISG_E10value_typeEPNSM_ISH_E10value_typeEPSI_NS1_7vsmem_tEENKUlT_SG_SH_SI_E_clIS7_S7_SB_PlEESF_SV_SG_SH_SI_EUlSV_E_NS1_11comp_targetILNS1_3genE10ELNS1_11target_archE1201ELNS1_3gpuE5ELNS1_3repE0EEENS1_48merge_mergepath_partition_config_static_selectorELNS0_4arch9wavefront6targetE1EEEvSH_
		.amdhsa_group_segment_fixed_size 0
		.amdhsa_private_segment_fixed_size 0
		.amdhsa_kernarg_size 40
		.amdhsa_user_sgpr_count 6
		.amdhsa_user_sgpr_private_segment_buffer 1
		.amdhsa_user_sgpr_dispatch_ptr 0
		.amdhsa_user_sgpr_queue_ptr 0
		.amdhsa_user_sgpr_kernarg_segment_ptr 1
		.amdhsa_user_sgpr_dispatch_id 0
		.amdhsa_user_sgpr_flat_scratch_init 0
		.amdhsa_user_sgpr_kernarg_preload_length 0
		.amdhsa_user_sgpr_kernarg_preload_offset 0
		.amdhsa_user_sgpr_private_segment_size 0
		.amdhsa_uses_dynamic_stack 0
		.amdhsa_system_sgpr_private_segment_wavefront_offset 0
		.amdhsa_system_sgpr_workgroup_id_x 1
		.amdhsa_system_sgpr_workgroup_id_y 0
		.amdhsa_system_sgpr_workgroup_id_z 0
		.amdhsa_system_sgpr_workgroup_info 0
		.amdhsa_system_vgpr_workitem_id 0
		.amdhsa_next_free_vgpr 1
		.amdhsa_next_free_sgpr 0
		.amdhsa_accum_offset 4
		.amdhsa_reserve_vcc 0
		.amdhsa_reserve_flat_scratch 0
		.amdhsa_float_round_mode_32 0
		.amdhsa_float_round_mode_16_64 0
		.amdhsa_float_denorm_mode_32 3
		.amdhsa_float_denorm_mode_16_64 3
		.amdhsa_dx10_clamp 1
		.amdhsa_ieee_mode 1
		.amdhsa_fp16_overflow 0
		.amdhsa_tg_split 0
		.amdhsa_exception_fp_ieee_invalid_op 0
		.amdhsa_exception_fp_denorm_src 0
		.amdhsa_exception_fp_ieee_div_zero 0
		.amdhsa_exception_fp_ieee_overflow 0
		.amdhsa_exception_fp_ieee_underflow 0
		.amdhsa_exception_fp_ieee_inexact 0
		.amdhsa_exception_int_div_zero 0
	.end_amdhsa_kernel
	.section	.text._ZN7rocprim17ROCPRIM_400000_NS6detail17trampoline_kernelINS0_14default_configENS1_38merge_sort_block_merge_config_selectorIslEEZZNS1_27merge_sort_block_merge_implIS3_PsN6thrust23THRUST_200600_302600_NS10device_ptrIlEEjNS1_19radix_merge_compareILb0ELb0EsNS0_19identity_decomposerEEEEE10hipError_tT0_T1_T2_jT3_P12ihipStream_tbPNSt15iterator_traitsISG_E10value_typeEPNSM_ISH_E10value_typeEPSI_NS1_7vsmem_tEENKUlT_SG_SH_SI_E_clIS7_S7_SB_PlEESF_SV_SG_SH_SI_EUlSV_E_NS1_11comp_targetILNS1_3genE10ELNS1_11target_archE1201ELNS1_3gpuE5ELNS1_3repE0EEENS1_48merge_mergepath_partition_config_static_selectorELNS0_4arch9wavefront6targetE1EEEvSH_,"axG",@progbits,_ZN7rocprim17ROCPRIM_400000_NS6detail17trampoline_kernelINS0_14default_configENS1_38merge_sort_block_merge_config_selectorIslEEZZNS1_27merge_sort_block_merge_implIS3_PsN6thrust23THRUST_200600_302600_NS10device_ptrIlEEjNS1_19radix_merge_compareILb0ELb0EsNS0_19identity_decomposerEEEEE10hipError_tT0_T1_T2_jT3_P12ihipStream_tbPNSt15iterator_traitsISG_E10value_typeEPNSM_ISH_E10value_typeEPSI_NS1_7vsmem_tEENKUlT_SG_SH_SI_E_clIS7_S7_SB_PlEESF_SV_SG_SH_SI_EUlSV_E_NS1_11comp_targetILNS1_3genE10ELNS1_11target_archE1201ELNS1_3gpuE5ELNS1_3repE0EEENS1_48merge_mergepath_partition_config_static_selectorELNS0_4arch9wavefront6targetE1EEEvSH_,comdat
.Lfunc_end1301:
	.size	_ZN7rocprim17ROCPRIM_400000_NS6detail17trampoline_kernelINS0_14default_configENS1_38merge_sort_block_merge_config_selectorIslEEZZNS1_27merge_sort_block_merge_implIS3_PsN6thrust23THRUST_200600_302600_NS10device_ptrIlEEjNS1_19radix_merge_compareILb0ELb0EsNS0_19identity_decomposerEEEEE10hipError_tT0_T1_T2_jT3_P12ihipStream_tbPNSt15iterator_traitsISG_E10value_typeEPNSM_ISH_E10value_typeEPSI_NS1_7vsmem_tEENKUlT_SG_SH_SI_E_clIS7_S7_SB_PlEESF_SV_SG_SH_SI_EUlSV_E_NS1_11comp_targetILNS1_3genE10ELNS1_11target_archE1201ELNS1_3gpuE5ELNS1_3repE0EEENS1_48merge_mergepath_partition_config_static_selectorELNS0_4arch9wavefront6targetE1EEEvSH_, .Lfunc_end1301-_ZN7rocprim17ROCPRIM_400000_NS6detail17trampoline_kernelINS0_14default_configENS1_38merge_sort_block_merge_config_selectorIslEEZZNS1_27merge_sort_block_merge_implIS3_PsN6thrust23THRUST_200600_302600_NS10device_ptrIlEEjNS1_19radix_merge_compareILb0ELb0EsNS0_19identity_decomposerEEEEE10hipError_tT0_T1_T2_jT3_P12ihipStream_tbPNSt15iterator_traitsISG_E10value_typeEPNSM_ISH_E10value_typeEPSI_NS1_7vsmem_tEENKUlT_SG_SH_SI_E_clIS7_S7_SB_PlEESF_SV_SG_SH_SI_EUlSV_E_NS1_11comp_targetILNS1_3genE10ELNS1_11target_archE1201ELNS1_3gpuE5ELNS1_3repE0EEENS1_48merge_mergepath_partition_config_static_selectorELNS0_4arch9wavefront6targetE1EEEvSH_
                                        ; -- End function
	.section	.AMDGPU.csdata,"",@progbits
; Kernel info:
; codeLenInByte = 0
; NumSgprs: 4
; NumVgprs: 0
; NumAgprs: 0
; TotalNumVgprs: 0
; ScratchSize: 0
; MemoryBound: 0
; FloatMode: 240
; IeeeMode: 1
; LDSByteSize: 0 bytes/workgroup (compile time only)
; SGPRBlocks: 0
; VGPRBlocks: 0
; NumSGPRsForWavesPerEU: 4
; NumVGPRsForWavesPerEU: 1
; AccumOffset: 4
; Occupancy: 8
; WaveLimiterHint : 0
; COMPUTE_PGM_RSRC2:SCRATCH_EN: 0
; COMPUTE_PGM_RSRC2:USER_SGPR: 6
; COMPUTE_PGM_RSRC2:TRAP_HANDLER: 0
; COMPUTE_PGM_RSRC2:TGID_X_EN: 1
; COMPUTE_PGM_RSRC2:TGID_Y_EN: 0
; COMPUTE_PGM_RSRC2:TGID_Z_EN: 0
; COMPUTE_PGM_RSRC2:TIDIG_COMP_CNT: 0
; COMPUTE_PGM_RSRC3_GFX90A:ACCUM_OFFSET: 0
; COMPUTE_PGM_RSRC3_GFX90A:TG_SPLIT: 0
	.section	.text._ZN7rocprim17ROCPRIM_400000_NS6detail17trampoline_kernelINS0_14default_configENS1_38merge_sort_block_merge_config_selectorIslEEZZNS1_27merge_sort_block_merge_implIS3_PsN6thrust23THRUST_200600_302600_NS10device_ptrIlEEjNS1_19radix_merge_compareILb0ELb0EsNS0_19identity_decomposerEEEEE10hipError_tT0_T1_T2_jT3_P12ihipStream_tbPNSt15iterator_traitsISG_E10value_typeEPNSM_ISH_E10value_typeEPSI_NS1_7vsmem_tEENKUlT_SG_SH_SI_E_clIS7_S7_SB_PlEESF_SV_SG_SH_SI_EUlSV_E_NS1_11comp_targetILNS1_3genE5ELNS1_11target_archE942ELNS1_3gpuE9ELNS1_3repE0EEENS1_48merge_mergepath_partition_config_static_selectorELNS0_4arch9wavefront6targetE1EEEvSH_,"axG",@progbits,_ZN7rocprim17ROCPRIM_400000_NS6detail17trampoline_kernelINS0_14default_configENS1_38merge_sort_block_merge_config_selectorIslEEZZNS1_27merge_sort_block_merge_implIS3_PsN6thrust23THRUST_200600_302600_NS10device_ptrIlEEjNS1_19radix_merge_compareILb0ELb0EsNS0_19identity_decomposerEEEEE10hipError_tT0_T1_T2_jT3_P12ihipStream_tbPNSt15iterator_traitsISG_E10value_typeEPNSM_ISH_E10value_typeEPSI_NS1_7vsmem_tEENKUlT_SG_SH_SI_E_clIS7_S7_SB_PlEESF_SV_SG_SH_SI_EUlSV_E_NS1_11comp_targetILNS1_3genE5ELNS1_11target_archE942ELNS1_3gpuE9ELNS1_3repE0EEENS1_48merge_mergepath_partition_config_static_selectorELNS0_4arch9wavefront6targetE1EEEvSH_,comdat
	.protected	_ZN7rocprim17ROCPRIM_400000_NS6detail17trampoline_kernelINS0_14default_configENS1_38merge_sort_block_merge_config_selectorIslEEZZNS1_27merge_sort_block_merge_implIS3_PsN6thrust23THRUST_200600_302600_NS10device_ptrIlEEjNS1_19radix_merge_compareILb0ELb0EsNS0_19identity_decomposerEEEEE10hipError_tT0_T1_T2_jT3_P12ihipStream_tbPNSt15iterator_traitsISG_E10value_typeEPNSM_ISH_E10value_typeEPSI_NS1_7vsmem_tEENKUlT_SG_SH_SI_E_clIS7_S7_SB_PlEESF_SV_SG_SH_SI_EUlSV_E_NS1_11comp_targetILNS1_3genE5ELNS1_11target_archE942ELNS1_3gpuE9ELNS1_3repE0EEENS1_48merge_mergepath_partition_config_static_selectorELNS0_4arch9wavefront6targetE1EEEvSH_ ; -- Begin function _ZN7rocprim17ROCPRIM_400000_NS6detail17trampoline_kernelINS0_14default_configENS1_38merge_sort_block_merge_config_selectorIslEEZZNS1_27merge_sort_block_merge_implIS3_PsN6thrust23THRUST_200600_302600_NS10device_ptrIlEEjNS1_19radix_merge_compareILb0ELb0EsNS0_19identity_decomposerEEEEE10hipError_tT0_T1_T2_jT3_P12ihipStream_tbPNSt15iterator_traitsISG_E10value_typeEPNSM_ISH_E10value_typeEPSI_NS1_7vsmem_tEENKUlT_SG_SH_SI_E_clIS7_S7_SB_PlEESF_SV_SG_SH_SI_EUlSV_E_NS1_11comp_targetILNS1_3genE5ELNS1_11target_archE942ELNS1_3gpuE9ELNS1_3repE0EEENS1_48merge_mergepath_partition_config_static_selectorELNS0_4arch9wavefront6targetE1EEEvSH_
	.globl	_ZN7rocprim17ROCPRIM_400000_NS6detail17trampoline_kernelINS0_14default_configENS1_38merge_sort_block_merge_config_selectorIslEEZZNS1_27merge_sort_block_merge_implIS3_PsN6thrust23THRUST_200600_302600_NS10device_ptrIlEEjNS1_19radix_merge_compareILb0ELb0EsNS0_19identity_decomposerEEEEE10hipError_tT0_T1_T2_jT3_P12ihipStream_tbPNSt15iterator_traitsISG_E10value_typeEPNSM_ISH_E10value_typeEPSI_NS1_7vsmem_tEENKUlT_SG_SH_SI_E_clIS7_S7_SB_PlEESF_SV_SG_SH_SI_EUlSV_E_NS1_11comp_targetILNS1_3genE5ELNS1_11target_archE942ELNS1_3gpuE9ELNS1_3repE0EEENS1_48merge_mergepath_partition_config_static_selectorELNS0_4arch9wavefront6targetE1EEEvSH_
	.p2align	8
	.type	_ZN7rocprim17ROCPRIM_400000_NS6detail17trampoline_kernelINS0_14default_configENS1_38merge_sort_block_merge_config_selectorIslEEZZNS1_27merge_sort_block_merge_implIS3_PsN6thrust23THRUST_200600_302600_NS10device_ptrIlEEjNS1_19radix_merge_compareILb0ELb0EsNS0_19identity_decomposerEEEEE10hipError_tT0_T1_T2_jT3_P12ihipStream_tbPNSt15iterator_traitsISG_E10value_typeEPNSM_ISH_E10value_typeEPSI_NS1_7vsmem_tEENKUlT_SG_SH_SI_E_clIS7_S7_SB_PlEESF_SV_SG_SH_SI_EUlSV_E_NS1_11comp_targetILNS1_3genE5ELNS1_11target_archE942ELNS1_3gpuE9ELNS1_3repE0EEENS1_48merge_mergepath_partition_config_static_selectorELNS0_4arch9wavefront6targetE1EEEvSH_,@function
_ZN7rocprim17ROCPRIM_400000_NS6detail17trampoline_kernelINS0_14default_configENS1_38merge_sort_block_merge_config_selectorIslEEZZNS1_27merge_sort_block_merge_implIS3_PsN6thrust23THRUST_200600_302600_NS10device_ptrIlEEjNS1_19radix_merge_compareILb0ELb0EsNS0_19identity_decomposerEEEEE10hipError_tT0_T1_T2_jT3_P12ihipStream_tbPNSt15iterator_traitsISG_E10value_typeEPNSM_ISH_E10value_typeEPSI_NS1_7vsmem_tEENKUlT_SG_SH_SI_E_clIS7_S7_SB_PlEESF_SV_SG_SH_SI_EUlSV_E_NS1_11comp_targetILNS1_3genE5ELNS1_11target_archE942ELNS1_3gpuE9ELNS1_3repE0EEENS1_48merge_mergepath_partition_config_static_selectorELNS0_4arch9wavefront6targetE1EEEvSH_: ; @_ZN7rocprim17ROCPRIM_400000_NS6detail17trampoline_kernelINS0_14default_configENS1_38merge_sort_block_merge_config_selectorIslEEZZNS1_27merge_sort_block_merge_implIS3_PsN6thrust23THRUST_200600_302600_NS10device_ptrIlEEjNS1_19radix_merge_compareILb0ELb0EsNS0_19identity_decomposerEEEEE10hipError_tT0_T1_T2_jT3_P12ihipStream_tbPNSt15iterator_traitsISG_E10value_typeEPNSM_ISH_E10value_typeEPSI_NS1_7vsmem_tEENKUlT_SG_SH_SI_E_clIS7_S7_SB_PlEESF_SV_SG_SH_SI_EUlSV_E_NS1_11comp_targetILNS1_3genE5ELNS1_11target_archE942ELNS1_3gpuE9ELNS1_3repE0EEENS1_48merge_mergepath_partition_config_static_selectorELNS0_4arch9wavefront6targetE1EEEvSH_
; %bb.0:
	.section	.rodata,"a",@progbits
	.p2align	6, 0x0
	.amdhsa_kernel _ZN7rocprim17ROCPRIM_400000_NS6detail17trampoline_kernelINS0_14default_configENS1_38merge_sort_block_merge_config_selectorIslEEZZNS1_27merge_sort_block_merge_implIS3_PsN6thrust23THRUST_200600_302600_NS10device_ptrIlEEjNS1_19radix_merge_compareILb0ELb0EsNS0_19identity_decomposerEEEEE10hipError_tT0_T1_T2_jT3_P12ihipStream_tbPNSt15iterator_traitsISG_E10value_typeEPNSM_ISH_E10value_typeEPSI_NS1_7vsmem_tEENKUlT_SG_SH_SI_E_clIS7_S7_SB_PlEESF_SV_SG_SH_SI_EUlSV_E_NS1_11comp_targetILNS1_3genE5ELNS1_11target_archE942ELNS1_3gpuE9ELNS1_3repE0EEENS1_48merge_mergepath_partition_config_static_selectorELNS0_4arch9wavefront6targetE1EEEvSH_
		.amdhsa_group_segment_fixed_size 0
		.amdhsa_private_segment_fixed_size 0
		.amdhsa_kernarg_size 40
		.amdhsa_user_sgpr_count 6
		.amdhsa_user_sgpr_private_segment_buffer 1
		.amdhsa_user_sgpr_dispatch_ptr 0
		.amdhsa_user_sgpr_queue_ptr 0
		.amdhsa_user_sgpr_kernarg_segment_ptr 1
		.amdhsa_user_sgpr_dispatch_id 0
		.amdhsa_user_sgpr_flat_scratch_init 0
		.amdhsa_user_sgpr_kernarg_preload_length 0
		.amdhsa_user_sgpr_kernarg_preload_offset 0
		.amdhsa_user_sgpr_private_segment_size 0
		.amdhsa_uses_dynamic_stack 0
		.amdhsa_system_sgpr_private_segment_wavefront_offset 0
		.amdhsa_system_sgpr_workgroup_id_x 1
		.amdhsa_system_sgpr_workgroup_id_y 0
		.amdhsa_system_sgpr_workgroup_id_z 0
		.amdhsa_system_sgpr_workgroup_info 0
		.amdhsa_system_vgpr_workitem_id 0
		.amdhsa_next_free_vgpr 1
		.amdhsa_next_free_sgpr 0
		.amdhsa_accum_offset 4
		.amdhsa_reserve_vcc 0
		.amdhsa_reserve_flat_scratch 0
		.amdhsa_float_round_mode_32 0
		.amdhsa_float_round_mode_16_64 0
		.amdhsa_float_denorm_mode_32 3
		.amdhsa_float_denorm_mode_16_64 3
		.amdhsa_dx10_clamp 1
		.amdhsa_ieee_mode 1
		.amdhsa_fp16_overflow 0
		.amdhsa_tg_split 0
		.amdhsa_exception_fp_ieee_invalid_op 0
		.amdhsa_exception_fp_denorm_src 0
		.amdhsa_exception_fp_ieee_div_zero 0
		.amdhsa_exception_fp_ieee_overflow 0
		.amdhsa_exception_fp_ieee_underflow 0
		.amdhsa_exception_fp_ieee_inexact 0
		.amdhsa_exception_int_div_zero 0
	.end_amdhsa_kernel
	.section	.text._ZN7rocprim17ROCPRIM_400000_NS6detail17trampoline_kernelINS0_14default_configENS1_38merge_sort_block_merge_config_selectorIslEEZZNS1_27merge_sort_block_merge_implIS3_PsN6thrust23THRUST_200600_302600_NS10device_ptrIlEEjNS1_19radix_merge_compareILb0ELb0EsNS0_19identity_decomposerEEEEE10hipError_tT0_T1_T2_jT3_P12ihipStream_tbPNSt15iterator_traitsISG_E10value_typeEPNSM_ISH_E10value_typeEPSI_NS1_7vsmem_tEENKUlT_SG_SH_SI_E_clIS7_S7_SB_PlEESF_SV_SG_SH_SI_EUlSV_E_NS1_11comp_targetILNS1_3genE5ELNS1_11target_archE942ELNS1_3gpuE9ELNS1_3repE0EEENS1_48merge_mergepath_partition_config_static_selectorELNS0_4arch9wavefront6targetE1EEEvSH_,"axG",@progbits,_ZN7rocprim17ROCPRIM_400000_NS6detail17trampoline_kernelINS0_14default_configENS1_38merge_sort_block_merge_config_selectorIslEEZZNS1_27merge_sort_block_merge_implIS3_PsN6thrust23THRUST_200600_302600_NS10device_ptrIlEEjNS1_19radix_merge_compareILb0ELb0EsNS0_19identity_decomposerEEEEE10hipError_tT0_T1_T2_jT3_P12ihipStream_tbPNSt15iterator_traitsISG_E10value_typeEPNSM_ISH_E10value_typeEPSI_NS1_7vsmem_tEENKUlT_SG_SH_SI_E_clIS7_S7_SB_PlEESF_SV_SG_SH_SI_EUlSV_E_NS1_11comp_targetILNS1_3genE5ELNS1_11target_archE942ELNS1_3gpuE9ELNS1_3repE0EEENS1_48merge_mergepath_partition_config_static_selectorELNS0_4arch9wavefront6targetE1EEEvSH_,comdat
.Lfunc_end1302:
	.size	_ZN7rocprim17ROCPRIM_400000_NS6detail17trampoline_kernelINS0_14default_configENS1_38merge_sort_block_merge_config_selectorIslEEZZNS1_27merge_sort_block_merge_implIS3_PsN6thrust23THRUST_200600_302600_NS10device_ptrIlEEjNS1_19radix_merge_compareILb0ELb0EsNS0_19identity_decomposerEEEEE10hipError_tT0_T1_T2_jT3_P12ihipStream_tbPNSt15iterator_traitsISG_E10value_typeEPNSM_ISH_E10value_typeEPSI_NS1_7vsmem_tEENKUlT_SG_SH_SI_E_clIS7_S7_SB_PlEESF_SV_SG_SH_SI_EUlSV_E_NS1_11comp_targetILNS1_3genE5ELNS1_11target_archE942ELNS1_3gpuE9ELNS1_3repE0EEENS1_48merge_mergepath_partition_config_static_selectorELNS0_4arch9wavefront6targetE1EEEvSH_, .Lfunc_end1302-_ZN7rocprim17ROCPRIM_400000_NS6detail17trampoline_kernelINS0_14default_configENS1_38merge_sort_block_merge_config_selectorIslEEZZNS1_27merge_sort_block_merge_implIS3_PsN6thrust23THRUST_200600_302600_NS10device_ptrIlEEjNS1_19radix_merge_compareILb0ELb0EsNS0_19identity_decomposerEEEEE10hipError_tT0_T1_T2_jT3_P12ihipStream_tbPNSt15iterator_traitsISG_E10value_typeEPNSM_ISH_E10value_typeEPSI_NS1_7vsmem_tEENKUlT_SG_SH_SI_E_clIS7_S7_SB_PlEESF_SV_SG_SH_SI_EUlSV_E_NS1_11comp_targetILNS1_3genE5ELNS1_11target_archE942ELNS1_3gpuE9ELNS1_3repE0EEENS1_48merge_mergepath_partition_config_static_selectorELNS0_4arch9wavefront6targetE1EEEvSH_
                                        ; -- End function
	.section	.AMDGPU.csdata,"",@progbits
; Kernel info:
; codeLenInByte = 0
; NumSgprs: 4
; NumVgprs: 0
; NumAgprs: 0
; TotalNumVgprs: 0
; ScratchSize: 0
; MemoryBound: 0
; FloatMode: 240
; IeeeMode: 1
; LDSByteSize: 0 bytes/workgroup (compile time only)
; SGPRBlocks: 0
; VGPRBlocks: 0
; NumSGPRsForWavesPerEU: 4
; NumVGPRsForWavesPerEU: 1
; AccumOffset: 4
; Occupancy: 8
; WaveLimiterHint : 0
; COMPUTE_PGM_RSRC2:SCRATCH_EN: 0
; COMPUTE_PGM_RSRC2:USER_SGPR: 6
; COMPUTE_PGM_RSRC2:TRAP_HANDLER: 0
; COMPUTE_PGM_RSRC2:TGID_X_EN: 1
; COMPUTE_PGM_RSRC2:TGID_Y_EN: 0
; COMPUTE_PGM_RSRC2:TGID_Z_EN: 0
; COMPUTE_PGM_RSRC2:TIDIG_COMP_CNT: 0
; COMPUTE_PGM_RSRC3_GFX90A:ACCUM_OFFSET: 0
; COMPUTE_PGM_RSRC3_GFX90A:TG_SPLIT: 0
	.section	.text._ZN7rocprim17ROCPRIM_400000_NS6detail17trampoline_kernelINS0_14default_configENS1_38merge_sort_block_merge_config_selectorIslEEZZNS1_27merge_sort_block_merge_implIS3_PsN6thrust23THRUST_200600_302600_NS10device_ptrIlEEjNS1_19radix_merge_compareILb0ELb0EsNS0_19identity_decomposerEEEEE10hipError_tT0_T1_T2_jT3_P12ihipStream_tbPNSt15iterator_traitsISG_E10value_typeEPNSM_ISH_E10value_typeEPSI_NS1_7vsmem_tEENKUlT_SG_SH_SI_E_clIS7_S7_SB_PlEESF_SV_SG_SH_SI_EUlSV_E_NS1_11comp_targetILNS1_3genE4ELNS1_11target_archE910ELNS1_3gpuE8ELNS1_3repE0EEENS1_48merge_mergepath_partition_config_static_selectorELNS0_4arch9wavefront6targetE1EEEvSH_,"axG",@progbits,_ZN7rocprim17ROCPRIM_400000_NS6detail17trampoline_kernelINS0_14default_configENS1_38merge_sort_block_merge_config_selectorIslEEZZNS1_27merge_sort_block_merge_implIS3_PsN6thrust23THRUST_200600_302600_NS10device_ptrIlEEjNS1_19radix_merge_compareILb0ELb0EsNS0_19identity_decomposerEEEEE10hipError_tT0_T1_T2_jT3_P12ihipStream_tbPNSt15iterator_traitsISG_E10value_typeEPNSM_ISH_E10value_typeEPSI_NS1_7vsmem_tEENKUlT_SG_SH_SI_E_clIS7_S7_SB_PlEESF_SV_SG_SH_SI_EUlSV_E_NS1_11comp_targetILNS1_3genE4ELNS1_11target_archE910ELNS1_3gpuE8ELNS1_3repE0EEENS1_48merge_mergepath_partition_config_static_selectorELNS0_4arch9wavefront6targetE1EEEvSH_,comdat
	.protected	_ZN7rocprim17ROCPRIM_400000_NS6detail17trampoline_kernelINS0_14default_configENS1_38merge_sort_block_merge_config_selectorIslEEZZNS1_27merge_sort_block_merge_implIS3_PsN6thrust23THRUST_200600_302600_NS10device_ptrIlEEjNS1_19radix_merge_compareILb0ELb0EsNS0_19identity_decomposerEEEEE10hipError_tT0_T1_T2_jT3_P12ihipStream_tbPNSt15iterator_traitsISG_E10value_typeEPNSM_ISH_E10value_typeEPSI_NS1_7vsmem_tEENKUlT_SG_SH_SI_E_clIS7_S7_SB_PlEESF_SV_SG_SH_SI_EUlSV_E_NS1_11comp_targetILNS1_3genE4ELNS1_11target_archE910ELNS1_3gpuE8ELNS1_3repE0EEENS1_48merge_mergepath_partition_config_static_selectorELNS0_4arch9wavefront6targetE1EEEvSH_ ; -- Begin function _ZN7rocprim17ROCPRIM_400000_NS6detail17trampoline_kernelINS0_14default_configENS1_38merge_sort_block_merge_config_selectorIslEEZZNS1_27merge_sort_block_merge_implIS3_PsN6thrust23THRUST_200600_302600_NS10device_ptrIlEEjNS1_19radix_merge_compareILb0ELb0EsNS0_19identity_decomposerEEEEE10hipError_tT0_T1_T2_jT3_P12ihipStream_tbPNSt15iterator_traitsISG_E10value_typeEPNSM_ISH_E10value_typeEPSI_NS1_7vsmem_tEENKUlT_SG_SH_SI_E_clIS7_S7_SB_PlEESF_SV_SG_SH_SI_EUlSV_E_NS1_11comp_targetILNS1_3genE4ELNS1_11target_archE910ELNS1_3gpuE8ELNS1_3repE0EEENS1_48merge_mergepath_partition_config_static_selectorELNS0_4arch9wavefront6targetE1EEEvSH_
	.globl	_ZN7rocprim17ROCPRIM_400000_NS6detail17trampoline_kernelINS0_14default_configENS1_38merge_sort_block_merge_config_selectorIslEEZZNS1_27merge_sort_block_merge_implIS3_PsN6thrust23THRUST_200600_302600_NS10device_ptrIlEEjNS1_19radix_merge_compareILb0ELb0EsNS0_19identity_decomposerEEEEE10hipError_tT0_T1_T2_jT3_P12ihipStream_tbPNSt15iterator_traitsISG_E10value_typeEPNSM_ISH_E10value_typeEPSI_NS1_7vsmem_tEENKUlT_SG_SH_SI_E_clIS7_S7_SB_PlEESF_SV_SG_SH_SI_EUlSV_E_NS1_11comp_targetILNS1_3genE4ELNS1_11target_archE910ELNS1_3gpuE8ELNS1_3repE0EEENS1_48merge_mergepath_partition_config_static_selectorELNS0_4arch9wavefront6targetE1EEEvSH_
	.p2align	8
	.type	_ZN7rocprim17ROCPRIM_400000_NS6detail17trampoline_kernelINS0_14default_configENS1_38merge_sort_block_merge_config_selectorIslEEZZNS1_27merge_sort_block_merge_implIS3_PsN6thrust23THRUST_200600_302600_NS10device_ptrIlEEjNS1_19radix_merge_compareILb0ELb0EsNS0_19identity_decomposerEEEEE10hipError_tT0_T1_T2_jT3_P12ihipStream_tbPNSt15iterator_traitsISG_E10value_typeEPNSM_ISH_E10value_typeEPSI_NS1_7vsmem_tEENKUlT_SG_SH_SI_E_clIS7_S7_SB_PlEESF_SV_SG_SH_SI_EUlSV_E_NS1_11comp_targetILNS1_3genE4ELNS1_11target_archE910ELNS1_3gpuE8ELNS1_3repE0EEENS1_48merge_mergepath_partition_config_static_selectorELNS0_4arch9wavefront6targetE1EEEvSH_,@function
_ZN7rocprim17ROCPRIM_400000_NS6detail17trampoline_kernelINS0_14default_configENS1_38merge_sort_block_merge_config_selectorIslEEZZNS1_27merge_sort_block_merge_implIS3_PsN6thrust23THRUST_200600_302600_NS10device_ptrIlEEjNS1_19radix_merge_compareILb0ELb0EsNS0_19identity_decomposerEEEEE10hipError_tT0_T1_T2_jT3_P12ihipStream_tbPNSt15iterator_traitsISG_E10value_typeEPNSM_ISH_E10value_typeEPSI_NS1_7vsmem_tEENKUlT_SG_SH_SI_E_clIS7_S7_SB_PlEESF_SV_SG_SH_SI_EUlSV_E_NS1_11comp_targetILNS1_3genE4ELNS1_11target_archE910ELNS1_3gpuE8ELNS1_3repE0EEENS1_48merge_mergepath_partition_config_static_selectorELNS0_4arch9wavefront6targetE1EEEvSH_: ; @_ZN7rocprim17ROCPRIM_400000_NS6detail17trampoline_kernelINS0_14default_configENS1_38merge_sort_block_merge_config_selectorIslEEZZNS1_27merge_sort_block_merge_implIS3_PsN6thrust23THRUST_200600_302600_NS10device_ptrIlEEjNS1_19radix_merge_compareILb0ELb0EsNS0_19identity_decomposerEEEEE10hipError_tT0_T1_T2_jT3_P12ihipStream_tbPNSt15iterator_traitsISG_E10value_typeEPNSM_ISH_E10value_typeEPSI_NS1_7vsmem_tEENKUlT_SG_SH_SI_E_clIS7_S7_SB_PlEESF_SV_SG_SH_SI_EUlSV_E_NS1_11comp_targetILNS1_3genE4ELNS1_11target_archE910ELNS1_3gpuE8ELNS1_3repE0EEENS1_48merge_mergepath_partition_config_static_selectorELNS0_4arch9wavefront6targetE1EEEvSH_
; %bb.0:
	s_load_dword s0, s[4:5], 0x0
	v_lshl_or_b32 v0, s6, 7, v0
	s_waitcnt lgkmcnt(0)
	v_cmp_gt_u32_e32 vcc, s0, v0
	s_and_saveexec_b64 s[0:1], vcc
	s_cbranch_execz .LBB1303_6
; %bb.1:
	s_load_dwordx2 s[2:3], s[4:5], 0x4
	s_load_dwordx2 s[0:1], s[4:5], 0x20
	s_waitcnt lgkmcnt(0)
	s_lshr_b32 s6, s2, 9
	s_and_b32 s6, s6, 0x7ffffe
	s_add_i32 s7, s6, -1
	s_sub_i32 s6, 0, s6
	v_and_b32_e32 v1, s6, v0
	v_lshlrev_b32_e32 v1, 10, v1
	v_min_u32_e32 v2, s3, v1
	v_add_u32_e32 v1, s2, v1
	v_min_u32_e32 v4, s3, v1
	v_add_u32_e32 v1, s2, v4
	v_and_b32_e32 v3, s7, v0
	v_min_u32_e32 v1, s3, v1
	v_sub_u32_e32 v5, v1, v2
	v_lshlrev_b32_e32 v3, 10, v3
	v_min_u32_e32 v6, v5, v3
	v_sub_u32_e32 v3, v4, v2
	v_sub_u32_e32 v1, v1, v4
	v_sub_u32_e64 v1, v6, v1 clamp
	v_min_u32_e32 v7, v6, v3
	v_cmp_lt_u32_e32 vcc, v1, v7
	s_and_saveexec_b64 s[2:3], vcc
	s_cbranch_execz .LBB1303_5
; %bb.2:
	s_load_dwordx2 s[4:5], s[4:5], 0x10
	v_mov_b32_e32 v5, 0
	v_mov_b32_e32 v3, v5
	v_lshlrev_b64 v[8:9], 1, v[2:3]
	v_lshlrev_b64 v[10:11], 1, v[4:5]
	s_waitcnt lgkmcnt(0)
	v_mov_b32_e32 v12, s5
	v_add_co_u32_e32 v3, vcc, s4, v8
	v_addc_co_u32_e32 v8, vcc, v12, v9, vcc
	v_add_co_u32_e32 v9, vcc, s4, v10
	v_addc_co_u32_e32 v10, vcc, v12, v11, vcc
	s_mov_b64 s[4:5], 0
.LBB1303_3:                             ; =>This Inner Loop Header: Depth=1
	v_add_u32_e32 v4, v7, v1
	v_and_b32_e32 v12, -2, v4
	v_lshrrev_b32_e32 v11, 1, v4
	v_add_co_u32_e32 v12, vcc, v3, v12
	v_xad_u32 v4, v11, -1, v6
	v_addc_co_u32_e32 v13, vcc, 0, v8, vcc
	global_load_ushort v14, v[12:13], off
	v_lshlrev_b64 v[12:13], 1, v[4:5]
	v_add_co_u32_e32 v12, vcc, v9, v12
	v_addc_co_u32_e32 v13, vcc, v10, v13, vcc
	global_load_ushort v4, v[12:13], off
	v_add_u32_e32 v12, 1, v11
	s_waitcnt vmcnt(0)
	v_cmp_gt_i16_e32 vcc, v14, v4
	v_cndmask_b32_e32 v7, v7, v11, vcc
	v_cndmask_b32_e32 v1, v12, v1, vcc
	v_cmp_ge_u32_e32 vcc, v1, v7
	s_or_b64 s[4:5], vcc, s[4:5]
	s_andn2_b64 exec, exec, s[4:5]
	s_cbranch_execnz .LBB1303_3
; %bb.4:
	s_or_b64 exec, exec, s[4:5]
.LBB1303_5:
	s_or_b64 exec, exec, s[2:3]
	v_add_u32_e32 v2, v1, v2
	v_mov_b32_e32 v1, 0
	v_lshlrev_b64 v[0:1], 2, v[0:1]
	v_mov_b32_e32 v3, s1
	v_add_co_u32_e32 v0, vcc, s0, v0
	v_addc_co_u32_e32 v1, vcc, v3, v1, vcc
	global_store_dword v[0:1], v2, off
.LBB1303_6:
	s_endpgm
	.section	.rodata,"a",@progbits
	.p2align	6, 0x0
	.amdhsa_kernel _ZN7rocprim17ROCPRIM_400000_NS6detail17trampoline_kernelINS0_14default_configENS1_38merge_sort_block_merge_config_selectorIslEEZZNS1_27merge_sort_block_merge_implIS3_PsN6thrust23THRUST_200600_302600_NS10device_ptrIlEEjNS1_19radix_merge_compareILb0ELb0EsNS0_19identity_decomposerEEEEE10hipError_tT0_T1_T2_jT3_P12ihipStream_tbPNSt15iterator_traitsISG_E10value_typeEPNSM_ISH_E10value_typeEPSI_NS1_7vsmem_tEENKUlT_SG_SH_SI_E_clIS7_S7_SB_PlEESF_SV_SG_SH_SI_EUlSV_E_NS1_11comp_targetILNS1_3genE4ELNS1_11target_archE910ELNS1_3gpuE8ELNS1_3repE0EEENS1_48merge_mergepath_partition_config_static_selectorELNS0_4arch9wavefront6targetE1EEEvSH_
		.amdhsa_group_segment_fixed_size 0
		.amdhsa_private_segment_fixed_size 0
		.amdhsa_kernarg_size 40
		.amdhsa_user_sgpr_count 6
		.amdhsa_user_sgpr_private_segment_buffer 1
		.amdhsa_user_sgpr_dispatch_ptr 0
		.amdhsa_user_sgpr_queue_ptr 0
		.amdhsa_user_sgpr_kernarg_segment_ptr 1
		.amdhsa_user_sgpr_dispatch_id 0
		.amdhsa_user_sgpr_flat_scratch_init 0
		.amdhsa_user_sgpr_kernarg_preload_length 0
		.amdhsa_user_sgpr_kernarg_preload_offset 0
		.amdhsa_user_sgpr_private_segment_size 0
		.amdhsa_uses_dynamic_stack 0
		.amdhsa_system_sgpr_private_segment_wavefront_offset 0
		.amdhsa_system_sgpr_workgroup_id_x 1
		.amdhsa_system_sgpr_workgroup_id_y 0
		.amdhsa_system_sgpr_workgroup_id_z 0
		.amdhsa_system_sgpr_workgroup_info 0
		.amdhsa_system_vgpr_workitem_id 0
		.amdhsa_next_free_vgpr 15
		.amdhsa_next_free_sgpr 8
		.amdhsa_accum_offset 16
		.amdhsa_reserve_vcc 1
		.amdhsa_reserve_flat_scratch 0
		.amdhsa_float_round_mode_32 0
		.amdhsa_float_round_mode_16_64 0
		.amdhsa_float_denorm_mode_32 3
		.amdhsa_float_denorm_mode_16_64 3
		.amdhsa_dx10_clamp 1
		.amdhsa_ieee_mode 1
		.amdhsa_fp16_overflow 0
		.amdhsa_tg_split 0
		.amdhsa_exception_fp_ieee_invalid_op 0
		.amdhsa_exception_fp_denorm_src 0
		.amdhsa_exception_fp_ieee_div_zero 0
		.amdhsa_exception_fp_ieee_overflow 0
		.amdhsa_exception_fp_ieee_underflow 0
		.amdhsa_exception_fp_ieee_inexact 0
		.amdhsa_exception_int_div_zero 0
	.end_amdhsa_kernel
	.section	.text._ZN7rocprim17ROCPRIM_400000_NS6detail17trampoline_kernelINS0_14default_configENS1_38merge_sort_block_merge_config_selectorIslEEZZNS1_27merge_sort_block_merge_implIS3_PsN6thrust23THRUST_200600_302600_NS10device_ptrIlEEjNS1_19radix_merge_compareILb0ELb0EsNS0_19identity_decomposerEEEEE10hipError_tT0_T1_T2_jT3_P12ihipStream_tbPNSt15iterator_traitsISG_E10value_typeEPNSM_ISH_E10value_typeEPSI_NS1_7vsmem_tEENKUlT_SG_SH_SI_E_clIS7_S7_SB_PlEESF_SV_SG_SH_SI_EUlSV_E_NS1_11comp_targetILNS1_3genE4ELNS1_11target_archE910ELNS1_3gpuE8ELNS1_3repE0EEENS1_48merge_mergepath_partition_config_static_selectorELNS0_4arch9wavefront6targetE1EEEvSH_,"axG",@progbits,_ZN7rocprim17ROCPRIM_400000_NS6detail17trampoline_kernelINS0_14default_configENS1_38merge_sort_block_merge_config_selectorIslEEZZNS1_27merge_sort_block_merge_implIS3_PsN6thrust23THRUST_200600_302600_NS10device_ptrIlEEjNS1_19radix_merge_compareILb0ELb0EsNS0_19identity_decomposerEEEEE10hipError_tT0_T1_T2_jT3_P12ihipStream_tbPNSt15iterator_traitsISG_E10value_typeEPNSM_ISH_E10value_typeEPSI_NS1_7vsmem_tEENKUlT_SG_SH_SI_E_clIS7_S7_SB_PlEESF_SV_SG_SH_SI_EUlSV_E_NS1_11comp_targetILNS1_3genE4ELNS1_11target_archE910ELNS1_3gpuE8ELNS1_3repE0EEENS1_48merge_mergepath_partition_config_static_selectorELNS0_4arch9wavefront6targetE1EEEvSH_,comdat
.Lfunc_end1303:
	.size	_ZN7rocprim17ROCPRIM_400000_NS6detail17trampoline_kernelINS0_14default_configENS1_38merge_sort_block_merge_config_selectorIslEEZZNS1_27merge_sort_block_merge_implIS3_PsN6thrust23THRUST_200600_302600_NS10device_ptrIlEEjNS1_19radix_merge_compareILb0ELb0EsNS0_19identity_decomposerEEEEE10hipError_tT0_T1_T2_jT3_P12ihipStream_tbPNSt15iterator_traitsISG_E10value_typeEPNSM_ISH_E10value_typeEPSI_NS1_7vsmem_tEENKUlT_SG_SH_SI_E_clIS7_S7_SB_PlEESF_SV_SG_SH_SI_EUlSV_E_NS1_11comp_targetILNS1_3genE4ELNS1_11target_archE910ELNS1_3gpuE8ELNS1_3repE0EEENS1_48merge_mergepath_partition_config_static_selectorELNS0_4arch9wavefront6targetE1EEEvSH_, .Lfunc_end1303-_ZN7rocprim17ROCPRIM_400000_NS6detail17trampoline_kernelINS0_14default_configENS1_38merge_sort_block_merge_config_selectorIslEEZZNS1_27merge_sort_block_merge_implIS3_PsN6thrust23THRUST_200600_302600_NS10device_ptrIlEEjNS1_19radix_merge_compareILb0ELb0EsNS0_19identity_decomposerEEEEE10hipError_tT0_T1_T2_jT3_P12ihipStream_tbPNSt15iterator_traitsISG_E10value_typeEPNSM_ISH_E10value_typeEPSI_NS1_7vsmem_tEENKUlT_SG_SH_SI_E_clIS7_S7_SB_PlEESF_SV_SG_SH_SI_EUlSV_E_NS1_11comp_targetILNS1_3genE4ELNS1_11target_archE910ELNS1_3gpuE8ELNS1_3repE0EEENS1_48merge_mergepath_partition_config_static_selectorELNS0_4arch9wavefront6targetE1EEEvSH_
                                        ; -- End function
	.section	.AMDGPU.csdata,"",@progbits
; Kernel info:
; codeLenInByte = 352
; NumSgprs: 12
; NumVgprs: 15
; NumAgprs: 0
; TotalNumVgprs: 15
; ScratchSize: 0
; MemoryBound: 0
; FloatMode: 240
; IeeeMode: 1
; LDSByteSize: 0 bytes/workgroup (compile time only)
; SGPRBlocks: 1
; VGPRBlocks: 1
; NumSGPRsForWavesPerEU: 12
; NumVGPRsForWavesPerEU: 15
; AccumOffset: 16
; Occupancy: 8
; WaveLimiterHint : 0
; COMPUTE_PGM_RSRC2:SCRATCH_EN: 0
; COMPUTE_PGM_RSRC2:USER_SGPR: 6
; COMPUTE_PGM_RSRC2:TRAP_HANDLER: 0
; COMPUTE_PGM_RSRC2:TGID_X_EN: 1
; COMPUTE_PGM_RSRC2:TGID_Y_EN: 0
; COMPUTE_PGM_RSRC2:TGID_Z_EN: 0
; COMPUTE_PGM_RSRC2:TIDIG_COMP_CNT: 0
; COMPUTE_PGM_RSRC3_GFX90A:ACCUM_OFFSET: 3
; COMPUTE_PGM_RSRC3_GFX90A:TG_SPLIT: 0
	.section	.text._ZN7rocprim17ROCPRIM_400000_NS6detail17trampoline_kernelINS0_14default_configENS1_38merge_sort_block_merge_config_selectorIslEEZZNS1_27merge_sort_block_merge_implIS3_PsN6thrust23THRUST_200600_302600_NS10device_ptrIlEEjNS1_19radix_merge_compareILb0ELb0EsNS0_19identity_decomposerEEEEE10hipError_tT0_T1_T2_jT3_P12ihipStream_tbPNSt15iterator_traitsISG_E10value_typeEPNSM_ISH_E10value_typeEPSI_NS1_7vsmem_tEENKUlT_SG_SH_SI_E_clIS7_S7_SB_PlEESF_SV_SG_SH_SI_EUlSV_E_NS1_11comp_targetILNS1_3genE3ELNS1_11target_archE908ELNS1_3gpuE7ELNS1_3repE0EEENS1_48merge_mergepath_partition_config_static_selectorELNS0_4arch9wavefront6targetE1EEEvSH_,"axG",@progbits,_ZN7rocprim17ROCPRIM_400000_NS6detail17trampoline_kernelINS0_14default_configENS1_38merge_sort_block_merge_config_selectorIslEEZZNS1_27merge_sort_block_merge_implIS3_PsN6thrust23THRUST_200600_302600_NS10device_ptrIlEEjNS1_19radix_merge_compareILb0ELb0EsNS0_19identity_decomposerEEEEE10hipError_tT0_T1_T2_jT3_P12ihipStream_tbPNSt15iterator_traitsISG_E10value_typeEPNSM_ISH_E10value_typeEPSI_NS1_7vsmem_tEENKUlT_SG_SH_SI_E_clIS7_S7_SB_PlEESF_SV_SG_SH_SI_EUlSV_E_NS1_11comp_targetILNS1_3genE3ELNS1_11target_archE908ELNS1_3gpuE7ELNS1_3repE0EEENS1_48merge_mergepath_partition_config_static_selectorELNS0_4arch9wavefront6targetE1EEEvSH_,comdat
	.protected	_ZN7rocprim17ROCPRIM_400000_NS6detail17trampoline_kernelINS0_14default_configENS1_38merge_sort_block_merge_config_selectorIslEEZZNS1_27merge_sort_block_merge_implIS3_PsN6thrust23THRUST_200600_302600_NS10device_ptrIlEEjNS1_19radix_merge_compareILb0ELb0EsNS0_19identity_decomposerEEEEE10hipError_tT0_T1_T2_jT3_P12ihipStream_tbPNSt15iterator_traitsISG_E10value_typeEPNSM_ISH_E10value_typeEPSI_NS1_7vsmem_tEENKUlT_SG_SH_SI_E_clIS7_S7_SB_PlEESF_SV_SG_SH_SI_EUlSV_E_NS1_11comp_targetILNS1_3genE3ELNS1_11target_archE908ELNS1_3gpuE7ELNS1_3repE0EEENS1_48merge_mergepath_partition_config_static_selectorELNS0_4arch9wavefront6targetE1EEEvSH_ ; -- Begin function _ZN7rocprim17ROCPRIM_400000_NS6detail17trampoline_kernelINS0_14default_configENS1_38merge_sort_block_merge_config_selectorIslEEZZNS1_27merge_sort_block_merge_implIS3_PsN6thrust23THRUST_200600_302600_NS10device_ptrIlEEjNS1_19radix_merge_compareILb0ELb0EsNS0_19identity_decomposerEEEEE10hipError_tT0_T1_T2_jT3_P12ihipStream_tbPNSt15iterator_traitsISG_E10value_typeEPNSM_ISH_E10value_typeEPSI_NS1_7vsmem_tEENKUlT_SG_SH_SI_E_clIS7_S7_SB_PlEESF_SV_SG_SH_SI_EUlSV_E_NS1_11comp_targetILNS1_3genE3ELNS1_11target_archE908ELNS1_3gpuE7ELNS1_3repE0EEENS1_48merge_mergepath_partition_config_static_selectorELNS0_4arch9wavefront6targetE1EEEvSH_
	.globl	_ZN7rocprim17ROCPRIM_400000_NS6detail17trampoline_kernelINS0_14default_configENS1_38merge_sort_block_merge_config_selectorIslEEZZNS1_27merge_sort_block_merge_implIS3_PsN6thrust23THRUST_200600_302600_NS10device_ptrIlEEjNS1_19radix_merge_compareILb0ELb0EsNS0_19identity_decomposerEEEEE10hipError_tT0_T1_T2_jT3_P12ihipStream_tbPNSt15iterator_traitsISG_E10value_typeEPNSM_ISH_E10value_typeEPSI_NS1_7vsmem_tEENKUlT_SG_SH_SI_E_clIS7_S7_SB_PlEESF_SV_SG_SH_SI_EUlSV_E_NS1_11comp_targetILNS1_3genE3ELNS1_11target_archE908ELNS1_3gpuE7ELNS1_3repE0EEENS1_48merge_mergepath_partition_config_static_selectorELNS0_4arch9wavefront6targetE1EEEvSH_
	.p2align	8
	.type	_ZN7rocprim17ROCPRIM_400000_NS6detail17trampoline_kernelINS0_14default_configENS1_38merge_sort_block_merge_config_selectorIslEEZZNS1_27merge_sort_block_merge_implIS3_PsN6thrust23THRUST_200600_302600_NS10device_ptrIlEEjNS1_19radix_merge_compareILb0ELb0EsNS0_19identity_decomposerEEEEE10hipError_tT0_T1_T2_jT3_P12ihipStream_tbPNSt15iterator_traitsISG_E10value_typeEPNSM_ISH_E10value_typeEPSI_NS1_7vsmem_tEENKUlT_SG_SH_SI_E_clIS7_S7_SB_PlEESF_SV_SG_SH_SI_EUlSV_E_NS1_11comp_targetILNS1_3genE3ELNS1_11target_archE908ELNS1_3gpuE7ELNS1_3repE0EEENS1_48merge_mergepath_partition_config_static_selectorELNS0_4arch9wavefront6targetE1EEEvSH_,@function
_ZN7rocprim17ROCPRIM_400000_NS6detail17trampoline_kernelINS0_14default_configENS1_38merge_sort_block_merge_config_selectorIslEEZZNS1_27merge_sort_block_merge_implIS3_PsN6thrust23THRUST_200600_302600_NS10device_ptrIlEEjNS1_19radix_merge_compareILb0ELb0EsNS0_19identity_decomposerEEEEE10hipError_tT0_T1_T2_jT3_P12ihipStream_tbPNSt15iterator_traitsISG_E10value_typeEPNSM_ISH_E10value_typeEPSI_NS1_7vsmem_tEENKUlT_SG_SH_SI_E_clIS7_S7_SB_PlEESF_SV_SG_SH_SI_EUlSV_E_NS1_11comp_targetILNS1_3genE3ELNS1_11target_archE908ELNS1_3gpuE7ELNS1_3repE0EEENS1_48merge_mergepath_partition_config_static_selectorELNS0_4arch9wavefront6targetE1EEEvSH_: ; @_ZN7rocprim17ROCPRIM_400000_NS6detail17trampoline_kernelINS0_14default_configENS1_38merge_sort_block_merge_config_selectorIslEEZZNS1_27merge_sort_block_merge_implIS3_PsN6thrust23THRUST_200600_302600_NS10device_ptrIlEEjNS1_19radix_merge_compareILb0ELb0EsNS0_19identity_decomposerEEEEE10hipError_tT0_T1_T2_jT3_P12ihipStream_tbPNSt15iterator_traitsISG_E10value_typeEPNSM_ISH_E10value_typeEPSI_NS1_7vsmem_tEENKUlT_SG_SH_SI_E_clIS7_S7_SB_PlEESF_SV_SG_SH_SI_EUlSV_E_NS1_11comp_targetILNS1_3genE3ELNS1_11target_archE908ELNS1_3gpuE7ELNS1_3repE0EEENS1_48merge_mergepath_partition_config_static_selectorELNS0_4arch9wavefront6targetE1EEEvSH_
; %bb.0:
	.section	.rodata,"a",@progbits
	.p2align	6, 0x0
	.amdhsa_kernel _ZN7rocprim17ROCPRIM_400000_NS6detail17trampoline_kernelINS0_14default_configENS1_38merge_sort_block_merge_config_selectorIslEEZZNS1_27merge_sort_block_merge_implIS3_PsN6thrust23THRUST_200600_302600_NS10device_ptrIlEEjNS1_19radix_merge_compareILb0ELb0EsNS0_19identity_decomposerEEEEE10hipError_tT0_T1_T2_jT3_P12ihipStream_tbPNSt15iterator_traitsISG_E10value_typeEPNSM_ISH_E10value_typeEPSI_NS1_7vsmem_tEENKUlT_SG_SH_SI_E_clIS7_S7_SB_PlEESF_SV_SG_SH_SI_EUlSV_E_NS1_11comp_targetILNS1_3genE3ELNS1_11target_archE908ELNS1_3gpuE7ELNS1_3repE0EEENS1_48merge_mergepath_partition_config_static_selectorELNS0_4arch9wavefront6targetE1EEEvSH_
		.amdhsa_group_segment_fixed_size 0
		.amdhsa_private_segment_fixed_size 0
		.amdhsa_kernarg_size 40
		.amdhsa_user_sgpr_count 6
		.amdhsa_user_sgpr_private_segment_buffer 1
		.amdhsa_user_sgpr_dispatch_ptr 0
		.amdhsa_user_sgpr_queue_ptr 0
		.amdhsa_user_sgpr_kernarg_segment_ptr 1
		.amdhsa_user_sgpr_dispatch_id 0
		.amdhsa_user_sgpr_flat_scratch_init 0
		.amdhsa_user_sgpr_kernarg_preload_length 0
		.amdhsa_user_sgpr_kernarg_preload_offset 0
		.amdhsa_user_sgpr_private_segment_size 0
		.amdhsa_uses_dynamic_stack 0
		.amdhsa_system_sgpr_private_segment_wavefront_offset 0
		.amdhsa_system_sgpr_workgroup_id_x 1
		.amdhsa_system_sgpr_workgroup_id_y 0
		.amdhsa_system_sgpr_workgroup_id_z 0
		.amdhsa_system_sgpr_workgroup_info 0
		.amdhsa_system_vgpr_workitem_id 0
		.amdhsa_next_free_vgpr 1
		.amdhsa_next_free_sgpr 0
		.amdhsa_accum_offset 4
		.amdhsa_reserve_vcc 0
		.amdhsa_reserve_flat_scratch 0
		.amdhsa_float_round_mode_32 0
		.amdhsa_float_round_mode_16_64 0
		.amdhsa_float_denorm_mode_32 3
		.amdhsa_float_denorm_mode_16_64 3
		.amdhsa_dx10_clamp 1
		.amdhsa_ieee_mode 1
		.amdhsa_fp16_overflow 0
		.amdhsa_tg_split 0
		.amdhsa_exception_fp_ieee_invalid_op 0
		.amdhsa_exception_fp_denorm_src 0
		.amdhsa_exception_fp_ieee_div_zero 0
		.amdhsa_exception_fp_ieee_overflow 0
		.amdhsa_exception_fp_ieee_underflow 0
		.amdhsa_exception_fp_ieee_inexact 0
		.amdhsa_exception_int_div_zero 0
	.end_amdhsa_kernel
	.section	.text._ZN7rocprim17ROCPRIM_400000_NS6detail17trampoline_kernelINS0_14default_configENS1_38merge_sort_block_merge_config_selectorIslEEZZNS1_27merge_sort_block_merge_implIS3_PsN6thrust23THRUST_200600_302600_NS10device_ptrIlEEjNS1_19radix_merge_compareILb0ELb0EsNS0_19identity_decomposerEEEEE10hipError_tT0_T1_T2_jT3_P12ihipStream_tbPNSt15iterator_traitsISG_E10value_typeEPNSM_ISH_E10value_typeEPSI_NS1_7vsmem_tEENKUlT_SG_SH_SI_E_clIS7_S7_SB_PlEESF_SV_SG_SH_SI_EUlSV_E_NS1_11comp_targetILNS1_3genE3ELNS1_11target_archE908ELNS1_3gpuE7ELNS1_3repE0EEENS1_48merge_mergepath_partition_config_static_selectorELNS0_4arch9wavefront6targetE1EEEvSH_,"axG",@progbits,_ZN7rocprim17ROCPRIM_400000_NS6detail17trampoline_kernelINS0_14default_configENS1_38merge_sort_block_merge_config_selectorIslEEZZNS1_27merge_sort_block_merge_implIS3_PsN6thrust23THRUST_200600_302600_NS10device_ptrIlEEjNS1_19radix_merge_compareILb0ELb0EsNS0_19identity_decomposerEEEEE10hipError_tT0_T1_T2_jT3_P12ihipStream_tbPNSt15iterator_traitsISG_E10value_typeEPNSM_ISH_E10value_typeEPSI_NS1_7vsmem_tEENKUlT_SG_SH_SI_E_clIS7_S7_SB_PlEESF_SV_SG_SH_SI_EUlSV_E_NS1_11comp_targetILNS1_3genE3ELNS1_11target_archE908ELNS1_3gpuE7ELNS1_3repE0EEENS1_48merge_mergepath_partition_config_static_selectorELNS0_4arch9wavefront6targetE1EEEvSH_,comdat
.Lfunc_end1304:
	.size	_ZN7rocprim17ROCPRIM_400000_NS6detail17trampoline_kernelINS0_14default_configENS1_38merge_sort_block_merge_config_selectorIslEEZZNS1_27merge_sort_block_merge_implIS3_PsN6thrust23THRUST_200600_302600_NS10device_ptrIlEEjNS1_19radix_merge_compareILb0ELb0EsNS0_19identity_decomposerEEEEE10hipError_tT0_T1_T2_jT3_P12ihipStream_tbPNSt15iterator_traitsISG_E10value_typeEPNSM_ISH_E10value_typeEPSI_NS1_7vsmem_tEENKUlT_SG_SH_SI_E_clIS7_S7_SB_PlEESF_SV_SG_SH_SI_EUlSV_E_NS1_11comp_targetILNS1_3genE3ELNS1_11target_archE908ELNS1_3gpuE7ELNS1_3repE0EEENS1_48merge_mergepath_partition_config_static_selectorELNS0_4arch9wavefront6targetE1EEEvSH_, .Lfunc_end1304-_ZN7rocprim17ROCPRIM_400000_NS6detail17trampoline_kernelINS0_14default_configENS1_38merge_sort_block_merge_config_selectorIslEEZZNS1_27merge_sort_block_merge_implIS3_PsN6thrust23THRUST_200600_302600_NS10device_ptrIlEEjNS1_19radix_merge_compareILb0ELb0EsNS0_19identity_decomposerEEEEE10hipError_tT0_T1_T2_jT3_P12ihipStream_tbPNSt15iterator_traitsISG_E10value_typeEPNSM_ISH_E10value_typeEPSI_NS1_7vsmem_tEENKUlT_SG_SH_SI_E_clIS7_S7_SB_PlEESF_SV_SG_SH_SI_EUlSV_E_NS1_11comp_targetILNS1_3genE3ELNS1_11target_archE908ELNS1_3gpuE7ELNS1_3repE0EEENS1_48merge_mergepath_partition_config_static_selectorELNS0_4arch9wavefront6targetE1EEEvSH_
                                        ; -- End function
	.section	.AMDGPU.csdata,"",@progbits
; Kernel info:
; codeLenInByte = 0
; NumSgprs: 4
; NumVgprs: 0
; NumAgprs: 0
; TotalNumVgprs: 0
; ScratchSize: 0
; MemoryBound: 0
; FloatMode: 240
; IeeeMode: 1
; LDSByteSize: 0 bytes/workgroup (compile time only)
; SGPRBlocks: 0
; VGPRBlocks: 0
; NumSGPRsForWavesPerEU: 4
; NumVGPRsForWavesPerEU: 1
; AccumOffset: 4
; Occupancy: 8
; WaveLimiterHint : 0
; COMPUTE_PGM_RSRC2:SCRATCH_EN: 0
; COMPUTE_PGM_RSRC2:USER_SGPR: 6
; COMPUTE_PGM_RSRC2:TRAP_HANDLER: 0
; COMPUTE_PGM_RSRC2:TGID_X_EN: 1
; COMPUTE_PGM_RSRC2:TGID_Y_EN: 0
; COMPUTE_PGM_RSRC2:TGID_Z_EN: 0
; COMPUTE_PGM_RSRC2:TIDIG_COMP_CNT: 0
; COMPUTE_PGM_RSRC3_GFX90A:ACCUM_OFFSET: 0
; COMPUTE_PGM_RSRC3_GFX90A:TG_SPLIT: 0
	.section	.text._ZN7rocprim17ROCPRIM_400000_NS6detail17trampoline_kernelINS0_14default_configENS1_38merge_sort_block_merge_config_selectorIslEEZZNS1_27merge_sort_block_merge_implIS3_PsN6thrust23THRUST_200600_302600_NS10device_ptrIlEEjNS1_19radix_merge_compareILb0ELb0EsNS0_19identity_decomposerEEEEE10hipError_tT0_T1_T2_jT3_P12ihipStream_tbPNSt15iterator_traitsISG_E10value_typeEPNSM_ISH_E10value_typeEPSI_NS1_7vsmem_tEENKUlT_SG_SH_SI_E_clIS7_S7_SB_PlEESF_SV_SG_SH_SI_EUlSV_E_NS1_11comp_targetILNS1_3genE2ELNS1_11target_archE906ELNS1_3gpuE6ELNS1_3repE0EEENS1_48merge_mergepath_partition_config_static_selectorELNS0_4arch9wavefront6targetE1EEEvSH_,"axG",@progbits,_ZN7rocprim17ROCPRIM_400000_NS6detail17trampoline_kernelINS0_14default_configENS1_38merge_sort_block_merge_config_selectorIslEEZZNS1_27merge_sort_block_merge_implIS3_PsN6thrust23THRUST_200600_302600_NS10device_ptrIlEEjNS1_19radix_merge_compareILb0ELb0EsNS0_19identity_decomposerEEEEE10hipError_tT0_T1_T2_jT3_P12ihipStream_tbPNSt15iterator_traitsISG_E10value_typeEPNSM_ISH_E10value_typeEPSI_NS1_7vsmem_tEENKUlT_SG_SH_SI_E_clIS7_S7_SB_PlEESF_SV_SG_SH_SI_EUlSV_E_NS1_11comp_targetILNS1_3genE2ELNS1_11target_archE906ELNS1_3gpuE6ELNS1_3repE0EEENS1_48merge_mergepath_partition_config_static_selectorELNS0_4arch9wavefront6targetE1EEEvSH_,comdat
	.protected	_ZN7rocprim17ROCPRIM_400000_NS6detail17trampoline_kernelINS0_14default_configENS1_38merge_sort_block_merge_config_selectorIslEEZZNS1_27merge_sort_block_merge_implIS3_PsN6thrust23THRUST_200600_302600_NS10device_ptrIlEEjNS1_19radix_merge_compareILb0ELb0EsNS0_19identity_decomposerEEEEE10hipError_tT0_T1_T2_jT3_P12ihipStream_tbPNSt15iterator_traitsISG_E10value_typeEPNSM_ISH_E10value_typeEPSI_NS1_7vsmem_tEENKUlT_SG_SH_SI_E_clIS7_S7_SB_PlEESF_SV_SG_SH_SI_EUlSV_E_NS1_11comp_targetILNS1_3genE2ELNS1_11target_archE906ELNS1_3gpuE6ELNS1_3repE0EEENS1_48merge_mergepath_partition_config_static_selectorELNS0_4arch9wavefront6targetE1EEEvSH_ ; -- Begin function _ZN7rocprim17ROCPRIM_400000_NS6detail17trampoline_kernelINS0_14default_configENS1_38merge_sort_block_merge_config_selectorIslEEZZNS1_27merge_sort_block_merge_implIS3_PsN6thrust23THRUST_200600_302600_NS10device_ptrIlEEjNS1_19radix_merge_compareILb0ELb0EsNS0_19identity_decomposerEEEEE10hipError_tT0_T1_T2_jT3_P12ihipStream_tbPNSt15iterator_traitsISG_E10value_typeEPNSM_ISH_E10value_typeEPSI_NS1_7vsmem_tEENKUlT_SG_SH_SI_E_clIS7_S7_SB_PlEESF_SV_SG_SH_SI_EUlSV_E_NS1_11comp_targetILNS1_3genE2ELNS1_11target_archE906ELNS1_3gpuE6ELNS1_3repE0EEENS1_48merge_mergepath_partition_config_static_selectorELNS0_4arch9wavefront6targetE1EEEvSH_
	.globl	_ZN7rocprim17ROCPRIM_400000_NS6detail17trampoline_kernelINS0_14default_configENS1_38merge_sort_block_merge_config_selectorIslEEZZNS1_27merge_sort_block_merge_implIS3_PsN6thrust23THRUST_200600_302600_NS10device_ptrIlEEjNS1_19radix_merge_compareILb0ELb0EsNS0_19identity_decomposerEEEEE10hipError_tT0_T1_T2_jT3_P12ihipStream_tbPNSt15iterator_traitsISG_E10value_typeEPNSM_ISH_E10value_typeEPSI_NS1_7vsmem_tEENKUlT_SG_SH_SI_E_clIS7_S7_SB_PlEESF_SV_SG_SH_SI_EUlSV_E_NS1_11comp_targetILNS1_3genE2ELNS1_11target_archE906ELNS1_3gpuE6ELNS1_3repE0EEENS1_48merge_mergepath_partition_config_static_selectorELNS0_4arch9wavefront6targetE1EEEvSH_
	.p2align	8
	.type	_ZN7rocprim17ROCPRIM_400000_NS6detail17trampoline_kernelINS0_14default_configENS1_38merge_sort_block_merge_config_selectorIslEEZZNS1_27merge_sort_block_merge_implIS3_PsN6thrust23THRUST_200600_302600_NS10device_ptrIlEEjNS1_19radix_merge_compareILb0ELb0EsNS0_19identity_decomposerEEEEE10hipError_tT0_T1_T2_jT3_P12ihipStream_tbPNSt15iterator_traitsISG_E10value_typeEPNSM_ISH_E10value_typeEPSI_NS1_7vsmem_tEENKUlT_SG_SH_SI_E_clIS7_S7_SB_PlEESF_SV_SG_SH_SI_EUlSV_E_NS1_11comp_targetILNS1_3genE2ELNS1_11target_archE906ELNS1_3gpuE6ELNS1_3repE0EEENS1_48merge_mergepath_partition_config_static_selectorELNS0_4arch9wavefront6targetE1EEEvSH_,@function
_ZN7rocprim17ROCPRIM_400000_NS6detail17trampoline_kernelINS0_14default_configENS1_38merge_sort_block_merge_config_selectorIslEEZZNS1_27merge_sort_block_merge_implIS3_PsN6thrust23THRUST_200600_302600_NS10device_ptrIlEEjNS1_19radix_merge_compareILb0ELb0EsNS0_19identity_decomposerEEEEE10hipError_tT0_T1_T2_jT3_P12ihipStream_tbPNSt15iterator_traitsISG_E10value_typeEPNSM_ISH_E10value_typeEPSI_NS1_7vsmem_tEENKUlT_SG_SH_SI_E_clIS7_S7_SB_PlEESF_SV_SG_SH_SI_EUlSV_E_NS1_11comp_targetILNS1_3genE2ELNS1_11target_archE906ELNS1_3gpuE6ELNS1_3repE0EEENS1_48merge_mergepath_partition_config_static_selectorELNS0_4arch9wavefront6targetE1EEEvSH_: ; @_ZN7rocprim17ROCPRIM_400000_NS6detail17trampoline_kernelINS0_14default_configENS1_38merge_sort_block_merge_config_selectorIslEEZZNS1_27merge_sort_block_merge_implIS3_PsN6thrust23THRUST_200600_302600_NS10device_ptrIlEEjNS1_19radix_merge_compareILb0ELb0EsNS0_19identity_decomposerEEEEE10hipError_tT0_T1_T2_jT3_P12ihipStream_tbPNSt15iterator_traitsISG_E10value_typeEPNSM_ISH_E10value_typeEPSI_NS1_7vsmem_tEENKUlT_SG_SH_SI_E_clIS7_S7_SB_PlEESF_SV_SG_SH_SI_EUlSV_E_NS1_11comp_targetILNS1_3genE2ELNS1_11target_archE906ELNS1_3gpuE6ELNS1_3repE0EEENS1_48merge_mergepath_partition_config_static_selectorELNS0_4arch9wavefront6targetE1EEEvSH_
; %bb.0:
	.section	.rodata,"a",@progbits
	.p2align	6, 0x0
	.amdhsa_kernel _ZN7rocprim17ROCPRIM_400000_NS6detail17trampoline_kernelINS0_14default_configENS1_38merge_sort_block_merge_config_selectorIslEEZZNS1_27merge_sort_block_merge_implIS3_PsN6thrust23THRUST_200600_302600_NS10device_ptrIlEEjNS1_19radix_merge_compareILb0ELb0EsNS0_19identity_decomposerEEEEE10hipError_tT0_T1_T2_jT3_P12ihipStream_tbPNSt15iterator_traitsISG_E10value_typeEPNSM_ISH_E10value_typeEPSI_NS1_7vsmem_tEENKUlT_SG_SH_SI_E_clIS7_S7_SB_PlEESF_SV_SG_SH_SI_EUlSV_E_NS1_11comp_targetILNS1_3genE2ELNS1_11target_archE906ELNS1_3gpuE6ELNS1_3repE0EEENS1_48merge_mergepath_partition_config_static_selectorELNS0_4arch9wavefront6targetE1EEEvSH_
		.amdhsa_group_segment_fixed_size 0
		.amdhsa_private_segment_fixed_size 0
		.amdhsa_kernarg_size 40
		.amdhsa_user_sgpr_count 6
		.amdhsa_user_sgpr_private_segment_buffer 1
		.amdhsa_user_sgpr_dispatch_ptr 0
		.amdhsa_user_sgpr_queue_ptr 0
		.amdhsa_user_sgpr_kernarg_segment_ptr 1
		.amdhsa_user_sgpr_dispatch_id 0
		.amdhsa_user_sgpr_flat_scratch_init 0
		.amdhsa_user_sgpr_kernarg_preload_length 0
		.amdhsa_user_sgpr_kernarg_preload_offset 0
		.amdhsa_user_sgpr_private_segment_size 0
		.amdhsa_uses_dynamic_stack 0
		.amdhsa_system_sgpr_private_segment_wavefront_offset 0
		.amdhsa_system_sgpr_workgroup_id_x 1
		.amdhsa_system_sgpr_workgroup_id_y 0
		.amdhsa_system_sgpr_workgroup_id_z 0
		.amdhsa_system_sgpr_workgroup_info 0
		.amdhsa_system_vgpr_workitem_id 0
		.amdhsa_next_free_vgpr 1
		.amdhsa_next_free_sgpr 0
		.amdhsa_accum_offset 4
		.amdhsa_reserve_vcc 0
		.amdhsa_reserve_flat_scratch 0
		.amdhsa_float_round_mode_32 0
		.amdhsa_float_round_mode_16_64 0
		.amdhsa_float_denorm_mode_32 3
		.amdhsa_float_denorm_mode_16_64 3
		.amdhsa_dx10_clamp 1
		.amdhsa_ieee_mode 1
		.amdhsa_fp16_overflow 0
		.amdhsa_tg_split 0
		.amdhsa_exception_fp_ieee_invalid_op 0
		.amdhsa_exception_fp_denorm_src 0
		.amdhsa_exception_fp_ieee_div_zero 0
		.amdhsa_exception_fp_ieee_overflow 0
		.amdhsa_exception_fp_ieee_underflow 0
		.amdhsa_exception_fp_ieee_inexact 0
		.amdhsa_exception_int_div_zero 0
	.end_amdhsa_kernel
	.section	.text._ZN7rocprim17ROCPRIM_400000_NS6detail17trampoline_kernelINS0_14default_configENS1_38merge_sort_block_merge_config_selectorIslEEZZNS1_27merge_sort_block_merge_implIS3_PsN6thrust23THRUST_200600_302600_NS10device_ptrIlEEjNS1_19radix_merge_compareILb0ELb0EsNS0_19identity_decomposerEEEEE10hipError_tT0_T1_T2_jT3_P12ihipStream_tbPNSt15iterator_traitsISG_E10value_typeEPNSM_ISH_E10value_typeEPSI_NS1_7vsmem_tEENKUlT_SG_SH_SI_E_clIS7_S7_SB_PlEESF_SV_SG_SH_SI_EUlSV_E_NS1_11comp_targetILNS1_3genE2ELNS1_11target_archE906ELNS1_3gpuE6ELNS1_3repE0EEENS1_48merge_mergepath_partition_config_static_selectorELNS0_4arch9wavefront6targetE1EEEvSH_,"axG",@progbits,_ZN7rocprim17ROCPRIM_400000_NS6detail17trampoline_kernelINS0_14default_configENS1_38merge_sort_block_merge_config_selectorIslEEZZNS1_27merge_sort_block_merge_implIS3_PsN6thrust23THRUST_200600_302600_NS10device_ptrIlEEjNS1_19radix_merge_compareILb0ELb0EsNS0_19identity_decomposerEEEEE10hipError_tT0_T1_T2_jT3_P12ihipStream_tbPNSt15iterator_traitsISG_E10value_typeEPNSM_ISH_E10value_typeEPSI_NS1_7vsmem_tEENKUlT_SG_SH_SI_E_clIS7_S7_SB_PlEESF_SV_SG_SH_SI_EUlSV_E_NS1_11comp_targetILNS1_3genE2ELNS1_11target_archE906ELNS1_3gpuE6ELNS1_3repE0EEENS1_48merge_mergepath_partition_config_static_selectorELNS0_4arch9wavefront6targetE1EEEvSH_,comdat
.Lfunc_end1305:
	.size	_ZN7rocprim17ROCPRIM_400000_NS6detail17trampoline_kernelINS0_14default_configENS1_38merge_sort_block_merge_config_selectorIslEEZZNS1_27merge_sort_block_merge_implIS3_PsN6thrust23THRUST_200600_302600_NS10device_ptrIlEEjNS1_19radix_merge_compareILb0ELb0EsNS0_19identity_decomposerEEEEE10hipError_tT0_T1_T2_jT3_P12ihipStream_tbPNSt15iterator_traitsISG_E10value_typeEPNSM_ISH_E10value_typeEPSI_NS1_7vsmem_tEENKUlT_SG_SH_SI_E_clIS7_S7_SB_PlEESF_SV_SG_SH_SI_EUlSV_E_NS1_11comp_targetILNS1_3genE2ELNS1_11target_archE906ELNS1_3gpuE6ELNS1_3repE0EEENS1_48merge_mergepath_partition_config_static_selectorELNS0_4arch9wavefront6targetE1EEEvSH_, .Lfunc_end1305-_ZN7rocprim17ROCPRIM_400000_NS6detail17trampoline_kernelINS0_14default_configENS1_38merge_sort_block_merge_config_selectorIslEEZZNS1_27merge_sort_block_merge_implIS3_PsN6thrust23THRUST_200600_302600_NS10device_ptrIlEEjNS1_19radix_merge_compareILb0ELb0EsNS0_19identity_decomposerEEEEE10hipError_tT0_T1_T2_jT3_P12ihipStream_tbPNSt15iterator_traitsISG_E10value_typeEPNSM_ISH_E10value_typeEPSI_NS1_7vsmem_tEENKUlT_SG_SH_SI_E_clIS7_S7_SB_PlEESF_SV_SG_SH_SI_EUlSV_E_NS1_11comp_targetILNS1_3genE2ELNS1_11target_archE906ELNS1_3gpuE6ELNS1_3repE0EEENS1_48merge_mergepath_partition_config_static_selectorELNS0_4arch9wavefront6targetE1EEEvSH_
                                        ; -- End function
	.section	.AMDGPU.csdata,"",@progbits
; Kernel info:
; codeLenInByte = 0
; NumSgprs: 4
; NumVgprs: 0
; NumAgprs: 0
; TotalNumVgprs: 0
; ScratchSize: 0
; MemoryBound: 0
; FloatMode: 240
; IeeeMode: 1
; LDSByteSize: 0 bytes/workgroup (compile time only)
; SGPRBlocks: 0
; VGPRBlocks: 0
; NumSGPRsForWavesPerEU: 4
; NumVGPRsForWavesPerEU: 1
; AccumOffset: 4
; Occupancy: 8
; WaveLimiterHint : 0
; COMPUTE_PGM_RSRC2:SCRATCH_EN: 0
; COMPUTE_PGM_RSRC2:USER_SGPR: 6
; COMPUTE_PGM_RSRC2:TRAP_HANDLER: 0
; COMPUTE_PGM_RSRC2:TGID_X_EN: 1
; COMPUTE_PGM_RSRC2:TGID_Y_EN: 0
; COMPUTE_PGM_RSRC2:TGID_Z_EN: 0
; COMPUTE_PGM_RSRC2:TIDIG_COMP_CNT: 0
; COMPUTE_PGM_RSRC3_GFX90A:ACCUM_OFFSET: 0
; COMPUTE_PGM_RSRC3_GFX90A:TG_SPLIT: 0
	.section	.text._ZN7rocprim17ROCPRIM_400000_NS6detail17trampoline_kernelINS0_14default_configENS1_38merge_sort_block_merge_config_selectorIslEEZZNS1_27merge_sort_block_merge_implIS3_PsN6thrust23THRUST_200600_302600_NS10device_ptrIlEEjNS1_19radix_merge_compareILb0ELb0EsNS0_19identity_decomposerEEEEE10hipError_tT0_T1_T2_jT3_P12ihipStream_tbPNSt15iterator_traitsISG_E10value_typeEPNSM_ISH_E10value_typeEPSI_NS1_7vsmem_tEENKUlT_SG_SH_SI_E_clIS7_S7_SB_PlEESF_SV_SG_SH_SI_EUlSV_E_NS1_11comp_targetILNS1_3genE9ELNS1_11target_archE1100ELNS1_3gpuE3ELNS1_3repE0EEENS1_48merge_mergepath_partition_config_static_selectorELNS0_4arch9wavefront6targetE1EEEvSH_,"axG",@progbits,_ZN7rocprim17ROCPRIM_400000_NS6detail17trampoline_kernelINS0_14default_configENS1_38merge_sort_block_merge_config_selectorIslEEZZNS1_27merge_sort_block_merge_implIS3_PsN6thrust23THRUST_200600_302600_NS10device_ptrIlEEjNS1_19radix_merge_compareILb0ELb0EsNS0_19identity_decomposerEEEEE10hipError_tT0_T1_T2_jT3_P12ihipStream_tbPNSt15iterator_traitsISG_E10value_typeEPNSM_ISH_E10value_typeEPSI_NS1_7vsmem_tEENKUlT_SG_SH_SI_E_clIS7_S7_SB_PlEESF_SV_SG_SH_SI_EUlSV_E_NS1_11comp_targetILNS1_3genE9ELNS1_11target_archE1100ELNS1_3gpuE3ELNS1_3repE0EEENS1_48merge_mergepath_partition_config_static_selectorELNS0_4arch9wavefront6targetE1EEEvSH_,comdat
	.protected	_ZN7rocprim17ROCPRIM_400000_NS6detail17trampoline_kernelINS0_14default_configENS1_38merge_sort_block_merge_config_selectorIslEEZZNS1_27merge_sort_block_merge_implIS3_PsN6thrust23THRUST_200600_302600_NS10device_ptrIlEEjNS1_19radix_merge_compareILb0ELb0EsNS0_19identity_decomposerEEEEE10hipError_tT0_T1_T2_jT3_P12ihipStream_tbPNSt15iterator_traitsISG_E10value_typeEPNSM_ISH_E10value_typeEPSI_NS1_7vsmem_tEENKUlT_SG_SH_SI_E_clIS7_S7_SB_PlEESF_SV_SG_SH_SI_EUlSV_E_NS1_11comp_targetILNS1_3genE9ELNS1_11target_archE1100ELNS1_3gpuE3ELNS1_3repE0EEENS1_48merge_mergepath_partition_config_static_selectorELNS0_4arch9wavefront6targetE1EEEvSH_ ; -- Begin function _ZN7rocprim17ROCPRIM_400000_NS6detail17trampoline_kernelINS0_14default_configENS1_38merge_sort_block_merge_config_selectorIslEEZZNS1_27merge_sort_block_merge_implIS3_PsN6thrust23THRUST_200600_302600_NS10device_ptrIlEEjNS1_19radix_merge_compareILb0ELb0EsNS0_19identity_decomposerEEEEE10hipError_tT0_T1_T2_jT3_P12ihipStream_tbPNSt15iterator_traitsISG_E10value_typeEPNSM_ISH_E10value_typeEPSI_NS1_7vsmem_tEENKUlT_SG_SH_SI_E_clIS7_S7_SB_PlEESF_SV_SG_SH_SI_EUlSV_E_NS1_11comp_targetILNS1_3genE9ELNS1_11target_archE1100ELNS1_3gpuE3ELNS1_3repE0EEENS1_48merge_mergepath_partition_config_static_selectorELNS0_4arch9wavefront6targetE1EEEvSH_
	.globl	_ZN7rocprim17ROCPRIM_400000_NS6detail17trampoline_kernelINS0_14default_configENS1_38merge_sort_block_merge_config_selectorIslEEZZNS1_27merge_sort_block_merge_implIS3_PsN6thrust23THRUST_200600_302600_NS10device_ptrIlEEjNS1_19radix_merge_compareILb0ELb0EsNS0_19identity_decomposerEEEEE10hipError_tT0_T1_T2_jT3_P12ihipStream_tbPNSt15iterator_traitsISG_E10value_typeEPNSM_ISH_E10value_typeEPSI_NS1_7vsmem_tEENKUlT_SG_SH_SI_E_clIS7_S7_SB_PlEESF_SV_SG_SH_SI_EUlSV_E_NS1_11comp_targetILNS1_3genE9ELNS1_11target_archE1100ELNS1_3gpuE3ELNS1_3repE0EEENS1_48merge_mergepath_partition_config_static_selectorELNS0_4arch9wavefront6targetE1EEEvSH_
	.p2align	8
	.type	_ZN7rocprim17ROCPRIM_400000_NS6detail17trampoline_kernelINS0_14default_configENS1_38merge_sort_block_merge_config_selectorIslEEZZNS1_27merge_sort_block_merge_implIS3_PsN6thrust23THRUST_200600_302600_NS10device_ptrIlEEjNS1_19radix_merge_compareILb0ELb0EsNS0_19identity_decomposerEEEEE10hipError_tT0_T1_T2_jT3_P12ihipStream_tbPNSt15iterator_traitsISG_E10value_typeEPNSM_ISH_E10value_typeEPSI_NS1_7vsmem_tEENKUlT_SG_SH_SI_E_clIS7_S7_SB_PlEESF_SV_SG_SH_SI_EUlSV_E_NS1_11comp_targetILNS1_3genE9ELNS1_11target_archE1100ELNS1_3gpuE3ELNS1_3repE0EEENS1_48merge_mergepath_partition_config_static_selectorELNS0_4arch9wavefront6targetE1EEEvSH_,@function
_ZN7rocprim17ROCPRIM_400000_NS6detail17trampoline_kernelINS0_14default_configENS1_38merge_sort_block_merge_config_selectorIslEEZZNS1_27merge_sort_block_merge_implIS3_PsN6thrust23THRUST_200600_302600_NS10device_ptrIlEEjNS1_19radix_merge_compareILb0ELb0EsNS0_19identity_decomposerEEEEE10hipError_tT0_T1_T2_jT3_P12ihipStream_tbPNSt15iterator_traitsISG_E10value_typeEPNSM_ISH_E10value_typeEPSI_NS1_7vsmem_tEENKUlT_SG_SH_SI_E_clIS7_S7_SB_PlEESF_SV_SG_SH_SI_EUlSV_E_NS1_11comp_targetILNS1_3genE9ELNS1_11target_archE1100ELNS1_3gpuE3ELNS1_3repE0EEENS1_48merge_mergepath_partition_config_static_selectorELNS0_4arch9wavefront6targetE1EEEvSH_: ; @_ZN7rocprim17ROCPRIM_400000_NS6detail17trampoline_kernelINS0_14default_configENS1_38merge_sort_block_merge_config_selectorIslEEZZNS1_27merge_sort_block_merge_implIS3_PsN6thrust23THRUST_200600_302600_NS10device_ptrIlEEjNS1_19radix_merge_compareILb0ELb0EsNS0_19identity_decomposerEEEEE10hipError_tT0_T1_T2_jT3_P12ihipStream_tbPNSt15iterator_traitsISG_E10value_typeEPNSM_ISH_E10value_typeEPSI_NS1_7vsmem_tEENKUlT_SG_SH_SI_E_clIS7_S7_SB_PlEESF_SV_SG_SH_SI_EUlSV_E_NS1_11comp_targetILNS1_3genE9ELNS1_11target_archE1100ELNS1_3gpuE3ELNS1_3repE0EEENS1_48merge_mergepath_partition_config_static_selectorELNS0_4arch9wavefront6targetE1EEEvSH_
; %bb.0:
	.section	.rodata,"a",@progbits
	.p2align	6, 0x0
	.amdhsa_kernel _ZN7rocprim17ROCPRIM_400000_NS6detail17trampoline_kernelINS0_14default_configENS1_38merge_sort_block_merge_config_selectorIslEEZZNS1_27merge_sort_block_merge_implIS3_PsN6thrust23THRUST_200600_302600_NS10device_ptrIlEEjNS1_19radix_merge_compareILb0ELb0EsNS0_19identity_decomposerEEEEE10hipError_tT0_T1_T2_jT3_P12ihipStream_tbPNSt15iterator_traitsISG_E10value_typeEPNSM_ISH_E10value_typeEPSI_NS1_7vsmem_tEENKUlT_SG_SH_SI_E_clIS7_S7_SB_PlEESF_SV_SG_SH_SI_EUlSV_E_NS1_11comp_targetILNS1_3genE9ELNS1_11target_archE1100ELNS1_3gpuE3ELNS1_3repE0EEENS1_48merge_mergepath_partition_config_static_selectorELNS0_4arch9wavefront6targetE1EEEvSH_
		.amdhsa_group_segment_fixed_size 0
		.amdhsa_private_segment_fixed_size 0
		.amdhsa_kernarg_size 40
		.amdhsa_user_sgpr_count 6
		.amdhsa_user_sgpr_private_segment_buffer 1
		.amdhsa_user_sgpr_dispatch_ptr 0
		.amdhsa_user_sgpr_queue_ptr 0
		.amdhsa_user_sgpr_kernarg_segment_ptr 1
		.amdhsa_user_sgpr_dispatch_id 0
		.amdhsa_user_sgpr_flat_scratch_init 0
		.amdhsa_user_sgpr_kernarg_preload_length 0
		.amdhsa_user_sgpr_kernarg_preload_offset 0
		.amdhsa_user_sgpr_private_segment_size 0
		.amdhsa_uses_dynamic_stack 0
		.amdhsa_system_sgpr_private_segment_wavefront_offset 0
		.amdhsa_system_sgpr_workgroup_id_x 1
		.amdhsa_system_sgpr_workgroup_id_y 0
		.amdhsa_system_sgpr_workgroup_id_z 0
		.amdhsa_system_sgpr_workgroup_info 0
		.amdhsa_system_vgpr_workitem_id 0
		.amdhsa_next_free_vgpr 1
		.amdhsa_next_free_sgpr 0
		.amdhsa_accum_offset 4
		.amdhsa_reserve_vcc 0
		.amdhsa_reserve_flat_scratch 0
		.amdhsa_float_round_mode_32 0
		.amdhsa_float_round_mode_16_64 0
		.amdhsa_float_denorm_mode_32 3
		.amdhsa_float_denorm_mode_16_64 3
		.amdhsa_dx10_clamp 1
		.amdhsa_ieee_mode 1
		.amdhsa_fp16_overflow 0
		.amdhsa_tg_split 0
		.amdhsa_exception_fp_ieee_invalid_op 0
		.amdhsa_exception_fp_denorm_src 0
		.amdhsa_exception_fp_ieee_div_zero 0
		.amdhsa_exception_fp_ieee_overflow 0
		.amdhsa_exception_fp_ieee_underflow 0
		.amdhsa_exception_fp_ieee_inexact 0
		.amdhsa_exception_int_div_zero 0
	.end_amdhsa_kernel
	.section	.text._ZN7rocprim17ROCPRIM_400000_NS6detail17trampoline_kernelINS0_14default_configENS1_38merge_sort_block_merge_config_selectorIslEEZZNS1_27merge_sort_block_merge_implIS3_PsN6thrust23THRUST_200600_302600_NS10device_ptrIlEEjNS1_19radix_merge_compareILb0ELb0EsNS0_19identity_decomposerEEEEE10hipError_tT0_T1_T2_jT3_P12ihipStream_tbPNSt15iterator_traitsISG_E10value_typeEPNSM_ISH_E10value_typeEPSI_NS1_7vsmem_tEENKUlT_SG_SH_SI_E_clIS7_S7_SB_PlEESF_SV_SG_SH_SI_EUlSV_E_NS1_11comp_targetILNS1_3genE9ELNS1_11target_archE1100ELNS1_3gpuE3ELNS1_3repE0EEENS1_48merge_mergepath_partition_config_static_selectorELNS0_4arch9wavefront6targetE1EEEvSH_,"axG",@progbits,_ZN7rocprim17ROCPRIM_400000_NS6detail17trampoline_kernelINS0_14default_configENS1_38merge_sort_block_merge_config_selectorIslEEZZNS1_27merge_sort_block_merge_implIS3_PsN6thrust23THRUST_200600_302600_NS10device_ptrIlEEjNS1_19radix_merge_compareILb0ELb0EsNS0_19identity_decomposerEEEEE10hipError_tT0_T1_T2_jT3_P12ihipStream_tbPNSt15iterator_traitsISG_E10value_typeEPNSM_ISH_E10value_typeEPSI_NS1_7vsmem_tEENKUlT_SG_SH_SI_E_clIS7_S7_SB_PlEESF_SV_SG_SH_SI_EUlSV_E_NS1_11comp_targetILNS1_3genE9ELNS1_11target_archE1100ELNS1_3gpuE3ELNS1_3repE0EEENS1_48merge_mergepath_partition_config_static_selectorELNS0_4arch9wavefront6targetE1EEEvSH_,comdat
.Lfunc_end1306:
	.size	_ZN7rocprim17ROCPRIM_400000_NS6detail17trampoline_kernelINS0_14default_configENS1_38merge_sort_block_merge_config_selectorIslEEZZNS1_27merge_sort_block_merge_implIS3_PsN6thrust23THRUST_200600_302600_NS10device_ptrIlEEjNS1_19radix_merge_compareILb0ELb0EsNS0_19identity_decomposerEEEEE10hipError_tT0_T1_T2_jT3_P12ihipStream_tbPNSt15iterator_traitsISG_E10value_typeEPNSM_ISH_E10value_typeEPSI_NS1_7vsmem_tEENKUlT_SG_SH_SI_E_clIS7_S7_SB_PlEESF_SV_SG_SH_SI_EUlSV_E_NS1_11comp_targetILNS1_3genE9ELNS1_11target_archE1100ELNS1_3gpuE3ELNS1_3repE0EEENS1_48merge_mergepath_partition_config_static_selectorELNS0_4arch9wavefront6targetE1EEEvSH_, .Lfunc_end1306-_ZN7rocprim17ROCPRIM_400000_NS6detail17trampoline_kernelINS0_14default_configENS1_38merge_sort_block_merge_config_selectorIslEEZZNS1_27merge_sort_block_merge_implIS3_PsN6thrust23THRUST_200600_302600_NS10device_ptrIlEEjNS1_19radix_merge_compareILb0ELb0EsNS0_19identity_decomposerEEEEE10hipError_tT0_T1_T2_jT3_P12ihipStream_tbPNSt15iterator_traitsISG_E10value_typeEPNSM_ISH_E10value_typeEPSI_NS1_7vsmem_tEENKUlT_SG_SH_SI_E_clIS7_S7_SB_PlEESF_SV_SG_SH_SI_EUlSV_E_NS1_11comp_targetILNS1_3genE9ELNS1_11target_archE1100ELNS1_3gpuE3ELNS1_3repE0EEENS1_48merge_mergepath_partition_config_static_selectorELNS0_4arch9wavefront6targetE1EEEvSH_
                                        ; -- End function
	.section	.AMDGPU.csdata,"",@progbits
; Kernel info:
; codeLenInByte = 0
; NumSgprs: 4
; NumVgprs: 0
; NumAgprs: 0
; TotalNumVgprs: 0
; ScratchSize: 0
; MemoryBound: 0
; FloatMode: 240
; IeeeMode: 1
; LDSByteSize: 0 bytes/workgroup (compile time only)
; SGPRBlocks: 0
; VGPRBlocks: 0
; NumSGPRsForWavesPerEU: 4
; NumVGPRsForWavesPerEU: 1
; AccumOffset: 4
; Occupancy: 8
; WaveLimiterHint : 0
; COMPUTE_PGM_RSRC2:SCRATCH_EN: 0
; COMPUTE_PGM_RSRC2:USER_SGPR: 6
; COMPUTE_PGM_RSRC2:TRAP_HANDLER: 0
; COMPUTE_PGM_RSRC2:TGID_X_EN: 1
; COMPUTE_PGM_RSRC2:TGID_Y_EN: 0
; COMPUTE_PGM_RSRC2:TGID_Z_EN: 0
; COMPUTE_PGM_RSRC2:TIDIG_COMP_CNT: 0
; COMPUTE_PGM_RSRC3_GFX90A:ACCUM_OFFSET: 0
; COMPUTE_PGM_RSRC3_GFX90A:TG_SPLIT: 0
	.section	.text._ZN7rocprim17ROCPRIM_400000_NS6detail17trampoline_kernelINS0_14default_configENS1_38merge_sort_block_merge_config_selectorIslEEZZNS1_27merge_sort_block_merge_implIS3_PsN6thrust23THRUST_200600_302600_NS10device_ptrIlEEjNS1_19radix_merge_compareILb0ELb0EsNS0_19identity_decomposerEEEEE10hipError_tT0_T1_T2_jT3_P12ihipStream_tbPNSt15iterator_traitsISG_E10value_typeEPNSM_ISH_E10value_typeEPSI_NS1_7vsmem_tEENKUlT_SG_SH_SI_E_clIS7_S7_SB_PlEESF_SV_SG_SH_SI_EUlSV_E_NS1_11comp_targetILNS1_3genE8ELNS1_11target_archE1030ELNS1_3gpuE2ELNS1_3repE0EEENS1_48merge_mergepath_partition_config_static_selectorELNS0_4arch9wavefront6targetE1EEEvSH_,"axG",@progbits,_ZN7rocprim17ROCPRIM_400000_NS6detail17trampoline_kernelINS0_14default_configENS1_38merge_sort_block_merge_config_selectorIslEEZZNS1_27merge_sort_block_merge_implIS3_PsN6thrust23THRUST_200600_302600_NS10device_ptrIlEEjNS1_19radix_merge_compareILb0ELb0EsNS0_19identity_decomposerEEEEE10hipError_tT0_T1_T2_jT3_P12ihipStream_tbPNSt15iterator_traitsISG_E10value_typeEPNSM_ISH_E10value_typeEPSI_NS1_7vsmem_tEENKUlT_SG_SH_SI_E_clIS7_S7_SB_PlEESF_SV_SG_SH_SI_EUlSV_E_NS1_11comp_targetILNS1_3genE8ELNS1_11target_archE1030ELNS1_3gpuE2ELNS1_3repE0EEENS1_48merge_mergepath_partition_config_static_selectorELNS0_4arch9wavefront6targetE1EEEvSH_,comdat
	.protected	_ZN7rocprim17ROCPRIM_400000_NS6detail17trampoline_kernelINS0_14default_configENS1_38merge_sort_block_merge_config_selectorIslEEZZNS1_27merge_sort_block_merge_implIS3_PsN6thrust23THRUST_200600_302600_NS10device_ptrIlEEjNS1_19radix_merge_compareILb0ELb0EsNS0_19identity_decomposerEEEEE10hipError_tT0_T1_T2_jT3_P12ihipStream_tbPNSt15iterator_traitsISG_E10value_typeEPNSM_ISH_E10value_typeEPSI_NS1_7vsmem_tEENKUlT_SG_SH_SI_E_clIS7_S7_SB_PlEESF_SV_SG_SH_SI_EUlSV_E_NS1_11comp_targetILNS1_3genE8ELNS1_11target_archE1030ELNS1_3gpuE2ELNS1_3repE0EEENS1_48merge_mergepath_partition_config_static_selectorELNS0_4arch9wavefront6targetE1EEEvSH_ ; -- Begin function _ZN7rocprim17ROCPRIM_400000_NS6detail17trampoline_kernelINS0_14default_configENS1_38merge_sort_block_merge_config_selectorIslEEZZNS1_27merge_sort_block_merge_implIS3_PsN6thrust23THRUST_200600_302600_NS10device_ptrIlEEjNS1_19radix_merge_compareILb0ELb0EsNS0_19identity_decomposerEEEEE10hipError_tT0_T1_T2_jT3_P12ihipStream_tbPNSt15iterator_traitsISG_E10value_typeEPNSM_ISH_E10value_typeEPSI_NS1_7vsmem_tEENKUlT_SG_SH_SI_E_clIS7_S7_SB_PlEESF_SV_SG_SH_SI_EUlSV_E_NS1_11comp_targetILNS1_3genE8ELNS1_11target_archE1030ELNS1_3gpuE2ELNS1_3repE0EEENS1_48merge_mergepath_partition_config_static_selectorELNS0_4arch9wavefront6targetE1EEEvSH_
	.globl	_ZN7rocprim17ROCPRIM_400000_NS6detail17trampoline_kernelINS0_14default_configENS1_38merge_sort_block_merge_config_selectorIslEEZZNS1_27merge_sort_block_merge_implIS3_PsN6thrust23THRUST_200600_302600_NS10device_ptrIlEEjNS1_19radix_merge_compareILb0ELb0EsNS0_19identity_decomposerEEEEE10hipError_tT0_T1_T2_jT3_P12ihipStream_tbPNSt15iterator_traitsISG_E10value_typeEPNSM_ISH_E10value_typeEPSI_NS1_7vsmem_tEENKUlT_SG_SH_SI_E_clIS7_S7_SB_PlEESF_SV_SG_SH_SI_EUlSV_E_NS1_11comp_targetILNS1_3genE8ELNS1_11target_archE1030ELNS1_3gpuE2ELNS1_3repE0EEENS1_48merge_mergepath_partition_config_static_selectorELNS0_4arch9wavefront6targetE1EEEvSH_
	.p2align	8
	.type	_ZN7rocprim17ROCPRIM_400000_NS6detail17trampoline_kernelINS0_14default_configENS1_38merge_sort_block_merge_config_selectorIslEEZZNS1_27merge_sort_block_merge_implIS3_PsN6thrust23THRUST_200600_302600_NS10device_ptrIlEEjNS1_19radix_merge_compareILb0ELb0EsNS0_19identity_decomposerEEEEE10hipError_tT0_T1_T2_jT3_P12ihipStream_tbPNSt15iterator_traitsISG_E10value_typeEPNSM_ISH_E10value_typeEPSI_NS1_7vsmem_tEENKUlT_SG_SH_SI_E_clIS7_S7_SB_PlEESF_SV_SG_SH_SI_EUlSV_E_NS1_11comp_targetILNS1_3genE8ELNS1_11target_archE1030ELNS1_3gpuE2ELNS1_3repE0EEENS1_48merge_mergepath_partition_config_static_selectorELNS0_4arch9wavefront6targetE1EEEvSH_,@function
_ZN7rocprim17ROCPRIM_400000_NS6detail17trampoline_kernelINS0_14default_configENS1_38merge_sort_block_merge_config_selectorIslEEZZNS1_27merge_sort_block_merge_implIS3_PsN6thrust23THRUST_200600_302600_NS10device_ptrIlEEjNS1_19radix_merge_compareILb0ELb0EsNS0_19identity_decomposerEEEEE10hipError_tT0_T1_T2_jT3_P12ihipStream_tbPNSt15iterator_traitsISG_E10value_typeEPNSM_ISH_E10value_typeEPSI_NS1_7vsmem_tEENKUlT_SG_SH_SI_E_clIS7_S7_SB_PlEESF_SV_SG_SH_SI_EUlSV_E_NS1_11comp_targetILNS1_3genE8ELNS1_11target_archE1030ELNS1_3gpuE2ELNS1_3repE0EEENS1_48merge_mergepath_partition_config_static_selectorELNS0_4arch9wavefront6targetE1EEEvSH_: ; @_ZN7rocprim17ROCPRIM_400000_NS6detail17trampoline_kernelINS0_14default_configENS1_38merge_sort_block_merge_config_selectorIslEEZZNS1_27merge_sort_block_merge_implIS3_PsN6thrust23THRUST_200600_302600_NS10device_ptrIlEEjNS1_19radix_merge_compareILb0ELb0EsNS0_19identity_decomposerEEEEE10hipError_tT0_T1_T2_jT3_P12ihipStream_tbPNSt15iterator_traitsISG_E10value_typeEPNSM_ISH_E10value_typeEPSI_NS1_7vsmem_tEENKUlT_SG_SH_SI_E_clIS7_S7_SB_PlEESF_SV_SG_SH_SI_EUlSV_E_NS1_11comp_targetILNS1_3genE8ELNS1_11target_archE1030ELNS1_3gpuE2ELNS1_3repE0EEENS1_48merge_mergepath_partition_config_static_selectorELNS0_4arch9wavefront6targetE1EEEvSH_
; %bb.0:
	.section	.rodata,"a",@progbits
	.p2align	6, 0x0
	.amdhsa_kernel _ZN7rocprim17ROCPRIM_400000_NS6detail17trampoline_kernelINS0_14default_configENS1_38merge_sort_block_merge_config_selectorIslEEZZNS1_27merge_sort_block_merge_implIS3_PsN6thrust23THRUST_200600_302600_NS10device_ptrIlEEjNS1_19radix_merge_compareILb0ELb0EsNS0_19identity_decomposerEEEEE10hipError_tT0_T1_T2_jT3_P12ihipStream_tbPNSt15iterator_traitsISG_E10value_typeEPNSM_ISH_E10value_typeEPSI_NS1_7vsmem_tEENKUlT_SG_SH_SI_E_clIS7_S7_SB_PlEESF_SV_SG_SH_SI_EUlSV_E_NS1_11comp_targetILNS1_3genE8ELNS1_11target_archE1030ELNS1_3gpuE2ELNS1_3repE0EEENS1_48merge_mergepath_partition_config_static_selectorELNS0_4arch9wavefront6targetE1EEEvSH_
		.amdhsa_group_segment_fixed_size 0
		.amdhsa_private_segment_fixed_size 0
		.amdhsa_kernarg_size 40
		.amdhsa_user_sgpr_count 6
		.amdhsa_user_sgpr_private_segment_buffer 1
		.amdhsa_user_sgpr_dispatch_ptr 0
		.amdhsa_user_sgpr_queue_ptr 0
		.amdhsa_user_sgpr_kernarg_segment_ptr 1
		.amdhsa_user_sgpr_dispatch_id 0
		.amdhsa_user_sgpr_flat_scratch_init 0
		.amdhsa_user_sgpr_kernarg_preload_length 0
		.amdhsa_user_sgpr_kernarg_preload_offset 0
		.amdhsa_user_sgpr_private_segment_size 0
		.amdhsa_uses_dynamic_stack 0
		.amdhsa_system_sgpr_private_segment_wavefront_offset 0
		.amdhsa_system_sgpr_workgroup_id_x 1
		.amdhsa_system_sgpr_workgroup_id_y 0
		.amdhsa_system_sgpr_workgroup_id_z 0
		.amdhsa_system_sgpr_workgroup_info 0
		.amdhsa_system_vgpr_workitem_id 0
		.amdhsa_next_free_vgpr 1
		.amdhsa_next_free_sgpr 0
		.amdhsa_accum_offset 4
		.amdhsa_reserve_vcc 0
		.amdhsa_reserve_flat_scratch 0
		.amdhsa_float_round_mode_32 0
		.amdhsa_float_round_mode_16_64 0
		.amdhsa_float_denorm_mode_32 3
		.amdhsa_float_denorm_mode_16_64 3
		.amdhsa_dx10_clamp 1
		.amdhsa_ieee_mode 1
		.amdhsa_fp16_overflow 0
		.amdhsa_tg_split 0
		.amdhsa_exception_fp_ieee_invalid_op 0
		.amdhsa_exception_fp_denorm_src 0
		.amdhsa_exception_fp_ieee_div_zero 0
		.amdhsa_exception_fp_ieee_overflow 0
		.amdhsa_exception_fp_ieee_underflow 0
		.amdhsa_exception_fp_ieee_inexact 0
		.amdhsa_exception_int_div_zero 0
	.end_amdhsa_kernel
	.section	.text._ZN7rocprim17ROCPRIM_400000_NS6detail17trampoline_kernelINS0_14default_configENS1_38merge_sort_block_merge_config_selectorIslEEZZNS1_27merge_sort_block_merge_implIS3_PsN6thrust23THRUST_200600_302600_NS10device_ptrIlEEjNS1_19radix_merge_compareILb0ELb0EsNS0_19identity_decomposerEEEEE10hipError_tT0_T1_T2_jT3_P12ihipStream_tbPNSt15iterator_traitsISG_E10value_typeEPNSM_ISH_E10value_typeEPSI_NS1_7vsmem_tEENKUlT_SG_SH_SI_E_clIS7_S7_SB_PlEESF_SV_SG_SH_SI_EUlSV_E_NS1_11comp_targetILNS1_3genE8ELNS1_11target_archE1030ELNS1_3gpuE2ELNS1_3repE0EEENS1_48merge_mergepath_partition_config_static_selectorELNS0_4arch9wavefront6targetE1EEEvSH_,"axG",@progbits,_ZN7rocprim17ROCPRIM_400000_NS6detail17trampoline_kernelINS0_14default_configENS1_38merge_sort_block_merge_config_selectorIslEEZZNS1_27merge_sort_block_merge_implIS3_PsN6thrust23THRUST_200600_302600_NS10device_ptrIlEEjNS1_19radix_merge_compareILb0ELb0EsNS0_19identity_decomposerEEEEE10hipError_tT0_T1_T2_jT3_P12ihipStream_tbPNSt15iterator_traitsISG_E10value_typeEPNSM_ISH_E10value_typeEPSI_NS1_7vsmem_tEENKUlT_SG_SH_SI_E_clIS7_S7_SB_PlEESF_SV_SG_SH_SI_EUlSV_E_NS1_11comp_targetILNS1_3genE8ELNS1_11target_archE1030ELNS1_3gpuE2ELNS1_3repE0EEENS1_48merge_mergepath_partition_config_static_selectorELNS0_4arch9wavefront6targetE1EEEvSH_,comdat
.Lfunc_end1307:
	.size	_ZN7rocprim17ROCPRIM_400000_NS6detail17trampoline_kernelINS0_14default_configENS1_38merge_sort_block_merge_config_selectorIslEEZZNS1_27merge_sort_block_merge_implIS3_PsN6thrust23THRUST_200600_302600_NS10device_ptrIlEEjNS1_19radix_merge_compareILb0ELb0EsNS0_19identity_decomposerEEEEE10hipError_tT0_T1_T2_jT3_P12ihipStream_tbPNSt15iterator_traitsISG_E10value_typeEPNSM_ISH_E10value_typeEPSI_NS1_7vsmem_tEENKUlT_SG_SH_SI_E_clIS7_S7_SB_PlEESF_SV_SG_SH_SI_EUlSV_E_NS1_11comp_targetILNS1_3genE8ELNS1_11target_archE1030ELNS1_3gpuE2ELNS1_3repE0EEENS1_48merge_mergepath_partition_config_static_selectorELNS0_4arch9wavefront6targetE1EEEvSH_, .Lfunc_end1307-_ZN7rocprim17ROCPRIM_400000_NS6detail17trampoline_kernelINS0_14default_configENS1_38merge_sort_block_merge_config_selectorIslEEZZNS1_27merge_sort_block_merge_implIS3_PsN6thrust23THRUST_200600_302600_NS10device_ptrIlEEjNS1_19radix_merge_compareILb0ELb0EsNS0_19identity_decomposerEEEEE10hipError_tT0_T1_T2_jT3_P12ihipStream_tbPNSt15iterator_traitsISG_E10value_typeEPNSM_ISH_E10value_typeEPSI_NS1_7vsmem_tEENKUlT_SG_SH_SI_E_clIS7_S7_SB_PlEESF_SV_SG_SH_SI_EUlSV_E_NS1_11comp_targetILNS1_3genE8ELNS1_11target_archE1030ELNS1_3gpuE2ELNS1_3repE0EEENS1_48merge_mergepath_partition_config_static_selectorELNS0_4arch9wavefront6targetE1EEEvSH_
                                        ; -- End function
	.section	.AMDGPU.csdata,"",@progbits
; Kernel info:
; codeLenInByte = 0
; NumSgprs: 4
; NumVgprs: 0
; NumAgprs: 0
; TotalNumVgprs: 0
; ScratchSize: 0
; MemoryBound: 0
; FloatMode: 240
; IeeeMode: 1
; LDSByteSize: 0 bytes/workgroup (compile time only)
; SGPRBlocks: 0
; VGPRBlocks: 0
; NumSGPRsForWavesPerEU: 4
; NumVGPRsForWavesPerEU: 1
; AccumOffset: 4
; Occupancy: 8
; WaveLimiterHint : 0
; COMPUTE_PGM_RSRC2:SCRATCH_EN: 0
; COMPUTE_PGM_RSRC2:USER_SGPR: 6
; COMPUTE_PGM_RSRC2:TRAP_HANDLER: 0
; COMPUTE_PGM_RSRC2:TGID_X_EN: 1
; COMPUTE_PGM_RSRC2:TGID_Y_EN: 0
; COMPUTE_PGM_RSRC2:TGID_Z_EN: 0
; COMPUTE_PGM_RSRC2:TIDIG_COMP_CNT: 0
; COMPUTE_PGM_RSRC3_GFX90A:ACCUM_OFFSET: 0
; COMPUTE_PGM_RSRC3_GFX90A:TG_SPLIT: 0
	.section	.text._ZN7rocprim17ROCPRIM_400000_NS6detail17trampoline_kernelINS0_14default_configENS1_38merge_sort_block_merge_config_selectorIslEEZZNS1_27merge_sort_block_merge_implIS3_PsN6thrust23THRUST_200600_302600_NS10device_ptrIlEEjNS1_19radix_merge_compareILb0ELb0EsNS0_19identity_decomposerEEEEE10hipError_tT0_T1_T2_jT3_P12ihipStream_tbPNSt15iterator_traitsISG_E10value_typeEPNSM_ISH_E10value_typeEPSI_NS1_7vsmem_tEENKUlT_SG_SH_SI_E_clIS7_S7_SB_PlEESF_SV_SG_SH_SI_EUlSV_E0_NS1_11comp_targetILNS1_3genE0ELNS1_11target_archE4294967295ELNS1_3gpuE0ELNS1_3repE0EEENS1_38merge_mergepath_config_static_selectorELNS0_4arch9wavefront6targetE1EEEvSH_,"axG",@progbits,_ZN7rocprim17ROCPRIM_400000_NS6detail17trampoline_kernelINS0_14default_configENS1_38merge_sort_block_merge_config_selectorIslEEZZNS1_27merge_sort_block_merge_implIS3_PsN6thrust23THRUST_200600_302600_NS10device_ptrIlEEjNS1_19radix_merge_compareILb0ELb0EsNS0_19identity_decomposerEEEEE10hipError_tT0_T1_T2_jT3_P12ihipStream_tbPNSt15iterator_traitsISG_E10value_typeEPNSM_ISH_E10value_typeEPSI_NS1_7vsmem_tEENKUlT_SG_SH_SI_E_clIS7_S7_SB_PlEESF_SV_SG_SH_SI_EUlSV_E0_NS1_11comp_targetILNS1_3genE0ELNS1_11target_archE4294967295ELNS1_3gpuE0ELNS1_3repE0EEENS1_38merge_mergepath_config_static_selectorELNS0_4arch9wavefront6targetE1EEEvSH_,comdat
	.protected	_ZN7rocprim17ROCPRIM_400000_NS6detail17trampoline_kernelINS0_14default_configENS1_38merge_sort_block_merge_config_selectorIslEEZZNS1_27merge_sort_block_merge_implIS3_PsN6thrust23THRUST_200600_302600_NS10device_ptrIlEEjNS1_19radix_merge_compareILb0ELb0EsNS0_19identity_decomposerEEEEE10hipError_tT0_T1_T2_jT3_P12ihipStream_tbPNSt15iterator_traitsISG_E10value_typeEPNSM_ISH_E10value_typeEPSI_NS1_7vsmem_tEENKUlT_SG_SH_SI_E_clIS7_S7_SB_PlEESF_SV_SG_SH_SI_EUlSV_E0_NS1_11comp_targetILNS1_3genE0ELNS1_11target_archE4294967295ELNS1_3gpuE0ELNS1_3repE0EEENS1_38merge_mergepath_config_static_selectorELNS0_4arch9wavefront6targetE1EEEvSH_ ; -- Begin function _ZN7rocprim17ROCPRIM_400000_NS6detail17trampoline_kernelINS0_14default_configENS1_38merge_sort_block_merge_config_selectorIslEEZZNS1_27merge_sort_block_merge_implIS3_PsN6thrust23THRUST_200600_302600_NS10device_ptrIlEEjNS1_19radix_merge_compareILb0ELb0EsNS0_19identity_decomposerEEEEE10hipError_tT0_T1_T2_jT3_P12ihipStream_tbPNSt15iterator_traitsISG_E10value_typeEPNSM_ISH_E10value_typeEPSI_NS1_7vsmem_tEENKUlT_SG_SH_SI_E_clIS7_S7_SB_PlEESF_SV_SG_SH_SI_EUlSV_E0_NS1_11comp_targetILNS1_3genE0ELNS1_11target_archE4294967295ELNS1_3gpuE0ELNS1_3repE0EEENS1_38merge_mergepath_config_static_selectorELNS0_4arch9wavefront6targetE1EEEvSH_
	.globl	_ZN7rocprim17ROCPRIM_400000_NS6detail17trampoline_kernelINS0_14default_configENS1_38merge_sort_block_merge_config_selectorIslEEZZNS1_27merge_sort_block_merge_implIS3_PsN6thrust23THRUST_200600_302600_NS10device_ptrIlEEjNS1_19radix_merge_compareILb0ELb0EsNS0_19identity_decomposerEEEEE10hipError_tT0_T1_T2_jT3_P12ihipStream_tbPNSt15iterator_traitsISG_E10value_typeEPNSM_ISH_E10value_typeEPSI_NS1_7vsmem_tEENKUlT_SG_SH_SI_E_clIS7_S7_SB_PlEESF_SV_SG_SH_SI_EUlSV_E0_NS1_11comp_targetILNS1_3genE0ELNS1_11target_archE4294967295ELNS1_3gpuE0ELNS1_3repE0EEENS1_38merge_mergepath_config_static_selectorELNS0_4arch9wavefront6targetE1EEEvSH_
	.p2align	8
	.type	_ZN7rocprim17ROCPRIM_400000_NS6detail17trampoline_kernelINS0_14default_configENS1_38merge_sort_block_merge_config_selectorIslEEZZNS1_27merge_sort_block_merge_implIS3_PsN6thrust23THRUST_200600_302600_NS10device_ptrIlEEjNS1_19radix_merge_compareILb0ELb0EsNS0_19identity_decomposerEEEEE10hipError_tT0_T1_T2_jT3_P12ihipStream_tbPNSt15iterator_traitsISG_E10value_typeEPNSM_ISH_E10value_typeEPSI_NS1_7vsmem_tEENKUlT_SG_SH_SI_E_clIS7_S7_SB_PlEESF_SV_SG_SH_SI_EUlSV_E0_NS1_11comp_targetILNS1_3genE0ELNS1_11target_archE4294967295ELNS1_3gpuE0ELNS1_3repE0EEENS1_38merge_mergepath_config_static_selectorELNS0_4arch9wavefront6targetE1EEEvSH_,@function
_ZN7rocprim17ROCPRIM_400000_NS6detail17trampoline_kernelINS0_14default_configENS1_38merge_sort_block_merge_config_selectorIslEEZZNS1_27merge_sort_block_merge_implIS3_PsN6thrust23THRUST_200600_302600_NS10device_ptrIlEEjNS1_19radix_merge_compareILb0ELb0EsNS0_19identity_decomposerEEEEE10hipError_tT0_T1_T2_jT3_P12ihipStream_tbPNSt15iterator_traitsISG_E10value_typeEPNSM_ISH_E10value_typeEPSI_NS1_7vsmem_tEENKUlT_SG_SH_SI_E_clIS7_S7_SB_PlEESF_SV_SG_SH_SI_EUlSV_E0_NS1_11comp_targetILNS1_3genE0ELNS1_11target_archE4294967295ELNS1_3gpuE0ELNS1_3repE0EEENS1_38merge_mergepath_config_static_selectorELNS0_4arch9wavefront6targetE1EEEvSH_: ; @_ZN7rocprim17ROCPRIM_400000_NS6detail17trampoline_kernelINS0_14default_configENS1_38merge_sort_block_merge_config_selectorIslEEZZNS1_27merge_sort_block_merge_implIS3_PsN6thrust23THRUST_200600_302600_NS10device_ptrIlEEjNS1_19radix_merge_compareILb0ELb0EsNS0_19identity_decomposerEEEEE10hipError_tT0_T1_T2_jT3_P12ihipStream_tbPNSt15iterator_traitsISG_E10value_typeEPNSM_ISH_E10value_typeEPSI_NS1_7vsmem_tEENKUlT_SG_SH_SI_E_clIS7_S7_SB_PlEESF_SV_SG_SH_SI_EUlSV_E0_NS1_11comp_targetILNS1_3genE0ELNS1_11target_archE4294967295ELNS1_3gpuE0ELNS1_3repE0EEENS1_38merge_mergepath_config_static_selectorELNS0_4arch9wavefront6targetE1EEEvSH_
; %bb.0:
	.section	.rodata,"a",@progbits
	.p2align	6, 0x0
	.amdhsa_kernel _ZN7rocprim17ROCPRIM_400000_NS6detail17trampoline_kernelINS0_14default_configENS1_38merge_sort_block_merge_config_selectorIslEEZZNS1_27merge_sort_block_merge_implIS3_PsN6thrust23THRUST_200600_302600_NS10device_ptrIlEEjNS1_19radix_merge_compareILb0ELb0EsNS0_19identity_decomposerEEEEE10hipError_tT0_T1_T2_jT3_P12ihipStream_tbPNSt15iterator_traitsISG_E10value_typeEPNSM_ISH_E10value_typeEPSI_NS1_7vsmem_tEENKUlT_SG_SH_SI_E_clIS7_S7_SB_PlEESF_SV_SG_SH_SI_EUlSV_E0_NS1_11comp_targetILNS1_3genE0ELNS1_11target_archE4294967295ELNS1_3gpuE0ELNS1_3repE0EEENS1_38merge_mergepath_config_static_selectorELNS0_4arch9wavefront6targetE1EEEvSH_
		.amdhsa_group_segment_fixed_size 0
		.amdhsa_private_segment_fixed_size 0
		.amdhsa_kernarg_size 64
		.amdhsa_user_sgpr_count 6
		.amdhsa_user_sgpr_private_segment_buffer 1
		.amdhsa_user_sgpr_dispatch_ptr 0
		.amdhsa_user_sgpr_queue_ptr 0
		.amdhsa_user_sgpr_kernarg_segment_ptr 1
		.amdhsa_user_sgpr_dispatch_id 0
		.amdhsa_user_sgpr_flat_scratch_init 0
		.amdhsa_user_sgpr_kernarg_preload_length 0
		.amdhsa_user_sgpr_kernarg_preload_offset 0
		.amdhsa_user_sgpr_private_segment_size 0
		.amdhsa_uses_dynamic_stack 0
		.amdhsa_system_sgpr_private_segment_wavefront_offset 0
		.amdhsa_system_sgpr_workgroup_id_x 1
		.amdhsa_system_sgpr_workgroup_id_y 0
		.amdhsa_system_sgpr_workgroup_id_z 0
		.amdhsa_system_sgpr_workgroup_info 0
		.amdhsa_system_vgpr_workitem_id 0
		.amdhsa_next_free_vgpr 1
		.amdhsa_next_free_sgpr 0
		.amdhsa_accum_offset 4
		.amdhsa_reserve_vcc 0
		.amdhsa_reserve_flat_scratch 0
		.amdhsa_float_round_mode_32 0
		.amdhsa_float_round_mode_16_64 0
		.amdhsa_float_denorm_mode_32 3
		.amdhsa_float_denorm_mode_16_64 3
		.amdhsa_dx10_clamp 1
		.amdhsa_ieee_mode 1
		.amdhsa_fp16_overflow 0
		.amdhsa_tg_split 0
		.amdhsa_exception_fp_ieee_invalid_op 0
		.amdhsa_exception_fp_denorm_src 0
		.amdhsa_exception_fp_ieee_div_zero 0
		.amdhsa_exception_fp_ieee_overflow 0
		.amdhsa_exception_fp_ieee_underflow 0
		.amdhsa_exception_fp_ieee_inexact 0
		.amdhsa_exception_int_div_zero 0
	.end_amdhsa_kernel
	.section	.text._ZN7rocprim17ROCPRIM_400000_NS6detail17trampoline_kernelINS0_14default_configENS1_38merge_sort_block_merge_config_selectorIslEEZZNS1_27merge_sort_block_merge_implIS3_PsN6thrust23THRUST_200600_302600_NS10device_ptrIlEEjNS1_19radix_merge_compareILb0ELb0EsNS0_19identity_decomposerEEEEE10hipError_tT0_T1_T2_jT3_P12ihipStream_tbPNSt15iterator_traitsISG_E10value_typeEPNSM_ISH_E10value_typeEPSI_NS1_7vsmem_tEENKUlT_SG_SH_SI_E_clIS7_S7_SB_PlEESF_SV_SG_SH_SI_EUlSV_E0_NS1_11comp_targetILNS1_3genE0ELNS1_11target_archE4294967295ELNS1_3gpuE0ELNS1_3repE0EEENS1_38merge_mergepath_config_static_selectorELNS0_4arch9wavefront6targetE1EEEvSH_,"axG",@progbits,_ZN7rocprim17ROCPRIM_400000_NS6detail17trampoline_kernelINS0_14default_configENS1_38merge_sort_block_merge_config_selectorIslEEZZNS1_27merge_sort_block_merge_implIS3_PsN6thrust23THRUST_200600_302600_NS10device_ptrIlEEjNS1_19radix_merge_compareILb0ELb0EsNS0_19identity_decomposerEEEEE10hipError_tT0_T1_T2_jT3_P12ihipStream_tbPNSt15iterator_traitsISG_E10value_typeEPNSM_ISH_E10value_typeEPSI_NS1_7vsmem_tEENKUlT_SG_SH_SI_E_clIS7_S7_SB_PlEESF_SV_SG_SH_SI_EUlSV_E0_NS1_11comp_targetILNS1_3genE0ELNS1_11target_archE4294967295ELNS1_3gpuE0ELNS1_3repE0EEENS1_38merge_mergepath_config_static_selectorELNS0_4arch9wavefront6targetE1EEEvSH_,comdat
.Lfunc_end1308:
	.size	_ZN7rocprim17ROCPRIM_400000_NS6detail17trampoline_kernelINS0_14default_configENS1_38merge_sort_block_merge_config_selectorIslEEZZNS1_27merge_sort_block_merge_implIS3_PsN6thrust23THRUST_200600_302600_NS10device_ptrIlEEjNS1_19radix_merge_compareILb0ELb0EsNS0_19identity_decomposerEEEEE10hipError_tT0_T1_T2_jT3_P12ihipStream_tbPNSt15iterator_traitsISG_E10value_typeEPNSM_ISH_E10value_typeEPSI_NS1_7vsmem_tEENKUlT_SG_SH_SI_E_clIS7_S7_SB_PlEESF_SV_SG_SH_SI_EUlSV_E0_NS1_11comp_targetILNS1_3genE0ELNS1_11target_archE4294967295ELNS1_3gpuE0ELNS1_3repE0EEENS1_38merge_mergepath_config_static_selectorELNS0_4arch9wavefront6targetE1EEEvSH_, .Lfunc_end1308-_ZN7rocprim17ROCPRIM_400000_NS6detail17trampoline_kernelINS0_14default_configENS1_38merge_sort_block_merge_config_selectorIslEEZZNS1_27merge_sort_block_merge_implIS3_PsN6thrust23THRUST_200600_302600_NS10device_ptrIlEEjNS1_19radix_merge_compareILb0ELb0EsNS0_19identity_decomposerEEEEE10hipError_tT0_T1_T2_jT3_P12ihipStream_tbPNSt15iterator_traitsISG_E10value_typeEPNSM_ISH_E10value_typeEPSI_NS1_7vsmem_tEENKUlT_SG_SH_SI_E_clIS7_S7_SB_PlEESF_SV_SG_SH_SI_EUlSV_E0_NS1_11comp_targetILNS1_3genE0ELNS1_11target_archE4294967295ELNS1_3gpuE0ELNS1_3repE0EEENS1_38merge_mergepath_config_static_selectorELNS0_4arch9wavefront6targetE1EEEvSH_
                                        ; -- End function
	.section	.AMDGPU.csdata,"",@progbits
; Kernel info:
; codeLenInByte = 0
; NumSgprs: 4
; NumVgprs: 0
; NumAgprs: 0
; TotalNumVgprs: 0
; ScratchSize: 0
; MemoryBound: 0
; FloatMode: 240
; IeeeMode: 1
; LDSByteSize: 0 bytes/workgroup (compile time only)
; SGPRBlocks: 0
; VGPRBlocks: 0
; NumSGPRsForWavesPerEU: 4
; NumVGPRsForWavesPerEU: 1
; AccumOffset: 4
; Occupancy: 8
; WaveLimiterHint : 0
; COMPUTE_PGM_RSRC2:SCRATCH_EN: 0
; COMPUTE_PGM_RSRC2:USER_SGPR: 6
; COMPUTE_PGM_RSRC2:TRAP_HANDLER: 0
; COMPUTE_PGM_RSRC2:TGID_X_EN: 1
; COMPUTE_PGM_RSRC2:TGID_Y_EN: 0
; COMPUTE_PGM_RSRC2:TGID_Z_EN: 0
; COMPUTE_PGM_RSRC2:TIDIG_COMP_CNT: 0
; COMPUTE_PGM_RSRC3_GFX90A:ACCUM_OFFSET: 0
; COMPUTE_PGM_RSRC3_GFX90A:TG_SPLIT: 0
	.section	.text._ZN7rocprim17ROCPRIM_400000_NS6detail17trampoline_kernelINS0_14default_configENS1_38merge_sort_block_merge_config_selectorIslEEZZNS1_27merge_sort_block_merge_implIS3_PsN6thrust23THRUST_200600_302600_NS10device_ptrIlEEjNS1_19radix_merge_compareILb0ELb0EsNS0_19identity_decomposerEEEEE10hipError_tT0_T1_T2_jT3_P12ihipStream_tbPNSt15iterator_traitsISG_E10value_typeEPNSM_ISH_E10value_typeEPSI_NS1_7vsmem_tEENKUlT_SG_SH_SI_E_clIS7_S7_SB_PlEESF_SV_SG_SH_SI_EUlSV_E0_NS1_11comp_targetILNS1_3genE10ELNS1_11target_archE1201ELNS1_3gpuE5ELNS1_3repE0EEENS1_38merge_mergepath_config_static_selectorELNS0_4arch9wavefront6targetE1EEEvSH_,"axG",@progbits,_ZN7rocprim17ROCPRIM_400000_NS6detail17trampoline_kernelINS0_14default_configENS1_38merge_sort_block_merge_config_selectorIslEEZZNS1_27merge_sort_block_merge_implIS3_PsN6thrust23THRUST_200600_302600_NS10device_ptrIlEEjNS1_19radix_merge_compareILb0ELb0EsNS0_19identity_decomposerEEEEE10hipError_tT0_T1_T2_jT3_P12ihipStream_tbPNSt15iterator_traitsISG_E10value_typeEPNSM_ISH_E10value_typeEPSI_NS1_7vsmem_tEENKUlT_SG_SH_SI_E_clIS7_S7_SB_PlEESF_SV_SG_SH_SI_EUlSV_E0_NS1_11comp_targetILNS1_3genE10ELNS1_11target_archE1201ELNS1_3gpuE5ELNS1_3repE0EEENS1_38merge_mergepath_config_static_selectorELNS0_4arch9wavefront6targetE1EEEvSH_,comdat
	.protected	_ZN7rocprim17ROCPRIM_400000_NS6detail17trampoline_kernelINS0_14default_configENS1_38merge_sort_block_merge_config_selectorIslEEZZNS1_27merge_sort_block_merge_implIS3_PsN6thrust23THRUST_200600_302600_NS10device_ptrIlEEjNS1_19radix_merge_compareILb0ELb0EsNS0_19identity_decomposerEEEEE10hipError_tT0_T1_T2_jT3_P12ihipStream_tbPNSt15iterator_traitsISG_E10value_typeEPNSM_ISH_E10value_typeEPSI_NS1_7vsmem_tEENKUlT_SG_SH_SI_E_clIS7_S7_SB_PlEESF_SV_SG_SH_SI_EUlSV_E0_NS1_11comp_targetILNS1_3genE10ELNS1_11target_archE1201ELNS1_3gpuE5ELNS1_3repE0EEENS1_38merge_mergepath_config_static_selectorELNS0_4arch9wavefront6targetE1EEEvSH_ ; -- Begin function _ZN7rocprim17ROCPRIM_400000_NS6detail17trampoline_kernelINS0_14default_configENS1_38merge_sort_block_merge_config_selectorIslEEZZNS1_27merge_sort_block_merge_implIS3_PsN6thrust23THRUST_200600_302600_NS10device_ptrIlEEjNS1_19radix_merge_compareILb0ELb0EsNS0_19identity_decomposerEEEEE10hipError_tT0_T1_T2_jT3_P12ihipStream_tbPNSt15iterator_traitsISG_E10value_typeEPNSM_ISH_E10value_typeEPSI_NS1_7vsmem_tEENKUlT_SG_SH_SI_E_clIS7_S7_SB_PlEESF_SV_SG_SH_SI_EUlSV_E0_NS1_11comp_targetILNS1_3genE10ELNS1_11target_archE1201ELNS1_3gpuE5ELNS1_3repE0EEENS1_38merge_mergepath_config_static_selectorELNS0_4arch9wavefront6targetE1EEEvSH_
	.globl	_ZN7rocprim17ROCPRIM_400000_NS6detail17trampoline_kernelINS0_14default_configENS1_38merge_sort_block_merge_config_selectorIslEEZZNS1_27merge_sort_block_merge_implIS3_PsN6thrust23THRUST_200600_302600_NS10device_ptrIlEEjNS1_19radix_merge_compareILb0ELb0EsNS0_19identity_decomposerEEEEE10hipError_tT0_T1_T2_jT3_P12ihipStream_tbPNSt15iterator_traitsISG_E10value_typeEPNSM_ISH_E10value_typeEPSI_NS1_7vsmem_tEENKUlT_SG_SH_SI_E_clIS7_S7_SB_PlEESF_SV_SG_SH_SI_EUlSV_E0_NS1_11comp_targetILNS1_3genE10ELNS1_11target_archE1201ELNS1_3gpuE5ELNS1_3repE0EEENS1_38merge_mergepath_config_static_selectorELNS0_4arch9wavefront6targetE1EEEvSH_
	.p2align	8
	.type	_ZN7rocprim17ROCPRIM_400000_NS6detail17trampoline_kernelINS0_14default_configENS1_38merge_sort_block_merge_config_selectorIslEEZZNS1_27merge_sort_block_merge_implIS3_PsN6thrust23THRUST_200600_302600_NS10device_ptrIlEEjNS1_19radix_merge_compareILb0ELb0EsNS0_19identity_decomposerEEEEE10hipError_tT0_T1_T2_jT3_P12ihipStream_tbPNSt15iterator_traitsISG_E10value_typeEPNSM_ISH_E10value_typeEPSI_NS1_7vsmem_tEENKUlT_SG_SH_SI_E_clIS7_S7_SB_PlEESF_SV_SG_SH_SI_EUlSV_E0_NS1_11comp_targetILNS1_3genE10ELNS1_11target_archE1201ELNS1_3gpuE5ELNS1_3repE0EEENS1_38merge_mergepath_config_static_selectorELNS0_4arch9wavefront6targetE1EEEvSH_,@function
_ZN7rocprim17ROCPRIM_400000_NS6detail17trampoline_kernelINS0_14default_configENS1_38merge_sort_block_merge_config_selectorIslEEZZNS1_27merge_sort_block_merge_implIS3_PsN6thrust23THRUST_200600_302600_NS10device_ptrIlEEjNS1_19radix_merge_compareILb0ELb0EsNS0_19identity_decomposerEEEEE10hipError_tT0_T1_T2_jT3_P12ihipStream_tbPNSt15iterator_traitsISG_E10value_typeEPNSM_ISH_E10value_typeEPSI_NS1_7vsmem_tEENKUlT_SG_SH_SI_E_clIS7_S7_SB_PlEESF_SV_SG_SH_SI_EUlSV_E0_NS1_11comp_targetILNS1_3genE10ELNS1_11target_archE1201ELNS1_3gpuE5ELNS1_3repE0EEENS1_38merge_mergepath_config_static_selectorELNS0_4arch9wavefront6targetE1EEEvSH_: ; @_ZN7rocprim17ROCPRIM_400000_NS6detail17trampoline_kernelINS0_14default_configENS1_38merge_sort_block_merge_config_selectorIslEEZZNS1_27merge_sort_block_merge_implIS3_PsN6thrust23THRUST_200600_302600_NS10device_ptrIlEEjNS1_19radix_merge_compareILb0ELb0EsNS0_19identity_decomposerEEEEE10hipError_tT0_T1_T2_jT3_P12ihipStream_tbPNSt15iterator_traitsISG_E10value_typeEPNSM_ISH_E10value_typeEPSI_NS1_7vsmem_tEENKUlT_SG_SH_SI_E_clIS7_S7_SB_PlEESF_SV_SG_SH_SI_EUlSV_E0_NS1_11comp_targetILNS1_3genE10ELNS1_11target_archE1201ELNS1_3gpuE5ELNS1_3repE0EEENS1_38merge_mergepath_config_static_selectorELNS0_4arch9wavefront6targetE1EEEvSH_
; %bb.0:
	.section	.rodata,"a",@progbits
	.p2align	6, 0x0
	.amdhsa_kernel _ZN7rocprim17ROCPRIM_400000_NS6detail17trampoline_kernelINS0_14default_configENS1_38merge_sort_block_merge_config_selectorIslEEZZNS1_27merge_sort_block_merge_implIS3_PsN6thrust23THRUST_200600_302600_NS10device_ptrIlEEjNS1_19radix_merge_compareILb0ELb0EsNS0_19identity_decomposerEEEEE10hipError_tT0_T1_T2_jT3_P12ihipStream_tbPNSt15iterator_traitsISG_E10value_typeEPNSM_ISH_E10value_typeEPSI_NS1_7vsmem_tEENKUlT_SG_SH_SI_E_clIS7_S7_SB_PlEESF_SV_SG_SH_SI_EUlSV_E0_NS1_11comp_targetILNS1_3genE10ELNS1_11target_archE1201ELNS1_3gpuE5ELNS1_3repE0EEENS1_38merge_mergepath_config_static_selectorELNS0_4arch9wavefront6targetE1EEEvSH_
		.amdhsa_group_segment_fixed_size 0
		.amdhsa_private_segment_fixed_size 0
		.amdhsa_kernarg_size 64
		.amdhsa_user_sgpr_count 6
		.amdhsa_user_sgpr_private_segment_buffer 1
		.amdhsa_user_sgpr_dispatch_ptr 0
		.amdhsa_user_sgpr_queue_ptr 0
		.amdhsa_user_sgpr_kernarg_segment_ptr 1
		.amdhsa_user_sgpr_dispatch_id 0
		.amdhsa_user_sgpr_flat_scratch_init 0
		.amdhsa_user_sgpr_kernarg_preload_length 0
		.amdhsa_user_sgpr_kernarg_preload_offset 0
		.amdhsa_user_sgpr_private_segment_size 0
		.amdhsa_uses_dynamic_stack 0
		.amdhsa_system_sgpr_private_segment_wavefront_offset 0
		.amdhsa_system_sgpr_workgroup_id_x 1
		.amdhsa_system_sgpr_workgroup_id_y 0
		.amdhsa_system_sgpr_workgroup_id_z 0
		.amdhsa_system_sgpr_workgroup_info 0
		.amdhsa_system_vgpr_workitem_id 0
		.amdhsa_next_free_vgpr 1
		.amdhsa_next_free_sgpr 0
		.amdhsa_accum_offset 4
		.amdhsa_reserve_vcc 0
		.amdhsa_reserve_flat_scratch 0
		.amdhsa_float_round_mode_32 0
		.amdhsa_float_round_mode_16_64 0
		.amdhsa_float_denorm_mode_32 3
		.amdhsa_float_denorm_mode_16_64 3
		.amdhsa_dx10_clamp 1
		.amdhsa_ieee_mode 1
		.amdhsa_fp16_overflow 0
		.amdhsa_tg_split 0
		.amdhsa_exception_fp_ieee_invalid_op 0
		.amdhsa_exception_fp_denorm_src 0
		.amdhsa_exception_fp_ieee_div_zero 0
		.amdhsa_exception_fp_ieee_overflow 0
		.amdhsa_exception_fp_ieee_underflow 0
		.amdhsa_exception_fp_ieee_inexact 0
		.amdhsa_exception_int_div_zero 0
	.end_amdhsa_kernel
	.section	.text._ZN7rocprim17ROCPRIM_400000_NS6detail17trampoline_kernelINS0_14default_configENS1_38merge_sort_block_merge_config_selectorIslEEZZNS1_27merge_sort_block_merge_implIS3_PsN6thrust23THRUST_200600_302600_NS10device_ptrIlEEjNS1_19radix_merge_compareILb0ELb0EsNS0_19identity_decomposerEEEEE10hipError_tT0_T1_T2_jT3_P12ihipStream_tbPNSt15iterator_traitsISG_E10value_typeEPNSM_ISH_E10value_typeEPSI_NS1_7vsmem_tEENKUlT_SG_SH_SI_E_clIS7_S7_SB_PlEESF_SV_SG_SH_SI_EUlSV_E0_NS1_11comp_targetILNS1_3genE10ELNS1_11target_archE1201ELNS1_3gpuE5ELNS1_3repE0EEENS1_38merge_mergepath_config_static_selectorELNS0_4arch9wavefront6targetE1EEEvSH_,"axG",@progbits,_ZN7rocprim17ROCPRIM_400000_NS6detail17trampoline_kernelINS0_14default_configENS1_38merge_sort_block_merge_config_selectorIslEEZZNS1_27merge_sort_block_merge_implIS3_PsN6thrust23THRUST_200600_302600_NS10device_ptrIlEEjNS1_19radix_merge_compareILb0ELb0EsNS0_19identity_decomposerEEEEE10hipError_tT0_T1_T2_jT3_P12ihipStream_tbPNSt15iterator_traitsISG_E10value_typeEPNSM_ISH_E10value_typeEPSI_NS1_7vsmem_tEENKUlT_SG_SH_SI_E_clIS7_S7_SB_PlEESF_SV_SG_SH_SI_EUlSV_E0_NS1_11comp_targetILNS1_3genE10ELNS1_11target_archE1201ELNS1_3gpuE5ELNS1_3repE0EEENS1_38merge_mergepath_config_static_selectorELNS0_4arch9wavefront6targetE1EEEvSH_,comdat
.Lfunc_end1309:
	.size	_ZN7rocprim17ROCPRIM_400000_NS6detail17trampoline_kernelINS0_14default_configENS1_38merge_sort_block_merge_config_selectorIslEEZZNS1_27merge_sort_block_merge_implIS3_PsN6thrust23THRUST_200600_302600_NS10device_ptrIlEEjNS1_19radix_merge_compareILb0ELb0EsNS0_19identity_decomposerEEEEE10hipError_tT0_T1_T2_jT3_P12ihipStream_tbPNSt15iterator_traitsISG_E10value_typeEPNSM_ISH_E10value_typeEPSI_NS1_7vsmem_tEENKUlT_SG_SH_SI_E_clIS7_S7_SB_PlEESF_SV_SG_SH_SI_EUlSV_E0_NS1_11comp_targetILNS1_3genE10ELNS1_11target_archE1201ELNS1_3gpuE5ELNS1_3repE0EEENS1_38merge_mergepath_config_static_selectorELNS0_4arch9wavefront6targetE1EEEvSH_, .Lfunc_end1309-_ZN7rocprim17ROCPRIM_400000_NS6detail17trampoline_kernelINS0_14default_configENS1_38merge_sort_block_merge_config_selectorIslEEZZNS1_27merge_sort_block_merge_implIS3_PsN6thrust23THRUST_200600_302600_NS10device_ptrIlEEjNS1_19radix_merge_compareILb0ELb0EsNS0_19identity_decomposerEEEEE10hipError_tT0_T1_T2_jT3_P12ihipStream_tbPNSt15iterator_traitsISG_E10value_typeEPNSM_ISH_E10value_typeEPSI_NS1_7vsmem_tEENKUlT_SG_SH_SI_E_clIS7_S7_SB_PlEESF_SV_SG_SH_SI_EUlSV_E0_NS1_11comp_targetILNS1_3genE10ELNS1_11target_archE1201ELNS1_3gpuE5ELNS1_3repE0EEENS1_38merge_mergepath_config_static_selectorELNS0_4arch9wavefront6targetE1EEEvSH_
                                        ; -- End function
	.section	.AMDGPU.csdata,"",@progbits
; Kernel info:
; codeLenInByte = 0
; NumSgprs: 4
; NumVgprs: 0
; NumAgprs: 0
; TotalNumVgprs: 0
; ScratchSize: 0
; MemoryBound: 0
; FloatMode: 240
; IeeeMode: 1
; LDSByteSize: 0 bytes/workgroup (compile time only)
; SGPRBlocks: 0
; VGPRBlocks: 0
; NumSGPRsForWavesPerEU: 4
; NumVGPRsForWavesPerEU: 1
; AccumOffset: 4
; Occupancy: 8
; WaveLimiterHint : 0
; COMPUTE_PGM_RSRC2:SCRATCH_EN: 0
; COMPUTE_PGM_RSRC2:USER_SGPR: 6
; COMPUTE_PGM_RSRC2:TRAP_HANDLER: 0
; COMPUTE_PGM_RSRC2:TGID_X_EN: 1
; COMPUTE_PGM_RSRC2:TGID_Y_EN: 0
; COMPUTE_PGM_RSRC2:TGID_Z_EN: 0
; COMPUTE_PGM_RSRC2:TIDIG_COMP_CNT: 0
; COMPUTE_PGM_RSRC3_GFX90A:ACCUM_OFFSET: 0
; COMPUTE_PGM_RSRC3_GFX90A:TG_SPLIT: 0
	.section	.text._ZN7rocprim17ROCPRIM_400000_NS6detail17trampoline_kernelINS0_14default_configENS1_38merge_sort_block_merge_config_selectorIslEEZZNS1_27merge_sort_block_merge_implIS3_PsN6thrust23THRUST_200600_302600_NS10device_ptrIlEEjNS1_19radix_merge_compareILb0ELb0EsNS0_19identity_decomposerEEEEE10hipError_tT0_T1_T2_jT3_P12ihipStream_tbPNSt15iterator_traitsISG_E10value_typeEPNSM_ISH_E10value_typeEPSI_NS1_7vsmem_tEENKUlT_SG_SH_SI_E_clIS7_S7_SB_PlEESF_SV_SG_SH_SI_EUlSV_E0_NS1_11comp_targetILNS1_3genE5ELNS1_11target_archE942ELNS1_3gpuE9ELNS1_3repE0EEENS1_38merge_mergepath_config_static_selectorELNS0_4arch9wavefront6targetE1EEEvSH_,"axG",@progbits,_ZN7rocprim17ROCPRIM_400000_NS6detail17trampoline_kernelINS0_14default_configENS1_38merge_sort_block_merge_config_selectorIslEEZZNS1_27merge_sort_block_merge_implIS3_PsN6thrust23THRUST_200600_302600_NS10device_ptrIlEEjNS1_19radix_merge_compareILb0ELb0EsNS0_19identity_decomposerEEEEE10hipError_tT0_T1_T2_jT3_P12ihipStream_tbPNSt15iterator_traitsISG_E10value_typeEPNSM_ISH_E10value_typeEPSI_NS1_7vsmem_tEENKUlT_SG_SH_SI_E_clIS7_S7_SB_PlEESF_SV_SG_SH_SI_EUlSV_E0_NS1_11comp_targetILNS1_3genE5ELNS1_11target_archE942ELNS1_3gpuE9ELNS1_3repE0EEENS1_38merge_mergepath_config_static_selectorELNS0_4arch9wavefront6targetE1EEEvSH_,comdat
	.protected	_ZN7rocprim17ROCPRIM_400000_NS6detail17trampoline_kernelINS0_14default_configENS1_38merge_sort_block_merge_config_selectorIslEEZZNS1_27merge_sort_block_merge_implIS3_PsN6thrust23THRUST_200600_302600_NS10device_ptrIlEEjNS1_19radix_merge_compareILb0ELb0EsNS0_19identity_decomposerEEEEE10hipError_tT0_T1_T2_jT3_P12ihipStream_tbPNSt15iterator_traitsISG_E10value_typeEPNSM_ISH_E10value_typeEPSI_NS1_7vsmem_tEENKUlT_SG_SH_SI_E_clIS7_S7_SB_PlEESF_SV_SG_SH_SI_EUlSV_E0_NS1_11comp_targetILNS1_3genE5ELNS1_11target_archE942ELNS1_3gpuE9ELNS1_3repE0EEENS1_38merge_mergepath_config_static_selectorELNS0_4arch9wavefront6targetE1EEEvSH_ ; -- Begin function _ZN7rocprim17ROCPRIM_400000_NS6detail17trampoline_kernelINS0_14default_configENS1_38merge_sort_block_merge_config_selectorIslEEZZNS1_27merge_sort_block_merge_implIS3_PsN6thrust23THRUST_200600_302600_NS10device_ptrIlEEjNS1_19radix_merge_compareILb0ELb0EsNS0_19identity_decomposerEEEEE10hipError_tT0_T1_T2_jT3_P12ihipStream_tbPNSt15iterator_traitsISG_E10value_typeEPNSM_ISH_E10value_typeEPSI_NS1_7vsmem_tEENKUlT_SG_SH_SI_E_clIS7_S7_SB_PlEESF_SV_SG_SH_SI_EUlSV_E0_NS1_11comp_targetILNS1_3genE5ELNS1_11target_archE942ELNS1_3gpuE9ELNS1_3repE0EEENS1_38merge_mergepath_config_static_selectorELNS0_4arch9wavefront6targetE1EEEvSH_
	.globl	_ZN7rocprim17ROCPRIM_400000_NS6detail17trampoline_kernelINS0_14default_configENS1_38merge_sort_block_merge_config_selectorIslEEZZNS1_27merge_sort_block_merge_implIS3_PsN6thrust23THRUST_200600_302600_NS10device_ptrIlEEjNS1_19radix_merge_compareILb0ELb0EsNS0_19identity_decomposerEEEEE10hipError_tT0_T1_T2_jT3_P12ihipStream_tbPNSt15iterator_traitsISG_E10value_typeEPNSM_ISH_E10value_typeEPSI_NS1_7vsmem_tEENKUlT_SG_SH_SI_E_clIS7_S7_SB_PlEESF_SV_SG_SH_SI_EUlSV_E0_NS1_11comp_targetILNS1_3genE5ELNS1_11target_archE942ELNS1_3gpuE9ELNS1_3repE0EEENS1_38merge_mergepath_config_static_selectorELNS0_4arch9wavefront6targetE1EEEvSH_
	.p2align	8
	.type	_ZN7rocprim17ROCPRIM_400000_NS6detail17trampoline_kernelINS0_14default_configENS1_38merge_sort_block_merge_config_selectorIslEEZZNS1_27merge_sort_block_merge_implIS3_PsN6thrust23THRUST_200600_302600_NS10device_ptrIlEEjNS1_19radix_merge_compareILb0ELb0EsNS0_19identity_decomposerEEEEE10hipError_tT0_T1_T2_jT3_P12ihipStream_tbPNSt15iterator_traitsISG_E10value_typeEPNSM_ISH_E10value_typeEPSI_NS1_7vsmem_tEENKUlT_SG_SH_SI_E_clIS7_S7_SB_PlEESF_SV_SG_SH_SI_EUlSV_E0_NS1_11comp_targetILNS1_3genE5ELNS1_11target_archE942ELNS1_3gpuE9ELNS1_3repE0EEENS1_38merge_mergepath_config_static_selectorELNS0_4arch9wavefront6targetE1EEEvSH_,@function
_ZN7rocprim17ROCPRIM_400000_NS6detail17trampoline_kernelINS0_14default_configENS1_38merge_sort_block_merge_config_selectorIslEEZZNS1_27merge_sort_block_merge_implIS3_PsN6thrust23THRUST_200600_302600_NS10device_ptrIlEEjNS1_19radix_merge_compareILb0ELb0EsNS0_19identity_decomposerEEEEE10hipError_tT0_T1_T2_jT3_P12ihipStream_tbPNSt15iterator_traitsISG_E10value_typeEPNSM_ISH_E10value_typeEPSI_NS1_7vsmem_tEENKUlT_SG_SH_SI_E_clIS7_S7_SB_PlEESF_SV_SG_SH_SI_EUlSV_E0_NS1_11comp_targetILNS1_3genE5ELNS1_11target_archE942ELNS1_3gpuE9ELNS1_3repE0EEENS1_38merge_mergepath_config_static_selectorELNS0_4arch9wavefront6targetE1EEEvSH_: ; @_ZN7rocprim17ROCPRIM_400000_NS6detail17trampoline_kernelINS0_14default_configENS1_38merge_sort_block_merge_config_selectorIslEEZZNS1_27merge_sort_block_merge_implIS3_PsN6thrust23THRUST_200600_302600_NS10device_ptrIlEEjNS1_19radix_merge_compareILb0ELb0EsNS0_19identity_decomposerEEEEE10hipError_tT0_T1_T2_jT3_P12ihipStream_tbPNSt15iterator_traitsISG_E10value_typeEPNSM_ISH_E10value_typeEPSI_NS1_7vsmem_tEENKUlT_SG_SH_SI_E_clIS7_S7_SB_PlEESF_SV_SG_SH_SI_EUlSV_E0_NS1_11comp_targetILNS1_3genE5ELNS1_11target_archE942ELNS1_3gpuE9ELNS1_3repE0EEENS1_38merge_mergepath_config_static_selectorELNS0_4arch9wavefront6targetE1EEEvSH_
; %bb.0:
	.section	.rodata,"a",@progbits
	.p2align	6, 0x0
	.amdhsa_kernel _ZN7rocprim17ROCPRIM_400000_NS6detail17trampoline_kernelINS0_14default_configENS1_38merge_sort_block_merge_config_selectorIslEEZZNS1_27merge_sort_block_merge_implIS3_PsN6thrust23THRUST_200600_302600_NS10device_ptrIlEEjNS1_19radix_merge_compareILb0ELb0EsNS0_19identity_decomposerEEEEE10hipError_tT0_T1_T2_jT3_P12ihipStream_tbPNSt15iterator_traitsISG_E10value_typeEPNSM_ISH_E10value_typeEPSI_NS1_7vsmem_tEENKUlT_SG_SH_SI_E_clIS7_S7_SB_PlEESF_SV_SG_SH_SI_EUlSV_E0_NS1_11comp_targetILNS1_3genE5ELNS1_11target_archE942ELNS1_3gpuE9ELNS1_3repE0EEENS1_38merge_mergepath_config_static_selectorELNS0_4arch9wavefront6targetE1EEEvSH_
		.amdhsa_group_segment_fixed_size 0
		.amdhsa_private_segment_fixed_size 0
		.amdhsa_kernarg_size 64
		.amdhsa_user_sgpr_count 6
		.amdhsa_user_sgpr_private_segment_buffer 1
		.amdhsa_user_sgpr_dispatch_ptr 0
		.amdhsa_user_sgpr_queue_ptr 0
		.amdhsa_user_sgpr_kernarg_segment_ptr 1
		.amdhsa_user_sgpr_dispatch_id 0
		.amdhsa_user_sgpr_flat_scratch_init 0
		.amdhsa_user_sgpr_kernarg_preload_length 0
		.amdhsa_user_sgpr_kernarg_preload_offset 0
		.amdhsa_user_sgpr_private_segment_size 0
		.amdhsa_uses_dynamic_stack 0
		.amdhsa_system_sgpr_private_segment_wavefront_offset 0
		.amdhsa_system_sgpr_workgroup_id_x 1
		.amdhsa_system_sgpr_workgroup_id_y 0
		.amdhsa_system_sgpr_workgroup_id_z 0
		.amdhsa_system_sgpr_workgroup_info 0
		.amdhsa_system_vgpr_workitem_id 0
		.amdhsa_next_free_vgpr 1
		.amdhsa_next_free_sgpr 0
		.amdhsa_accum_offset 4
		.amdhsa_reserve_vcc 0
		.amdhsa_reserve_flat_scratch 0
		.amdhsa_float_round_mode_32 0
		.amdhsa_float_round_mode_16_64 0
		.amdhsa_float_denorm_mode_32 3
		.amdhsa_float_denorm_mode_16_64 3
		.amdhsa_dx10_clamp 1
		.amdhsa_ieee_mode 1
		.amdhsa_fp16_overflow 0
		.amdhsa_tg_split 0
		.amdhsa_exception_fp_ieee_invalid_op 0
		.amdhsa_exception_fp_denorm_src 0
		.amdhsa_exception_fp_ieee_div_zero 0
		.amdhsa_exception_fp_ieee_overflow 0
		.amdhsa_exception_fp_ieee_underflow 0
		.amdhsa_exception_fp_ieee_inexact 0
		.amdhsa_exception_int_div_zero 0
	.end_amdhsa_kernel
	.section	.text._ZN7rocprim17ROCPRIM_400000_NS6detail17trampoline_kernelINS0_14default_configENS1_38merge_sort_block_merge_config_selectorIslEEZZNS1_27merge_sort_block_merge_implIS3_PsN6thrust23THRUST_200600_302600_NS10device_ptrIlEEjNS1_19radix_merge_compareILb0ELb0EsNS0_19identity_decomposerEEEEE10hipError_tT0_T1_T2_jT3_P12ihipStream_tbPNSt15iterator_traitsISG_E10value_typeEPNSM_ISH_E10value_typeEPSI_NS1_7vsmem_tEENKUlT_SG_SH_SI_E_clIS7_S7_SB_PlEESF_SV_SG_SH_SI_EUlSV_E0_NS1_11comp_targetILNS1_3genE5ELNS1_11target_archE942ELNS1_3gpuE9ELNS1_3repE0EEENS1_38merge_mergepath_config_static_selectorELNS0_4arch9wavefront6targetE1EEEvSH_,"axG",@progbits,_ZN7rocprim17ROCPRIM_400000_NS6detail17trampoline_kernelINS0_14default_configENS1_38merge_sort_block_merge_config_selectorIslEEZZNS1_27merge_sort_block_merge_implIS3_PsN6thrust23THRUST_200600_302600_NS10device_ptrIlEEjNS1_19radix_merge_compareILb0ELb0EsNS0_19identity_decomposerEEEEE10hipError_tT0_T1_T2_jT3_P12ihipStream_tbPNSt15iterator_traitsISG_E10value_typeEPNSM_ISH_E10value_typeEPSI_NS1_7vsmem_tEENKUlT_SG_SH_SI_E_clIS7_S7_SB_PlEESF_SV_SG_SH_SI_EUlSV_E0_NS1_11comp_targetILNS1_3genE5ELNS1_11target_archE942ELNS1_3gpuE9ELNS1_3repE0EEENS1_38merge_mergepath_config_static_selectorELNS0_4arch9wavefront6targetE1EEEvSH_,comdat
.Lfunc_end1310:
	.size	_ZN7rocprim17ROCPRIM_400000_NS6detail17trampoline_kernelINS0_14default_configENS1_38merge_sort_block_merge_config_selectorIslEEZZNS1_27merge_sort_block_merge_implIS3_PsN6thrust23THRUST_200600_302600_NS10device_ptrIlEEjNS1_19radix_merge_compareILb0ELb0EsNS0_19identity_decomposerEEEEE10hipError_tT0_T1_T2_jT3_P12ihipStream_tbPNSt15iterator_traitsISG_E10value_typeEPNSM_ISH_E10value_typeEPSI_NS1_7vsmem_tEENKUlT_SG_SH_SI_E_clIS7_S7_SB_PlEESF_SV_SG_SH_SI_EUlSV_E0_NS1_11comp_targetILNS1_3genE5ELNS1_11target_archE942ELNS1_3gpuE9ELNS1_3repE0EEENS1_38merge_mergepath_config_static_selectorELNS0_4arch9wavefront6targetE1EEEvSH_, .Lfunc_end1310-_ZN7rocprim17ROCPRIM_400000_NS6detail17trampoline_kernelINS0_14default_configENS1_38merge_sort_block_merge_config_selectorIslEEZZNS1_27merge_sort_block_merge_implIS3_PsN6thrust23THRUST_200600_302600_NS10device_ptrIlEEjNS1_19radix_merge_compareILb0ELb0EsNS0_19identity_decomposerEEEEE10hipError_tT0_T1_T2_jT3_P12ihipStream_tbPNSt15iterator_traitsISG_E10value_typeEPNSM_ISH_E10value_typeEPSI_NS1_7vsmem_tEENKUlT_SG_SH_SI_E_clIS7_S7_SB_PlEESF_SV_SG_SH_SI_EUlSV_E0_NS1_11comp_targetILNS1_3genE5ELNS1_11target_archE942ELNS1_3gpuE9ELNS1_3repE0EEENS1_38merge_mergepath_config_static_selectorELNS0_4arch9wavefront6targetE1EEEvSH_
                                        ; -- End function
	.section	.AMDGPU.csdata,"",@progbits
; Kernel info:
; codeLenInByte = 0
; NumSgprs: 4
; NumVgprs: 0
; NumAgprs: 0
; TotalNumVgprs: 0
; ScratchSize: 0
; MemoryBound: 0
; FloatMode: 240
; IeeeMode: 1
; LDSByteSize: 0 bytes/workgroup (compile time only)
; SGPRBlocks: 0
; VGPRBlocks: 0
; NumSGPRsForWavesPerEU: 4
; NumVGPRsForWavesPerEU: 1
; AccumOffset: 4
; Occupancy: 8
; WaveLimiterHint : 0
; COMPUTE_PGM_RSRC2:SCRATCH_EN: 0
; COMPUTE_PGM_RSRC2:USER_SGPR: 6
; COMPUTE_PGM_RSRC2:TRAP_HANDLER: 0
; COMPUTE_PGM_RSRC2:TGID_X_EN: 1
; COMPUTE_PGM_RSRC2:TGID_Y_EN: 0
; COMPUTE_PGM_RSRC2:TGID_Z_EN: 0
; COMPUTE_PGM_RSRC2:TIDIG_COMP_CNT: 0
; COMPUTE_PGM_RSRC3_GFX90A:ACCUM_OFFSET: 0
; COMPUTE_PGM_RSRC3_GFX90A:TG_SPLIT: 0
	.section	.text._ZN7rocprim17ROCPRIM_400000_NS6detail17trampoline_kernelINS0_14default_configENS1_38merge_sort_block_merge_config_selectorIslEEZZNS1_27merge_sort_block_merge_implIS3_PsN6thrust23THRUST_200600_302600_NS10device_ptrIlEEjNS1_19radix_merge_compareILb0ELb0EsNS0_19identity_decomposerEEEEE10hipError_tT0_T1_T2_jT3_P12ihipStream_tbPNSt15iterator_traitsISG_E10value_typeEPNSM_ISH_E10value_typeEPSI_NS1_7vsmem_tEENKUlT_SG_SH_SI_E_clIS7_S7_SB_PlEESF_SV_SG_SH_SI_EUlSV_E0_NS1_11comp_targetILNS1_3genE4ELNS1_11target_archE910ELNS1_3gpuE8ELNS1_3repE0EEENS1_38merge_mergepath_config_static_selectorELNS0_4arch9wavefront6targetE1EEEvSH_,"axG",@progbits,_ZN7rocprim17ROCPRIM_400000_NS6detail17trampoline_kernelINS0_14default_configENS1_38merge_sort_block_merge_config_selectorIslEEZZNS1_27merge_sort_block_merge_implIS3_PsN6thrust23THRUST_200600_302600_NS10device_ptrIlEEjNS1_19radix_merge_compareILb0ELb0EsNS0_19identity_decomposerEEEEE10hipError_tT0_T1_T2_jT3_P12ihipStream_tbPNSt15iterator_traitsISG_E10value_typeEPNSM_ISH_E10value_typeEPSI_NS1_7vsmem_tEENKUlT_SG_SH_SI_E_clIS7_S7_SB_PlEESF_SV_SG_SH_SI_EUlSV_E0_NS1_11comp_targetILNS1_3genE4ELNS1_11target_archE910ELNS1_3gpuE8ELNS1_3repE0EEENS1_38merge_mergepath_config_static_selectorELNS0_4arch9wavefront6targetE1EEEvSH_,comdat
	.protected	_ZN7rocprim17ROCPRIM_400000_NS6detail17trampoline_kernelINS0_14default_configENS1_38merge_sort_block_merge_config_selectorIslEEZZNS1_27merge_sort_block_merge_implIS3_PsN6thrust23THRUST_200600_302600_NS10device_ptrIlEEjNS1_19radix_merge_compareILb0ELb0EsNS0_19identity_decomposerEEEEE10hipError_tT0_T1_T2_jT3_P12ihipStream_tbPNSt15iterator_traitsISG_E10value_typeEPNSM_ISH_E10value_typeEPSI_NS1_7vsmem_tEENKUlT_SG_SH_SI_E_clIS7_S7_SB_PlEESF_SV_SG_SH_SI_EUlSV_E0_NS1_11comp_targetILNS1_3genE4ELNS1_11target_archE910ELNS1_3gpuE8ELNS1_3repE0EEENS1_38merge_mergepath_config_static_selectorELNS0_4arch9wavefront6targetE1EEEvSH_ ; -- Begin function _ZN7rocprim17ROCPRIM_400000_NS6detail17trampoline_kernelINS0_14default_configENS1_38merge_sort_block_merge_config_selectorIslEEZZNS1_27merge_sort_block_merge_implIS3_PsN6thrust23THRUST_200600_302600_NS10device_ptrIlEEjNS1_19radix_merge_compareILb0ELb0EsNS0_19identity_decomposerEEEEE10hipError_tT0_T1_T2_jT3_P12ihipStream_tbPNSt15iterator_traitsISG_E10value_typeEPNSM_ISH_E10value_typeEPSI_NS1_7vsmem_tEENKUlT_SG_SH_SI_E_clIS7_S7_SB_PlEESF_SV_SG_SH_SI_EUlSV_E0_NS1_11comp_targetILNS1_3genE4ELNS1_11target_archE910ELNS1_3gpuE8ELNS1_3repE0EEENS1_38merge_mergepath_config_static_selectorELNS0_4arch9wavefront6targetE1EEEvSH_
	.globl	_ZN7rocprim17ROCPRIM_400000_NS6detail17trampoline_kernelINS0_14default_configENS1_38merge_sort_block_merge_config_selectorIslEEZZNS1_27merge_sort_block_merge_implIS3_PsN6thrust23THRUST_200600_302600_NS10device_ptrIlEEjNS1_19radix_merge_compareILb0ELb0EsNS0_19identity_decomposerEEEEE10hipError_tT0_T1_T2_jT3_P12ihipStream_tbPNSt15iterator_traitsISG_E10value_typeEPNSM_ISH_E10value_typeEPSI_NS1_7vsmem_tEENKUlT_SG_SH_SI_E_clIS7_S7_SB_PlEESF_SV_SG_SH_SI_EUlSV_E0_NS1_11comp_targetILNS1_3genE4ELNS1_11target_archE910ELNS1_3gpuE8ELNS1_3repE0EEENS1_38merge_mergepath_config_static_selectorELNS0_4arch9wavefront6targetE1EEEvSH_
	.p2align	8
	.type	_ZN7rocprim17ROCPRIM_400000_NS6detail17trampoline_kernelINS0_14default_configENS1_38merge_sort_block_merge_config_selectorIslEEZZNS1_27merge_sort_block_merge_implIS3_PsN6thrust23THRUST_200600_302600_NS10device_ptrIlEEjNS1_19radix_merge_compareILb0ELb0EsNS0_19identity_decomposerEEEEE10hipError_tT0_T1_T2_jT3_P12ihipStream_tbPNSt15iterator_traitsISG_E10value_typeEPNSM_ISH_E10value_typeEPSI_NS1_7vsmem_tEENKUlT_SG_SH_SI_E_clIS7_S7_SB_PlEESF_SV_SG_SH_SI_EUlSV_E0_NS1_11comp_targetILNS1_3genE4ELNS1_11target_archE910ELNS1_3gpuE8ELNS1_3repE0EEENS1_38merge_mergepath_config_static_selectorELNS0_4arch9wavefront6targetE1EEEvSH_,@function
_ZN7rocprim17ROCPRIM_400000_NS6detail17trampoline_kernelINS0_14default_configENS1_38merge_sort_block_merge_config_selectorIslEEZZNS1_27merge_sort_block_merge_implIS3_PsN6thrust23THRUST_200600_302600_NS10device_ptrIlEEjNS1_19radix_merge_compareILb0ELb0EsNS0_19identity_decomposerEEEEE10hipError_tT0_T1_T2_jT3_P12ihipStream_tbPNSt15iterator_traitsISG_E10value_typeEPNSM_ISH_E10value_typeEPSI_NS1_7vsmem_tEENKUlT_SG_SH_SI_E_clIS7_S7_SB_PlEESF_SV_SG_SH_SI_EUlSV_E0_NS1_11comp_targetILNS1_3genE4ELNS1_11target_archE910ELNS1_3gpuE8ELNS1_3repE0EEENS1_38merge_mergepath_config_static_selectorELNS0_4arch9wavefront6targetE1EEEvSH_: ; @_ZN7rocprim17ROCPRIM_400000_NS6detail17trampoline_kernelINS0_14default_configENS1_38merge_sort_block_merge_config_selectorIslEEZZNS1_27merge_sort_block_merge_implIS3_PsN6thrust23THRUST_200600_302600_NS10device_ptrIlEEjNS1_19radix_merge_compareILb0ELb0EsNS0_19identity_decomposerEEEEE10hipError_tT0_T1_T2_jT3_P12ihipStream_tbPNSt15iterator_traitsISG_E10value_typeEPNSM_ISH_E10value_typeEPSI_NS1_7vsmem_tEENKUlT_SG_SH_SI_E_clIS7_S7_SB_PlEESF_SV_SG_SH_SI_EUlSV_E0_NS1_11comp_targetILNS1_3genE4ELNS1_11target_archE910ELNS1_3gpuE8ELNS1_3repE0EEENS1_38merge_mergepath_config_static_selectorELNS0_4arch9wavefront6targetE1EEEvSH_
; %bb.0:
	s_load_dwordx2 s[22:23], s[4:5], 0x40
	s_load_dword s2, s[4:5], 0x30
	s_add_u32 s0, s4, 64
	s_addc_u32 s1, s5, 0
	s_waitcnt lgkmcnt(0)
	s_mul_i32 s3, s23, s8
	s_add_i32 s3, s3, s7
	s_mul_i32 s3, s3, s22
	s_add_i32 s20, s3, s6
	s_cmp_ge_u32 s20, s2
	s_cbranch_scc1 .LBB1311_46
; %bb.1:
	s_load_dwordx8 s[8:15], s[4:5], 0x10
	s_load_dwordx2 s[26:27], s[4:5], 0x8
	s_load_dwordx2 s[2:3], s[4:5], 0x38
	s_mov_b32 s21, 0
	v_mov_b32_e32 v3, 0
	s_waitcnt lgkmcnt(0)
	s_lshr_b32 s7, s14, 10
	s_cmp_lg_u32 s20, s7
	s_cselect_b64 s[18:19], -1, 0
	s_lshl_b64 s[4:5], s[20:21], 2
	s_add_u32 s2, s2, s4
	s_addc_u32 s3, s3, s5
	s_lshr_b32 s4, s15, 9
	s_and_b32 s4, s4, 0x7ffffe
	s_load_dwordx2 s[2:3], s[2:3], 0x0
	s_sub_i32 s5, 0, s4
	s_and_b32 s4, s20, s5
	s_lshl_b32 s17, s4, 10
	s_lshl_b32 s16, s20, 10
	;; [unrolled: 1-line block ×3, first 2 shown]
	s_sub_i32 s23, s16, s17
	s_add_i32 s24, s4, s15
	s_add_i32 s23, s24, s23
	s_waitcnt lgkmcnt(0)
	s_sub_i32 s4, s23, s2
	s_sub_i32 s23, s23, s3
	;; [unrolled: 1-line block ×3, first 2 shown]
	s_min_u32 s4, s14, s4
	s_addk_i32 s23, 0x400
	s_or_b32 s5, s20, s5
	s_min_u32 s24, s14, s17
	s_add_i32 s17, s17, s15
	s_cmp_eq_u32 s5, -1
	s_cselect_b32 s3, s24, s3
	s_cselect_b32 s5, s17, s23
	s_sub_i32 s15, s3, s2
	s_mov_b32 s3, s21
	s_min_u32 s17, s5, s14
	s_lshl_b64 s[24:25], s[2:3], 1
	s_add_u32 s24, s26, s24
	s_mov_b32 s5, s21
	s_addc_u32 s25, s27, s25
	s_lshl_b64 s[28:29], s[4:5], 1
	s_add_u32 s21, s26, s28
	s_addc_u32 s23, s27, s29
	s_cmp_lt_u32 s6, s22
	s_cselect_b32 s6, 12, 18
	global_load_dword v1, v3, s[0:1] offset:14
	s_add_u32 s0, s0, s6
	s_addc_u32 s1, s1, 0
	global_load_ushort v2, v3, s[0:1]
	s_cmp_eq_u32 s20, s7
	s_waitcnt vmcnt(1)
	v_lshrrev_b32_e32 v4, 16, v1
	v_and_b32_e32 v1, 0xffff, v1
	v_mul_lo_u32 v1, v1, v4
	s_waitcnt vmcnt(0)
	v_mul_lo_u32 v17, v1, v2
	v_add_u32_e32 v14, v17, v0
	v_lshlrev_b32_e32 v1, 1, v0
	v_add_u32_e32 v12, v14, v17
	s_cbranch_scc1 .LBB1311_3
; %bb.2:
	v_mov_b32_e32 v2, s25
	v_add_co_u32_e32 v6, vcc, s24, v1
	v_addc_co_u32_e32 v7, vcc, 0, v2, vcc
	v_subrev_u32_e32 v2, s15, v0
	v_lshlrev_b64 v[4:5], 1, v[2:3]
	v_mov_b32_e32 v2, s23
	v_add_co_u32_e32 v4, vcc, s21, v4
	v_addc_co_u32_e32 v2, vcc, v2, v5, vcc
	v_cmp_gt_u32_e32 vcc, s15, v0
	v_cndmask_b32_e32 v5, v2, v7, vcc
	v_cndmask_b32_e32 v4, v4, v6, vcc
	v_mov_b32_e32 v15, v3
	global_load_ushort v6, v[4:5], off
	v_lshlrev_b64 v[4:5], 1, v[14:15]
	v_mov_b32_e32 v2, s25
	v_add_co_u32_e32 v7, vcc, s24, v4
	v_addc_co_u32_e32 v8, vcc, v2, v5, vcc
	v_subrev_u32_e32 v2, s15, v14
	v_lshlrev_b64 v[4:5], 1, v[2:3]
	v_mov_b32_e32 v2, s23
	v_add_co_u32_e32 v4, vcc, s21, v4
	v_addc_co_u32_e32 v2, vcc, v2, v5, vcc
	v_cmp_gt_u32_e32 vcc, s15, v14
	v_cndmask_b32_e32 v5, v2, v8, vcc
	v_cndmask_b32_e32 v4, v4, v7, vcc
	v_mov_b32_e32 v13, v3
	global_load_ushort v7, v[4:5], off
	v_lshlrev_b64 v[4:5], 1, v[12:13]
	v_mov_b32_e32 v2, s25
	v_add_co_u32_e32 v4, vcc, s24, v4
	v_addc_co_u32_e32 v5, vcc, v2, v5, vcc
	v_subrev_u32_e32 v2, s15, v12
	v_lshlrev_b64 v[2:3], 1, v[2:3]
	v_mov_b32_e32 v8, s23
	v_add_co_u32_e32 v2, vcc, s21, v2
	v_addc_co_u32_e32 v3, vcc, v8, v3, vcc
	v_cmp_gt_u32_e32 vcc, s15, v12
	v_cndmask_b32_e32 v3, v3, v5, vcc
	v_cndmask_b32_e32 v2, v2, v4, vcc
	global_load_ushort v11, v[2:3], off
	s_mov_b32 s0, 0x5040100
	v_add_u32_e32 v2, v12, v17
	s_waitcnt vmcnt(1)
	v_perm_b32 v10, v7, v6, s0
	s_mov_b64 s[0:1], -1
	s_sub_i32 s17, s17, s4
	s_cbranch_execz .LBB1311_4
	s_branch .LBB1311_9
.LBB1311_3:
	s_mov_b64 s[0:1], 0
                                        ; implicit-def: $vgpr10_vgpr11
                                        ; implicit-def: $vgpr2
	s_sub_i32 s17, s17, s4
.LBB1311_4:
	s_add_i32 s6, s17, s15
	v_cmp_gt_u32_e32 vcc, s6, v0
                                        ; implicit-def: $vgpr10_vgpr11
	s_and_saveexec_b64 s[0:1], vcc
	s_cbranch_execnz .LBB1311_47
; %bb.5:
	s_or_b64 exec, exec, s[0:1]
	v_cmp_gt_u32_e32 vcc, s6, v14
	s_and_saveexec_b64 s[0:1], vcc
	s_cbranch_execnz .LBB1311_48
.LBB1311_6:
	s_or_b64 exec, exec, s[0:1]
	v_cmp_gt_u32_e32 vcc, s6, v12
	s_and_saveexec_b64 s[0:1], vcc
	s_cbranch_execz .LBB1311_8
.LBB1311_7:
	v_mov_b32_e32 v13, 0
	v_lshlrev_b64 v[2:3], 1, v[12:13]
	v_mov_b32_e32 v4, s25
	v_add_co_u32_e32 v5, vcc, s24, v2
	v_addc_co_u32_e32 v4, vcc, v4, v3, vcc
	v_subrev_u32_e32 v2, s15, v12
	v_mov_b32_e32 v3, v13
	v_lshlrev_b64 v[2:3], 1, v[2:3]
	v_mov_b32_e32 v6, s23
	v_add_co_u32_e32 v2, vcc, s21, v2
	v_addc_co_u32_e32 v3, vcc, v6, v3, vcc
	v_cmp_gt_u32_e32 vcc, s15, v12
	v_cndmask_b32_e32 v3, v3, v4, vcc
	v_cndmask_b32_e32 v2, v2, v5, vcc
	global_load_ushort v2, v[2:3], off
	s_mov_b32 s7, 0xffff
	s_waitcnt vmcnt(0)
	v_bfi_b32 v11, s7, v2, v11
.LBB1311_8:
	s_or_b64 exec, exec, s[0:1]
	v_add_u32_e32 v2, v12, v17
	v_cmp_gt_u32_e64 s[0:1], s6, v2
.LBB1311_9:
	s_and_saveexec_b64 s[6:7], s[0:1]
	s_cbranch_execz .LBB1311_11
; %bb.10:
	v_mov_b32_e32 v3, 0
	v_lshlrev_b64 v[4:5], 1, v[2:3]
	v_mov_b32_e32 v6, s25
	v_add_co_u32_e32 v4, vcc, s24, v4
	v_addc_co_u32_e32 v5, vcc, v6, v5, vcc
	v_cmp_gt_u32_e32 vcc, s15, v2
	v_subrev_u32_e32 v2, s15, v2
	v_lshlrev_b64 v[2:3], 1, v[2:3]
	v_mov_b32_e32 v6, s23
	v_add_co_u32_e64 v2, s[0:1], s21, v2
	v_addc_co_u32_e64 v3, s[0:1], v6, v3, s[0:1]
	v_cndmask_b32_e32 v3, v3, v5, vcc
	v_cndmask_b32_e32 v2, v2, v4, vcc
	global_load_ushort v2, v[2:3], off
	s_mov_b32 s0, 0x5040100
	s_waitcnt vmcnt(0)
	v_perm_b32 v11, v2, v11, s0
.LBB1311_11:
	s_or_b64 exec, exec, s[6:7]
	s_lshl_b64 s[0:1], s[2:3], 3
	s_add_u32 s6, s10, s0
	s_addc_u32 s7, s11, s1
	s_lshl_b64 s[0:1], s[4:5], 3
	s_add_u32 s4, s10, s0
	s_waitcnt vmcnt(0)
	v_lshrrev_b32_e32 v19, 16, v10
	v_lshrrev_b32_e32 v20, 16, v11
	s_addc_u32 s5, s11, s1
	s_andn2_b64 vcc, exec, s[18:19]
	v_lshlrev_b32_e32 v18, 3, v0
	ds_write_b16 v1, v10
	ds_write_b16 v1, v19 offset:512
	ds_write_b16 v1, v11 offset:1024
	;; [unrolled: 1-line block ×3, first 2 shown]
	s_cbranch_vccnz .LBB1311_13
; %bb.12:
	v_subrev_u32_e32 v6, s15, v0
	v_mov_b32_e32 v7, 0
	v_lshlrev_b64 v[2:3], 3, v[6:7]
	v_mov_b32_e32 v4, s5
	v_add_co_u32_e32 v2, vcc, s4, v2
	v_addc_co_u32_e32 v3, vcc, v4, v3, vcc
	v_mov_b32_e32 v4, s7
	v_add_co_u32_e32 v5, vcc, s6, v18
	v_addc_co_u32_e32 v4, vcc, 0, v4, vcc
	v_cmp_gt_u32_e32 vcc, s15, v0
	v_subrev_u32_e32 v6, s15, v14
	v_cndmask_b32_e32 v3, v3, v4, vcc
	v_cndmask_b32_e32 v2, v2, v5, vcc
	v_lshlrev_b64 v[4:5], 3, v[6:7]
	v_mov_b32_e32 v6, s5
	v_add_co_u32_e32 v8, vcc, s4, v4
	v_mov_b32_e32 v15, v7
	v_addc_co_u32_e32 v6, vcc, v6, v5, vcc
	v_lshlrev_b64 v[4:5], 3, v[14:15]
	v_mov_b32_e32 v9, s7
	v_add_co_u32_e32 v4, vcc, s6, v4
	v_addc_co_u32_e32 v5, vcc, v9, v5, vcc
	v_cmp_gt_u32_e32 vcc, s15, v14
	v_cndmask_b32_e32 v5, v6, v5, vcc
	v_subrev_u32_e32 v6, s15, v12
	v_cndmask_b32_e32 v4, v8, v4, vcc
	v_lshlrev_b64 v[8:9], 3, v[6:7]
	v_mov_b32_e32 v6, s5
	v_add_co_u32_e32 v8, vcc, s4, v8
	v_mov_b32_e32 v13, v7
	v_addc_co_u32_e32 v9, vcc, v6, v9, vcc
	v_lshlrev_b64 v[6:7], 3, v[12:13]
	v_mov_b32_e32 v13, s7
	v_add_co_u32_e32 v6, vcc, s6, v6
	v_addc_co_u32_e32 v7, vcc, v13, v7, vcc
	v_cmp_gt_u32_e32 vcc, s15, v12
	v_cndmask_b32_e32 v7, v9, v7, vcc
	v_cndmask_b32_e32 v6, v8, v6, vcc
	global_load_dwordx2 v[2:3], v[2:3], off
	v_add_u32_e32 v16, v12, v17
	global_load_dwordx2 v[4:5], v[4:5], off
	s_add_i32 s10, s17, s15
	global_load_dwordx2 v[6:7], v[6:7], off
	s_mov_b64 s[0:1], -1
	s_cbranch_execz .LBB1311_14
	s_branch .LBB1311_19
.LBB1311_13:
	s_mov_b64 s[0:1], 0
                                        ; implicit-def: $vgpr16
                                        ; implicit-def: $vgpr2_vgpr3_vgpr4_vgpr5_vgpr6_vgpr7_vgpr8_vgpr9
                                        ; implicit-def: $sgpr10
.LBB1311_14:
	s_add_i32 s10, s17, s15
	v_cmp_gt_u32_e32 vcc, s10, v0
                                        ; implicit-def: $vgpr2_vgpr3_vgpr4_vgpr5_vgpr6_vgpr7_vgpr8_vgpr9
	s_and_saveexec_b64 s[0:1], vcc
	s_cbranch_execnz .LBB1311_49
; %bb.15:
	s_or_b64 exec, exec, s[0:1]
	v_cmp_gt_u32_e32 vcc, s10, v14
	s_and_saveexec_b64 s[2:3], vcc
	s_cbranch_execnz .LBB1311_50
.LBB1311_16:
	s_or_b64 exec, exec, s[2:3]
	v_cmp_gt_u32_e32 vcc, s10, v12
	s_and_saveexec_b64 s[0:1], vcc
	s_cbranch_execz .LBB1311_18
.LBB1311_17:
	v_mov_b32_e32 v13, 0
	s_waitcnt vmcnt(0)
	v_lshlrev_b64 v[6:7], 3, v[12:13]
	v_mov_b32_e32 v14, s7
	v_add_co_u32_e32 v15, vcc, s6, v6
	v_addc_co_u32_e32 v14, vcc, v14, v7, vcc
	v_subrev_u32_e32 v6, s15, v12
	v_mov_b32_e32 v7, v13
	v_lshlrev_b64 v[6:7], 3, v[6:7]
	v_mov_b32_e32 v13, s5
	v_add_co_u32_e32 v6, vcc, s4, v6
	v_addc_co_u32_e32 v7, vcc, v13, v7, vcc
	v_cmp_gt_u32_e32 vcc, s15, v12
	v_cndmask_b32_e32 v7, v7, v14, vcc
	v_cndmask_b32_e32 v6, v6, v15, vcc
	global_load_dwordx2 v[6:7], v[6:7], off
.LBB1311_18:
	s_or_b64 exec, exec, s[0:1]
	v_add_u32_e32 v16, v12, v17
	v_cmp_gt_u32_e64 s[0:1], s10, v16
.LBB1311_19:
	v_mov_b32_e32 v13, s10
	s_and_saveexec_b64 s[2:3], s[0:1]
	s_cbranch_execz .LBB1311_21
; %bb.20:
	v_subrev_u32_e32 v8, s15, v16
	v_mov_b32_e32 v9, 0
	v_lshlrev_b64 v[12:13], 3, v[8:9]
	v_mov_b32_e32 v8, s5
	v_add_co_u32_e32 v12, vcc, s4, v12
	v_mov_b32_e32 v17, v9
	v_addc_co_u32_e32 v13, vcc, v8, v13, vcc
	v_lshlrev_b64 v[8:9], 3, v[16:17]
	v_mov_b32_e32 v14, s7
	v_add_co_u32_e32 v8, vcc, s6, v8
	v_addc_co_u32_e32 v9, vcc, v14, v9, vcc
	v_cmp_gt_u32_e32 vcc, s15, v16
	v_cndmask_b32_e32 v9, v13, v9, vcc
	v_cndmask_b32_e32 v8, v12, v8, vcc
	global_load_dwordx2 v[8:9], v[8:9], off
	v_mov_b32_e32 v13, s10
.LBB1311_21:
	s_or_b64 exec, exec, s[2:3]
	v_lshlrev_b32_e32 v12, 2, v0
	v_min_u32_e32 v15, v13, v12
	v_sub_u32_e64 v14, v15, s17 clamp
	v_min_u32_e32 v16, s15, v15
	v_cmp_lt_u32_e32 vcc, v14, v16
	s_waitcnt lgkmcnt(0)
	s_barrier
	s_and_saveexec_b64 s[0:1], vcc
	s_cbranch_execz .LBB1311_25
; %bb.22:
	v_lshlrev_b32_e32 v17, 1, v15
	v_lshl_add_u32 v17, s15, 1, v17
	s_mov_b64 s[2:3], 0
.LBB1311_23:                            ; =>This Inner Loop Header: Depth=1
	v_add_u32_e32 v21, v16, v14
	v_lshrrev_b32_e32 v22, 1, v21
	v_not_b32_e32 v23, v22
	v_and_b32_e32 v21, -2, v21
	v_lshl_add_u32 v23, v23, 1, v17
	ds_read_u16 v21, v21
	ds_read_u16 v23, v23
	v_add_u32_e32 v24, 1, v22
	s_waitcnt lgkmcnt(0)
	v_cmp_gt_i16_e32 vcc, v21, v23
	v_cndmask_b32_e32 v16, v16, v22, vcc
	v_cndmask_b32_e32 v14, v24, v14, vcc
	v_cmp_ge_u32_e32 vcc, v14, v16
	s_or_b64 s[2:3], vcc, s[2:3]
	s_andn2_b64 exec, exec, s[2:3]
	s_cbranch_execnz .LBB1311_23
; %bb.24:
	s_or_b64 exec, exec, s[2:3]
.LBB1311_25:
	s_or_b64 exec, exec, s[0:1]
	v_sub_u32_e32 v15, v15, v14
	v_add_u32_e32 v22, s15, v15
	v_cmp_ge_u32_e32 vcc, s15, v14
	v_cmp_le_u32_e64 s[0:1], v22, v13
	s_or_b64 s[0:1], vcc, s[0:1]
                                        ; implicit-def: $vgpr21
                                        ; implicit-def: $vgpr17
                                        ; implicit-def: $vgpr16
                                        ; implicit-def: $vgpr15
	s_and_saveexec_b64 s[10:11], s[0:1]
	s_cbranch_execz .LBB1311_31
; %bb.26:
	v_cmp_gt_u32_e32 vcc, s15, v14
                                        ; implicit-def: $vgpr10
	s_and_saveexec_b64 s[0:1], vcc
	s_cbranch_execz .LBB1311_28
; %bb.27:
	v_lshlrev_b32_e32 v10, 1, v14
	ds_read_u16 v10, v10
.LBB1311_28:
	s_or_b64 exec, exec, s[0:1]
	v_cmp_ge_u32_e64 s[0:1], v22, v13
	v_cmp_lt_u32_e64 s[2:3], v22, v13
                                        ; implicit-def: $vgpr11
	s_and_saveexec_b64 s[4:5], s[2:3]
	s_cbranch_execz .LBB1311_30
; %bb.29:
	v_lshlrev_b32_e32 v11, 1, v22
	ds_read_u16 v11, v11
.LBB1311_30:
	s_or_b64 exec, exec, s[4:5]
	s_waitcnt lgkmcnt(0)
	v_cmp_le_i16_e64 s[2:3], v10, v11
	s_and_b64 s[2:3], vcc, s[2:3]
	s_or_b64 vcc, s[0:1], s[2:3]
	v_mov_b32_e32 v19, s15
	v_cndmask_b32_e32 v15, v22, v14, vcc
	v_cndmask_b32_e32 v16, v13, v19, vcc
	v_add_u32_e32 v17, 1, v15
	v_add_u32_e32 v16, -1, v16
	v_min_u32_e32 v16, v17, v16
	v_lshlrev_b32_e32 v16, 1, v16
	ds_read_u16 v16, v16
	v_cndmask_b32_e32 v14, v14, v17, vcc
	v_cndmask_b32_e32 v22, v17, v22, vcc
	v_cmp_gt_u32_e64 s[2:3], s15, v14
	v_cmp_ge_u32_e64 s[0:1], v22, v13
	s_waitcnt lgkmcnt(0)
	v_cndmask_b32_e32 v20, v16, v11, vcc
	v_cndmask_b32_e32 v21, v10, v16, vcc
	v_cmp_le_i16_e64 s[4:5], v21, v20
	s_and_b64 s[2:3], s[2:3], s[4:5]
	s_or_b64 s[0:1], s[0:1], s[2:3]
	v_cndmask_b32_e64 v16, v22, v14, s[0:1]
	v_cndmask_b32_e64 v17, v13, v19, s[0:1]
	v_add_u32_e32 v23, 1, v16
	v_add_u32_e32 v17, -1, v17
	v_min_u32_e32 v17, v23, v17
	v_lshlrev_b32_e32 v17, 1, v17
	ds_read_u16 v17, v17
	v_cndmask_b32_e64 v14, v14, v23, s[0:1]
	v_cndmask_b32_e64 v22, v23, v22, s[0:1]
	v_cmp_gt_u32_e64 s[4:5], s15, v14
	v_cmp_ge_u32_e64 s[2:3], v22, v13
	s_waitcnt lgkmcnt(0)
	v_cndmask_b32_e64 v24, v17, v20, s[0:1]
	v_cndmask_b32_e64 v25, v21, v17, s[0:1]
	v_cmp_le_i16_e64 s[6:7], v25, v24
	s_and_b64 s[4:5], s[4:5], s[6:7]
	s_or_b64 s[2:3], s[2:3], s[4:5]
	v_cndmask_b32_e64 v17, v22, v14, s[2:3]
	v_cndmask_b32_e64 v19, v13, v19, s[2:3]
	v_add_u32_e32 v23, 1, v17
	v_add_u32_e32 v19, -1, v19
	v_min_u32_e32 v19, v23, v19
	v_lshlrev_b32_e32 v19, 1, v19
	ds_read_u16 v26, v19
	v_cndmask_b32_e32 v10, v11, v10, vcc
	v_cndmask_b32_e64 v19, v20, v21, s[0:1]
	v_cndmask_b32_e64 v11, v24, v25, s[2:3]
	;; [unrolled: 1-line block ×3, first 2 shown]
	s_waitcnt lgkmcnt(0)
	v_cndmask_b32_e64 v20, v26, v24, s[2:3]
	v_cndmask_b32_e64 v24, v25, v26, s[2:3]
	v_cndmask_b32_e64 v21, v23, v22, s[2:3]
	v_cmp_gt_u32_e64 s[0:1], s15, v14
	v_cmp_le_i16_e64 s[2:3], v24, v20
	v_cmp_ge_u32_e32 vcc, v21, v13
	s_and_b64 s[0:1], s[0:1], s[2:3]
	s_or_b64 vcc, vcc, s[0:1]
	v_cndmask_b32_e32 v21, v21, v14, vcc
	v_cndmask_b32_e32 v20, v20, v24, vcc
.LBB1311_31:
	s_or_b64 exec, exec, s[10:11]
	v_lshrrev_b32_e32 v13, 2, v0
	v_mad_u32_u24 v14, v0, 6, v1
	v_and_b32_e32 v13, 60, v13
	s_mov_b32 s2, 0x5040100
	s_barrier
	s_waitcnt vmcnt(0)
	ds_write2st64_b64 v14, v[2:3], v[4:5] offset1:4
	ds_write2st64_b64 v14, v[6:7], v[8:9] offset0:8 offset1:12
	v_lshlrev_b32_e32 v2, 3, v15
	v_lshlrev_b32_e32 v3, 3, v16
	;; [unrolled: 1-line block ×4, first 2 shown]
	v_add_u32_e32 v13, v14, v13
	v_perm_b32 v11, v20, v11, s2
	v_perm_b32 v10, v19, v10, s2
	s_waitcnt lgkmcnt(0)
	s_barrier
	ds_read_b64 v[6:7], v2
	ds_read_b64 v[8:9], v3
	;; [unrolled: 1-line block ×4, first 2 shown]
	s_waitcnt lgkmcnt(0)
	s_barrier
	s_barrier
	ds_write2_b32 v13, v10, v11 offset1:1
	v_lshrrev_b32_e32 v10, 4, v0
	v_and_b32_e32 v10, 12, v10
	v_or_b32_e32 v23, 0x100, v0
	v_add_u32_e32 v24, v1, v10
	v_lshrrev_b32_e32 v10, 4, v23
	v_and_b32_e32 v10, 28, v10
	v_or_b32_e32 v22, 0x200, v0
	s_mov_b32 s17, 0
	v_add_u32_e32 v25, v1, v10
	v_lshrrev_b32_e32 v10, 4, v22
	s_lshl_b64 s[0:1], s[16:17], 1
	v_and_b32_e32 v10, 44, v10
	v_or_b32_e32 v21, 0x300, v0
	s_add_u32 s0, s8, s0
	v_add_u32_e32 v26, v1, v10
	v_lshrrev_b32_e32 v10, 4, v21
	s_addc_u32 s1, s9, s1
	v_and_b32_e32 v10, 60, v10
	v_add_u32_e32 v27, v1, v10
	v_mov_b32_e32 v11, s1
	v_add_co_u32_e32 v10, vcc, s0, v1
	v_lshrrev_b32_e32 v13, 5, v23
	v_lshrrev_b32_e32 v17, 5, v22
	;; [unrolled: 1-line block ×3, first 2 shown]
	v_addc_co_u32_e32 v11, vcc, 0, v11, vcc
	v_lshrrev_b32_e32 v16, 3, v0
	v_lshrrev_b32_e32 v15, 5, v0
	s_and_b64 vcc, exec, s[18:19]
	v_lshlrev_b32_e32 v20, 3, v12
	v_lshl_add_u32 v1, v13, 3, v14
	v_lshl_add_u32 v17, v17, 3, v14
	;; [unrolled: 1-line block ×3, first 2 shown]
	s_waitcnt lgkmcnt(0)
	s_cbranch_vccz .LBB1311_33
; %bb.32:
	s_barrier
	ds_read_u16 v12, v24
	ds_read_u16 v13, v25 offset:512
	ds_read_u16 v28, v26 offset:1024
	;; [unrolled: 1-line block ×3, first 2 shown]
	s_lshl_b64 s[0:1], s[16:17], 3
	s_add_u32 s0, s12, s0
	s_waitcnt lgkmcnt(3)
	global_store_short v[10:11], v12, off
	s_waitcnt lgkmcnt(2)
	global_store_short v[10:11], v13, off offset:512
	s_waitcnt lgkmcnt(1)
	global_store_short v[10:11], v28, off offset:1024
	;; [unrolled: 2-line block ×3, first 2 shown]
	v_lshl_add_u32 v12, v16, 3, v20
	s_barrier
	ds_write2_b64 v12, v[6:7], v[8:9] offset1:1
	ds_write2_b64 v12, v[2:3], v[4:5] offset0:2 offset1:3
	v_lshl_add_u32 v12, v15, 3, v14
	s_addc_u32 s1, s13, s1
	s_waitcnt lgkmcnt(0)
	s_barrier
	ds_read_b64 v[28:29], v12
	ds_read_b64 v[30:31], v1 offset:2048
	ds_read_b64 v[32:33], v17 offset:4096
	;; [unrolled: 1-line block ×3, first 2 shown]
	v_mov_b32_e32 v34, s1
	v_add_co_u32_e32 v35, vcc, s0, v18
	v_addc_co_u32_e32 v34, vcc, 0, v34, vcc
	s_waitcnt lgkmcnt(3)
	global_store_dwordx2 v18, v[28:29], s[0:1]
	s_waitcnt lgkmcnt(2)
	global_store_dwordx2 v18, v[30:31], s[0:1] offset:2048
	v_add_co_u32_e32 v28, vcc, 0x1000, v35
	v_addc_co_u32_e32 v29, vcc, 0, v34, vcc
	s_waitcnt lgkmcnt(1)
	global_store_dwordx2 v[28:29], v[32:33], off
	s_mov_b64 s[6:7], -1
	s_cbranch_execz .LBB1311_34
	s_branch .LBB1311_44
.LBB1311_33:
	s_mov_b64 s[6:7], 0
                                        ; implicit-def: $vgpr12_vgpr13
.LBB1311_34:
	s_barrier
	s_waitcnt lgkmcnt(0)
	ds_read_u16 v25, v25 offset:512
	ds_read_u16 v13, v26 offset:1024
	;; [unrolled: 1-line block ×3, first 2 shown]
	s_sub_i32 s6, s14, s16
	v_cmp_gt_u32_e32 vcc, s6, v0
	s_and_saveexec_b64 s[0:1], vcc
	s_cbranch_execnz .LBB1311_51
; %bb.35:
	s_or_b64 exec, exec, s[0:1]
	v_cmp_gt_u32_e64 s[0:1], s6, v23
	s_and_saveexec_b64 s[2:3], s[0:1]
	s_cbranch_execnz .LBB1311_52
.LBB1311_36:
	s_or_b64 exec, exec, s[2:3]
	v_cmp_gt_u32_e64 s[2:3], s6, v22
	s_and_saveexec_b64 s[4:5], s[2:3]
	s_cbranch_execnz .LBB1311_53
.LBB1311_37:
	s_or_b64 exec, exec, s[4:5]
	v_cmp_gt_u32_e64 s[6:7], s6, v21
	s_and_saveexec_b64 s[4:5], s[6:7]
	s_cbranch_execz .LBB1311_39
.LBB1311_38:
	s_waitcnt lgkmcnt(0)
	global_store_short v[10:11], v12, off offset:1536
.LBB1311_39:
	s_or_b64 exec, exec, s[4:5]
	v_lshl_add_u32 v0, v16, 3, v20
	s_waitcnt lgkmcnt(0)
	s_barrier
	ds_write2_b64 v0, v[6:7], v[8:9] offset1:1
	ds_write2_b64 v0, v[2:3], v[4:5] offset0:2 offset1:3
	s_waitcnt lgkmcnt(0)
	s_barrier
	ds_read_b64 v[4:5], v1 offset:2048
	ds_read_b64 v[0:1], v17 offset:4096
	;; [unrolled: 1-line block ×3, first 2 shown]
	s_lshl_b64 s[4:5], s[16:17], 3
	s_add_u32 s4, s12, s4
	s_addc_u32 s5, s13, s5
	v_mov_b32_e32 v3, s5
	v_add_co_u32_e64 v2, s[4:5], s4, v18
	v_addc_co_u32_e64 v3, s[4:5], 0, v3, s[4:5]
	s_and_saveexec_b64 s[4:5], vcc
	s_cbranch_execnz .LBB1311_54
; %bb.40:
	s_or_b64 exec, exec, s[4:5]
	s_and_saveexec_b64 s[4:5], s[0:1]
	s_cbranch_execnz .LBB1311_55
.LBB1311_41:
	s_or_b64 exec, exec, s[4:5]
	s_and_saveexec_b64 s[0:1], s[2:3]
	s_cbranch_execz .LBB1311_43
.LBB1311_42:
	v_add_co_u32_e32 v2, vcc, 0x1000, v2
	v_addc_co_u32_e32 v3, vcc, 0, v3, vcc
	s_waitcnt lgkmcnt(1)
	global_store_dwordx2 v[2:3], v[0:1], off
.LBB1311_43:
	s_or_b64 exec, exec, s[0:1]
.LBB1311_44:
	s_and_saveexec_b64 s[0:1], s[6:7]
	s_cbranch_execz .LBB1311_46
; %bb.45:
	s_lshl_b64 s[0:1], s[16:17], 3
	s_add_u32 s0, s12, s0
	s_addc_u32 s1, s13, s1
	s_waitcnt lgkmcnt(1)
	v_mov_b32_e32 v0, s1
	v_add_co_u32_e32 v1, vcc, s0, v18
	v_addc_co_u32_e32 v2, vcc, 0, v0, vcc
	v_add_co_u32_e32 v0, vcc, 0x1000, v1
	v_addc_co_u32_e32 v1, vcc, 0, v2, vcc
	s_waitcnt lgkmcnt(0)
	global_store_dwordx2 v[0:1], v[12:13], off offset:2048
.LBB1311_46:
	s_endpgm
.LBB1311_47:
	v_mov_b32_e32 v2, s25
	v_add_co_u32_e32 v4, vcc, s24, v1
	v_mov_b32_e32 v3, 0
	v_addc_co_u32_e32 v5, vcc, 0, v2, vcc
	v_subrev_u32_e32 v2, s15, v0
	v_lshlrev_b64 v[2:3], 1, v[2:3]
	v_mov_b32_e32 v6, s23
	v_add_co_u32_e32 v2, vcc, s21, v2
	v_addc_co_u32_e32 v3, vcc, v6, v3, vcc
	v_cmp_gt_u32_e32 vcc, s15, v0
	v_cndmask_b32_e32 v3, v3, v5, vcc
	v_cndmask_b32_e32 v2, v2, v4, vcc
	global_load_ushort v10, v[2:3], off
	s_or_b64 exec, exec, s[0:1]
	v_cmp_gt_u32_e32 vcc, s6, v14
	s_and_saveexec_b64 s[0:1], vcc
	s_cbranch_execz .LBB1311_6
.LBB1311_48:
	v_mov_b32_e32 v15, 0
	v_lshlrev_b64 v[2:3], 1, v[14:15]
	v_mov_b32_e32 v4, s25
	v_add_co_u32_e32 v5, vcc, s24, v2
	v_addc_co_u32_e32 v4, vcc, v4, v3, vcc
	v_subrev_u32_e32 v2, s15, v14
	v_mov_b32_e32 v3, v15
	v_lshlrev_b64 v[2:3], 1, v[2:3]
	v_mov_b32_e32 v6, s23
	v_add_co_u32_e32 v2, vcc, s21, v2
	v_addc_co_u32_e32 v3, vcc, v6, v3, vcc
	v_cmp_gt_u32_e32 vcc, s15, v14
	v_cndmask_b32_e32 v3, v3, v4, vcc
	v_cndmask_b32_e32 v2, v2, v5, vcc
	global_load_ushort v2, v[2:3], off
	s_mov_b32 s7, 0x5040100
	s_waitcnt vmcnt(0)
	v_perm_b32 v10, v2, v10, s7
	s_or_b64 exec, exec, s[0:1]
	v_cmp_gt_u32_e32 vcc, s6, v12
	s_and_saveexec_b64 s[0:1], vcc
	s_cbranch_execnz .LBB1311_7
	s_branch .LBB1311_8
.LBB1311_49:
	s_waitcnt vmcnt(2)
	v_mov_b32_e32 v2, s7
	s_waitcnt vmcnt(1)
	v_add_co_u32_e32 v4, vcc, s6, v18
	v_mov_b32_e32 v3, 0
	v_addc_co_u32_e32 v5, vcc, 0, v2, vcc
	v_subrev_u32_e32 v2, s15, v0
	v_lshlrev_b64 v[2:3], 3, v[2:3]
	s_waitcnt vmcnt(0)
	v_mov_b32_e32 v6, s5
	v_add_co_u32_e32 v2, vcc, s4, v2
	v_addc_co_u32_e32 v3, vcc, v6, v3, vcc
	v_cmp_gt_u32_e32 vcc, s15, v0
	v_cndmask_b32_e32 v3, v3, v5, vcc
	v_cndmask_b32_e32 v2, v2, v4, vcc
	global_load_dwordx2 v[2:3], v[2:3], off
	s_or_b64 exec, exec, s[0:1]
	v_cmp_gt_u32_e32 vcc, s10, v14
	s_and_saveexec_b64 s[2:3], vcc
	s_cbranch_execz .LBB1311_16
.LBB1311_50:
	v_mov_b32_e32 v15, 0
	s_waitcnt vmcnt(1)
	v_lshlrev_b64 v[4:5], 3, v[14:15]
	v_mov_b32_e32 v13, s7
	v_add_co_u32_e32 v16, vcc, s6, v4
	v_addc_co_u32_e32 v13, vcc, v13, v5, vcc
	v_cmp_gt_u32_e32 vcc, s15, v14
	v_subrev_u32_e32 v14, s15, v14
	v_lshlrev_b64 v[4:5], 3, v[14:15]
	v_mov_b32_e32 v14, s5
	v_add_co_u32_e64 v4, s[0:1], s4, v4
	v_addc_co_u32_e64 v5, s[0:1], v14, v5, s[0:1]
	v_cndmask_b32_e32 v5, v5, v13, vcc
	v_cndmask_b32_e32 v4, v4, v16, vcc
	global_load_dwordx2 v[4:5], v[4:5], off
	s_or_b64 exec, exec, s[2:3]
	v_cmp_gt_u32_e32 vcc, s10, v12
	s_and_saveexec_b64 s[0:1], vcc
	s_cbranch_execnz .LBB1311_17
	s_branch .LBB1311_18
.LBB1311_51:
	ds_read_u16 v0, v24
	s_waitcnt lgkmcnt(0)
	global_store_short v[10:11], v0, off
	s_or_b64 exec, exec, s[0:1]
	v_cmp_gt_u32_e64 s[0:1], s6, v23
	s_and_saveexec_b64 s[2:3], s[0:1]
	s_cbranch_execz .LBB1311_36
.LBB1311_52:
	s_waitcnt lgkmcnt(2)
	global_store_short v[10:11], v25, off offset:512
	s_or_b64 exec, exec, s[2:3]
	v_cmp_gt_u32_e64 s[2:3], s6, v22
	s_and_saveexec_b64 s[4:5], s[2:3]
	s_cbranch_execz .LBB1311_37
.LBB1311_53:
	s_waitcnt lgkmcnt(1)
	global_store_short v[10:11], v13, off offset:1024
	s_or_b64 exec, exec, s[4:5]
	v_cmp_gt_u32_e64 s[6:7], s6, v21
	s_and_saveexec_b64 s[4:5], s[6:7]
	s_cbranch_execnz .LBB1311_38
	s_branch .LBB1311_39
.LBB1311_54:
	v_lshl_add_u32 v6, v15, 3, v14
	ds_read_b64 v[6:7], v6
	s_waitcnt lgkmcnt(0)
	global_store_dwordx2 v[2:3], v[6:7], off
	s_or_b64 exec, exec, s[4:5]
	s_and_saveexec_b64 s[4:5], s[0:1]
	s_cbranch_execz .LBB1311_41
.LBB1311_55:
	s_waitcnt lgkmcnt(2)
	global_store_dwordx2 v[2:3], v[4:5], off offset:2048
	s_or_b64 exec, exec, s[4:5]
	s_and_saveexec_b64 s[0:1], s[2:3]
	s_cbranch_execnz .LBB1311_42
	s_branch .LBB1311_43
	.section	.rodata,"a",@progbits
	.p2align	6, 0x0
	.amdhsa_kernel _ZN7rocprim17ROCPRIM_400000_NS6detail17trampoline_kernelINS0_14default_configENS1_38merge_sort_block_merge_config_selectorIslEEZZNS1_27merge_sort_block_merge_implIS3_PsN6thrust23THRUST_200600_302600_NS10device_ptrIlEEjNS1_19radix_merge_compareILb0ELb0EsNS0_19identity_decomposerEEEEE10hipError_tT0_T1_T2_jT3_P12ihipStream_tbPNSt15iterator_traitsISG_E10value_typeEPNSM_ISH_E10value_typeEPSI_NS1_7vsmem_tEENKUlT_SG_SH_SI_E_clIS7_S7_SB_PlEESF_SV_SG_SH_SI_EUlSV_E0_NS1_11comp_targetILNS1_3genE4ELNS1_11target_archE910ELNS1_3gpuE8ELNS1_3repE0EEENS1_38merge_mergepath_config_static_selectorELNS0_4arch9wavefront6targetE1EEEvSH_
		.amdhsa_group_segment_fixed_size 8448
		.amdhsa_private_segment_fixed_size 0
		.amdhsa_kernarg_size 320
		.amdhsa_user_sgpr_count 6
		.amdhsa_user_sgpr_private_segment_buffer 1
		.amdhsa_user_sgpr_dispatch_ptr 0
		.amdhsa_user_sgpr_queue_ptr 0
		.amdhsa_user_sgpr_kernarg_segment_ptr 1
		.amdhsa_user_sgpr_dispatch_id 0
		.amdhsa_user_sgpr_flat_scratch_init 0
		.amdhsa_user_sgpr_kernarg_preload_length 0
		.amdhsa_user_sgpr_kernarg_preload_offset 0
		.amdhsa_user_sgpr_private_segment_size 0
		.amdhsa_uses_dynamic_stack 0
		.amdhsa_system_sgpr_private_segment_wavefront_offset 0
		.amdhsa_system_sgpr_workgroup_id_x 1
		.amdhsa_system_sgpr_workgroup_id_y 1
		.amdhsa_system_sgpr_workgroup_id_z 1
		.amdhsa_system_sgpr_workgroup_info 0
		.amdhsa_system_vgpr_workitem_id 0
		.amdhsa_next_free_vgpr 36
		.amdhsa_next_free_sgpr 30
		.amdhsa_accum_offset 36
		.amdhsa_reserve_vcc 1
		.amdhsa_reserve_flat_scratch 0
		.amdhsa_float_round_mode_32 0
		.amdhsa_float_round_mode_16_64 0
		.amdhsa_float_denorm_mode_32 3
		.amdhsa_float_denorm_mode_16_64 3
		.amdhsa_dx10_clamp 1
		.amdhsa_ieee_mode 1
		.amdhsa_fp16_overflow 0
		.amdhsa_tg_split 0
		.amdhsa_exception_fp_ieee_invalid_op 0
		.amdhsa_exception_fp_denorm_src 0
		.amdhsa_exception_fp_ieee_div_zero 0
		.amdhsa_exception_fp_ieee_overflow 0
		.amdhsa_exception_fp_ieee_underflow 0
		.amdhsa_exception_fp_ieee_inexact 0
		.amdhsa_exception_int_div_zero 0
	.end_amdhsa_kernel
	.section	.text._ZN7rocprim17ROCPRIM_400000_NS6detail17trampoline_kernelINS0_14default_configENS1_38merge_sort_block_merge_config_selectorIslEEZZNS1_27merge_sort_block_merge_implIS3_PsN6thrust23THRUST_200600_302600_NS10device_ptrIlEEjNS1_19radix_merge_compareILb0ELb0EsNS0_19identity_decomposerEEEEE10hipError_tT0_T1_T2_jT3_P12ihipStream_tbPNSt15iterator_traitsISG_E10value_typeEPNSM_ISH_E10value_typeEPSI_NS1_7vsmem_tEENKUlT_SG_SH_SI_E_clIS7_S7_SB_PlEESF_SV_SG_SH_SI_EUlSV_E0_NS1_11comp_targetILNS1_3genE4ELNS1_11target_archE910ELNS1_3gpuE8ELNS1_3repE0EEENS1_38merge_mergepath_config_static_selectorELNS0_4arch9wavefront6targetE1EEEvSH_,"axG",@progbits,_ZN7rocprim17ROCPRIM_400000_NS6detail17trampoline_kernelINS0_14default_configENS1_38merge_sort_block_merge_config_selectorIslEEZZNS1_27merge_sort_block_merge_implIS3_PsN6thrust23THRUST_200600_302600_NS10device_ptrIlEEjNS1_19radix_merge_compareILb0ELb0EsNS0_19identity_decomposerEEEEE10hipError_tT0_T1_T2_jT3_P12ihipStream_tbPNSt15iterator_traitsISG_E10value_typeEPNSM_ISH_E10value_typeEPSI_NS1_7vsmem_tEENKUlT_SG_SH_SI_E_clIS7_S7_SB_PlEESF_SV_SG_SH_SI_EUlSV_E0_NS1_11comp_targetILNS1_3genE4ELNS1_11target_archE910ELNS1_3gpuE8ELNS1_3repE0EEENS1_38merge_mergepath_config_static_selectorELNS0_4arch9wavefront6targetE1EEEvSH_,comdat
.Lfunc_end1311:
	.size	_ZN7rocprim17ROCPRIM_400000_NS6detail17trampoline_kernelINS0_14default_configENS1_38merge_sort_block_merge_config_selectorIslEEZZNS1_27merge_sort_block_merge_implIS3_PsN6thrust23THRUST_200600_302600_NS10device_ptrIlEEjNS1_19radix_merge_compareILb0ELb0EsNS0_19identity_decomposerEEEEE10hipError_tT0_T1_T2_jT3_P12ihipStream_tbPNSt15iterator_traitsISG_E10value_typeEPNSM_ISH_E10value_typeEPSI_NS1_7vsmem_tEENKUlT_SG_SH_SI_E_clIS7_S7_SB_PlEESF_SV_SG_SH_SI_EUlSV_E0_NS1_11comp_targetILNS1_3genE4ELNS1_11target_archE910ELNS1_3gpuE8ELNS1_3repE0EEENS1_38merge_mergepath_config_static_selectorELNS0_4arch9wavefront6targetE1EEEvSH_, .Lfunc_end1311-_ZN7rocprim17ROCPRIM_400000_NS6detail17trampoline_kernelINS0_14default_configENS1_38merge_sort_block_merge_config_selectorIslEEZZNS1_27merge_sort_block_merge_implIS3_PsN6thrust23THRUST_200600_302600_NS10device_ptrIlEEjNS1_19radix_merge_compareILb0ELb0EsNS0_19identity_decomposerEEEEE10hipError_tT0_T1_T2_jT3_P12ihipStream_tbPNSt15iterator_traitsISG_E10value_typeEPNSM_ISH_E10value_typeEPSI_NS1_7vsmem_tEENKUlT_SG_SH_SI_E_clIS7_S7_SB_PlEESF_SV_SG_SH_SI_EUlSV_E0_NS1_11comp_targetILNS1_3genE4ELNS1_11target_archE910ELNS1_3gpuE8ELNS1_3repE0EEENS1_38merge_mergepath_config_static_selectorELNS0_4arch9wavefront6targetE1EEEvSH_
                                        ; -- End function
	.section	.AMDGPU.csdata,"",@progbits
; Kernel info:
; codeLenInByte = 3416
; NumSgprs: 34
; NumVgprs: 36
; NumAgprs: 0
; TotalNumVgprs: 36
; ScratchSize: 0
; MemoryBound: 0
; FloatMode: 240
; IeeeMode: 1
; LDSByteSize: 8448 bytes/workgroup (compile time only)
; SGPRBlocks: 4
; VGPRBlocks: 4
; NumSGPRsForWavesPerEU: 34
; NumVGPRsForWavesPerEU: 36
; AccumOffset: 36
; Occupancy: 7
; WaveLimiterHint : 1
; COMPUTE_PGM_RSRC2:SCRATCH_EN: 0
; COMPUTE_PGM_RSRC2:USER_SGPR: 6
; COMPUTE_PGM_RSRC2:TRAP_HANDLER: 0
; COMPUTE_PGM_RSRC2:TGID_X_EN: 1
; COMPUTE_PGM_RSRC2:TGID_Y_EN: 1
; COMPUTE_PGM_RSRC2:TGID_Z_EN: 1
; COMPUTE_PGM_RSRC2:TIDIG_COMP_CNT: 0
; COMPUTE_PGM_RSRC3_GFX90A:ACCUM_OFFSET: 8
; COMPUTE_PGM_RSRC3_GFX90A:TG_SPLIT: 0
	.section	.text._ZN7rocprim17ROCPRIM_400000_NS6detail17trampoline_kernelINS0_14default_configENS1_38merge_sort_block_merge_config_selectorIslEEZZNS1_27merge_sort_block_merge_implIS3_PsN6thrust23THRUST_200600_302600_NS10device_ptrIlEEjNS1_19radix_merge_compareILb0ELb0EsNS0_19identity_decomposerEEEEE10hipError_tT0_T1_T2_jT3_P12ihipStream_tbPNSt15iterator_traitsISG_E10value_typeEPNSM_ISH_E10value_typeEPSI_NS1_7vsmem_tEENKUlT_SG_SH_SI_E_clIS7_S7_SB_PlEESF_SV_SG_SH_SI_EUlSV_E0_NS1_11comp_targetILNS1_3genE3ELNS1_11target_archE908ELNS1_3gpuE7ELNS1_3repE0EEENS1_38merge_mergepath_config_static_selectorELNS0_4arch9wavefront6targetE1EEEvSH_,"axG",@progbits,_ZN7rocprim17ROCPRIM_400000_NS6detail17trampoline_kernelINS0_14default_configENS1_38merge_sort_block_merge_config_selectorIslEEZZNS1_27merge_sort_block_merge_implIS3_PsN6thrust23THRUST_200600_302600_NS10device_ptrIlEEjNS1_19radix_merge_compareILb0ELb0EsNS0_19identity_decomposerEEEEE10hipError_tT0_T1_T2_jT3_P12ihipStream_tbPNSt15iterator_traitsISG_E10value_typeEPNSM_ISH_E10value_typeEPSI_NS1_7vsmem_tEENKUlT_SG_SH_SI_E_clIS7_S7_SB_PlEESF_SV_SG_SH_SI_EUlSV_E0_NS1_11comp_targetILNS1_3genE3ELNS1_11target_archE908ELNS1_3gpuE7ELNS1_3repE0EEENS1_38merge_mergepath_config_static_selectorELNS0_4arch9wavefront6targetE1EEEvSH_,comdat
	.protected	_ZN7rocprim17ROCPRIM_400000_NS6detail17trampoline_kernelINS0_14default_configENS1_38merge_sort_block_merge_config_selectorIslEEZZNS1_27merge_sort_block_merge_implIS3_PsN6thrust23THRUST_200600_302600_NS10device_ptrIlEEjNS1_19radix_merge_compareILb0ELb0EsNS0_19identity_decomposerEEEEE10hipError_tT0_T1_T2_jT3_P12ihipStream_tbPNSt15iterator_traitsISG_E10value_typeEPNSM_ISH_E10value_typeEPSI_NS1_7vsmem_tEENKUlT_SG_SH_SI_E_clIS7_S7_SB_PlEESF_SV_SG_SH_SI_EUlSV_E0_NS1_11comp_targetILNS1_3genE3ELNS1_11target_archE908ELNS1_3gpuE7ELNS1_3repE0EEENS1_38merge_mergepath_config_static_selectorELNS0_4arch9wavefront6targetE1EEEvSH_ ; -- Begin function _ZN7rocprim17ROCPRIM_400000_NS6detail17trampoline_kernelINS0_14default_configENS1_38merge_sort_block_merge_config_selectorIslEEZZNS1_27merge_sort_block_merge_implIS3_PsN6thrust23THRUST_200600_302600_NS10device_ptrIlEEjNS1_19radix_merge_compareILb0ELb0EsNS0_19identity_decomposerEEEEE10hipError_tT0_T1_T2_jT3_P12ihipStream_tbPNSt15iterator_traitsISG_E10value_typeEPNSM_ISH_E10value_typeEPSI_NS1_7vsmem_tEENKUlT_SG_SH_SI_E_clIS7_S7_SB_PlEESF_SV_SG_SH_SI_EUlSV_E0_NS1_11comp_targetILNS1_3genE3ELNS1_11target_archE908ELNS1_3gpuE7ELNS1_3repE0EEENS1_38merge_mergepath_config_static_selectorELNS0_4arch9wavefront6targetE1EEEvSH_
	.globl	_ZN7rocprim17ROCPRIM_400000_NS6detail17trampoline_kernelINS0_14default_configENS1_38merge_sort_block_merge_config_selectorIslEEZZNS1_27merge_sort_block_merge_implIS3_PsN6thrust23THRUST_200600_302600_NS10device_ptrIlEEjNS1_19radix_merge_compareILb0ELb0EsNS0_19identity_decomposerEEEEE10hipError_tT0_T1_T2_jT3_P12ihipStream_tbPNSt15iterator_traitsISG_E10value_typeEPNSM_ISH_E10value_typeEPSI_NS1_7vsmem_tEENKUlT_SG_SH_SI_E_clIS7_S7_SB_PlEESF_SV_SG_SH_SI_EUlSV_E0_NS1_11comp_targetILNS1_3genE3ELNS1_11target_archE908ELNS1_3gpuE7ELNS1_3repE0EEENS1_38merge_mergepath_config_static_selectorELNS0_4arch9wavefront6targetE1EEEvSH_
	.p2align	8
	.type	_ZN7rocprim17ROCPRIM_400000_NS6detail17trampoline_kernelINS0_14default_configENS1_38merge_sort_block_merge_config_selectorIslEEZZNS1_27merge_sort_block_merge_implIS3_PsN6thrust23THRUST_200600_302600_NS10device_ptrIlEEjNS1_19radix_merge_compareILb0ELb0EsNS0_19identity_decomposerEEEEE10hipError_tT0_T1_T2_jT3_P12ihipStream_tbPNSt15iterator_traitsISG_E10value_typeEPNSM_ISH_E10value_typeEPSI_NS1_7vsmem_tEENKUlT_SG_SH_SI_E_clIS7_S7_SB_PlEESF_SV_SG_SH_SI_EUlSV_E0_NS1_11comp_targetILNS1_3genE3ELNS1_11target_archE908ELNS1_3gpuE7ELNS1_3repE0EEENS1_38merge_mergepath_config_static_selectorELNS0_4arch9wavefront6targetE1EEEvSH_,@function
_ZN7rocprim17ROCPRIM_400000_NS6detail17trampoline_kernelINS0_14default_configENS1_38merge_sort_block_merge_config_selectorIslEEZZNS1_27merge_sort_block_merge_implIS3_PsN6thrust23THRUST_200600_302600_NS10device_ptrIlEEjNS1_19radix_merge_compareILb0ELb0EsNS0_19identity_decomposerEEEEE10hipError_tT0_T1_T2_jT3_P12ihipStream_tbPNSt15iterator_traitsISG_E10value_typeEPNSM_ISH_E10value_typeEPSI_NS1_7vsmem_tEENKUlT_SG_SH_SI_E_clIS7_S7_SB_PlEESF_SV_SG_SH_SI_EUlSV_E0_NS1_11comp_targetILNS1_3genE3ELNS1_11target_archE908ELNS1_3gpuE7ELNS1_3repE0EEENS1_38merge_mergepath_config_static_selectorELNS0_4arch9wavefront6targetE1EEEvSH_: ; @_ZN7rocprim17ROCPRIM_400000_NS6detail17trampoline_kernelINS0_14default_configENS1_38merge_sort_block_merge_config_selectorIslEEZZNS1_27merge_sort_block_merge_implIS3_PsN6thrust23THRUST_200600_302600_NS10device_ptrIlEEjNS1_19radix_merge_compareILb0ELb0EsNS0_19identity_decomposerEEEEE10hipError_tT0_T1_T2_jT3_P12ihipStream_tbPNSt15iterator_traitsISG_E10value_typeEPNSM_ISH_E10value_typeEPSI_NS1_7vsmem_tEENKUlT_SG_SH_SI_E_clIS7_S7_SB_PlEESF_SV_SG_SH_SI_EUlSV_E0_NS1_11comp_targetILNS1_3genE3ELNS1_11target_archE908ELNS1_3gpuE7ELNS1_3repE0EEENS1_38merge_mergepath_config_static_selectorELNS0_4arch9wavefront6targetE1EEEvSH_
; %bb.0:
	.section	.rodata,"a",@progbits
	.p2align	6, 0x0
	.amdhsa_kernel _ZN7rocprim17ROCPRIM_400000_NS6detail17trampoline_kernelINS0_14default_configENS1_38merge_sort_block_merge_config_selectorIslEEZZNS1_27merge_sort_block_merge_implIS3_PsN6thrust23THRUST_200600_302600_NS10device_ptrIlEEjNS1_19radix_merge_compareILb0ELb0EsNS0_19identity_decomposerEEEEE10hipError_tT0_T1_T2_jT3_P12ihipStream_tbPNSt15iterator_traitsISG_E10value_typeEPNSM_ISH_E10value_typeEPSI_NS1_7vsmem_tEENKUlT_SG_SH_SI_E_clIS7_S7_SB_PlEESF_SV_SG_SH_SI_EUlSV_E0_NS1_11comp_targetILNS1_3genE3ELNS1_11target_archE908ELNS1_3gpuE7ELNS1_3repE0EEENS1_38merge_mergepath_config_static_selectorELNS0_4arch9wavefront6targetE1EEEvSH_
		.amdhsa_group_segment_fixed_size 0
		.amdhsa_private_segment_fixed_size 0
		.amdhsa_kernarg_size 64
		.amdhsa_user_sgpr_count 6
		.amdhsa_user_sgpr_private_segment_buffer 1
		.amdhsa_user_sgpr_dispatch_ptr 0
		.amdhsa_user_sgpr_queue_ptr 0
		.amdhsa_user_sgpr_kernarg_segment_ptr 1
		.amdhsa_user_sgpr_dispatch_id 0
		.amdhsa_user_sgpr_flat_scratch_init 0
		.amdhsa_user_sgpr_kernarg_preload_length 0
		.amdhsa_user_sgpr_kernarg_preload_offset 0
		.amdhsa_user_sgpr_private_segment_size 0
		.amdhsa_uses_dynamic_stack 0
		.amdhsa_system_sgpr_private_segment_wavefront_offset 0
		.amdhsa_system_sgpr_workgroup_id_x 1
		.amdhsa_system_sgpr_workgroup_id_y 0
		.amdhsa_system_sgpr_workgroup_id_z 0
		.amdhsa_system_sgpr_workgroup_info 0
		.amdhsa_system_vgpr_workitem_id 0
		.amdhsa_next_free_vgpr 1
		.amdhsa_next_free_sgpr 0
		.amdhsa_accum_offset 4
		.amdhsa_reserve_vcc 0
		.amdhsa_reserve_flat_scratch 0
		.amdhsa_float_round_mode_32 0
		.amdhsa_float_round_mode_16_64 0
		.amdhsa_float_denorm_mode_32 3
		.amdhsa_float_denorm_mode_16_64 3
		.amdhsa_dx10_clamp 1
		.amdhsa_ieee_mode 1
		.amdhsa_fp16_overflow 0
		.amdhsa_tg_split 0
		.amdhsa_exception_fp_ieee_invalid_op 0
		.amdhsa_exception_fp_denorm_src 0
		.amdhsa_exception_fp_ieee_div_zero 0
		.amdhsa_exception_fp_ieee_overflow 0
		.amdhsa_exception_fp_ieee_underflow 0
		.amdhsa_exception_fp_ieee_inexact 0
		.amdhsa_exception_int_div_zero 0
	.end_amdhsa_kernel
	.section	.text._ZN7rocprim17ROCPRIM_400000_NS6detail17trampoline_kernelINS0_14default_configENS1_38merge_sort_block_merge_config_selectorIslEEZZNS1_27merge_sort_block_merge_implIS3_PsN6thrust23THRUST_200600_302600_NS10device_ptrIlEEjNS1_19radix_merge_compareILb0ELb0EsNS0_19identity_decomposerEEEEE10hipError_tT0_T1_T2_jT3_P12ihipStream_tbPNSt15iterator_traitsISG_E10value_typeEPNSM_ISH_E10value_typeEPSI_NS1_7vsmem_tEENKUlT_SG_SH_SI_E_clIS7_S7_SB_PlEESF_SV_SG_SH_SI_EUlSV_E0_NS1_11comp_targetILNS1_3genE3ELNS1_11target_archE908ELNS1_3gpuE7ELNS1_3repE0EEENS1_38merge_mergepath_config_static_selectorELNS0_4arch9wavefront6targetE1EEEvSH_,"axG",@progbits,_ZN7rocprim17ROCPRIM_400000_NS6detail17trampoline_kernelINS0_14default_configENS1_38merge_sort_block_merge_config_selectorIslEEZZNS1_27merge_sort_block_merge_implIS3_PsN6thrust23THRUST_200600_302600_NS10device_ptrIlEEjNS1_19radix_merge_compareILb0ELb0EsNS0_19identity_decomposerEEEEE10hipError_tT0_T1_T2_jT3_P12ihipStream_tbPNSt15iterator_traitsISG_E10value_typeEPNSM_ISH_E10value_typeEPSI_NS1_7vsmem_tEENKUlT_SG_SH_SI_E_clIS7_S7_SB_PlEESF_SV_SG_SH_SI_EUlSV_E0_NS1_11comp_targetILNS1_3genE3ELNS1_11target_archE908ELNS1_3gpuE7ELNS1_3repE0EEENS1_38merge_mergepath_config_static_selectorELNS0_4arch9wavefront6targetE1EEEvSH_,comdat
.Lfunc_end1312:
	.size	_ZN7rocprim17ROCPRIM_400000_NS6detail17trampoline_kernelINS0_14default_configENS1_38merge_sort_block_merge_config_selectorIslEEZZNS1_27merge_sort_block_merge_implIS3_PsN6thrust23THRUST_200600_302600_NS10device_ptrIlEEjNS1_19radix_merge_compareILb0ELb0EsNS0_19identity_decomposerEEEEE10hipError_tT0_T1_T2_jT3_P12ihipStream_tbPNSt15iterator_traitsISG_E10value_typeEPNSM_ISH_E10value_typeEPSI_NS1_7vsmem_tEENKUlT_SG_SH_SI_E_clIS7_S7_SB_PlEESF_SV_SG_SH_SI_EUlSV_E0_NS1_11comp_targetILNS1_3genE3ELNS1_11target_archE908ELNS1_3gpuE7ELNS1_3repE0EEENS1_38merge_mergepath_config_static_selectorELNS0_4arch9wavefront6targetE1EEEvSH_, .Lfunc_end1312-_ZN7rocprim17ROCPRIM_400000_NS6detail17trampoline_kernelINS0_14default_configENS1_38merge_sort_block_merge_config_selectorIslEEZZNS1_27merge_sort_block_merge_implIS3_PsN6thrust23THRUST_200600_302600_NS10device_ptrIlEEjNS1_19radix_merge_compareILb0ELb0EsNS0_19identity_decomposerEEEEE10hipError_tT0_T1_T2_jT3_P12ihipStream_tbPNSt15iterator_traitsISG_E10value_typeEPNSM_ISH_E10value_typeEPSI_NS1_7vsmem_tEENKUlT_SG_SH_SI_E_clIS7_S7_SB_PlEESF_SV_SG_SH_SI_EUlSV_E0_NS1_11comp_targetILNS1_3genE3ELNS1_11target_archE908ELNS1_3gpuE7ELNS1_3repE0EEENS1_38merge_mergepath_config_static_selectorELNS0_4arch9wavefront6targetE1EEEvSH_
                                        ; -- End function
	.section	.AMDGPU.csdata,"",@progbits
; Kernel info:
; codeLenInByte = 0
; NumSgprs: 4
; NumVgprs: 0
; NumAgprs: 0
; TotalNumVgprs: 0
; ScratchSize: 0
; MemoryBound: 0
; FloatMode: 240
; IeeeMode: 1
; LDSByteSize: 0 bytes/workgroup (compile time only)
; SGPRBlocks: 0
; VGPRBlocks: 0
; NumSGPRsForWavesPerEU: 4
; NumVGPRsForWavesPerEU: 1
; AccumOffset: 4
; Occupancy: 8
; WaveLimiterHint : 0
; COMPUTE_PGM_RSRC2:SCRATCH_EN: 0
; COMPUTE_PGM_RSRC2:USER_SGPR: 6
; COMPUTE_PGM_RSRC2:TRAP_HANDLER: 0
; COMPUTE_PGM_RSRC2:TGID_X_EN: 1
; COMPUTE_PGM_RSRC2:TGID_Y_EN: 0
; COMPUTE_PGM_RSRC2:TGID_Z_EN: 0
; COMPUTE_PGM_RSRC2:TIDIG_COMP_CNT: 0
; COMPUTE_PGM_RSRC3_GFX90A:ACCUM_OFFSET: 0
; COMPUTE_PGM_RSRC3_GFX90A:TG_SPLIT: 0
	.section	.text._ZN7rocprim17ROCPRIM_400000_NS6detail17trampoline_kernelINS0_14default_configENS1_38merge_sort_block_merge_config_selectorIslEEZZNS1_27merge_sort_block_merge_implIS3_PsN6thrust23THRUST_200600_302600_NS10device_ptrIlEEjNS1_19radix_merge_compareILb0ELb0EsNS0_19identity_decomposerEEEEE10hipError_tT0_T1_T2_jT3_P12ihipStream_tbPNSt15iterator_traitsISG_E10value_typeEPNSM_ISH_E10value_typeEPSI_NS1_7vsmem_tEENKUlT_SG_SH_SI_E_clIS7_S7_SB_PlEESF_SV_SG_SH_SI_EUlSV_E0_NS1_11comp_targetILNS1_3genE2ELNS1_11target_archE906ELNS1_3gpuE6ELNS1_3repE0EEENS1_38merge_mergepath_config_static_selectorELNS0_4arch9wavefront6targetE1EEEvSH_,"axG",@progbits,_ZN7rocprim17ROCPRIM_400000_NS6detail17trampoline_kernelINS0_14default_configENS1_38merge_sort_block_merge_config_selectorIslEEZZNS1_27merge_sort_block_merge_implIS3_PsN6thrust23THRUST_200600_302600_NS10device_ptrIlEEjNS1_19radix_merge_compareILb0ELb0EsNS0_19identity_decomposerEEEEE10hipError_tT0_T1_T2_jT3_P12ihipStream_tbPNSt15iterator_traitsISG_E10value_typeEPNSM_ISH_E10value_typeEPSI_NS1_7vsmem_tEENKUlT_SG_SH_SI_E_clIS7_S7_SB_PlEESF_SV_SG_SH_SI_EUlSV_E0_NS1_11comp_targetILNS1_3genE2ELNS1_11target_archE906ELNS1_3gpuE6ELNS1_3repE0EEENS1_38merge_mergepath_config_static_selectorELNS0_4arch9wavefront6targetE1EEEvSH_,comdat
	.protected	_ZN7rocprim17ROCPRIM_400000_NS6detail17trampoline_kernelINS0_14default_configENS1_38merge_sort_block_merge_config_selectorIslEEZZNS1_27merge_sort_block_merge_implIS3_PsN6thrust23THRUST_200600_302600_NS10device_ptrIlEEjNS1_19radix_merge_compareILb0ELb0EsNS0_19identity_decomposerEEEEE10hipError_tT0_T1_T2_jT3_P12ihipStream_tbPNSt15iterator_traitsISG_E10value_typeEPNSM_ISH_E10value_typeEPSI_NS1_7vsmem_tEENKUlT_SG_SH_SI_E_clIS7_S7_SB_PlEESF_SV_SG_SH_SI_EUlSV_E0_NS1_11comp_targetILNS1_3genE2ELNS1_11target_archE906ELNS1_3gpuE6ELNS1_3repE0EEENS1_38merge_mergepath_config_static_selectorELNS0_4arch9wavefront6targetE1EEEvSH_ ; -- Begin function _ZN7rocprim17ROCPRIM_400000_NS6detail17trampoline_kernelINS0_14default_configENS1_38merge_sort_block_merge_config_selectorIslEEZZNS1_27merge_sort_block_merge_implIS3_PsN6thrust23THRUST_200600_302600_NS10device_ptrIlEEjNS1_19radix_merge_compareILb0ELb0EsNS0_19identity_decomposerEEEEE10hipError_tT0_T1_T2_jT3_P12ihipStream_tbPNSt15iterator_traitsISG_E10value_typeEPNSM_ISH_E10value_typeEPSI_NS1_7vsmem_tEENKUlT_SG_SH_SI_E_clIS7_S7_SB_PlEESF_SV_SG_SH_SI_EUlSV_E0_NS1_11comp_targetILNS1_3genE2ELNS1_11target_archE906ELNS1_3gpuE6ELNS1_3repE0EEENS1_38merge_mergepath_config_static_selectorELNS0_4arch9wavefront6targetE1EEEvSH_
	.globl	_ZN7rocprim17ROCPRIM_400000_NS6detail17trampoline_kernelINS0_14default_configENS1_38merge_sort_block_merge_config_selectorIslEEZZNS1_27merge_sort_block_merge_implIS3_PsN6thrust23THRUST_200600_302600_NS10device_ptrIlEEjNS1_19radix_merge_compareILb0ELb0EsNS0_19identity_decomposerEEEEE10hipError_tT0_T1_T2_jT3_P12ihipStream_tbPNSt15iterator_traitsISG_E10value_typeEPNSM_ISH_E10value_typeEPSI_NS1_7vsmem_tEENKUlT_SG_SH_SI_E_clIS7_S7_SB_PlEESF_SV_SG_SH_SI_EUlSV_E0_NS1_11comp_targetILNS1_3genE2ELNS1_11target_archE906ELNS1_3gpuE6ELNS1_3repE0EEENS1_38merge_mergepath_config_static_selectorELNS0_4arch9wavefront6targetE1EEEvSH_
	.p2align	8
	.type	_ZN7rocprim17ROCPRIM_400000_NS6detail17trampoline_kernelINS0_14default_configENS1_38merge_sort_block_merge_config_selectorIslEEZZNS1_27merge_sort_block_merge_implIS3_PsN6thrust23THRUST_200600_302600_NS10device_ptrIlEEjNS1_19radix_merge_compareILb0ELb0EsNS0_19identity_decomposerEEEEE10hipError_tT0_T1_T2_jT3_P12ihipStream_tbPNSt15iterator_traitsISG_E10value_typeEPNSM_ISH_E10value_typeEPSI_NS1_7vsmem_tEENKUlT_SG_SH_SI_E_clIS7_S7_SB_PlEESF_SV_SG_SH_SI_EUlSV_E0_NS1_11comp_targetILNS1_3genE2ELNS1_11target_archE906ELNS1_3gpuE6ELNS1_3repE0EEENS1_38merge_mergepath_config_static_selectorELNS0_4arch9wavefront6targetE1EEEvSH_,@function
_ZN7rocprim17ROCPRIM_400000_NS6detail17trampoline_kernelINS0_14default_configENS1_38merge_sort_block_merge_config_selectorIslEEZZNS1_27merge_sort_block_merge_implIS3_PsN6thrust23THRUST_200600_302600_NS10device_ptrIlEEjNS1_19radix_merge_compareILb0ELb0EsNS0_19identity_decomposerEEEEE10hipError_tT0_T1_T2_jT3_P12ihipStream_tbPNSt15iterator_traitsISG_E10value_typeEPNSM_ISH_E10value_typeEPSI_NS1_7vsmem_tEENKUlT_SG_SH_SI_E_clIS7_S7_SB_PlEESF_SV_SG_SH_SI_EUlSV_E0_NS1_11comp_targetILNS1_3genE2ELNS1_11target_archE906ELNS1_3gpuE6ELNS1_3repE0EEENS1_38merge_mergepath_config_static_selectorELNS0_4arch9wavefront6targetE1EEEvSH_: ; @_ZN7rocprim17ROCPRIM_400000_NS6detail17trampoline_kernelINS0_14default_configENS1_38merge_sort_block_merge_config_selectorIslEEZZNS1_27merge_sort_block_merge_implIS3_PsN6thrust23THRUST_200600_302600_NS10device_ptrIlEEjNS1_19radix_merge_compareILb0ELb0EsNS0_19identity_decomposerEEEEE10hipError_tT0_T1_T2_jT3_P12ihipStream_tbPNSt15iterator_traitsISG_E10value_typeEPNSM_ISH_E10value_typeEPSI_NS1_7vsmem_tEENKUlT_SG_SH_SI_E_clIS7_S7_SB_PlEESF_SV_SG_SH_SI_EUlSV_E0_NS1_11comp_targetILNS1_3genE2ELNS1_11target_archE906ELNS1_3gpuE6ELNS1_3repE0EEENS1_38merge_mergepath_config_static_selectorELNS0_4arch9wavefront6targetE1EEEvSH_
; %bb.0:
	.section	.rodata,"a",@progbits
	.p2align	6, 0x0
	.amdhsa_kernel _ZN7rocprim17ROCPRIM_400000_NS6detail17trampoline_kernelINS0_14default_configENS1_38merge_sort_block_merge_config_selectorIslEEZZNS1_27merge_sort_block_merge_implIS3_PsN6thrust23THRUST_200600_302600_NS10device_ptrIlEEjNS1_19radix_merge_compareILb0ELb0EsNS0_19identity_decomposerEEEEE10hipError_tT0_T1_T2_jT3_P12ihipStream_tbPNSt15iterator_traitsISG_E10value_typeEPNSM_ISH_E10value_typeEPSI_NS1_7vsmem_tEENKUlT_SG_SH_SI_E_clIS7_S7_SB_PlEESF_SV_SG_SH_SI_EUlSV_E0_NS1_11comp_targetILNS1_3genE2ELNS1_11target_archE906ELNS1_3gpuE6ELNS1_3repE0EEENS1_38merge_mergepath_config_static_selectorELNS0_4arch9wavefront6targetE1EEEvSH_
		.amdhsa_group_segment_fixed_size 0
		.amdhsa_private_segment_fixed_size 0
		.amdhsa_kernarg_size 64
		.amdhsa_user_sgpr_count 6
		.amdhsa_user_sgpr_private_segment_buffer 1
		.amdhsa_user_sgpr_dispatch_ptr 0
		.amdhsa_user_sgpr_queue_ptr 0
		.amdhsa_user_sgpr_kernarg_segment_ptr 1
		.amdhsa_user_sgpr_dispatch_id 0
		.amdhsa_user_sgpr_flat_scratch_init 0
		.amdhsa_user_sgpr_kernarg_preload_length 0
		.amdhsa_user_sgpr_kernarg_preload_offset 0
		.amdhsa_user_sgpr_private_segment_size 0
		.amdhsa_uses_dynamic_stack 0
		.amdhsa_system_sgpr_private_segment_wavefront_offset 0
		.amdhsa_system_sgpr_workgroup_id_x 1
		.amdhsa_system_sgpr_workgroup_id_y 0
		.amdhsa_system_sgpr_workgroup_id_z 0
		.amdhsa_system_sgpr_workgroup_info 0
		.amdhsa_system_vgpr_workitem_id 0
		.amdhsa_next_free_vgpr 1
		.amdhsa_next_free_sgpr 0
		.amdhsa_accum_offset 4
		.amdhsa_reserve_vcc 0
		.amdhsa_reserve_flat_scratch 0
		.amdhsa_float_round_mode_32 0
		.amdhsa_float_round_mode_16_64 0
		.amdhsa_float_denorm_mode_32 3
		.amdhsa_float_denorm_mode_16_64 3
		.amdhsa_dx10_clamp 1
		.amdhsa_ieee_mode 1
		.amdhsa_fp16_overflow 0
		.amdhsa_tg_split 0
		.amdhsa_exception_fp_ieee_invalid_op 0
		.amdhsa_exception_fp_denorm_src 0
		.amdhsa_exception_fp_ieee_div_zero 0
		.amdhsa_exception_fp_ieee_overflow 0
		.amdhsa_exception_fp_ieee_underflow 0
		.amdhsa_exception_fp_ieee_inexact 0
		.amdhsa_exception_int_div_zero 0
	.end_amdhsa_kernel
	.section	.text._ZN7rocprim17ROCPRIM_400000_NS6detail17trampoline_kernelINS0_14default_configENS1_38merge_sort_block_merge_config_selectorIslEEZZNS1_27merge_sort_block_merge_implIS3_PsN6thrust23THRUST_200600_302600_NS10device_ptrIlEEjNS1_19radix_merge_compareILb0ELb0EsNS0_19identity_decomposerEEEEE10hipError_tT0_T1_T2_jT3_P12ihipStream_tbPNSt15iterator_traitsISG_E10value_typeEPNSM_ISH_E10value_typeEPSI_NS1_7vsmem_tEENKUlT_SG_SH_SI_E_clIS7_S7_SB_PlEESF_SV_SG_SH_SI_EUlSV_E0_NS1_11comp_targetILNS1_3genE2ELNS1_11target_archE906ELNS1_3gpuE6ELNS1_3repE0EEENS1_38merge_mergepath_config_static_selectorELNS0_4arch9wavefront6targetE1EEEvSH_,"axG",@progbits,_ZN7rocprim17ROCPRIM_400000_NS6detail17trampoline_kernelINS0_14default_configENS1_38merge_sort_block_merge_config_selectorIslEEZZNS1_27merge_sort_block_merge_implIS3_PsN6thrust23THRUST_200600_302600_NS10device_ptrIlEEjNS1_19radix_merge_compareILb0ELb0EsNS0_19identity_decomposerEEEEE10hipError_tT0_T1_T2_jT3_P12ihipStream_tbPNSt15iterator_traitsISG_E10value_typeEPNSM_ISH_E10value_typeEPSI_NS1_7vsmem_tEENKUlT_SG_SH_SI_E_clIS7_S7_SB_PlEESF_SV_SG_SH_SI_EUlSV_E0_NS1_11comp_targetILNS1_3genE2ELNS1_11target_archE906ELNS1_3gpuE6ELNS1_3repE0EEENS1_38merge_mergepath_config_static_selectorELNS0_4arch9wavefront6targetE1EEEvSH_,comdat
.Lfunc_end1313:
	.size	_ZN7rocprim17ROCPRIM_400000_NS6detail17trampoline_kernelINS0_14default_configENS1_38merge_sort_block_merge_config_selectorIslEEZZNS1_27merge_sort_block_merge_implIS3_PsN6thrust23THRUST_200600_302600_NS10device_ptrIlEEjNS1_19radix_merge_compareILb0ELb0EsNS0_19identity_decomposerEEEEE10hipError_tT0_T1_T2_jT3_P12ihipStream_tbPNSt15iterator_traitsISG_E10value_typeEPNSM_ISH_E10value_typeEPSI_NS1_7vsmem_tEENKUlT_SG_SH_SI_E_clIS7_S7_SB_PlEESF_SV_SG_SH_SI_EUlSV_E0_NS1_11comp_targetILNS1_3genE2ELNS1_11target_archE906ELNS1_3gpuE6ELNS1_3repE0EEENS1_38merge_mergepath_config_static_selectorELNS0_4arch9wavefront6targetE1EEEvSH_, .Lfunc_end1313-_ZN7rocprim17ROCPRIM_400000_NS6detail17trampoline_kernelINS0_14default_configENS1_38merge_sort_block_merge_config_selectorIslEEZZNS1_27merge_sort_block_merge_implIS3_PsN6thrust23THRUST_200600_302600_NS10device_ptrIlEEjNS1_19radix_merge_compareILb0ELb0EsNS0_19identity_decomposerEEEEE10hipError_tT0_T1_T2_jT3_P12ihipStream_tbPNSt15iterator_traitsISG_E10value_typeEPNSM_ISH_E10value_typeEPSI_NS1_7vsmem_tEENKUlT_SG_SH_SI_E_clIS7_S7_SB_PlEESF_SV_SG_SH_SI_EUlSV_E0_NS1_11comp_targetILNS1_3genE2ELNS1_11target_archE906ELNS1_3gpuE6ELNS1_3repE0EEENS1_38merge_mergepath_config_static_selectorELNS0_4arch9wavefront6targetE1EEEvSH_
                                        ; -- End function
	.section	.AMDGPU.csdata,"",@progbits
; Kernel info:
; codeLenInByte = 0
; NumSgprs: 4
; NumVgprs: 0
; NumAgprs: 0
; TotalNumVgprs: 0
; ScratchSize: 0
; MemoryBound: 0
; FloatMode: 240
; IeeeMode: 1
; LDSByteSize: 0 bytes/workgroup (compile time only)
; SGPRBlocks: 0
; VGPRBlocks: 0
; NumSGPRsForWavesPerEU: 4
; NumVGPRsForWavesPerEU: 1
; AccumOffset: 4
; Occupancy: 8
; WaveLimiterHint : 0
; COMPUTE_PGM_RSRC2:SCRATCH_EN: 0
; COMPUTE_PGM_RSRC2:USER_SGPR: 6
; COMPUTE_PGM_RSRC2:TRAP_HANDLER: 0
; COMPUTE_PGM_RSRC2:TGID_X_EN: 1
; COMPUTE_PGM_RSRC2:TGID_Y_EN: 0
; COMPUTE_PGM_RSRC2:TGID_Z_EN: 0
; COMPUTE_PGM_RSRC2:TIDIG_COMP_CNT: 0
; COMPUTE_PGM_RSRC3_GFX90A:ACCUM_OFFSET: 0
; COMPUTE_PGM_RSRC3_GFX90A:TG_SPLIT: 0
	.section	.text._ZN7rocprim17ROCPRIM_400000_NS6detail17trampoline_kernelINS0_14default_configENS1_38merge_sort_block_merge_config_selectorIslEEZZNS1_27merge_sort_block_merge_implIS3_PsN6thrust23THRUST_200600_302600_NS10device_ptrIlEEjNS1_19radix_merge_compareILb0ELb0EsNS0_19identity_decomposerEEEEE10hipError_tT0_T1_T2_jT3_P12ihipStream_tbPNSt15iterator_traitsISG_E10value_typeEPNSM_ISH_E10value_typeEPSI_NS1_7vsmem_tEENKUlT_SG_SH_SI_E_clIS7_S7_SB_PlEESF_SV_SG_SH_SI_EUlSV_E0_NS1_11comp_targetILNS1_3genE9ELNS1_11target_archE1100ELNS1_3gpuE3ELNS1_3repE0EEENS1_38merge_mergepath_config_static_selectorELNS0_4arch9wavefront6targetE1EEEvSH_,"axG",@progbits,_ZN7rocprim17ROCPRIM_400000_NS6detail17trampoline_kernelINS0_14default_configENS1_38merge_sort_block_merge_config_selectorIslEEZZNS1_27merge_sort_block_merge_implIS3_PsN6thrust23THRUST_200600_302600_NS10device_ptrIlEEjNS1_19radix_merge_compareILb0ELb0EsNS0_19identity_decomposerEEEEE10hipError_tT0_T1_T2_jT3_P12ihipStream_tbPNSt15iterator_traitsISG_E10value_typeEPNSM_ISH_E10value_typeEPSI_NS1_7vsmem_tEENKUlT_SG_SH_SI_E_clIS7_S7_SB_PlEESF_SV_SG_SH_SI_EUlSV_E0_NS1_11comp_targetILNS1_3genE9ELNS1_11target_archE1100ELNS1_3gpuE3ELNS1_3repE0EEENS1_38merge_mergepath_config_static_selectorELNS0_4arch9wavefront6targetE1EEEvSH_,comdat
	.protected	_ZN7rocprim17ROCPRIM_400000_NS6detail17trampoline_kernelINS0_14default_configENS1_38merge_sort_block_merge_config_selectorIslEEZZNS1_27merge_sort_block_merge_implIS3_PsN6thrust23THRUST_200600_302600_NS10device_ptrIlEEjNS1_19radix_merge_compareILb0ELb0EsNS0_19identity_decomposerEEEEE10hipError_tT0_T1_T2_jT3_P12ihipStream_tbPNSt15iterator_traitsISG_E10value_typeEPNSM_ISH_E10value_typeEPSI_NS1_7vsmem_tEENKUlT_SG_SH_SI_E_clIS7_S7_SB_PlEESF_SV_SG_SH_SI_EUlSV_E0_NS1_11comp_targetILNS1_3genE9ELNS1_11target_archE1100ELNS1_3gpuE3ELNS1_3repE0EEENS1_38merge_mergepath_config_static_selectorELNS0_4arch9wavefront6targetE1EEEvSH_ ; -- Begin function _ZN7rocprim17ROCPRIM_400000_NS6detail17trampoline_kernelINS0_14default_configENS1_38merge_sort_block_merge_config_selectorIslEEZZNS1_27merge_sort_block_merge_implIS3_PsN6thrust23THRUST_200600_302600_NS10device_ptrIlEEjNS1_19radix_merge_compareILb0ELb0EsNS0_19identity_decomposerEEEEE10hipError_tT0_T1_T2_jT3_P12ihipStream_tbPNSt15iterator_traitsISG_E10value_typeEPNSM_ISH_E10value_typeEPSI_NS1_7vsmem_tEENKUlT_SG_SH_SI_E_clIS7_S7_SB_PlEESF_SV_SG_SH_SI_EUlSV_E0_NS1_11comp_targetILNS1_3genE9ELNS1_11target_archE1100ELNS1_3gpuE3ELNS1_3repE0EEENS1_38merge_mergepath_config_static_selectorELNS0_4arch9wavefront6targetE1EEEvSH_
	.globl	_ZN7rocprim17ROCPRIM_400000_NS6detail17trampoline_kernelINS0_14default_configENS1_38merge_sort_block_merge_config_selectorIslEEZZNS1_27merge_sort_block_merge_implIS3_PsN6thrust23THRUST_200600_302600_NS10device_ptrIlEEjNS1_19radix_merge_compareILb0ELb0EsNS0_19identity_decomposerEEEEE10hipError_tT0_T1_T2_jT3_P12ihipStream_tbPNSt15iterator_traitsISG_E10value_typeEPNSM_ISH_E10value_typeEPSI_NS1_7vsmem_tEENKUlT_SG_SH_SI_E_clIS7_S7_SB_PlEESF_SV_SG_SH_SI_EUlSV_E0_NS1_11comp_targetILNS1_3genE9ELNS1_11target_archE1100ELNS1_3gpuE3ELNS1_3repE0EEENS1_38merge_mergepath_config_static_selectorELNS0_4arch9wavefront6targetE1EEEvSH_
	.p2align	8
	.type	_ZN7rocprim17ROCPRIM_400000_NS6detail17trampoline_kernelINS0_14default_configENS1_38merge_sort_block_merge_config_selectorIslEEZZNS1_27merge_sort_block_merge_implIS3_PsN6thrust23THRUST_200600_302600_NS10device_ptrIlEEjNS1_19radix_merge_compareILb0ELb0EsNS0_19identity_decomposerEEEEE10hipError_tT0_T1_T2_jT3_P12ihipStream_tbPNSt15iterator_traitsISG_E10value_typeEPNSM_ISH_E10value_typeEPSI_NS1_7vsmem_tEENKUlT_SG_SH_SI_E_clIS7_S7_SB_PlEESF_SV_SG_SH_SI_EUlSV_E0_NS1_11comp_targetILNS1_3genE9ELNS1_11target_archE1100ELNS1_3gpuE3ELNS1_3repE0EEENS1_38merge_mergepath_config_static_selectorELNS0_4arch9wavefront6targetE1EEEvSH_,@function
_ZN7rocprim17ROCPRIM_400000_NS6detail17trampoline_kernelINS0_14default_configENS1_38merge_sort_block_merge_config_selectorIslEEZZNS1_27merge_sort_block_merge_implIS3_PsN6thrust23THRUST_200600_302600_NS10device_ptrIlEEjNS1_19radix_merge_compareILb0ELb0EsNS0_19identity_decomposerEEEEE10hipError_tT0_T1_T2_jT3_P12ihipStream_tbPNSt15iterator_traitsISG_E10value_typeEPNSM_ISH_E10value_typeEPSI_NS1_7vsmem_tEENKUlT_SG_SH_SI_E_clIS7_S7_SB_PlEESF_SV_SG_SH_SI_EUlSV_E0_NS1_11comp_targetILNS1_3genE9ELNS1_11target_archE1100ELNS1_3gpuE3ELNS1_3repE0EEENS1_38merge_mergepath_config_static_selectorELNS0_4arch9wavefront6targetE1EEEvSH_: ; @_ZN7rocprim17ROCPRIM_400000_NS6detail17trampoline_kernelINS0_14default_configENS1_38merge_sort_block_merge_config_selectorIslEEZZNS1_27merge_sort_block_merge_implIS3_PsN6thrust23THRUST_200600_302600_NS10device_ptrIlEEjNS1_19radix_merge_compareILb0ELb0EsNS0_19identity_decomposerEEEEE10hipError_tT0_T1_T2_jT3_P12ihipStream_tbPNSt15iterator_traitsISG_E10value_typeEPNSM_ISH_E10value_typeEPSI_NS1_7vsmem_tEENKUlT_SG_SH_SI_E_clIS7_S7_SB_PlEESF_SV_SG_SH_SI_EUlSV_E0_NS1_11comp_targetILNS1_3genE9ELNS1_11target_archE1100ELNS1_3gpuE3ELNS1_3repE0EEENS1_38merge_mergepath_config_static_selectorELNS0_4arch9wavefront6targetE1EEEvSH_
; %bb.0:
	.section	.rodata,"a",@progbits
	.p2align	6, 0x0
	.amdhsa_kernel _ZN7rocprim17ROCPRIM_400000_NS6detail17trampoline_kernelINS0_14default_configENS1_38merge_sort_block_merge_config_selectorIslEEZZNS1_27merge_sort_block_merge_implIS3_PsN6thrust23THRUST_200600_302600_NS10device_ptrIlEEjNS1_19radix_merge_compareILb0ELb0EsNS0_19identity_decomposerEEEEE10hipError_tT0_T1_T2_jT3_P12ihipStream_tbPNSt15iterator_traitsISG_E10value_typeEPNSM_ISH_E10value_typeEPSI_NS1_7vsmem_tEENKUlT_SG_SH_SI_E_clIS7_S7_SB_PlEESF_SV_SG_SH_SI_EUlSV_E0_NS1_11comp_targetILNS1_3genE9ELNS1_11target_archE1100ELNS1_3gpuE3ELNS1_3repE0EEENS1_38merge_mergepath_config_static_selectorELNS0_4arch9wavefront6targetE1EEEvSH_
		.amdhsa_group_segment_fixed_size 0
		.amdhsa_private_segment_fixed_size 0
		.amdhsa_kernarg_size 64
		.amdhsa_user_sgpr_count 6
		.amdhsa_user_sgpr_private_segment_buffer 1
		.amdhsa_user_sgpr_dispatch_ptr 0
		.amdhsa_user_sgpr_queue_ptr 0
		.amdhsa_user_sgpr_kernarg_segment_ptr 1
		.amdhsa_user_sgpr_dispatch_id 0
		.amdhsa_user_sgpr_flat_scratch_init 0
		.amdhsa_user_sgpr_kernarg_preload_length 0
		.amdhsa_user_sgpr_kernarg_preload_offset 0
		.amdhsa_user_sgpr_private_segment_size 0
		.amdhsa_uses_dynamic_stack 0
		.amdhsa_system_sgpr_private_segment_wavefront_offset 0
		.amdhsa_system_sgpr_workgroup_id_x 1
		.amdhsa_system_sgpr_workgroup_id_y 0
		.amdhsa_system_sgpr_workgroup_id_z 0
		.amdhsa_system_sgpr_workgroup_info 0
		.amdhsa_system_vgpr_workitem_id 0
		.amdhsa_next_free_vgpr 1
		.amdhsa_next_free_sgpr 0
		.amdhsa_accum_offset 4
		.amdhsa_reserve_vcc 0
		.amdhsa_reserve_flat_scratch 0
		.amdhsa_float_round_mode_32 0
		.amdhsa_float_round_mode_16_64 0
		.amdhsa_float_denorm_mode_32 3
		.amdhsa_float_denorm_mode_16_64 3
		.amdhsa_dx10_clamp 1
		.amdhsa_ieee_mode 1
		.amdhsa_fp16_overflow 0
		.amdhsa_tg_split 0
		.amdhsa_exception_fp_ieee_invalid_op 0
		.amdhsa_exception_fp_denorm_src 0
		.amdhsa_exception_fp_ieee_div_zero 0
		.amdhsa_exception_fp_ieee_overflow 0
		.amdhsa_exception_fp_ieee_underflow 0
		.amdhsa_exception_fp_ieee_inexact 0
		.amdhsa_exception_int_div_zero 0
	.end_amdhsa_kernel
	.section	.text._ZN7rocprim17ROCPRIM_400000_NS6detail17trampoline_kernelINS0_14default_configENS1_38merge_sort_block_merge_config_selectorIslEEZZNS1_27merge_sort_block_merge_implIS3_PsN6thrust23THRUST_200600_302600_NS10device_ptrIlEEjNS1_19radix_merge_compareILb0ELb0EsNS0_19identity_decomposerEEEEE10hipError_tT0_T1_T2_jT3_P12ihipStream_tbPNSt15iterator_traitsISG_E10value_typeEPNSM_ISH_E10value_typeEPSI_NS1_7vsmem_tEENKUlT_SG_SH_SI_E_clIS7_S7_SB_PlEESF_SV_SG_SH_SI_EUlSV_E0_NS1_11comp_targetILNS1_3genE9ELNS1_11target_archE1100ELNS1_3gpuE3ELNS1_3repE0EEENS1_38merge_mergepath_config_static_selectorELNS0_4arch9wavefront6targetE1EEEvSH_,"axG",@progbits,_ZN7rocprim17ROCPRIM_400000_NS6detail17trampoline_kernelINS0_14default_configENS1_38merge_sort_block_merge_config_selectorIslEEZZNS1_27merge_sort_block_merge_implIS3_PsN6thrust23THRUST_200600_302600_NS10device_ptrIlEEjNS1_19radix_merge_compareILb0ELb0EsNS0_19identity_decomposerEEEEE10hipError_tT0_T1_T2_jT3_P12ihipStream_tbPNSt15iterator_traitsISG_E10value_typeEPNSM_ISH_E10value_typeEPSI_NS1_7vsmem_tEENKUlT_SG_SH_SI_E_clIS7_S7_SB_PlEESF_SV_SG_SH_SI_EUlSV_E0_NS1_11comp_targetILNS1_3genE9ELNS1_11target_archE1100ELNS1_3gpuE3ELNS1_3repE0EEENS1_38merge_mergepath_config_static_selectorELNS0_4arch9wavefront6targetE1EEEvSH_,comdat
.Lfunc_end1314:
	.size	_ZN7rocprim17ROCPRIM_400000_NS6detail17trampoline_kernelINS0_14default_configENS1_38merge_sort_block_merge_config_selectorIslEEZZNS1_27merge_sort_block_merge_implIS3_PsN6thrust23THRUST_200600_302600_NS10device_ptrIlEEjNS1_19radix_merge_compareILb0ELb0EsNS0_19identity_decomposerEEEEE10hipError_tT0_T1_T2_jT3_P12ihipStream_tbPNSt15iterator_traitsISG_E10value_typeEPNSM_ISH_E10value_typeEPSI_NS1_7vsmem_tEENKUlT_SG_SH_SI_E_clIS7_S7_SB_PlEESF_SV_SG_SH_SI_EUlSV_E0_NS1_11comp_targetILNS1_3genE9ELNS1_11target_archE1100ELNS1_3gpuE3ELNS1_3repE0EEENS1_38merge_mergepath_config_static_selectorELNS0_4arch9wavefront6targetE1EEEvSH_, .Lfunc_end1314-_ZN7rocprim17ROCPRIM_400000_NS6detail17trampoline_kernelINS0_14default_configENS1_38merge_sort_block_merge_config_selectorIslEEZZNS1_27merge_sort_block_merge_implIS3_PsN6thrust23THRUST_200600_302600_NS10device_ptrIlEEjNS1_19radix_merge_compareILb0ELb0EsNS0_19identity_decomposerEEEEE10hipError_tT0_T1_T2_jT3_P12ihipStream_tbPNSt15iterator_traitsISG_E10value_typeEPNSM_ISH_E10value_typeEPSI_NS1_7vsmem_tEENKUlT_SG_SH_SI_E_clIS7_S7_SB_PlEESF_SV_SG_SH_SI_EUlSV_E0_NS1_11comp_targetILNS1_3genE9ELNS1_11target_archE1100ELNS1_3gpuE3ELNS1_3repE0EEENS1_38merge_mergepath_config_static_selectorELNS0_4arch9wavefront6targetE1EEEvSH_
                                        ; -- End function
	.section	.AMDGPU.csdata,"",@progbits
; Kernel info:
; codeLenInByte = 0
; NumSgprs: 4
; NumVgprs: 0
; NumAgprs: 0
; TotalNumVgprs: 0
; ScratchSize: 0
; MemoryBound: 0
; FloatMode: 240
; IeeeMode: 1
; LDSByteSize: 0 bytes/workgroup (compile time only)
; SGPRBlocks: 0
; VGPRBlocks: 0
; NumSGPRsForWavesPerEU: 4
; NumVGPRsForWavesPerEU: 1
; AccumOffset: 4
; Occupancy: 8
; WaveLimiterHint : 0
; COMPUTE_PGM_RSRC2:SCRATCH_EN: 0
; COMPUTE_PGM_RSRC2:USER_SGPR: 6
; COMPUTE_PGM_RSRC2:TRAP_HANDLER: 0
; COMPUTE_PGM_RSRC2:TGID_X_EN: 1
; COMPUTE_PGM_RSRC2:TGID_Y_EN: 0
; COMPUTE_PGM_RSRC2:TGID_Z_EN: 0
; COMPUTE_PGM_RSRC2:TIDIG_COMP_CNT: 0
; COMPUTE_PGM_RSRC3_GFX90A:ACCUM_OFFSET: 0
; COMPUTE_PGM_RSRC3_GFX90A:TG_SPLIT: 0
	.section	.text._ZN7rocprim17ROCPRIM_400000_NS6detail17trampoline_kernelINS0_14default_configENS1_38merge_sort_block_merge_config_selectorIslEEZZNS1_27merge_sort_block_merge_implIS3_PsN6thrust23THRUST_200600_302600_NS10device_ptrIlEEjNS1_19radix_merge_compareILb0ELb0EsNS0_19identity_decomposerEEEEE10hipError_tT0_T1_T2_jT3_P12ihipStream_tbPNSt15iterator_traitsISG_E10value_typeEPNSM_ISH_E10value_typeEPSI_NS1_7vsmem_tEENKUlT_SG_SH_SI_E_clIS7_S7_SB_PlEESF_SV_SG_SH_SI_EUlSV_E0_NS1_11comp_targetILNS1_3genE8ELNS1_11target_archE1030ELNS1_3gpuE2ELNS1_3repE0EEENS1_38merge_mergepath_config_static_selectorELNS0_4arch9wavefront6targetE1EEEvSH_,"axG",@progbits,_ZN7rocprim17ROCPRIM_400000_NS6detail17trampoline_kernelINS0_14default_configENS1_38merge_sort_block_merge_config_selectorIslEEZZNS1_27merge_sort_block_merge_implIS3_PsN6thrust23THRUST_200600_302600_NS10device_ptrIlEEjNS1_19radix_merge_compareILb0ELb0EsNS0_19identity_decomposerEEEEE10hipError_tT0_T1_T2_jT3_P12ihipStream_tbPNSt15iterator_traitsISG_E10value_typeEPNSM_ISH_E10value_typeEPSI_NS1_7vsmem_tEENKUlT_SG_SH_SI_E_clIS7_S7_SB_PlEESF_SV_SG_SH_SI_EUlSV_E0_NS1_11comp_targetILNS1_3genE8ELNS1_11target_archE1030ELNS1_3gpuE2ELNS1_3repE0EEENS1_38merge_mergepath_config_static_selectorELNS0_4arch9wavefront6targetE1EEEvSH_,comdat
	.protected	_ZN7rocprim17ROCPRIM_400000_NS6detail17trampoline_kernelINS0_14default_configENS1_38merge_sort_block_merge_config_selectorIslEEZZNS1_27merge_sort_block_merge_implIS3_PsN6thrust23THRUST_200600_302600_NS10device_ptrIlEEjNS1_19radix_merge_compareILb0ELb0EsNS0_19identity_decomposerEEEEE10hipError_tT0_T1_T2_jT3_P12ihipStream_tbPNSt15iterator_traitsISG_E10value_typeEPNSM_ISH_E10value_typeEPSI_NS1_7vsmem_tEENKUlT_SG_SH_SI_E_clIS7_S7_SB_PlEESF_SV_SG_SH_SI_EUlSV_E0_NS1_11comp_targetILNS1_3genE8ELNS1_11target_archE1030ELNS1_3gpuE2ELNS1_3repE0EEENS1_38merge_mergepath_config_static_selectorELNS0_4arch9wavefront6targetE1EEEvSH_ ; -- Begin function _ZN7rocprim17ROCPRIM_400000_NS6detail17trampoline_kernelINS0_14default_configENS1_38merge_sort_block_merge_config_selectorIslEEZZNS1_27merge_sort_block_merge_implIS3_PsN6thrust23THRUST_200600_302600_NS10device_ptrIlEEjNS1_19radix_merge_compareILb0ELb0EsNS0_19identity_decomposerEEEEE10hipError_tT0_T1_T2_jT3_P12ihipStream_tbPNSt15iterator_traitsISG_E10value_typeEPNSM_ISH_E10value_typeEPSI_NS1_7vsmem_tEENKUlT_SG_SH_SI_E_clIS7_S7_SB_PlEESF_SV_SG_SH_SI_EUlSV_E0_NS1_11comp_targetILNS1_3genE8ELNS1_11target_archE1030ELNS1_3gpuE2ELNS1_3repE0EEENS1_38merge_mergepath_config_static_selectorELNS0_4arch9wavefront6targetE1EEEvSH_
	.globl	_ZN7rocprim17ROCPRIM_400000_NS6detail17trampoline_kernelINS0_14default_configENS1_38merge_sort_block_merge_config_selectorIslEEZZNS1_27merge_sort_block_merge_implIS3_PsN6thrust23THRUST_200600_302600_NS10device_ptrIlEEjNS1_19radix_merge_compareILb0ELb0EsNS0_19identity_decomposerEEEEE10hipError_tT0_T1_T2_jT3_P12ihipStream_tbPNSt15iterator_traitsISG_E10value_typeEPNSM_ISH_E10value_typeEPSI_NS1_7vsmem_tEENKUlT_SG_SH_SI_E_clIS7_S7_SB_PlEESF_SV_SG_SH_SI_EUlSV_E0_NS1_11comp_targetILNS1_3genE8ELNS1_11target_archE1030ELNS1_3gpuE2ELNS1_3repE0EEENS1_38merge_mergepath_config_static_selectorELNS0_4arch9wavefront6targetE1EEEvSH_
	.p2align	8
	.type	_ZN7rocprim17ROCPRIM_400000_NS6detail17trampoline_kernelINS0_14default_configENS1_38merge_sort_block_merge_config_selectorIslEEZZNS1_27merge_sort_block_merge_implIS3_PsN6thrust23THRUST_200600_302600_NS10device_ptrIlEEjNS1_19radix_merge_compareILb0ELb0EsNS0_19identity_decomposerEEEEE10hipError_tT0_T1_T2_jT3_P12ihipStream_tbPNSt15iterator_traitsISG_E10value_typeEPNSM_ISH_E10value_typeEPSI_NS1_7vsmem_tEENKUlT_SG_SH_SI_E_clIS7_S7_SB_PlEESF_SV_SG_SH_SI_EUlSV_E0_NS1_11comp_targetILNS1_3genE8ELNS1_11target_archE1030ELNS1_3gpuE2ELNS1_3repE0EEENS1_38merge_mergepath_config_static_selectorELNS0_4arch9wavefront6targetE1EEEvSH_,@function
_ZN7rocprim17ROCPRIM_400000_NS6detail17trampoline_kernelINS0_14default_configENS1_38merge_sort_block_merge_config_selectorIslEEZZNS1_27merge_sort_block_merge_implIS3_PsN6thrust23THRUST_200600_302600_NS10device_ptrIlEEjNS1_19radix_merge_compareILb0ELb0EsNS0_19identity_decomposerEEEEE10hipError_tT0_T1_T2_jT3_P12ihipStream_tbPNSt15iterator_traitsISG_E10value_typeEPNSM_ISH_E10value_typeEPSI_NS1_7vsmem_tEENKUlT_SG_SH_SI_E_clIS7_S7_SB_PlEESF_SV_SG_SH_SI_EUlSV_E0_NS1_11comp_targetILNS1_3genE8ELNS1_11target_archE1030ELNS1_3gpuE2ELNS1_3repE0EEENS1_38merge_mergepath_config_static_selectorELNS0_4arch9wavefront6targetE1EEEvSH_: ; @_ZN7rocprim17ROCPRIM_400000_NS6detail17trampoline_kernelINS0_14default_configENS1_38merge_sort_block_merge_config_selectorIslEEZZNS1_27merge_sort_block_merge_implIS3_PsN6thrust23THRUST_200600_302600_NS10device_ptrIlEEjNS1_19radix_merge_compareILb0ELb0EsNS0_19identity_decomposerEEEEE10hipError_tT0_T1_T2_jT3_P12ihipStream_tbPNSt15iterator_traitsISG_E10value_typeEPNSM_ISH_E10value_typeEPSI_NS1_7vsmem_tEENKUlT_SG_SH_SI_E_clIS7_S7_SB_PlEESF_SV_SG_SH_SI_EUlSV_E0_NS1_11comp_targetILNS1_3genE8ELNS1_11target_archE1030ELNS1_3gpuE2ELNS1_3repE0EEENS1_38merge_mergepath_config_static_selectorELNS0_4arch9wavefront6targetE1EEEvSH_
; %bb.0:
	.section	.rodata,"a",@progbits
	.p2align	6, 0x0
	.amdhsa_kernel _ZN7rocprim17ROCPRIM_400000_NS6detail17trampoline_kernelINS0_14default_configENS1_38merge_sort_block_merge_config_selectorIslEEZZNS1_27merge_sort_block_merge_implIS3_PsN6thrust23THRUST_200600_302600_NS10device_ptrIlEEjNS1_19radix_merge_compareILb0ELb0EsNS0_19identity_decomposerEEEEE10hipError_tT0_T1_T2_jT3_P12ihipStream_tbPNSt15iterator_traitsISG_E10value_typeEPNSM_ISH_E10value_typeEPSI_NS1_7vsmem_tEENKUlT_SG_SH_SI_E_clIS7_S7_SB_PlEESF_SV_SG_SH_SI_EUlSV_E0_NS1_11comp_targetILNS1_3genE8ELNS1_11target_archE1030ELNS1_3gpuE2ELNS1_3repE0EEENS1_38merge_mergepath_config_static_selectorELNS0_4arch9wavefront6targetE1EEEvSH_
		.amdhsa_group_segment_fixed_size 0
		.amdhsa_private_segment_fixed_size 0
		.amdhsa_kernarg_size 64
		.amdhsa_user_sgpr_count 6
		.amdhsa_user_sgpr_private_segment_buffer 1
		.amdhsa_user_sgpr_dispatch_ptr 0
		.amdhsa_user_sgpr_queue_ptr 0
		.amdhsa_user_sgpr_kernarg_segment_ptr 1
		.amdhsa_user_sgpr_dispatch_id 0
		.amdhsa_user_sgpr_flat_scratch_init 0
		.amdhsa_user_sgpr_kernarg_preload_length 0
		.amdhsa_user_sgpr_kernarg_preload_offset 0
		.amdhsa_user_sgpr_private_segment_size 0
		.amdhsa_uses_dynamic_stack 0
		.amdhsa_system_sgpr_private_segment_wavefront_offset 0
		.amdhsa_system_sgpr_workgroup_id_x 1
		.amdhsa_system_sgpr_workgroup_id_y 0
		.amdhsa_system_sgpr_workgroup_id_z 0
		.amdhsa_system_sgpr_workgroup_info 0
		.amdhsa_system_vgpr_workitem_id 0
		.amdhsa_next_free_vgpr 1
		.amdhsa_next_free_sgpr 0
		.amdhsa_accum_offset 4
		.amdhsa_reserve_vcc 0
		.amdhsa_reserve_flat_scratch 0
		.amdhsa_float_round_mode_32 0
		.amdhsa_float_round_mode_16_64 0
		.amdhsa_float_denorm_mode_32 3
		.amdhsa_float_denorm_mode_16_64 3
		.amdhsa_dx10_clamp 1
		.amdhsa_ieee_mode 1
		.amdhsa_fp16_overflow 0
		.amdhsa_tg_split 0
		.amdhsa_exception_fp_ieee_invalid_op 0
		.amdhsa_exception_fp_denorm_src 0
		.amdhsa_exception_fp_ieee_div_zero 0
		.amdhsa_exception_fp_ieee_overflow 0
		.amdhsa_exception_fp_ieee_underflow 0
		.amdhsa_exception_fp_ieee_inexact 0
		.amdhsa_exception_int_div_zero 0
	.end_amdhsa_kernel
	.section	.text._ZN7rocprim17ROCPRIM_400000_NS6detail17trampoline_kernelINS0_14default_configENS1_38merge_sort_block_merge_config_selectorIslEEZZNS1_27merge_sort_block_merge_implIS3_PsN6thrust23THRUST_200600_302600_NS10device_ptrIlEEjNS1_19radix_merge_compareILb0ELb0EsNS0_19identity_decomposerEEEEE10hipError_tT0_T1_T2_jT3_P12ihipStream_tbPNSt15iterator_traitsISG_E10value_typeEPNSM_ISH_E10value_typeEPSI_NS1_7vsmem_tEENKUlT_SG_SH_SI_E_clIS7_S7_SB_PlEESF_SV_SG_SH_SI_EUlSV_E0_NS1_11comp_targetILNS1_3genE8ELNS1_11target_archE1030ELNS1_3gpuE2ELNS1_3repE0EEENS1_38merge_mergepath_config_static_selectorELNS0_4arch9wavefront6targetE1EEEvSH_,"axG",@progbits,_ZN7rocprim17ROCPRIM_400000_NS6detail17trampoline_kernelINS0_14default_configENS1_38merge_sort_block_merge_config_selectorIslEEZZNS1_27merge_sort_block_merge_implIS3_PsN6thrust23THRUST_200600_302600_NS10device_ptrIlEEjNS1_19radix_merge_compareILb0ELb0EsNS0_19identity_decomposerEEEEE10hipError_tT0_T1_T2_jT3_P12ihipStream_tbPNSt15iterator_traitsISG_E10value_typeEPNSM_ISH_E10value_typeEPSI_NS1_7vsmem_tEENKUlT_SG_SH_SI_E_clIS7_S7_SB_PlEESF_SV_SG_SH_SI_EUlSV_E0_NS1_11comp_targetILNS1_3genE8ELNS1_11target_archE1030ELNS1_3gpuE2ELNS1_3repE0EEENS1_38merge_mergepath_config_static_selectorELNS0_4arch9wavefront6targetE1EEEvSH_,comdat
.Lfunc_end1315:
	.size	_ZN7rocprim17ROCPRIM_400000_NS6detail17trampoline_kernelINS0_14default_configENS1_38merge_sort_block_merge_config_selectorIslEEZZNS1_27merge_sort_block_merge_implIS3_PsN6thrust23THRUST_200600_302600_NS10device_ptrIlEEjNS1_19radix_merge_compareILb0ELb0EsNS0_19identity_decomposerEEEEE10hipError_tT0_T1_T2_jT3_P12ihipStream_tbPNSt15iterator_traitsISG_E10value_typeEPNSM_ISH_E10value_typeEPSI_NS1_7vsmem_tEENKUlT_SG_SH_SI_E_clIS7_S7_SB_PlEESF_SV_SG_SH_SI_EUlSV_E0_NS1_11comp_targetILNS1_3genE8ELNS1_11target_archE1030ELNS1_3gpuE2ELNS1_3repE0EEENS1_38merge_mergepath_config_static_selectorELNS0_4arch9wavefront6targetE1EEEvSH_, .Lfunc_end1315-_ZN7rocprim17ROCPRIM_400000_NS6detail17trampoline_kernelINS0_14default_configENS1_38merge_sort_block_merge_config_selectorIslEEZZNS1_27merge_sort_block_merge_implIS3_PsN6thrust23THRUST_200600_302600_NS10device_ptrIlEEjNS1_19radix_merge_compareILb0ELb0EsNS0_19identity_decomposerEEEEE10hipError_tT0_T1_T2_jT3_P12ihipStream_tbPNSt15iterator_traitsISG_E10value_typeEPNSM_ISH_E10value_typeEPSI_NS1_7vsmem_tEENKUlT_SG_SH_SI_E_clIS7_S7_SB_PlEESF_SV_SG_SH_SI_EUlSV_E0_NS1_11comp_targetILNS1_3genE8ELNS1_11target_archE1030ELNS1_3gpuE2ELNS1_3repE0EEENS1_38merge_mergepath_config_static_selectorELNS0_4arch9wavefront6targetE1EEEvSH_
                                        ; -- End function
	.section	.AMDGPU.csdata,"",@progbits
; Kernel info:
; codeLenInByte = 0
; NumSgprs: 4
; NumVgprs: 0
; NumAgprs: 0
; TotalNumVgprs: 0
; ScratchSize: 0
; MemoryBound: 0
; FloatMode: 240
; IeeeMode: 1
; LDSByteSize: 0 bytes/workgroup (compile time only)
; SGPRBlocks: 0
; VGPRBlocks: 0
; NumSGPRsForWavesPerEU: 4
; NumVGPRsForWavesPerEU: 1
; AccumOffset: 4
; Occupancy: 8
; WaveLimiterHint : 0
; COMPUTE_PGM_RSRC2:SCRATCH_EN: 0
; COMPUTE_PGM_RSRC2:USER_SGPR: 6
; COMPUTE_PGM_RSRC2:TRAP_HANDLER: 0
; COMPUTE_PGM_RSRC2:TGID_X_EN: 1
; COMPUTE_PGM_RSRC2:TGID_Y_EN: 0
; COMPUTE_PGM_RSRC2:TGID_Z_EN: 0
; COMPUTE_PGM_RSRC2:TIDIG_COMP_CNT: 0
; COMPUTE_PGM_RSRC3_GFX90A:ACCUM_OFFSET: 0
; COMPUTE_PGM_RSRC3_GFX90A:TG_SPLIT: 0
	.section	.text._ZN7rocprim17ROCPRIM_400000_NS6detail17trampoline_kernelINS0_14default_configENS1_38merge_sort_block_merge_config_selectorIslEEZZNS1_27merge_sort_block_merge_implIS3_PsN6thrust23THRUST_200600_302600_NS10device_ptrIlEEjNS1_19radix_merge_compareILb0ELb0EsNS0_19identity_decomposerEEEEE10hipError_tT0_T1_T2_jT3_P12ihipStream_tbPNSt15iterator_traitsISG_E10value_typeEPNSM_ISH_E10value_typeEPSI_NS1_7vsmem_tEENKUlT_SG_SH_SI_E_clIS7_S7_SB_PlEESF_SV_SG_SH_SI_EUlSV_E1_NS1_11comp_targetILNS1_3genE0ELNS1_11target_archE4294967295ELNS1_3gpuE0ELNS1_3repE0EEENS1_36merge_oddeven_config_static_selectorELNS0_4arch9wavefront6targetE1EEEvSH_,"axG",@progbits,_ZN7rocprim17ROCPRIM_400000_NS6detail17trampoline_kernelINS0_14default_configENS1_38merge_sort_block_merge_config_selectorIslEEZZNS1_27merge_sort_block_merge_implIS3_PsN6thrust23THRUST_200600_302600_NS10device_ptrIlEEjNS1_19radix_merge_compareILb0ELb0EsNS0_19identity_decomposerEEEEE10hipError_tT0_T1_T2_jT3_P12ihipStream_tbPNSt15iterator_traitsISG_E10value_typeEPNSM_ISH_E10value_typeEPSI_NS1_7vsmem_tEENKUlT_SG_SH_SI_E_clIS7_S7_SB_PlEESF_SV_SG_SH_SI_EUlSV_E1_NS1_11comp_targetILNS1_3genE0ELNS1_11target_archE4294967295ELNS1_3gpuE0ELNS1_3repE0EEENS1_36merge_oddeven_config_static_selectorELNS0_4arch9wavefront6targetE1EEEvSH_,comdat
	.protected	_ZN7rocprim17ROCPRIM_400000_NS6detail17trampoline_kernelINS0_14default_configENS1_38merge_sort_block_merge_config_selectorIslEEZZNS1_27merge_sort_block_merge_implIS3_PsN6thrust23THRUST_200600_302600_NS10device_ptrIlEEjNS1_19radix_merge_compareILb0ELb0EsNS0_19identity_decomposerEEEEE10hipError_tT0_T1_T2_jT3_P12ihipStream_tbPNSt15iterator_traitsISG_E10value_typeEPNSM_ISH_E10value_typeEPSI_NS1_7vsmem_tEENKUlT_SG_SH_SI_E_clIS7_S7_SB_PlEESF_SV_SG_SH_SI_EUlSV_E1_NS1_11comp_targetILNS1_3genE0ELNS1_11target_archE4294967295ELNS1_3gpuE0ELNS1_3repE0EEENS1_36merge_oddeven_config_static_selectorELNS0_4arch9wavefront6targetE1EEEvSH_ ; -- Begin function _ZN7rocprim17ROCPRIM_400000_NS6detail17trampoline_kernelINS0_14default_configENS1_38merge_sort_block_merge_config_selectorIslEEZZNS1_27merge_sort_block_merge_implIS3_PsN6thrust23THRUST_200600_302600_NS10device_ptrIlEEjNS1_19radix_merge_compareILb0ELb0EsNS0_19identity_decomposerEEEEE10hipError_tT0_T1_T2_jT3_P12ihipStream_tbPNSt15iterator_traitsISG_E10value_typeEPNSM_ISH_E10value_typeEPSI_NS1_7vsmem_tEENKUlT_SG_SH_SI_E_clIS7_S7_SB_PlEESF_SV_SG_SH_SI_EUlSV_E1_NS1_11comp_targetILNS1_3genE0ELNS1_11target_archE4294967295ELNS1_3gpuE0ELNS1_3repE0EEENS1_36merge_oddeven_config_static_selectorELNS0_4arch9wavefront6targetE1EEEvSH_
	.globl	_ZN7rocprim17ROCPRIM_400000_NS6detail17trampoline_kernelINS0_14default_configENS1_38merge_sort_block_merge_config_selectorIslEEZZNS1_27merge_sort_block_merge_implIS3_PsN6thrust23THRUST_200600_302600_NS10device_ptrIlEEjNS1_19radix_merge_compareILb0ELb0EsNS0_19identity_decomposerEEEEE10hipError_tT0_T1_T2_jT3_P12ihipStream_tbPNSt15iterator_traitsISG_E10value_typeEPNSM_ISH_E10value_typeEPSI_NS1_7vsmem_tEENKUlT_SG_SH_SI_E_clIS7_S7_SB_PlEESF_SV_SG_SH_SI_EUlSV_E1_NS1_11comp_targetILNS1_3genE0ELNS1_11target_archE4294967295ELNS1_3gpuE0ELNS1_3repE0EEENS1_36merge_oddeven_config_static_selectorELNS0_4arch9wavefront6targetE1EEEvSH_
	.p2align	8
	.type	_ZN7rocprim17ROCPRIM_400000_NS6detail17trampoline_kernelINS0_14default_configENS1_38merge_sort_block_merge_config_selectorIslEEZZNS1_27merge_sort_block_merge_implIS3_PsN6thrust23THRUST_200600_302600_NS10device_ptrIlEEjNS1_19radix_merge_compareILb0ELb0EsNS0_19identity_decomposerEEEEE10hipError_tT0_T1_T2_jT3_P12ihipStream_tbPNSt15iterator_traitsISG_E10value_typeEPNSM_ISH_E10value_typeEPSI_NS1_7vsmem_tEENKUlT_SG_SH_SI_E_clIS7_S7_SB_PlEESF_SV_SG_SH_SI_EUlSV_E1_NS1_11comp_targetILNS1_3genE0ELNS1_11target_archE4294967295ELNS1_3gpuE0ELNS1_3repE0EEENS1_36merge_oddeven_config_static_selectorELNS0_4arch9wavefront6targetE1EEEvSH_,@function
_ZN7rocprim17ROCPRIM_400000_NS6detail17trampoline_kernelINS0_14default_configENS1_38merge_sort_block_merge_config_selectorIslEEZZNS1_27merge_sort_block_merge_implIS3_PsN6thrust23THRUST_200600_302600_NS10device_ptrIlEEjNS1_19radix_merge_compareILb0ELb0EsNS0_19identity_decomposerEEEEE10hipError_tT0_T1_T2_jT3_P12ihipStream_tbPNSt15iterator_traitsISG_E10value_typeEPNSM_ISH_E10value_typeEPSI_NS1_7vsmem_tEENKUlT_SG_SH_SI_E_clIS7_S7_SB_PlEESF_SV_SG_SH_SI_EUlSV_E1_NS1_11comp_targetILNS1_3genE0ELNS1_11target_archE4294967295ELNS1_3gpuE0ELNS1_3repE0EEENS1_36merge_oddeven_config_static_selectorELNS0_4arch9wavefront6targetE1EEEvSH_: ; @_ZN7rocprim17ROCPRIM_400000_NS6detail17trampoline_kernelINS0_14default_configENS1_38merge_sort_block_merge_config_selectorIslEEZZNS1_27merge_sort_block_merge_implIS3_PsN6thrust23THRUST_200600_302600_NS10device_ptrIlEEjNS1_19radix_merge_compareILb0ELb0EsNS0_19identity_decomposerEEEEE10hipError_tT0_T1_T2_jT3_P12ihipStream_tbPNSt15iterator_traitsISG_E10value_typeEPNSM_ISH_E10value_typeEPSI_NS1_7vsmem_tEENKUlT_SG_SH_SI_E_clIS7_S7_SB_PlEESF_SV_SG_SH_SI_EUlSV_E1_NS1_11comp_targetILNS1_3genE0ELNS1_11target_archE4294967295ELNS1_3gpuE0ELNS1_3repE0EEENS1_36merge_oddeven_config_static_selectorELNS0_4arch9wavefront6targetE1EEEvSH_
; %bb.0:
	.section	.rodata,"a",@progbits
	.p2align	6, 0x0
	.amdhsa_kernel _ZN7rocprim17ROCPRIM_400000_NS6detail17trampoline_kernelINS0_14default_configENS1_38merge_sort_block_merge_config_selectorIslEEZZNS1_27merge_sort_block_merge_implIS3_PsN6thrust23THRUST_200600_302600_NS10device_ptrIlEEjNS1_19radix_merge_compareILb0ELb0EsNS0_19identity_decomposerEEEEE10hipError_tT0_T1_T2_jT3_P12ihipStream_tbPNSt15iterator_traitsISG_E10value_typeEPNSM_ISH_E10value_typeEPSI_NS1_7vsmem_tEENKUlT_SG_SH_SI_E_clIS7_S7_SB_PlEESF_SV_SG_SH_SI_EUlSV_E1_NS1_11comp_targetILNS1_3genE0ELNS1_11target_archE4294967295ELNS1_3gpuE0ELNS1_3repE0EEENS1_36merge_oddeven_config_static_selectorELNS0_4arch9wavefront6targetE1EEEvSH_
		.amdhsa_group_segment_fixed_size 0
		.amdhsa_private_segment_fixed_size 0
		.amdhsa_kernarg_size 48
		.amdhsa_user_sgpr_count 6
		.amdhsa_user_sgpr_private_segment_buffer 1
		.amdhsa_user_sgpr_dispatch_ptr 0
		.amdhsa_user_sgpr_queue_ptr 0
		.amdhsa_user_sgpr_kernarg_segment_ptr 1
		.amdhsa_user_sgpr_dispatch_id 0
		.amdhsa_user_sgpr_flat_scratch_init 0
		.amdhsa_user_sgpr_kernarg_preload_length 0
		.amdhsa_user_sgpr_kernarg_preload_offset 0
		.amdhsa_user_sgpr_private_segment_size 0
		.amdhsa_uses_dynamic_stack 0
		.amdhsa_system_sgpr_private_segment_wavefront_offset 0
		.amdhsa_system_sgpr_workgroup_id_x 1
		.amdhsa_system_sgpr_workgroup_id_y 0
		.amdhsa_system_sgpr_workgroup_id_z 0
		.amdhsa_system_sgpr_workgroup_info 0
		.amdhsa_system_vgpr_workitem_id 0
		.amdhsa_next_free_vgpr 1
		.amdhsa_next_free_sgpr 0
		.amdhsa_accum_offset 4
		.amdhsa_reserve_vcc 0
		.amdhsa_reserve_flat_scratch 0
		.amdhsa_float_round_mode_32 0
		.amdhsa_float_round_mode_16_64 0
		.amdhsa_float_denorm_mode_32 3
		.amdhsa_float_denorm_mode_16_64 3
		.amdhsa_dx10_clamp 1
		.amdhsa_ieee_mode 1
		.amdhsa_fp16_overflow 0
		.amdhsa_tg_split 0
		.amdhsa_exception_fp_ieee_invalid_op 0
		.amdhsa_exception_fp_denorm_src 0
		.amdhsa_exception_fp_ieee_div_zero 0
		.amdhsa_exception_fp_ieee_overflow 0
		.amdhsa_exception_fp_ieee_underflow 0
		.amdhsa_exception_fp_ieee_inexact 0
		.amdhsa_exception_int_div_zero 0
	.end_amdhsa_kernel
	.section	.text._ZN7rocprim17ROCPRIM_400000_NS6detail17trampoline_kernelINS0_14default_configENS1_38merge_sort_block_merge_config_selectorIslEEZZNS1_27merge_sort_block_merge_implIS3_PsN6thrust23THRUST_200600_302600_NS10device_ptrIlEEjNS1_19radix_merge_compareILb0ELb0EsNS0_19identity_decomposerEEEEE10hipError_tT0_T1_T2_jT3_P12ihipStream_tbPNSt15iterator_traitsISG_E10value_typeEPNSM_ISH_E10value_typeEPSI_NS1_7vsmem_tEENKUlT_SG_SH_SI_E_clIS7_S7_SB_PlEESF_SV_SG_SH_SI_EUlSV_E1_NS1_11comp_targetILNS1_3genE0ELNS1_11target_archE4294967295ELNS1_3gpuE0ELNS1_3repE0EEENS1_36merge_oddeven_config_static_selectorELNS0_4arch9wavefront6targetE1EEEvSH_,"axG",@progbits,_ZN7rocprim17ROCPRIM_400000_NS6detail17trampoline_kernelINS0_14default_configENS1_38merge_sort_block_merge_config_selectorIslEEZZNS1_27merge_sort_block_merge_implIS3_PsN6thrust23THRUST_200600_302600_NS10device_ptrIlEEjNS1_19radix_merge_compareILb0ELb0EsNS0_19identity_decomposerEEEEE10hipError_tT0_T1_T2_jT3_P12ihipStream_tbPNSt15iterator_traitsISG_E10value_typeEPNSM_ISH_E10value_typeEPSI_NS1_7vsmem_tEENKUlT_SG_SH_SI_E_clIS7_S7_SB_PlEESF_SV_SG_SH_SI_EUlSV_E1_NS1_11comp_targetILNS1_3genE0ELNS1_11target_archE4294967295ELNS1_3gpuE0ELNS1_3repE0EEENS1_36merge_oddeven_config_static_selectorELNS0_4arch9wavefront6targetE1EEEvSH_,comdat
.Lfunc_end1316:
	.size	_ZN7rocprim17ROCPRIM_400000_NS6detail17trampoline_kernelINS0_14default_configENS1_38merge_sort_block_merge_config_selectorIslEEZZNS1_27merge_sort_block_merge_implIS3_PsN6thrust23THRUST_200600_302600_NS10device_ptrIlEEjNS1_19radix_merge_compareILb0ELb0EsNS0_19identity_decomposerEEEEE10hipError_tT0_T1_T2_jT3_P12ihipStream_tbPNSt15iterator_traitsISG_E10value_typeEPNSM_ISH_E10value_typeEPSI_NS1_7vsmem_tEENKUlT_SG_SH_SI_E_clIS7_S7_SB_PlEESF_SV_SG_SH_SI_EUlSV_E1_NS1_11comp_targetILNS1_3genE0ELNS1_11target_archE4294967295ELNS1_3gpuE0ELNS1_3repE0EEENS1_36merge_oddeven_config_static_selectorELNS0_4arch9wavefront6targetE1EEEvSH_, .Lfunc_end1316-_ZN7rocprim17ROCPRIM_400000_NS6detail17trampoline_kernelINS0_14default_configENS1_38merge_sort_block_merge_config_selectorIslEEZZNS1_27merge_sort_block_merge_implIS3_PsN6thrust23THRUST_200600_302600_NS10device_ptrIlEEjNS1_19radix_merge_compareILb0ELb0EsNS0_19identity_decomposerEEEEE10hipError_tT0_T1_T2_jT3_P12ihipStream_tbPNSt15iterator_traitsISG_E10value_typeEPNSM_ISH_E10value_typeEPSI_NS1_7vsmem_tEENKUlT_SG_SH_SI_E_clIS7_S7_SB_PlEESF_SV_SG_SH_SI_EUlSV_E1_NS1_11comp_targetILNS1_3genE0ELNS1_11target_archE4294967295ELNS1_3gpuE0ELNS1_3repE0EEENS1_36merge_oddeven_config_static_selectorELNS0_4arch9wavefront6targetE1EEEvSH_
                                        ; -- End function
	.section	.AMDGPU.csdata,"",@progbits
; Kernel info:
; codeLenInByte = 0
; NumSgprs: 4
; NumVgprs: 0
; NumAgprs: 0
; TotalNumVgprs: 0
; ScratchSize: 0
; MemoryBound: 0
; FloatMode: 240
; IeeeMode: 1
; LDSByteSize: 0 bytes/workgroup (compile time only)
; SGPRBlocks: 0
; VGPRBlocks: 0
; NumSGPRsForWavesPerEU: 4
; NumVGPRsForWavesPerEU: 1
; AccumOffset: 4
; Occupancy: 8
; WaveLimiterHint : 0
; COMPUTE_PGM_RSRC2:SCRATCH_EN: 0
; COMPUTE_PGM_RSRC2:USER_SGPR: 6
; COMPUTE_PGM_RSRC2:TRAP_HANDLER: 0
; COMPUTE_PGM_RSRC2:TGID_X_EN: 1
; COMPUTE_PGM_RSRC2:TGID_Y_EN: 0
; COMPUTE_PGM_RSRC2:TGID_Z_EN: 0
; COMPUTE_PGM_RSRC2:TIDIG_COMP_CNT: 0
; COMPUTE_PGM_RSRC3_GFX90A:ACCUM_OFFSET: 0
; COMPUTE_PGM_RSRC3_GFX90A:TG_SPLIT: 0
	.section	.text._ZN7rocprim17ROCPRIM_400000_NS6detail17trampoline_kernelINS0_14default_configENS1_38merge_sort_block_merge_config_selectorIslEEZZNS1_27merge_sort_block_merge_implIS3_PsN6thrust23THRUST_200600_302600_NS10device_ptrIlEEjNS1_19radix_merge_compareILb0ELb0EsNS0_19identity_decomposerEEEEE10hipError_tT0_T1_T2_jT3_P12ihipStream_tbPNSt15iterator_traitsISG_E10value_typeEPNSM_ISH_E10value_typeEPSI_NS1_7vsmem_tEENKUlT_SG_SH_SI_E_clIS7_S7_SB_PlEESF_SV_SG_SH_SI_EUlSV_E1_NS1_11comp_targetILNS1_3genE10ELNS1_11target_archE1201ELNS1_3gpuE5ELNS1_3repE0EEENS1_36merge_oddeven_config_static_selectorELNS0_4arch9wavefront6targetE1EEEvSH_,"axG",@progbits,_ZN7rocprim17ROCPRIM_400000_NS6detail17trampoline_kernelINS0_14default_configENS1_38merge_sort_block_merge_config_selectorIslEEZZNS1_27merge_sort_block_merge_implIS3_PsN6thrust23THRUST_200600_302600_NS10device_ptrIlEEjNS1_19radix_merge_compareILb0ELb0EsNS0_19identity_decomposerEEEEE10hipError_tT0_T1_T2_jT3_P12ihipStream_tbPNSt15iterator_traitsISG_E10value_typeEPNSM_ISH_E10value_typeEPSI_NS1_7vsmem_tEENKUlT_SG_SH_SI_E_clIS7_S7_SB_PlEESF_SV_SG_SH_SI_EUlSV_E1_NS1_11comp_targetILNS1_3genE10ELNS1_11target_archE1201ELNS1_3gpuE5ELNS1_3repE0EEENS1_36merge_oddeven_config_static_selectorELNS0_4arch9wavefront6targetE1EEEvSH_,comdat
	.protected	_ZN7rocprim17ROCPRIM_400000_NS6detail17trampoline_kernelINS0_14default_configENS1_38merge_sort_block_merge_config_selectorIslEEZZNS1_27merge_sort_block_merge_implIS3_PsN6thrust23THRUST_200600_302600_NS10device_ptrIlEEjNS1_19radix_merge_compareILb0ELb0EsNS0_19identity_decomposerEEEEE10hipError_tT0_T1_T2_jT3_P12ihipStream_tbPNSt15iterator_traitsISG_E10value_typeEPNSM_ISH_E10value_typeEPSI_NS1_7vsmem_tEENKUlT_SG_SH_SI_E_clIS7_S7_SB_PlEESF_SV_SG_SH_SI_EUlSV_E1_NS1_11comp_targetILNS1_3genE10ELNS1_11target_archE1201ELNS1_3gpuE5ELNS1_3repE0EEENS1_36merge_oddeven_config_static_selectorELNS0_4arch9wavefront6targetE1EEEvSH_ ; -- Begin function _ZN7rocprim17ROCPRIM_400000_NS6detail17trampoline_kernelINS0_14default_configENS1_38merge_sort_block_merge_config_selectorIslEEZZNS1_27merge_sort_block_merge_implIS3_PsN6thrust23THRUST_200600_302600_NS10device_ptrIlEEjNS1_19radix_merge_compareILb0ELb0EsNS0_19identity_decomposerEEEEE10hipError_tT0_T1_T2_jT3_P12ihipStream_tbPNSt15iterator_traitsISG_E10value_typeEPNSM_ISH_E10value_typeEPSI_NS1_7vsmem_tEENKUlT_SG_SH_SI_E_clIS7_S7_SB_PlEESF_SV_SG_SH_SI_EUlSV_E1_NS1_11comp_targetILNS1_3genE10ELNS1_11target_archE1201ELNS1_3gpuE5ELNS1_3repE0EEENS1_36merge_oddeven_config_static_selectorELNS0_4arch9wavefront6targetE1EEEvSH_
	.globl	_ZN7rocprim17ROCPRIM_400000_NS6detail17trampoline_kernelINS0_14default_configENS1_38merge_sort_block_merge_config_selectorIslEEZZNS1_27merge_sort_block_merge_implIS3_PsN6thrust23THRUST_200600_302600_NS10device_ptrIlEEjNS1_19radix_merge_compareILb0ELb0EsNS0_19identity_decomposerEEEEE10hipError_tT0_T1_T2_jT3_P12ihipStream_tbPNSt15iterator_traitsISG_E10value_typeEPNSM_ISH_E10value_typeEPSI_NS1_7vsmem_tEENKUlT_SG_SH_SI_E_clIS7_S7_SB_PlEESF_SV_SG_SH_SI_EUlSV_E1_NS1_11comp_targetILNS1_3genE10ELNS1_11target_archE1201ELNS1_3gpuE5ELNS1_3repE0EEENS1_36merge_oddeven_config_static_selectorELNS0_4arch9wavefront6targetE1EEEvSH_
	.p2align	8
	.type	_ZN7rocprim17ROCPRIM_400000_NS6detail17trampoline_kernelINS0_14default_configENS1_38merge_sort_block_merge_config_selectorIslEEZZNS1_27merge_sort_block_merge_implIS3_PsN6thrust23THRUST_200600_302600_NS10device_ptrIlEEjNS1_19radix_merge_compareILb0ELb0EsNS0_19identity_decomposerEEEEE10hipError_tT0_T1_T2_jT3_P12ihipStream_tbPNSt15iterator_traitsISG_E10value_typeEPNSM_ISH_E10value_typeEPSI_NS1_7vsmem_tEENKUlT_SG_SH_SI_E_clIS7_S7_SB_PlEESF_SV_SG_SH_SI_EUlSV_E1_NS1_11comp_targetILNS1_3genE10ELNS1_11target_archE1201ELNS1_3gpuE5ELNS1_3repE0EEENS1_36merge_oddeven_config_static_selectorELNS0_4arch9wavefront6targetE1EEEvSH_,@function
_ZN7rocprim17ROCPRIM_400000_NS6detail17trampoline_kernelINS0_14default_configENS1_38merge_sort_block_merge_config_selectorIslEEZZNS1_27merge_sort_block_merge_implIS3_PsN6thrust23THRUST_200600_302600_NS10device_ptrIlEEjNS1_19radix_merge_compareILb0ELb0EsNS0_19identity_decomposerEEEEE10hipError_tT0_T1_T2_jT3_P12ihipStream_tbPNSt15iterator_traitsISG_E10value_typeEPNSM_ISH_E10value_typeEPSI_NS1_7vsmem_tEENKUlT_SG_SH_SI_E_clIS7_S7_SB_PlEESF_SV_SG_SH_SI_EUlSV_E1_NS1_11comp_targetILNS1_3genE10ELNS1_11target_archE1201ELNS1_3gpuE5ELNS1_3repE0EEENS1_36merge_oddeven_config_static_selectorELNS0_4arch9wavefront6targetE1EEEvSH_: ; @_ZN7rocprim17ROCPRIM_400000_NS6detail17trampoline_kernelINS0_14default_configENS1_38merge_sort_block_merge_config_selectorIslEEZZNS1_27merge_sort_block_merge_implIS3_PsN6thrust23THRUST_200600_302600_NS10device_ptrIlEEjNS1_19radix_merge_compareILb0ELb0EsNS0_19identity_decomposerEEEEE10hipError_tT0_T1_T2_jT3_P12ihipStream_tbPNSt15iterator_traitsISG_E10value_typeEPNSM_ISH_E10value_typeEPSI_NS1_7vsmem_tEENKUlT_SG_SH_SI_E_clIS7_S7_SB_PlEESF_SV_SG_SH_SI_EUlSV_E1_NS1_11comp_targetILNS1_3genE10ELNS1_11target_archE1201ELNS1_3gpuE5ELNS1_3repE0EEENS1_36merge_oddeven_config_static_selectorELNS0_4arch9wavefront6targetE1EEEvSH_
; %bb.0:
	.section	.rodata,"a",@progbits
	.p2align	6, 0x0
	.amdhsa_kernel _ZN7rocprim17ROCPRIM_400000_NS6detail17trampoline_kernelINS0_14default_configENS1_38merge_sort_block_merge_config_selectorIslEEZZNS1_27merge_sort_block_merge_implIS3_PsN6thrust23THRUST_200600_302600_NS10device_ptrIlEEjNS1_19radix_merge_compareILb0ELb0EsNS0_19identity_decomposerEEEEE10hipError_tT0_T1_T2_jT3_P12ihipStream_tbPNSt15iterator_traitsISG_E10value_typeEPNSM_ISH_E10value_typeEPSI_NS1_7vsmem_tEENKUlT_SG_SH_SI_E_clIS7_S7_SB_PlEESF_SV_SG_SH_SI_EUlSV_E1_NS1_11comp_targetILNS1_3genE10ELNS1_11target_archE1201ELNS1_3gpuE5ELNS1_3repE0EEENS1_36merge_oddeven_config_static_selectorELNS0_4arch9wavefront6targetE1EEEvSH_
		.amdhsa_group_segment_fixed_size 0
		.amdhsa_private_segment_fixed_size 0
		.amdhsa_kernarg_size 48
		.amdhsa_user_sgpr_count 6
		.amdhsa_user_sgpr_private_segment_buffer 1
		.amdhsa_user_sgpr_dispatch_ptr 0
		.amdhsa_user_sgpr_queue_ptr 0
		.amdhsa_user_sgpr_kernarg_segment_ptr 1
		.amdhsa_user_sgpr_dispatch_id 0
		.amdhsa_user_sgpr_flat_scratch_init 0
		.amdhsa_user_sgpr_kernarg_preload_length 0
		.amdhsa_user_sgpr_kernarg_preload_offset 0
		.amdhsa_user_sgpr_private_segment_size 0
		.amdhsa_uses_dynamic_stack 0
		.amdhsa_system_sgpr_private_segment_wavefront_offset 0
		.amdhsa_system_sgpr_workgroup_id_x 1
		.amdhsa_system_sgpr_workgroup_id_y 0
		.amdhsa_system_sgpr_workgroup_id_z 0
		.amdhsa_system_sgpr_workgroup_info 0
		.amdhsa_system_vgpr_workitem_id 0
		.amdhsa_next_free_vgpr 1
		.amdhsa_next_free_sgpr 0
		.amdhsa_accum_offset 4
		.amdhsa_reserve_vcc 0
		.amdhsa_reserve_flat_scratch 0
		.amdhsa_float_round_mode_32 0
		.amdhsa_float_round_mode_16_64 0
		.amdhsa_float_denorm_mode_32 3
		.amdhsa_float_denorm_mode_16_64 3
		.amdhsa_dx10_clamp 1
		.amdhsa_ieee_mode 1
		.amdhsa_fp16_overflow 0
		.amdhsa_tg_split 0
		.amdhsa_exception_fp_ieee_invalid_op 0
		.amdhsa_exception_fp_denorm_src 0
		.amdhsa_exception_fp_ieee_div_zero 0
		.amdhsa_exception_fp_ieee_overflow 0
		.amdhsa_exception_fp_ieee_underflow 0
		.amdhsa_exception_fp_ieee_inexact 0
		.amdhsa_exception_int_div_zero 0
	.end_amdhsa_kernel
	.section	.text._ZN7rocprim17ROCPRIM_400000_NS6detail17trampoline_kernelINS0_14default_configENS1_38merge_sort_block_merge_config_selectorIslEEZZNS1_27merge_sort_block_merge_implIS3_PsN6thrust23THRUST_200600_302600_NS10device_ptrIlEEjNS1_19radix_merge_compareILb0ELb0EsNS0_19identity_decomposerEEEEE10hipError_tT0_T1_T2_jT3_P12ihipStream_tbPNSt15iterator_traitsISG_E10value_typeEPNSM_ISH_E10value_typeEPSI_NS1_7vsmem_tEENKUlT_SG_SH_SI_E_clIS7_S7_SB_PlEESF_SV_SG_SH_SI_EUlSV_E1_NS1_11comp_targetILNS1_3genE10ELNS1_11target_archE1201ELNS1_3gpuE5ELNS1_3repE0EEENS1_36merge_oddeven_config_static_selectorELNS0_4arch9wavefront6targetE1EEEvSH_,"axG",@progbits,_ZN7rocprim17ROCPRIM_400000_NS6detail17trampoline_kernelINS0_14default_configENS1_38merge_sort_block_merge_config_selectorIslEEZZNS1_27merge_sort_block_merge_implIS3_PsN6thrust23THRUST_200600_302600_NS10device_ptrIlEEjNS1_19radix_merge_compareILb0ELb0EsNS0_19identity_decomposerEEEEE10hipError_tT0_T1_T2_jT3_P12ihipStream_tbPNSt15iterator_traitsISG_E10value_typeEPNSM_ISH_E10value_typeEPSI_NS1_7vsmem_tEENKUlT_SG_SH_SI_E_clIS7_S7_SB_PlEESF_SV_SG_SH_SI_EUlSV_E1_NS1_11comp_targetILNS1_3genE10ELNS1_11target_archE1201ELNS1_3gpuE5ELNS1_3repE0EEENS1_36merge_oddeven_config_static_selectorELNS0_4arch9wavefront6targetE1EEEvSH_,comdat
.Lfunc_end1317:
	.size	_ZN7rocprim17ROCPRIM_400000_NS6detail17trampoline_kernelINS0_14default_configENS1_38merge_sort_block_merge_config_selectorIslEEZZNS1_27merge_sort_block_merge_implIS3_PsN6thrust23THRUST_200600_302600_NS10device_ptrIlEEjNS1_19radix_merge_compareILb0ELb0EsNS0_19identity_decomposerEEEEE10hipError_tT0_T1_T2_jT3_P12ihipStream_tbPNSt15iterator_traitsISG_E10value_typeEPNSM_ISH_E10value_typeEPSI_NS1_7vsmem_tEENKUlT_SG_SH_SI_E_clIS7_S7_SB_PlEESF_SV_SG_SH_SI_EUlSV_E1_NS1_11comp_targetILNS1_3genE10ELNS1_11target_archE1201ELNS1_3gpuE5ELNS1_3repE0EEENS1_36merge_oddeven_config_static_selectorELNS0_4arch9wavefront6targetE1EEEvSH_, .Lfunc_end1317-_ZN7rocprim17ROCPRIM_400000_NS6detail17trampoline_kernelINS0_14default_configENS1_38merge_sort_block_merge_config_selectorIslEEZZNS1_27merge_sort_block_merge_implIS3_PsN6thrust23THRUST_200600_302600_NS10device_ptrIlEEjNS1_19radix_merge_compareILb0ELb0EsNS0_19identity_decomposerEEEEE10hipError_tT0_T1_T2_jT3_P12ihipStream_tbPNSt15iterator_traitsISG_E10value_typeEPNSM_ISH_E10value_typeEPSI_NS1_7vsmem_tEENKUlT_SG_SH_SI_E_clIS7_S7_SB_PlEESF_SV_SG_SH_SI_EUlSV_E1_NS1_11comp_targetILNS1_3genE10ELNS1_11target_archE1201ELNS1_3gpuE5ELNS1_3repE0EEENS1_36merge_oddeven_config_static_selectorELNS0_4arch9wavefront6targetE1EEEvSH_
                                        ; -- End function
	.section	.AMDGPU.csdata,"",@progbits
; Kernel info:
; codeLenInByte = 0
; NumSgprs: 4
; NumVgprs: 0
; NumAgprs: 0
; TotalNumVgprs: 0
; ScratchSize: 0
; MemoryBound: 0
; FloatMode: 240
; IeeeMode: 1
; LDSByteSize: 0 bytes/workgroup (compile time only)
; SGPRBlocks: 0
; VGPRBlocks: 0
; NumSGPRsForWavesPerEU: 4
; NumVGPRsForWavesPerEU: 1
; AccumOffset: 4
; Occupancy: 8
; WaveLimiterHint : 0
; COMPUTE_PGM_RSRC2:SCRATCH_EN: 0
; COMPUTE_PGM_RSRC2:USER_SGPR: 6
; COMPUTE_PGM_RSRC2:TRAP_HANDLER: 0
; COMPUTE_PGM_RSRC2:TGID_X_EN: 1
; COMPUTE_PGM_RSRC2:TGID_Y_EN: 0
; COMPUTE_PGM_RSRC2:TGID_Z_EN: 0
; COMPUTE_PGM_RSRC2:TIDIG_COMP_CNT: 0
; COMPUTE_PGM_RSRC3_GFX90A:ACCUM_OFFSET: 0
; COMPUTE_PGM_RSRC3_GFX90A:TG_SPLIT: 0
	.section	.text._ZN7rocprim17ROCPRIM_400000_NS6detail17trampoline_kernelINS0_14default_configENS1_38merge_sort_block_merge_config_selectorIslEEZZNS1_27merge_sort_block_merge_implIS3_PsN6thrust23THRUST_200600_302600_NS10device_ptrIlEEjNS1_19radix_merge_compareILb0ELb0EsNS0_19identity_decomposerEEEEE10hipError_tT0_T1_T2_jT3_P12ihipStream_tbPNSt15iterator_traitsISG_E10value_typeEPNSM_ISH_E10value_typeEPSI_NS1_7vsmem_tEENKUlT_SG_SH_SI_E_clIS7_S7_SB_PlEESF_SV_SG_SH_SI_EUlSV_E1_NS1_11comp_targetILNS1_3genE5ELNS1_11target_archE942ELNS1_3gpuE9ELNS1_3repE0EEENS1_36merge_oddeven_config_static_selectorELNS0_4arch9wavefront6targetE1EEEvSH_,"axG",@progbits,_ZN7rocprim17ROCPRIM_400000_NS6detail17trampoline_kernelINS0_14default_configENS1_38merge_sort_block_merge_config_selectorIslEEZZNS1_27merge_sort_block_merge_implIS3_PsN6thrust23THRUST_200600_302600_NS10device_ptrIlEEjNS1_19radix_merge_compareILb0ELb0EsNS0_19identity_decomposerEEEEE10hipError_tT0_T1_T2_jT3_P12ihipStream_tbPNSt15iterator_traitsISG_E10value_typeEPNSM_ISH_E10value_typeEPSI_NS1_7vsmem_tEENKUlT_SG_SH_SI_E_clIS7_S7_SB_PlEESF_SV_SG_SH_SI_EUlSV_E1_NS1_11comp_targetILNS1_3genE5ELNS1_11target_archE942ELNS1_3gpuE9ELNS1_3repE0EEENS1_36merge_oddeven_config_static_selectorELNS0_4arch9wavefront6targetE1EEEvSH_,comdat
	.protected	_ZN7rocprim17ROCPRIM_400000_NS6detail17trampoline_kernelINS0_14default_configENS1_38merge_sort_block_merge_config_selectorIslEEZZNS1_27merge_sort_block_merge_implIS3_PsN6thrust23THRUST_200600_302600_NS10device_ptrIlEEjNS1_19radix_merge_compareILb0ELb0EsNS0_19identity_decomposerEEEEE10hipError_tT0_T1_T2_jT3_P12ihipStream_tbPNSt15iterator_traitsISG_E10value_typeEPNSM_ISH_E10value_typeEPSI_NS1_7vsmem_tEENKUlT_SG_SH_SI_E_clIS7_S7_SB_PlEESF_SV_SG_SH_SI_EUlSV_E1_NS1_11comp_targetILNS1_3genE5ELNS1_11target_archE942ELNS1_3gpuE9ELNS1_3repE0EEENS1_36merge_oddeven_config_static_selectorELNS0_4arch9wavefront6targetE1EEEvSH_ ; -- Begin function _ZN7rocprim17ROCPRIM_400000_NS6detail17trampoline_kernelINS0_14default_configENS1_38merge_sort_block_merge_config_selectorIslEEZZNS1_27merge_sort_block_merge_implIS3_PsN6thrust23THRUST_200600_302600_NS10device_ptrIlEEjNS1_19radix_merge_compareILb0ELb0EsNS0_19identity_decomposerEEEEE10hipError_tT0_T1_T2_jT3_P12ihipStream_tbPNSt15iterator_traitsISG_E10value_typeEPNSM_ISH_E10value_typeEPSI_NS1_7vsmem_tEENKUlT_SG_SH_SI_E_clIS7_S7_SB_PlEESF_SV_SG_SH_SI_EUlSV_E1_NS1_11comp_targetILNS1_3genE5ELNS1_11target_archE942ELNS1_3gpuE9ELNS1_3repE0EEENS1_36merge_oddeven_config_static_selectorELNS0_4arch9wavefront6targetE1EEEvSH_
	.globl	_ZN7rocprim17ROCPRIM_400000_NS6detail17trampoline_kernelINS0_14default_configENS1_38merge_sort_block_merge_config_selectorIslEEZZNS1_27merge_sort_block_merge_implIS3_PsN6thrust23THRUST_200600_302600_NS10device_ptrIlEEjNS1_19radix_merge_compareILb0ELb0EsNS0_19identity_decomposerEEEEE10hipError_tT0_T1_T2_jT3_P12ihipStream_tbPNSt15iterator_traitsISG_E10value_typeEPNSM_ISH_E10value_typeEPSI_NS1_7vsmem_tEENKUlT_SG_SH_SI_E_clIS7_S7_SB_PlEESF_SV_SG_SH_SI_EUlSV_E1_NS1_11comp_targetILNS1_3genE5ELNS1_11target_archE942ELNS1_3gpuE9ELNS1_3repE0EEENS1_36merge_oddeven_config_static_selectorELNS0_4arch9wavefront6targetE1EEEvSH_
	.p2align	8
	.type	_ZN7rocprim17ROCPRIM_400000_NS6detail17trampoline_kernelINS0_14default_configENS1_38merge_sort_block_merge_config_selectorIslEEZZNS1_27merge_sort_block_merge_implIS3_PsN6thrust23THRUST_200600_302600_NS10device_ptrIlEEjNS1_19radix_merge_compareILb0ELb0EsNS0_19identity_decomposerEEEEE10hipError_tT0_T1_T2_jT3_P12ihipStream_tbPNSt15iterator_traitsISG_E10value_typeEPNSM_ISH_E10value_typeEPSI_NS1_7vsmem_tEENKUlT_SG_SH_SI_E_clIS7_S7_SB_PlEESF_SV_SG_SH_SI_EUlSV_E1_NS1_11comp_targetILNS1_3genE5ELNS1_11target_archE942ELNS1_3gpuE9ELNS1_3repE0EEENS1_36merge_oddeven_config_static_selectorELNS0_4arch9wavefront6targetE1EEEvSH_,@function
_ZN7rocprim17ROCPRIM_400000_NS6detail17trampoline_kernelINS0_14default_configENS1_38merge_sort_block_merge_config_selectorIslEEZZNS1_27merge_sort_block_merge_implIS3_PsN6thrust23THRUST_200600_302600_NS10device_ptrIlEEjNS1_19radix_merge_compareILb0ELb0EsNS0_19identity_decomposerEEEEE10hipError_tT0_T1_T2_jT3_P12ihipStream_tbPNSt15iterator_traitsISG_E10value_typeEPNSM_ISH_E10value_typeEPSI_NS1_7vsmem_tEENKUlT_SG_SH_SI_E_clIS7_S7_SB_PlEESF_SV_SG_SH_SI_EUlSV_E1_NS1_11comp_targetILNS1_3genE5ELNS1_11target_archE942ELNS1_3gpuE9ELNS1_3repE0EEENS1_36merge_oddeven_config_static_selectorELNS0_4arch9wavefront6targetE1EEEvSH_: ; @_ZN7rocprim17ROCPRIM_400000_NS6detail17trampoline_kernelINS0_14default_configENS1_38merge_sort_block_merge_config_selectorIslEEZZNS1_27merge_sort_block_merge_implIS3_PsN6thrust23THRUST_200600_302600_NS10device_ptrIlEEjNS1_19radix_merge_compareILb0ELb0EsNS0_19identity_decomposerEEEEE10hipError_tT0_T1_T2_jT3_P12ihipStream_tbPNSt15iterator_traitsISG_E10value_typeEPNSM_ISH_E10value_typeEPSI_NS1_7vsmem_tEENKUlT_SG_SH_SI_E_clIS7_S7_SB_PlEESF_SV_SG_SH_SI_EUlSV_E1_NS1_11comp_targetILNS1_3genE5ELNS1_11target_archE942ELNS1_3gpuE9ELNS1_3repE0EEENS1_36merge_oddeven_config_static_selectorELNS0_4arch9wavefront6targetE1EEEvSH_
; %bb.0:
	.section	.rodata,"a",@progbits
	.p2align	6, 0x0
	.amdhsa_kernel _ZN7rocprim17ROCPRIM_400000_NS6detail17trampoline_kernelINS0_14default_configENS1_38merge_sort_block_merge_config_selectorIslEEZZNS1_27merge_sort_block_merge_implIS3_PsN6thrust23THRUST_200600_302600_NS10device_ptrIlEEjNS1_19radix_merge_compareILb0ELb0EsNS0_19identity_decomposerEEEEE10hipError_tT0_T1_T2_jT3_P12ihipStream_tbPNSt15iterator_traitsISG_E10value_typeEPNSM_ISH_E10value_typeEPSI_NS1_7vsmem_tEENKUlT_SG_SH_SI_E_clIS7_S7_SB_PlEESF_SV_SG_SH_SI_EUlSV_E1_NS1_11comp_targetILNS1_3genE5ELNS1_11target_archE942ELNS1_3gpuE9ELNS1_3repE0EEENS1_36merge_oddeven_config_static_selectorELNS0_4arch9wavefront6targetE1EEEvSH_
		.amdhsa_group_segment_fixed_size 0
		.amdhsa_private_segment_fixed_size 0
		.amdhsa_kernarg_size 48
		.amdhsa_user_sgpr_count 6
		.amdhsa_user_sgpr_private_segment_buffer 1
		.amdhsa_user_sgpr_dispatch_ptr 0
		.amdhsa_user_sgpr_queue_ptr 0
		.amdhsa_user_sgpr_kernarg_segment_ptr 1
		.amdhsa_user_sgpr_dispatch_id 0
		.amdhsa_user_sgpr_flat_scratch_init 0
		.amdhsa_user_sgpr_kernarg_preload_length 0
		.amdhsa_user_sgpr_kernarg_preload_offset 0
		.amdhsa_user_sgpr_private_segment_size 0
		.amdhsa_uses_dynamic_stack 0
		.amdhsa_system_sgpr_private_segment_wavefront_offset 0
		.amdhsa_system_sgpr_workgroup_id_x 1
		.amdhsa_system_sgpr_workgroup_id_y 0
		.amdhsa_system_sgpr_workgroup_id_z 0
		.amdhsa_system_sgpr_workgroup_info 0
		.amdhsa_system_vgpr_workitem_id 0
		.amdhsa_next_free_vgpr 1
		.amdhsa_next_free_sgpr 0
		.amdhsa_accum_offset 4
		.amdhsa_reserve_vcc 0
		.amdhsa_reserve_flat_scratch 0
		.amdhsa_float_round_mode_32 0
		.amdhsa_float_round_mode_16_64 0
		.amdhsa_float_denorm_mode_32 3
		.amdhsa_float_denorm_mode_16_64 3
		.amdhsa_dx10_clamp 1
		.amdhsa_ieee_mode 1
		.amdhsa_fp16_overflow 0
		.amdhsa_tg_split 0
		.amdhsa_exception_fp_ieee_invalid_op 0
		.amdhsa_exception_fp_denorm_src 0
		.amdhsa_exception_fp_ieee_div_zero 0
		.amdhsa_exception_fp_ieee_overflow 0
		.amdhsa_exception_fp_ieee_underflow 0
		.amdhsa_exception_fp_ieee_inexact 0
		.amdhsa_exception_int_div_zero 0
	.end_amdhsa_kernel
	.section	.text._ZN7rocprim17ROCPRIM_400000_NS6detail17trampoline_kernelINS0_14default_configENS1_38merge_sort_block_merge_config_selectorIslEEZZNS1_27merge_sort_block_merge_implIS3_PsN6thrust23THRUST_200600_302600_NS10device_ptrIlEEjNS1_19radix_merge_compareILb0ELb0EsNS0_19identity_decomposerEEEEE10hipError_tT0_T1_T2_jT3_P12ihipStream_tbPNSt15iterator_traitsISG_E10value_typeEPNSM_ISH_E10value_typeEPSI_NS1_7vsmem_tEENKUlT_SG_SH_SI_E_clIS7_S7_SB_PlEESF_SV_SG_SH_SI_EUlSV_E1_NS1_11comp_targetILNS1_3genE5ELNS1_11target_archE942ELNS1_3gpuE9ELNS1_3repE0EEENS1_36merge_oddeven_config_static_selectorELNS0_4arch9wavefront6targetE1EEEvSH_,"axG",@progbits,_ZN7rocprim17ROCPRIM_400000_NS6detail17trampoline_kernelINS0_14default_configENS1_38merge_sort_block_merge_config_selectorIslEEZZNS1_27merge_sort_block_merge_implIS3_PsN6thrust23THRUST_200600_302600_NS10device_ptrIlEEjNS1_19radix_merge_compareILb0ELb0EsNS0_19identity_decomposerEEEEE10hipError_tT0_T1_T2_jT3_P12ihipStream_tbPNSt15iterator_traitsISG_E10value_typeEPNSM_ISH_E10value_typeEPSI_NS1_7vsmem_tEENKUlT_SG_SH_SI_E_clIS7_S7_SB_PlEESF_SV_SG_SH_SI_EUlSV_E1_NS1_11comp_targetILNS1_3genE5ELNS1_11target_archE942ELNS1_3gpuE9ELNS1_3repE0EEENS1_36merge_oddeven_config_static_selectorELNS0_4arch9wavefront6targetE1EEEvSH_,comdat
.Lfunc_end1318:
	.size	_ZN7rocprim17ROCPRIM_400000_NS6detail17trampoline_kernelINS0_14default_configENS1_38merge_sort_block_merge_config_selectorIslEEZZNS1_27merge_sort_block_merge_implIS3_PsN6thrust23THRUST_200600_302600_NS10device_ptrIlEEjNS1_19radix_merge_compareILb0ELb0EsNS0_19identity_decomposerEEEEE10hipError_tT0_T1_T2_jT3_P12ihipStream_tbPNSt15iterator_traitsISG_E10value_typeEPNSM_ISH_E10value_typeEPSI_NS1_7vsmem_tEENKUlT_SG_SH_SI_E_clIS7_S7_SB_PlEESF_SV_SG_SH_SI_EUlSV_E1_NS1_11comp_targetILNS1_3genE5ELNS1_11target_archE942ELNS1_3gpuE9ELNS1_3repE0EEENS1_36merge_oddeven_config_static_selectorELNS0_4arch9wavefront6targetE1EEEvSH_, .Lfunc_end1318-_ZN7rocprim17ROCPRIM_400000_NS6detail17trampoline_kernelINS0_14default_configENS1_38merge_sort_block_merge_config_selectorIslEEZZNS1_27merge_sort_block_merge_implIS3_PsN6thrust23THRUST_200600_302600_NS10device_ptrIlEEjNS1_19radix_merge_compareILb0ELb0EsNS0_19identity_decomposerEEEEE10hipError_tT0_T1_T2_jT3_P12ihipStream_tbPNSt15iterator_traitsISG_E10value_typeEPNSM_ISH_E10value_typeEPSI_NS1_7vsmem_tEENKUlT_SG_SH_SI_E_clIS7_S7_SB_PlEESF_SV_SG_SH_SI_EUlSV_E1_NS1_11comp_targetILNS1_3genE5ELNS1_11target_archE942ELNS1_3gpuE9ELNS1_3repE0EEENS1_36merge_oddeven_config_static_selectorELNS0_4arch9wavefront6targetE1EEEvSH_
                                        ; -- End function
	.section	.AMDGPU.csdata,"",@progbits
; Kernel info:
; codeLenInByte = 0
; NumSgprs: 4
; NumVgprs: 0
; NumAgprs: 0
; TotalNumVgprs: 0
; ScratchSize: 0
; MemoryBound: 0
; FloatMode: 240
; IeeeMode: 1
; LDSByteSize: 0 bytes/workgroup (compile time only)
; SGPRBlocks: 0
; VGPRBlocks: 0
; NumSGPRsForWavesPerEU: 4
; NumVGPRsForWavesPerEU: 1
; AccumOffset: 4
; Occupancy: 8
; WaveLimiterHint : 0
; COMPUTE_PGM_RSRC2:SCRATCH_EN: 0
; COMPUTE_PGM_RSRC2:USER_SGPR: 6
; COMPUTE_PGM_RSRC2:TRAP_HANDLER: 0
; COMPUTE_PGM_RSRC2:TGID_X_EN: 1
; COMPUTE_PGM_RSRC2:TGID_Y_EN: 0
; COMPUTE_PGM_RSRC2:TGID_Z_EN: 0
; COMPUTE_PGM_RSRC2:TIDIG_COMP_CNT: 0
; COMPUTE_PGM_RSRC3_GFX90A:ACCUM_OFFSET: 0
; COMPUTE_PGM_RSRC3_GFX90A:TG_SPLIT: 0
	.section	.text._ZN7rocprim17ROCPRIM_400000_NS6detail17trampoline_kernelINS0_14default_configENS1_38merge_sort_block_merge_config_selectorIslEEZZNS1_27merge_sort_block_merge_implIS3_PsN6thrust23THRUST_200600_302600_NS10device_ptrIlEEjNS1_19radix_merge_compareILb0ELb0EsNS0_19identity_decomposerEEEEE10hipError_tT0_T1_T2_jT3_P12ihipStream_tbPNSt15iterator_traitsISG_E10value_typeEPNSM_ISH_E10value_typeEPSI_NS1_7vsmem_tEENKUlT_SG_SH_SI_E_clIS7_S7_SB_PlEESF_SV_SG_SH_SI_EUlSV_E1_NS1_11comp_targetILNS1_3genE4ELNS1_11target_archE910ELNS1_3gpuE8ELNS1_3repE0EEENS1_36merge_oddeven_config_static_selectorELNS0_4arch9wavefront6targetE1EEEvSH_,"axG",@progbits,_ZN7rocprim17ROCPRIM_400000_NS6detail17trampoline_kernelINS0_14default_configENS1_38merge_sort_block_merge_config_selectorIslEEZZNS1_27merge_sort_block_merge_implIS3_PsN6thrust23THRUST_200600_302600_NS10device_ptrIlEEjNS1_19radix_merge_compareILb0ELb0EsNS0_19identity_decomposerEEEEE10hipError_tT0_T1_T2_jT3_P12ihipStream_tbPNSt15iterator_traitsISG_E10value_typeEPNSM_ISH_E10value_typeEPSI_NS1_7vsmem_tEENKUlT_SG_SH_SI_E_clIS7_S7_SB_PlEESF_SV_SG_SH_SI_EUlSV_E1_NS1_11comp_targetILNS1_3genE4ELNS1_11target_archE910ELNS1_3gpuE8ELNS1_3repE0EEENS1_36merge_oddeven_config_static_selectorELNS0_4arch9wavefront6targetE1EEEvSH_,comdat
	.protected	_ZN7rocprim17ROCPRIM_400000_NS6detail17trampoline_kernelINS0_14default_configENS1_38merge_sort_block_merge_config_selectorIslEEZZNS1_27merge_sort_block_merge_implIS3_PsN6thrust23THRUST_200600_302600_NS10device_ptrIlEEjNS1_19radix_merge_compareILb0ELb0EsNS0_19identity_decomposerEEEEE10hipError_tT0_T1_T2_jT3_P12ihipStream_tbPNSt15iterator_traitsISG_E10value_typeEPNSM_ISH_E10value_typeEPSI_NS1_7vsmem_tEENKUlT_SG_SH_SI_E_clIS7_S7_SB_PlEESF_SV_SG_SH_SI_EUlSV_E1_NS1_11comp_targetILNS1_3genE4ELNS1_11target_archE910ELNS1_3gpuE8ELNS1_3repE0EEENS1_36merge_oddeven_config_static_selectorELNS0_4arch9wavefront6targetE1EEEvSH_ ; -- Begin function _ZN7rocprim17ROCPRIM_400000_NS6detail17trampoline_kernelINS0_14default_configENS1_38merge_sort_block_merge_config_selectorIslEEZZNS1_27merge_sort_block_merge_implIS3_PsN6thrust23THRUST_200600_302600_NS10device_ptrIlEEjNS1_19radix_merge_compareILb0ELb0EsNS0_19identity_decomposerEEEEE10hipError_tT0_T1_T2_jT3_P12ihipStream_tbPNSt15iterator_traitsISG_E10value_typeEPNSM_ISH_E10value_typeEPSI_NS1_7vsmem_tEENKUlT_SG_SH_SI_E_clIS7_S7_SB_PlEESF_SV_SG_SH_SI_EUlSV_E1_NS1_11comp_targetILNS1_3genE4ELNS1_11target_archE910ELNS1_3gpuE8ELNS1_3repE0EEENS1_36merge_oddeven_config_static_selectorELNS0_4arch9wavefront6targetE1EEEvSH_
	.globl	_ZN7rocprim17ROCPRIM_400000_NS6detail17trampoline_kernelINS0_14default_configENS1_38merge_sort_block_merge_config_selectorIslEEZZNS1_27merge_sort_block_merge_implIS3_PsN6thrust23THRUST_200600_302600_NS10device_ptrIlEEjNS1_19radix_merge_compareILb0ELb0EsNS0_19identity_decomposerEEEEE10hipError_tT0_T1_T2_jT3_P12ihipStream_tbPNSt15iterator_traitsISG_E10value_typeEPNSM_ISH_E10value_typeEPSI_NS1_7vsmem_tEENKUlT_SG_SH_SI_E_clIS7_S7_SB_PlEESF_SV_SG_SH_SI_EUlSV_E1_NS1_11comp_targetILNS1_3genE4ELNS1_11target_archE910ELNS1_3gpuE8ELNS1_3repE0EEENS1_36merge_oddeven_config_static_selectorELNS0_4arch9wavefront6targetE1EEEvSH_
	.p2align	8
	.type	_ZN7rocprim17ROCPRIM_400000_NS6detail17trampoline_kernelINS0_14default_configENS1_38merge_sort_block_merge_config_selectorIslEEZZNS1_27merge_sort_block_merge_implIS3_PsN6thrust23THRUST_200600_302600_NS10device_ptrIlEEjNS1_19radix_merge_compareILb0ELb0EsNS0_19identity_decomposerEEEEE10hipError_tT0_T1_T2_jT3_P12ihipStream_tbPNSt15iterator_traitsISG_E10value_typeEPNSM_ISH_E10value_typeEPSI_NS1_7vsmem_tEENKUlT_SG_SH_SI_E_clIS7_S7_SB_PlEESF_SV_SG_SH_SI_EUlSV_E1_NS1_11comp_targetILNS1_3genE4ELNS1_11target_archE910ELNS1_3gpuE8ELNS1_3repE0EEENS1_36merge_oddeven_config_static_selectorELNS0_4arch9wavefront6targetE1EEEvSH_,@function
_ZN7rocprim17ROCPRIM_400000_NS6detail17trampoline_kernelINS0_14default_configENS1_38merge_sort_block_merge_config_selectorIslEEZZNS1_27merge_sort_block_merge_implIS3_PsN6thrust23THRUST_200600_302600_NS10device_ptrIlEEjNS1_19radix_merge_compareILb0ELb0EsNS0_19identity_decomposerEEEEE10hipError_tT0_T1_T2_jT3_P12ihipStream_tbPNSt15iterator_traitsISG_E10value_typeEPNSM_ISH_E10value_typeEPSI_NS1_7vsmem_tEENKUlT_SG_SH_SI_E_clIS7_S7_SB_PlEESF_SV_SG_SH_SI_EUlSV_E1_NS1_11comp_targetILNS1_3genE4ELNS1_11target_archE910ELNS1_3gpuE8ELNS1_3repE0EEENS1_36merge_oddeven_config_static_selectorELNS0_4arch9wavefront6targetE1EEEvSH_: ; @_ZN7rocprim17ROCPRIM_400000_NS6detail17trampoline_kernelINS0_14default_configENS1_38merge_sort_block_merge_config_selectorIslEEZZNS1_27merge_sort_block_merge_implIS3_PsN6thrust23THRUST_200600_302600_NS10device_ptrIlEEjNS1_19radix_merge_compareILb0ELb0EsNS0_19identity_decomposerEEEEE10hipError_tT0_T1_T2_jT3_P12ihipStream_tbPNSt15iterator_traitsISG_E10value_typeEPNSM_ISH_E10value_typeEPSI_NS1_7vsmem_tEENKUlT_SG_SH_SI_E_clIS7_S7_SB_PlEESF_SV_SG_SH_SI_EUlSV_E1_NS1_11comp_targetILNS1_3genE4ELNS1_11target_archE910ELNS1_3gpuE8ELNS1_3repE0EEENS1_36merge_oddeven_config_static_selectorELNS0_4arch9wavefront6targetE1EEEvSH_
; %bb.0:
	s_load_dword s20, s[4:5], 0x20
	s_waitcnt lgkmcnt(0)
	s_lshr_b32 s2, s20, 8
	s_cmp_lg_u32 s6, s2
	s_cselect_b64 s[0:1], -1, 0
	s_cmp_eq_u32 s6, s2
	s_cselect_b64 s[16:17], -1, 0
	s_lshl_b32 s18, s6, 8
	s_sub_i32 s2, s20, s18
	v_cmp_gt_u32_e64 s[2:3], s2, v0
	s_or_b64 s[0:1], s[0:1], s[2:3]
	s_and_saveexec_b64 s[8:9], s[0:1]
	s_cbranch_execz .LBB1319_26
; %bb.1:
	s_load_dwordx8 s[8:15], s[4:5], 0x0
	s_mov_b32 s19, 0
	s_lshl_b64 s[0:1], s[18:19], 1
	v_lshlrev_b32_e32 v4, 3, v0
	v_lshlrev_b32_e32 v1, 1, v0
	s_waitcnt lgkmcnt(0)
	s_add_u32 s0, s8, s0
	s_addc_u32 s1, s9, s1
	s_lshl_b64 s[22:23], s[18:19], 3
	s_add_u32 s12, s12, s22
	s_addc_u32 s13, s13, s23
	global_load_dwordx2 v[2:3], v4, s[12:13]
	global_load_ushort v6, v1, s[0:1]
	s_load_dword s21, s[4:5], 0x24
	v_add_u32_e32 v4, s18, v0
	s_waitcnt lgkmcnt(0)
	s_lshr_b32 s0, s21, 8
	s_sub_i32 s1, 0, s0
	s_and_b32 s1, s6, s1
	s_and_b32 s0, s1, s0
	s_lshl_b32 s22, s1, 8
	s_sub_i32 s6, 0, s21
	s_cmp_eq_u32 s0, 0
	s_cselect_b64 s[0:1], -1, 0
	s_and_b64 s[4:5], s[0:1], exec
	s_cselect_b32 s19, s21, s6
	s_add_i32 s19, s19, s22
	s_cmp_lt_u32 s19, s20
	s_cbranch_scc1 .LBB1319_6
; %bb.2:
	s_and_b64 vcc, exec, s[16:17]
	s_cbranch_vccz .LBB1319_7
; %bb.3:
	v_cmp_gt_u32_e32 vcc, s20, v4
	s_mov_b64 s[6:7], 0
	s_mov_b64 s[4:5], 0
                                        ; implicit-def: $vgpr0_vgpr1
	s_and_saveexec_b64 s[12:13], vcc
	s_cbranch_execz .LBB1319_5
; %bb.4:
	v_mov_b32_e32 v5, 0
	v_lshlrev_b64 v[0:1], 3, v[4:5]
	v_mov_b32_e32 v7, s15
	v_add_co_u32_e32 v0, vcc, s14, v0
	v_addc_co_u32_e32 v1, vcc, v7, v1, vcc
	v_lshlrev_b64 v[8:9], 1, v[4:5]
	v_mov_b32_e32 v5, s11
	v_add_co_u32_e32 v8, vcc, s10, v8
	s_mov_b64 s[4:5], exec
	v_addc_co_u32_e32 v9, vcc, v5, v9, vcc
	s_waitcnt vmcnt(0)
	global_store_short v[8:9], v6, off
.LBB1319_5:
	s_or_b64 exec, exec, s[12:13]
	s_and_b64 vcc, exec, s[6:7]
	s_cbranch_vccnz .LBB1319_8
	s_branch .LBB1319_9
.LBB1319_6:
	s_mov_b64 s[4:5], 0
                                        ; implicit-def: $vgpr0_vgpr1
	s_cbranch_execnz .LBB1319_10
	s_branch .LBB1319_24
.LBB1319_7:
	s_mov_b64 s[4:5], 0
                                        ; implicit-def: $vgpr0_vgpr1
	s_cbranch_execz .LBB1319_9
.LBB1319_8:
	v_mov_b32_e32 v5, 0
	v_lshlrev_b64 v[0:1], 1, v[4:5]
	v_mov_b32_e32 v7, s11
	v_add_co_u32_e32 v0, vcc, s10, v0
	v_addc_co_u32_e32 v1, vcc, v7, v1, vcc
	s_waitcnt vmcnt(0)
	global_store_short v[0:1], v6, off
	v_lshlrev_b64 v[0:1], 3, v[4:5]
	v_mov_b32_e32 v5, s15
	v_add_co_u32_e32 v0, vcc, s14, v0
	v_addc_co_u32_e32 v1, vcc, v5, v1, vcc
	s_or_b64 s[4:5], s[4:5], exec
.LBB1319_9:
	s_branch .LBB1319_24
.LBB1319_10:
	s_min_u32 s12, s19, s20
	s_add_i32 s6, s12, s21
	s_min_u32 s13, s6, s20
	s_min_u32 s6, s22, s12
	s_add_i32 s22, s22, s12
	v_subrev_u32_e32 v0, s22, v4
	v_add_u32_e32 v4, s6, v0
	s_and_b64 vcc, exec, s[16:17]
	s_cbranch_vccz .LBB1319_18
; %bb.11:
                                        ; implicit-def: $vgpr0_vgpr1
	s_and_saveexec_b64 s[6:7], s[2:3]
	s_cbranch_execz .LBB1319_17
; %bb.12:
	s_cmp_ge_u32 s19, s13
	v_mov_b32_e32 v0, s12
	s_cbranch_scc1 .LBB1319_16
; %bb.13:
	s_mov_b64 s[2:3], 0
	v_mov_b32_e32 v1, s13
	v_mov_b32_e32 v0, s12
.LBB1319_14:                            ; =>This Inner Loop Header: Depth=1
	v_add_u32_e32 v5, v0, v1
	v_and_b32_e32 v7, -2, v5
	global_load_ushort v7, v7, s[8:9]
	v_lshrrev_b32_e32 v5, 1, v5
	v_add_u32_e32 v8, 1, v5
	s_waitcnt vmcnt(0)
	v_cmp_gt_i16_e32 vcc, v6, v7
	v_cndmask_b32_e64 v9, 0, 1, vcc
	v_cmp_le_i16_e32 vcc, v7, v6
	v_cndmask_b32_e64 v7, 0, 1, vcc
	v_cndmask_b32_e64 v7, v7, v9, s[0:1]
	v_and_b32_e32 v7, 1, v7
	v_cmp_eq_u32_e32 vcc, 1, v7
	v_cndmask_b32_e32 v1, v5, v1, vcc
	v_cndmask_b32_e32 v0, v0, v8, vcc
	v_cmp_ge_u32_e32 vcc, v0, v1
	s_or_b64 s[2:3], vcc, s[2:3]
	s_andn2_b64 exec, exec, s[2:3]
	s_cbranch_execnz .LBB1319_14
; %bb.15:
	s_or_b64 exec, exec, s[2:3]
.LBB1319_16:
	v_add_u32_e32 v0, v0, v4
	v_mov_b32_e32 v1, 0
	v_lshlrev_b64 v[8:9], 1, v[0:1]
	v_mov_b32_e32 v5, s11
	v_add_co_u32_e32 v8, vcc, s10, v8
	v_addc_co_u32_e32 v9, vcc, v5, v9, vcc
	v_lshlrev_b64 v[0:1], 3, v[0:1]
	v_mov_b32_e32 v5, s15
	v_add_co_u32_e32 v0, vcc, s14, v0
	s_waitcnt vmcnt(0)
	global_store_short v[8:9], v6, off
	v_addc_co_u32_e32 v1, vcc, v5, v1, vcc
	s_or_b64 s[4:5], s[4:5], exec
.LBB1319_17:
	s_or_b64 exec, exec, s[6:7]
	s_branch .LBB1319_24
.LBB1319_18:
                                        ; implicit-def: $vgpr0_vgpr1
	s_cbranch_execz .LBB1319_24
; %bb.19:
	s_cmp_ge_u32 s19, s13
	v_mov_b32_e32 v0, s12
	s_cbranch_scc1 .LBB1319_23
; %bb.20:
	s_mov_b64 s[2:3], 0
	v_mov_b32_e32 v1, s13
	v_mov_b32_e32 v0, s12
.LBB1319_21:                            ; =>This Inner Loop Header: Depth=1
	v_add_u32_e32 v5, v0, v1
	v_and_b32_e32 v7, -2, v5
	global_load_ushort v7, v7, s[8:9]
	v_lshrrev_b32_e32 v5, 1, v5
	v_add_u32_e32 v8, 1, v5
	s_waitcnt vmcnt(0)
	v_cmp_gt_i16_e32 vcc, v6, v7
	v_cndmask_b32_e64 v9, 0, 1, vcc
	v_cmp_le_i16_e32 vcc, v7, v6
	v_cndmask_b32_e64 v7, 0, 1, vcc
	v_cndmask_b32_e64 v7, v7, v9, s[0:1]
	v_and_b32_e32 v7, 1, v7
	v_cmp_eq_u32_e32 vcc, 1, v7
	v_cndmask_b32_e32 v1, v5, v1, vcc
	v_cndmask_b32_e32 v0, v0, v8, vcc
	v_cmp_ge_u32_e32 vcc, v0, v1
	s_or_b64 s[2:3], vcc, s[2:3]
	s_andn2_b64 exec, exec, s[2:3]
	s_cbranch_execnz .LBB1319_21
; %bb.22:
	s_or_b64 exec, exec, s[2:3]
.LBB1319_23:
	v_add_u32_e32 v0, v0, v4
	v_mov_b32_e32 v1, 0
	v_lshlrev_b64 v[4:5], 1, v[0:1]
	v_mov_b32_e32 v7, s11
	v_add_co_u32_e32 v4, vcc, s10, v4
	v_addc_co_u32_e32 v5, vcc, v7, v5, vcc
	v_lshlrev_b64 v[0:1], 3, v[0:1]
	s_waitcnt vmcnt(0)
	global_store_short v[4:5], v6, off
	v_mov_b32_e32 v4, s15
	v_add_co_u32_e32 v0, vcc, s14, v0
	v_addc_co_u32_e32 v1, vcc, v4, v1, vcc
	s_mov_b64 s[4:5], -1
.LBB1319_24:
	s_and_b64 exec, exec, s[4:5]
	s_cbranch_execz .LBB1319_26
; %bb.25:
	s_waitcnt vmcnt(1)
	global_store_dwordx2 v[0:1], v[2:3], off
.LBB1319_26:
	s_endpgm
	.section	.rodata,"a",@progbits
	.p2align	6, 0x0
	.amdhsa_kernel _ZN7rocprim17ROCPRIM_400000_NS6detail17trampoline_kernelINS0_14default_configENS1_38merge_sort_block_merge_config_selectorIslEEZZNS1_27merge_sort_block_merge_implIS3_PsN6thrust23THRUST_200600_302600_NS10device_ptrIlEEjNS1_19radix_merge_compareILb0ELb0EsNS0_19identity_decomposerEEEEE10hipError_tT0_T1_T2_jT3_P12ihipStream_tbPNSt15iterator_traitsISG_E10value_typeEPNSM_ISH_E10value_typeEPSI_NS1_7vsmem_tEENKUlT_SG_SH_SI_E_clIS7_S7_SB_PlEESF_SV_SG_SH_SI_EUlSV_E1_NS1_11comp_targetILNS1_3genE4ELNS1_11target_archE910ELNS1_3gpuE8ELNS1_3repE0EEENS1_36merge_oddeven_config_static_selectorELNS0_4arch9wavefront6targetE1EEEvSH_
		.amdhsa_group_segment_fixed_size 0
		.amdhsa_private_segment_fixed_size 0
		.amdhsa_kernarg_size 48
		.amdhsa_user_sgpr_count 6
		.amdhsa_user_sgpr_private_segment_buffer 1
		.amdhsa_user_sgpr_dispatch_ptr 0
		.amdhsa_user_sgpr_queue_ptr 0
		.amdhsa_user_sgpr_kernarg_segment_ptr 1
		.amdhsa_user_sgpr_dispatch_id 0
		.amdhsa_user_sgpr_flat_scratch_init 0
		.amdhsa_user_sgpr_kernarg_preload_length 0
		.amdhsa_user_sgpr_kernarg_preload_offset 0
		.amdhsa_user_sgpr_private_segment_size 0
		.amdhsa_uses_dynamic_stack 0
		.amdhsa_system_sgpr_private_segment_wavefront_offset 0
		.amdhsa_system_sgpr_workgroup_id_x 1
		.amdhsa_system_sgpr_workgroup_id_y 0
		.amdhsa_system_sgpr_workgroup_id_z 0
		.amdhsa_system_sgpr_workgroup_info 0
		.amdhsa_system_vgpr_workitem_id 0
		.amdhsa_next_free_vgpr 10
		.amdhsa_next_free_sgpr 24
		.amdhsa_accum_offset 12
		.amdhsa_reserve_vcc 1
		.amdhsa_reserve_flat_scratch 0
		.amdhsa_float_round_mode_32 0
		.amdhsa_float_round_mode_16_64 0
		.amdhsa_float_denorm_mode_32 3
		.amdhsa_float_denorm_mode_16_64 3
		.amdhsa_dx10_clamp 1
		.amdhsa_ieee_mode 1
		.amdhsa_fp16_overflow 0
		.amdhsa_tg_split 0
		.amdhsa_exception_fp_ieee_invalid_op 0
		.amdhsa_exception_fp_denorm_src 0
		.amdhsa_exception_fp_ieee_div_zero 0
		.amdhsa_exception_fp_ieee_overflow 0
		.amdhsa_exception_fp_ieee_underflow 0
		.amdhsa_exception_fp_ieee_inexact 0
		.amdhsa_exception_int_div_zero 0
	.end_amdhsa_kernel
	.section	.text._ZN7rocprim17ROCPRIM_400000_NS6detail17trampoline_kernelINS0_14default_configENS1_38merge_sort_block_merge_config_selectorIslEEZZNS1_27merge_sort_block_merge_implIS3_PsN6thrust23THRUST_200600_302600_NS10device_ptrIlEEjNS1_19radix_merge_compareILb0ELb0EsNS0_19identity_decomposerEEEEE10hipError_tT0_T1_T2_jT3_P12ihipStream_tbPNSt15iterator_traitsISG_E10value_typeEPNSM_ISH_E10value_typeEPSI_NS1_7vsmem_tEENKUlT_SG_SH_SI_E_clIS7_S7_SB_PlEESF_SV_SG_SH_SI_EUlSV_E1_NS1_11comp_targetILNS1_3genE4ELNS1_11target_archE910ELNS1_3gpuE8ELNS1_3repE0EEENS1_36merge_oddeven_config_static_selectorELNS0_4arch9wavefront6targetE1EEEvSH_,"axG",@progbits,_ZN7rocprim17ROCPRIM_400000_NS6detail17trampoline_kernelINS0_14default_configENS1_38merge_sort_block_merge_config_selectorIslEEZZNS1_27merge_sort_block_merge_implIS3_PsN6thrust23THRUST_200600_302600_NS10device_ptrIlEEjNS1_19radix_merge_compareILb0ELb0EsNS0_19identity_decomposerEEEEE10hipError_tT0_T1_T2_jT3_P12ihipStream_tbPNSt15iterator_traitsISG_E10value_typeEPNSM_ISH_E10value_typeEPSI_NS1_7vsmem_tEENKUlT_SG_SH_SI_E_clIS7_S7_SB_PlEESF_SV_SG_SH_SI_EUlSV_E1_NS1_11comp_targetILNS1_3genE4ELNS1_11target_archE910ELNS1_3gpuE8ELNS1_3repE0EEENS1_36merge_oddeven_config_static_selectorELNS0_4arch9wavefront6targetE1EEEvSH_,comdat
.Lfunc_end1319:
	.size	_ZN7rocprim17ROCPRIM_400000_NS6detail17trampoline_kernelINS0_14default_configENS1_38merge_sort_block_merge_config_selectorIslEEZZNS1_27merge_sort_block_merge_implIS3_PsN6thrust23THRUST_200600_302600_NS10device_ptrIlEEjNS1_19radix_merge_compareILb0ELb0EsNS0_19identity_decomposerEEEEE10hipError_tT0_T1_T2_jT3_P12ihipStream_tbPNSt15iterator_traitsISG_E10value_typeEPNSM_ISH_E10value_typeEPSI_NS1_7vsmem_tEENKUlT_SG_SH_SI_E_clIS7_S7_SB_PlEESF_SV_SG_SH_SI_EUlSV_E1_NS1_11comp_targetILNS1_3genE4ELNS1_11target_archE910ELNS1_3gpuE8ELNS1_3repE0EEENS1_36merge_oddeven_config_static_selectorELNS0_4arch9wavefront6targetE1EEEvSH_, .Lfunc_end1319-_ZN7rocprim17ROCPRIM_400000_NS6detail17trampoline_kernelINS0_14default_configENS1_38merge_sort_block_merge_config_selectorIslEEZZNS1_27merge_sort_block_merge_implIS3_PsN6thrust23THRUST_200600_302600_NS10device_ptrIlEEjNS1_19radix_merge_compareILb0ELb0EsNS0_19identity_decomposerEEEEE10hipError_tT0_T1_T2_jT3_P12ihipStream_tbPNSt15iterator_traitsISG_E10value_typeEPNSM_ISH_E10value_typeEPSI_NS1_7vsmem_tEENKUlT_SG_SH_SI_E_clIS7_S7_SB_PlEESF_SV_SG_SH_SI_EUlSV_E1_NS1_11comp_targetILNS1_3genE4ELNS1_11target_archE910ELNS1_3gpuE8ELNS1_3repE0EEENS1_36merge_oddeven_config_static_selectorELNS0_4arch9wavefront6targetE1EEEvSH_
                                        ; -- End function
	.section	.AMDGPU.csdata,"",@progbits
; Kernel info:
; codeLenInByte = 828
; NumSgprs: 28
; NumVgprs: 10
; NumAgprs: 0
; TotalNumVgprs: 10
; ScratchSize: 0
; MemoryBound: 0
; FloatMode: 240
; IeeeMode: 1
; LDSByteSize: 0 bytes/workgroup (compile time only)
; SGPRBlocks: 3
; VGPRBlocks: 1
; NumSGPRsForWavesPerEU: 28
; NumVGPRsForWavesPerEU: 10
; AccumOffset: 12
; Occupancy: 8
; WaveLimiterHint : 0
; COMPUTE_PGM_RSRC2:SCRATCH_EN: 0
; COMPUTE_PGM_RSRC2:USER_SGPR: 6
; COMPUTE_PGM_RSRC2:TRAP_HANDLER: 0
; COMPUTE_PGM_RSRC2:TGID_X_EN: 1
; COMPUTE_PGM_RSRC2:TGID_Y_EN: 0
; COMPUTE_PGM_RSRC2:TGID_Z_EN: 0
; COMPUTE_PGM_RSRC2:TIDIG_COMP_CNT: 0
; COMPUTE_PGM_RSRC3_GFX90A:ACCUM_OFFSET: 2
; COMPUTE_PGM_RSRC3_GFX90A:TG_SPLIT: 0
	.section	.text._ZN7rocprim17ROCPRIM_400000_NS6detail17trampoline_kernelINS0_14default_configENS1_38merge_sort_block_merge_config_selectorIslEEZZNS1_27merge_sort_block_merge_implIS3_PsN6thrust23THRUST_200600_302600_NS10device_ptrIlEEjNS1_19radix_merge_compareILb0ELb0EsNS0_19identity_decomposerEEEEE10hipError_tT0_T1_T2_jT3_P12ihipStream_tbPNSt15iterator_traitsISG_E10value_typeEPNSM_ISH_E10value_typeEPSI_NS1_7vsmem_tEENKUlT_SG_SH_SI_E_clIS7_S7_SB_PlEESF_SV_SG_SH_SI_EUlSV_E1_NS1_11comp_targetILNS1_3genE3ELNS1_11target_archE908ELNS1_3gpuE7ELNS1_3repE0EEENS1_36merge_oddeven_config_static_selectorELNS0_4arch9wavefront6targetE1EEEvSH_,"axG",@progbits,_ZN7rocprim17ROCPRIM_400000_NS6detail17trampoline_kernelINS0_14default_configENS1_38merge_sort_block_merge_config_selectorIslEEZZNS1_27merge_sort_block_merge_implIS3_PsN6thrust23THRUST_200600_302600_NS10device_ptrIlEEjNS1_19radix_merge_compareILb0ELb0EsNS0_19identity_decomposerEEEEE10hipError_tT0_T1_T2_jT3_P12ihipStream_tbPNSt15iterator_traitsISG_E10value_typeEPNSM_ISH_E10value_typeEPSI_NS1_7vsmem_tEENKUlT_SG_SH_SI_E_clIS7_S7_SB_PlEESF_SV_SG_SH_SI_EUlSV_E1_NS1_11comp_targetILNS1_3genE3ELNS1_11target_archE908ELNS1_3gpuE7ELNS1_3repE0EEENS1_36merge_oddeven_config_static_selectorELNS0_4arch9wavefront6targetE1EEEvSH_,comdat
	.protected	_ZN7rocprim17ROCPRIM_400000_NS6detail17trampoline_kernelINS0_14default_configENS1_38merge_sort_block_merge_config_selectorIslEEZZNS1_27merge_sort_block_merge_implIS3_PsN6thrust23THRUST_200600_302600_NS10device_ptrIlEEjNS1_19radix_merge_compareILb0ELb0EsNS0_19identity_decomposerEEEEE10hipError_tT0_T1_T2_jT3_P12ihipStream_tbPNSt15iterator_traitsISG_E10value_typeEPNSM_ISH_E10value_typeEPSI_NS1_7vsmem_tEENKUlT_SG_SH_SI_E_clIS7_S7_SB_PlEESF_SV_SG_SH_SI_EUlSV_E1_NS1_11comp_targetILNS1_3genE3ELNS1_11target_archE908ELNS1_3gpuE7ELNS1_3repE0EEENS1_36merge_oddeven_config_static_selectorELNS0_4arch9wavefront6targetE1EEEvSH_ ; -- Begin function _ZN7rocprim17ROCPRIM_400000_NS6detail17trampoline_kernelINS0_14default_configENS1_38merge_sort_block_merge_config_selectorIslEEZZNS1_27merge_sort_block_merge_implIS3_PsN6thrust23THRUST_200600_302600_NS10device_ptrIlEEjNS1_19radix_merge_compareILb0ELb0EsNS0_19identity_decomposerEEEEE10hipError_tT0_T1_T2_jT3_P12ihipStream_tbPNSt15iterator_traitsISG_E10value_typeEPNSM_ISH_E10value_typeEPSI_NS1_7vsmem_tEENKUlT_SG_SH_SI_E_clIS7_S7_SB_PlEESF_SV_SG_SH_SI_EUlSV_E1_NS1_11comp_targetILNS1_3genE3ELNS1_11target_archE908ELNS1_3gpuE7ELNS1_3repE0EEENS1_36merge_oddeven_config_static_selectorELNS0_4arch9wavefront6targetE1EEEvSH_
	.globl	_ZN7rocprim17ROCPRIM_400000_NS6detail17trampoline_kernelINS0_14default_configENS1_38merge_sort_block_merge_config_selectorIslEEZZNS1_27merge_sort_block_merge_implIS3_PsN6thrust23THRUST_200600_302600_NS10device_ptrIlEEjNS1_19radix_merge_compareILb0ELb0EsNS0_19identity_decomposerEEEEE10hipError_tT0_T1_T2_jT3_P12ihipStream_tbPNSt15iterator_traitsISG_E10value_typeEPNSM_ISH_E10value_typeEPSI_NS1_7vsmem_tEENKUlT_SG_SH_SI_E_clIS7_S7_SB_PlEESF_SV_SG_SH_SI_EUlSV_E1_NS1_11comp_targetILNS1_3genE3ELNS1_11target_archE908ELNS1_3gpuE7ELNS1_3repE0EEENS1_36merge_oddeven_config_static_selectorELNS0_4arch9wavefront6targetE1EEEvSH_
	.p2align	8
	.type	_ZN7rocprim17ROCPRIM_400000_NS6detail17trampoline_kernelINS0_14default_configENS1_38merge_sort_block_merge_config_selectorIslEEZZNS1_27merge_sort_block_merge_implIS3_PsN6thrust23THRUST_200600_302600_NS10device_ptrIlEEjNS1_19radix_merge_compareILb0ELb0EsNS0_19identity_decomposerEEEEE10hipError_tT0_T1_T2_jT3_P12ihipStream_tbPNSt15iterator_traitsISG_E10value_typeEPNSM_ISH_E10value_typeEPSI_NS1_7vsmem_tEENKUlT_SG_SH_SI_E_clIS7_S7_SB_PlEESF_SV_SG_SH_SI_EUlSV_E1_NS1_11comp_targetILNS1_3genE3ELNS1_11target_archE908ELNS1_3gpuE7ELNS1_3repE0EEENS1_36merge_oddeven_config_static_selectorELNS0_4arch9wavefront6targetE1EEEvSH_,@function
_ZN7rocprim17ROCPRIM_400000_NS6detail17trampoline_kernelINS0_14default_configENS1_38merge_sort_block_merge_config_selectorIslEEZZNS1_27merge_sort_block_merge_implIS3_PsN6thrust23THRUST_200600_302600_NS10device_ptrIlEEjNS1_19radix_merge_compareILb0ELb0EsNS0_19identity_decomposerEEEEE10hipError_tT0_T1_T2_jT3_P12ihipStream_tbPNSt15iterator_traitsISG_E10value_typeEPNSM_ISH_E10value_typeEPSI_NS1_7vsmem_tEENKUlT_SG_SH_SI_E_clIS7_S7_SB_PlEESF_SV_SG_SH_SI_EUlSV_E1_NS1_11comp_targetILNS1_3genE3ELNS1_11target_archE908ELNS1_3gpuE7ELNS1_3repE0EEENS1_36merge_oddeven_config_static_selectorELNS0_4arch9wavefront6targetE1EEEvSH_: ; @_ZN7rocprim17ROCPRIM_400000_NS6detail17trampoline_kernelINS0_14default_configENS1_38merge_sort_block_merge_config_selectorIslEEZZNS1_27merge_sort_block_merge_implIS3_PsN6thrust23THRUST_200600_302600_NS10device_ptrIlEEjNS1_19radix_merge_compareILb0ELb0EsNS0_19identity_decomposerEEEEE10hipError_tT0_T1_T2_jT3_P12ihipStream_tbPNSt15iterator_traitsISG_E10value_typeEPNSM_ISH_E10value_typeEPSI_NS1_7vsmem_tEENKUlT_SG_SH_SI_E_clIS7_S7_SB_PlEESF_SV_SG_SH_SI_EUlSV_E1_NS1_11comp_targetILNS1_3genE3ELNS1_11target_archE908ELNS1_3gpuE7ELNS1_3repE0EEENS1_36merge_oddeven_config_static_selectorELNS0_4arch9wavefront6targetE1EEEvSH_
; %bb.0:
	.section	.rodata,"a",@progbits
	.p2align	6, 0x0
	.amdhsa_kernel _ZN7rocprim17ROCPRIM_400000_NS6detail17trampoline_kernelINS0_14default_configENS1_38merge_sort_block_merge_config_selectorIslEEZZNS1_27merge_sort_block_merge_implIS3_PsN6thrust23THRUST_200600_302600_NS10device_ptrIlEEjNS1_19radix_merge_compareILb0ELb0EsNS0_19identity_decomposerEEEEE10hipError_tT0_T1_T2_jT3_P12ihipStream_tbPNSt15iterator_traitsISG_E10value_typeEPNSM_ISH_E10value_typeEPSI_NS1_7vsmem_tEENKUlT_SG_SH_SI_E_clIS7_S7_SB_PlEESF_SV_SG_SH_SI_EUlSV_E1_NS1_11comp_targetILNS1_3genE3ELNS1_11target_archE908ELNS1_3gpuE7ELNS1_3repE0EEENS1_36merge_oddeven_config_static_selectorELNS0_4arch9wavefront6targetE1EEEvSH_
		.amdhsa_group_segment_fixed_size 0
		.amdhsa_private_segment_fixed_size 0
		.amdhsa_kernarg_size 48
		.amdhsa_user_sgpr_count 6
		.amdhsa_user_sgpr_private_segment_buffer 1
		.amdhsa_user_sgpr_dispatch_ptr 0
		.amdhsa_user_sgpr_queue_ptr 0
		.amdhsa_user_sgpr_kernarg_segment_ptr 1
		.amdhsa_user_sgpr_dispatch_id 0
		.amdhsa_user_sgpr_flat_scratch_init 0
		.amdhsa_user_sgpr_kernarg_preload_length 0
		.amdhsa_user_sgpr_kernarg_preload_offset 0
		.amdhsa_user_sgpr_private_segment_size 0
		.amdhsa_uses_dynamic_stack 0
		.amdhsa_system_sgpr_private_segment_wavefront_offset 0
		.amdhsa_system_sgpr_workgroup_id_x 1
		.amdhsa_system_sgpr_workgroup_id_y 0
		.amdhsa_system_sgpr_workgroup_id_z 0
		.amdhsa_system_sgpr_workgroup_info 0
		.amdhsa_system_vgpr_workitem_id 0
		.amdhsa_next_free_vgpr 1
		.amdhsa_next_free_sgpr 0
		.amdhsa_accum_offset 4
		.amdhsa_reserve_vcc 0
		.amdhsa_reserve_flat_scratch 0
		.amdhsa_float_round_mode_32 0
		.amdhsa_float_round_mode_16_64 0
		.amdhsa_float_denorm_mode_32 3
		.amdhsa_float_denorm_mode_16_64 3
		.amdhsa_dx10_clamp 1
		.amdhsa_ieee_mode 1
		.amdhsa_fp16_overflow 0
		.amdhsa_tg_split 0
		.amdhsa_exception_fp_ieee_invalid_op 0
		.amdhsa_exception_fp_denorm_src 0
		.amdhsa_exception_fp_ieee_div_zero 0
		.amdhsa_exception_fp_ieee_overflow 0
		.amdhsa_exception_fp_ieee_underflow 0
		.amdhsa_exception_fp_ieee_inexact 0
		.amdhsa_exception_int_div_zero 0
	.end_amdhsa_kernel
	.section	.text._ZN7rocprim17ROCPRIM_400000_NS6detail17trampoline_kernelINS0_14default_configENS1_38merge_sort_block_merge_config_selectorIslEEZZNS1_27merge_sort_block_merge_implIS3_PsN6thrust23THRUST_200600_302600_NS10device_ptrIlEEjNS1_19radix_merge_compareILb0ELb0EsNS0_19identity_decomposerEEEEE10hipError_tT0_T1_T2_jT3_P12ihipStream_tbPNSt15iterator_traitsISG_E10value_typeEPNSM_ISH_E10value_typeEPSI_NS1_7vsmem_tEENKUlT_SG_SH_SI_E_clIS7_S7_SB_PlEESF_SV_SG_SH_SI_EUlSV_E1_NS1_11comp_targetILNS1_3genE3ELNS1_11target_archE908ELNS1_3gpuE7ELNS1_3repE0EEENS1_36merge_oddeven_config_static_selectorELNS0_4arch9wavefront6targetE1EEEvSH_,"axG",@progbits,_ZN7rocprim17ROCPRIM_400000_NS6detail17trampoline_kernelINS0_14default_configENS1_38merge_sort_block_merge_config_selectorIslEEZZNS1_27merge_sort_block_merge_implIS3_PsN6thrust23THRUST_200600_302600_NS10device_ptrIlEEjNS1_19radix_merge_compareILb0ELb0EsNS0_19identity_decomposerEEEEE10hipError_tT0_T1_T2_jT3_P12ihipStream_tbPNSt15iterator_traitsISG_E10value_typeEPNSM_ISH_E10value_typeEPSI_NS1_7vsmem_tEENKUlT_SG_SH_SI_E_clIS7_S7_SB_PlEESF_SV_SG_SH_SI_EUlSV_E1_NS1_11comp_targetILNS1_3genE3ELNS1_11target_archE908ELNS1_3gpuE7ELNS1_3repE0EEENS1_36merge_oddeven_config_static_selectorELNS0_4arch9wavefront6targetE1EEEvSH_,comdat
.Lfunc_end1320:
	.size	_ZN7rocprim17ROCPRIM_400000_NS6detail17trampoline_kernelINS0_14default_configENS1_38merge_sort_block_merge_config_selectorIslEEZZNS1_27merge_sort_block_merge_implIS3_PsN6thrust23THRUST_200600_302600_NS10device_ptrIlEEjNS1_19radix_merge_compareILb0ELb0EsNS0_19identity_decomposerEEEEE10hipError_tT0_T1_T2_jT3_P12ihipStream_tbPNSt15iterator_traitsISG_E10value_typeEPNSM_ISH_E10value_typeEPSI_NS1_7vsmem_tEENKUlT_SG_SH_SI_E_clIS7_S7_SB_PlEESF_SV_SG_SH_SI_EUlSV_E1_NS1_11comp_targetILNS1_3genE3ELNS1_11target_archE908ELNS1_3gpuE7ELNS1_3repE0EEENS1_36merge_oddeven_config_static_selectorELNS0_4arch9wavefront6targetE1EEEvSH_, .Lfunc_end1320-_ZN7rocprim17ROCPRIM_400000_NS6detail17trampoline_kernelINS0_14default_configENS1_38merge_sort_block_merge_config_selectorIslEEZZNS1_27merge_sort_block_merge_implIS3_PsN6thrust23THRUST_200600_302600_NS10device_ptrIlEEjNS1_19radix_merge_compareILb0ELb0EsNS0_19identity_decomposerEEEEE10hipError_tT0_T1_T2_jT3_P12ihipStream_tbPNSt15iterator_traitsISG_E10value_typeEPNSM_ISH_E10value_typeEPSI_NS1_7vsmem_tEENKUlT_SG_SH_SI_E_clIS7_S7_SB_PlEESF_SV_SG_SH_SI_EUlSV_E1_NS1_11comp_targetILNS1_3genE3ELNS1_11target_archE908ELNS1_3gpuE7ELNS1_3repE0EEENS1_36merge_oddeven_config_static_selectorELNS0_4arch9wavefront6targetE1EEEvSH_
                                        ; -- End function
	.section	.AMDGPU.csdata,"",@progbits
; Kernel info:
; codeLenInByte = 0
; NumSgprs: 4
; NumVgprs: 0
; NumAgprs: 0
; TotalNumVgprs: 0
; ScratchSize: 0
; MemoryBound: 0
; FloatMode: 240
; IeeeMode: 1
; LDSByteSize: 0 bytes/workgroup (compile time only)
; SGPRBlocks: 0
; VGPRBlocks: 0
; NumSGPRsForWavesPerEU: 4
; NumVGPRsForWavesPerEU: 1
; AccumOffset: 4
; Occupancy: 8
; WaveLimiterHint : 0
; COMPUTE_PGM_RSRC2:SCRATCH_EN: 0
; COMPUTE_PGM_RSRC2:USER_SGPR: 6
; COMPUTE_PGM_RSRC2:TRAP_HANDLER: 0
; COMPUTE_PGM_RSRC2:TGID_X_EN: 1
; COMPUTE_PGM_RSRC2:TGID_Y_EN: 0
; COMPUTE_PGM_RSRC2:TGID_Z_EN: 0
; COMPUTE_PGM_RSRC2:TIDIG_COMP_CNT: 0
; COMPUTE_PGM_RSRC3_GFX90A:ACCUM_OFFSET: 0
; COMPUTE_PGM_RSRC3_GFX90A:TG_SPLIT: 0
	.section	.text._ZN7rocprim17ROCPRIM_400000_NS6detail17trampoline_kernelINS0_14default_configENS1_38merge_sort_block_merge_config_selectorIslEEZZNS1_27merge_sort_block_merge_implIS3_PsN6thrust23THRUST_200600_302600_NS10device_ptrIlEEjNS1_19radix_merge_compareILb0ELb0EsNS0_19identity_decomposerEEEEE10hipError_tT0_T1_T2_jT3_P12ihipStream_tbPNSt15iterator_traitsISG_E10value_typeEPNSM_ISH_E10value_typeEPSI_NS1_7vsmem_tEENKUlT_SG_SH_SI_E_clIS7_S7_SB_PlEESF_SV_SG_SH_SI_EUlSV_E1_NS1_11comp_targetILNS1_3genE2ELNS1_11target_archE906ELNS1_3gpuE6ELNS1_3repE0EEENS1_36merge_oddeven_config_static_selectorELNS0_4arch9wavefront6targetE1EEEvSH_,"axG",@progbits,_ZN7rocprim17ROCPRIM_400000_NS6detail17trampoline_kernelINS0_14default_configENS1_38merge_sort_block_merge_config_selectorIslEEZZNS1_27merge_sort_block_merge_implIS3_PsN6thrust23THRUST_200600_302600_NS10device_ptrIlEEjNS1_19radix_merge_compareILb0ELb0EsNS0_19identity_decomposerEEEEE10hipError_tT0_T1_T2_jT3_P12ihipStream_tbPNSt15iterator_traitsISG_E10value_typeEPNSM_ISH_E10value_typeEPSI_NS1_7vsmem_tEENKUlT_SG_SH_SI_E_clIS7_S7_SB_PlEESF_SV_SG_SH_SI_EUlSV_E1_NS1_11comp_targetILNS1_3genE2ELNS1_11target_archE906ELNS1_3gpuE6ELNS1_3repE0EEENS1_36merge_oddeven_config_static_selectorELNS0_4arch9wavefront6targetE1EEEvSH_,comdat
	.protected	_ZN7rocprim17ROCPRIM_400000_NS6detail17trampoline_kernelINS0_14default_configENS1_38merge_sort_block_merge_config_selectorIslEEZZNS1_27merge_sort_block_merge_implIS3_PsN6thrust23THRUST_200600_302600_NS10device_ptrIlEEjNS1_19radix_merge_compareILb0ELb0EsNS0_19identity_decomposerEEEEE10hipError_tT0_T1_T2_jT3_P12ihipStream_tbPNSt15iterator_traitsISG_E10value_typeEPNSM_ISH_E10value_typeEPSI_NS1_7vsmem_tEENKUlT_SG_SH_SI_E_clIS7_S7_SB_PlEESF_SV_SG_SH_SI_EUlSV_E1_NS1_11comp_targetILNS1_3genE2ELNS1_11target_archE906ELNS1_3gpuE6ELNS1_3repE0EEENS1_36merge_oddeven_config_static_selectorELNS0_4arch9wavefront6targetE1EEEvSH_ ; -- Begin function _ZN7rocprim17ROCPRIM_400000_NS6detail17trampoline_kernelINS0_14default_configENS1_38merge_sort_block_merge_config_selectorIslEEZZNS1_27merge_sort_block_merge_implIS3_PsN6thrust23THRUST_200600_302600_NS10device_ptrIlEEjNS1_19radix_merge_compareILb0ELb0EsNS0_19identity_decomposerEEEEE10hipError_tT0_T1_T2_jT3_P12ihipStream_tbPNSt15iterator_traitsISG_E10value_typeEPNSM_ISH_E10value_typeEPSI_NS1_7vsmem_tEENKUlT_SG_SH_SI_E_clIS7_S7_SB_PlEESF_SV_SG_SH_SI_EUlSV_E1_NS1_11comp_targetILNS1_3genE2ELNS1_11target_archE906ELNS1_3gpuE6ELNS1_3repE0EEENS1_36merge_oddeven_config_static_selectorELNS0_4arch9wavefront6targetE1EEEvSH_
	.globl	_ZN7rocprim17ROCPRIM_400000_NS6detail17trampoline_kernelINS0_14default_configENS1_38merge_sort_block_merge_config_selectorIslEEZZNS1_27merge_sort_block_merge_implIS3_PsN6thrust23THRUST_200600_302600_NS10device_ptrIlEEjNS1_19radix_merge_compareILb0ELb0EsNS0_19identity_decomposerEEEEE10hipError_tT0_T1_T2_jT3_P12ihipStream_tbPNSt15iterator_traitsISG_E10value_typeEPNSM_ISH_E10value_typeEPSI_NS1_7vsmem_tEENKUlT_SG_SH_SI_E_clIS7_S7_SB_PlEESF_SV_SG_SH_SI_EUlSV_E1_NS1_11comp_targetILNS1_3genE2ELNS1_11target_archE906ELNS1_3gpuE6ELNS1_3repE0EEENS1_36merge_oddeven_config_static_selectorELNS0_4arch9wavefront6targetE1EEEvSH_
	.p2align	8
	.type	_ZN7rocprim17ROCPRIM_400000_NS6detail17trampoline_kernelINS0_14default_configENS1_38merge_sort_block_merge_config_selectorIslEEZZNS1_27merge_sort_block_merge_implIS3_PsN6thrust23THRUST_200600_302600_NS10device_ptrIlEEjNS1_19radix_merge_compareILb0ELb0EsNS0_19identity_decomposerEEEEE10hipError_tT0_T1_T2_jT3_P12ihipStream_tbPNSt15iterator_traitsISG_E10value_typeEPNSM_ISH_E10value_typeEPSI_NS1_7vsmem_tEENKUlT_SG_SH_SI_E_clIS7_S7_SB_PlEESF_SV_SG_SH_SI_EUlSV_E1_NS1_11comp_targetILNS1_3genE2ELNS1_11target_archE906ELNS1_3gpuE6ELNS1_3repE0EEENS1_36merge_oddeven_config_static_selectorELNS0_4arch9wavefront6targetE1EEEvSH_,@function
_ZN7rocprim17ROCPRIM_400000_NS6detail17trampoline_kernelINS0_14default_configENS1_38merge_sort_block_merge_config_selectorIslEEZZNS1_27merge_sort_block_merge_implIS3_PsN6thrust23THRUST_200600_302600_NS10device_ptrIlEEjNS1_19radix_merge_compareILb0ELb0EsNS0_19identity_decomposerEEEEE10hipError_tT0_T1_T2_jT3_P12ihipStream_tbPNSt15iterator_traitsISG_E10value_typeEPNSM_ISH_E10value_typeEPSI_NS1_7vsmem_tEENKUlT_SG_SH_SI_E_clIS7_S7_SB_PlEESF_SV_SG_SH_SI_EUlSV_E1_NS1_11comp_targetILNS1_3genE2ELNS1_11target_archE906ELNS1_3gpuE6ELNS1_3repE0EEENS1_36merge_oddeven_config_static_selectorELNS0_4arch9wavefront6targetE1EEEvSH_: ; @_ZN7rocprim17ROCPRIM_400000_NS6detail17trampoline_kernelINS0_14default_configENS1_38merge_sort_block_merge_config_selectorIslEEZZNS1_27merge_sort_block_merge_implIS3_PsN6thrust23THRUST_200600_302600_NS10device_ptrIlEEjNS1_19radix_merge_compareILb0ELb0EsNS0_19identity_decomposerEEEEE10hipError_tT0_T1_T2_jT3_P12ihipStream_tbPNSt15iterator_traitsISG_E10value_typeEPNSM_ISH_E10value_typeEPSI_NS1_7vsmem_tEENKUlT_SG_SH_SI_E_clIS7_S7_SB_PlEESF_SV_SG_SH_SI_EUlSV_E1_NS1_11comp_targetILNS1_3genE2ELNS1_11target_archE906ELNS1_3gpuE6ELNS1_3repE0EEENS1_36merge_oddeven_config_static_selectorELNS0_4arch9wavefront6targetE1EEEvSH_
; %bb.0:
	.section	.rodata,"a",@progbits
	.p2align	6, 0x0
	.amdhsa_kernel _ZN7rocprim17ROCPRIM_400000_NS6detail17trampoline_kernelINS0_14default_configENS1_38merge_sort_block_merge_config_selectorIslEEZZNS1_27merge_sort_block_merge_implIS3_PsN6thrust23THRUST_200600_302600_NS10device_ptrIlEEjNS1_19radix_merge_compareILb0ELb0EsNS0_19identity_decomposerEEEEE10hipError_tT0_T1_T2_jT3_P12ihipStream_tbPNSt15iterator_traitsISG_E10value_typeEPNSM_ISH_E10value_typeEPSI_NS1_7vsmem_tEENKUlT_SG_SH_SI_E_clIS7_S7_SB_PlEESF_SV_SG_SH_SI_EUlSV_E1_NS1_11comp_targetILNS1_3genE2ELNS1_11target_archE906ELNS1_3gpuE6ELNS1_3repE0EEENS1_36merge_oddeven_config_static_selectorELNS0_4arch9wavefront6targetE1EEEvSH_
		.amdhsa_group_segment_fixed_size 0
		.amdhsa_private_segment_fixed_size 0
		.amdhsa_kernarg_size 48
		.amdhsa_user_sgpr_count 6
		.amdhsa_user_sgpr_private_segment_buffer 1
		.amdhsa_user_sgpr_dispatch_ptr 0
		.amdhsa_user_sgpr_queue_ptr 0
		.amdhsa_user_sgpr_kernarg_segment_ptr 1
		.amdhsa_user_sgpr_dispatch_id 0
		.amdhsa_user_sgpr_flat_scratch_init 0
		.amdhsa_user_sgpr_kernarg_preload_length 0
		.amdhsa_user_sgpr_kernarg_preload_offset 0
		.amdhsa_user_sgpr_private_segment_size 0
		.amdhsa_uses_dynamic_stack 0
		.amdhsa_system_sgpr_private_segment_wavefront_offset 0
		.amdhsa_system_sgpr_workgroup_id_x 1
		.amdhsa_system_sgpr_workgroup_id_y 0
		.amdhsa_system_sgpr_workgroup_id_z 0
		.amdhsa_system_sgpr_workgroup_info 0
		.amdhsa_system_vgpr_workitem_id 0
		.amdhsa_next_free_vgpr 1
		.amdhsa_next_free_sgpr 0
		.amdhsa_accum_offset 4
		.amdhsa_reserve_vcc 0
		.amdhsa_reserve_flat_scratch 0
		.amdhsa_float_round_mode_32 0
		.amdhsa_float_round_mode_16_64 0
		.amdhsa_float_denorm_mode_32 3
		.amdhsa_float_denorm_mode_16_64 3
		.amdhsa_dx10_clamp 1
		.amdhsa_ieee_mode 1
		.amdhsa_fp16_overflow 0
		.amdhsa_tg_split 0
		.amdhsa_exception_fp_ieee_invalid_op 0
		.amdhsa_exception_fp_denorm_src 0
		.amdhsa_exception_fp_ieee_div_zero 0
		.amdhsa_exception_fp_ieee_overflow 0
		.amdhsa_exception_fp_ieee_underflow 0
		.amdhsa_exception_fp_ieee_inexact 0
		.amdhsa_exception_int_div_zero 0
	.end_amdhsa_kernel
	.section	.text._ZN7rocprim17ROCPRIM_400000_NS6detail17trampoline_kernelINS0_14default_configENS1_38merge_sort_block_merge_config_selectorIslEEZZNS1_27merge_sort_block_merge_implIS3_PsN6thrust23THRUST_200600_302600_NS10device_ptrIlEEjNS1_19radix_merge_compareILb0ELb0EsNS0_19identity_decomposerEEEEE10hipError_tT0_T1_T2_jT3_P12ihipStream_tbPNSt15iterator_traitsISG_E10value_typeEPNSM_ISH_E10value_typeEPSI_NS1_7vsmem_tEENKUlT_SG_SH_SI_E_clIS7_S7_SB_PlEESF_SV_SG_SH_SI_EUlSV_E1_NS1_11comp_targetILNS1_3genE2ELNS1_11target_archE906ELNS1_3gpuE6ELNS1_3repE0EEENS1_36merge_oddeven_config_static_selectorELNS0_4arch9wavefront6targetE1EEEvSH_,"axG",@progbits,_ZN7rocprim17ROCPRIM_400000_NS6detail17trampoline_kernelINS0_14default_configENS1_38merge_sort_block_merge_config_selectorIslEEZZNS1_27merge_sort_block_merge_implIS3_PsN6thrust23THRUST_200600_302600_NS10device_ptrIlEEjNS1_19radix_merge_compareILb0ELb0EsNS0_19identity_decomposerEEEEE10hipError_tT0_T1_T2_jT3_P12ihipStream_tbPNSt15iterator_traitsISG_E10value_typeEPNSM_ISH_E10value_typeEPSI_NS1_7vsmem_tEENKUlT_SG_SH_SI_E_clIS7_S7_SB_PlEESF_SV_SG_SH_SI_EUlSV_E1_NS1_11comp_targetILNS1_3genE2ELNS1_11target_archE906ELNS1_3gpuE6ELNS1_3repE0EEENS1_36merge_oddeven_config_static_selectorELNS0_4arch9wavefront6targetE1EEEvSH_,comdat
.Lfunc_end1321:
	.size	_ZN7rocprim17ROCPRIM_400000_NS6detail17trampoline_kernelINS0_14default_configENS1_38merge_sort_block_merge_config_selectorIslEEZZNS1_27merge_sort_block_merge_implIS3_PsN6thrust23THRUST_200600_302600_NS10device_ptrIlEEjNS1_19radix_merge_compareILb0ELb0EsNS0_19identity_decomposerEEEEE10hipError_tT0_T1_T2_jT3_P12ihipStream_tbPNSt15iterator_traitsISG_E10value_typeEPNSM_ISH_E10value_typeEPSI_NS1_7vsmem_tEENKUlT_SG_SH_SI_E_clIS7_S7_SB_PlEESF_SV_SG_SH_SI_EUlSV_E1_NS1_11comp_targetILNS1_3genE2ELNS1_11target_archE906ELNS1_3gpuE6ELNS1_3repE0EEENS1_36merge_oddeven_config_static_selectorELNS0_4arch9wavefront6targetE1EEEvSH_, .Lfunc_end1321-_ZN7rocprim17ROCPRIM_400000_NS6detail17trampoline_kernelINS0_14default_configENS1_38merge_sort_block_merge_config_selectorIslEEZZNS1_27merge_sort_block_merge_implIS3_PsN6thrust23THRUST_200600_302600_NS10device_ptrIlEEjNS1_19radix_merge_compareILb0ELb0EsNS0_19identity_decomposerEEEEE10hipError_tT0_T1_T2_jT3_P12ihipStream_tbPNSt15iterator_traitsISG_E10value_typeEPNSM_ISH_E10value_typeEPSI_NS1_7vsmem_tEENKUlT_SG_SH_SI_E_clIS7_S7_SB_PlEESF_SV_SG_SH_SI_EUlSV_E1_NS1_11comp_targetILNS1_3genE2ELNS1_11target_archE906ELNS1_3gpuE6ELNS1_3repE0EEENS1_36merge_oddeven_config_static_selectorELNS0_4arch9wavefront6targetE1EEEvSH_
                                        ; -- End function
	.section	.AMDGPU.csdata,"",@progbits
; Kernel info:
; codeLenInByte = 0
; NumSgprs: 4
; NumVgprs: 0
; NumAgprs: 0
; TotalNumVgprs: 0
; ScratchSize: 0
; MemoryBound: 0
; FloatMode: 240
; IeeeMode: 1
; LDSByteSize: 0 bytes/workgroup (compile time only)
; SGPRBlocks: 0
; VGPRBlocks: 0
; NumSGPRsForWavesPerEU: 4
; NumVGPRsForWavesPerEU: 1
; AccumOffset: 4
; Occupancy: 8
; WaveLimiterHint : 0
; COMPUTE_PGM_RSRC2:SCRATCH_EN: 0
; COMPUTE_PGM_RSRC2:USER_SGPR: 6
; COMPUTE_PGM_RSRC2:TRAP_HANDLER: 0
; COMPUTE_PGM_RSRC2:TGID_X_EN: 1
; COMPUTE_PGM_RSRC2:TGID_Y_EN: 0
; COMPUTE_PGM_RSRC2:TGID_Z_EN: 0
; COMPUTE_PGM_RSRC2:TIDIG_COMP_CNT: 0
; COMPUTE_PGM_RSRC3_GFX90A:ACCUM_OFFSET: 0
; COMPUTE_PGM_RSRC3_GFX90A:TG_SPLIT: 0
	.section	.text._ZN7rocprim17ROCPRIM_400000_NS6detail17trampoline_kernelINS0_14default_configENS1_38merge_sort_block_merge_config_selectorIslEEZZNS1_27merge_sort_block_merge_implIS3_PsN6thrust23THRUST_200600_302600_NS10device_ptrIlEEjNS1_19radix_merge_compareILb0ELb0EsNS0_19identity_decomposerEEEEE10hipError_tT0_T1_T2_jT3_P12ihipStream_tbPNSt15iterator_traitsISG_E10value_typeEPNSM_ISH_E10value_typeEPSI_NS1_7vsmem_tEENKUlT_SG_SH_SI_E_clIS7_S7_SB_PlEESF_SV_SG_SH_SI_EUlSV_E1_NS1_11comp_targetILNS1_3genE9ELNS1_11target_archE1100ELNS1_3gpuE3ELNS1_3repE0EEENS1_36merge_oddeven_config_static_selectorELNS0_4arch9wavefront6targetE1EEEvSH_,"axG",@progbits,_ZN7rocprim17ROCPRIM_400000_NS6detail17trampoline_kernelINS0_14default_configENS1_38merge_sort_block_merge_config_selectorIslEEZZNS1_27merge_sort_block_merge_implIS3_PsN6thrust23THRUST_200600_302600_NS10device_ptrIlEEjNS1_19radix_merge_compareILb0ELb0EsNS0_19identity_decomposerEEEEE10hipError_tT0_T1_T2_jT3_P12ihipStream_tbPNSt15iterator_traitsISG_E10value_typeEPNSM_ISH_E10value_typeEPSI_NS1_7vsmem_tEENKUlT_SG_SH_SI_E_clIS7_S7_SB_PlEESF_SV_SG_SH_SI_EUlSV_E1_NS1_11comp_targetILNS1_3genE9ELNS1_11target_archE1100ELNS1_3gpuE3ELNS1_3repE0EEENS1_36merge_oddeven_config_static_selectorELNS0_4arch9wavefront6targetE1EEEvSH_,comdat
	.protected	_ZN7rocprim17ROCPRIM_400000_NS6detail17trampoline_kernelINS0_14default_configENS1_38merge_sort_block_merge_config_selectorIslEEZZNS1_27merge_sort_block_merge_implIS3_PsN6thrust23THRUST_200600_302600_NS10device_ptrIlEEjNS1_19radix_merge_compareILb0ELb0EsNS0_19identity_decomposerEEEEE10hipError_tT0_T1_T2_jT3_P12ihipStream_tbPNSt15iterator_traitsISG_E10value_typeEPNSM_ISH_E10value_typeEPSI_NS1_7vsmem_tEENKUlT_SG_SH_SI_E_clIS7_S7_SB_PlEESF_SV_SG_SH_SI_EUlSV_E1_NS1_11comp_targetILNS1_3genE9ELNS1_11target_archE1100ELNS1_3gpuE3ELNS1_3repE0EEENS1_36merge_oddeven_config_static_selectorELNS0_4arch9wavefront6targetE1EEEvSH_ ; -- Begin function _ZN7rocprim17ROCPRIM_400000_NS6detail17trampoline_kernelINS0_14default_configENS1_38merge_sort_block_merge_config_selectorIslEEZZNS1_27merge_sort_block_merge_implIS3_PsN6thrust23THRUST_200600_302600_NS10device_ptrIlEEjNS1_19radix_merge_compareILb0ELb0EsNS0_19identity_decomposerEEEEE10hipError_tT0_T1_T2_jT3_P12ihipStream_tbPNSt15iterator_traitsISG_E10value_typeEPNSM_ISH_E10value_typeEPSI_NS1_7vsmem_tEENKUlT_SG_SH_SI_E_clIS7_S7_SB_PlEESF_SV_SG_SH_SI_EUlSV_E1_NS1_11comp_targetILNS1_3genE9ELNS1_11target_archE1100ELNS1_3gpuE3ELNS1_3repE0EEENS1_36merge_oddeven_config_static_selectorELNS0_4arch9wavefront6targetE1EEEvSH_
	.globl	_ZN7rocprim17ROCPRIM_400000_NS6detail17trampoline_kernelINS0_14default_configENS1_38merge_sort_block_merge_config_selectorIslEEZZNS1_27merge_sort_block_merge_implIS3_PsN6thrust23THRUST_200600_302600_NS10device_ptrIlEEjNS1_19radix_merge_compareILb0ELb0EsNS0_19identity_decomposerEEEEE10hipError_tT0_T1_T2_jT3_P12ihipStream_tbPNSt15iterator_traitsISG_E10value_typeEPNSM_ISH_E10value_typeEPSI_NS1_7vsmem_tEENKUlT_SG_SH_SI_E_clIS7_S7_SB_PlEESF_SV_SG_SH_SI_EUlSV_E1_NS1_11comp_targetILNS1_3genE9ELNS1_11target_archE1100ELNS1_3gpuE3ELNS1_3repE0EEENS1_36merge_oddeven_config_static_selectorELNS0_4arch9wavefront6targetE1EEEvSH_
	.p2align	8
	.type	_ZN7rocprim17ROCPRIM_400000_NS6detail17trampoline_kernelINS0_14default_configENS1_38merge_sort_block_merge_config_selectorIslEEZZNS1_27merge_sort_block_merge_implIS3_PsN6thrust23THRUST_200600_302600_NS10device_ptrIlEEjNS1_19radix_merge_compareILb0ELb0EsNS0_19identity_decomposerEEEEE10hipError_tT0_T1_T2_jT3_P12ihipStream_tbPNSt15iterator_traitsISG_E10value_typeEPNSM_ISH_E10value_typeEPSI_NS1_7vsmem_tEENKUlT_SG_SH_SI_E_clIS7_S7_SB_PlEESF_SV_SG_SH_SI_EUlSV_E1_NS1_11comp_targetILNS1_3genE9ELNS1_11target_archE1100ELNS1_3gpuE3ELNS1_3repE0EEENS1_36merge_oddeven_config_static_selectorELNS0_4arch9wavefront6targetE1EEEvSH_,@function
_ZN7rocprim17ROCPRIM_400000_NS6detail17trampoline_kernelINS0_14default_configENS1_38merge_sort_block_merge_config_selectorIslEEZZNS1_27merge_sort_block_merge_implIS3_PsN6thrust23THRUST_200600_302600_NS10device_ptrIlEEjNS1_19radix_merge_compareILb0ELb0EsNS0_19identity_decomposerEEEEE10hipError_tT0_T1_T2_jT3_P12ihipStream_tbPNSt15iterator_traitsISG_E10value_typeEPNSM_ISH_E10value_typeEPSI_NS1_7vsmem_tEENKUlT_SG_SH_SI_E_clIS7_S7_SB_PlEESF_SV_SG_SH_SI_EUlSV_E1_NS1_11comp_targetILNS1_3genE9ELNS1_11target_archE1100ELNS1_3gpuE3ELNS1_3repE0EEENS1_36merge_oddeven_config_static_selectorELNS0_4arch9wavefront6targetE1EEEvSH_: ; @_ZN7rocprim17ROCPRIM_400000_NS6detail17trampoline_kernelINS0_14default_configENS1_38merge_sort_block_merge_config_selectorIslEEZZNS1_27merge_sort_block_merge_implIS3_PsN6thrust23THRUST_200600_302600_NS10device_ptrIlEEjNS1_19radix_merge_compareILb0ELb0EsNS0_19identity_decomposerEEEEE10hipError_tT0_T1_T2_jT3_P12ihipStream_tbPNSt15iterator_traitsISG_E10value_typeEPNSM_ISH_E10value_typeEPSI_NS1_7vsmem_tEENKUlT_SG_SH_SI_E_clIS7_S7_SB_PlEESF_SV_SG_SH_SI_EUlSV_E1_NS1_11comp_targetILNS1_3genE9ELNS1_11target_archE1100ELNS1_3gpuE3ELNS1_3repE0EEENS1_36merge_oddeven_config_static_selectorELNS0_4arch9wavefront6targetE1EEEvSH_
; %bb.0:
	.section	.rodata,"a",@progbits
	.p2align	6, 0x0
	.amdhsa_kernel _ZN7rocprim17ROCPRIM_400000_NS6detail17trampoline_kernelINS0_14default_configENS1_38merge_sort_block_merge_config_selectorIslEEZZNS1_27merge_sort_block_merge_implIS3_PsN6thrust23THRUST_200600_302600_NS10device_ptrIlEEjNS1_19radix_merge_compareILb0ELb0EsNS0_19identity_decomposerEEEEE10hipError_tT0_T1_T2_jT3_P12ihipStream_tbPNSt15iterator_traitsISG_E10value_typeEPNSM_ISH_E10value_typeEPSI_NS1_7vsmem_tEENKUlT_SG_SH_SI_E_clIS7_S7_SB_PlEESF_SV_SG_SH_SI_EUlSV_E1_NS1_11comp_targetILNS1_3genE9ELNS1_11target_archE1100ELNS1_3gpuE3ELNS1_3repE0EEENS1_36merge_oddeven_config_static_selectorELNS0_4arch9wavefront6targetE1EEEvSH_
		.amdhsa_group_segment_fixed_size 0
		.amdhsa_private_segment_fixed_size 0
		.amdhsa_kernarg_size 48
		.amdhsa_user_sgpr_count 6
		.amdhsa_user_sgpr_private_segment_buffer 1
		.amdhsa_user_sgpr_dispatch_ptr 0
		.amdhsa_user_sgpr_queue_ptr 0
		.amdhsa_user_sgpr_kernarg_segment_ptr 1
		.amdhsa_user_sgpr_dispatch_id 0
		.amdhsa_user_sgpr_flat_scratch_init 0
		.amdhsa_user_sgpr_kernarg_preload_length 0
		.amdhsa_user_sgpr_kernarg_preload_offset 0
		.amdhsa_user_sgpr_private_segment_size 0
		.amdhsa_uses_dynamic_stack 0
		.amdhsa_system_sgpr_private_segment_wavefront_offset 0
		.amdhsa_system_sgpr_workgroup_id_x 1
		.amdhsa_system_sgpr_workgroup_id_y 0
		.amdhsa_system_sgpr_workgroup_id_z 0
		.amdhsa_system_sgpr_workgroup_info 0
		.amdhsa_system_vgpr_workitem_id 0
		.amdhsa_next_free_vgpr 1
		.amdhsa_next_free_sgpr 0
		.amdhsa_accum_offset 4
		.amdhsa_reserve_vcc 0
		.amdhsa_reserve_flat_scratch 0
		.amdhsa_float_round_mode_32 0
		.amdhsa_float_round_mode_16_64 0
		.amdhsa_float_denorm_mode_32 3
		.amdhsa_float_denorm_mode_16_64 3
		.amdhsa_dx10_clamp 1
		.amdhsa_ieee_mode 1
		.amdhsa_fp16_overflow 0
		.amdhsa_tg_split 0
		.amdhsa_exception_fp_ieee_invalid_op 0
		.amdhsa_exception_fp_denorm_src 0
		.amdhsa_exception_fp_ieee_div_zero 0
		.amdhsa_exception_fp_ieee_overflow 0
		.amdhsa_exception_fp_ieee_underflow 0
		.amdhsa_exception_fp_ieee_inexact 0
		.amdhsa_exception_int_div_zero 0
	.end_amdhsa_kernel
	.section	.text._ZN7rocprim17ROCPRIM_400000_NS6detail17trampoline_kernelINS0_14default_configENS1_38merge_sort_block_merge_config_selectorIslEEZZNS1_27merge_sort_block_merge_implIS3_PsN6thrust23THRUST_200600_302600_NS10device_ptrIlEEjNS1_19radix_merge_compareILb0ELb0EsNS0_19identity_decomposerEEEEE10hipError_tT0_T1_T2_jT3_P12ihipStream_tbPNSt15iterator_traitsISG_E10value_typeEPNSM_ISH_E10value_typeEPSI_NS1_7vsmem_tEENKUlT_SG_SH_SI_E_clIS7_S7_SB_PlEESF_SV_SG_SH_SI_EUlSV_E1_NS1_11comp_targetILNS1_3genE9ELNS1_11target_archE1100ELNS1_3gpuE3ELNS1_3repE0EEENS1_36merge_oddeven_config_static_selectorELNS0_4arch9wavefront6targetE1EEEvSH_,"axG",@progbits,_ZN7rocprim17ROCPRIM_400000_NS6detail17trampoline_kernelINS0_14default_configENS1_38merge_sort_block_merge_config_selectorIslEEZZNS1_27merge_sort_block_merge_implIS3_PsN6thrust23THRUST_200600_302600_NS10device_ptrIlEEjNS1_19radix_merge_compareILb0ELb0EsNS0_19identity_decomposerEEEEE10hipError_tT0_T1_T2_jT3_P12ihipStream_tbPNSt15iterator_traitsISG_E10value_typeEPNSM_ISH_E10value_typeEPSI_NS1_7vsmem_tEENKUlT_SG_SH_SI_E_clIS7_S7_SB_PlEESF_SV_SG_SH_SI_EUlSV_E1_NS1_11comp_targetILNS1_3genE9ELNS1_11target_archE1100ELNS1_3gpuE3ELNS1_3repE0EEENS1_36merge_oddeven_config_static_selectorELNS0_4arch9wavefront6targetE1EEEvSH_,comdat
.Lfunc_end1322:
	.size	_ZN7rocprim17ROCPRIM_400000_NS6detail17trampoline_kernelINS0_14default_configENS1_38merge_sort_block_merge_config_selectorIslEEZZNS1_27merge_sort_block_merge_implIS3_PsN6thrust23THRUST_200600_302600_NS10device_ptrIlEEjNS1_19radix_merge_compareILb0ELb0EsNS0_19identity_decomposerEEEEE10hipError_tT0_T1_T2_jT3_P12ihipStream_tbPNSt15iterator_traitsISG_E10value_typeEPNSM_ISH_E10value_typeEPSI_NS1_7vsmem_tEENKUlT_SG_SH_SI_E_clIS7_S7_SB_PlEESF_SV_SG_SH_SI_EUlSV_E1_NS1_11comp_targetILNS1_3genE9ELNS1_11target_archE1100ELNS1_3gpuE3ELNS1_3repE0EEENS1_36merge_oddeven_config_static_selectorELNS0_4arch9wavefront6targetE1EEEvSH_, .Lfunc_end1322-_ZN7rocprim17ROCPRIM_400000_NS6detail17trampoline_kernelINS0_14default_configENS1_38merge_sort_block_merge_config_selectorIslEEZZNS1_27merge_sort_block_merge_implIS3_PsN6thrust23THRUST_200600_302600_NS10device_ptrIlEEjNS1_19radix_merge_compareILb0ELb0EsNS0_19identity_decomposerEEEEE10hipError_tT0_T1_T2_jT3_P12ihipStream_tbPNSt15iterator_traitsISG_E10value_typeEPNSM_ISH_E10value_typeEPSI_NS1_7vsmem_tEENKUlT_SG_SH_SI_E_clIS7_S7_SB_PlEESF_SV_SG_SH_SI_EUlSV_E1_NS1_11comp_targetILNS1_3genE9ELNS1_11target_archE1100ELNS1_3gpuE3ELNS1_3repE0EEENS1_36merge_oddeven_config_static_selectorELNS0_4arch9wavefront6targetE1EEEvSH_
                                        ; -- End function
	.section	.AMDGPU.csdata,"",@progbits
; Kernel info:
; codeLenInByte = 0
; NumSgprs: 4
; NumVgprs: 0
; NumAgprs: 0
; TotalNumVgprs: 0
; ScratchSize: 0
; MemoryBound: 0
; FloatMode: 240
; IeeeMode: 1
; LDSByteSize: 0 bytes/workgroup (compile time only)
; SGPRBlocks: 0
; VGPRBlocks: 0
; NumSGPRsForWavesPerEU: 4
; NumVGPRsForWavesPerEU: 1
; AccumOffset: 4
; Occupancy: 8
; WaveLimiterHint : 0
; COMPUTE_PGM_RSRC2:SCRATCH_EN: 0
; COMPUTE_PGM_RSRC2:USER_SGPR: 6
; COMPUTE_PGM_RSRC2:TRAP_HANDLER: 0
; COMPUTE_PGM_RSRC2:TGID_X_EN: 1
; COMPUTE_PGM_RSRC2:TGID_Y_EN: 0
; COMPUTE_PGM_RSRC2:TGID_Z_EN: 0
; COMPUTE_PGM_RSRC2:TIDIG_COMP_CNT: 0
; COMPUTE_PGM_RSRC3_GFX90A:ACCUM_OFFSET: 0
; COMPUTE_PGM_RSRC3_GFX90A:TG_SPLIT: 0
	.section	.text._ZN7rocprim17ROCPRIM_400000_NS6detail17trampoline_kernelINS0_14default_configENS1_38merge_sort_block_merge_config_selectorIslEEZZNS1_27merge_sort_block_merge_implIS3_PsN6thrust23THRUST_200600_302600_NS10device_ptrIlEEjNS1_19radix_merge_compareILb0ELb0EsNS0_19identity_decomposerEEEEE10hipError_tT0_T1_T2_jT3_P12ihipStream_tbPNSt15iterator_traitsISG_E10value_typeEPNSM_ISH_E10value_typeEPSI_NS1_7vsmem_tEENKUlT_SG_SH_SI_E_clIS7_S7_SB_PlEESF_SV_SG_SH_SI_EUlSV_E1_NS1_11comp_targetILNS1_3genE8ELNS1_11target_archE1030ELNS1_3gpuE2ELNS1_3repE0EEENS1_36merge_oddeven_config_static_selectorELNS0_4arch9wavefront6targetE1EEEvSH_,"axG",@progbits,_ZN7rocprim17ROCPRIM_400000_NS6detail17trampoline_kernelINS0_14default_configENS1_38merge_sort_block_merge_config_selectorIslEEZZNS1_27merge_sort_block_merge_implIS3_PsN6thrust23THRUST_200600_302600_NS10device_ptrIlEEjNS1_19radix_merge_compareILb0ELb0EsNS0_19identity_decomposerEEEEE10hipError_tT0_T1_T2_jT3_P12ihipStream_tbPNSt15iterator_traitsISG_E10value_typeEPNSM_ISH_E10value_typeEPSI_NS1_7vsmem_tEENKUlT_SG_SH_SI_E_clIS7_S7_SB_PlEESF_SV_SG_SH_SI_EUlSV_E1_NS1_11comp_targetILNS1_3genE8ELNS1_11target_archE1030ELNS1_3gpuE2ELNS1_3repE0EEENS1_36merge_oddeven_config_static_selectorELNS0_4arch9wavefront6targetE1EEEvSH_,comdat
	.protected	_ZN7rocprim17ROCPRIM_400000_NS6detail17trampoline_kernelINS0_14default_configENS1_38merge_sort_block_merge_config_selectorIslEEZZNS1_27merge_sort_block_merge_implIS3_PsN6thrust23THRUST_200600_302600_NS10device_ptrIlEEjNS1_19radix_merge_compareILb0ELb0EsNS0_19identity_decomposerEEEEE10hipError_tT0_T1_T2_jT3_P12ihipStream_tbPNSt15iterator_traitsISG_E10value_typeEPNSM_ISH_E10value_typeEPSI_NS1_7vsmem_tEENKUlT_SG_SH_SI_E_clIS7_S7_SB_PlEESF_SV_SG_SH_SI_EUlSV_E1_NS1_11comp_targetILNS1_3genE8ELNS1_11target_archE1030ELNS1_3gpuE2ELNS1_3repE0EEENS1_36merge_oddeven_config_static_selectorELNS0_4arch9wavefront6targetE1EEEvSH_ ; -- Begin function _ZN7rocprim17ROCPRIM_400000_NS6detail17trampoline_kernelINS0_14default_configENS1_38merge_sort_block_merge_config_selectorIslEEZZNS1_27merge_sort_block_merge_implIS3_PsN6thrust23THRUST_200600_302600_NS10device_ptrIlEEjNS1_19radix_merge_compareILb0ELb0EsNS0_19identity_decomposerEEEEE10hipError_tT0_T1_T2_jT3_P12ihipStream_tbPNSt15iterator_traitsISG_E10value_typeEPNSM_ISH_E10value_typeEPSI_NS1_7vsmem_tEENKUlT_SG_SH_SI_E_clIS7_S7_SB_PlEESF_SV_SG_SH_SI_EUlSV_E1_NS1_11comp_targetILNS1_3genE8ELNS1_11target_archE1030ELNS1_3gpuE2ELNS1_3repE0EEENS1_36merge_oddeven_config_static_selectorELNS0_4arch9wavefront6targetE1EEEvSH_
	.globl	_ZN7rocprim17ROCPRIM_400000_NS6detail17trampoline_kernelINS0_14default_configENS1_38merge_sort_block_merge_config_selectorIslEEZZNS1_27merge_sort_block_merge_implIS3_PsN6thrust23THRUST_200600_302600_NS10device_ptrIlEEjNS1_19radix_merge_compareILb0ELb0EsNS0_19identity_decomposerEEEEE10hipError_tT0_T1_T2_jT3_P12ihipStream_tbPNSt15iterator_traitsISG_E10value_typeEPNSM_ISH_E10value_typeEPSI_NS1_7vsmem_tEENKUlT_SG_SH_SI_E_clIS7_S7_SB_PlEESF_SV_SG_SH_SI_EUlSV_E1_NS1_11comp_targetILNS1_3genE8ELNS1_11target_archE1030ELNS1_3gpuE2ELNS1_3repE0EEENS1_36merge_oddeven_config_static_selectorELNS0_4arch9wavefront6targetE1EEEvSH_
	.p2align	8
	.type	_ZN7rocprim17ROCPRIM_400000_NS6detail17trampoline_kernelINS0_14default_configENS1_38merge_sort_block_merge_config_selectorIslEEZZNS1_27merge_sort_block_merge_implIS3_PsN6thrust23THRUST_200600_302600_NS10device_ptrIlEEjNS1_19radix_merge_compareILb0ELb0EsNS0_19identity_decomposerEEEEE10hipError_tT0_T1_T2_jT3_P12ihipStream_tbPNSt15iterator_traitsISG_E10value_typeEPNSM_ISH_E10value_typeEPSI_NS1_7vsmem_tEENKUlT_SG_SH_SI_E_clIS7_S7_SB_PlEESF_SV_SG_SH_SI_EUlSV_E1_NS1_11comp_targetILNS1_3genE8ELNS1_11target_archE1030ELNS1_3gpuE2ELNS1_3repE0EEENS1_36merge_oddeven_config_static_selectorELNS0_4arch9wavefront6targetE1EEEvSH_,@function
_ZN7rocprim17ROCPRIM_400000_NS6detail17trampoline_kernelINS0_14default_configENS1_38merge_sort_block_merge_config_selectorIslEEZZNS1_27merge_sort_block_merge_implIS3_PsN6thrust23THRUST_200600_302600_NS10device_ptrIlEEjNS1_19radix_merge_compareILb0ELb0EsNS0_19identity_decomposerEEEEE10hipError_tT0_T1_T2_jT3_P12ihipStream_tbPNSt15iterator_traitsISG_E10value_typeEPNSM_ISH_E10value_typeEPSI_NS1_7vsmem_tEENKUlT_SG_SH_SI_E_clIS7_S7_SB_PlEESF_SV_SG_SH_SI_EUlSV_E1_NS1_11comp_targetILNS1_3genE8ELNS1_11target_archE1030ELNS1_3gpuE2ELNS1_3repE0EEENS1_36merge_oddeven_config_static_selectorELNS0_4arch9wavefront6targetE1EEEvSH_: ; @_ZN7rocprim17ROCPRIM_400000_NS6detail17trampoline_kernelINS0_14default_configENS1_38merge_sort_block_merge_config_selectorIslEEZZNS1_27merge_sort_block_merge_implIS3_PsN6thrust23THRUST_200600_302600_NS10device_ptrIlEEjNS1_19radix_merge_compareILb0ELb0EsNS0_19identity_decomposerEEEEE10hipError_tT0_T1_T2_jT3_P12ihipStream_tbPNSt15iterator_traitsISG_E10value_typeEPNSM_ISH_E10value_typeEPSI_NS1_7vsmem_tEENKUlT_SG_SH_SI_E_clIS7_S7_SB_PlEESF_SV_SG_SH_SI_EUlSV_E1_NS1_11comp_targetILNS1_3genE8ELNS1_11target_archE1030ELNS1_3gpuE2ELNS1_3repE0EEENS1_36merge_oddeven_config_static_selectorELNS0_4arch9wavefront6targetE1EEEvSH_
; %bb.0:
	.section	.rodata,"a",@progbits
	.p2align	6, 0x0
	.amdhsa_kernel _ZN7rocprim17ROCPRIM_400000_NS6detail17trampoline_kernelINS0_14default_configENS1_38merge_sort_block_merge_config_selectorIslEEZZNS1_27merge_sort_block_merge_implIS3_PsN6thrust23THRUST_200600_302600_NS10device_ptrIlEEjNS1_19radix_merge_compareILb0ELb0EsNS0_19identity_decomposerEEEEE10hipError_tT0_T1_T2_jT3_P12ihipStream_tbPNSt15iterator_traitsISG_E10value_typeEPNSM_ISH_E10value_typeEPSI_NS1_7vsmem_tEENKUlT_SG_SH_SI_E_clIS7_S7_SB_PlEESF_SV_SG_SH_SI_EUlSV_E1_NS1_11comp_targetILNS1_3genE8ELNS1_11target_archE1030ELNS1_3gpuE2ELNS1_3repE0EEENS1_36merge_oddeven_config_static_selectorELNS0_4arch9wavefront6targetE1EEEvSH_
		.amdhsa_group_segment_fixed_size 0
		.amdhsa_private_segment_fixed_size 0
		.amdhsa_kernarg_size 48
		.amdhsa_user_sgpr_count 6
		.amdhsa_user_sgpr_private_segment_buffer 1
		.amdhsa_user_sgpr_dispatch_ptr 0
		.amdhsa_user_sgpr_queue_ptr 0
		.amdhsa_user_sgpr_kernarg_segment_ptr 1
		.amdhsa_user_sgpr_dispatch_id 0
		.amdhsa_user_sgpr_flat_scratch_init 0
		.amdhsa_user_sgpr_kernarg_preload_length 0
		.amdhsa_user_sgpr_kernarg_preload_offset 0
		.amdhsa_user_sgpr_private_segment_size 0
		.amdhsa_uses_dynamic_stack 0
		.amdhsa_system_sgpr_private_segment_wavefront_offset 0
		.amdhsa_system_sgpr_workgroup_id_x 1
		.amdhsa_system_sgpr_workgroup_id_y 0
		.amdhsa_system_sgpr_workgroup_id_z 0
		.amdhsa_system_sgpr_workgroup_info 0
		.amdhsa_system_vgpr_workitem_id 0
		.amdhsa_next_free_vgpr 1
		.amdhsa_next_free_sgpr 0
		.amdhsa_accum_offset 4
		.amdhsa_reserve_vcc 0
		.amdhsa_reserve_flat_scratch 0
		.amdhsa_float_round_mode_32 0
		.amdhsa_float_round_mode_16_64 0
		.amdhsa_float_denorm_mode_32 3
		.amdhsa_float_denorm_mode_16_64 3
		.amdhsa_dx10_clamp 1
		.amdhsa_ieee_mode 1
		.amdhsa_fp16_overflow 0
		.amdhsa_tg_split 0
		.amdhsa_exception_fp_ieee_invalid_op 0
		.amdhsa_exception_fp_denorm_src 0
		.amdhsa_exception_fp_ieee_div_zero 0
		.amdhsa_exception_fp_ieee_overflow 0
		.amdhsa_exception_fp_ieee_underflow 0
		.amdhsa_exception_fp_ieee_inexact 0
		.amdhsa_exception_int_div_zero 0
	.end_amdhsa_kernel
	.section	.text._ZN7rocprim17ROCPRIM_400000_NS6detail17trampoline_kernelINS0_14default_configENS1_38merge_sort_block_merge_config_selectorIslEEZZNS1_27merge_sort_block_merge_implIS3_PsN6thrust23THRUST_200600_302600_NS10device_ptrIlEEjNS1_19radix_merge_compareILb0ELb0EsNS0_19identity_decomposerEEEEE10hipError_tT0_T1_T2_jT3_P12ihipStream_tbPNSt15iterator_traitsISG_E10value_typeEPNSM_ISH_E10value_typeEPSI_NS1_7vsmem_tEENKUlT_SG_SH_SI_E_clIS7_S7_SB_PlEESF_SV_SG_SH_SI_EUlSV_E1_NS1_11comp_targetILNS1_3genE8ELNS1_11target_archE1030ELNS1_3gpuE2ELNS1_3repE0EEENS1_36merge_oddeven_config_static_selectorELNS0_4arch9wavefront6targetE1EEEvSH_,"axG",@progbits,_ZN7rocprim17ROCPRIM_400000_NS6detail17trampoline_kernelINS0_14default_configENS1_38merge_sort_block_merge_config_selectorIslEEZZNS1_27merge_sort_block_merge_implIS3_PsN6thrust23THRUST_200600_302600_NS10device_ptrIlEEjNS1_19radix_merge_compareILb0ELb0EsNS0_19identity_decomposerEEEEE10hipError_tT0_T1_T2_jT3_P12ihipStream_tbPNSt15iterator_traitsISG_E10value_typeEPNSM_ISH_E10value_typeEPSI_NS1_7vsmem_tEENKUlT_SG_SH_SI_E_clIS7_S7_SB_PlEESF_SV_SG_SH_SI_EUlSV_E1_NS1_11comp_targetILNS1_3genE8ELNS1_11target_archE1030ELNS1_3gpuE2ELNS1_3repE0EEENS1_36merge_oddeven_config_static_selectorELNS0_4arch9wavefront6targetE1EEEvSH_,comdat
.Lfunc_end1323:
	.size	_ZN7rocprim17ROCPRIM_400000_NS6detail17trampoline_kernelINS0_14default_configENS1_38merge_sort_block_merge_config_selectorIslEEZZNS1_27merge_sort_block_merge_implIS3_PsN6thrust23THRUST_200600_302600_NS10device_ptrIlEEjNS1_19radix_merge_compareILb0ELb0EsNS0_19identity_decomposerEEEEE10hipError_tT0_T1_T2_jT3_P12ihipStream_tbPNSt15iterator_traitsISG_E10value_typeEPNSM_ISH_E10value_typeEPSI_NS1_7vsmem_tEENKUlT_SG_SH_SI_E_clIS7_S7_SB_PlEESF_SV_SG_SH_SI_EUlSV_E1_NS1_11comp_targetILNS1_3genE8ELNS1_11target_archE1030ELNS1_3gpuE2ELNS1_3repE0EEENS1_36merge_oddeven_config_static_selectorELNS0_4arch9wavefront6targetE1EEEvSH_, .Lfunc_end1323-_ZN7rocprim17ROCPRIM_400000_NS6detail17trampoline_kernelINS0_14default_configENS1_38merge_sort_block_merge_config_selectorIslEEZZNS1_27merge_sort_block_merge_implIS3_PsN6thrust23THRUST_200600_302600_NS10device_ptrIlEEjNS1_19radix_merge_compareILb0ELb0EsNS0_19identity_decomposerEEEEE10hipError_tT0_T1_T2_jT3_P12ihipStream_tbPNSt15iterator_traitsISG_E10value_typeEPNSM_ISH_E10value_typeEPSI_NS1_7vsmem_tEENKUlT_SG_SH_SI_E_clIS7_S7_SB_PlEESF_SV_SG_SH_SI_EUlSV_E1_NS1_11comp_targetILNS1_3genE8ELNS1_11target_archE1030ELNS1_3gpuE2ELNS1_3repE0EEENS1_36merge_oddeven_config_static_selectorELNS0_4arch9wavefront6targetE1EEEvSH_
                                        ; -- End function
	.section	.AMDGPU.csdata,"",@progbits
; Kernel info:
; codeLenInByte = 0
; NumSgprs: 4
; NumVgprs: 0
; NumAgprs: 0
; TotalNumVgprs: 0
; ScratchSize: 0
; MemoryBound: 0
; FloatMode: 240
; IeeeMode: 1
; LDSByteSize: 0 bytes/workgroup (compile time only)
; SGPRBlocks: 0
; VGPRBlocks: 0
; NumSGPRsForWavesPerEU: 4
; NumVGPRsForWavesPerEU: 1
; AccumOffset: 4
; Occupancy: 8
; WaveLimiterHint : 0
; COMPUTE_PGM_RSRC2:SCRATCH_EN: 0
; COMPUTE_PGM_RSRC2:USER_SGPR: 6
; COMPUTE_PGM_RSRC2:TRAP_HANDLER: 0
; COMPUTE_PGM_RSRC2:TGID_X_EN: 1
; COMPUTE_PGM_RSRC2:TGID_Y_EN: 0
; COMPUTE_PGM_RSRC2:TGID_Z_EN: 0
; COMPUTE_PGM_RSRC2:TIDIG_COMP_CNT: 0
; COMPUTE_PGM_RSRC3_GFX90A:ACCUM_OFFSET: 0
; COMPUTE_PGM_RSRC3_GFX90A:TG_SPLIT: 0
	.section	.text._ZN7rocprim17ROCPRIM_400000_NS6detail17trampoline_kernelINS0_14default_configENS1_25transform_config_selectorIsLb1EEEZNS1_14transform_implILb1ES3_S5_PsS7_NS0_8identityIsEEEE10hipError_tT2_T3_mT4_P12ihipStream_tbEUlT_E_NS1_11comp_targetILNS1_3genE0ELNS1_11target_archE4294967295ELNS1_3gpuE0ELNS1_3repE0EEENS1_30default_config_static_selectorELNS0_4arch9wavefront6targetE1EEEvT1_,"axG",@progbits,_ZN7rocprim17ROCPRIM_400000_NS6detail17trampoline_kernelINS0_14default_configENS1_25transform_config_selectorIsLb1EEEZNS1_14transform_implILb1ES3_S5_PsS7_NS0_8identityIsEEEE10hipError_tT2_T3_mT4_P12ihipStream_tbEUlT_E_NS1_11comp_targetILNS1_3genE0ELNS1_11target_archE4294967295ELNS1_3gpuE0ELNS1_3repE0EEENS1_30default_config_static_selectorELNS0_4arch9wavefront6targetE1EEEvT1_,comdat
	.protected	_ZN7rocprim17ROCPRIM_400000_NS6detail17trampoline_kernelINS0_14default_configENS1_25transform_config_selectorIsLb1EEEZNS1_14transform_implILb1ES3_S5_PsS7_NS0_8identityIsEEEE10hipError_tT2_T3_mT4_P12ihipStream_tbEUlT_E_NS1_11comp_targetILNS1_3genE0ELNS1_11target_archE4294967295ELNS1_3gpuE0ELNS1_3repE0EEENS1_30default_config_static_selectorELNS0_4arch9wavefront6targetE1EEEvT1_ ; -- Begin function _ZN7rocprim17ROCPRIM_400000_NS6detail17trampoline_kernelINS0_14default_configENS1_25transform_config_selectorIsLb1EEEZNS1_14transform_implILb1ES3_S5_PsS7_NS0_8identityIsEEEE10hipError_tT2_T3_mT4_P12ihipStream_tbEUlT_E_NS1_11comp_targetILNS1_3genE0ELNS1_11target_archE4294967295ELNS1_3gpuE0ELNS1_3repE0EEENS1_30default_config_static_selectorELNS0_4arch9wavefront6targetE1EEEvT1_
	.globl	_ZN7rocprim17ROCPRIM_400000_NS6detail17trampoline_kernelINS0_14default_configENS1_25transform_config_selectorIsLb1EEEZNS1_14transform_implILb1ES3_S5_PsS7_NS0_8identityIsEEEE10hipError_tT2_T3_mT4_P12ihipStream_tbEUlT_E_NS1_11comp_targetILNS1_3genE0ELNS1_11target_archE4294967295ELNS1_3gpuE0ELNS1_3repE0EEENS1_30default_config_static_selectorELNS0_4arch9wavefront6targetE1EEEvT1_
	.p2align	8
	.type	_ZN7rocprim17ROCPRIM_400000_NS6detail17trampoline_kernelINS0_14default_configENS1_25transform_config_selectorIsLb1EEEZNS1_14transform_implILb1ES3_S5_PsS7_NS0_8identityIsEEEE10hipError_tT2_T3_mT4_P12ihipStream_tbEUlT_E_NS1_11comp_targetILNS1_3genE0ELNS1_11target_archE4294967295ELNS1_3gpuE0ELNS1_3repE0EEENS1_30default_config_static_selectorELNS0_4arch9wavefront6targetE1EEEvT1_,@function
_ZN7rocprim17ROCPRIM_400000_NS6detail17trampoline_kernelINS0_14default_configENS1_25transform_config_selectorIsLb1EEEZNS1_14transform_implILb1ES3_S5_PsS7_NS0_8identityIsEEEE10hipError_tT2_T3_mT4_P12ihipStream_tbEUlT_E_NS1_11comp_targetILNS1_3genE0ELNS1_11target_archE4294967295ELNS1_3gpuE0ELNS1_3repE0EEENS1_30default_config_static_selectorELNS0_4arch9wavefront6targetE1EEEvT1_: ; @_ZN7rocprim17ROCPRIM_400000_NS6detail17trampoline_kernelINS0_14default_configENS1_25transform_config_selectorIsLb1EEEZNS1_14transform_implILb1ES3_S5_PsS7_NS0_8identityIsEEEE10hipError_tT2_T3_mT4_P12ihipStream_tbEUlT_E_NS1_11comp_targetILNS1_3genE0ELNS1_11target_archE4294967295ELNS1_3gpuE0ELNS1_3repE0EEENS1_30default_config_static_selectorELNS0_4arch9wavefront6targetE1EEEvT1_
; %bb.0:
	.section	.rodata,"a",@progbits
	.p2align	6, 0x0
	.amdhsa_kernel _ZN7rocprim17ROCPRIM_400000_NS6detail17trampoline_kernelINS0_14default_configENS1_25transform_config_selectorIsLb1EEEZNS1_14transform_implILb1ES3_S5_PsS7_NS0_8identityIsEEEE10hipError_tT2_T3_mT4_P12ihipStream_tbEUlT_E_NS1_11comp_targetILNS1_3genE0ELNS1_11target_archE4294967295ELNS1_3gpuE0ELNS1_3repE0EEENS1_30default_config_static_selectorELNS0_4arch9wavefront6targetE1EEEvT1_
		.amdhsa_group_segment_fixed_size 0
		.amdhsa_private_segment_fixed_size 0
		.amdhsa_kernarg_size 40
		.amdhsa_user_sgpr_count 6
		.amdhsa_user_sgpr_private_segment_buffer 1
		.amdhsa_user_sgpr_dispatch_ptr 0
		.amdhsa_user_sgpr_queue_ptr 0
		.amdhsa_user_sgpr_kernarg_segment_ptr 1
		.amdhsa_user_sgpr_dispatch_id 0
		.amdhsa_user_sgpr_flat_scratch_init 0
		.amdhsa_user_sgpr_kernarg_preload_length 0
		.amdhsa_user_sgpr_kernarg_preload_offset 0
		.amdhsa_user_sgpr_private_segment_size 0
		.amdhsa_uses_dynamic_stack 0
		.amdhsa_system_sgpr_private_segment_wavefront_offset 0
		.amdhsa_system_sgpr_workgroup_id_x 1
		.amdhsa_system_sgpr_workgroup_id_y 0
		.amdhsa_system_sgpr_workgroup_id_z 0
		.amdhsa_system_sgpr_workgroup_info 0
		.amdhsa_system_vgpr_workitem_id 0
		.amdhsa_next_free_vgpr 1
		.amdhsa_next_free_sgpr 0
		.amdhsa_accum_offset 4
		.amdhsa_reserve_vcc 0
		.amdhsa_reserve_flat_scratch 0
		.amdhsa_float_round_mode_32 0
		.amdhsa_float_round_mode_16_64 0
		.amdhsa_float_denorm_mode_32 3
		.amdhsa_float_denorm_mode_16_64 3
		.amdhsa_dx10_clamp 1
		.amdhsa_ieee_mode 1
		.amdhsa_fp16_overflow 0
		.amdhsa_tg_split 0
		.amdhsa_exception_fp_ieee_invalid_op 0
		.amdhsa_exception_fp_denorm_src 0
		.amdhsa_exception_fp_ieee_div_zero 0
		.amdhsa_exception_fp_ieee_overflow 0
		.amdhsa_exception_fp_ieee_underflow 0
		.amdhsa_exception_fp_ieee_inexact 0
		.amdhsa_exception_int_div_zero 0
	.end_amdhsa_kernel
	.section	.text._ZN7rocprim17ROCPRIM_400000_NS6detail17trampoline_kernelINS0_14default_configENS1_25transform_config_selectorIsLb1EEEZNS1_14transform_implILb1ES3_S5_PsS7_NS0_8identityIsEEEE10hipError_tT2_T3_mT4_P12ihipStream_tbEUlT_E_NS1_11comp_targetILNS1_3genE0ELNS1_11target_archE4294967295ELNS1_3gpuE0ELNS1_3repE0EEENS1_30default_config_static_selectorELNS0_4arch9wavefront6targetE1EEEvT1_,"axG",@progbits,_ZN7rocprim17ROCPRIM_400000_NS6detail17trampoline_kernelINS0_14default_configENS1_25transform_config_selectorIsLb1EEEZNS1_14transform_implILb1ES3_S5_PsS7_NS0_8identityIsEEEE10hipError_tT2_T3_mT4_P12ihipStream_tbEUlT_E_NS1_11comp_targetILNS1_3genE0ELNS1_11target_archE4294967295ELNS1_3gpuE0ELNS1_3repE0EEENS1_30default_config_static_selectorELNS0_4arch9wavefront6targetE1EEEvT1_,comdat
.Lfunc_end1324:
	.size	_ZN7rocprim17ROCPRIM_400000_NS6detail17trampoline_kernelINS0_14default_configENS1_25transform_config_selectorIsLb1EEEZNS1_14transform_implILb1ES3_S5_PsS7_NS0_8identityIsEEEE10hipError_tT2_T3_mT4_P12ihipStream_tbEUlT_E_NS1_11comp_targetILNS1_3genE0ELNS1_11target_archE4294967295ELNS1_3gpuE0ELNS1_3repE0EEENS1_30default_config_static_selectorELNS0_4arch9wavefront6targetE1EEEvT1_, .Lfunc_end1324-_ZN7rocprim17ROCPRIM_400000_NS6detail17trampoline_kernelINS0_14default_configENS1_25transform_config_selectorIsLb1EEEZNS1_14transform_implILb1ES3_S5_PsS7_NS0_8identityIsEEEE10hipError_tT2_T3_mT4_P12ihipStream_tbEUlT_E_NS1_11comp_targetILNS1_3genE0ELNS1_11target_archE4294967295ELNS1_3gpuE0ELNS1_3repE0EEENS1_30default_config_static_selectorELNS0_4arch9wavefront6targetE1EEEvT1_
                                        ; -- End function
	.section	.AMDGPU.csdata,"",@progbits
; Kernel info:
; codeLenInByte = 0
; NumSgprs: 4
; NumVgprs: 0
; NumAgprs: 0
; TotalNumVgprs: 0
; ScratchSize: 0
; MemoryBound: 0
; FloatMode: 240
; IeeeMode: 1
; LDSByteSize: 0 bytes/workgroup (compile time only)
; SGPRBlocks: 0
; VGPRBlocks: 0
; NumSGPRsForWavesPerEU: 4
; NumVGPRsForWavesPerEU: 1
; AccumOffset: 4
; Occupancy: 8
; WaveLimiterHint : 0
; COMPUTE_PGM_RSRC2:SCRATCH_EN: 0
; COMPUTE_PGM_RSRC2:USER_SGPR: 6
; COMPUTE_PGM_RSRC2:TRAP_HANDLER: 0
; COMPUTE_PGM_RSRC2:TGID_X_EN: 1
; COMPUTE_PGM_RSRC2:TGID_Y_EN: 0
; COMPUTE_PGM_RSRC2:TGID_Z_EN: 0
; COMPUTE_PGM_RSRC2:TIDIG_COMP_CNT: 0
; COMPUTE_PGM_RSRC3_GFX90A:ACCUM_OFFSET: 0
; COMPUTE_PGM_RSRC3_GFX90A:TG_SPLIT: 0
	.section	.text._ZN7rocprim17ROCPRIM_400000_NS6detail17trampoline_kernelINS0_14default_configENS1_25transform_config_selectorIsLb1EEEZNS1_14transform_implILb1ES3_S5_PsS7_NS0_8identityIsEEEE10hipError_tT2_T3_mT4_P12ihipStream_tbEUlT_E_NS1_11comp_targetILNS1_3genE10ELNS1_11target_archE1201ELNS1_3gpuE5ELNS1_3repE0EEENS1_30default_config_static_selectorELNS0_4arch9wavefront6targetE1EEEvT1_,"axG",@progbits,_ZN7rocprim17ROCPRIM_400000_NS6detail17trampoline_kernelINS0_14default_configENS1_25transform_config_selectorIsLb1EEEZNS1_14transform_implILb1ES3_S5_PsS7_NS0_8identityIsEEEE10hipError_tT2_T3_mT4_P12ihipStream_tbEUlT_E_NS1_11comp_targetILNS1_3genE10ELNS1_11target_archE1201ELNS1_3gpuE5ELNS1_3repE0EEENS1_30default_config_static_selectorELNS0_4arch9wavefront6targetE1EEEvT1_,comdat
	.protected	_ZN7rocprim17ROCPRIM_400000_NS6detail17trampoline_kernelINS0_14default_configENS1_25transform_config_selectorIsLb1EEEZNS1_14transform_implILb1ES3_S5_PsS7_NS0_8identityIsEEEE10hipError_tT2_T3_mT4_P12ihipStream_tbEUlT_E_NS1_11comp_targetILNS1_3genE10ELNS1_11target_archE1201ELNS1_3gpuE5ELNS1_3repE0EEENS1_30default_config_static_selectorELNS0_4arch9wavefront6targetE1EEEvT1_ ; -- Begin function _ZN7rocprim17ROCPRIM_400000_NS6detail17trampoline_kernelINS0_14default_configENS1_25transform_config_selectorIsLb1EEEZNS1_14transform_implILb1ES3_S5_PsS7_NS0_8identityIsEEEE10hipError_tT2_T3_mT4_P12ihipStream_tbEUlT_E_NS1_11comp_targetILNS1_3genE10ELNS1_11target_archE1201ELNS1_3gpuE5ELNS1_3repE0EEENS1_30default_config_static_selectorELNS0_4arch9wavefront6targetE1EEEvT1_
	.globl	_ZN7rocprim17ROCPRIM_400000_NS6detail17trampoline_kernelINS0_14default_configENS1_25transform_config_selectorIsLb1EEEZNS1_14transform_implILb1ES3_S5_PsS7_NS0_8identityIsEEEE10hipError_tT2_T3_mT4_P12ihipStream_tbEUlT_E_NS1_11comp_targetILNS1_3genE10ELNS1_11target_archE1201ELNS1_3gpuE5ELNS1_3repE0EEENS1_30default_config_static_selectorELNS0_4arch9wavefront6targetE1EEEvT1_
	.p2align	8
	.type	_ZN7rocprim17ROCPRIM_400000_NS6detail17trampoline_kernelINS0_14default_configENS1_25transform_config_selectorIsLb1EEEZNS1_14transform_implILb1ES3_S5_PsS7_NS0_8identityIsEEEE10hipError_tT2_T3_mT4_P12ihipStream_tbEUlT_E_NS1_11comp_targetILNS1_3genE10ELNS1_11target_archE1201ELNS1_3gpuE5ELNS1_3repE0EEENS1_30default_config_static_selectorELNS0_4arch9wavefront6targetE1EEEvT1_,@function
_ZN7rocprim17ROCPRIM_400000_NS6detail17trampoline_kernelINS0_14default_configENS1_25transform_config_selectorIsLb1EEEZNS1_14transform_implILb1ES3_S5_PsS7_NS0_8identityIsEEEE10hipError_tT2_T3_mT4_P12ihipStream_tbEUlT_E_NS1_11comp_targetILNS1_3genE10ELNS1_11target_archE1201ELNS1_3gpuE5ELNS1_3repE0EEENS1_30default_config_static_selectorELNS0_4arch9wavefront6targetE1EEEvT1_: ; @_ZN7rocprim17ROCPRIM_400000_NS6detail17trampoline_kernelINS0_14default_configENS1_25transform_config_selectorIsLb1EEEZNS1_14transform_implILb1ES3_S5_PsS7_NS0_8identityIsEEEE10hipError_tT2_T3_mT4_P12ihipStream_tbEUlT_E_NS1_11comp_targetILNS1_3genE10ELNS1_11target_archE1201ELNS1_3gpuE5ELNS1_3repE0EEENS1_30default_config_static_selectorELNS0_4arch9wavefront6targetE1EEEvT1_
; %bb.0:
	.section	.rodata,"a",@progbits
	.p2align	6, 0x0
	.amdhsa_kernel _ZN7rocprim17ROCPRIM_400000_NS6detail17trampoline_kernelINS0_14default_configENS1_25transform_config_selectorIsLb1EEEZNS1_14transform_implILb1ES3_S5_PsS7_NS0_8identityIsEEEE10hipError_tT2_T3_mT4_P12ihipStream_tbEUlT_E_NS1_11comp_targetILNS1_3genE10ELNS1_11target_archE1201ELNS1_3gpuE5ELNS1_3repE0EEENS1_30default_config_static_selectorELNS0_4arch9wavefront6targetE1EEEvT1_
		.amdhsa_group_segment_fixed_size 0
		.amdhsa_private_segment_fixed_size 0
		.amdhsa_kernarg_size 40
		.amdhsa_user_sgpr_count 6
		.amdhsa_user_sgpr_private_segment_buffer 1
		.amdhsa_user_sgpr_dispatch_ptr 0
		.amdhsa_user_sgpr_queue_ptr 0
		.amdhsa_user_sgpr_kernarg_segment_ptr 1
		.amdhsa_user_sgpr_dispatch_id 0
		.amdhsa_user_sgpr_flat_scratch_init 0
		.amdhsa_user_sgpr_kernarg_preload_length 0
		.amdhsa_user_sgpr_kernarg_preload_offset 0
		.amdhsa_user_sgpr_private_segment_size 0
		.amdhsa_uses_dynamic_stack 0
		.amdhsa_system_sgpr_private_segment_wavefront_offset 0
		.amdhsa_system_sgpr_workgroup_id_x 1
		.amdhsa_system_sgpr_workgroup_id_y 0
		.amdhsa_system_sgpr_workgroup_id_z 0
		.amdhsa_system_sgpr_workgroup_info 0
		.amdhsa_system_vgpr_workitem_id 0
		.amdhsa_next_free_vgpr 1
		.amdhsa_next_free_sgpr 0
		.amdhsa_accum_offset 4
		.amdhsa_reserve_vcc 0
		.amdhsa_reserve_flat_scratch 0
		.amdhsa_float_round_mode_32 0
		.amdhsa_float_round_mode_16_64 0
		.amdhsa_float_denorm_mode_32 3
		.amdhsa_float_denorm_mode_16_64 3
		.amdhsa_dx10_clamp 1
		.amdhsa_ieee_mode 1
		.amdhsa_fp16_overflow 0
		.amdhsa_tg_split 0
		.amdhsa_exception_fp_ieee_invalid_op 0
		.amdhsa_exception_fp_denorm_src 0
		.amdhsa_exception_fp_ieee_div_zero 0
		.amdhsa_exception_fp_ieee_overflow 0
		.amdhsa_exception_fp_ieee_underflow 0
		.amdhsa_exception_fp_ieee_inexact 0
		.amdhsa_exception_int_div_zero 0
	.end_amdhsa_kernel
	.section	.text._ZN7rocprim17ROCPRIM_400000_NS6detail17trampoline_kernelINS0_14default_configENS1_25transform_config_selectorIsLb1EEEZNS1_14transform_implILb1ES3_S5_PsS7_NS0_8identityIsEEEE10hipError_tT2_T3_mT4_P12ihipStream_tbEUlT_E_NS1_11comp_targetILNS1_3genE10ELNS1_11target_archE1201ELNS1_3gpuE5ELNS1_3repE0EEENS1_30default_config_static_selectorELNS0_4arch9wavefront6targetE1EEEvT1_,"axG",@progbits,_ZN7rocprim17ROCPRIM_400000_NS6detail17trampoline_kernelINS0_14default_configENS1_25transform_config_selectorIsLb1EEEZNS1_14transform_implILb1ES3_S5_PsS7_NS0_8identityIsEEEE10hipError_tT2_T3_mT4_P12ihipStream_tbEUlT_E_NS1_11comp_targetILNS1_3genE10ELNS1_11target_archE1201ELNS1_3gpuE5ELNS1_3repE0EEENS1_30default_config_static_selectorELNS0_4arch9wavefront6targetE1EEEvT1_,comdat
.Lfunc_end1325:
	.size	_ZN7rocprim17ROCPRIM_400000_NS6detail17trampoline_kernelINS0_14default_configENS1_25transform_config_selectorIsLb1EEEZNS1_14transform_implILb1ES3_S5_PsS7_NS0_8identityIsEEEE10hipError_tT2_T3_mT4_P12ihipStream_tbEUlT_E_NS1_11comp_targetILNS1_3genE10ELNS1_11target_archE1201ELNS1_3gpuE5ELNS1_3repE0EEENS1_30default_config_static_selectorELNS0_4arch9wavefront6targetE1EEEvT1_, .Lfunc_end1325-_ZN7rocprim17ROCPRIM_400000_NS6detail17trampoline_kernelINS0_14default_configENS1_25transform_config_selectorIsLb1EEEZNS1_14transform_implILb1ES3_S5_PsS7_NS0_8identityIsEEEE10hipError_tT2_T3_mT4_P12ihipStream_tbEUlT_E_NS1_11comp_targetILNS1_3genE10ELNS1_11target_archE1201ELNS1_3gpuE5ELNS1_3repE0EEENS1_30default_config_static_selectorELNS0_4arch9wavefront6targetE1EEEvT1_
                                        ; -- End function
	.section	.AMDGPU.csdata,"",@progbits
; Kernel info:
; codeLenInByte = 0
; NumSgprs: 4
; NumVgprs: 0
; NumAgprs: 0
; TotalNumVgprs: 0
; ScratchSize: 0
; MemoryBound: 0
; FloatMode: 240
; IeeeMode: 1
; LDSByteSize: 0 bytes/workgroup (compile time only)
; SGPRBlocks: 0
; VGPRBlocks: 0
; NumSGPRsForWavesPerEU: 4
; NumVGPRsForWavesPerEU: 1
; AccumOffset: 4
; Occupancy: 8
; WaveLimiterHint : 0
; COMPUTE_PGM_RSRC2:SCRATCH_EN: 0
; COMPUTE_PGM_RSRC2:USER_SGPR: 6
; COMPUTE_PGM_RSRC2:TRAP_HANDLER: 0
; COMPUTE_PGM_RSRC2:TGID_X_EN: 1
; COMPUTE_PGM_RSRC2:TGID_Y_EN: 0
; COMPUTE_PGM_RSRC2:TGID_Z_EN: 0
; COMPUTE_PGM_RSRC2:TIDIG_COMP_CNT: 0
; COMPUTE_PGM_RSRC3_GFX90A:ACCUM_OFFSET: 0
; COMPUTE_PGM_RSRC3_GFX90A:TG_SPLIT: 0
	.section	.text._ZN7rocprim17ROCPRIM_400000_NS6detail17trampoline_kernelINS0_14default_configENS1_25transform_config_selectorIsLb1EEEZNS1_14transform_implILb1ES3_S5_PsS7_NS0_8identityIsEEEE10hipError_tT2_T3_mT4_P12ihipStream_tbEUlT_E_NS1_11comp_targetILNS1_3genE5ELNS1_11target_archE942ELNS1_3gpuE9ELNS1_3repE0EEENS1_30default_config_static_selectorELNS0_4arch9wavefront6targetE1EEEvT1_,"axG",@progbits,_ZN7rocprim17ROCPRIM_400000_NS6detail17trampoline_kernelINS0_14default_configENS1_25transform_config_selectorIsLb1EEEZNS1_14transform_implILb1ES3_S5_PsS7_NS0_8identityIsEEEE10hipError_tT2_T3_mT4_P12ihipStream_tbEUlT_E_NS1_11comp_targetILNS1_3genE5ELNS1_11target_archE942ELNS1_3gpuE9ELNS1_3repE0EEENS1_30default_config_static_selectorELNS0_4arch9wavefront6targetE1EEEvT1_,comdat
	.protected	_ZN7rocprim17ROCPRIM_400000_NS6detail17trampoline_kernelINS0_14default_configENS1_25transform_config_selectorIsLb1EEEZNS1_14transform_implILb1ES3_S5_PsS7_NS0_8identityIsEEEE10hipError_tT2_T3_mT4_P12ihipStream_tbEUlT_E_NS1_11comp_targetILNS1_3genE5ELNS1_11target_archE942ELNS1_3gpuE9ELNS1_3repE0EEENS1_30default_config_static_selectorELNS0_4arch9wavefront6targetE1EEEvT1_ ; -- Begin function _ZN7rocprim17ROCPRIM_400000_NS6detail17trampoline_kernelINS0_14default_configENS1_25transform_config_selectorIsLb1EEEZNS1_14transform_implILb1ES3_S5_PsS7_NS0_8identityIsEEEE10hipError_tT2_T3_mT4_P12ihipStream_tbEUlT_E_NS1_11comp_targetILNS1_3genE5ELNS1_11target_archE942ELNS1_3gpuE9ELNS1_3repE0EEENS1_30default_config_static_selectorELNS0_4arch9wavefront6targetE1EEEvT1_
	.globl	_ZN7rocprim17ROCPRIM_400000_NS6detail17trampoline_kernelINS0_14default_configENS1_25transform_config_selectorIsLb1EEEZNS1_14transform_implILb1ES3_S5_PsS7_NS0_8identityIsEEEE10hipError_tT2_T3_mT4_P12ihipStream_tbEUlT_E_NS1_11comp_targetILNS1_3genE5ELNS1_11target_archE942ELNS1_3gpuE9ELNS1_3repE0EEENS1_30default_config_static_selectorELNS0_4arch9wavefront6targetE1EEEvT1_
	.p2align	8
	.type	_ZN7rocprim17ROCPRIM_400000_NS6detail17trampoline_kernelINS0_14default_configENS1_25transform_config_selectorIsLb1EEEZNS1_14transform_implILb1ES3_S5_PsS7_NS0_8identityIsEEEE10hipError_tT2_T3_mT4_P12ihipStream_tbEUlT_E_NS1_11comp_targetILNS1_3genE5ELNS1_11target_archE942ELNS1_3gpuE9ELNS1_3repE0EEENS1_30default_config_static_selectorELNS0_4arch9wavefront6targetE1EEEvT1_,@function
_ZN7rocprim17ROCPRIM_400000_NS6detail17trampoline_kernelINS0_14default_configENS1_25transform_config_selectorIsLb1EEEZNS1_14transform_implILb1ES3_S5_PsS7_NS0_8identityIsEEEE10hipError_tT2_T3_mT4_P12ihipStream_tbEUlT_E_NS1_11comp_targetILNS1_3genE5ELNS1_11target_archE942ELNS1_3gpuE9ELNS1_3repE0EEENS1_30default_config_static_selectorELNS0_4arch9wavefront6targetE1EEEvT1_: ; @_ZN7rocprim17ROCPRIM_400000_NS6detail17trampoline_kernelINS0_14default_configENS1_25transform_config_selectorIsLb1EEEZNS1_14transform_implILb1ES3_S5_PsS7_NS0_8identityIsEEEE10hipError_tT2_T3_mT4_P12ihipStream_tbEUlT_E_NS1_11comp_targetILNS1_3genE5ELNS1_11target_archE942ELNS1_3gpuE9ELNS1_3repE0EEENS1_30default_config_static_selectorELNS0_4arch9wavefront6targetE1EEEvT1_
; %bb.0:
	.section	.rodata,"a",@progbits
	.p2align	6, 0x0
	.amdhsa_kernel _ZN7rocprim17ROCPRIM_400000_NS6detail17trampoline_kernelINS0_14default_configENS1_25transform_config_selectorIsLb1EEEZNS1_14transform_implILb1ES3_S5_PsS7_NS0_8identityIsEEEE10hipError_tT2_T3_mT4_P12ihipStream_tbEUlT_E_NS1_11comp_targetILNS1_3genE5ELNS1_11target_archE942ELNS1_3gpuE9ELNS1_3repE0EEENS1_30default_config_static_selectorELNS0_4arch9wavefront6targetE1EEEvT1_
		.amdhsa_group_segment_fixed_size 0
		.amdhsa_private_segment_fixed_size 0
		.amdhsa_kernarg_size 40
		.amdhsa_user_sgpr_count 6
		.amdhsa_user_sgpr_private_segment_buffer 1
		.amdhsa_user_sgpr_dispatch_ptr 0
		.amdhsa_user_sgpr_queue_ptr 0
		.amdhsa_user_sgpr_kernarg_segment_ptr 1
		.amdhsa_user_sgpr_dispatch_id 0
		.amdhsa_user_sgpr_flat_scratch_init 0
		.amdhsa_user_sgpr_kernarg_preload_length 0
		.amdhsa_user_sgpr_kernarg_preload_offset 0
		.amdhsa_user_sgpr_private_segment_size 0
		.amdhsa_uses_dynamic_stack 0
		.amdhsa_system_sgpr_private_segment_wavefront_offset 0
		.amdhsa_system_sgpr_workgroup_id_x 1
		.amdhsa_system_sgpr_workgroup_id_y 0
		.amdhsa_system_sgpr_workgroup_id_z 0
		.amdhsa_system_sgpr_workgroup_info 0
		.amdhsa_system_vgpr_workitem_id 0
		.amdhsa_next_free_vgpr 1
		.amdhsa_next_free_sgpr 0
		.amdhsa_accum_offset 4
		.amdhsa_reserve_vcc 0
		.amdhsa_reserve_flat_scratch 0
		.amdhsa_float_round_mode_32 0
		.amdhsa_float_round_mode_16_64 0
		.amdhsa_float_denorm_mode_32 3
		.amdhsa_float_denorm_mode_16_64 3
		.amdhsa_dx10_clamp 1
		.amdhsa_ieee_mode 1
		.amdhsa_fp16_overflow 0
		.amdhsa_tg_split 0
		.amdhsa_exception_fp_ieee_invalid_op 0
		.amdhsa_exception_fp_denorm_src 0
		.amdhsa_exception_fp_ieee_div_zero 0
		.amdhsa_exception_fp_ieee_overflow 0
		.amdhsa_exception_fp_ieee_underflow 0
		.amdhsa_exception_fp_ieee_inexact 0
		.amdhsa_exception_int_div_zero 0
	.end_amdhsa_kernel
	.section	.text._ZN7rocprim17ROCPRIM_400000_NS6detail17trampoline_kernelINS0_14default_configENS1_25transform_config_selectorIsLb1EEEZNS1_14transform_implILb1ES3_S5_PsS7_NS0_8identityIsEEEE10hipError_tT2_T3_mT4_P12ihipStream_tbEUlT_E_NS1_11comp_targetILNS1_3genE5ELNS1_11target_archE942ELNS1_3gpuE9ELNS1_3repE0EEENS1_30default_config_static_selectorELNS0_4arch9wavefront6targetE1EEEvT1_,"axG",@progbits,_ZN7rocprim17ROCPRIM_400000_NS6detail17trampoline_kernelINS0_14default_configENS1_25transform_config_selectorIsLb1EEEZNS1_14transform_implILb1ES3_S5_PsS7_NS0_8identityIsEEEE10hipError_tT2_T3_mT4_P12ihipStream_tbEUlT_E_NS1_11comp_targetILNS1_3genE5ELNS1_11target_archE942ELNS1_3gpuE9ELNS1_3repE0EEENS1_30default_config_static_selectorELNS0_4arch9wavefront6targetE1EEEvT1_,comdat
.Lfunc_end1326:
	.size	_ZN7rocprim17ROCPRIM_400000_NS6detail17trampoline_kernelINS0_14default_configENS1_25transform_config_selectorIsLb1EEEZNS1_14transform_implILb1ES3_S5_PsS7_NS0_8identityIsEEEE10hipError_tT2_T3_mT4_P12ihipStream_tbEUlT_E_NS1_11comp_targetILNS1_3genE5ELNS1_11target_archE942ELNS1_3gpuE9ELNS1_3repE0EEENS1_30default_config_static_selectorELNS0_4arch9wavefront6targetE1EEEvT1_, .Lfunc_end1326-_ZN7rocprim17ROCPRIM_400000_NS6detail17trampoline_kernelINS0_14default_configENS1_25transform_config_selectorIsLb1EEEZNS1_14transform_implILb1ES3_S5_PsS7_NS0_8identityIsEEEE10hipError_tT2_T3_mT4_P12ihipStream_tbEUlT_E_NS1_11comp_targetILNS1_3genE5ELNS1_11target_archE942ELNS1_3gpuE9ELNS1_3repE0EEENS1_30default_config_static_selectorELNS0_4arch9wavefront6targetE1EEEvT1_
                                        ; -- End function
	.section	.AMDGPU.csdata,"",@progbits
; Kernel info:
; codeLenInByte = 0
; NumSgprs: 4
; NumVgprs: 0
; NumAgprs: 0
; TotalNumVgprs: 0
; ScratchSize: 0
; MemoryBound: 0
; FloatMode: 240
; IeeeMode: 1
; LDSByteSize: 0 bytes/workgroup (compile time only)
; SGPRBlocks: 0
; VGPRBlocks: 0
; NumSGPRsForWavesPerEU: 4
; NumVGPRsForWavesPerEU: 1
; AccumOffset: 4
; Occupancy: 8
; WaveLimiterHint : 0
; COMPUTE_PGM_RSRC2:SCRATCH_EN: 0
; COMPUTE_PGM_RSRC2:USER_SGPR: 6
; COMPUTE_PGM_RSRC2:TRAP_HANDLER: 0
; COMPUTE_PGM_RSRC2:TGID_X_EN: 1
; COMPUTE_PGM_RSRC2:TGID_Y_EN: 0
; COMPUTE_PGM_RSRC2:TGID_Z_EN: 0
; COMPUTE_PGM_RSRC2:TIDIG_COMP_CNT: 0
; COMPUTE_PGM_RSRC3_GFX90A:ACCUM_OFFSET: 0
; COMPUTE_PGM_RSRC3_GFX90A:TG_SPLIT: 0
	.section	.text._ZN7rocprim17ROCPRIM_400000_NS6detail17trampoline_kernelINS0_14default_configENS1_25transform_config_selectorIsLb1EEEZNS1_14transform_implILb1ES3_S5_PsS7_NS0_8identityIsEEEE10hipError_tT2_T3_mT4_P12ihipStream_tbEUlT_E_NS1_11comp_targetILNS1_3genE4ELNS1_11target_archE910ELNS1_3gpuE8ELNS1_3repE0EEENS1_30default_config_static_selectorELNS0_4arch9wavefront6targetE1EEEvT1_,"axG",@progbits,_ZN7rocprim17ROCPRIM_400000_NS6detail17trampoline_kernelINS0_14default_configENS1_25transform_config_selectorIsLb1EEEZNS1_14transform_implILb1ES3_S5_PsS7_NS0_8identityIsEEEE10hipError_tT2_T3_mT4_P12ihipStream_tbEUlT_E_NS1_11comp_targetILNS1_3genE4ELNS1_11target_archE910ELNS1_3gpuE8ELNS1_3repE0EEENS1_30default_config_static_selectorELNS0_4arch9wavefront6targetE1EEEvT1_,comdat
	.protected	_ZN7rocprim17ROCPRIM_400000_NS6detail17trampoline_kernelINS0_14default_configENS1_25transform_config_selectorIsLb1EEEZNS1_14transform_implILb1ES3_S5_PsS7_NS0_8identityIsEEEE10hipError_tT2_T3_mT4_P12ihipStream_tbEUlT_E_NS1_11comp_targetILNS1_3genE4ELNS1_11target_archE910ELNS1_3gpuE8ELNS1_3repE0EEENS1_30default_config_static_selectorELNS0_4arch9wavefront6targetE1EEEvT1_ ; -- Begin function _ZN7rocprim17ROCPRIM_400000_NS6detail17trampoline_kernelINS0_14default_configENS1_25transform_config_selectorIsLb1EEEZNS1_14transform_implILb1ES3_S5_PsS7_NS0_8identityIsEEEE10hipError_tT2_T3_mT4_P12ihipStream_tbEUlT_E_NS1_11comp_targetILNS1_3genE4ELNS1_11target_archE910ELNS1_3gpuE8ELNS1_3repE0EEENS1_30default_config_static_selectorELNS0_4arch9wavefront6targetE1EEEvT1_
	.globl	_ZN7rocprim17ROCPRIM_400000_NS6detail17trampoline_kernelINS0_14default_configENS1_25transform_config_selectorIsLb1EEEZNS1_14transform_implILb1ES3_S5_PsS7_NS0_8identityIsEEEE10hipError_tT2_T3_mT4_P12ihipStream_tbEUlT_E_NS1_11comp_targetILNS1_3genE4ELNS1_11target_archE910ELNS1_3gpuE8ELNS1_3repE0EEENS1_30default_config_static_selectorELNS0_4arch9wavefront6targetE1EEEvT1_
	.p2align	8
	.type	_ZN7rocprim17ROCPRIM_400000_NS6detail17trampoline_kernelINS0_14default_configENS1_25transform_config_selectorIsLb1EEEZNS1_14transform_implILb1ES3_S5_PsS7_NS0_8identityIsEEEE10hipError_tT2_T3_mT4_P12ihipStream_tbEUlT_E_NS1_11comp_targetILNS1_3genE4ELNS1_11target_archE910ELNS1_3gpuE8ELNS1_3repE0EEENS1_30default_config_static_selectorELNS0_4arch9wavefront6targetE1EEEvT1_,@function
_ZN7rocprim17ROCPRIM_400000_NS6detail17trampoline_kernelINS0_14default_configENS1_25transform_config_selectorIsLb1EEEZNS1_14transform_implILb1ES3_S5_PsS7_NS0_8identityIsEEEE10hipError_tT2_T3_mT4_P12ihipStream_tbEUlT_E_NS1_11comp_targetILNS1_3genE4ELNS1_11target_archE910ELNS1_3gpuE8ELNS1_3repE0EEENS1_30default_config_static_selectorELNS0_4arch9wavefront6targetE1EEEvT1_: ; @_ZN7rocprim17ROCPRIM_400000_NS6detail17trampoline_kernelINS0_14default_configENS1_25transform_config_selectorIsLb1EEEZNS1_14transform_implILb1ES3_S5_PsS7_NS0_8identityIsEEEE10hipError_tT2_T3_mT4_P12ihipStream_tbEUlT_E_NS1_11comp_targetILNS1_3genE4ELNS1_11target_archE910ELNS1_3gpuE8ELNS1_3repE0EEENS1_30default_config_static_selectorELNS0_4arch9wavefront6targetE1EEEvT1_
; %bb.0:
	s_load_dwordx8 s[8:15], s[4:5], 0x0
	s_load_dword s2, s[4:5], 0x28
	s_waitcnt lgkmcnt(0)
	s_lshl_b64 s[0:1], s[10:11], 1
	s_add_u32 s3, s8, s0
	s_addc_u32 s4, s9, s1
	s_add_u32 s20, s14, s0
	s_addc_u32 s21, s15, s1
	s_lshl_b32 s0, s6, 13
	s_mov_b32 s1, 0
	s_add_i32 s2, s2, -1
	s_lshl_b64 s[14:15], s[0:1], 1
	s_add_u32 s16, s3, s14
	s_addc_u32 s17, s4, s15
	s_cmp_lg_u32 s6, s2
	s_mov_b64 s[2:3], -1
	s_cbranch_scc0 .LBB1327_2
; %bb.1:
	v_lshlrev_b32_e32 v1, 4, v0
	global_load_dwordx4 v[2:5], v1, s[16:17]
	s_add_u32 s2, s20, s14
	s_addc_u32 s3, s21, s15
	s_waitcnt vmcnt(0)
	global_store_dwordx4 v1, v[2:5], s[2:3]
	s_mov_b64 s[2:3], 0
.LBB1327_2:
	s_andn2_b64 vcc, exec, s[2:3]
	s_cbranch_vccnz .LBB1327_31
; %bb.3:
	s_sub_i32 s18, s12, s0
	v_cmp_gt_u32_e32 vcc, s18, v0
	v_lshlrev_b32_e32 v1, 1, v0
                                        ; implicit-def: $vgpr2_vgpr3_vgpr4_vgpr5
	s_and_saveexec_b64 s[0:1], vcc
	s_cbranch_execz .LBB1327_5
; %bb.4:
	global_load_ushort v2, v1, s[16:17]
.LBB1327_5:
	s_or_b64 exec, exec, s[0:1]
	v_or_b32_e32 v6, 0x400, v0
	v_cmp_gt_u32_e64 s[0:1], s18, v6
	s_and_saveexec_b64 s[2:3], s[0:1]
	s_cbranch_execz .LBB1327_7
; %bb.6:
	global_load_ushort v6, v1, s[16:17] offset:2048
	s_mov_b32 s4, 0x5040100
	s_waitcnt vmcnt(0)
	v_perm_b32 v2, v6, v2, s4
.LBB1327_7:
	s_or_b64 exec, exec, s[2:3]
	v_or_b32_e32 v6, 0x800, v0
	v_cmp_gt_u32_e64 s[2:3], s18, v6
	s_and_saveexec_b64 s[4:5], s[2:3]
	s_cbranch_execz .LBB1327_9
; %bb.8:
	v_lshlrev_b32_e32 v6, 1, v6
	global_load_ushort v6, v6, s[16:17]
	s_mov_b32 s6, 0xffff
	s_waitcnt vmcnt(0)
	v_bfi_b32 v3, s6, v6, v3
.LBB1327_9:
	s_or_b64 exec, exec, s[4:5]
	v_or_b32_e32 v6, 0xc00, v0
	v_cmp_gt_u32_e64 s[4:5], s18, v6
	s_and_saveexec_b64 s[6:7], s[4:5]
	s_cbranch_execz .LBB1327_11
; %bb.10:
	v_lshlrev_b32_e32 v6, 1, v6
	global_load_ushort v6, v6, s[16:17]
	s_mov_b32 s8, 0x5040100
	s_waitcnt vmcnt(0)
	v_perm_b32 v3, v6, v3, s8
.LBB1327_11:
	s_or_b64 exec, exec, s[6:7]
	v_or_b32_e32 v6, 0x1000, v0
	v_cmp_gt_u32_e64 s[6:7], s18, v6
	s_and_saveexec_b64 s[8:9], s[6:7]
	s_cbranch_execz .LBB1327_13
; %bb.12:
	v_lshlrev_b32_e32 v6, 1, v6
	global_load_ushort v6, v6, s[16:17]
	s_mov_b32 s10, 0xffff
	s_waitcnt vmcnt(0)
	v_bfi_b32 v4, s10, v6, v4
.LBB1327_13:
	s_or_b64 exec, exec, s[8:9]
	v_or_b32_e32 v6, 0x1400, v0
	v_cmp_gt_u32_e64 s[8:9], s18, v6
	s_and_saveexec_b64 s[10:11], s[8:9]
	s_cbranch_execz .LBB1327_15
; %bb.14:
	v_lshlrev_b32_e32 v6, 1, v6
	global_load_ushort v6, v6, s[16:17]
	s_mov_b32 s12, 0x5040100
	s_waitcnt vmcnt(0)
	v_perm_b32 v4, v6, v4, s12
.LBB1327_15:
	;; [unrolled: 24-line block ×3, first 2 shown]
	s_or_b64 exec, exec, s[18:19]
	s_add_u32 s14, s20, s14
	s_addc_u32 s15, s21, s15
	v_mov_b32_e32 v6, s15
	v_add_co_u32_e64 v0, s[14:15], s14, v1
	v_addc_co_u32_e64 v1, s[14:15], 0, v6, s[14:15]
	s_and_saveexec_b64 s[14:15], vcc
	s_cbranch_execnz .LBB1327_32
; %bb.20:
	s_or_b64 exec, exec, s[14:15]
	s_and_saveexec_b64 s[14:15], s[0:1]
	s_cbranch_execnz .LBB1327_33
.LBB1327_21:
	s_or_b64 exec, exec, s[14:15]
	s_mov_b32 s14, 0xffff
	s_and_saveexec_b64 s[0:1], s[2:3]
	s_cbranch_execz .LBB1327_23
.LBB1327_22:
	v_add_co_u32_e32 v6, vcc, 0x1000, v0
	v_addc_co_u32_e32 v7, vcc, 0, v1, vcc
	global_store_short v[6:7], v3, off
.LBB1327_23:
	s_or_b64 exec, exec, s[0:1]
	s_waitcnt vmcnt(0)
	v_bfi_b32 v2, s14, v3, v3
	v_cndmask_b32_e64 v2, v2, v3, s[4:5]
	s_and_saveexec_b64 s[0:1], s[4:5]
	s_cbranch_execz .LBB1327_25
; %bb.24:
	v_add_co_u32_e32 v6, vcc, 0x1000, v0
	v_addc_co_u32_e32 v7, vcc, 0, v1, vcc
	global_store_short_d16_hi v[6:7], v2, off offset:2048
.LBB1327_25:
	s_or_b64 exec, exec, s[0:1]
	s_mov_b32 s2, 0xffff
	v_cndmask_b32_e64 v2, v4, v4, s[6:7]
	s_and_saveexec_b64 s[0:1], s[6:7]
	s_cbranch_execz .LBB1327_27
; %bb.26:
	v_add_co_u32_e32 v6, vcc, 0x2000, v0
	v_addc_co_u32_e32 v7, vcc, 0, v1, vcc
	global_store_short v[6:7], v2, off
.LBB1327_27:
	s_or_b64 exec, exec, s[0:1]
	v_bfi_b32 v2, s2, v2, v4
	v_cndmask_b32_e64 v2, v2, v4, s[8:9]
	s_and_saveexec_b64 s[0:1], s[8:9]
	s_cbranch_execnz .LBB1327_34
; %bb.28:
	s_or_b64 exec, exec, s[0:1]
	s_and_saveexec_b64 s[0:1], s[10:11]
	s_cbranch_execnz .LBB1327_35
.LBB1327_29:
	s_or_b64 exec, exec, s[0:1]
	s_and_saveexec_b64 s[0:1], s[12:13]
	s_cbranch_execz .LBB1327_31
.LBB1327_30:
	v_add_co_u32_e32 v0, vcc, 0x3000, v0
	v_cndmask_b32_e64 v2, v5, v5, s[12:13]
	v_addc_co_u32_e32 v1, vcc, 0, v1, vcc
	global_store_short_d16_hi v[0:1], v2, off offset:2048
.LBB1327_31:
	s_endpgm
.LBB1327_32:
	s_waitcnt vmcnt(0)
	global_store_short v[0:1], v2, off
	s_or_b64 exec, exec, s[14:15]
	s_and_saveexec_b64 s[14:15], s[0:1]
	s_cbranch_execz .LBB1327_21
.LBB1327_33:
	s_waitcnt vmcnt(0)
	global_store_short_d16_hi v[0:1], v2, off offset:2048
	s_or_b64 exec, exec, s[14:15]
	s_mov_b32 s14, 0xffff
	s_and_saveexec_b64 s[0:1], s[2:3]
	s_cbranch_execnz .LBB1327_22
	s_branch .LBB1327_23
.LBB1327_34:
	v_add_co_u32_e32 v6, vcc, 0x2000, v0
	v_addc_co_u32_e32 v7, vcc, 0, v1, vcc
	global_store_short_d16_hi v[6:7], v2, off offset:2048
	s_or_b64 exec, exec, s[0:1]
	s_and_saveexec_b64 s[0:1], s[10:11]
	s_cbranch_execz .LBB1327_29
.LBB1327_35:
	v_add_co_u32_e32 v2, vcc, 0x3000, v0
	v_cndmask_b32_e64 v4, v5, v5, s[10:11]
	v_addc_co_u32_e32 v3, vcc, 0, v1, vcc
	global_store_short v[2:3], v4, off
	s_or_b64 exec, exec, s[0:1]
	s_and_saveexec_b64 s[0:1], s[12:13]
	s_cbranch_execnz .LBB1327_30
	s_branch .LBB1327_31
	.section	.rodata,"a",@progbits
	.p2align	6, 0x0
	.amdhsa_kernel _ZN7rocprim17ROCPRIM_400000_NS6detail17trampoline_kernelINS0_14default_configENS1_25transform_config_selectorIsLb1EEEZNS1_14transform_implILb1ES3_S5_PsS7_NS0_8identityIsEEEE10hipError_tT2_T3_mT4_P12ihipStream_tbEUlT_E_NS1_11comp_targetILNS1_3genE4ELNS1_11target_archE910ELNS1_3gpuE8ELNS1_3repE0EEENS1_30default_config_static_selectorELNS0_4arch9wavefront6targetE1EEEvT1_
		.amdhsa_group_segment_fixed_size 0
		.amdhsa_private_segment_fixed_size 0
		.amdhsa_kernarg_size 296
		.amdhsa_user_sgpr_count 6
		.amdhsa_user_sgpr_private_segment_buffer 1
		.amdhsa_user_sgpr_dispatch_ptr 0
		.amdhsa_user_sgpr_queue_ptr 0
		.amdhsa_user_sgpr_kernarg_segment_ptr 1
		.amdhsa_user_sgpr_dispatch_id 0
		.amdhsa_user_sgpr_flat_scratch_init 0
		.amdhsa_user_sgpr_kernarg_preload_length 0
		.amdhsa_user_sgpr_kernarg_preload_offset 0
		.amdhsa_user_sgpr_private_segment_size 0
		.amdhsa_uses_dynamic_stack 0
		.amdhsa_system_sgpr_private_segment_wavefront_offset 0
		.amdhsa_system_sgpr_workgroup_id_x 1
		.amdhsa_system_sgpr_workgroup_id_y 0
		.amdhsa_system_sgpr_workgroup_id_z 0
		.amdhsa_system_sgpr_workgroup_info 0
		.amdhsa_system_vgpr_workitem_id 0
		.amdhsa_next_free_vgpr 8
		.amdhsa_next_free_sgpr 22
		.amdhsa_accum_offset 8
		.amdhsa_reserve_vcc 1
		.amdhsa_reserve_flat_scratch 0
		.amdhsa_float_round_mode_32 0
		.amdhsa_float_round_mode_16_64 0
		.amdhsa_float_denorm_mode_32 3
		.amdhsa_float_denorm_mode_16_64 3
		.amdhsa_dx10_clamp 1
		.amdhsa_ieee_mode 1
		.amdhsa_fp16_overflow 0
		.amdhsa_tg_split 0
		.amdhsa_exception_fp_ieee_invalid_op 0
		.amdhsa_exception_fp_denorm_src 0
		.amdhsa_exception_fp_ieee_div_zero 0
		.amdhsa_exception_fp_ieee_overflow 0
		.amdhsa_exception_fp_ieee_underflow 0
		.amdhsa_exception_fp_ieee_inexact 0
		.amdhsa_exception_int_div_zero 0
	.end_amdhsa_kernel
	.section	.text._ZN7rocprim17ROCPRIM_400000_NS6detail17trampoline_kernelINS0_14default_configENS1_25transform_config_selectorIsLb1EEEZNS1_14transform_implILb1ES3_S5_PsS7_NS0_8identityIsEEEE10hipError_tT2_T3_mT4_P12ihipStream_tbEUlT_E_NS1_11comp_targetILNS1_3genE4ELNS1_11target_archE910ELNS1_3gpuE8ELNS1_3repE0EEENS1_30default_config_static_selectorELNS0_4arch9wavefront6targetE1EEEvT1_,"axG",@progbits,_ZN7rocprim17ROCPRIM_400000_NS6detail17trampoline_kernelINS0_14default_configENS1_25transform_config_selectorIsLb1EEEZNS1_14transform_implILb1ES3_S5_PsS7_NS0_8identityIsEEEE10hipError_tT2_T3_mT4_P12ihipStream_tbEUlT_E_NS1_11comp_targetILNS1_3genE4ELNS1_11target_archE910ELNS1_3gpuE8ELNS1_3repE0EEENS1_30default_config_static_selectorELNS0_4arch9wavefront6targetE1EEEvT1_,comdat
.Lfunc_end1327:
	.size	_ZN7rocprim17ROCPRIM_400000_NS6detail17trampoline_kernelINS0_14default_configENS1_25transform_config_selectorIsLb1EEEZNS1_14transform_implILb1ES3_S5_PsS7_NS0_8identityIsEEEE10hipError_tT2_T3_mT4_P12ihipStream_tbEUlT_E_NS1_11comp_targetILNS1_3genE4ELNS1_11target_archE910ELNS1_3gpuE8ELNS1_3repE0EEENS1_30default_config_static_selectorELNS0_4arch9wavefront6targetE1EEEvT1_, .Lfunc_end1327-_ZN7rocprim17ROCPRIM_400000_NS6detail17trampoline_kernelINS0_14default_configENS1_25transform_config_selectorIsLb1EEEZNS1_14transform_implILb1ES3_S5_PsS7_NS0_8identityIsEEEE10hipError_tT2_T3_mT4_P12ihipStream_tbEUlT_E_NS1_11comp_targetILNS1_3genE4ELNS1_11target_archE910ELNS1_3gpuE8ELNS1_3repE0EEENS1_30default_config_static_selectorELNS0_4arch9wavefront6targetE1EEEvT1_
                                        ; -- End function
	.section	.AMDGPU.csdata,"",@progbits
; Kernel info:
; codeLenInByte = 976
; NumSgprs: 26
; NumVgprs: 8
; NumAgprs: 0
; TotalNumVgprs: 8
; ScratchSize: 0
; MemoryBound: 1
; FloatMode: 240
; IeeeMode: 1
; LDSByteSize: 0 bytes/workgroup (compile time only)
; SGPRBlocks: 3
; VGPRBlocks: 0
; NumSGPRsForWavesPerEU: 26
; NumVGPRsForWavesPerEU: 8
; AccumOffset: 8
; Occupancy: 8
; WaveLimiterHint : 0
; COMPUTE_PGM_RSRC2:SCRATCH_EN: 0
; COMPUTE_PGM_RSRC2:USER_SGPR: 6
; COMPUTE_PGM_RSRC2:TRAP_HANDLER: 0
; COMPUTE_PGM_RSRC2:TGID_X_EN: 1
; COMPUTE_PGM_RSRC2:TGID_Y_EN: 0
; COMPUTE_PGM_RSRC2:TGID_Z_EN: 0
; COMPUTE_PGM_RSRC2:TIDIG_COMP_CNT: 0
; COMPUTE_PGM_RSRC3_GFX90A:ACCUM_OFFSET: 1
; COMPUTE_PGM_RSRC3_GFX90A:TG_SPLIT: 0
	.section	.text._ZN7rocprim17ROCPRIM_400000_NS6detail17trampoline_kernelINS0_14default_configENS1_25transform_config_selectorIsLb1EEEZNS1_14transform_implILb1ES3_S5_PsS7_NS0_8identityIsEEEE10hipError_tT2_T3_mT4_P12ihipStream_tbEUlT_E_NS1_11comp_targetILNS1_3genE3ELNS1_11target_archE908ELNS1_3gpuE7ELNS1_3repE0EEENS1_30default_config_static_selectorELNS0_4arch9wavefront6targetE1EEEvT1_,"axG",@progbits,_ZN7rocprim17ROCPRIM_400000_NS6detail17trampoline_kernelINS0_14default_configENS1_25transform_config_selectorIsLb1EEEZNS1_14transform_implILb1ES3_S5_PsS7_NS0_8identityIsEEEE10hipError_tT2_T3_mT4_P12ihipStream_tbEUlT_E_NS1_11comp_targetILNS1_3genE3ELNS1_11target_archE908ELNS1_3gpuE7ELNS1_3repE0EEENS1_30default_config_static_selectorELNS0_4arch9wavefront6targetE1EEEvT1_,comdat
	.protected	_ZN7rocprim17ROCPRIM_400000_NS6detail17trampoline_kernelINS0_14default_configENS1_25transform_config_selectorIsLb1EEEZNS1_14transform_implILb1ES3_S5_PsS7_NS0_8identityIsEEEE10hipError_tT2_T3_mT4_P12ihipStream_tbEUlT_E_NS1_11comp_targetILNS1_3genE3ELNS1_11target_archE908ELNS1_3gpuE7ELNS1_3repE0EEENS1_30default_config_static_selectorELNS0_4arch9wavefront6targetE1EEEvT1_ ; -- Begin function _ZN7rocprim17ROCPRIM_400000_NS6detail17trampoline_kernelINS0_14default_configENS1_25transform_config_selectorIsLb1EEEZNS1_14transform_implILb1ES3_S5_PsS7_NS0_8identityIsEEEE10hipError_tT2_T3_mT4_P12ihipStream_tbEUlT_E_NS1_11comp_targetILNS1_3genE3ELNS1_11target_archE908ELNS1_3gpuE7ELNS1_3repE0EEENS1_30default_config_static_selectorELNS0_4arch9wavefront6targetE1EEEvT1_
	.globl	_ZN7rocprim17ROCPRIM_400000_NS6detail17trampoline_kernelINS0_14default_configENS1_25transform_config_selectorIsLb1EEEZNS1_14transform_implILb1ES3_S5_PsS7_NS0_8identityIsEEEE10hipError_tT2_T3_mT4_P12ihipStream_tbEUlT_E_NS1_11comp_targetILNS1_3genE3ELNS1_11target_archE908ELNS1_3gpuE7ELNS1_3repE0EEENS1_30default_config_static_selectorELNS0_4arch9wavefront6targetE1EEEvT1_
	.p2align	8
	.type	_ZN7rocprim17ROCPRIM_400000_NS6detail17trampoline_kernelINS0_14default_configENS1_25transform_config_selectorIsLb1EEEZNS1_14transform_implILb1ES3_S5_PsS7_NS0_8identityIsEEEE10hipError_tT2_T3_mT4_P12ihipStream_tbEUlT_E_NS1_11comp_targetILNS1_3genE3ELNS1_11target_archE908ELNS1_3gpuE7ELNS1_3repE0EEENS1_30default_config_static_selectorELNS0_4arch9wavefront6targetE1EEEvT1_,@function
_ZN7rocprim17ROCPRIM_400000_NS6detail17trampoline_kernelINS0_14default_configENS1_25transform_config_selectorIsLb1EEEZNS1_14transform_implILb1ES3_S5_PsS7_NS0_8identityIsEEEE10hipError_tT2_T3_mT4_P12ihipStream_tbEUlT_E_NS1_11comp_targetILNS1_3genE3ELNS1_11target_archE908ELNS1_3gpuE7ELNS1_3repE0EEENS1_30default_config_static_selectorELNS0_4arch9wavefront6targetE1EEEvT1_: ; @_ZN7rocprim17ROCPRIM_400000_NS6detail17trampoline_kernelINS0_14default_configENS1_25transform_config_selectorIsLb1EEEZNS1_14transform_implILb1ES3_S5_PsS7_NS0_8identityIsEEEE10hipError_tT2_T3_mT4_P12ihipStream_tbEUlT_E_NS1_11comp_targetILNS1_3genE3ELNS1_11target_archE908ELNS1_3gpuE7ELNS1_3repE0EEENS1_30default_config_static_selectorELNS0_4arch9wavefront6targetE1EEEvT1_
; %bb.0:
	.section	.rodata,"a",@progbits
	.p2align	6, 0x0
	.amdhsa_kernel _ZN7rocprim17ROCPRIM_400000_NS6detail17trampoline_kernelINS0_14default_configENS1_25transform_config_selectorIsLb1EEEZNS1_14transform_implILb1ES3_S5_PsS7_NS0_8identityIsEEEE10hipError_tT2_T3_mT4_P12ihipStream_tbEUlT_E_NS1_11comp_targetILNS1_3genE3ELNS1_11target_archE908ELNS1_3gpuE7ELNS1_3repE0EEENS1_30default_config_static_selectorELNS0_4arch9wavefront6targetE1EEEvT1_
		.amdhsa_group_segment_fixed_size 0
		.amdhsa_private_segment_fixed_size 0
		.amdhsa_kernarg_size 40
		.amdhsa_user_sgpr_count 6
		.amdhsa_user_sgpr_private_segment_buffer 1
		.amdhsa_user_sgpr_dispatch_ptr 0
		.amdhsa_user_sgpr_queue_ptr 0
		.amdhsa_user_sgpr_kernarg_segment_ptr 1
		.amdhsa_user_sgpr_dispatch_id 0
		.amdhsa_user_sgpr_flat_scratch_init 0
		.amdhsa_user_sgpr_kernarg_preload_length 0
		.amdhsa_user_sgpr_kernarg_preload_offset 0
		.amdhsa_user_sgpr_private_segment_size 0
		.amdhsa_uses_dynamic_stack 0
		.amdhsa_system_sgpr_private_segment_wavefront_offset 0
		.amdhsa_system_sgpr_workgroup_id_x 1
		.amdhsa_system_sgpr_workgroup_id_y 0
		.amdhsa_system_sgpr_workgroup_id_z 0
		.amdhsa_system_sgpr_workgroup_info 0
		.amdhsa_system_vgpr_workitem_id 0
		.amdhsa_next_free_vgpr 1
		.amdhsa_next_free_sgpr 0
		.amdhsa_accum_offset 4
		.amdhsa_reserve_vcc 0
		.amdhsa_reserve_flat_scratch 0
		.amdhsa_float_round_mode_32 0
		.amdhsa_float_round_mode_16_64 0
		.amdhsa_float_denorm_mode_32 3
		.amdhsa_float_denorm_mode_16_64 3
		.amdhsa_dx10_clamp 1
		.amdhsa_ieee_mode 1
		.amdhsa_fp16_overflow 0
		.amdhsa_tg_split 0
		.amdhsa_exception_fp_ieee_invalid_op 0
		.amdhsa_exception_fp_denorm_src 0
		.amdhsa_exception_fp_ieee_div_zero 0
		.amdhsa_exception_fp_ieee_overflow 0
		.amdhsa_exception_fp_ieee_underflow 0
		.amdhsa_exception_fp_ieee_inexact 0
		.amdhsa_exception_int_div_zero 0
	.end_amdhsa_kernel
	.section	.text._ZN7rocprim17ROCPRIM_400000_NS6detail17trampoline_kernelINS0_14default_configENS1_25transform_config_selectorIsLb1EEEZNS1_14transform_implILb1ES3_S5_PsS7_NS0_8identityIsEEEE10hipError_tT2_T3_mT4_P12ihipStream_tbEUlT_E_NS1_11comp_targetILNS1_3genE3ELNS1_11target_archE908ELNS1_3gpuE7ELNS1_3repE0EEENS1_30default_config_static_selectorELNS0_4arch9wavefront6targetE1EEEvT1_,"axG",@progbits,_ZN7rocprim17ROCPRIM_400000_NS6detail17trampoline_kernelINS0_14default_configENS1_25transform_config_selectorIsLb1EEEZNS1_14transform_implILb1ES3_S5_PsS7_NS0_8identityIsEEEE10hipError_tT2_T3_mT4_P12ihipStream_tbEUlT_E_NS1_11comp_targetILNS1_3genE3ELNS1_11target_archE908ELNS1_3gpuE7ELNS1_3repE0EEENS1_30default_config_static_selectorELNS0_4arch9wavefront6targetE1EEEvT1_,comdat
.Lfunc_end1328:
	.size	_ZN7rocprim17ROCPRIM_400000_NS6detail17trampoline_kernelINS0_14default_configENS1_25transform_config_selectorIsLb1EEEZNS1_14transform_implILb1ES3_S5_PsS7_NS0_8identityIsEEEE10hipError_tT2_T3_mT4_P12ihipStream_tbEUlT_E_NS1_11comp_targetILNS1_3genE3ELNS1_11target_archE908ELNS1_3gpuE7ELNS1_3repE0EEENS1_30default_config_static_selectorELNS0_4arch9wavefront6targetE1EEEvT1_, .Lfunc_end1328-_ZN7rocprim17ROCPRIM_400000_NS6detail17trampoline_kernelINS0_14default_configENS1_25transform_config_selectorIsLb1EEEZNS1_14transform_implILb1ES3_S5_PsS7_NS0_8identityIsEEEE10hipError_tT2_T3_mT4_P12ihipStream_tbEUlT_E_NS1_11comp_targetILNS1_3genE3ELNS1_11target_archE908ELNS1_3gpuE7ELNS1_3repE0EEENS1_30default_config_static_selectorELNS0_4arch9wavefront6targetE1EEEvT1_
                                        ; -- End function
	.section	.AMDGPU.csdata,"",@progbits
; Kernel info:
; codeLenInByte = 0
; NumSgprs: 4
; NumVgprs: 0
; NumAgprs: 0
; TotalNumVgprs: 0
; ScratchSize: 0
; MemoryBound: 0
; FloatMode: 240
; IeeeMode: 1
; LDSByteSize: 0 bytes/workgroup (compile time only)
; SGPRBlocks: 0
; VGPRBlocks: 0
; NumSGPRsForWavesPerEU: 4
; NumVGPRsForWavesPerEU: 1
; AccumOffset: 4
; Occupancy: 8
; WaveLimiterHint : 0
; COMPUTE_PGM_RSRC2:SCRATCH_EN: 0
; COMPUTE_PGM_RSRC2:USER_SGPR: 6
; COMPUTE_PGM_RSRC2:TRAP_HANDLER: 0
; COMPUTE_PGM_RSRC2:TGID_X_EN: 1
; COMPUTE_PGM_RSRC2:TGID_Y_EN: 0
; COMPUTE_PGM_RSRC2:TGID_Z_EN: 0
; COMPUTE_PGM_RSRC2:TIDIG_COMP_CNT: 0
; COMPUTE_PGM_RSRC3_GFX90A:ACCUM_OFFSET: 0
; COMPUTE_PGM_RSRC3_GFX90A:TG_SPLIT: 0
	.section	.text._ZN7rocprim17ROCPRIM_400000_NS6detail17trampoline_kernelINS0_14default_configENS1_25transform_config_selectorIsLb1EEEZNS1_14transform_implILb1ES3_S5_PsS7_NS0_8identityIsEEEE10hipError_tT2_T3_mT4_P12ihipStream_tbEUlT_E_NS1_11comp_targetILNS1_3genE2ELNS1_11target_archE906ELNS1_3gpuE6ELNS1_3repE0EEENS1_30default_config_static_selectorELNS0_4arch9wavefront6targetE1EEEvT1_,"axG",@progbits,_ZN7rocprim17ROCPRIM_400000_NS6detail17trampoline_kernelINS0_14default_configENS1_25transform_config_selectorIsLb1EEEZNS1_14transform_implILb1ES3_S5_PsS7_NS0_8identityIsEEEE10hipError_tT2_T3_mT4_P12ihipStream_tbEUlT_E_NS1_11comp_targetILNS1_3genE2ELNS1_11target_archE906ELNS1_3gpuE6ELNS1_3repE0EEENS1_30default_config_static_selectorELNS0_4arch9wavefront6targetE1EEEvT1_,comdat
	.protected	_ZN7rocprim17ROCPRIM_400000_NS6detail17trampoline_kernelINS0_14default_configENS1_25transform_config_selectorIsLb1EEEZNS1_14transform_implILb1ES3_S5_PsS7_NS0_8identityIsEEEE10hipError_tT2_T3_mT4_P12ihipStream_tbEUlT_E_NS1_11comp_targetILNS1_3genE2ELNS1_11target_archE906ELNS1_3gpuE6ELNS1_3repE0EEENS1_30default_config_static_selectorELNS0_4arch9wavefront6targetE1EEEvT1_ ; -- Begin function _ZN7rocprim17ROCPRIM_400000_NS6detail17trampoline_kernelINS0_14default_configENS1_25transform_config_selectorIsLb1EEEZNS1_14transform_implILb1ES3_S5_PsS7_NS0_8identityIsEEEE10hipError_tT2_T3_mT4_P12ihipStream_tbEUlT_E_NS1_11comp_targetILNS1_3genE2ELNS1_11target_archE906ELNS1_3gpuE6ELNS1_3repE0EEENS1_30default_config_static_selectorELNS0_4arch9wavefront6targetE1EEEvT1_
	.globl	_ZN7rocprim17ROCPRIM_400000_NS6detail17trampoline_kernelINS0_14default_configENS1_25transform_config_selectorIsLb1EEEZNS1_14transform_implILb1ES3_S5_PsS7_NS0_8identityIsEEEE10hipError_tT2_T3_mT4_P12ihipStream_tbEUlT_E_NS1_11comp_targetILNS1_3genE2ELNS1_11target_archE906ELNS1_3gpuE6ELNS1_3repE0EEENS1_30default_config_static_selectorELNS0_4arch9wavefront6targetE1EEEvT1_
	.p2align	8
	.type	_ZN7rocprim17ROCPRIM_400000_NS6detail17trampoline_kernelINS0_14default_configENS1_25transform_config_selectorIsLb1EEEZNS1_14transform_implILb1ES3_S5_PsS7_NS0_8identityIsEEEE10hipError_tT2_T3_mT4_P12ihipStream_tbEUlT_E_NS1_11comp_targetILNS1_3genE2ELNS1_11target_archE906ELNS1_3gpuE6ELNS1_3repE0EEENS1_30default_config_static_selectorELNS0_4arch9wavefront6targetE1EEEvT1_,@function
_ZN7rocprim17ROCPRIM_400000_NS6detail17trampoline_kernelINS0_14default_configENS1_25transform_config_selectorIsLb1EEEZNS1_14transform_implILb1ES3_S5_PsS7_NS0_8identityIsEEEE10hipError_tT2_T3_mT4_P12ihipStream_tbEUlT_E_NS1_11comp_targetILNS1_3genE2ELNS1_11target_archE906ELNS1_3gpuE6ELNS1_3repE0EEENS1_30default_config_static_selectorELNS0_4arch9wavefront6targetE1EEEvT1_: ; @_ZN7rocprim17ROCPRIM_400000_NS6detail17trampoline_kernelINS0_14default_configENS1_25transform_config_selectorIsLb1EEEZNS1_14transform_implILb1ES3_S5_PsS7_NS0_8identityIsEEEE10hipError_tT2_T3_mT4_P12ihipStream_tbEUlT_E_NS1_11comp_targetILNS1_3genE2ELNS1_11target_archE906ELNS1_3gpuE6ELNS1_3repE0EEENS1_30default_config_static_selectorELNS0_4arch9wavefront6targetE1EEEvT1_
; %bb.0:
	.section	.rodata,"a",@progbits
	.p2align	6, 0x0
	.amdhsa_kernel _ZN7rocprim17ROCPRIM_400000_NS6detail17trampoline_kernelINS0_14default_configENS1_25transform_config_selectorIsLb1EEEZNS1_14transform_implILb1ES3_S5_PsS7_NS0_8identityIsEEEE10hipError_tT2_T3_mT4_P12ihipStream_tbEUlT_E_NS1_11comp_targetILNS1_3genE2ELNS1_11target_archE906ELNS1_3gpuE6ELNS1_3repE0EEENS1_30default_config_static_selectorELNS0_4arch9wavefront6targetE1EEEvT1_
		.amdhsa_group_segment_fixed_size 0
		.amdhsa_private_segment_fixed_size 0
		.amdhsa_kernarg_size 40
		.amdhsa_user_sgpr_count 6
		.amdhsa_user_sgpr_private_segment_buffer 1
		.amdhsa_user_sgpr_dispatch_ptr 0
		.amdhsa_user_sgpr_queue_ptr 0
		.amdhsa_user_sgpr_kernarg_segment_ptr 1
		.amdhsa_user_sgpr_dispatch_id 0
		.amdhsa_user_sgpr_flat_scratch_init 0
		.amdhsa_user_sgpr_kernarg_preload_length 0
		.amdhsa_user_sgpr_kernarg_preload_offset 0
		.amdhsa_user_sgpr_private_segment_size 0
		.amdhsa_uses_dynamic_stack 0
		.amdhsa_system_sgpr_private_segment_wavefront_offset 0
		.amdhsa_system_sgpr_workgroup_id_x 1
		.amdhsa_system_sgpr_workgroup_id_y 0
		.amdhsa_system_sgpr_workgroup_id_z 0
		.amdhsa_system_sgpr_workgroup_info 0
		.amdhsa_system_vgpr_workitem_id 0
		.amdhsa_next_free_vgpr 1
		.amdhsa_next_free_sgpr 0
		.amdhsa_accum_offset 4
		.amdhsa_reserve_vcc 0
		.amdhsa_reserve_flat_scratch 0
		.amdhsa_float_round_mode_32 0
		.amdhsa_float_round_mode_16_64 0
		.amdhsa_float_denorm_mode_32 3
		.amdhsa_float_denorm_mode_16_64 3
		.amdhsa_dx10_clamp 1
		.amdhsa_ieee_mode 1
		.amdhsa_fp16_overflow 0
		.amdhsa_tg_split 0
		.amdhsa_exception_fp_ieee_invalid_op 0
		.amdhsa_exception_fp_denorm_src 0
		.amdhsa_exception_fp_ieee_div_zero 0
		.amdhsa_exception_fp_ieee_overflow 0
		.amdhsa_exception_fp_ieee_underflow 0
		.amdhsa_exception_fp_ieee_inexact 0
		.amdhsa_exception_int_div_zero 0
	.end_amdhsa_kernel
	.section	.text._ZN7rocprim17ROCPRIM_400000_NS6detail17trampoline_kernelINS0_14default_configENS1_25transform_config_selectorIsLb1EEEZNS1_14transform_implILb1ES3_S5_PsS7_NS0_8identityIsEEEE10hipError_tT2_T3_mT4_P12ihipStream_tbEUlT_E_NS1_11comp_targetILNS1_3genE2ELNS1_11target_archE906ELNS1_3gpuE6ELNS1_3repE0EEENS1_30default_config_static_selectorELNS0_4arch9wavefront6targetE1EEEvT1_,"axG",@progbits,_ZN7rocprim17ROCPRIM_400000_NS6detail17trampoline_kernelINS0_14default_configENS1_25transform_config_selectorIsLb1EEEZNS1_14transform_implILb1ES3_S5_PsS7_NS0_8identityIsEEEE10hipError_tT2_T3_mT4_P12ihipStream_tbEUlT_E_NS1_11comp_targetILNS1_3genE2ELNS1_11target_archE906ELNS1_3gpuE6ELNS1_3repE0EEENS1_30default_config_static_selectorELNS0_4arch9wavefront6targetE1EEEvT1_,comdat
.Lfunc_end1329:
	.size	_ZN7rocprim17ROCPRIM_400000_NS6detail17trampoline_kernelINS0_14default_configENS1_25transform_config_selectorIsLb1EEEZNS1_14transform_implILb1ES3_S5_PsS7_NS0_8identityIsEEEE10hipError_tT2_T3_mT4_P12ihipStream_tbEUlT_E_NS1_11comp_targetILNS1_3genE2ELNS1_11target_archE906ELNS1_3gpuE6ELNS1_3repE0EEENS1_30default_config_static_selectorELNS0_4arch9wavefront6targetE1EEEvT1_, .Lfunc_end1329-_ZN7rocprim17ROCPRIM_400000_NS6detail17trampoline_kernelINS0_14default_configENS1_25transform_config_selectorIsLb1EEEZNS1_14transform_implILb1ES3_S5_PsS7_NS0_8identityIsEEEE10hipError_tT2_T3_mT4_P12ihipStream_tbEUlT_E_NS1_11comp_targetILNS1_3genE2ELNS1_11target_archE906ELNS1_3gpuE6ELNS1_3repE0EEENS1_30default_config_static_selectorELNS0_4arch9wavefront6targetE1EEEvT1_
                                        ; -- End function
	.section	.AMDGPU.csdata,"",@progbits
; Kernel info:
; codeLenInByte = 0
; NumSgprs: 4
; NumVgprs: 0
; NumAgprs: 0
; TotalNumVgprs: 0
; ScratchSize: 0
; MemoryBound: 0
; FloatMode: 240
; IeeeMode: 1
; LDSByteSize: 0 bytes/workgroup (compile time only)
; SGPRBlocks: 0
; VGPRBlocks: 0
; NumSGPRsForWavesPerEU: 4
; NumVGPRsForWavesPerEU: 1
; AccumOffset: 4
; Occupancy: 8
; WaveLimiterHint : 0
; COMPUTE_PGM_RSRC2:SCRATCH_EN: 0
; COMPUTE_PGM_RSRC2:USER_SGPR: 6
; COMPUTE_PGM_RSRC2:TRAP_HANDLER: 0
; COMPUTE_PGM_RSRC2:TGID_X_EN: 1
; COMPUTE_PGM_RSRC2:TGID_Y_EN: 0
; COMPUTE_PGM_RSRC2:TGID_Z_EN: 0
; COMPUTE_PGM_RSRC2:TIDIG_COMP_CNT: 0
; COMPUTE_PGM_RSRC3_GFX90A:ACCUM_OFFSET: 0
; COMPUTE_PGM_RSRC3_GFX90A:TG_SPLIT: 0
	.section	.text._ZN7rocprim17ROCPRIM_400000_NS6detail17trampoline_kernelINS0_14default_configENS1_25transform_config_selectorIsLb1EEEZNS1_14transform_implILb1ES3_S5_PsS7_NS0_8identityIsEEEE10hipError_tT2_T3_mT4_P12ihipStream_tbEUlT_E_NS1_11comp_targetILNS1_3genE9ELNS1_11target_archE1100ELNS1_3gpuE3ELNS1_3repE0EEENS1_30default_config_static_selectorELNS0_4arch9wavefront6targetE1EEEvT1_,"axG",@progbits,_ZN7rocprim17ROCPRIM_400000_NS6detail17trampoline_kernelINS0_14default_configENS1_25transform_config_selectorIsLb1EEEZNS1_14transform_implILb1ES3_S5_PsS7_NS0_8identityIsEEEE10hipError_tT2_T3_mT4_P12ihipStream_tbEUlT_E_NS1_11comp_targetILNS1_3genE9ELNS1_11target_archE1100ELNS1_3gpuE3ELNS1_3repE0EEENS1_30default_config_static_selectorELNS0_4arch9wavefront6targetE1EEEvT1_,comdat
	.protected	_ZN7rocprim17ROCPRIM_400000_NS6detail17trampoline_kernelINS0_14default_configENS1_25transform_config_selectorIsLb1EEEZNS1_14transform_implILb1ES3_S5_PsS7_NS0_8identityIsEEEE10hipError_tT2_T3_mT4_P12ihipStream_tbEUlT_E_NS1_11comp_targetILNS1_3genE9ELNS1_11target_archE1100ELNS1_3gpuE3ELNS1_3repE0EEENS1_30default_config_static_selectorELNS0_4arch9wavefront6targetE1EEEvT1_ ; -- Begin function _ZN7rocprim17ROCPRIM_400000_NS6detail17trampoline_kernelINS0_14default_configENS1_25transform_config_selectorIsLb1EEEZNS1_14transform_implILb1ES3_S5_PsS7_NS0_8identityIsEEEE10hipError_tT2_T3_mT4_P12ihipStream_tbEUlT_E_NS1_11comp_targetILNS1_3genE9ELNS1_11target_archE1100ELNS1_3gpuE3ELNS1_3repE0EEENS1_30default_config_static_selectorELNS0_4arch9wavefront6targetE1EEEvT1_
	.globl	_ZN7rocprim17ROCPRIM_400000_NS6detail17trampoline_kernelINS0_14default_configENS1_25transform_config_selectorIsLb1EEEZNS1_14transform_implILb1ES3_S5_PsS7_NS0_8identityIsEEEE10hipError_tT2_T3_mT4_P12ihipStream_tbEUlT_E_NS1_11comp_targetILNS1_3genE9ELNS1_11target_archE1100ELNS1_3gpuE3ELNS1_3repE0EEENS1_30default_config_static_selectorELNS0_4arch9wavefront6targetE1EEEvT1_
	.p2align	8
	.type	_ZN7rocprim17ROCPRIM_400000_NS6detail17trampoline_kernelINS0_14default_configENS1_25transform_config_selectorIsLb1EEEZNS1_14transform_implILb1ES3_S5_PsS7_NS0_8identityIsEEEE10hipError_tT2_T3_mT4_P12ihipStream_tbEUlT_E_NS1_11comp_targetILNS1_3genE9ELNS1_11target_archE1100ELNS1_3gpuE3ELNS1_3repE0EEENS1_30default_config_static_selectorELNS0_4arch9wavefront6targetE1EEEvT1_,@function
_ZN7rocprim17ROCPRIM_400000_NS6detail17trampoline_kernelINS0_14default_configENS1_25transform_config_selectorIsLb1EEEZNS1_14transform_implILb1ES3_S5_PsS7_NS0_8identityIsEEEE10hipError_tT2_T3_mT4_P12ihipStream_tbEUlT_E_NS1_11comp_targetILNS1_3genE9ELNS1_11target_archE1100ELNS1_3gpuE3ELNS1_3repE0EEENS1_30default_config_static_selectorELNS0_4arch9wavefront6targetE1EEEvT1_: ; @_ZN7rocprim17ROCPRIM_400000_NS6detail17trampoline_kernelINS0_14default_configENS1_25transform_config_selectorIsLb1EEEZNS1_14transform_implILb1ES3_S5_PsS7_NS0_8identityIsEEEE10hipError_tT2_T3_mT4_P12ihipStream_tbEUlT_E_NS1_11comp_targetILNS1_3genE9ELNS1_11target_archE1100ELNS1_3gpuE3ELNS1_3repE0EEENS1_30default_config_static_selectorELNS0_4arch9wavefront6targetE1EEEvT1_
; %bb.0:
	.section	.rodata,"a",@progbits
	.p2align	6, 0x0
	.amdhsa_kernel _ZN7rocprim17ROCPRIM_400000_NS6detail17trampoline_kernelINS0_14default_configENS1_25transform_config_selectorIsLb1EEEZNS1_14transform_implILb1ES3_S5_PsS7_NS0_8identityIsEEEE10hipError_tT2_T3_mT4_P12ihipStream_tbEUlT_E_NS1_11comp_targetILNS1_3genE9ELNS1_11target_archE1100ELNS1_3gpuE3ELNS1_3repE0EEENS1_30default_config_static_selectorELNS0_4arch9wavefront6targetE1EEEvT1_
		.amdhsa_group_segment_fixed_size 0
		.amdhsa_private_segment_fixed_size 0
		.amdhsa_kernarg_size 40
		.amdhsa_user_sgpr_count 6
		.amdhsa_user_sgpr_private_segment_buffer 1
		.amdhsa_user_sgpr_dispatch_ptr 0
		.amdhsa_user_sgpr_queue_ptr 0
		.amdhsa_user_sgpr_kernarg_segment_ptr 1
		.amdhsa_user_sgpr_dispatch_id 0
		.amdhsa_user_sgpr_flat_scratch_init 0
		.amdhsa_user_sgpr_kernarg_preload_length 0
		.amdhsa_user_sgpr_kernarg_preload_offset 0
		.amdhsa_user_sgpr_private_segment_size 0
		.amdhsa_uses_dynamic_stack 0
		.amdhsa_system_sgpr_private_segment_wavefront_offset 0
		.amdhsa_system_sgpr_workgroup_id_x 1
		.amdhsa_system_sgpr_workgroup_id_y 0
		.amdhsa_system_sgpr_workgroup_id_z 0
		.amdhsa_system_sgpr_workgroup_info 0
		.amdhsa_system_vgpr_workitem_id 0
		.amdhsa_next_free_vgpr 1
		.amdhsa_next_free_sgpr 0
		.amdhsa_accum_offset 4
		.amdhsa_reserve_vcc 0
		.amdhsa_reserve_flat_scratch 0
		.amdhsa_float_round_mode_32 0
		.amdhsa_float_round_mode_16_64 0
		.amdhsa_float_denorm_mode_32 3
		.amdhsa_float_denorm_mode_16_64 3
		.amdhsa_dx10_clamp 1
		.amdhsa_ieee_mode 1
		.amdhsa_fp16_overflow 0
		.amdhsa_tg_split 0
		.amdhsa_exception_fp_ieee_invalid_op 0
		.amdhsa_exception_fp_denorm_src 0
		.amdhsa_exception_fp_ieee_div_zero 0
		.amdhsa_exception_fp_ieee_overflow 0
		.amdhsa_exception_fp_ieee_underflow 0
		.amdhsa_exception_fp_ieee_inexact 0
		.amdhsa_exception_int_div_zero 0
	.end_amdhsa_kernel
	.section	.text._ZN7rocprim17ROCPRIM_400000_NS6detail17trampoline_kernelINS0_14default_configENS1_25transform_config_selectorIsLb1EEEZNS1_14transform_implILb1ES3_S5_PsS7_NS0_8identityIsEEEE10hipError_tT2_T3_mT4_P12ihipStream_tbEUlT_E_NS1_11comp_targetILNS1_3genE9ELNS1_11target_archE1100ELNS1_3gpuE3ELNS1_3repE0EEENS1_30default_config_static_selectorELNS0_4arch9wavefront6targetE1EEEvT1_,"axG",@progbits,_ZN7rocprim17ROCPRIM_400000_NS6detail17trampoline_kernelINS0_14default_configENS1_25transform_config_selectorIsLb1EEEZNS1_14transform_implILb1ES3_S5_PsS7_NS0_8identityIsEEEE10hipError_tT2_T3_mT4_P12ihipStream_tbEUlT_E_NS1_11comp_targetILNS1_3genE9ELNS1_11target_archE1100ELNS1_3gpuE3ELNS1_3repE0EEENS1_30default_config_static_selectorELNS0_4arch9wavefront6targetE1EEEvT1_,comdat
.Lfunc_end1330:
	.size	_ZN7rocprim17ROCPRIM_400000_NS6detail17trampoline_kernelINS0_14default_configENS1_25transform_config_selectorIsLb1EEEZNS1_14transform_implILb1ES3_S5_PsS7_NS0_8identityIsEEEE10hipError_tT2_T3_mT4_P12ihipStream_tbEUlT_E_NS1_11comp_targetILNS1_3genE9ELNS1_11target_archE1100ELNS1_3gpuE3ELNS1_3repE0EEENS1_30default_config_static_selectorELNS0_4arch9wavefront6targetE1EEEvT1_, .Lfunc_end1330-_ZN7rocprim17ROCPRIM_400000_NS6detail17trampoline_kernelINS0_14default_configENS1_25transform_config_selectorIsLb1EEEZNS1_14transform_implILb1ES3_S5_PsS7_NS0_8identityIsEEEE10hipError_tT2_T3_mT4_P12ihipStream_tbEUlT_E_NS1_11comp_targetILNS1_3genE9ELNS1_11target_archE1100ELNS1_3gpuE3ELNS1_3repE0EEENS1_30default_config_static_selectorELNS0_4arch9wavefront6targetE1EEEvT1_
                                        ; -- End function
	.section	.AMDGPU.csdata,"",@progbits
; Kernel info:
; codeLenInByte = 0
; NumSgprs: 4
; NumVgprs: 0
; NumAgprs: 0
; TotalNumVgprs: 0
; ScratchSize: 0
; MemoryBound: 0
; FloatMode: 240
; IeeeMode: 1
; LDSByteSize: 0 bytes/workgroup (compile time only)
; SGPRBlocks: 0
; VGPRBlocks: 0
; NumSGPRsForWavesPerEU: 4
; NumVGPRsForWavesPerEU: 1
; AccumOffset: 4
; Occupancy: 8
; WaveLimiterHint : 0
; COMPUTE_PGM_RSRC2:SCRATCH_EN: 0
; COMPUTE_PGM_RSRC2:USER_SGPR: 6
; COMPUTE_PGM_RSRC2:TRAP_HANDLER: 0
; COMPUTE_PGM_RSRC2:TGID_X_EN: 1
; COMPUTE_PGM_RSRC2:TGID_Y_EN: 0
; COMPUTE_PGM_RSRC2:TGID_Z_EN: 0
; COMPUTE_PGM_RSRC2:TIDIG_COMP_CNT: 0
; COMPUTE_PGM_RSRC3_GFX90A:ACCUM_OFFSET: 0
; COMPUTE_PGM_RSRC3_GFX90A:TG_SPLIT: 0
	.section	.text._ZN7rocprim17ROCPRIM_400000_NS6detail17trampoline_kernelINS0_14default_configENS1_25transform_config_selectorIsLb1EEEZNS1_14transform_implILb1ES3_S5_PsS7_NS0_8identityIsEEEE10hipError_tT2_T3_mT4_P12ihipStream_tbEUlT_E_NS1_11comp_targetILNS1_3genE8ELNS1_11target_archE1030ELNS1_3gpuE2ELNS1_3repE0EEENS1_30default_config_static_selectorELNS0_4arch9wavefront6targetE1EEEvT1_,"axG",@progbits,_ZN7rocprim17ROCPRIM_400000_NS6detail17trampoline_kernelINS0_14default_configENS1_25transform_config_selectorIsLb1EEEZNS1_14transform_implILb1ES3_S5_PsS7_NS0_8identityIsEEEE10hipError_tT2_T3_mT4_P12ihipStream_tbEUlT_E_NS1_11comp_targetILNS1_3genE8ELNS1_11target_archE1030ELNS1_3gpuE2ELNS1_3repE0EEENS1_30default_config_static_selectorELNS0_4arch9wavefront6targetE1EEEvT1_,comdat
	.protected	_ZN7rocprim17ROCPRIM_400000_NS6detail17trampoline_kernelINS0_14default_configENS1_25transform_config_selectorIsLb1EEEZNS1_14transform_implILb1ES3_S5_PsS7_NS0_8identityIsEEEE10hipError_tT2_T3_mT4_P12ihipStream_tbEUlT_E_NS1_11comp_targetILNS1_3genE8ELNS1_11target_archE1030ELNS1_3gpuE2ELNS1_3repE0EEENS1_30default_config_static_selectorELNS0_4arch9wavefront6targetE1EEEvT1_ ; -- Begin function _ZN7rocprim17ROCPRIM_400000_NS6detail17trampoline_kernelINS0_14default_configENS1_25transform_config_selectorIsLb1EEEZNS1_14transform_implILb1ES3_S5_PsS7_NS0_8identityIsEEEE10hipError_tT2_T3_mT4_P12ihipStream_tbEUlT_E_NS1_11comp_targetILNS1_3genE8ELNS1_11target_archE1030ELNS1_3gpuE2ELNS1_3repE0EEENS1_30default_config_static_selectorELNS0_4arch9wavefront6targetE1EEEvT1_
	.globl	_ZN7rocprim17ROCPRIM_400000_NS6detail17trampoline_kernelINS0_14default_configENS1_25transform_config_selectorIsLb1EEEZNS1_14transform_implILb1ES3_S5_PsS7_NS0_8identityIsEEEE10hipError_tT2_T3_mT4_P12ihipStream_tbEUlT_E_NS1_11comp_targetILNS1_3genE8ELNS1_11target_archE1030ELNS1_3gpuE2ELNS1_3repE0EEENS1_30default_config_static_selectorELNS0_4arch9wavefront6targetE1EEEvT1_
	.p2align	8
	.type	_ZN7rocprim17ROCPRIM_400000_NS6detail17trampoline_kernelINS0_14default_configENS1_25transform_config_selectorIsLb1EEEZNS1_14transform_implILb1ES3_S5_PsS7_NS0_8identityIsEEEE10hipError_tT2_T3_mT4_P12ihipStream_tbEUlT_E_NS1_11comp_targetILNS1_3genE8ELNS1_11target_archE1030ELNS1_3gpuE2ELNS1_3repE0EEENS1_30default_config_static_selectorELNS0_4arch9wavefront6targetE1EEEvT1_,@function
_ZN7rocprim17ROCPRIM_400000_NS6detail17trampoline_kernelINS0_14default_configENS1_25transform_config_selectorIsLb1EEEZNS1_14transform_implILb1ES3_S5_PsS7_NS0_8identityIsEEEE10hipError_tT2_T3_mT4_P12ihipStream_tbEUlT_E_NS1_11comp_targetILNS1_3genE8ELNS1_11target_archE1030ELNS1_3gpuE2ELNS1_3repE0EEENS1_30default_config_static_selectorELNS0_4arch9wavefront6targetE1EEEvT1_: ; @_ZN7rocprim17ROCPRIM_400000_NS6detail17trampoline_kernelINS0_14default_configENS1_25transform_config_selectorIsLb1EEEZNS1_14transform_implILb1ES3_S5_PsS7_NS0_8identityIsEEEE10hipError_tT2_T3_mT4_P12ihipStream_tbEUlT_E_NS1_11comp_targetILNS1_3genE8ELNS1_11target_archE1030ELNS1_3gpuE2ELNS1_3repE0EEENS1_30default_config_static_selectorELNS0_4arch9wavefront6targetE1EEEvT1_
; %bb.0:
	.section	.rodata,"a",@progbits
	.p2align	6, 0x0
	.amdhsa_kernel _ZN7rocprim17ROCPRIM_400000_NS6detail17trampoline_kernelINS0_14default_configENS1_25transform_config_selectorIsLb1EEEZNS1_14transform_implILb1ES3_S5_PsS7_NS0_8identityIsEEEE10hipError_tT2_T3_mT4_P12ihipStream_tbEUlT_E_NS1_11comp_targetILNS1_3genE8ELNS1_11target_archE1030ELNS1_3gpuE2ELNS1_3repE0EEENS1_30default_config_static_selectorELNS0_4arch9wavefront6targetE1EEEvT1_
		.amdhsa_group_segment_fixed_size 0
		.amdhsa_private_segment_fixed_size 0
		.amdhsa_kernarg_size 40
		.amdhsa_user_sgpr_count 6
		.amdhsa_user_sgpr_private_segment_buffer 1
		.amdhsa_user_sgpr_dispatch_ptr 0
		.amdhsa_user_sgpr_queue_ptr 0
		.amdhsa_user_sgpr_kernarg_segment_ptr 1
		.amdhsa_user_sgpr_dispatch_id 0
		.amdhsa_user_sgpr_flat_scratch_init 0
		.amdhsa_user_sgpr_kernarg_preload_length 0
		.amdhsa_user_sgpr_kernarg_preload_offset 0
		.amdhsa_user_sgpr_private_segment_size 0
		.amdhsa_uses_dynamic_stack 0
		.amdhsa_system_sgpr_private_segment_wavefront_offset 0
		.amdhsa_system_sgpr_workgroup_id_x 1
		.amdhsa_system_sgpr_workgroup_id_y 0
		.amdhsa_system_sgpr_workgroup_id_z 0
		.amdhsa_system_sgpr_workgroup_info 0
		.amdhsa_system_vgpr_workitem_id 0
		.amdhsa_next_free_vgpr 1
		.amdhsa_next_free_sgpr 0
		.amdhsa_accum_offset 4
		.amdhsa_reserve_vcc 0
		.amdhsa_reserve_flat_scratch 0
		.amdhsa_float_round_mode_32 0
		.amdhsa_float_round_mode_16_64 0
		.amdhsa_float_denorm_mode_32 3
		.amdhsa_float_denorm_mode_16_64 3
		.amdhsa_dx10_clamp 1
		.amdhsa_ieee_mode 1
		.amdhsa_fp16_overflow 0
		.amdhsa_tg_split 0
		.amdhsa_exception_fp_ieee_invalid_op 0
		.amdhsa_exception_fp_denorm_src 0
		.amdhsa_exception_fp_ieee_div_zero 0
		.amdhsa_exception_fp_ieee_overflow 0
		.amdhsa_exception_fp_ieee_underflow 0
		.amdhsa_exception_fp_ieee_inexact 0
		.amdhsa_exception_int_div_zero 0
	.end_amdhsa_kernel
	.section	.text._ZN7rocprim17ROCPRIM_400000_NS6detail17trampoline_kernelINS0_14default_configENS1_25transform_config_selectorIsLb1EEEZNS1_14transform_implILb1ES3_S5_PsS7_NS0_8identityIsEEEE10hipError_tT2_T3_mT4_P12ihipStream_tbEUlT_E_NS1_11comp_targetILNS1_3genE8ELNS1_11target_archE1030ELNS1_3gpuE2ELNS1_3repE0EEENS1_30default_config_static_selectorELNS0_4arch9wavefront6targetE1EEEvT1_,"axG",@progbits,_ZN7rocprim17ROCPRIM_400000_NS6detail17trampoline_kernelINS0_14default_configENS1_25transform_config_selectorIsLb1EEEZNS1_14transform_implILb1ES3_S5_PsS7_NS0_8identityIsEEEE10hipError_tT2_T3_mT4_P12ihipStream_tbEUlT_E_NS1_11comp_targetILNS1_3genE8ELNS1_11target_archE1030ELNS1_3gpuE2ELNS1_3repE0EEENS1_30default_config_static_selectorELNS0_4arch9wavefront6targetE1EEEvT1_,comdat
.Lfunc_end1331:
	.size	_ZN7rocprim17ROCPRIM_400000_NS6detail17trampoline_kernelINS0_14default_configENS1_25transform_config_selectorIsLb1EEEZNS1_14transform_implILb1ES3_S5_PsS7_NS0_8identityIsEEEE10hipError_tT2_T3_mT4_P12ihipStream_tbEUlT_E_NS1_11comp_targetILNS1_3genE8ELNS1_11target_archE1030ELNS1_3gpuE2ELNS1_3repE0EEENS1_30default_config_static_selectorELNS0_4arch9wavefront6targetE1EEEvT1_, .Lfunc_end1331-_ZN7rocprim17ROCPRIM_400000_NS6detail17trampoline_kernelINS0_14default_configENS1_25transform_config_selectorIsLb1EEEZNS1_14transform_implILb1ES3_S5_PsS7_NS0_8identityIsEEEE10hipError_tT2_T3_mT4_P12ihipStream_tbEUlT_E_NS1_11comp_targetILNS1_3genE8ELNS1_11target_archE1030ELNS1_3gpuE2ELNS1_3repE0EEENS1_30default_config_static_selectorELNS0_4arch9wavefront6targetE1EEEvT1_
                                        ; -- End function
	.section	.AMDGPU.csdata,"",@progbits
; Kernel info:
; codeLenInByte = 0
; NumSgprs: 4
; NumVgprs: 0
; NumAgprs: 0
; TotalNumVgprs: 0
; ScratchSize: 0
; MemoryBound: 0
; FloatMode: 240
; IeeeMode: 1
; LDSByteSize: 0 bytes/workgroup (compile time only)
; SGPRBlocks: 0
; VGPRBlocks: 0
; NumSGPRsForWavesPerEU: 4
; NumVGPRsForWavesPerEU: 1
; AccumOffset: 4
; Occupancy: 8
; WaveLimiterHint : 0
; COMPUTE_PGM_RSRC2:SCRATCH_EN: 0
; COMPUTE_PGM_RSRC2:USER_SGPR: 6
; COMPUTE_PGM_RSRC2:TRAP_HANDLER: 0
; COMPUTE_PGM_RSRC2:TGID_X_EN: 1
; COMPUTE_PGM_RSRC2:TGID_Y_EN: 0
; COMPUTE_PGM_RSRC2:TGID_Z_EN: 0
; COMPUTE_PGM_RSRC2:TIDIG_COMP_CNT: 0
; COMPUTE_PGM_RSRC3_GFX90A:ACCUM_OFFSET: 0
; COMPUTE_PGM_RSRC3_GFX90A:TG_SPLIT: 0
	.section	.text._ZN7rocprim17ROCPRIM_400000_NS6detail17trampoline_kernelINS0_14default_configENS1_38merge_sort_block_merge_config_selectorIslEEZZNS1_27merge_sort_block_merge_implIS3_PsN6thrust23THRUST_200600_302600_NS10device_ptrIlEEjNS1_19radix_merge_compareILb0ELb1EsNS0_19identity_decomposerEEEEE10hipError_tT0_T1_T2_jT3_P12ihipStream_tbPNSt15iterator_traitsISG_E10value_typeEPNSM_ISH_E10value_typeEPSI_NS1_7vsmem_tEENKUlT_SG_SH_SI_E_clIS7_S7_PlSB_EESF_SV_SG_SH_SI_EUlSV_E_NS1_11comp_targetILNS1_3genE0ELNS1_11target_archE4294967295ELNS1_3gpuE0ELNS1_3repE0EEENS1_48merge_mergepath_partition_config_static_selectorELNS0_4arch9wavefront6targetE1EEEvSH_,"axG",@progbits,_ZN7rocprim17ROCPRIM_400000_NS6detail17trampoline_kernelINS0_14default_configENS1_38merge_sort_block_merge_config_selectorIslEEZZNS1_27merge_sort_block_merge_implIS3_PsN6thrust23THRUST_200600_302600_NS10device_ptrIlEEjNS1_19radix_merge_compareILb0ELb1EsNS0_19identity_decomposerEEEEE10hipError_tT0_T1_T2_jT3_P12ihipStream_tbPNSt15iterator_traitsISG_E10value_typeEPNSM_ISH_E10value_typeEPSI_NS1_7vsmem_tEENKUlT_SG_SH_SI_E_clIS7_S7_PlSB_EESF_SV_SG_SH_SI_EUlSV_E_NS1_11comp_targetILNS1_3genE0ELNS1_11target_archE4294967295ELNS1_3gpuE0ELNS1_3repE0EEENS1_48merge_mergepath_partition_config_static_selectorELNS0_4arch9wavefront6targetE1EEEvSH_,comdat
	.protected	_ZN7rocprim17ROCPRIM_400000_NS6detail17trampoline_kernelINS0_14default_configENS1_38merge_sort_block_merge_config_selectorIslEEZZNS1_27merge_sort_block_merge_implIS3_PsN6thrust23THRUST_200600_302600_NS10device_ptrIlEEjNS1_19radix_merge_compareILb0ELb1EsNS0_19identity_decomposerEEEEE10hipError_tT0_T1_T2_jT3_P12ihipStream_tbPNSt15iterator_traitsISG_E10value_typeEPNSM_ISH_E10value_typeEPSI_NS1_7vsmem_tEENKUlT_SG_SH_SI_E_clIS7_S7_PlSB_EESF_SV_SG_SH_SI_EUlSV_E_NS1_11comp_targetILNS1_3genE0ELNS1_11target_archE4294967295ELNS1_3gpuE0ELNS1_3repE0EEENS1_48merge_mergepath_partition_config_static_selectorELNS0_4arch9wavefront6targetE1EEEvSH_ ; -- Begin function _ZN7rocprim17ROCPRIM_400000_NS6detail17trampoline_kernelINS0_14default_configENS1_38merge_sort_block_merge_config_selectorIslEEZZNS1_27merge_sort_block_merge_implIS3_PsN6thrust23THRUST_200600_302600_NS10device_ptrIlEEjNS1_19radix_merge_compareILb0ELb1EsNS0_19identity_decomposerEEEEE10hipError_tT0_T1_T2_jT3_P12ihipStream_tbPNSt15iterator_traitsISG_E10value_typeEPNSM_ISH_E10value_typeEPSI_NS1_7vsmem_tEENKUlT_SG_SH_SI_E_clIS7_S7_PlSB_EESF_SV_SG_SH_SI_EUlSV_E_NS1_11comp_targetILNS1_3genE0ELNS1_11target_archE4294967295ELNS1_3gpuE0ELNS1_3repE0EEENS1_48merge_mergepath_partition_config_static_selectorELNS0_4arch9wavefront6targetE1EEEvSH_
	.globl	_ZN7rocprim17ROCPRIM_400000_NS6detail17trampoline_kernelINS0_14default_configENS1_38merge_sort_block_merge_config_selectorIslEEZZNS1_27merge_sort_block_merge_implIS3_PsN6thrust23THRUST_200600_302600_NS10device_ptrIlEEjNS1_19radix_merge_compareILb0ELb1EsNS0_19identity_decomposerEEEEE10hipError_tT0_T1_T2_jT3_P12ihipStream_tbPNSt15iterator_traitsISG_E10value_typeEPNSM_ISH_E10value_typeEPSI_NS1_7vsmem_tEENKUlT_SG_SH_SI_E_clIS7_S7_PlSB_EESF_SV_SG_SH_SI_EUlSV_E_NS1_11comp_targetILNS1_3genE0ELNS1_11target_archE4294967295ELNS1_3gpuE0ELNS1_3repE0EEENS1_48merge_mergepath_partition_config_static_selectorELNS0_4arch9wavefront6targetE1EEEvSH_
	.p2align	8
	.type	_ZN7rocprim17ROCPRIM_400000_NS6detail17trampoline_kernelINS0_14default_configENS1_38merge_sort_block_merge_config_selectorIslEEZZNS1_27merge_sort_block_merge_implIS3_PsN6thrust23THRUST_200600_302600_NS10device_ptrIlEEjNS1_19radix_merge_compareILb0ELb1EsNS0_19identity_decomposerEEEEE10hipError_tT0_T1_T2_jT3_P12ihipStream_tbPNSt15iterator_traitsISG_E10value_typeEPNSM_ISH_E10value_typeEPSI_NS1_7vsmem_tEENKUlT_SG_SH_SI_E_clIS7_S7_PlSB_EESF_SV_SG_SH_SI_EUlSV_E_NS1_11comp_targetILNS1_3genE0ELNS1_11target_archE4294967295ELNS1_3gpuE0ELNS1_3repE0EEENS1_48merge_mergepath_partition_config_static_selectorELNS0_4arch9wavefront6targetE1EEEvSH_,@function
_ZN7rocprim17ROCPRIM_400000_NS6detail17trampoline_kernelINS0_14default_configENS1_38merge_sort_block_merge_config_selectorIslEEZZNS1_27merge_sort_block_merge_implIS3_PsN6thrust23THRUST_200600_302600_NS10device_ptrIlEEjNS1_19radix_merge_compareILb0ELb1EsNS0_19identity_decomposerEEEEE10hipError_tT0_T1_T2_jT3_P12ihipStream_tbPNSt15iterator_traitsISG_E10value_typeEPNSM_ISH_E10value_typeEPSI_NS1_7vsmem_tEENKUlT_SG_SH_SI_E_clIS7_S7_PlSB_EESF_SV_SG_SH_SI_EUlSV_E_NS1_11comp_targetILNS1_3genE0ELNS1_11target_archE4294967295ELNS1_3gpuE0ELNS1_3repE0EEENS1_48merge_mergepath_partition_config_static_selectorELNS0_4arch9wavefront6targetE1EEEvSH_: ; @_ZN7rocprim17ROCPRIM_400000_NS6detail17trampoline_kernelINS0_14default_configENS1_38merge_sort_block_merge_config_selectorIslEEZZNS1_27merge_sort_block_merge_implIS3_PsN6thrust23THRUST_200600_302600_NS10device_ptrIlEEjNS1_19radix_merge_compareILb0ELb1EsNS0_19identity_decomposerEEEEE10hipError_tT0_T1_T2_jT3_P12ihipStream_tbPNSt15iterator_traitsISG_E10value_typeEPNSM_ISH_E10value_typeEPSI_NS1_7vsmem_tEENKUlT_SG_SH_SI_E_clIS7_S7_PlSB_EESF_SV_SG_SH_SI_EUlSV_E_NS1_11comp_targetILNS1_3genE0ELNS1_11target_archE4294967295ELNS1_3gpuE0ELNS1_3repE0EEENS1_48merge_mergepath_partition_config_static_selectorELNS0_4arch9wavefront6targetE1EEEvSH_
; %bb.0:
	.section	.rodata,"a",@progbits
	.p2align	6, 0x0
	.amdhsa_kernel _ZN7rocprim17ROCPRIM_400000_NS6detail17trampoline_kernelINS0_14default_configENS1_38merge_sort_block_merge_config_selectorIslEEZZNS1_27merge_sort_block_merge_implIS3_PsN6thrust23THRUST_200600_302600_NS10device_ptrIlEEjNS1_19radix_merge_compareILb0ELb1EsNS0_19identity_decomposerEEEEE10hipError_tT0_T1_T2_jT3_P12ihipStream_tbPNSt15iterator_traitsISG_E10value_typeEPNSM_ISH_E10value_typeEPSI_NS1_7vsmem_tEENKUlT_SG_SH_SI_E_clIS7_S7_PlSB_EESF_SV_SG_SH_SI_EUlSV_E_NS1_11comp_targetILNS1_3genE0ELNS1_11target_archE4294967295ELNS1_3gpuE0ELNS1_3repE0EEENS1_48merge_mergepath_partition_config_static_selectorELNS0_4arch9wavefront6targetE1EEEvSH_
		.amdhsa_group_segment_fixed_size 0
		.amdhsa_private_segment_fixed_size 0
		.amdhsa_kernarg_size 40
		.amdhsa_user_sgpr_count 6
		.amdhsa_user_sgpr_private_segment_buffer 1
		.amdhsa_user_sgpr_dispatch_ptr 0
		.amdhsa_user_sgpr_queue_ptr 0
		.amdhsa_user_sgpr_kernarg_segment_ptr 1
		.amdhsa_user_sgpr_dispatch_id 0
		.amdhsa_user_sgpr_flat_scratch_init 0
		.amdhsa_user_sgpr_kernarg_preload_length 0
		.amdhsa_user_sgpr_kernarg_preload_offset 0
		.amdhsa_user_sgpr_private_segment_size 0
		.amdhsa_uses_dynamic_stack 0
		.amdhsa_system_sgpr_private_segment_wavefront_offset 0
		.amdhsa_system_sgpr_workgroup_id_x 1
		.amdhsa_system_sgpr_workgroup_id_y 0
		.amdhsa_system_sgpr_workgroup_id_z 0
		.amdhsa_system_sgpr_workgroup_info 0
		.amdhsa_system_vgpr_workitem_id 0
		.amdhsa_next_free_vgpr 1
		.amdhsa_next_free_sgpr 0
		.amdhsa_accum_offset 4
		.amdhsa_reserve_vcc 0
		.amdhsa_reserve_flat_scratch 0
		.amdhsa_float_round_mode_32 0
		.amdhsa_float_round_mode_16_64 0
		.amdhsa_float_denorm_mode_32 3
		.amdhsa_float_denorm_mode_16_64 3
		.amdhsa_dx10_clamp 1
		.amdhsa_ieee_mode 1
		.amdhsa_fp16_overflow 0
		.amdhsa_tg_split 0
		.amdhsa_exception_fp_ieee_invalid_op 0
		.amdhsa_exception_fp_denorm_src 0
		.amdhsa_exception_fp_ieee_div_zero 0
		.amdhsa_exception_fp_ieee_overflow 0
		.amdhsa_exception_fp_ieee_underflow 0
		.amdhsa_exception_fp_ieee_inexact 0
		.amdhsa_exception_int_div_zero 0
	.end_amdhsa_kernel
	.section	.text._ZN7rocprim17ROCPRIM_400000_NS6detail17trampoline_kernelINS0_14default_configENS1_38merge_sort_block_merge_config_selectorIslEEZZNS1_27merge_sort_block_merge_implIS3_PsN6thrust23THRUST_200600_302600_NS10device_ptrIlEEjNS1_19radix_merge_compareILb0ELb1EsNS0_19identity_decomposerEEEEE10hipError_tT0_T1_T2_jT3_P12ihipStream_tbPNSt15iterator_traitsISG_E10value_typeEPNSM_ISH_E10value_typeEPSI_NS1_7vsmem_tEENKUlT_SG_SH_SI_E_clIS7_S7_PlSB_EESF_SV_SG_SH_SI_EUlSV_E_NS1_11comp_targetILNS1_3genE0ELNS1_11target_archE4294967295ELNS1_3gpuE0ELNS1_3repE0EEENS1_48merge_mergepath_partition_config_static_selectorELNS0_4arch9wavefront6targetE1EEEvSH_,"axG",@progbits,_ZN7rocprim17ROCPRIM_400000_NS6detail17trampoline_kernelINS0_14default_configENS1_38merge_sort_block_merge_config_selectorIslEEZZNS1_27merge_sort_block_merge_implIS3_PsN6thrust23THRUST_200600_302600_NS10device_ptrIlEEjNS1_19radix_merge_compareILb0ELb1EsNS0_19identity_decomposerEEEEE10hipError_tT0_T1_T2_jT3_P12ihipStream_tbPNSt15iterator_traitsISG_E10value_typeEPNSM_ISH_E10value_typeEPSI_NS1_7vsmem_tEENKUlT_SG_SH_SI_E_clIS7_S7_PlSB_EESF_SV_SG_SH_SI_EUlSV_E_NS1_11comp_targetILNS1_3genE0ELNS1_11target_archE4294967295ELNS1_3gpuE0ELNS1_3repE0EEENS1_48merge_mergepath_partition_config_static_selectorELNS0_4arch9wavefront6targetE1EEEvSH_,comdat
.Lfunc_end1332:
	.size	_ZN7rocprim17ROCPRIM_400000_NS6detail17trampoline_kernelINS0_14default_configENS1_38merge_sort_block_merge_config_selectorIslEEZZNS1_27merge_sort_block_merge_implIS3_PsN6thrust23THRUST_200600_302600_NS10device_ptrIlEEjNS1_19radix_merge_compareILb0ELb1EsNS0_19identity_decomposerEEEEE10hipError_tT0_T1_T2_jT3_P12ihipStream_tbPNSt15iterator_traitsISG_E10value_typeEPNSM_ISH_E10value_typeEPSI_NS1_7vsmem_tEENKUlT_SG_SH_SI_E_clIS7_S7_PlSB_EESF_SV_SG_SH_SI_EUlSV_E_NS1_11comp_targetILNS1_3genE0ELNS1_11target_archE4294967295ELNS1_3gpuE0ELNS1_3repE0EEENS1_48merge_mergepath_partition_config_static_selectorELNS0_4arch9wavefront6targetE1EEEvSH_, .Lfunc_end1332-_ZN7rocprim17ROCPRIM_400000_NS6detail17trampoline_kernelINS0_14default_configENS1_38merge_sort_block_merge_config_selectorIslEEZZNS1_27merge_sort_block_merge_implIS3_PsN6thrust23THRUST_200600_302600_NS10device_ptrIlEEjNS1_19radix_merge_compareILb0ELb1EsNS0_19identity_decomposerEEEEE10hipError_tT0_T1_T2_jT3_P12ihipStream_tbPNSt15iterator_traitsISG_E10value_typeEPNSM_ISH_E10value_typeEPSI_NS1_7vsmem_tEENKUlT_SG_SH_SI_E_clIS7_S7_PlSB_EESF_SV_SG_SH_SI_EUlSV_E_NS1_11comp_targetILNS1_3genE0ELNS1_11target_archE4294967295ELNS1_3gpuE0ELNS1_3repE0EEENS1_48merge_mergepath_partition_config_static_selectorELNS0_4arch9wavefront6targetE1EEEvSH_
                                        ; -- End function
	.section	.AMDGPU.csdata,"",@progbits
; Kernel info:
; codeLenInByte = 0
; NumSgprs: 4
; NumVgprs: 0
; NumAgprs: 0
; TotalNumVgprs: 0
; ScratchSize: 0
; MemoryBound: 0
; FloatMode: 240
; IeeeMode: 1
; LDSByteSize: 0 bytes/workgroup (compile time only)
; SGPRBlocks: 0
; VGPRBlocks: 0
; NumSGPRsForWavesPerEU: 4
; NumVGPRsForWavesPerEU: 1
; AccumOffset: 4
; Occupancy: 8
; WaveLimiterHint : 0
; COMPUTE_PGM_RSRC2:SCRATCH_EN: 0
; COMPUTE_PGM_RSRC2:USER_SGPR: 6
; COMPUTE_PGM_RSRC2:TRAP_HANDLER: 0
; COMPUTE_PGM_RSRC2:TGID_X_EN: 1
; COMPUTE_PGM_RSRC2:TGID_Y_EN: 0
; COMPUTE_PGM_RSRC2:TGID_Z_EN: 0
; COMPUTE_PGM_RSRC2:TIDIG_COMP_CNT: 0
; COMPUTE_PGM_RSRC3_GFX90A:ACCUM_OFFSET: 0
; COMPUTE_PGM_RSRC3_GFX90A:TG_SPLIT: 0
	.section	.text._ZN7rocprim17ROCPRIM_400000_NS6detail17trampoline_kernelINS0_14default_configENS1_38merge_sort_block_merge_config_selectorIslEEZZNS1_27merge_sort_block_merge_implIS3_PsN6thrust23THRUST_200600_302600_NS10device_ptrIlEEjNS1_19radix_merge_compareILb0ELb1EsNS0_19identity_decomposerEEEEE10hipError_tT0_T1_T2_jT3_P12ihipStream_tbPNSt15iterator_traitsISG_E10value_typeEPNSM_ISH_E10value_typeEPSI_NS1_7vsmem_tEENKUlT_SG_SH_SI_E_clIS7_S7_PlSB_EESF_SV_SG_SH_SI_EUlSV_E_NS1_11comp_targetILNS1_3genE10ELNS1_11target_archE1201ELNS1_3gpuE5ELNS1_3repE0EEENS1_48merge_mergepath_partition_config_static_selectorELNS0_4arch9wavefront6targetE1EEEvSH_,"axG",@progbits,_ZN7rocprim17ROCPRIM_400000_NS6detail17trampoline_kernelINS0_14default_configENS1_38merge_sort_block_merge_config_selectorIslEEZZNS1_27merge_sort_block_merge_implIS3_PsN6thrust23THRUST_200600_302600_NS10device_ptrIlEEjNS1_19radix_merge_compareILb0ELb1EsNS0_19identity_decomposerEEEEE10hipError_tT0_T1_T2_jT3_P12ihipStream_tbPNSt15iterator_traitsISG_E10value_typeEPNSM_ISH_E10value_typeEPSI_NS1_7vsmem_tEENKUlT_SG_SH_SI_E_clIS7_S7_PlSB_EESF_SV_SG_SH_SI_EUlSV_E_NS1_11comp_targetILNS1_3genE10ELNS1_11target_archE1201ELNS1_3gpuE5ELNS1_3repE0EEENS1_48merge_mergepath_partition_config_static_selectorELNS0_4arch9wavefront6targetE1EEEvSH_,comdat
	.protected	_ZN7rocprim17ROCPRIM_400000_NS6detail17trampoline_kernelINS0_14default_configENS1_38merge_sort_block_merge_config_selectorIslEEZZNS1_27merge_sort_block_merge_implIS3_PsN6thrust23THRUST_200600_302600_NS10device_ptrIlEEjNS1_19radix_merge_compareILb0ELb1EsNS0_19identity_decomposerEEEEE10hipError_tT0_T1_T2_jT3_P12ihipStream_tbPNSt15iterator_traitsISG_E10value_typeEPNSM_ISH_E10value_typeEPSI_NS1_7vsmem_tEENKUlT_SG_SH_SI_E_clIS7_S7_PlSB_EESF_SV_SG_SH_SI_EUlSV_E_NS1_11comp_targetILNS1_3genE10ELNS1_11target_archE1201ELNS1_3gpuE5ELNS1_3repE0EEENS1_48merge_mergepath_partition_config_static_selectorELNS0_4arch9wavefront6targetE1EEEvSH_ ; -- Begin function _ZN7rocprim17ROCPRIM_400000_NS6detail17trampoline_kernelINS0_14default_configENS1_38merge_sort_block_merge_config_selectorIslEEZZNS1_27merge_sort_block_merge_implIS3_PsN6thrust23THRUST_200600_302600_NS10device_ptrIlEEjNS1_19radix_merge_compareILb0ELb1EsNS0_19identity_decomposerEEEEE10hipError_tT0_T1_T2_jT3_P12ihipStream_tbPNSt15iterator_traitsISG_E10value_typeEPNSM_ISH_E10value_typeEPSI_NS1_7vsmem_tEENKUlT_SG_SH_SI_E_clIS7_S7_PlSB_EESF_SV_SG_SH_SI_EUlSV_E_NS1_11comp_targetILNS1_3genE10ELNS1_11target_archE1201ELNS1_3gpuE5ELNS1_3repE0EEENS1_48merge_mergepath_partition_config_static_selectorELNS0_4arch9wavefront6targetE1EEEvSH_
	.globl	_ZN7rocprim17ROCPRIM_400000_NS6detail17trampoline_kernelINS0_14default_configENS1_38merge_sort_block_merge_config_selectorIslEEZZNS1_27merge_sort_block_merge_implIS3_PsN6thrust23THRUST_200600_302600_NS10device_ptrIlEEjNS1_19radix_merge_compareILb0ELb1EsNS0_19identity_decomposerEEEEE10hipError_tT0_T1_T2_jT3_P12ihipStream_tbPNSt15iterator_traitsISG_E10value_typeEPNSM_ISH_E10value_typeEPSI_NS1_7vsmem_tEENKUlT_SG_SH_SI_E_clIS7_S7_PlSB_EESF_SV_SG_SH_SI_EUlSV_E_NS1_11comp_targetILNS1_3genE10ELNS1_11target_archE1201ELNS1_3gpuE5ELNS1_3repE0EEENS1_48merge_mergepath_partition_config_static_selectorELNS0_4arch9wavefront6targetE1EEEvSH_
	.p2align	8
	.type	_ZN7rocprim17ROCPRIM_400000_NS6detail17trampoline_kernelINS0_14default_configENS1_38merge_sort_block_merge_config_selectorIslEEZZNS1_27merge_sort_block_merge_implIS3_PsN6thrust23THRUST_200600_302600_NS10device_ptrIlEEjNS1_19radix_merge_compareILb0ELb1EsNS0_19identity_decomposerEEEEE10hipError_tT0_T1_T2_jT3_P12ihipStream_tbPNSt15iterator_traitsISG_E10value_typeEPNSM_ISH_E10value_typeEPSI_NS1_7vsmem_tEENKUlT_SG_SH_SI_E_clIS7_S7_PlSB_EESF_SV_SG_SH_SI_EUlSV_E_NS1_11comp_targetILNS1_3genE10ELNS1_11target_archE1201ELNS1_3gpuE5ELNS1_3repE0EEENS1_48merge_mergepath_partition_config_static_selectorELNS0_4arch9wavefront6targetE1EEEvSH_,@function
_ZN7rocprim17ROCPRIM_400000_NS6detail17trampoline_kernelINS0_14default_configENS1_38merge_sort_block_merge_config_selectorIslEEZZNS1_27merge_sort_block_merge_implIS3_PsN6thrust23THRUST_200600_302600_NS10device_ptrIlEEjNS1_19radix_merge_compareILb0ELb1EsNS0_19identity_decomposerEEEEE10hipError_tT0_T1_T2_jT3_P12ihipStream_tbPNSt15iterator_traitsISG_E10value_typeEPNSM_ISH_E10value_typeEPSI_NS1_7vsmem_tEENKUlT_SG_SH_SI_E_clIS7_S7_PlSB_EESF_SV_SG_SH_SI_EUlSV_E_NS1_11comp_targetILNS1_3genE10ELNS1_11target_archE1201ELNS1_3gpuE5ELNS1_3repE0EEENS1_48merge_mergepath_partition_config_static_selectorELNS0_4arch9wavefront6targetE1EEEvSH_: ; @_ZN7rocprim17ROCPRIM_400000_NS6detail17trampoline_kernelINS0_14default_configENS1_38merge_sort_block_merge_config_selectorIslEEZZNS1_27merge_sort_block_merge_implIS3_PsN6thrust23THRUST_200600_302600_NS10device_ptrIlEEjNS1_19radix_merge_compareILb0ELb1EsNS0_19identity_decomposerEEEEE10hipError_tT0_T1_T2_jT3_P12ihipStream_tbPNSt15iterator_traitsISG_E10value_typeEPNSM_ISH_E10value_typeEPSI_NS1_7vsmem_tEENKUlT_SG_SH_SI_E_clIS7_S7_PlSB_EESF_SV_SG_SH_SI_EUlSV_E_NS1_11comp_targetILNS1_3genE10ELNS1_11target_archE1201ELNS1_3gpuE5ELNS1_3repE0EEENS1_48merge_mergepath_partition_config_static_selectorELNS0_4arch9wavefront6targetE1EEEvSH_
; %bb.0:
	.section	.rodata,"a",@progbits
	.p2align	6, 0x0
	.amdhsa_kernel _ZN7rocprim17ROCPRIM_400000_NS6detail17trampoline_kernelINS0_14default_configENS1_38merge_sort_block_merge_config_selectorIslEEZZNS1_27merge_sort_block_merge_implIS3_PsN6thrust23THRUST_200600_302600_NS10device_ptrIlEEjNS1_19radix_merge_compareILb0ELb1EsNS0_19identity_decomposerEEEEE10hipError_tT0_T1_T2_jT3_P12ihipStream_tbPNSt15iterator_traitsISG_E10value_typeEPNSM_ISH_E10value_typeEPSI_NS1_7vsmem_tEENKUlT_SG_SH_SI_E_clIS7_S7_PlSB_EESF_SV_SG_SH_SI_EUlSV_E_NS1_11comp_targetILNS1_3genE10ELNS1_11target_archE1201ELNS1_3gpuE5ELNS1_3repE0EEENS1_48merge_mergepath_partition_config_static_selectorELNS0_4arch9wavefront6targetE1EEEvSH_
		.amdhsa_group_segment_fixed_size 0
		.amdhsa_private_segment_fixed_size 0
		.amdhsa_kernarg_size 40
		.amdhsa_user_sgpr_count 6
		.amdhsa_user_sgpr_private_segment_buffer 1
		.amdhsa_user_sgpr_dispatch_ptr 0
		.amdhsa_user_sgpr_queue_ptr 0
		.amdhsa_user_sgpr_kernarg_segment_ptr 1
		.amdhsa_user_sgpr_dispatch_id 0
		.amdhsa_user_sgpr_flat_scratch_init 0
		.amdhsa_user_sgpr_kernarg_preload_length 0
		.amdhsa_user_sgpr_kernarg_preload_offset 0
		.amdhsa_user_sgpr_private_segment_size 0
		.amdhsa_uses_dynamic_stack 0
		.amdhsa_system_sgpr_private_segment_wavefront_offset 0
		.amdhsa_system_sgpr_workgroup_id_x 1
		.amdhsa_system_sgpr_workgroup_id_y 0
		.amdhsa_system_sgpr_workgroup_id_z 0
		.amdhsa_system_sgpr_workgroup_info 0
		.amdhsa_system_vgpr_workitem_id 0
		.amdhsa_next_free_vgpr 1
		.amdhsa_next_free_sgpr 0
		.amdhsa_accum_offset 4
		.amdhsa_reserve_vcc 0
		.amdhsa_reserve_flat_scratch 0
		.amdhsa_float_round_mode_32 0
		.amdhsa_float_round_mode_16_64 0
		.amdhsa_float_denorm_mode_32 3
		.amdhsa_float_denorm_mode_16_64 3
		.amdhsa_dx10_clamp 1
		.amdhsa_ieee_mode 1
		.amdhsa_fp16_overflow 0
		.amdhsa_tg_split 0
		.amdhsa_exception_fp_ieee_invalid_op 0
		.amdhsa_exception_fp_denorm_src 0
		.amdhsa_exception_fp_ieee_div_zero 0
		.amdhsa_exception_fp_ieee_overflow 0
		.amdhsa_exception_fp_ieee_underflow 0
		.amdhsa_exception_fp_ieee_inexact 0
		.amdhsa_exception_int_div_zero 0
	.end_amdhsa_kernel
	.section	.text._ZN7rocprim17ROCPRIM_400000_NS6detail17trampoline_kernelINS0_14default_configENS1_38merge_sort_block_merge_config_selectorIslEEZZNS1_27merge_sort_block_merge_implIS3_PsN6thrust23THRUST_200600_302600_NS10device_ptrIlEEjNS1_19radix_merge_compareILb0ELb1EsNS0_19identity_decomposerEEEEE10hipError_tT0_T1_T2_jT3_P12ihipStream_tbPNSt15iterator_traitsISG_E10value_typeEPNSM_ISH_E10value_typeEPSI_NS1_7vsmem_tEENKUlT_SG_SH_SI_E_clIS7_S7_PlSB_EESF_SV_SG_SH_SI_EUlSV_E_NS1_11comp_targetILNS1_3genE10ELNS1_11target_archE1201ELNS1_3gpuE5ELNS1_3repE0EEENS1_48merge_mergepath_partition_config_static_selectorELNS0_4arch9wavefront6targetE1EEEvSH_,"axG",@progbits,_ZN7rocprim17ROCPRIM_400000_NS6detail17trampoline_kernelINS0_14default_configENS1_38merge_sort_block_merge_config_selectorIslEEZZNS1_27merge_sort_block_merge_implIS3_PsN6thrust23THRUST_200600_302600_NS10device_ptrIlEEjNS1_19radix_merge_compareILb0ELb1EsNS0_19identity_decomposerEEEEE10hipError_tT0_T1_T2_jT3_P12ihipStream_tbPNSt15iterator_traitsISG_E10value_typeEPNSM_ISH_E10value_typeEPSI_NS1_7vsmem_tEENKUlT_SG_SH_SI_E_clIS7_S7_PlSB_EESF_SV_SG_SH_SI_EUlSV_E_NS1_11comp_targetILNS1_3genE10ELNS1_11target_archE1201ELNS1_3gpuE5ELNS1_3repE0EEENS1_48merge_mergepath_partition_config_static_selectorELNS0_4arch9wavefront6targetE1EEEvSH_,comdat
.Lfunc_end1333:
	.size	_ZN7rocprim17ROCPRIM_400000_NS6detail17trampoline_kernelINS0_14default_configENS1_38merge_sort_block_merge_config_selectorIslEEZZNS1_27merge_sort_block_merge_implIS3_PsN6thrust23THRUST_200600_302600_NS10device_ptrIlEEjNS1_19radix_merge_compareILb0ELb1EsNS0_19identity_decomposerEEEEE10hipError_tT0_T1_T2_jT3_P12ihipStream_tbPNSt15iterator_traitsISG_E10value_typeEPNSM_ISH_E10value_typeEPSI_NS1_7vsmem_tEENKUlT_SG_SH_SI_E_clIS7_S7_PlSB_EESF_SV_SG_SH_SI_EUlSV_E_NS1_11comp_targetILNS1_3genE10ELNS1_11target_archE1201ELNS1_3gpuE5ELNS1_3repE0EEENS1_48merge_mergepath_partition_config_static_selectorELNS0_4arch9wavefront6targetE1EEEvSH_, .Lfunc_end1333-_ZN7rocprim17ROCPRIM_400000_NS6detail17trampoline_kernelINS0_14default_configENS1_38merge_sort_block_merge_config_selectorIslEEZZNS1_27merge_sort_block_merge_implIS3_PsN6thrust23THRUST_200600_302600_NS10device_ptrIlEEjNS1_19radix_merge_compareILb0ELb1EsNS0_19identity_decomposerEEEEE10hipError_tT0_T1_T2_jT3_P12ihipStream_tbPNSt15iterator_traitsISG_E10value_typeEPNSM_ISH_E10value_typeEPSI_NS1_7vsmem_tEENKUlT_SG_SH_SI_E_clIS7_S7_PlSB_EESF_SV_SG_SH_SI_EUlSV_E_NS1_11comp_targetILNS1_3genE10ELNS1_11target_archE1201ELNS1_3gpuE5ELNS1_3repE0EEENS1_48merge_mergepath_partition_config_static_selectorELNS0_4arch9wavefront6targetE1EEEvSH_
                                        ; -- End function
	.section	.AMDGPU.csdata,"",@progbits
; Kernel info:
; codeLenInByte = 0
; NumSgprs: 4
; NumVgprs: 0
; NumAgprs: 0
; TotalNumVgprs: 0
; ScratchSize: 0
; MemoryBound: 0
; FloatMode: 240
; IeeeMode: 1
; LDSByteSize: 0 bytes/workgroup (compile time only)
; SGPRBlocks: 0
; VGPRBlocks: 0
; NumSGPRsForWavesPerEU: 4
; NumVGPRsForWavesPerEU: 1
; AccumOffset: 4
; Occupancy: 8
; WaveLimiterHint : 0
; COMPUTE_PGM_RSRC2:SCRATCH_EN: 0
; COMPUTE_PGM_RSRC2:USER_SGPR: 6
; COMPUTE_PGM_RSRC2:TRAP_HANDLER: 0
; COMPUTE_PGM_RSRC2:TGID_X_EN: 1
; COMPUTE_PGM_RSRC2:TGID_Y_EN: 0
; COMPUTE_PGM_RSRC2:TGID_Z_EN: 0
; COMPUTE_PGM_RSRC2:TIDIG_COMP_CNT: 0
; COMPUTE_PGM_RSRC3_GFX90A:ACCUM_OFFSET: 0
; COMPUTE_PGM_RSRC3_GFX90A:TG_SPLIT: 0
	.section	.text._ZN7rocprim17ROCPRIM_400000_NS6detail17trampoline_kernelINS0_14default_configENS1_38merge_sort_block_merge_config_selectorIslEEZZNS1_27merge_sort_block_merge_implIS3_PsN6thrust23THRUST_200600_302600_NS10device_ptrIlEEjNS1_19radix_merge_compareILb0ELb1EsNS0_19identity_decomposerEEEEE10hipError_tT0_T1_T2_jT3_P12ihipStream_tbPNSt15iterator_traitsISG_E10value_typeEPNSM_ISH_E10value_typeEPSI_NS1_7vsmem_tEENKUlT_SG_SH_SI_E_clIS7_S7_PlSB_EESF_SV_SG_SH_SI_EUlSV_E_NS1_11comp_targetILNS1_3genE5ELNS1_11target_archE942ELNS1_3gpuE9ELNS1_3repE0EEENS1_48merge_mergepath_partition_config_static_selectorELNS0_4arch9wavefront6targetE1EEEvSH_,"axG",@progbits,_ZN7rocprim17ROCPRIM_400000_NS6detail17trampoline_kernelINS0_14default_configENS1_38merge_sort_block_merge_config_selectorIslEEZZNS1_27merge_sort_block_merge_implIS3_PsN6thrust23THRUST_200600_302600_NS10device_ptrIlEEjNS1_19radix_merge_compareILb0ELb1EsNS0_19identity_decomposerEEEEE10hipError_tT0_T1_T2_jT3_P12ihipStream_tbPNSt15iterator_traitsISG_E10value_typeEPNSM_ISH_E10value_typeEPSI_NS1_7vsmem_tEENKUlT_SG_SH_SI_E_clIS7_S7_PlSB_EESF_SV_SG_SH_SI_EUlSV_E_NS1_11comp_targetILNS1_3genE5ELNS1_11target_archE942ELNS1_3gpuE9ELNS1_3repE0EEENS1_48merge_mergepath_partition_config_static_selectorELNS0_4arch9wavefront6targetE1EEEvSH_,comdat
	.protected	_ZN7rocprim17ROCPRIM_400000_NS6detail17trampoline_kernelINS0_14default_configENS1_38merge_sort_block_merge_config_selectorIslEEZZNS1_27merge_sort_block_merge_implIS3_PsN6thrust23THRUST_200600_302600_NS10device_ptrIlEEjNS1_19radix_merge_compareILb0ELb1EsNS0_19identity_decomposerEEEEE10hipError_tT0_T1_T2_jT3_P12ihipStream_tbPNSt15iterator_traitsISG_E10value_typeEPNSM_ISH_E10value_typeEPSI_NS1_7vsmem_tEENKUlT_SG_SH_SI_E_clIS7_S7_PlSB_EESF_SV_SG_SH_SI_EUlSV_E_NS1_11comp_targetILNS1_3genE5ELNS1_11target_archE942ELNS1_3gpuE9ELNS1_3repE0EEENS1_48merge_mergepath_partition_config_static_selectorELNS0_4arch9wavefront6targetE1EEEvSH_ ; -- Begin function _ZN7rocprim17ROCPRIM_400000_NS6detail17trampoline_kernelINS0_14default_configENS1_38merge_sort_block_merge_config_selectorIslEEZZNS1_27merge_sort_block_merge_implIS3_PsN6thrust23THRUST_200600_302600_NS10device_ptrIlEEjNS1_19radix_merge_compareILb0ELb1EsNS0_19identity_decomposerEEEEE10hipError_tT0_T1_T2_jT3_P12ihipStream_tbPNSt15iterator_traitsISG_E10value_typeEPNSM_ISH_E10value_typeEPSI_NS1_7vsmem_tEENKUlT_SG_SH_SI_E_clIS7_S7_PlSB_EESF_SV_SG_SH_SI_EUlSV_E_NS1_11comp_targetILNS1_3genE5ELNS1_11target_archE942ELNS1_3gpuE9ELNS1_3repE0EEENS1_48merge_mergepath_partition_config_static_selectorELNS0_4arch9wavefront6targetE1EEEvSH_
	.globl	_ZN7rocprim17ROCPRIM_400000_NS6detail17trampoline_kernelINS0_14default_configENS1_38merge_sort_block_merge_config_selectorIslEEZZNS1_27merge_sort_block_merge_implIS3_PsN6thrust23THRUST_200600_302600_NS10device_ptrIlEEjNS1_19radix_merge_compareILb0ELb1EsNS0_19identity_decomposerEEEEE10hipError_tT0_T1_T2_jT3_P12ihipStream_tbPNSt15iterator_traitsISG_E10value_typeEPNSM_ISH_E10value_typeEPSI_NS1_7vsmem_tEENKUlT_SG_SH_SI_E_clIS7_S7_PlSB_EESF_SV_SG_SH_SI_EUlSV_E_NS1_11comp_targetILNS1_3genE5ELNS1_11target_archE942ELNS1_3gpuE9ELNS1_3repE0EEENS1_48merge_mergepath_partition_config_static_selectorELNS0_4arch9wavefront6targetE1EEEvSH_
	.p2align	8
	.type	_ZN7rocprim17ROCPRIM_400000_NS6detail17trampoline_kernelINS0_14default_configENS1_38merge_sort_block_merge_config_selectorIslEEZZNS1_27merge_sort_block_merge_implIS3_PsN6thrust23THRUST_200600_302600_NS10device_ptrIlEEjNS1_19radix_merge_compareILb0ELb1EsNS0_19identity_decomposerEEEEE10hipError_tT0_T1_T2_jT3_P12ihipStream_tbPNSt15iterator_traitsISG_E10value_typeEPNSM_ISH_E10value_typeEPSI_NS1_7vsmem_tEENKUlT_SG_SH_SI_E_clIS7_S7_PlSB_EESF_SV_SG_SH_SI_EUlSV_E_NS1_11comp_targetILNS1_3genE5ELNS1_11target_archE942ELNS1_3gpuE9ELNS1_3repE0EEENS1_48merge_mergepath_partition_config_static_selectorELNS0_4arch9wavefront6targetE1EEEvSH_,@function
_ZN7rocprim17ROCPRIM_400000_NS6detail17trampoline_kernelINS0_14default_configENS1_38merge_sort_block_merge_config_selectorIslEEZZNS1_27merge_sort_block_merge_implIS3_PsN6thrust23THRUST_200600_302600_NS10device_ptrIlEEjNS1_19radix_merge_compareILb0ELb1EsNS0_19identity_decomposerEEEEE10hipError_tT0_T1_T2_jT3_P12ihipStream_tbPNSt15iterator_traitsISG_E10value_typeEPNSM_ISH_E10value_typeEPSI_NS1_7vsmem_tEENKUlT_SG_SH_SI_E_clIS7_S7_PlSB_EESF_SV_SG_SH_SI_EUlSV_E_NS1_11comp_targetILNS1_3genE5ELNS1_11target_archE942ELNS1_3gpuE9ELNS1_3repE0EEENS1_48merge_mergepath_partition_config_static_selectorELNS0_4arch9wavefront6targetE1EEEvSH_: ; @_ZN7rocprim17ROCPRIM_400000_NS6detail17trampoline_kernelINS0_14default_configENS1_38merge_sort_block_merge_config_selectorIslEEZZNS1_27merge_sort_block_merge_implIS3_PsN6thrust23THRUST_200600_302600_NS10device_ptrIlEEjNS1_19radix_merge_compareILb0ELb1EsNS0_19identity_decomposerEEEEE10hipError_tT0_T1_T2_jT3_P12ihipStream_tbPNSt15iterator_traitsISG_E10value_typeEPNSM_ISH_E10value_typeEPSI_NS1_7vsmem_tEENKUlT_SG_SH_SI_E_clIS7_S7_PlSB_EESF_SV_SG_SH_SI_EUlSV_E_NS1_11comp_targetILNS1_3genE5ELNS1_11target_archE942ELNS1_3gpuE9ELNS1_3repE0EEENS1_48merge_mergepath_partition_config_static_selectorELNS0_4arch9wavefront6targetE1EEEvSH_
; %bb.0:
	.section	.rodata,"a",@progbits
	.p2align	6, 0x0
	.amdhsa_kernel _ZN7rocprim17ROCPRIM_400000_NS6detail17trampoline_kernelINS0_14default_configENS1_38merge_sort_block_merge_config_selectorIslEEZZNS1_27merge_sort_block_merge_implIS3_PsN6thrust23THRUST_200600_302600_NS10device_ptrIlEEjNS1_19radix_merge_compareILb0ELb1EsNS0_19identity_decomposerEEEEE10hipError_tT0_T1_T2_jT3_P12ihipStream_tbPNSt15iterator_traitsISG_E10value_typeEPNSM_ISH_E10value_typeEPSI_NS1_7vsmem_tEENKUlT_SG_SH_SI_E_clIS7_S7_PlSB_EESF_SV_SG_SH_SI_EUlSV_E_NS1_11comp_targetILNS1_3genE5ELNS1_11target_archE942ELNS1_3gpuE9ELNS1_3repE0EEENS1_48merge_mergepath_partition_config_static_selectorELNS0_4arch9wavefront6targetE1EEEvSH_
		.amdhsa_group_segment_fixed_size 0
		.amdhsa_private_segment_fixed_size 0
		.amdhsa_kernarg_size 40
		.amdhsa_user_sgpr_count 6
		.amdhsa_user_sgpr_private_segment_buffer 1
		.amdhsa_user_sgpr_dispatch_ptr 0
		.amdhsa_user_sgpr_queue_ptr 0
		.amdhsa_user_sgpr_kernarg_segment_ptr 1
		.amdhsa_user_sgpr_dispatch_id 0
		.amdhsa_user_sgpr_flat_scratch_init 0
		.amdhsa_user_sgpr_kernarg_preload_length 0
		.amdhsa_user_sgpr_kernarg_preload_offset 0
		.amdhsa_user_sgpr_private_segment_size 0
		.amdhsa_uses_dynamic_stack 0
		.amdhsa_system_sgpr_private_segment_wavefront_offset 0
		.amdhsa_system_sgpr_workgroup_id_x 1
		.amdhsa_system_sgpr_workgroup_id_y 0
		.amdhsa_system_sgpr_workgroup_id_z 0
		.amdhsa_system_sgpr_workgroup_info 0
		.amdhsa_system_vgpr_workitem_id 0
		.amdhsa_next_free_vgpr 1
		.amdhsa_next_free_sgpr 0
		.amdhsa_accum_offset 4
		.amdhsa_reserve_vcc 0
		.amdhsa_reserve_flat_scratch 0
		.amdhsa_float_round_mode_32 0
		.amdhsa_float_round_mode_16_64 0
		.amdhsa_float_denorm_mode_32 3
		.amdhsa_float_denorm_mode_16_64 3
		.amdhsa_dx10_clamp 1
		.amdhsa_ieee_mode 1
		.amdhsa_fp16_overflow 0
		.amdhsa_tg_split 0
		.amdhsa_exception_fp_ieee_invalid_op 0
		.amdhsa_exception_fp_denorm_src 0
		.amdhsa_exception_fp_ieee_div_zero 0
		.amdhsa_exception_fp_ieee_overflow 0
		.amdhsa_exception_fp_ieee_underflow 0
		.amdhsa_exception_fp_ieee_inexact 0
		.amdhsa_exception_int_div_zero 0
	.end_amdhsa_kernel
	.section	.text._ZN7rocprim17ROCPRIM_400000_NS6detail17trampoline_kernelINS0_14default_configENS1_38merge_sort_block_merge_config_selectorIslEEZZNS1_27merge_sort_block_merge_implIS3_PsN6thrust23THRUST_200600_302600_NS10device_ptrIlEEjNS1_19radix_merge_compareILb0ELb1EsNS0_19identity_decomposerEEEEE10hipError_tT0_T1_T2_jT3_P12ihipStream_tbPNSt15iterator_traitsISG_E10value_typeEPNSM_ISH_E10value_typeEPSI_NS1_7vsmem_tEENKUlT_SG_SH_SI_E_clIS7_S7_PlSB_EESF_SV_SG_SH_SI_EUlSV_E_NS1_11comp_targetILNS1_3genE5ELNS1_11target_archE942ELNS1_3gpuE9ELNS1_3repE0EEENS1_48merge_mergepath_partition_config_static_selectorELNS0_4arch9wavefront6targetE1EEEvSH_,"axG",@progbits,_ZN7rocprim17ROCPRIM_400000_NS6detail17trampoline_kernelINS0_14default_configENS1_38merge_sort_block_merge_config_selectorIslEEZZNS1_27merge_sort_block_merge_implIS3_PsN6thrust23THRUST_200600_302600_NS10device_ptrIlEEjNS1_19radix_merge_compareILb0ELb1EsNS0_19identity_decomposerEEEEE10hipError_tT0_T1_T2_jT3_P12ihipStream_tbPNSt15iterator_traitsISG_E10value_typeEPNSM_ISH_E10value_typeEPSI_NS1_7vsmem_tEENKUlT_SG_SH_SI_E_clIS7_S7_PlSB_EESF_SV_SG_SH_SI_EUlSV_E_NS1_11comp_targetILNS1_3genE5ELNS1_11target_archE942ELNS1_3gpuE9ELNS1_3repE0EEENS1_48merge_mergepath_partition_config_static_selectorELNS0_4arch9wavefront6targetE1EEEvSH_,comdat
.Lfunc_end1334:
	.size	_ZN7rocprim17ROCPRIM_400000_NS6detail17trampoline_kernelINS0_14default_configENS1_38merge_sort_block_merge_config_selectorIslEEZZNS1_27merge_sort_block_merge_implIS3_PsN6thrust23THRUST_200600_302600_NS10device_ptrIlEEjNS1_19radix_merge_compareILb0ELb1EsNS0_19identity_decomposerEEEEE10hipError_tT0_T1_T2_jT3_P12ihipStream_tbPNSt15iterator_traitsISG_E10value_typeEPNSM_ISH_E10value_typeEPSI_NS1_7vsmem_tEENKUlT_SG_SH_SI_E_clIS7_S7_PlSB_EESF_SV_SG_SH_SI_EUlSV_E_NS1_11comp_targetILNS1_3genE5ELNS1_11target_archE942ELNS1_3gpuE9ELNS1_3repE0EEENS1_48merge_mergepath_partition_config_static_selectorELNS0_4arch9wavefront6targetE1EEEvSH_, .Lfunc_end1334-_ZN7rocprim17ROCPRIM_400000_NS6detail17trampoline_kernelINS0_14default_configENS1_38merge_sort_block_merge_config_selectorIslEEZZNS1_27merge_sort_block_merge_implIS3_PsN6thrust23THRUST_200600_302600_NS10device_ptrIlEEjNS1_19radix_merge_compareILb0ELb1EsNS0_19identity_decomposerEEEEE10hipError_tT0_T1_T2_jT3_P12ihipStream_tbPNSt15iterator_traitsISG_E10value_typeEPNSM_ISH_E10value_typeEPSI_NS1_7vsmem_tEENKUlT_SG_SH_SI_E_clIS7_S7_PlSB_EESF_SV_SG_SH_SI_EUlSV_E_NS1_11comp_targetILNS1_3genE5ELNS1_11target_archE942ELNS1_3gpuE9ELNS1_3repE0EEENS1_48merge_mergepath_partition_config_static_selectorELNS0_4arch9wavefront6targetE1EEEvSH_
                                        ; -- End function
	.section	.AMDGPU.csdata,"",@progbits
; Kernel info:
; codeLenInByte = 0
; NumSgprs: 4
; NumVgprs: 0
; NumAgprs: 0
; TotalNumVgprs: 0
; ScratchSize: 0
; MemoryBound: 0
; FloatMode: 240
; IeeeMode: 1
; LDSByteSize: 0 bytes/workgroup (compile time only)
; SGPRBlocks: 0
; VGPRBlocks: 0
; NumSGPRsForWavesPerEU: 4
; NumVGPRsForWavesPerEU: 1
; AccumOffset: 4
; Occupancy: 8
; WaveLimiterHint : 0
; COMPUTE_PGM_RSRC2:SCRATCH_EN: 0
; COMPUTE_PGM_RSRC2:USER_SGPR: 6
; COMPUTE_PGM_RSRC2:TRAP_HANDLER: 0
; COMPUTE_PGM_RSRC2:TGID_X_EN: 1
; COMPUTE_PGM_RSRC2:TGID_Y_EN: 0
; COMPUTE_PGM_RSRC2:TGID_Z_EN: 0
; COMPUTE_PGM_RSRC2:TIDIG_COMP_CNT: 0
; COMPUTE_PGM_RSRC3_GFX90A:ACCUM_OFFSET: 0
; COMPUTE_PGM_RSRC3_GFX90A:TG_SPLIT: 0
	.section	.text._ZN7rocprim17ROCPRIM_400000_NS6detail17trampoline_kernelINS0_14default_configENS1_38merge_sort_block_merge_config_selectorIslEEZZNS1_27merge_sort_block_merge_implIS3_PsN6thrust23THRUST_200600_302600_NS10device_ptrIlEEjNS1_19radix_merge_compareILb0ELb1EsNS0_19identity_decomposerEEEEE10hipError_tT0_T1_T2_jT3_P12ihipStream_tbPNSt15iterator_traitsISG_E10value_typeEPNSM_ISH_E10value_typeEPSI_NS1_7vsmem_tEENKUlT_SG_SH_SI_E_clIS7_S7_PlSB_EESF_SV_SG_SH_SI_EUlSV_E_NS1_11comp_targetILNS1_3genE4ELNS1_11target_archE910ELNS1_3gpuE8ELNS1_3repE0EEENS1_48merge_mergepath_partition_config_static_selectorELNS0_4arch9wavefront6targetE1EEEvSH_,"axG",@progbits,_ZN7rocprim17ROCPRIM_400000_NS6detail17trampoline_kernelINS0_14default_configENS1_38merge_sort_block_merge_config_selectorIslEEZZNS1_27merge_sort_block_merge_implIS3_PsN6thrust23THRUST_200600_302600_NS10device_ptrIlEEjNS1_19radix_merge_compareILb0ELb1EsNS0_19identity_decomposerEEEEE10hipError_tT0_T1_T2_jT3_P12ihipStream_tbPNSt15iterator_traitsISG_E10value_typeEPNSM_ISH_E10value_typeEPSI_NS1_7vsmem_tEENKUlT_SG_SH_SI_E_clIS7_S7_PlSB_EESF_SV_SG_SH_SI_EUlSV_E_NS1_11comp_targetILNS1_3genE4ELNS1_11target_archE910ELNS1_3gpuE8ELNS1_3repE0EEENS1_48merge_mergepath_partition_config_static_selectorELNS0_4arch9wavefront6targetE1EEEvSH_,comdat
	.protected	_ZN7rocprim17ROCPRIM_400000_NS6detail17trampoline_kernelINS0_14default_configENS1_38merge_sort_block_merge_config_selectorIslEEZZNS1_27merge_sort_block_merge_implIS3_PsN6thrust23THRUST_200600_302600_NS10device_ptrIlEEjNS1_19radix_merge_compareILb0ELb1EsNS0_19identity_decomposerEEEEE10hipError_tT0_T1_T2_jT3_P12ihipStream_tbPNSt15iterator_traitsISG_E10value_typeEPNSM_ISH_E10value_typeEPSI_NS1_7vsmem_tEENKUlT_SG_SH_SI_E_clIS7_S7_PlSB_EESF_SV_SG_SH_SI_EUlSV_E_NS1_11comp_targetILNS1_3genE4ELNS1_11target_archE910ELNS1_3gpuE8ELNS1_3repE0EEENS1_48merge_mergepath_partition_config_static_selectorELNS0_4arch9wavefront6targetE1EEEvSH_ ; -- Begin function _ZN7rocprim17ROCPRIM_400000_NS6detail17trampoline_kernelINS0_14default_configENS1_38merge_sort_block_merge_config_selectorIslEEZZNS1_27merge_sort_block_merge_implIS3_PsN6thrust23THRUST_200600_302600_NS10device_ptrIlEEjNS1_19radix_merge_compareILb0ELb1EsNS0_19identity_decomposerEEEEE10hipError_tT0_T1_T2_jT3_P12ihipStream_tbPNSt15iterator_traitsISG_E10value_typeEPNSM_ISH_E10value_typeEPSI_NS1_7vsmem_tEENKUlT_SG_SH_SI_E_clIS7_S7_PlSB_EESF_SV_SG_SH_SI_EUlSV_E_NS1_11comp_targetILNS1_3genE4ELNS1_11target_archE910ELNS1_3gpuE8ELNS1_3repE0EEENS1_48merge_mergepath_partition_config_static_selectorELNS0_4arch9wavefront6targetE1EEEvSH_
	.globl	_ZN7rocprim17ROCPRIM_400000_NS6detail17trampoline_kernelINS0_14default_configENS1_38merge_sort_block_merge_config_selectorIslEEZZNS1_27merge_sort_block_merge_implIS3_PsN6thrust23THRUST_200600_302600_NS10device_ptrIlEEjNS1_19radix_merge_compareILb0ELb1EsNS0_19identity_decomposerEEEEE10hipError_tT0_T1_T2_jT3_P12ihipStream_tbPNSt15iterator_traitsISG_E10value_typeEPNSM_ISH_E10value_typeEPSI_NS1_7vsmem_tEENKUlT_SG_SH_SI_E_clIS7_S7_PlSB_EESF_SV_SG_SH_SI_EUlSV_E_NS1_11comp_targetILNS1_3genE4ELNS1_11target_archE910ELNS1_3gpuE8ELNS1_3repE0EEENS1_48merge_mergepath_partition_config_static_selectorELNS0_4arch9wavefront6targetE1EEEvSH_
	.p2align	8
	.type	_ZN7rocprim17ROCPRIM_400000_NS6detail17trampoline_kernelINS0_14default_configENS1_38merge_sort_block_merge_config_selectorIslEEZZNS1_27merge_sort_block_merge_implIS3_PsN6thrust23THRUST_200600_302600_NS10device_ptrIlEEjNS1_19radix_merge_compareILb0ELb1EsNS0_19identity_decomposerEEEEE10hipError_tT0_T1_T2_jT3_P12ihipStream_tbPNSt15iterator_traitsISG_E10value_typeEPNSM_ISH_E10value_typeEPSI_NS1_7vsmem_tEENKUlT_SG_SH_SI_E_clIS7_S7_PlSB_EESF_SV_SG_SH_SI_EUlSV_E_NS1_11comp_targetILNS1_3genE4ELNS1_11target_archE910ELNS1_3gpuE8ELNS1_3repE0EEENS1_48merge_mergepath_partition_config_static_selectorELNS0_4arch9wavefront6targetE1EEEvSH_,@function
_ZN7rocprim17ROCPRIM_400000_NS6detail17trampoline_kernelINS0_14default_configENS1_38merge_sort_block_merge_config_selectorIslEEZZNS1_27merge_sort_block_merge_implIS3_PsN6thrust23THRUST_200600_302600_NS10device_ptrIlEEjNS1_19radix_merge_compareILb0ELb1EsNS0_19identity_decomposerEEEEE10hipError_tT0_T1_T2_jT3_P12ihipStream_tbPNSt15iterator_traitsISG_E10value_typeEPNSM_ISH_E10value_typeEPSI_NS1_7vsmem_tEENKUlT_SG_SH_SI_E_clIS7_S7_PlSB_EESF_SV_SG_SH_SI_EUlSV_E_NS1_11comp_targetILNS1_3genE4ELNS1_11target_archE910ELNS1_3gpuE8ELNS1_3repE0EEENS1_48merge_mergepath_partition_config_static_selectorELNS0_4arch9wavefront6targetE1EEEvSH_: ; @_ZN7rocprim17ROCPRIM_400000_NS6detail17trampoline_kernelINS0_14default_configENS1_38merge_sort_block_merge_config_selectorIslEEZZNS1_27merge_sort_block_merge_implIS3_PsN6thrust23THRUST_200600_302600_NS10device_ptrIlEEjNS1_19radix_merge_compareILb0ELb1EsNS0_19identity_decomposerEEEEE10hipError_tT0_T1_T2_jT3_P12ihipStream_tbPNSt15iterator_traitsISG_E10value_typeEPNSM_ISH_E10value_typeEPSI_NS1_7vsmem_tEENKUlT_SG_SH_SI_E_clIS7_S7_PlSB_EESF_SV_SG_SH_SI_EUlSV_E_NS1_11comp_targetILNS1_3genE4ELNS1_11target_archE910ELNS1_3gpuE8ELNS1_3repE0EEENS1_48merge_mergepath_partition_config_static_selectorELNS0_4arch9wavefront6targetE1EEEvSH_
; %bb.0:
	s_load_dword s0, s[4:5], 0x0
	v_lshl_or_b32 v0, s6, 7, v0
	s_waitcnt lgkmcnt(0)
	v_cmp_gt_u32_e32 vcc, s0, v0
	s_and_saveexec_b64 s[0:1], vcc
	s_cbranch_execz .LBB1335_6
; %bb.1:
	s_load_dwordx2 s[2:3], s[4:5], 0x4
	s_load_dwordx2 s[0:1], s[4:5], 0x20
	s_waitcnt lgkmcnt(0)
	s_lshr_b32 s6, s2, 9
	s_and_b32 s6, s6, 0x7ffffe
	s_add_i32 s7, s6, -1
	s_sub_i32 s6, 0, s6
	v_and_b32_e32 v1, s6, v0
	v_lshlrev_b32_e32 v1, 10, v1
	v_min_u32_e32 v2, s3, v1
	v_add_u32_e32 v1, s2, v1
	v_min_u32_e32 v4, s3, v1
	v_add_u32_e32 v1, s2, v4
	v_and_b32_e32 v3, s7, v0
	v_min_u32_e32 v1, s3, v1
	v_sub_u32_e32 v5, v1, v2
	v_lshlrev_b32_e32 v3, 10, v3
	v_min_u32_e32 v6, v5, v3
	v_sub_u32_e32 v3, v4, v2
	v_sub_u32_e32 v1, v1, v4
	v_sub_u32_e64 v1, v6, v1 clamp
	v_min_u32_e32 v7, v6, v3
	v_cmp_lt_u32_e32 vcc, v1, v7
	s_and_saveexec_b64 s[2:3], vcc
	s_cbranch_execz .LBB1335_5
; %bb.2:
	s_load_dwordx2 s[8:9], s[4:5], 0x10
	s_load_dword s6, s[4:5], 0x18
	v_mov_b32_e32 v5, 0
	v_mov_b32_e32 v3, v5
	v_lshlrev_b64 v[8:9], 1, v[2:3]
	s_waitcnt lgkmcnt(0)
	v_mov_b32_e32 v12, s9
	v_add_co_u32_e32 v3, vcc, s8, v8
	v_addc_co_u32_e32 v8, vcc, v12, v9, vcc
	v_lshlrev_b64 v[10:11], 1, v[4:5]
	v_add_co_u32_e32 v9, vcc, s8, v10
	v_addc_co_u32_e32 v10, vcc, v12, v11, vcc
	s_mov_b64 s[4:5], 0
.LBB1335_3:                             ; =>This Inner Loop Header: Depth=1
	v_add_u32_e32 v4, v7, v1
	v_and_b32_e32 v12, -2, v4
	v_lshrrev_b32_e32 v11, 1, v4
	v_add_co_u32_e32 v12, vcc, v3, v12
	v_xad_u32 v4, v11, -1, v6
	v_addc_co_u32_e32 v13, vcc, 0, v8, vcc
	global_load_ushort v14, v[12:13], off
	v_lshlrev_b64 v[12:13], 1, v[4:5]
	v_add_co_u32_e32 v12, vcc, v9, v12
	v_addc_co_u32_e32 v13, vcc, v10, v13, vcc
	global_load_ushort v4, v[12:13], off
	v_add_u32_e32 v12, 1, v11
	s_waitcnt vmcnt(1)
	v_and_b32_e32 v13, s6, v14
	s_waitcnt vmcnt(0)
	v_and_b32_e32 v4, s6, v4
	v_cmp_gt_i16_e32 vcc, v13, v4
	v_cndmask_b32_e32 v7, v7, v11, vcc
	v_cndmask_b32_e32 v1, v12, v1, vcc
	v_cmp_ge_u32_e32 vcc, v1, v7
	s_or_b64 s[4:5], vcc, s[4:5]
	s_andn2_b64 exec, exec, s[4:5]
	s_cbranch_execnz .LBB1335_3
; %bb.4:
	s_or_b64 exec, exec, s[4:5]
.LBB1335_5:
	s_or_b64 exec, exec, s[2:3]
	v_add_u32_e32 v2, v1, v2
	v_mov_b32_e32 v1, 0
	v_lshlrev_b64 v[0:1], 2, v[0:1]
	v_mov_b32_e32 v3, s1
	v_add_co_u32_e32 v0, vcc, s0, v0
	v_addc_co_u32_e32 v1, vcc, v3, v1, vcc
	global_store_dword v[0:1], v2, off
.LBB1335_6:
	s_endpgm
	.section	.rodata,"a",@progbits
	.p2align	6, 0x0
	.amdhsa_kernel _ZN7rocprim17ROCPRIM_400000_NS6detail17trampoline_kernelINS0_14default_configENS1_38merge_sort_block_merge_config_selectorIslEEZZNS1_27merge_sort_block_merge_implIS3_PsN6thrust23THRUST_200600_302600_NS10device_ptrIlEEjNS1_19radix_merge_compareILb0ELb1EsNS0_19identity_decomposerEEEEE10hipError_tT0_T1_T2_jT3_P12ihipStream_tbPNSt15iterator_traitsISG_E10value_typeEPNSM_ISH_E10value_typeEPSI_NS1_7vsmem_tEENKUlT_SG_SH_SI_E_clIS7_S7_PlSB_EESF_SV_SG_SH_SI_EUlSV_E_NS1_11comp_targetILNS1_3genE4ELNS1_11target_archE910ELNS1_3gpuE8ELNS1_3repE0EEENS1_48merge_mergepath_partition_config_static_selectorELNS0_4arch9wavefront6targetE1EEEvSH_
		.amdhsa_group_segment_fixed_size 0
		.amdhsa_private_segment_fixed_size 0
		.amdhsa_kernarg_size 40
		.amdhsa_user_sgpr_count 6
		.amdhsa_user_sgpr_private_segment_buffer 1
		.amdhsa_user_sgpr_dispatch_ptr 0
		.amdhsa_user_sgpr_queue_ptr 0
		.amdhsa_user_sgpr_kernarg_segment_ptr 1
		.amdhsa_user_sgpr_dispatch_id 0
		.amdhsa_user_sgpr_flat_scratch_init 0
		.amdhsa_user_sgpr_kernarg_preload_length 0
		.amdhsa_user_sgpr_kernarg_preload_offset 0
		.amdhsa_user_sgpr_private_segment_size 0
		.amdhsa_uses_dynamic_stack 0
		.amdhsa_system_sgpr_private_segment_wavefront_offset 0
		.amdhsa_system_sgpr_workgroup_id_x 1
		.amdhsa_system_sgpr_workgroup_id_y 0
		.amdhsa_system_sgpr_workgroup_id_z 0
		.amdhsa_system_sgpr_workgroup_info 0
		.amdhsa_system_vgpr_workitem_id 0
		.amdhsa_next_free_vgpr 15
		.amdhsa_next_free_sgpr 10
		.amdhsa_accum_offset 16
		.amdhsa_reserve_vcc 1
		.amdhsa_reserve_flat_scratch 0
		.amdhsa_float_round_mode_32 0
		.amdhsa_float_round_mode_16_64 0
		.amdhsa_float_denorm_mode_32 3
		.amdhsa_float_denorm_mode_16_64 3
		.amdhsa_dx10_clamp 1
		.amdhsa_ieee_mode 1
		.amdhsa_fp16_overflow 0
		.amdhsa_tg_split 0
		.amdhsa_exception_fp_ieee_invalid_op 0
		.amdhsa_exception_fp_denorm_src 0
		.amdhsa_exception_fp_ieee_div_zero 0
		.amdhsa_exception_fp_ieee_overflow 0
		.amdhsa_exception_fp_ieee_underflow 0
		.amdhsa_exception_fp_ieee_inexact 0
		.amdhsa_exception_int_div_zero 0
	.end_amdhsa_kernel
	.section	.text._ZN7rocprim17ROCPRIM_400000_NS6detail17trampoline_kernelINS0_14default_configENS1_38merge_sort_block_merge_config_selectorIslEEZZNS1_27merge_sort_block_merge_implIS3_PsN6thrust23THRUST_200600_302600_NS10device_ptrIlEEjNS1_19radix_merge_compareILb0ELb1EsNS0_19identity_decomposerEEEEE10hipError_tT0_T1_T2_jT3_P12ihipStream_tbPNSt15iterator_traitsISG_E10value_typeEPNSM_ISH_E10value_typeEPSI_NS1_7vsmem_tEENKUlT_SG_SH_SI_E_clIS7_S7_PlSB_EESF_SV_SG_SH_SI_EUlSV_E_NS1_11comp_targetILNS1_3genE4ELNS1_11target_archE910ELNS1_3gpuE8ELNS1_3repE0EEENS1_48merge_mergepath_partition_config_static_selectorELNS0_4arch9wavefront6targetE1EEEvSH_,"axG",@progbits,_ZN7rocprim17ROCPRIM_400000_NS6detail17trampoline_kernelINS0_14default_configENS1_38merge_sort_block_merge_config_selectorIslEEZZNS1_27merge_sort_block_merge_implIS3_PsN6thrust23THRUST_200600_302600_NS10device_ptrIlEEjNS1_19radix_merge_compareILb0ELb1EsNS0_19identity_decomposerEEEEE10hipError_tT0_T1_T2_jT3_P12ihipStream_tbPNSt15iterator_traitsISG_E10value_typeEPNSM_ISH_E10value_typeEPSI_NS1_7vsmem_tEENKUlT_SG_SH_SI_E_clIS7_S7_PlSB_EESF_SV_SG_SH_SI_EUlSV_E_NS1_11comp_targetILNS1_3genE4ELNS1_11target_archE910ELNS1_3gpuE8ELNS1_3repE0EEENS1_48merge_mergepath_partition_config_static_selectorELNS0_4arch9wavefront6targetE1EEEvSH_,comdat
.Lfunc_end1335:
	.size	_ZN7rocprim17ROCPRIM_400000_NS6detail17trampoline_kernelINS0_14default_configENS1_38merge_sort_block_merge_config_selectorIslEEZZNS1_27merge_sort_block_merge_implIS3_PsN6thrust23THRUST_200600_302600_NS10device_ptrIlEEjNS1_19radix_merge_compareILb0ELb1EsNS0_19identity_decomposerEEEEE10hipError_tT0_T1_T2_jT3_P12ihipStream_tbPNSt15iterator_traitsISG_E10value_typeEPNSM_ISH_E10value_typeEPSI_NS1_7vsmem_tEENKUlT_SG_SH_SI_E_clIS7_S7_PlSB_EESF_SV_SG_SH_SI_EUlSV_E_NS1_11comp_targetILNS1_3genE4ELNS1_11target_archE910ELNS1_3gpuE8ELNS1_3repE0EEENS1_48merge_mergepath_partition_config_static_selectorELNS0_4arch9wavefront6targetE1EEEvSH_, .Lfunc_end1335-_ZN7rocprim17ROCPRIM_400000_NS6detail17trampoline_kernelINS0_14default_configENS1_38merge_sort_block_merge_config_selectorIslEEZZNS1_27merge_sort_block_merge_implIS3_PsN6thrust23THRUST_200600_302600_NS10device_ptrIlEEjNS1_19radix_merge_compareILb0ELb1EsNS0_19identity_decomposerEEEEE10hipError_tT0_T1_T2_jT3_P12ihipStream_tbPNSt15iterator_traitsISG_E10value_typeEPNSM_ISH_E10value_typeEPSI_NS1_7vsmem_tEENKUlT_SG_SH_SI_E_clIS7_S7_PlSB_EESF_SV_SG_SH_SI_EUlSV_E_NS1_11comp_targetILNS1_3genE4ELNS1_11target_archE910ELNS1_3gpuE8ELNS1_3repE0EEENS1_48merge_mergepath_partition_config_static_selectorELNS0_4arch9wavefront6targetE1EEEvSH_
                                        ; -- End function
	.section	.AMDGPU.csdata,"",@progbits
; Kernel info:
; codeLenInByte = 372
; NumSgprs: 14
; NumVgprs: 15
; NumAgprs: 0
; TotalNumVgprs: 15
; ScratchSize: 0
; MemoryBound: 0
; FloatMode: 240
; IeeeMode: 1
; LDSByteSize: 0 bytes/workgroup (compile time only)
; SGPRBlocks: 1
; VGPRBlocks: 1
; NumSGPRsForWavesPerEU: 14
; NumVGPRsForWavesPerEU: 15
; AccumOffset: 16
; Occupancy: 8
; WaveLimiterHint : 0
; COMPUTE_PGM_RSRC2:SCRATCH_EN: 0
; COMPUTE_PGM_RSRC2:USER_SGPR: 6
; COMPUTE_PGM_RSRC2:TRAP_HANDLER: 0
; COMPUTE_PGM_RSRC2:TGID_X_EN: 1
; COMPUTE_PGM_RSRC2:TGID_Y_EN: 0
; COMPUTE_PGM_RSRC2:TGID_Z_EN: 0
; COMPUTE_PGM_RSRC2:TIDIG_COMP_CNT: 0
; COMPUTE_PGM_RSRC3_GFX90A:ACCUM_OFFSET: 3
; COMPUTE_PGM_RSRC3_GFX90A:TG_SPLIT: 0
	.section	.text._ZN7rocprim17ROCPRIM_400000_NS6detail17trampoline_kernelINS0_14default_configENS1_38merge_sort_block_merge_config_selectorIslEEZZNS1_27merge_sort_block_merge_implIS3_PsN6thrust23THRUST_200600_302600_NS10device_ptrIlEEjNS1_19radix_merge_compareILb0ELb1EsNS0_19identity_decomposerEEEEE10hipError_tT0_T1_T2_jT3_P12ihipStream_tbPNSt15iterator_traitsISG_E10value_typeEPNSM_ISH_E10value_typeEPSI_NS1_7vsmem_tEENKUlT_SG_SH_SI_E_clIS7_S7_PlSB_EESF_SV_SG_SH_SI_EUlSV_E_NS1_11comp_targetILNS1_3genE3ELNS1_11target_archE908ELNS1_3gpuE7ELNS1_3repE0EEENS1_48merge_mergepath_partition_config_static_selectorELNS0_4arch9wavefront6targetE1EEEvSH_,"axG",@progbits,_ZN7rocprim17ROCPRIM_400000_NS6detail17trampoline_kernelINS0_14default_configENS1_38merge_sort_block_merge_config_selectorIslEEZZNS1_27merge_sort_block_merge_implIS3_PsN6thrust23THRUST_200600_302600_NS10device_ptrIlEEjNS1_19radix_merge_compareILb0ELb1EsNS0_19identity_decomposerEEEEE10hipError_tT0_T1_T2_jT3_P12ihipStream_tbPNSt15iterator_traitsISG_E10value_typeEPNSM_ISH_E10value_typeEPSI_NS1_7vsmem_tEENKUlT_SG_SH_SI_E_clIS7_S7_PlSB_EESF_SV_SG_SH_SI_EUlSV_E_NS1_11comp_targetILNS1_3genE3ELNS1_11target_archE908ELNS1_3gpuE7ELNS1_3repE0EEENS1_48merge_mergepath_partition_config_static_selectorELNS0_4arch9wavefront6targetE1EEEvSH_,comdat
	.protected	_ZN7rocprim17ROCPRIM_400000_NS6detail17trampoline_kernelINS0_14default_configENS1_38merge_sort_block_merge_config_selectorIslEEZZNS1_27merge_sort_block_merge_implIS3_PsN6thrust23THRUST_200600_302600_NS10device_ptrIlEEjNS1_19radix_merge_compareILb0ELb1EsNS0_19identity_decomposerEEEEE10hipError_tT0_T1_T2_jT3_P12ihipStream_tbPNSt15iterator_traitsISG_E10value_typeEPNSM_ISH_E10value_typeEPSI_NS1_7vsmem_tEENKUlT_SG_SH_SI_E_clIS7_S7_PlSB_EESF_SV_SG_SH_SI_EUlSV_E_NS1_11comp_targetILNS1_3genE3ELNS1_11target_archE908ELNS1_3gpuE7ELNS1_3repE0EEENS1_48merge_mergepath_partition_config_static_selectorELNS0_4arch9wavefront6targetE1EEEvSH_ ; -- Begin function _ZN7rocprim17ROCPRIM_400000_NS6detail17trampoline_kernelINS0_14default_configENS1_38merge_sort_block_merge_config_selectorIslEEZZNS1_27merge_sort_block_merge_implIS3_PsN6thrust23THRUST_200600_302600_NS10device_ptrIlEEjNS1_19radix_merge_compareILb0ELb1EsNS0_19identity_decomposerEEEEE10hipError_tT0_T1_T2_jT3_P12ihipStream_tbPNSt15iterator_traitsISG_E10value_typeEPNSM_ISH_E10value_typeEPSI_NS1_7vsmem_tEENKUlT_SG_SH_SI_E_clIS7_S7_PlSB_EESF_SV_SG_SH_SI_EUlSV_E_NS1_11comp_targetILNS1_3genE3ELNS1_11target_archE908ELNS1_3gpuE7ELNS1_3repE0EEENS1_48merge_mergepath_partition_config_static_selectorELNS0_4arch9wavefront6targetE1EEEvSH_
	.globl	_ZN7rocprim17ROCPRIM_400000_NS6detail17trampoline_kernelINS0_14default_configENS1_38merge_sort_block_merge_config_selectorIslEEZZNS1_27merge_sort_block_merge_implIS3_PsN6thrust23THRUST_200600_302600_NS10device_ptrIlEEjNS1_19radix_merge_compareILb0ELb1EsNS0_19identity_decomposerEEEEE10hipError_tT0_T1_T2_jT3_P12ihipStream_tbPNSt15iterator_traitsISG_E10value_typeEPNSM_ISH_E10value_typeEPSI_NS1_7vsmem_tEENKUlT_SG_SH_SI_E_clIS7_S7_PlSB_EESF_SV_SG_SH_SI_EUlSV_E_NS1_11comp_targetILNS1_3genE3ELNS1_11target_archE908ELNS1_3gpuE7ELNS1_3repE0EEENS1_48merge_mergepath_partition_config_static_selectorELNS0_4arch9wavefront6targetE1EEEvSH_
	.p2align	8
	.type	_ZN7rocprim17ROCPRIM_400000_NS6detail17trampoline_kernelINS0_14default_configENS1_38merge_sort_block_merge_config_selectorIslEEZZNS1_27merge_sort_block_merge_implIS3_PsN6thrust23THRUST_200600_302600_NS10device_ptrIlEEjNS1_19radix_merge_compareILb0ELb1EsNS0_19identity_decomposerEEEEE10hipError_tT0_T1_T2_jT3_P12ihipStream_tbPNSt15iterator_traitsISG_E10value_typeEPNSM_ISH_E10value_typeEPSI_NS1_7vsmem_tEENKUlT_SG_SH_SI_E_clIS7_S7_PlSB_EESF_SV_SG_SH_SI_EUlSV_E_NS1_11comp_targetILNS1_3genE3ELNS1_11target_archE908ELNS1_3gpuE7ELNS1_3repE0EEENS1_48merge_mergepath_partition_config_static_selectorELNS0_4arch9wavefront6targetE1EEEvSH_,@function
_ZN7rocprim17ROCPRIM_400000_NS6detail17trampoline_kernelINS0_14default_configENS1_38merge_sort_block_merge_config_selectorIslEEZZNS1_27merge_sort_block_merge_implIS3_PsN6thrust23THRUST_200600_302600_NS10device_ptrIlEEjNS1_19radix_merge_compareILb0ELb1EsNS0_19identity_decomposerEEEEE10hipError_tT0_T1_T2_jT3_P12ihipStream_tbPNSt15iterator_traitsISG_E10value_typeEPNSM_ISH_E10value_typeEPSI_NS1_7vsmem_tEENKUlT_SG_SH_SI_E_clIS7_S7_PlSB_EESF_SV_SG_SH_SI_EUlSV_E_NS1_11comp_targetILNS1_3genE3ELNS1_11target_archE908ELNS1_3gpuE7ELNS1_3repE0EEENS1_48merge_mergepath_partition_config_static_selectorELNS0_4arch9wavefront6targetE1EEEvSH_: ; @_ZN7rocprim17ROCPRIM_400000_NS6detail17trampoline_kernelINS0_14default_configENS1_38merge_sort_block_merge_config_selectorIslEEZZNS1_27merge_sort_block_merge_implIS3_PsN6thrust23THRUST_200600_302600_NS10device_ptrIlEEjNS1_19radix_merge_compareILb0ELb1EsNS0_19identity_decomposerEEEEE10hipError_tT0_T1_T2_jT3_P12ihipStream_tbPNSt15iterator_traitsISG_E10value_typeEPNSM_ISH_E10value_typeEPSI_NS1_7vsmem_tEENKUlT_SG_SH_SI_E_clIS7_S7_PlSB_EESF_SV_SG_SH_SI_EUlSV_E_NS1_11comp_targetILNS1_3genE3ELNS1_11target_archE908ELNS1_3gpuE7ELNS1_3repE0EEENS1_48merge_mergepath_partition_config_static_selectorELNS0_4arch9wavefront6targetE1EEEvSH_
; %bb.0:
	.section	.rodata,"a",@progbits
	.p2align	6, 0x0
	.amdhsa_kernel _ZN7rocprim17ROCPRIM_400000_NS6detail17trampoline_kernelINS0_14default_configENS1_38merge_sort_block_merge_config_selectorIslEEZZNS1_27merge_sort_block_merge_implIS3_PsN6thrust23THRUST_200600_302600_NS10device_ptrIlEEjNS1_19radix_merge_compareILb0ELb1EsNS0_19identity_decomposerEEEEE10hipError_tT0_T1_T2_jT3_P12ihipStream_tbPNSt15iterator_traitsISG_E10value_typeEPNSM_ISH_E10value_typeEPSI_NS1_7vsmem_tEENKUlT_SG_SH_SI_E_clIS7_S7_PlSB_EESF_SV_SG_SH_SI_EUlSV_E_NS1_11comp_targetILNS1_3genE3ELNS1_11target_archE908ELNS1_3gpuE7ELNS1_3repE0EEENS1_48merge_mergepath_partition_config_static_selectorELNS0_4arch9wavefront6targetE1EEEvSH_
		.amdhsa_group_segment_fixed_size 0
		.amdhsa_private_segment_fixed_size 0
		.amdhsa_kernarg_size 40
		.amdhsa_user_sgpr_count 6
		.amdhsa_user_sgpr_private_segment_buffer 1
		.amdhsa_user_sgpr_dispatch_ptr 0
		.amdhsa_user_sgpr_queue_ptr 0
		.amdhsa_user_sgpr_kernarg_segment_ptr 1
		.amdhsa_user_sgpr_dispatch_id 0
		.amdhsa_user_sgpr_flat_scratch_init 0
		.amdhsa_user_sgpr_kernarg_preload_length 0
		.amdhsa_user_sgpr_kernarg_preload_offset 0
		.amdhsa_user_sgpr_private_segment_size 0
		.amdhsa_uses_dynamic_stack 0
		.amdhsa_system_sgpr_private_segment_wavefront_offset 0
		.amdhsa_system_sgpr_workgroup_id_x 1
		.amdhsa_system_sgpr_workgroup_id_y 0
		.amdhsa_system_sgpr_workgroup_id_z 0
		.amdhsa_system_sgpr_workgroup_info 0
		.amdhsa_system_vgpr_workitem_id 0
		.amdhsa_next_free_vgpr 1
		.amdhsa_next_free_sgpr 0
		.amdhsa_accum_offset 4
		.amdhsa_reserve_vcc 0
		.amdhsa_reserve_flat_scratch 0
		.amdhsa_float_round_mode_32 0
		.amdhsa_float_round_mode_16_64 0
		.amdhsa_float_denorm_mode_32 3
		.amdhsa_float_denorm_mode_16_64 3
		.amdhsa_dx10_clamp 1
		.amdhsa_ieee_mode 1
		.amdhsa_fp16_overflow 0
		.amdhsa_tg_split 0
		.amdhsa_exception_fp_ieee_invalid_op 0
		.amdhsa_exception_fp_denorm_src 0
		.amdhsa_exception_fp_ieee_div_zero 0
		.amdhsa_exception_fp_ieee_overflow 0
		.amdhsa_exception_fp_ieee_underflow 0
		.amdhsa_exception_fp_ieee_inexact 0
		.amdhsa_exception_int_div_zero 0
	.end_amdhsa_kernel
	.section	.text._ZN7rocprim17ROCPRIM_400000_NS6detail17trampoline_kernelINS0_14default_configENS1_38merge_sort_block_merge_config_selectorIslEEZZNS1_27merge_sort_block_merge_implIS3_PsN6thrust23THRUST_200600_302600_NS10device_ptrIlEEjNS1_19radix_merge_compareILb0ELb1EsNS0_19identity_decomposerEEEEE10hipError_tT0_T1_T2_jT3_P12ihipStream_tbPNSt15iterator_traitsISG_E10value_typeEPNSM_ISH_E10value_typeEPSI_NS1_7vsmem_tEENKUlT_SG_SH_SI_E_clIS7_S7_PlSB_EESF_SV_SG_SH_SI_EUlSV_E_NS1_11comp_targetILNS1_3genE3ELNS1_11target_archE908ELNS1_3gpuE7ELNS1_3repE0EEENS1_48merge_mergepath_partition_config_static_selectorELNS0_4arch9wavefront6targetE1EEEvSH_,"axG",@progbits,_ZN7rocprim17ROCPRIM_400000_NS6detail17trampoline_kernelINS0_14default_configENS1_38merge_sort_block_merge_config_selectorIslEEZZNS1_27merge_sort_block_merge_implIS3_PsN6thrust23THRUST_200600_302600_NS10device_ptrIlEEjNS1_19radix_merge_compareILb0ELb1EsNS0_19identity_decomposerEEEEE10hipError_tT0_T1_T2_jT3_P12ihipStream_tbPNSt15iterator_traitsISG_E10value_typeEPNSM_ISH_E10value_typeEPSI_NS1_7vsmem_tEENKUlT_SG_SH_SI_E_clIS7_S7_PlSB_EESF_SV_SG_SH_SI_EUlSV_E_NS1_11comp_targetILNS1_3genE3ELNS1_11target_archE908ELNS1_3gpuE7ELNS1_3repE0EEENS1_48merge_mergepath_partition_config_static_selectorELNS0_4arch9wavefront6targetE1EEEvSH_,comdat
.Lfunc_end1336:
	.size	_ZN7rocprim17ROCPRIM_400000_NS6detail17trampoline_kernelINS0_14default_configENS1_38merge_sort_block_merge_config_selectorIslEEZZNS1_27merge_sort_block_merge_implIS3_PsN6thrust23THRUST_200600_302600_NS10device_ptrIlEEjNS1_19radix_merge_compareILb0ELb1EsNS0_19identity_decomposerEEEEE10hipError_tT0_T1_T2_jT3_P12ihipStream_tbPNSt15iterator_traitsISG_E10value_typeEPNSM_ISH_E10value_typeEPSI_NS1_7vsmem_tEENKUlT_SG_SH_SI_E_clIS7_S7_PlSB_EESF_SV_SG_SH_SI_EUlSV_E_NS1_11comp_targetILNS1_3genE3ELNS1_11target_archE908ELNS1_3gpuE7ELNS1_3repE0EEENS1_48merge_mergepath_partition_config_static_selectorELNS0_4arch9wavefront6targetE1EEEvSH_, .Lfunc_end1336-_ZN7rocprim17ROCPRIM_400000_NS6detail17trampoline_kernelINS0_14default_configENS1_38merge_sort_block_merge_config_selectorIslEEZZNS1_27merge_sort_block_merge_implIS3_PsN6thrust23THRUST_200600_302600_NS10device_ptrIlEEjNS1_19radix_merge_compareILb0ELb1EsNS0_19identity_decomposerEEEEE10hipError_tT0_T1_T2_jT3_P12ihipStream_tbPNSt15iterator_traitsISG_E10value_typeEPNSM_ISH_E10value_typeEPSI_NS1_7vsmem_tEENKUlT_SG_SH_SI_E_clIS7_S7_PlSB_EESF_SV_SG_SH_SI_EUlSV_E_NS1_11comp_targetILNS1_3genE3ELNS1_11target_archE908ELNS1_3gpuE7ELNS1_3repE0EEENS1_48merge_mergepath_partition_config_static_selectorELNS0_4arch9wavefront6targetE1EEEvSH_
                                        ; -- End function
	.section	.AMDGPU.csdata,"",@progbits
; Kernel info:
; codeLenInByte = 0
; NumSgprs: 4
; NumVgprs: 0
; NumAgprs: 0
; TotalNumVgprs: 0
; ScratchSize: 0
; MemoryBound: 0
; FloatMode: 240
; IeeeMode: 1
; LDSByteSize: 0 bytes/workgroup (compile time only)
; SGPRBlocks: 0
; VGPRBlocks: 0
; NumSGPRsForWavesPerEU: 4
; NumVGPRsForWavesPerEU: 1
; AccumOffset: 4
; Occupancy: 8
; WaveLimiterHint : 0
; COMPUTE_PGM_RSRC2:SCRATCH_EN: 0
; COMPUTE_PGM_RSRC2:USER_SGPR: 6
; COMPUTE_PGM_RSRC2:TRAP_HANDLER: 0
; COMPUTE_PGM_RSRC2:TGID_X_EN: 1
; COMPUTE_PGM_RSRC2:TGID_Y_EN: 0
; COMPUTE_PGM_RSRC2:TGID_Z_EN: 0
; COMPUTE_PGM_RSRC2:TIDIG_COMP_CNT: 0
; COMPUTE_PGM_RSRC3_GFX90A:ACCUM_OFFSET: 0
; COMPUTE_PGM_RSRC3_GFX90A:TG_SPLIT: 0
	.section	.text._ZN7rocprim17ROCPRIM_400000_NS6detail17trampoline_kernelINS0_14default_configENS1_38merge_sort_block_merge_config_selectorIslEEZZNS1_27merge_sort_block_merge_implIS3_PsN6thrust23THRUST_200600_302600_NS10device_ptrIlEEjNS1_19radix_merge_compareILb0ELb1EsNS0_19identity_decomposerEEEEE10hipError_tT0_T1_T2_jT3_P12ihipStream_tbPNSt15iterator_traitsISG_E10value_typeEPNSM_ISH_E10value_typeEPSI_NS1_7vsmem_tEENKUlT_SG_SH_SI_E_clIS7_S7_PlSB_EESF_SV_SG_SH_SI_EUlSV_E_NS1_11comp_targetILNS1_3genE2ELNS1_11target_archE906ELNS1_3gpuE6ELNS1_3repE0EEENS1_48merge_mergepath_partition_config_static_selectorELNS0_4arch9wavefront6targetE1EEEvSH_,"axG",@progbits,_ZN7rocprim17ROCPRIM_400000_NS6detail17trampoline_kernelINS0_14default_configENS1_38merge_sort_block_merge_config_selectorIslEEZZNS1_27merge_sort_block_merge_implIS3_PsN6thrust23THRUST_200600_302600_NS10device_ptrIlEEjNS1_19radix_merge_compareILb0ELb1EsNS0_19identity_decomposerEEEEE10hipError_tT0_T1_T2_jT3_P12ihipStream_tbPNSt15iterator_traitsISG_E10value_typeEPNSM_ISH_E10value_typeEPSI_NS1_7vsmem_tEENKUlT_SG_SH_SI_E_clIS7_S7_PlSB_EESF_SV_SG_SH_SI_EUlSV_E_NS1_11comp_targetILNS1_3genE2ELNS1_11target_archE906ELNS1_3gpuE6ELNS1_3repE0EEENS1_48merge_mergepath_partition_config_static_selectorELNS0_4arch9wavefront6targetE1EEEvSH_,comdat
	.protected	_ZN7rocprim17ROCPRIM_400000_NS6detail17trampoline_kernelINS0_14default_configENS1_38merge_sort_block_merge_config_selectorIslEEZZNS1_27merge_sort_block_merge_implIS3_PsN6thrust23THRUST_200600_302600_NS10device_ptrIlEEjNS1_19radix_merge_compareILb0ELb1EsNS0_19identity_decomposerEEEEE10hipError_tT0_T1_T2_jT3_P12ihipStream_tbPNSt15iterator_traitsISG_E10value_typeEPNSM_ISH_E10value_typeEPSI_NS1_7vsmem_tEENKUlT_SG_SH_SI_E_clIS7_S7_PlSB_EESF_SV_SG_SH_SI_EUlSV_E_NS1_11comp_targetILNS1_3genE2ELNS1_11target_archE906ELNS1_3gpuE6ELNS1_3repE0EEENS1_48merge_mergepath_partition_config_static_selectorELNS0_4arch9wavefront6targetE1EEEvSH_ ; -- Begin function _ZN7rocprim17ROCPRIM_400000_NS6detail17trampoline_kernelINS0_14default_configENS1_38merge_sort_block_merge_config_selectorIslEEZZNS1_27merge_sort_block_merge_implIS3_PsN6thrust23THRUST_200600_302600_NS10device_ptrIlEEjNS1_19radix_merge_compareILb0ELb1EsNS0_19identity_decomposerEEEEE10hipError_tT0_T1_T2_jT3_P12ihipStream_tbPNSt15iterator_traitsISG_E10value_typeEPNSM_ISH_E10value_typeEPSI_NS1_7vsmem_tEENKUlT_SG_SH_SI_E_clIS7_S7_PlSB_EESF_SV_SG_SH_SI_EUlSV_E_NS1_11comp_targetILNS1_3genE2ELNS1_11target_archE906ELNS1_3gpuE6ELNS1_3repE0EEENS1_48merge_mergepath_partition_config_static_selectorELNS0_4arch9wavefront6targetE1EEEvSH_
	.globl	_ZN7rocprim17ROCPRIM_400000_NS6detail17trampoline_kernelINS0_14default_configENS1_38merge_sort_block_merge_config_selectorIslEEZZNS1_27merge_sort_block_merge_implIS3_PsN6thrust23THRUST_200600_302600_NS10device_ptrIlEEjNS1_19radix_merge_compareILb0ELb1EsNS0_19identity_decomposerEEEEE10hipError_tT0_T1_T2_jT3_P12ihipStream_tbPNSt15iterator_traitsISG_E10value_typeEPNSM_ISH_E10value_typeEPSI_NS1_7vsmem_tEENKUlT_SG_SH_SI_E_clIS7_S7_PlSB_EESF_SV_SG_SH_SI_EUlSV_E_NS1_11comp_targetILNS1_3genE2ELNS1_11target_archE906ELNS1_3gpuE6ELNS1_3repE0EEENS1_48merge_mergepath_partition_config_static_selectorELNS0_4arch9wavefront6targetE1EEEvSH_
	.p2align	8
	.type	_ZN7rocprim17ROCPRIM_400000_NS6detail17trampoline_kernelINS0_14default_configENS1_38merge_sort_block_merge_config_selectorIslEEZZNS1_27merge_sort_block_merge_implIS3_PsN6thrust23THRUST_200600_302600_NS10device_ptrIlEEjNS1_19radix_merge_compareILb0ELb1EsNS0_19identity_decomposerEEEEE10hipError_tT0_T1_T2_jT3_P12ihipStream_tbPNSt15iterator_traitsISG_E10value_typeEPNSM_ISH_E10value_typeEPSI_NS1_7vsmem_tEENKUlT_SG_SH_SI_E_clIS7_S7_PlSB_EESF_SV_SG_SH_SI_EUlSV_E_NS1_11comp_targetILNS1_3genE2ELNS1_11target_archE906ELNS1_3gpuE6ELNS1_3repE0EEENS1_48merge_mergepath_partition_config_static_selectorELNS0_4arch9wavefront6targetE1EEEvSH_,@function
_ZN7rocprim17ROCPRIM_400000_NS6detail17trampoline_kernelINS0_14default_configENS1_38merge_sort_block_merge_config_selectorIslEEZZNS1_27merge_sort_block_merge_implIS3_PsN6thrust23THRUST_200600_302600_NS10device_ptrIlEEjNS1_19radix_merge_compareILb0ELb1EsNS0_19identity_decomposerEEEEE10hipError_tT0_T1_T2_jT3_P12ihipStream_tbPNSt15iterator_traitsISG_E10value_typeEPNSM_ISH_E10value_typeEPSI_NS1_7vsmem_tEENKUlT_SG_SH_SI_E_clIS7_S7_PlSB_EESF_SV_SG_SH_SI_EUlSV_E_NS1_11comp_targetILNS1_3genE2ELNS1_11target_archE906ELNS1_3gpuE6ELNS1_3repE0EEENS1_48merge_mergepath_partition_config_static_selectorELNS0_4arch9wavefront6targetE1EEEvSH_: ; @_ZN7rocprim17ROCPRIM_400000_NS6detail17trampoline_kernelINS0_14default_configENS1_38merge_sort_block_merge_config_selectorIslEEZZNS1_27merge_sort_block_merge_implIS3_PsN6thrust23THRUST_200600_302600_NS10device_ptrIlEEjNS1_19radix_merge_compareILb0ELb1EsNS0_19identity_decomposerEEEEE10hipError_tT0_T1_T2_jT3_P12ihipStream_tbPNSt15iterator_traitsISG_E10value_typeEPNSM_ISH_E10value_typeEPSI_NS1_7vsmem_tEENKUlT_SG_SH_SI_E_clIS7_S7_PlSB_EESF_SV_SG_SH_SI_EUlSV_E_NS1_11comp_targetILNS1_3genE2ELNS1_11target_archE906ELNS1_3gpuE6ELNS1_3repE0EEENS1_48merge_mergepath_partition_config_static_selectorELNS0_4arch9wavefront6targetE1EEEvSH_
; %bb.0:
	.section	.rodata,"a",@progbits
	.p2align	6, 0x0
	.amdhsa_kernel _ZN7rocprim17ROCPRIM_400000_NS6detail17trampoline_kernelINS0_14default_configENS1_38merge_sort_block_merge_config_selectorIslEEZZNS1_27merge_sort_block_merge_implIS3_PsN6thrust23THRUST_200600_302600_NS10device_ptrIlEEjNS1_19radix_merge_compareILb0ELb1EsNS0_19identity_decomposerEEEEE10hipError_tT0_T1_T2_jT3_P12ihipStream_tbPNSt15iterator_traitsISG_E10value_typeEPNSM_ISH_E10value_typeEPSI_NS1_7vsmem_tEENKUlT_SG_SH_SI_E_clIS7_S7_PlSB_EESF_SV_SG_SH_SI_EUlSV_E_NS1_11comp_targetILNS1_3genE2ELNS1_11target_archE906ELNS1_3gpuE6ELNS1_3repE0EEENS1_48merge_mergepath_partition_config_static_selectorELNS0_4arch9wavefront6targetE1EEEvSH_
		.amdhsa_group_segment_fixed_size 0
		.amdhsa_private_segment_fixed_size 0
		.amdhsa_kernarg_size 40
		.amdhsa_user_sgpr_count 6
		.amdhsa_user_sgpr_private_segment_buffer 1
		.amdhsa_user_sgpr_dispatch_ptr 0
		.amdhsa_user_sgpr_queue_ptr 0
		.amdhsa_user_sgpr_kernarg_segment_ptr 1
		.amdhsa_user_sgpr_dispatch_id 0
		.amdhsa_user_sgpr_flat_scratch_init 0
		.amdhsa_user_sgpr_kernarg_preload_length 0
		.amdhsa_user_sgpr_kernarg_preload_offset 0
		.amdhsa_user_sgpr_private_segment_size 0
		.amdhsa_uses_dynamic_stack 0
		.amdhsa_system_sgpr_private_segment_wavefront_offset 0
		.amdhsa_system_sgpr_workgroup_id_x 1
		.amdhsa_system_sgpr_workgroup_id_y 0
		.amdhsa_system_sgpr_workgroup_id_z 0
		.amdhsa_system_sgpr_workgroup_info 0
		.amdhsa_system_vgpr_workitem_id 0
		.amdhsa_next_free_vgpr 1
		.amdhsa_next_free_sgpr 0
		.amdhsa_accum_offset 4
		.amdhsa_reserve_vcc 0
		.amdhsa_reserve_flat_scratch 0
		.amdhsa_float_round_mode_32 0
		.amdhsa_float_round_mode_16_64 0
		.amdhsa_float_denorm_mode_32 3
		.amdhsa_float_denorm_mode_16_64 3
		.amdhsa_dx10_clamp 1
		.amdhsa_ieee_mode 1
		.amdhsa_fp16_overflow 0
		.amdhsa_tg_split 0
		.amdhsa_exception_fp_ieee_invalid_op 0
		.amdhsa_exception_fp_denorm_src 0
		.amdhsa_exception_fp_ieee_div_zero 0
		.amdhsa_exception_fp_ieee_overflow 0
		.amdhsa_exception_fp_ieee_underflow 0
		.amdhsa_exception_fp_ieee_inexact 0
		.amdhsa_exception_int_div_zero 0
	.end_amdhsa_kernel
	.section	.text._ZN7rocprim17ROCPRIM_400000_NS6detail17trampoline_kernelINS0_14default_configENS1_38merge_sort_block_merge_config_selectorIslEEZZNS1_27merge_sort_block_merge_implIS3_PsN6thrust23THRUST_200600_302600_NS10device_ptrIlEEjNS1_19radix_merge_compareILb0ELb1EsNS0_19identity_decomposerEEEEE10hipError_tT0_T1_T2_jT3_P12ihipStream_tbPNSt15iterator_traitsISG_E10value_typeEPNSM_ISH_E10value_typeEPSI_NS1_7vsmem_tEENKUlT_SG_SH_SI_E_clIS7_S7_PlSB_EESF_SV_SG_SH_SI_EUlSV_E_NS1_11comp_targetILNS1_3genE2ELNS1_11target_archE906ELNS1_3gpuE6ELNS1_3repE0EEENS1_48merge_mergepath_partition_config_static_selectorELNS0_4arch9wavefront6targetE1EEEvSH_,"axG",@progbits,_ZN7rocprim17ROCPRIM_400000_NS6detail17trampoline_kernelINS0_14default_configENS1_38merge_sort_block_merge_config_selectorIslEEZZNS1_27merge_sort_block_merge_implIS3_PsN6thrust23THRUST_200600_302600_NS10device_ptrIlEEjNS1_19radix_merge_compareILb0ELb1EsNS0_19identity_decomposerEEEEE10hipError_tT0_T1_T2_jT3_P12ihipStream_tbPNSt15iterator_traitsISG_E10value_typeEPNSM_ISH_E10value_typeEPSI_NS1_7vsmem_tEENKUlT_SG_SH_SI_E_clIS7_S7_PlSB_EESF_SV_SG_SH_SI_EUlSV_E_NS1_11comp_targetILNS1_3genE2ELNS1_11target_archE906ELNS1_3gpuE6ELNS1_3repE0EEENS1_48merge_mergepath_partition_config_static_selectorELNS0_4arch9wavefront6targetE1EEEvSH_,comdat
.Lfunc_end1337:
	.size	_ZN7rocprim17ROCPRIM_400000_NS6detail17trampoline_kernelINS0_14default_configENS1_38merge_sort_block_merge_config_selectorIslEEZZNS1_27merge_sort_block_merge_implIS3_PsN6thrust23THRUST_200600_302600_NS10device_ptrIlEEjNS1_19radix_merge_compareILb0ELb1EsNS0_19identity_decomposerEEEEE10hipError_tT0_T1_T2_jT3_P12ihipStream_tbPNSt15iterator_traitsISG_E10value_typeEPNSM_ISH_E10value_typeEPSI_NS1_7vsmem_tEENKUlT_SG_SH_SI_E_clIS7_S7_PlSB_EESF_SV_SG_SH_SI_EUlSV_E_NS1_11comp_targetILNS1_3genE2ELNS1_11target_archE906ELNS1_3gpuE6ELNS1_3repE0EEENS1_48merge_mergepath_partition_config_static_selectorELNS0_4arch9wavefront6targetE1EEEvSH_, .Lfunc_end1337-_ZN7rocprim17ROCPRIM_400000_NS6detail17trampoline_kernelINS0_14default_configENS1_38merge_sort_block_merge_config_selectorIslEEZZNS1_27merge_sort_block_merge_implIS3_PsN6thrust23THRUST_200600_302600_NS10device_ptrIlEEjNS1_19radix_merge_compareILb0ELb1EsNS0_19identity_decomposerEEEEE10hipError_tT0_T1_T2_jT3_P12ihipStream_tbPNSt15iterator_traitsISG_E10value_typeEPNSM_ISH_E10value_typeEPSI_NS1_7vsmem_tEENKUlT_SG_SH_SI_E_clIS7_S7_PlSB_EESF_SV_SG_SH_SI_EUlSV_E_NS1_11comp_targetILNS1_3genE2ELNS1_11target_archE906ELNS1_3gpuE6ELNS1_3repE0EEENS1_48merge_mergepath_partition_config_static_selectorELNS0_4arch9wavefront6targetE1EEEvSH_
                                        ; -- End function
	.section	.AMDGPU.csdata,"",@progbits
; Kernel info:
; codeLenInByte = 0
; NumSgprs: 4
; NumVgprs: 0
; NumAgprs: 0
; TotalNumVgprs: 0
; ScratchSize: 0
; MemoryBound: 0
; FloatMode: 240
; IeeeMode: 1
; LDSByteSize: 0 bytes/workgroup (compile time only)
; SGPRBlocks: 0
; VGPRBlocks: 0
; NumSGPRsForWavesPerEU: 4
; NumVGPRsForWavesPerEU: 1
; AccumOffset: 4
; Occupancy: 8
; WaveLimiterHint : 0
; COMPUTE_PGM_RSRC2:SCRATCH_EN: 0
; COMPUTE_PGM_RSRC2:USER_SGPR: 6
; COMPUTE_PGM_RSRC2:TRAP_HANDLER: 0
; COMPUTE_PGM_RSRC2:TGID_X_EN: 1
; COMPUTE_PGM_RSRC2:TGID_Y_EN: 0
; COMPUTE_PGM_RSRC2:TGID_Z_EN: 0
; COMPUTE_PGM_RSRC2:TIDIG_COMP_CNT: 0
; COMPUTE_PGM_RSRC3_GFX90A:ACCUM_OFFSET: 0
; COMPUTE_PGM_RSRC3_GFX90A:TG_SPLIT: 0
	.section	.text._ZN7rocprim17ROCPRIM_400000_NS6detail17trampoline_kernelINS0_14default_configENS1_38merge_sort_block_merge_config_selectorIslEEZZNS1_27merge_sort_block_merge_implIS3_PsN6thrust23THRUST_200600_302600_NS10device_ptrIlEEjNS1_19radix_merge_compareILb0ELb1EsNS0_19identity_decomposerEEEEE10hipError_tT0_T1_T2_jT3_P12ihipStream_tbPNSt15iterator_traitsISG_E10value_typeEPNSM_ISH_E10value_typeEPSI_NS1_7vsmem_tEENKUlT_SG_SH_SI_E_clIS7_S7_PlSB_EESF_SV_SG_SH_SI_EUlSV_E_NS1_11comp_targetILNS1_3genE9ELNS1_11target_archE1100ELNS1_3gpuE3ELNS1_3repE0EEENS1_48merge_mergepath_partition_config_static_selectorELNS0_4arch9wavefront6targetE1EEEvSH_,"axG",@progbits,_ZN7rocprim17ROCPRIM_400000_NS6detail17trampoline_kernelINS0_14default_configENS1_38merge_sort_block_merge_config_selectorIslEEZZNS1_27merge_sort_block_merge_implIS3_PsN6thrust23THRUST_200600_302600_NS10device_ptrIlEEjNS1_19radix_merge_compareILb0ELb1EsNS0_19identity_decomposerEEEEE10hipError_tT0_T1_T2_jT3_P12ihipStream_tbPNSt15iterator_traitsISG_E10value_typeEPNSM_ISH_E10value_typeEPSI_NS1_7vsmem_tEENKUlT_SG_SH_SI_E_clIS7_S7_PlSB_EESF_SV_SG_SH_SI_EUlSV_E_NS1_11comp_targetILNS1_3genE9ELNS1_11target_archE1100ELNS1_3gpuE3ELNS1_3repE0EEENS1_48merge_mergepath_partition_config_static_selectorELNS0_4arch9wavefront6targetE1EEEvSH_,comdat
	.protected	_ZN7rocprim17ROCPRIM_400000_NS6detail17trampoline_kernelINS0_14default_configENS1_38merge_sort_block_merge_config_selectorIslEEZZNS1_27merge_sort_block_merge_implIS3_PsN6thrust23THRUST_200600_302600_NS10device_ptrIlEEjNS1_19radix_merge_compareILb0ELb1EsNS0_19identity_decomposerEEEEE10hipError_tT0_T1_T2_jT3_P12ihipStream_tbPNSt15iterator_traitsISG_E10value_typeEPNSM_ISH_E10value_typeEPSI_NS1_7vsmem_tEENKUlT_SG_SH_SI_E_clIS7_S7_PlSB_EESF_SV_SG_SH_SI_EUlSV_E_NS1_11comp_targetILNS1_3genE9ELNS1_11target_archE1100ELNS1_3gpuE3ELNS1_3repE0EEENS1_48merge_mergepath_partition_config_static_selectorELNS0_4arch9wavefront6targetE1EEEvSH_ ; -- Begin function _ZN7rocprim17ROCPRIM_400000_NS6detail17trampoline_kernelINS0_14default_configENS1_38merge_sort_block_merge_config_selectorIslEEZZNS1_27merge_sort_block_merge_implIS3_PsN6thrust23THRUST_200600_302600_NS10device_ptrIlEEjNS1_19radix_merge_compareILb0ELb1EsNS0_19identity_decomposerEEEEE10hipError_tT0_T1_T2_jT3_P12ihipStream_tbPNSt15iterator_traitsISG_E10value_typeEPNSM_ISH_E10value_typeEPSI_NS1_7vsmem_tEENKUlT_SG_SH_SI_E_clIS7_S7_PlSB_EESF_SV_SG_SH_SI_EUlSV_E_NS1_11comp_targetILNS1_3genE9ELNS1_11target_archE1100ELNS1_3gpuE3ELNS1_3repE0EEENS1_48merge_mergepath_partition_config_static_selectorELNS0_4arch9wavefront6targetE1EEEvSH_
	.globl	_ZN7rocprim17ROCPRIM_400000_NS6detail17trampoline_kernelINS0_14default_configENS1_38merge_sort_block_merge_config_selectorIslEEZZNS1_27merge_sort_block_merge_implIS3_PsN6thrust23THRUST_200600_302600_NS10device_ptrIlEEjNS1_19radix_merge_compareILb0ELb1EsNS0_19identity_decomposerEEEEE10hipError_tT0_T1_T2_jT3_P12ihipStream_tbPNSt15iterator_traitsISG_E10value_typeEPNSM_ISH_E10value_typeEPSI_NS1_7vsmem_tEENKUlT_SG_SH_SI_E_clIS7_S7_PlSB_EESF_SV_SG_SH_SI_EUlSV_E_NS1_11comp_targetILNS1_3genE9ELNS1_11target_archE1100ELNS1_3gpuE3ELNS1_3repE0EEENS1_48merge_mergepath_partition_config_static_selectorELNS0_4arch9wavefront6targetE1EEEvSH_
	.p2align	8
	.type	_ZN7rocprim17ROCPRIM_400000_NS6detail17trampoline_kernelINS0_14default_configENS1_38merge_sort_block_merge_config_selectorIslEEZZNS1_27merge_sort_block_merge_implIS3_PsN6thrust23THRUST_200600_302600_NS10device_ptrIlEEjNS1_19radix_merge_compareILb0ELb1EsNS0_19identity_decomposerEEEEE10hipError_tT0_T1_T2_jT3_P12ihipStream_tbPNSt15iterator_traitsISG_E10value_typeEPNSM_ISH_E10value_typeEPSI_NS1_7vsmem_tEENKUlT_SG_SH_SI_E_clIS7_S7_PlSB_EESF_SV_SG_SH_SI_EUlSV_E_NS1_11comp_targetILNS1_3genE9ELNS1_11target_archE1100ELNS1_3gpuE3ELNS1_3repE0EEENS1_48merge_mergepath_partition_config_static_selectorELNS0_4arch9wavefront6targetE1EEEvSH_,@function
_ZN7rocprim17ROCPRIM_400000_NS6detail17trampoline_kernelINS0_14default_configENS1_38merge_sort_block_merge_config_selectorIslEEZZNS1_27merge_sort_block_merge_implIS3_PsN6thrust23THRUST_200600_302600_NS10device_ptrIlEEjNS1_19radix_merge_compareILb0ELb1EsNS0_19identity_decomposerEEEEE10hipError_tT0_T1_T2_jT3_P12ihipStream_tbPNSt15iterator_traitsISG_E10value_typeEPNSM_ISH_E10value_typeEPSI_NS1_7vsmem_tEENKUlT_SG_SH_SI_E_clIS7_S7_PlSB_EESF_SV_SG_SH_SI_EUlSV_E_NS1_11comp_targetILNS1_3genE9ELNS1_11target_archE1100ELNS1_3gpuE3ELNS1_3repE0EEENS1_48merge_mergepath_partition_config_static_selectorELNS0_4arch9wavefront6targetE1EEEvSH_: ; @_ZN7rocprim17ROCPRIM_400000_NS6detail17trampoline_kernelINS0_14default_configENS1_38merge_sort_block_merge_config_selectorIslEEZZNS1_27merge_sort_block_merge_implIS3_PsN6thrust23THRUST_200600_302600_NS10device_ptrIlEEjNS1_19radix_merge_compareILb0ELb1EsNS0_19identity_decomposerEEEEE10hipError_tT0_T1_T2_jT3_P12ihipStream_tbPNSt15iterator_traitsISG_E10value_typeEPNSM_ISH_E10value_typeEPSI_NS1_7vsmem_tEENKUlT_SG_SH_SI_E_clIS7_S7_PlSB_EESF_SV_SG_SH_SI_EUlSV_E_NS1_11comp_targetILNS1_3genE9ELNS1_11target_archE1100ELNS1_3gpuE3ELNS1_3repE0EEENS1_48merge_mergepath_partition_config_static_selectorELNS0_4arch9wavefront6targetE1EEEvSH_
; %bb.0:
	.section	.rodata,"a",@progbits
	.p2align	6, 0x0
	.amdhsa_kernel _ZN7rocprim17ROCPRIM_400000_NS6detail17trampoline_kernelINS0_14default_configENS1_38merge_sort_block_merge_config_selectorIslEEZZNS1_27merge_sort_block_merge_implIS3_PsN6thrust23THRUST_200600_302600_NS10device_ptrIlEEjNS1_19radix_merge_compareILb0ELb1EsNS0_19identity_decomposerEEEEE10hipError_tT0_T1_T2_jT3_P12ihipStream_tbPNSt15iterator_traitsISG_E10value_typeEPNSM_ISH_E10value_typeEPSI_NS1_7vsmem_tEENKUlT_SG_SH_SI_E_clIS7_S7_PlSB_EESF_SV_SG_SH_SI_EUlSV_E_NS1_11comp_targetILNS1_3genE9ELNS1_11target_archE1100ELNS1_3gpuE3ELNS1_3repE0EEENS1_48merge_mergepath_partition_config_static_selectorELNS0_4arch9wavefront6targetE1EEEvSH_
		.amdhsa_group_segment_fixed_size 0
		.amdhsa_private_segment_fixed_size 0
		.amdhsa_kernarg_size 40
		.amdhsa_user_sgpr_count 6
		.amdhsa_user_sgpr_private_segment_buffer 1
		.amdhsa_user_sgpr_dispatch_ptr 0
		.amdhsa_user_sgpr_queue_ptr 0
		.amdhsa_user_sgpr_kernarg_segment_ptr 1
		.amdhsa_user_sgpr_dispatch_id 0
		.amdhsa_user_sgpr_flat_scratch_init 0
		.amdhsa_user_sgpr_kernarg_preload_length 0
		.amdhsa_user_sgpr_kernarg_preload_offset 0
		.amdhsa_user_sgpr_private_segment_size 0
		.amdhsa_uses_dynamic_stack 0
		.amdhsa_system_sgpr_private_segment_wavefront_offset 0
		.amdhsa_system_sgpr_workgroup_id_x 1
		.amdhsa_system_sgpr_workgroup_id_y 0
		.amdhsa_system_sgpr_workgroup_id_z 0
		.amdhsa_system_sgpr_workgroup_info 0
		.amdhsa_system_vgpr_workitem_id 0
		.amdhsa_next_free_vgpr 1
		.amdhsa_next_free_sgpr 0
		.amdhsa_accum_offset 4
		.amdhsa_reserve_vcc 0
		.amdhsa_reserve_flat_scratch 0
		.amdhsa_float_round_mode_32 0
		.amdhsa_float_round_mode_16_64 0
		.amdhsa_float_denorm_mode_32 3
		.amdhsa_float_denorm_mode_16_64 3
		.amdhsa_dx10_clamp 1
		.amdhsa_ieee_mode 1
		.amdhsa_fp16_overflow 0
		.amdhsa_tg_split 0
		.amdhsa_exception_fp_ieee_invalid_op 0
		.amdhsa_exception_fp_denorm_src 0
		.amdhsa_exception_fp_ieee_div_zero 0
		.amdhsa_exception_fp_ieee_overflow 0
		.amdhsa_exception_fp_ieee_underflow 0
		.amdhsa_exception_fp_ieee_inexact 0
		.amdhsa_exception_int_div_zero 0
	.end_amdhsa_kernel
	.section	.text._ZN7rocprim17ROCPRIM_400000_NS6detail17trampoline_kernelINS0_14default_configENS1_38merge_sort_block_merge_config_selectorIslEEZZNS1_27merge_sort_block_merge_implIS3_PsN6thrust23THRUST_200600_302600_NS10device_ptrIlEEjNS1_19radix_merge_compareILb0ELb1EsNS0_19identity_decomposerEEEEE10hipError_tT0_T1_T2_jT3_P12ihipStream_tbPNSt15iterator_traitsISG_E10value_typeEPNSM_ISH_E10value_typeEPSI_NS1_7vsmem_tEENKUlT_SG_SH_SI_E_clIS7_S7_PlSB_EESF_SV_SG_SH_SI_EUlSV_E_NS1_11comp_targetILNS1_3genE9ELNS1_11target_archE1100ELNS1_3gpuE3ELNS1_3repE0EEENS1_48merge_mergepath_partition_config_static_selectorELNS0_4arch9wavefront6targetE1EEEvSH_,"axG",@progbits,_ZN7rocprim17ROCPRIM_400000_NS6detail17trampoline_kernelINS0_14default_configENS1_38merge_sort_block_merge_config_selectorIslEEZZNS1_27merge_sort_block_merge_implIS3_PsN6thrust23THRUST_200600_302600_NS10device_ptrIlEEjNS1_19radix_merge_compareILb0ELb1EsNS0_19identity_decomposerEEEEE10hipError_tT0_T1_T2_jT3_P12ihipStream_tbPNSt15iterator_traitsISG_E10value_typeEPNSM_ISH_E10value_typeEPSI_NS1_7vsmem_tEENKUlT_SG_SH_SI_E_clIS7_S7_PlSB_EESF_SV_SG_SH_SI_EUlSV_E_NS1_11comp_targetILNS1_3genE9ELNS1_11target_archE1100ELNS1_3gpuE3ELNS1_3repE0EEENS1_48merge_mergepath_partition_config_static_selectorELNS0_4arch9wavefront6targetE1EEEvSH_,comdat
.Lfunc_end1338:
	.size	_ZN7rocprim17ROCPRIM_400000_NS6detail17trampoline_kernelINS0_14default_configENS1_38merge_sort_block_merge_config_selectorIslEEZZNS1_27merge_sort_block_merge_implIS3_PsN6thrust23THRUST_200600_302600_NS10device_ptrIlEEjNS1_19radix_merge_compareILb0ELb1EsNS0_19identity_decomposerEEEEE10hipError_tT0_T1_T2_jT3_P12ihipStream_tbPNSt15iterator_traitsISG_E10value_typeEPNSM_ISH_E10value_typeEPSI_NS1_7vsmem_tEENKUlT_SG_SH_SI_E_clIS7_S7_PlSB_EESF_SV_SG_SH_SI_EUlSV_E_NS1_11comp_targetILNS1_3genE9ELNS1_11target_archE1100ELNS1_3gpuE3ELNS1_3repE0EEENS1_48merge_mergepath_partition_config_static_selectorELNS0_4arch9wavefront6targetE1EEEvSH_, .Lfunc_end1338-_ZN7rocprim17ROCPRIM_400000_NS6detail17trampoline_kernelINS0_14default_configENS1_38merge_sort_block_merge_config_selectorIslEEZZNS1_27merge_sort_block_merge_implIS3_PsN6thrust23THRUST_200600_302600_NS10device_ptrIlEEjNS1_19radix_merge_compareILb0ELb1EsNS0_19identity_decomposerEEEEE10hipError_tT0_T1_T2_jT3_P12ihipStream_tbPNSt15iterator_traitsISG_E10value_typeEPNSM_ISH_E10value_typeEPSI_NS1_7vsmem_tEENKUlT_SG_SH_SI_E_clIS7_S7_PlSB_EESF_SV_SG_SH_SI_EUlSV_E_NS1_11comp_targetILNS1_3genE9ELNS1_11target_archE1100ELNS1_3gpuE3ELNS1_3repE0EEENS1_48merge_mergepath_partition_config_static_selectorELNS0_4arch9wavefront6targetE1EEEvSH_
                                        ; -- End function
	.section	.AMDGPU.csdata,"",@progbits
; Kernel info:
; codeLenInByte = 0
; NumSgprs: 4
; NumVgprs: 0
; NumAgprs: 0
; TotalNumVgprs: 0
; ScratchSize: 0
; MemoryBound: 0
; FloatMode: 240
; IeeeMode: 1
; LDSByteSize: 0 bytes/workgroup (compile time only)
; SGPRBlocks: 0
; VGPRBlocks: 0
; NumSGPRsForWavesPerEU: 4
; NumVGPRsForWavesPerEU: 1
; AccumOffset: 4
; Occupancy: 8
; WaveLimiterHint : 0
; COMPUTE_PGM_RSRC2:SCRATCH_EN: 0
; COMPUTE_PGM_RSRC2:USER_SGPR: 6
; COMPUTE_PGM_RSRC2:TRAP_HANDLER: 0
; COMPUTE_PGM_RSRC2:TGID_X_EN: 1
; COMPUTE_PGM_RSRC2:TGID_Y_EN: 0
; COMPUTE_PGM_RSRC2:TGID_Z_EN: 0
; COMPUTE_PGM_RSRC2:TIDIG_COMP_CNT: 0
; COMPUTE_PGM_RSRC3_GFX90A:ACCUM_OFFSET: 0
; COMPUTE_PGM_RSRC3_GFX90A:TG_SPLIT: 0
	.section	.text._ZN7rocprim17ROCPRIM_400000_NS6detail17trampoline_kernelINS0_14default_configENS1_38merge_sort_block_merge_config_selectorIslEEZZNS1_27merge_sort_block_merge_implIS3_PsN6thrust23THRUST_200600_302600_NS10device_ptrIlEEjNS1_19radix_merge_compareILb0ELb1EsNS0_19identity_decomposerEEEEE10hipError_tT0_T1_T2_jT3_P12ihipStream_tbPNSt15iterator_traitsISG_E10value_typeEPNSM_ISH_E10value_typeEPSI_NS1_7vsmem_tEENKUlT_SG_SH_SI_E_clIS7_S7_PlSB_EESF_SV_SG_SH_SI_EUlSV_E_NS1_11comp_targetILNS1_3genE8ELNS1_11target_archE1030ELNS1_3gpuE2ELNS1_3repE0EEENS1_48merge_mergepath_partition_config_static_selectorELNS0_4arch9wavefront6targetE1EEEvSH_,"axG",@progbits,_ZN7rocprim17ROCPRIM_400000_NS6detail17trampoline_kernelINS0_14default_configENS1_38merge_sort_block_merge_config_selectorIslEEZZNS1_27merge_sort_block_merge_implIS3_PsN6thrust23THRUST_200600_302600_NS10device_ptrIlEEjNS1_19radix_merge_compareILb0ELb1EsNS0_19identity_decomposerEEEEE10hipError_tT0_T1_T2_jT3_P12ihipStream_tbPNSt15iterator_traitsISG_E10value_typeEPNSM_ISH_E10value_typeEPSI_NS1_7vsmem_tEENKUlT_SG_SH_SI_E_clIS7_S7_PlSB_EESF_SV_SG_SH_SI_EUlSV_E_NS1_11comp_targetILNS1_3genE8ELNS1_11target_archE1030ELNS1_3gpuE2ELNS1_3repE0EEENS1_48merge_mergepath_partition_config_static_selectorELNS0_4arch9wavefront6targetE1EEEvSH_,comdat
	.protected	_ZN7rocprim17ROCPRIM_400000_NS6detail17trampoline_kernelINS0_14default_configENS1_38merge_sort_block_merge_config_selectorIslEEZZNS1_27merge_sort_block_merge_implIS3_PsN6thrust23THRUST_200600_302600_NS10device_ptrIlEEjNS1_19radix_merge_compareILb0ELb1EsNS0_19identity_decomposerEEEEE10hipError_tT0_T1_T2_jT3_P12ihipStream_tbPNSt15iterator_traitsISG_E10value_typeEPNSM_ISH_E10value_typeEPSI_NS1_7vsmem_tEENKUlT_SG_SH_SI_E_clIS7_S7_PlSB_EESF_SV_SG_SH_SI_EUlSV_E_NS1_11comp_targetILNS1_3genE8ELNS1_11target_archE1030ELNS1_3gpuE2ELNS1_3repE0EEENS1_48merge_mergepath_partition_config_static_selectorELNS0_4arch9wavefront6targetE1EEEvSH_ ; -- Begin function _ZN7rocprim17ROCPRIM_400000_NS6detail17trampoline_kernelINS0_14default_configENS1_38merge_sort_block_merge_config_selectorIslEEZZNS1_27merge_sort_block_merge_implIS3_PsN6thrust23THRUST_200600_302600_NS10device_ptrIlEEjNS1_19radix_merge_compareILb0ELb1EsNS0_19identity_decomposerEEEEE10hipError_tT0_T1_T2_jT3_P12ihipStream_tbPNSt15iterator_traitsISG_E10value_typeEPNSM_ISH_E10value_typeEPSI_NS1_7vsmem_tEENKUlT_SG_SH_SI_E_clIS7_S7_PlSB_EESF_SV_SG_SH_SI_EUlSV_E_NS1_11comp_targetILNS1_3genE8ELNS1_11target_archE1030ELNS1_3gpuE2ELNS1_3repE0EEENS1_48merge_mergepath_partition_config_static_selectorELNS0_4arch9wavefront6targetE1EEEvSH_
	.globl	_ZN7rocprim17ROCPRIM_400000_NS6detail17trampoline_kernelINS0_14default_configENS1_38merge_sort_block_merge_config_selectorIslEEZZNS1_27merge_sort_block_merge_implIS3_PsN6thrust23THRUST_200600_302600_NS10device_ptrIlEEjNS1_19radix_merge_compareILb0ELb1EsNS0_19identity_decomposerEEEEE10hipError_tT0_T1_T2_jT3_P12ihipStream_tbPNSt15iterator_traitsISG_E10value_typeEPNSM_ISH_E10value_typeEPSI_NS1_7vsmem_tEENKUlT_SG_SH_SI_E_clIS7_S7_PlSB_EESF_SV_SG_SH_SI_EUlSV_E_NS1_11comp_targetILNS1_3genE8ELNS1_11target_archE1030ELNS1_3gpuE2ELNS1_3repE0EEENS1_48merge_mergepath_partition_config_static_selectorELNS0_4arch9wavefront6targetE1EEEvSH_
	.p2align	8
	.type	_ZN7rocprim17ROCPRIM_400000_NS6detail17trampoline_kernelINS0_14default_configENS1_38merge_sort_block_merge_config_selectorIslEEZZNS1_27merge_sort_block_merge_implIS3_PsN6thrust23THRUST_200600_302600_NS10device_ptrIlEEjNS1_19radix_merge_compareILb0ELb1EsNS0_19identity_decomposerEEEEE10hipError_tT0_T1_T2_jT3_P12ihipStream_tbPNSt15iterator_traitsISG_E10value_typeEPNSM_ISH_E10value_typeEPSI_NS1_7vsmem_tEENKUlT_SG_SH_SI_E_clIS7_S7_PlSB_EESF_SV_SG_SH_SI_EUlSV_E_NS1_11comp_targetILNS1_3genE8ELNS1_11target_archE1030ELNS1_3gpuE2ELNS1_3repE0EEENS1_48merge_mergepath_partition_config_static_selectorELNS0_4arch9wavefront6targetE1EEEvSH_,@function
_ZN7rocprim17ROCPRIM_400000_NS6detail17trampoline_kernelINS0_14default_configENS1_38merge_sort_block_merge_config_selectorIslEEZZNS1_27merge_sort_block_merge_implIS3_PsN6thrust23THRUST_200600_302600_NS10device_ptrIlEEjNS1_19radix_merge_compareILb0ELb1EsNS0_19identity_decomposerEEEEE10hipError_tT0_T1_T2_jT3_P12ihipStream_tbPNSt15iterator_traitsISG_E10value_typeEPNSM_ISH_E10value_typeEPSI_NS1_7vsmem_tEENKUlT_SG_SH_SI_E_clIS7_S7_PlSB_EESF_SV_SG_SH_SI_EUlSV_E_NS1_11comp_targetILNS1_3genE8ELNS1_11target_archE1030ELNS1_3gpuE2ELNS1_3repE0EEENS1_48merge_mergepath_partition_config_static_selectorELNS0_4arch9wavefront6targetE1EEEvSH_: ; @_ZN7rocprim17ROCPRIM_400000_NS6detail17trampoline_kernelINS0_14default_configENS1_38merge_sort_block_merge_config_selectorIslEEZZNS1_27merge_sort_block_merge_implIS3_PsN6thrust23THRUST_200600_302600_NS10device_ptrIlEEjNS1_19radix_merge_compareILb0ELb1EsNS0_19identity_decomposerEEEEE10hipError_tT0_T1_T2_jT3_P12ihipStream_tbPNSt15iterator_traitsISG_E10value_typeEPNSM_ISH_E10value_typeEPSI_NS1_7vsmem_tEENKUlT_SG_SH_SI_E_clIS7_S7_PlSB_EESF_SV_SG_SH_SI_EUlSV_E_NS1_11comp_targetILNS1_3genE8ELNS1_11target_archE1030ELNS1_3gpuE2ELNS1_3repE0EEENS1_48merge_mergepath_partition_config_static_selectorELNS0_4arch9wavefront6targetE1EEEvSH_
; %bb.0:
	.section	.rodata,"a",@progbits
	.p2align	6, 0x0
	.amdhsa_kernel _ZN7rocprim17ROCPRIM_400000_NS6detail17trampoline_kernelINS0_14default_configENS1_38merge_sort_block_merge_config_selectorIslEEZZNS1_27merge_sort_block_merge_implIS3_PsN6thrust23THRUST_200600_302600_NS10device_ptrIlEEjNS1_19radix_merge_compareILb0ELb1EsNS0_19identity_decomposerEEEEE10hipError_tT0_T1_T2_jT3_P12ihipStream_tbPNSt15iterator_traitsISG_E10value_typeEPNSM_ISH_E10value_typeEPSI_NS1_7vsmem_tEENKUlT_SG_SH_SI_E_clIS7_S7_PlSB_EESF_SV_SG_SH_SI_EUlSV_E_NS1_11comp_targetILNS1_3genE8ELNS1_11target_archE1030ELNS1_3gpuE2ELNS1_3repE0EEENS1_48merge_mergepath_partition_config_static_selectorELNS0_4arch9wavefront6targetE1EEEvSH_
		.amdhsa_group_segment_fixed_size 0
		.amdhsa_private_segment_fixed_size 0
		.amdhsa_kernarg_size 40
		.amdhsa_user_sgpr_count 6
		.amdhsa_user_sgpr_private_segment_buffer 1
		.amdhsa_user_sgpr_dispatch_ptr 0
		.amdhsa_user_sgpr_queue_ptr 0
		.amdhsa_user_sgpr_kernarg_segment_ptr 1
		.amdhsa_user_sgpr_dispatch_id 0
		.amdhsa_user_sgpr_flat_scratch_init 0
		.amdhsa_user_sgpr_kernarg_preload_length 0
		.amdhsa_user_sgpr_kernarg_preload_offset 0
		.amdhsa_user_sgpr_private_segment_size 0
		.amdhsa_uses_dynamic_stack 0
		.amdhsa_system_sgpr_private_segment_wavefront_offset 0
		.amdhsa_system_sgpr_workgroup_id_x 1
		.amdhsa_system_sgpr_workgroup_id_y 0
		.amdhsa_system_sgpr_workgroup_id_z 0
		.amdhsa_system_sgpr_workgroup_info 0
		.amdhsa_system_vgpr_workitem_id 0
		.amdhsa_next_free_vgpr 1
		.amdhsa_next_free_sgpr 0
		.amdhsa_accum_offset 4
		.amdhsa_reserve_vcc 0
		.amdhsa_reserve_flat_scratch 0
		.amdhsa_float_round_mode_32 0
		.amdhsa_float_round_mode_16_64 0
		.amdhsa_float_denorm_mode_32 3
		.amdhsa_float_denorm_mode_16_64 3
		.amdhsa_dx10_clamp 1
		.amdhsa_ieee_mode 1
		.amdhsa_fp16_overflow 0
		.amdhsa_tg_split 0
		.amdhsa_exception_fp_ieee_invalid_op 0
		.amdhsa_exception_fp_denorm_src 0
		.amdhsa_exception_fp_ieee_div_zero 0
		.amdhsa_exception_fp_ieee_overflow 0
		.amdhsa_exception_fp_ieee_underflow 0
		.amdhsa_exception_fp_ieee_inexact 0
		.amdhsa_exception_int_div_zero 0
	.end_amdhsa_kernel
	.section	.text._ZN7rocprim17ROCPRIM_400000_NS6detail17trampoline_kernelINS0_14default_configENS1_38merge_sort_block_merge_config_selectorIslEEZZNS1_27merge_sort_block_merge_implIS3_PsN6thrust23THRUST_200600_302600_NS10device_ptrIlEEjNS1_19radix_merge_compareILb0ELb1EsNS0_19identity_decomposerEEEEE10hipError_tT0_T1_T2_jT3_P12ihipStream_tbPNSt15iterator_traitsISG_E10value_typeEPNSM_ISH_E10value_typeEPSI_NS1_7vsmem_tEENKUlT_SG_SH_SI_E_clIS7_S7_PlSB_EESF_SV_SG_SH_SI_EUlSV_E_NS1_11comp_targetILNS1_3genE8ELNS1_11target_archE1030ELNS1_3gpuE2ELNS1_3repE0EEENS1_48merge_mergepath_partition_config_static_selectorELNS0_4arch9wavefront6targetE1EEEvSH_,"axG",@progbits,_ZN7rocprim17ROCPRIM_400000_NS6detail17trampoline_kernelINS0_14default_configENS1_38merge_sort_block_merge_config_selectorIslEEZZNS1_27merge_sort_block_merge_implIS3_PsN6thrust23THRUST_200600_302600_NS10device_ptrIlEEjNS1_19radix_merge_compareILb0ELb1EsNS0_19identity_decomposerEEEEE10hipError_tT0_T1_T2_jT3_P12ihipStream_tbPNSt15iterator_traitsISG_E10value_typeEPNSM_ISH_E10value_typeEPSI_NS1_7vsmem_tEENKUlT_SG_SH_SI_E_clIS7_S7_PlSB_EESF_SV_SG_SH_SI_EUlSV_E_NS1_11comp_targetILNS1_3genE8ELNS1_11target_archE1030ELNS1_3gpuE2ELNS1_3repE0EEENS1_48merge_mergepath_partition_config_static_selectorELNS0_4arch9wavefront6targetE1EEEvSH_,comdat
.Lfunc_end1339:
	.size	_ZN7rocprim17ROCPRIM_400000_NS6detail17trampoline_kernelINS0_14default_configENS1_38merge_sort_block_merge_config_selectorIslEEZZNS1_27merge_sort_block_merge_implIS3_PsN6thrust23THRUST_200600_302600_NS10device_ptrIlEEjNS1_19radix_merge_compareILb0ELb1EsNS0_19identity_decomposerEEEEE10hipError_tT0_T1_T2_jT3_P12ihipStream_tbPNSt15iterator_traitsISG_E10value_typeEPNSM_ISH_E10value_typeEPSI_NS1_7vsmem_tEENKUlT_SG_SH_SI_E_clIS7_S7_PlSB_EESF_SV_SG_SH_SI_EUlSV_E_NS1_11comp_targetILNS1_3genE8ELNS1_11target_archE1030ELNS1_3gpuE2ELNS1_3repE0EEENS1_48merge_mergepath_partition_config_static_selectorELNS0_4arch9wavefront6targetE1EEEvSH_, .Lfunc_end1339-_ZN7rocprim17ROCPRIM_400000_NS6detail17trampoline_kernelINS0_14default_configENS1_38merge_sort_block_merge_config_selectorIslEEZZNS1_27merge_sort_block_merge_implIS3_PsN6thrust23THRUST_200600_302600_NS10device_ptrIlEEjNS1_19radix_merge_compareILb0ELb1EsNS0_19identity_decomposerEEEEE10hipError_tT0_T1_T2_jT3_P12ihipStream_tbPNSt15iterator_traitsISG_E10value_typeEPNSM_ISH_E10value_typeEPSI_NS1_7vsmem_tEENKUlT_SG_SH_SI_E_clIS7_S7_PlSB_EESF_SV_SG_SH_SI_EUlSV_E_NS1_11comp_targetILNS1_3genE8ELNS1_11target_archE1030ELNS1_3gpuE2ELNS1_3repE0EEENS1_48merge_mergepath_partition_config_static_selectorELNS0_4arch9wavefront6targetE1EEEvSH_
                                        ; -- End function
	.section	.AMDGPU.csdata,"",@progbits
; Kernel info:
; codeLenInByte = 0
; NumSgprs: 4
; NumVgprs: 0
; NumAgprs: 0
; TotalNumVgprs: 0
; ScratchSize: 0
; MemoryBound: 0
; FloatMode: 240
; IeeeMode: 1
; LDSByteSize: 0 bytes/workgroup (compile time only)
; SGPRBlocks: 0
; VGPRBlocks: 0
; NumSGPRsForWavesPerEU: 4
; NumVGPRsForWavesPerEU: 1
; AccumOffset: 4
; Occupancy: 8
; WaveLimiterHint : 0
; COMPUTE_PGM_RSRC2:SCRATCH_EN: 0
; COMPUTE_PGM_RSRC2:USER_SGPR: 6
; COMPUTE_PGM_RSRC2:TRAP_HANDLER: 0
; COMPUTE_PGM_RSRC2:TGID_X_EN: 1
; COMPUTE_PGM_RSRC2:TGID_Y_EN: 0
; COMPUTE_PGM_RSRC2:TGID_Z_EN: 0
; COMPUTE_PGM_RSRC2:TIDIG_COMP_CNT: 0
; COMPUTE_PGM_RSRC3_GFX90A:ACCUM_OFFSET: 0
; COMPUTE_PGM_RSRC3_GFX90A:TG_SPLIT: 0
	.section	.text._ZN7rocprim17ROCPRIM_400000_NS6detail17trampoline_kernelINS0_14default_configENS1_38merge_sort_block_merge_config_selectorIslEEZZNS1_27merge_sort_block_merge_implIS3_PsN6thrust23THRUST_200600_302600_NS10device_ptrIlEEjNS1_19radix_merge_compareILb0ELb1EsNS0_19identity_decomposerEEEEE10hipError_tT0_T1_T2_jT3_P12ihipStream_tbPNSt15iterator_traitsISG_E10value_typeEPNSM_ISH_E10value_typeEPSI_NS1_7vsmem_tEENKUlT_SG_SH_SI_E_clIS7_S7_PlSB_EESF_SV_SG_SH_SI_EUlSV_E0_NS1_11comp_targetILNS1_3genE0ELNS1_11target_archE4294967295ELNS1_3gpuE0ELNS1_3repE0EEENS1_38merge_mergepath_config_static_selectorELNS0_4arch9wavefront6targetE1EEEvSH_,"axG",@progbits,_ZN7rocprim17ROCPRIM_400000_NS6detail17trampoline_kernelINS0_14default_configENS1_38merge_sort_block_merge_config_selectorIslEEZZNS1_27merge_sort_block_merge_implIS3_PsN6thrust23THRUST_200600_302600_NS10device_ptrIlEEjNS1_19radix_merge_compareILb0ELb1EsNS0_19identity_decomposerEEEEE10hipError_tT0_T1_T2_jT3_P12ihipStream_tbPNSt15iterator_traitsISG_E10value_typeEPNSM_ISH_E10value_typeEPSI_NS1_7vsmem_tEENKUlT_SG_SH_SI_E_clIS7_S7_PlSB_EESF_SV_SG_SH_SI_EUlSV_E0_NS1_11comp_targetILNS1_3genE0ELNS1_11target_archE4294967295ELNS1_3gpuE0ELNS1_3repE0EEENS1_38merge_mergepath_config_static_selectorELNS0_4arch9wavefront6targetE1EEEvSH_,comdat
	.protected	_ZN7rocprim17ROCPRIM_400000_NS6detail17trampoline_kernelINS0_14default_configENS1_38merge_sort_block_merge_config_selectorIslEEZZNS1_27merge_sort_block_merge_implIS3_PsN6thrust23THRUST_200600_302600_NS10device_ptrIlEEjNS1_19radix_merge_compareILb0ELb1EsNS0_19identity_decomposerEEEEE10hipError_tT0_T1_T2_jT3_P12ihipStream_tbPNSt15iterator_traitsISG_E10value_typeEPNSM_ISH_E10value_typeEPSI_NS1_7vsmem_tEENKUlT_SG_SH_SI_E_clIS7_S7_PlSB_EESF_SV_SG_SH_SI_EUlSV_E0_NS1_11comp_targetILNS1_3genE0ELNS1_11target_archE4294967295ELNS1_3gpuE0ELNS1_3repE0EEENS1_38merge_mergepath_config_static_selectorELNS0_4arch9wavefront6targetE1EEEvSH_ ; -- Begin function _ZN7rocprim17ROCPRIM_400000_NS6detail17trampoline_kernelINS0_14default_configENS1_38merge_sort_block_merge_config_selectorIslEEZZNS1_27merge_sort_block_merge_implIS3_PsN6thrust23THRUST_200600_302600_NS10device_ptrIlEEjNS1_19radix_merge_compareILb0ELb1EsNS0_19identity_decomposerEEEEE10hipError_tT0_T1_T2_jT3_P12ihipStream_tbPNSt15iterator_traitsISG_E10value_typeEPNSM_ISH_E10value_typeEPSI_NS1_7vsmem_tEENKUlT_SG_SH_SI_E_clIS7_S7_PlSB_EESF_SV_SG_SH_SI_EUlSV_E0_NS1_11comp_targetILNS1_3genE0ELNS1_11target_archE4294967295ELNS1_3gpuE0ELNS1_3repE0EEENS1_38merge_mergepath_config_static_selectorELNS0_4arch9wavefront6targetE1EEEvSH_
	.globl	_ZN7rocprim17ROCPRIM_400000_NS6detail17trampoline_kernelINS0_14default_configENS1_38merge_sort_block_merge_config_selectorIslEEZZNS1_27merge_sort_block_merge_implIS3_PsN6thrust23THRUST_200600_302600_NS10device_ptrIlEEjNS1_19radix_merge_compareILb0ELb1EsNS0_19identity_decomposerEEEEE10hipError_tT0_T1_T2_jT3_P12ihipStream_tbPNSt15iterator_traitsISG_E10value_typeEPNSM_ISH_E10value_typeEPSI_NS1_7vsmem_tEENKUlT_SG_SH_SI_E_clIS7_S7_PlSB_EESF_SV_SG_SH_SI_EUlSV_E0_NS1_11comp_targetILNS1_3genE0ELNS1_11target_archE4294967295ELNS1_3gpuE0ELNS1_3repE0EEENS1_38merge_mergepath_config_static_selectorELNS0_4arch9wavefront6targetE1EEEvSH_
	.p2align	8
	.type	_ZN7rocprim17ROCPRIM_400000_NS6detail17trampoline_kernelINS0_14default_configENS1_38merge_sort_block_merge_config_selectorIslEEZZNS1_27merge_sort_block_merge_implIS3_PsN6thrust23THRUST_200600_302600_NS10device_ptrIlEEjNS1_19radix_merge_compareILb0ELb1EsNS0_19identity_decomposerEEEEE10hipError_tT0_T1_T2_jT3_P12ihipStream_tbPNSt15iterator_traitsISG_E10value_typeEPNSM_ISH_E10value_typeEPSI_NS1_7vsmem_tEENKUlT_SG_SH_SI_E_clIS7_S7_PlSB_EESF_SV_SG_SH_SI_EUlSV_E0_NS1_11comp_targetILNS1_3genE0ELNS1_11target_archE4294967295ELNS1_3gpuE0ELNS1_3repE0EEENS1_38merge_mergepath_config_static_selectorELNS0_4arch9wavefront6targetE1EEEvSH_,@function
_ZN7rocprim17ROCPRIM_400000_NS6detail17trampoline_kernelINS0_14default_configENS1_38merge_sort_block_merge_config_selectorIslEEZZNS1_27merge_sort_block_merge_implIS3_PsN6thrust23THRUST_200600_302600_NS10device_ptrIlEEjNS1_19radix_merge_compareILb0ELb1EsNS0_19identity_decomposerEEEEE10hipError_tT0_T1_T2_jT3_P12ihipStream_tbPNSt15iterator_traitsISG_E10value_typeEPNSM_ISH_E10value_typeEPSI_NS1_7vsmem_tEENKUlT_SG_SH_SI_E_clIS7_S7_PlSB_EESF_SV_SG_SH_SI_EUlSV_E0_NS1_11comp_targetILNS1_3genE0ELNS1_11target_archE4294967295ELNS1_3gpuE0ELNS1_3repE0EEENS1_38merge_mergepath_config_static_selectorELNS0_4arch9wavefront6targetE1EEEvSH_: ; @_ZN7rocprim17ROCPRIM_400000_NS6detail17trampoline_kernelINS0_14default_configENS1_38merge_sort_block_merge_config_selectorIslEEZZNS1_27merge_sort_block_merge_implIS3_PsN6thrust23THRUST_200600_302600_NS10device_ptrIlEEjNS1_19radix_merge_compareILb0ELb1EsNS0_19identity_decomposerEEEEE10hipError_tT0_T1_T2_jT3_P12ihipStream_tbPNSt15iterator_traitsISG_E10value_typeEPNSM_ISH_E10value_typeEPSI_NS1_7vsmem_tEENKUlT_SG_SH_SI_E_clIS7_S7_PlSB_EESF_SV_SG_SH_SI_EUlSV_E0_NS1_11comp_targetILNS1_3genE0ELNS1_11target_archE4294967295ELNS1_3gpuE0ELNS1_3repE0EEENS1_38merge_mergepath_config_static_selectorELNS0_4arch9wavefront6targetE1EEEvSH_
; %bb.0:
	.section	.rodata,"a",@progbits
	.p2align	6, 0x0
	.amdhsa_kernel _ZN7rocprim17ROCPRIM_400000_NS6detail17trampoline_kernelINS0_14default_configENS1_38merge_sort_block_merge_config_selectorIslEEZZNS1_27merge_sort_block_merge_implIS3_PsN6thrust23THRUST_200600_302600_NS10device_ptrIlEEjNS1_19radix_merge_compareILb0ELb1EsNS0_19identity_decomposerEEEEE10hipError_tT0_T1_T2_jT3_P12ihipStream_tbPNSt15iterator_traitsISG_E10value_typeEPNSM_ISH_E10value_typeEPSI_NS1_7vsmem_tEENKUlT_SG_SH_SI_E_clIS7_S7_PlSB_EESF_SV_SG_SH_SI_EUlSV_E0_NS1_11comp_targetILNS1_3genE0ELNS1_11target_archE4294967295ELNS1_3gpuE0ELNS1_3repE0EEENS1_38merge_mergepath_config_static_selectorELNS0_4arch9wavefront6targetE1EEEvSH_
		.amdhsa_group_segment_fixed_size 0
		.amdhsa_private_segment_fixed_size 0
		.amdhsa_kernarg_size 64
		.amdhsa_user_sgpr_count 6
		.amdhsa_user_sgpr_private_segment_buffer 1
		.amdhsa_user_sgpr_dispatch_ptr 0
		.amdhsa_user_sgpr_queue_ptr 0
		.amdhsa_user_sgpr_kernarg_segment_ptr 1
		.amdhsa_user_sgpr_dispatch_id 0
		.amdhsa_user_sgpr_flat_scratch_init 0
		.amdhsa_user_sgpr_kernarg_preload_length 0
		.amdhsa_user_sgpr_kernarg_preload_offset 0
		.amdhsa_user_sgpr_private_segment_size 0
		.amdhsa_uses_dynamic_stack 0
		.amdhsa_system_sgpr_private_segment_wavefront_offset 0
		.amdhsa_system_sgpr_workgroup_id_x 1
		.amdhsa_system_sgpr_workgroup_id_y 0
		.amdhsa_system_sgpr_workgroup_id_z 0
		.amdhsa_system_sgpr_workgroup_info 0
		.amdhsa_system_vgpr_workitem_id 0
		.amdhsa_next_free_vgpr 1
		.amdhsa_next_free_sgpr 0
		.amdhsa_accum_offset 4
		.amdhsa_reserve_vcc 0
		.amdhsa_reserve_flat_scratch 0
		.amdhsa_float_round_mode_32 0
		.amdhsa_float_round_mode_16_64 0
		.amdhsa_float_denorm_mode_32 3
		.amdhsa_float_denorm_mode_16_64 3
		.amdhsa_dx10_clamp 1
		.amdhsa_ieee_mode 1
		.amdhsa_fp16_overflow 0
		.amdhsa_tg_split 0
		.amdhsa_exception_fp_ieee_invalid_op 0
		.amdhsa_exception_fp_denorm_src 0
		.amdhsa_exception_fp_ieee_div_zero 0
		.amdhsa_exception_fp_ieee_overflow 0
		.amdhsa_exception_fp_ieee_underflow 0
		.amdhsa_exception_fp_ieee_inexact 0
		.amdhsa_exception_int_div_zero 0
	.end_amdhsa_kernel
	.section	.text._ZN7rocprim17ROCPRIM_400000_NS6detail17trampoline_kernelINS0_14default_configENS1_38merge_sort_block_merge_config_selectorIslEEZZNS1_27merge_sort_block_merge_implIS3_PsN6thrust23THRUST_200600_302600_NS10device_ptrIlEEjNS1_19radix_merge_compareILb0ELb1EsNS0_19identity_decomposerEEEEE10hipError_tT0_T1_T2_jT3_P12ihipStream_tbPNSt15iterator_traitsISG_E10value_typeEPNSM_ISH_E10value_typeEPSI_NS1_7vsmem_tEENKUlT_SG_SH_SI_E_clIS7_S7_PlSB_EESF_SV_SG_SH_SI_EUlSV_E0_NS1_11comp_targetILNS1_3genE0ELNS1_11target_archE4294967295ELNS1_3gpuE0ELNS1_3repE0EEENS1_38merge_mergepath_config_static_selectorELNS0_4arch9wavefront6targetE1EEEvSH_,"axG",@progbits,_ZN7rocprim17ROCPRIM_400000_NS6detail17trampoline_kernelINS0_14default_configENS1_38merge_sort_block_merge_config_selectorIslEEZZNS1_27merge_sort_block_merge_implIS3_PsN6thrust23THRUST_200600_302600_NS10device_ptrIlEEjNS1_19radix_merge_compareILb0ELb1EsNS0_19identity_decomposerEEEEE10hipError_tT0_T1_T2_jT3_P12ihipStream_tbPNSt15iterator_traitsISG_E10value_typeEPNSM_ISH_E10value_typeEPSI_NS1_7vsmem_tEENKUlT_SG_SH_SI_E_clIS7_S7_PlSB_EESF_SV_SG_SH_SI_EUlSV_E0_NS1_11comp_targetILNS1_3genE0ELNS1_11target_archE4294967295ELNS1_3gpuE0ELNS1_3repE0EEENS1_38merge_mergepath_config_static_selectorELNS0_4arch9wavefront6targetE1EEEvSH_,comdat
.Lfunc_end1340:
	.size	_ZN7rocprim17ROCPRIM_400000_NS6detail17trampoline_kernelINS0_14default_configENS1_38merge_sort_block_merge_config_selectorIslEEZZNS1_27merge_sort_block_merge_implIS3_PsN6thrust23THRUST_200600_302600_NS10device_ptrIlEEjNS1_19radix_merge_compareILb0ELb1EsNS0_19identity_decomposerEEEEE10hipError_tT0_T1_T2_jT3_P12ihipStream_tbPNSt15iterator_traitsISG_E10value_typeEPNSM_ISH_E10value_typeEPSI_NS1_7vsmem_tEENKUlT_SG_SH_SI_E_clIS7_S7_PlSB_EESF_SV_SG_SH_SI_EUlSV_E0_NS1_11comp_targetILNS1_3genE0ELNS1_11target_archE4294967295ELNS1_3gpuE0ELNS1_3repE0EEENS1_38merge_mergepath_config_static_selectorELNS0_4arch9wavefront6targetE1EEEvSH_, .Lfunc_end1340-_ZN7rocprim17ROCPRIM_400000_NS6detail17trampoline_kernelINS0_14default_configENS1_38merge_sort_block_merge_config_selectorIslEEZZNS1_27merge_sort_block_merge_implIS3_PsN6thrust23THRUST_200600_302600_NS10device_ptrIlEEjNS1_19radix_merge_compareILb0ELb1EsNS0_19identity_decomposerEEEEE10hipError_tT0_T1_T2_jT3_P12ihipStream_tbPNSt15iterator_traitsISG_E10value_typeEPNSM_ISH_E10value_typeEPSI_NS1_7vsmem_tEENKUlT_SG_SH_SI_E_clIS7_S7_PlSB_EESF_SV_SG_SH_SI_EUlSV_E0_NS1_11comp_targetILNS1_3genE0ELNS1_11target_archE4294967295ELNS1_3gpuE0ELNS1_3repE0EEENS1_38merge_mergepath_config_static_selectorELNS0_4arch9wavefront6targetE1EEEvSH_
                                        ; -- End function
	.section	.AMDGPU.csdata,"",@progbits
; Kernel info:
; codeLenInByte = 0
; NumSgprs: 4
; NumVgprs: 0
; NumAgprs: 0
; TotalNumVgprs: 0
; ScratchSize: 0
; MemoryBound: 0
; FloatMode: 240
; IeeeMode: 1
; LDSByteSize: 0 bytes/workgroup (compile time only)
; SGPRBlocks: 0
; VGPRBlocks: 0
; NumSGPRsForWavesPerEU: 4
; NumVGPRsForWavesPerEU: 1
; AccumOffset: 4
; Occupancy: 8
; WaveLimiterHint : 0
; COMPUTE_PGM_RSRC2:SCRATCH_EN: 0
; COMPUTE_PGM_RSRC2:USER_SGPR: 6
; COMPUTE_PGM_RSRC2:TRAP_HANDLER: 0
; COMPUTE_PGM_RSRC2:TGID_X_EN: 1
; COMPUTE_PGM_RSRC2:TGID_Y_EN: 0
; COMPUTE_PGM_RSRC2:TGID_Z_EN: 0
; COMPUTE_PGM_RSRC2:TIDIG_COMP_CNT: 0
; COMPUTE_PGM_RSRC3_GFX90A:ACCUM_OFFSET: 0
; COMPUTE_PGM_RSRC3_GFX90A:TG_SPLIT: 0
	.section	.text._ZN7rocprim17ROCPRIM_400000_NS6detail17trampoline_kernelINS0_14default_configENS1_38merge_sort_block_merge_config_selectorIslEEZZNS1_27merge_sort_block_merge_implIS3_PsN6thrust23THRUST_200600_302600_NS10device_ptrIlEEjNS1_19radix_merge_compareILb0ELb1EsNS0_19identity_decomposerEEEEE10hipError_tT0_T1_T2_jT3_P12ihipStream_tbPNSt15iterator_traitsISG_E10value_typeEPNSM_ISH_E10value_typeEPSI_NS1_7vsmem_tEENKUlT_SG_SH_SI_E_clIS7_S7_PlSB_EESF_SV_SG_SH_SI_EUlSV_E0_NS1_11comp_targetILNS1_3genE10ELNS1_11target_archE1201ELNS1_3gpuE5ELNS1_3repE0EEENS1_38merge_mergepath_config_static_selectorELNS0_4arch9wavefront6targetE1EEEvSH_,"axG",@progbits,_ZN7rocprim17ROCPRIM_400000_NS6detail17trampoline_kernelINS0_14default_configENS1_38merge_sort_block_merge_config_selectorIslEEZZNS1_27merge_sort_block_merge_implIS3_PsN6thrust23THRUST_200600_302600_NS10device_ptrIlEEjNS1_19radix_merge_compareILb0ELb1EsNS0_19identity_decomposerEEEEE10hipError_tT0_T1_T2_jT3_P12ihipStream_tbPNSt15iterator_traitsISG_E10value_typeEPNSM_ISH_E10value_typeEPSI_NS1_7vsmem_tEENKUlT_SG_SH_SI_E_clIS7_S7_PlSB_EESF_SV_SG_SH_SI_EUlSV_E0_NS1_11comp_targetILNS1_3genE10ELNS1_11target_archE1201ELNS1_3gpuE5ELNS1_3repE0EEENS1_38merge_mergepath_config_static_selectorELNS0_4arch9wavefront6targetE1EEEvSH_,comdat
	.protected	_ZN7rocprim17ROCPRIM_400000_NS6detail17trampoline_kernelINS0_14default_configENS1_38merge_sort_block_merge_config_selectorIslEEZZNS1_27merge_sort_block_merge_implIS3_PsN6thrust23THRUST_200600_302600_NS10device_ptrIlEEjNS1_19radix_merge_compareILb0ELb1EsNS0_19identity_decomposerEEEEE10hipError_tT0_T1_T2_jT3_P12ihipStream_tbPNSt15iterator_traitsISG_E10value_typeEPNSM_ISH_E10value_typeEPSI_NS1_7vsmem_tEENKUlT_SG_SH_SI_E_clIS7_S7_PlSB_EESF_SV_SG_SH_SI_EUlSV_E0_NS1_11comp_targetILNS1_3genE10ELNS1_11target_archE1201ELNS1_3gpuE5ELNS1_3repE0EEENS1_38merge_mergepath_config_static_selectorELNS0_4arch9wavefront6targetE1EEEvSH_ ; -- Begin function _ZN7rocprim17ROCPRIM_400000_NS6detail17trampoline_kernelINS0_14default_configENS1_38merge_sort_block_merge_config_selectorIslEEZZNS1_27merge_sort_block_merge_implIS3_PsN6thrust23THRUST_200600_302600_NS10device_ptrIlEEjNS1_19radix_merge_compareILb0ELb1EsNS0_19identity_decomposerEEEEE10hipError_tT0_T1_T2_jT3_P12ihipStream_tbPNSt15iterator_traitsISG_E10value_typeEPNSM_ISH_E10value_typeEPSI_NS1_7vsmem_tEENKUlT_SG_SH_SI_E_clIS7_S7_PlSB_EESF_SV_SG_SH_SI_EUlSV_E0_NS1_11comp_targetILNS1_3genE10ELNS1_11target_archE1201ELNS1_3gpuE5ELNS1_3repE0EEENS1_38merge_mergepath_config_static_selectorELNS0_4arch9wavefront6targetE1EEEvSH_
	.globl	_ZN7rocprim17ROCPRIM_400000_NS6detail17trampoline_kernelINS0_14default_configENS1_38merge_sort_block_merge_config_selectorIslEEZZNS1_27merge_sort_block_merge_implIS3_PsN6thrust23THRUST_200600_302600_NS10device_ptrIlEEjNS1_19radix_merge_compareILb0ELb1EsNS0_19identity_decomposerEEEEE10hipError_tT0_T1_T2_jT3_P12ihipStream_tbPNSt15iterator_traitsISG_E10value_typeEPNSM_ISH_E10value_typeEPSI_NS1_7vsmem_tEENKUlT_SG_SH_SI_E_clIS7_S7_PlSB_EESF_SV_SG_SH_SI_EUlSV_E0_NS1_11comp_targetILNS1_3genE10ELNS1_11target_archE1201ELNS1_3gpuE5ELNS1_3repE0EEENS1_38merge_mergepath_config_static_selectorELNS0_4arch9wavefront6targetE1EEEvSH_
	.p2align	8
	.type	_ZN7rocprim17ROCPRIM_400000_NS6detail17trampoline_kernelINS0_14default_configENS1_38merge_sort_block_merge_config_selectorIslEEZZNS1_27merge_sort_block_merge_implIS3_PsN6thrust23THRUST_200600_302600_NS10device_ptrIlEEjNS1_19radix_merge_compareILb0ELb1EsNS0_19identity_decomposerEEEEE10hipError_tT0_T1_T2_jT3_P12ihipStream_tbPNSt15iterator_traitsISG_E10value_typeEPNSM_ISH_E10value_typeEPSI_NS1_7vsmem_tEENKUlT_SG_SH_SI_E_clIS7_S7_PlSB_EESF_SV_SG_SH_SI_EUlSV_E0_NS1_11comp_targetILNS1_3genE10ELNS1_11target_archE1201ELNS1_3gpuE5ELNS1_3repE0EEENS1_38merge_mergepath_config_static_selectorELNS0_4arch9wavefront6targetE1EEEvSH_,@function
_ZN7rocprim17ROCPRIM_400000_NS6detail17trampoline_kernelINS0_14default_configENS1_38merge_sort_block_merge_config_selectorIslEEZZNS1_27merge_sort_block_merge_implIS3_PsN6thrust23THRUST_200600_302600_NS10device_ptrIlEEjNS1_19radix_merge_compareILb0ELb1EsNS0_19identity_decomposerEEEEE10hipError_tT0_T1_T2_jT3_P12ihipStream_tbPNSt15iterator_traitsISG_E10value_typeEPNSM_ISH_E10value_typeEPSI_NS1_7vsmem_tEENKUlT_SG_SH_SI_E_clIS7_S7_PlSB_EESF_SV_SG_SH_SI_EUlSV_E0_NS1_11comp_targetILNS1_3genE10ELNS1_11target_archE1201ELNS1_3gpuE5ELNS1_3repE0EEENS1_38merge_mergepath_config_static_selectorELNS0_4arch9wavefront6targetE1EEEvSH_: ; @_ZN7rocprim17ROCPRIM_400000_NS6detail17trampoline_kernelINS0_14default_configENS1_38merge_sort_block_merge_config_selectorIslEEZZNS1_27merge_sort_block_merge_implIS3_PsN6thrust23THRUST_200600_302600_NS10device_ptrIlEEjNS1_19radix_merge_compareILb0ELb1EsNS0_19identity_decomposerEEEEE10hipError_tT0_T1_T2_jT3_P12ihipStream_tbPNSt15iterator_traitsISG_E10value_typeEPNSM_ISH_E10value_typeEPSI_NS1_7vsmem_tEENKUlT_SG_SH_SI_E_clIS7_S7_PlSB_EESF_SV_SG_SH_SI_EUlSV_E0_NS1_11comp_targetILNS1_3genE10ELNS1_11target_archE1201ELNS1_3gpuE5ELNS1_3repE0EEENS1_38merge_mergepath_config_static_selectorELNS0_4arch9wavefront6targetE1EEEvSH_
; %bb.0:
	.section	.rodata,"a",@progbits
	.p2align	6, 0x0
	.amdhsa_kernel _ZN7rocprim17ROCPRIM_400000_NS6detail17trampoline_kernelINS0_14default_configENS1_38merge_sort_block_merge_config_selectorIslEEZZNS1_27merge_sort_block_merge_implIS3_PsN6thrust23THRUST_200600_302600_NS10device_ptrIlEEjNS1_19radix_merge_compareILb0ELb1EsNS0_19identity_decomposerEEEEE10hipError_tT0_T1_T2_jT3_P12ihipStream_tbPNSt15iterator_traitsISG_E10value_typeEPNSM_ISH_E10value_typeEPSI_NS1_7vsmem_tEENKUlT_SG_SH_SI_E_clIS7_S7_PlSB_EESF_SV_SG_SH_SI_EUlSV_E0_NS1_11comp_targetILNS1_3genE10ELNS1_11target_archE1201ELNS1_3gpuE5ELNS1_3repE0EEENS1_38merge_mergepath_config_static_selectorELNS0_4arch9wavefront6targetE1EEEvSH_
		.amdhsa_group_segment_fixed_size 0
		.amdhsa_private_segment_fixed_size 0
		.amdhsa_kernarg_size 64
		.amdhsa_user_sgpr_count 6
		.amdhsa_user_sgpr_private_segment_buffer 1
		.amdhsa_user_sgpr_dispatch_ptr 0
		.amdhsa_user_sgpr_queue_ptr 0
		.amdhsa_user_sgpr_kernarg_segment_ptr 1
		.amdhsa_user_sgpr_dispatch_id 0
		.amdhsa_user_sgpr_flat_scratch_init 0
		.amdhsa_user_sgpr_kernarg_preload_length 0
		.amdhsa_user_sgpr_kernarg_preload_offset 0
		.amdhsa_user_sgpr_private_segment_size 0
		.amdhsa_uses_dynamic_stack 0
		.amdhsa_system_sgpr_private_segment_wavefront_offset 0
		.amdhsa_system_sgpr_workgroup_id_x 1
		.amdhsa_system_sgpr_workgroup_id_y 0
		.amdhsa_system_sgpr_workgroup_id_z 0
		.amdhsa_system_sgpr_workgroup_info 0
		.amdhsa_system_vgpr_workitem_id 0
		.amdhsa_next_free_vgpr 1
		.amdhsa_next_free_sgpr 0
		.amdhsa_accum_offset 4
		.amdhsa_reserve_vcc 0
		.amdhsa_reserve_flat_scratch 0
		.amdhsa_float_round_mode_32 0
		.amdhsa_float_round_mode_16_64 0
		.amdhsa_float_denorm_mode_32 3
		.amdhsa_float_denorm_mode_16_64 3
		.amdhsa_dx10_clamp 1
		.amdhsa_ieee_mode 1
		.amdhsa_fp16_overflow 0
		.amdhsa_tg_split 0
		.amdhsa_exception_fp_ieee_invalid_op 0
		.amdhsa_exception_fp_denorm_src 0
		.amdhsa_exception_fp_ieee_div_zero 0
		.amdhsa_exception_fp_ieee_overflow 0
		.amdhsa_exception_fp_ieee_underflow 0
		.amdhsa_exception_fp_ieee_inexact 0
		.amdhsa_exception_int_div_zero 0
	.end_amdhsa_kernel
	.section	.text._ZN7rocprim17ROCPRIM_400000_NS6detail17trampoline_kernelINS0_14default_configENS1_38merge_sort_block_merge_config_selectorIslEEZZNS1_27merge_sort_block_merge_implIS3_PsN6thrust23THRUST_200600_302600_NS10device_ptrIlEEjNS1_19radix_merge_compareILb0ELb1EsNS0_19identity_decomposerEEEEE10hipError_tT0_T1_T2_jT3_P12ihipStream_tbPNSt15iterator_traitsISG_E10value_typeEPNSM_ISH_E10value_typeEPSI_NS1_7vsmem_tEENKUlT_SG_SH_SI_E_clIS7_S7_PlSB_EESF_SV_SG_SH_SI_EUlSV_E0_NS1_11comp_targetILNS1_3genE10ELNS1_11target_archE1201ELNS1_3gpuE5ELNS1_3repE0EEENS1_38merge_mergepath_config_static_selectorELNS0_4arch9wavefront6targetE1EEEvSH_,"axG",@progbits,_ZN7rocprim17ROCPRIM_400000_NS6detail17trampoline_kernelINS0_14default_configENS1_38merge_sort_block_merge_config_selectorIslEEZZNS1_27merge_sort_block_merge_implIS3_PsN6thrust23THRUST_200600_302600_NS10device_ptrIlEEjNS1_19radix_merge_compareILb0ELb1EsNS0_19identity_decomposerEEEEE10hipError_tT0_T1_T2_jT3_P12ihipStream_tbPNSt15iterator_traitsISG_E10value_typeEPNSM_ISH_E10value_typeEPSI_NS1_7vsmem_tEENKUlT_SG_SH_SI_E_clIS7_S7_PlSB_EESF_SV_SG_SH_SI_EUlSV_E0_NS1_11comp_targetILNS1_3genE10ELNS1_11target_archE1201ELNS1_3gpuE5ELNS1_3repE0EEENS1_38merge_mergepath_config_static_selectorELNS0_4arch9wavefront6targetE1EEEvSH_,comdat
.Lfunc_end1341:
	.size	_ZN7rocprim17ROCPRIM_400000_NS6detail17trampoline_kernelINS0_14default_configENS1_38merge_sort_block_merge_config_selectorIslEEZZNS1_27merge_sort_block_merge_implIS3_PsN6thrust23THRUST_200600_302600_NS10device_ptrIlEEjNS1_19radix_merge_compareILb0ELb1EsNS0_19identity_decomposerEEEEE10hipError_tT0_T1_T2_jT3_P12ihipStream_tbPNSt15iterator_traitsISG_E10value_typeEPNSM_ISH_E10value_typeEPSI_NS1_7vsmem_tEENKUlT_SG_SH_SI_E_clIS7_S7_PlSB_EESF_SV_SG_SH_SI_EUlSV_E0_NS1_11comp_targetILNS1_3genE10ELNS1_11target_archE1201ELNS1_3gpuE5ELNS1_3repE0EEENS1_38merge_mergepath_config_static_selectorELNS0_4arch9wavefront6targetE1EEEvSH_, .Lfunc_end1341-_ZN7rocprim17ROCPRIM_400000_NS6detail17trampoline_kernelINS0_14default_configENS1_38merge_sort_block_merge_config_selectorIslEEZZNS1_27merge_sort_block_merge_implIS3_PsN6thrust23THRUST_200600_302600_NS10device_ptrIlEEjNS1_19radix_merge_compareILb0ELb1EsNS0_19identity_decomposerEEEEE10hipError_tT0_T1_T2_jT3_P12ihipStream_tbPNSt15iterator_traitsISG_E10value_typeEPNSM_ISH_E10value_typeEPSI_NS1_7vsmem_tEENKUlT_SG_SH_SI_E_clIS7_S7_PlSB_EESF_SV_SG_SH_SI_EUlSV_E0_NS1_11comp_targetILNS1_3genE10ELNS1_11target_archE1201ELNS1_3gpuE5ELNS1_3repE0EEENS1_38merge_mergepath_config_static_selectorELNS0_4arch9wavefront6targetE1EEEvSH_
                                        ; -- End function
	.section	.AMDGPU.csdata,"",@progbits
; Kernel info:
; codeLenInByte = 0
; NumSgprs: 4
; NumVgprs: 0
; NumAgprs: 0
; TotalNumVgprs: 0
; ScratchSize: 0
; MemoryBound: 0
; FloatMode: 240
; IeeeMode: 1
; LDSByteSize: 0 bytes/workgroup (compile time only)
; SGPRBlocks: 0
; VGPRBlocks: 0
; NumSGPRsForWavesPerEU: 4
; NumVGPRsForWavesPerEU: 1
; AccumOffset: 4
; Occupancy: 8
; WaveLimiterHint : 0
; COMPUTE_PGM_RSRC2:SCRATCH_EN: 0
; COMPUTE_PGM_RSRC2:USER_SGPR: 6
; COMPUTE_PGM_RSRC2:TRAP_HANDLER: 0
; COMPUTE_PGM_RSRC2:TGID_X_EN: 1
; COMPUTE_PGM_RSRC2:TGID_Y_EN: 0
; COMPUTE_PGM_RSRC2:TGID_Z_EN: 0
; COMPUTE_PGM_RSRC2:TIDIG_COMP_CNT: 0
; COMPUTE_PGM_RSRC3_GFX90A:ACCUM_OFFSET: 0
; COMPUTE_PGM_RSRC3_GFX90A:TG_SPLIT: 0
	.section	.text._ZN7rocprim17ROCPRIM_400000_NS6detail17trampoline_kernelINS0_14default_configENS1_38merge_sort_block_merge_config_selectorIslEEZZNS1_27merge_sort_block_merge_implIS3_PsN6thrust23THRUST_200600_302600_NS10device_ptrIlEEjNS1_19radix_merge_compareILb0ELb1EsNS0_19identity_decomposerEEEEE10hipError_tT0_T1_T2_jT3_P12ihipStream_tbPNSt15iterator_traitsISG_E10value_typeEPNSM_ISH_E10value_typeEPSI_NS1_7vsmem_tEENKUlT_SG_SH_SI_E_clIS7_S7_PlSB_EESF_SV_SG_SH_SI_EUlSV_E0_NS1_11comp_targetILNS1_3genE5ELNS1_11target_archE942ELNS1_3gpuE9ELNS1_3repE0EEENS1_38merge_mergepath_config_static_selectorELNS0_4arch9wavefront6targetE1EEEvSH_,"axG",@progbits,_ZN7rocprim17ROCPRIM_400000_NS6detail17trampoline_kernelINS0_14default_configENS1_38merge_sort_block_merge_config_selectorIslEEZZNS1_27merge_sort_block_merge_implIS3_PsN6thrust23THRUST_200600_302600_NS10device_ptrIlEEjNS1_19radix_merge_compareILb0ELb1EsNS0_19identity_decomposerEEEEE10hipError_tT0_T1_T2_jT3_P12ihipStream_tbPNSt15iterator_traitsISG_E10value_typeEPNSM_ISH_E10value_typeEPSI_NS1_7vsmem_tEENKUlT_SG_SH_SI_E_clIS7_S7_PlSB_EESF_SV_SG_SH_SI_EUlSV_E0_NS1_11comp_targetILNS1_3genE5ELNS1_11target_archE942ELNS1_3gpuE9ELNS1_3repE0EEENS1_38merge_mergepath_config_static_selectorELNS0_4arch9wavefront6targetE1EEEvSH_,comdat
	.protected	_ZN7rocprim17ROCPRIM_400000_NS6detail17trampoline_kernelINS0_14default_configENS1_38merge_sort_block_merge_config_selectorIslEEZZNS1_27merge_sort_block_merge_implIS3_PsN6thrust23THRUST_200600_302600_NS10device_ptrIlEEjNS1_19radix_merge_compareILb0ELb1EsNS0_19identity_decomposerEEEEE10hipError_tT0_T1_T2_jT3_P12ihipStream_tbPNSt15iterator_traitsISG_E10value_typeEPNSM_ISH_E10value_typeEPSI_NS1_7vsmem_tEENKUlT_SG_SH_SI_E_clIS7_S7_PlSB_EESF_SV_SG_SH_SI_EUlSV_E0_NS1_11comp_targetILNS1_3genE5ELNS1_11target_archE942ELNS1_3gpuE9ELNS1_3repE0EEENS1_38merge_mergepath_config_static_selectorELNS0_4arch9wavefront6targetE1EEEvSH_ ; -- Begin function _ZN7rocprim17ROCPRIM_400000_NS6detail17trampoline_kernelINS0_14default_configENS1_38merge_sort_block_merge_config_selectorIslEEZZNS1_27merge_sort_block_merge_implIS3_PsN6thrust23THRUST_200600_302600_NS10device_ptrIlEEjNS1_19radix_merge_compareILb0ELb1EsNS0_19identity_decomposerEEEEE10hipError_tT0_T1_T2_jT3_P12ihipStream_tbPNSt15iterator_traitsISG_E10value_typeEPNSM_ISH_E10value_typeEPSI_NS1_7vsmem_tEENKUlT_SG_SH_SI_E_clIS7_S7_PlSB_EESF_SV_SG_SH_SI_EUlSV_E0_NS1_11comp_targetILNS1_3genE5ELNS1_11target_archE942ELNS1_3gpuE9ELNS1_3repE0EEENS1_38merge_mergepath_config_static_selectorELNS0_4arch9wavefront6targetE1EEEvSH_
	.globl	_ZN7rocprim17ROCPRIM_400000_NS6detail17trampoline_kernelINS0_14default_configENS1_38merge_sort_block_merge_config_selectorIslEEZZNS1_27merge_sort_block_merge_implIS3_PsN6thrust23THRUST_200600_302600_NS10device_ptrIlEEjNS1_19radix_merge_compareILb0ELb1EsNS0_19identity_decomposerEEEEE10hipError_tT0_T1_T2_jT3_P12ihipStream_tbPNSt15iterator_traitsISG_E10value_typeEPNSM_ISH_E10value_typeEPSI_NS1_7vsmem_tEENKUlT_SG_SH_SI_E_clIS7_S7_PlSB_EESF_SV_SG_SH_SI_EUlSV_E0_NS1_11comp_targetILNS1_3genE5ELNS1_11target_archE942ELNS1_3gpuE9ELNS1_3repE0EEENS1_38merge_mergepath_config_static_selectorELNS0_4arch9wavefront6targetE1EEEvSH_
	.p2align	8
	.type	_ZN7rocprim17ROCPRIM_400000_NS6detail17trampoline_kernelINS0_14default_configENS1_38merge_sort_block_merge_config_selectorIslEEZZNS1_27merge_sort_block_merge_implIS3_PsN6thrust23THRUST_200600_302600_NS10device_ptrIlEEjNS1_19radix_merge_compareILb0ELb1EsNS0_19identity_decomposerEEEEE10hipError_tT0_T1_T2_jT3_P12ihipStream_tbPNSt15iterator_traitsISG_E10value_typeEPNSM_ISH_E10value_typeEPSI_NS1_7vsmem_tEENKUlT_SG_SH_SI_E_clIS7_S7_PlSB_EESF_SV_SG_SH_SI_EUlSV_E0_NS1_11comp_targetILNS1_3genE5ELNS1_11target_archE942ELNS1_3gpuE9ELNS1_3repE0EEENS1_38merge_mergepath_config_static_selectorELNS0_4arch9wavefront6targetE1EEEvSH_,@function
_ZN7rocprim17ROCPRIM_400000_NS6detail17trampoline_kernelINS0_14default_configENS1_38merge_sort_block_merge_config_selectorIslEEZZNS1_27merge_sort_block_merge_implIS3_PsN6thrust23THRUST_200600_302600_NS10device_ptrIlEEjNS1_19radix_merge_compareILb0ELb1EsNS0_19identity_decomposerEEEEE10hipError_tT0_T1_T2_jT3_P12ihipStream_tbPNSt15iterator_traitsISG_E10value_typeEPNSM_ISH_E10value_typeEPSI_NS1_7vsmem_tEENKUlT_SG_SH_SI_E_clIS7_S7_PlSB_EESF_SV_SG_SH_SI_EUlSV_E0_NS1_11comp_targetILNS1_3genE5ELNS1_11target_archE942ELNS1_3gpuE9ELNS1_3repE0EEENS1_38merge_mergepath_config_static_selectorELNS0_4arch9wavefront6targetE1EEEvSH_: ; @_ZN7rocprim17ROCPRIM_400000_NS6detail17trampoline_kernelINS0_14default_configENS1_38merge_sort_block_merge_config_selectorIslEEZZNS1_27merge_sort_block_merge_implIS3_PsN6thrust23THRUST_200600_302600_NS10device_ptrIlEEjNS1_19radix_merge_compareILb0ELb1EsNS0_19identity_decomposerEEEEE10hipError_tT0_T1_T2_jT3_P12ihipStream_tbPNSt15iterator_traitsISG_E10value_typeEPNSM_ISH_E10value_typeEPSI_NS1_7vsmem_tEENKUlT_SG_SH_SI_E_clIS7_S7_PlSB_EESF_SV_SG_SH_SI_EUlSV_E0_NS1_11comp_targetILNS1_3genE5ELNS1_11target_archE942ELNS1_3gpuE9ELNS1_3repE0EEENS1_38merge_mergepath_config_static_selectorELNS0_4arch9wavefront6targetE1EEEvSH_
; %bb.0:
	.section	.rodata,"a",@progbits
	.p2align	6, 0x0
	.amdhsa_kernel _ZN7rocprim17ROCPRIM_400000_NS6detail17trampoline_kernelINS0_14default_configENS1_38merge_sort_block_merge_config_selectorIslEEZZNS1_27merge_sort_block_merge_implIS3_PsN6thrust23THRUST_200600_302600_NS10device_ptrIlEEjNS1_19radix_merge_compareILb0ELb1EsNS0_19identity_decomposerEEEEE10hipError_tT0_T1_T2_jT3_P12ihipStream_tbPNSt15iterator_traitsISG_E10value_typeEPNSM_ISH_E10value_typeEPSI_NS1_7vsmem_tEENKUlT_SG_SH_SI_E_clIS7_S7_PlSB_EESF_SV_SG_SH_SI_EUlSV_E0_NS1_11comp_targetILNS1_3genE5ELNS1_11target_archE942ELNS1_3gpuE9ELNS1_3repE0EEENS1_38merge_mergepath_config_static_selectorELNS0_4arch9wavefront6targetE1EEEvSH_
		.amdhsa_group_segment_fixed_size 0
		.amdhsa_private_segment_fixed_size 0
		.amdhsa_kernarg_size 64
		.amdhsa_user_sgpr_count 6
		.amdhsa_user_sgpr_private_segment_buffer 1
		.amdhsa_user_sgpr_dispatch_ptr 0
		.amdhsa_user_sgpr_queue_ptr 0
		.amdhsa_user_sgpr_kernarg_segment_ptr 1
		.amdhsa_user_sgpr_dispatch_id 0
		.amdhsa_user_sgpr_flat_scratch_init 0
		.amdhsa_user_sgpr_kernarg_preload_length 0
		.amdhsa_user_sgpr_kernarg_preload_offset 0
		.amdhsa_user_sgpr_private_segment_size 0
		.amdhsa_uses_dynamic_stack 0
		.amdhsa_system_sgpr_private_segment_wavefront_offset 0
		.amdhsa_system_sgpr_workgroup_id_x 1
		.amdhsa_system_sgpr_workgroup_id_y 0
		.amdhsa_system_sgpr_workgroup_id_z 0
		.amdhsa_system_sgpr_workgroup_info 0
		.amdhsa_system_vgpr_workitem_id 0
		.amdhsa_next_free_vgpr 1
		.amdhsa_next_free_sgpr 0
		.amdhsa_accum_offset 4
		.amdhsa_reserve_vcc 0
		.amdhsa_reserve_flat_scratch 0
		.amdhsa_float_round_mode_32 0
		.amdhsa_float_round_mode_16_64 0
		.amdhsa_float_denorm_mode_32 3
		.amdhsa_float_denorm_mode_16_64 3
		.amdhsa_dx10_clamp 1
		.amdhsa_ieee_mode 1
		.amdhsa_fp16_overflow 0
		.amdhsa_tg_split 0
		.amdhsa_exception_fp_ieee_invalid_op 0
		.amdhsa_exception_fp_denorm_src 0
		.amdhsa_exception_fp_ieee_div_zero 0
		.amdhsa_exception_fp_ieee_overflow 0
		.amdhsa_exception_fp_ieee_underflow 0
		.amdhsa_exception_fp_ieee_inexact 0
		.amdhsa_exception_int_div_zero 0
	.end_amdhsa_kernel
	.section	.text._ZN7rocprim17ROCPRIM_400000_NS6detail17trampoline_kernelINS0_14default_configENS1_38merge_sort_block_merge_config_selectorIslEEZZNS1_27merge_sort_block_merge_implIS3_PsN6thrust23THRUST_200600_302600_NS10device_ptrIlEEjNS1_19radix_merge_compareILb0ELb1EsNS0_19identity_decomposerEEEEE10hipError_tT0_T1_T2_jT3_P12ihipStream_tbPNSt15iterator_traitsISG_E10value_typeEPNSM_ISH_E10value_typeEPSI_NS1_7vsmem_tEENKUlT_SG_SH_SI_E_clIS7_S7_PlSB_EESF_SV_SG_SH_SI_EUlSV_E0_NS1_11comp_targetILNS1_3genE5ELNS1_11target_archE942ELNS1_3gpuE9ELNS1_3repE0EEENS1_38merge_mergepath_config_static_selectorELNS0_4arch9wavefront6targetE1EEEvSH_,"axG",@progbits,_ZN7rocprim17ROCPRIM_400000_NS6detail17trampoline_kernelINS0_14default_configENS1_38merge_sort_block_merge_config_selectorIslEEZZNS1_27merge_sort_block_merge_implIS3_PsN6thrust23THRUST_200600_302600_NS10device_ptrIlEEjNS1_19radix_merge_compareILb0ELb1EsNS0_19identity_decomposerEEEEE10hipError_tT0_T1_T2_jT3_P12ihipStream_tbPNSt15iterator_traitsISG_E10value_typeEPNSM_ISH_E10value_typeEPSI_NS1_7vsmem_tEENKUlT_SG_SH_SI_E_clIS7_S7_PlSB_EESF_SV_SG_SH_SI_EUlSV_E0_NS1_11comp_targetILNS1_3genE5ELNS1_11target_archE942ELNS1_3gpuE9ELNS1_3repE0EEENS1_38merge_mergepath_config_static_selectorELNS0_4arch9wavefront6targetE1EEEvSH_,comdat
.Lfunc_end1342:
	.size	_ZN7rocprim17ROCPRIM_400000_NS6detail17trampoline_kernelINS0_14default_configENS1_38merge_sort_block_merge_config_selectorIslEEZZNS1_27merge_sort_block_merge_implIS3_PsN6thrust23THRUST_200600_302600_NS10device_ptrIlEEjNS1_19radix_merge_compareILb0ELb1EsNS0_19identity_decomposerEEEEE10hipError_tT0_T1_T2_jT3_P12ihipStream_tbPNSt15iterator_traitsISG_E10value_typeEPNSM_ISH_E10value_typeEPSI_NS1_7vsmem_tEENKUlT_SG_SH_SI_E_clIS7_S7_PlSB_EESF_SV_SG_SH_SI_EUlSV_E0_NS1_11comp_targetILNS1_3genE5ELNS1_11target_archE942ELNS1_3gpuE9ELNS1_3repE0EEENS1_38merge_mergepath_config_static_selectorELNS0_4arch9wavefront6targetE1EEEvSH_, .Lfunc_end1342-_ZN7rocprim17ROCPRIM_400000_NS6detail17trampoline_kernelINS0_14default_configENS1_38merge_sort_block_merge_config_selectorIslEEZZNS1_27merge_sort_block_merge_implIS3_PsN6thrust23THRUST_200600_302600_NS10device_ptrIlEEjNS1_19radix_merge_compareILb0ELb1EsNS0_19identity_decomposerEEEEE10hipError_tT0_T1_T2_jT3_P12ihipStream_tbPNSt15iterator_traitsISG_E10value_typeEPNSM_ISH_E10value_typeEPSI_NS1_7vsmem_tEENKUlT_SG_SH_SI_E_clIS7_S7_PlSB_EESF_SV_SG_SH_SI_EUlSV_E0_NS1_11comp_targetILNS1_3genE5ELNS1_11target_archE942ELNS1_3gpuE9ELNS1_3repE0EEENS1_38merge_mergepath_config_static_selectorELNS0_4arch9wavefront6targetE1EEEvSH_
                                        ; -- End function
	.section	.AMDGPU.csdata,"",@progbits
; Kernel info:
; codeLenInByte = 0
; NumSgprs: 4
; NumVgprs: 0
; NumAgprs: 0
; TotalNumVgprs: 0
; ScratchSize: 0
; MemoryBound: 0
; FloatMode: 240
; IeeeMode: 1
; LDSByteSize: 0 bytes/workgroup (compile time only)
; SGPRBlocks: 0
; VGPRBlocks: 0
; NumSGPRsForWavesPerEU: 4
; NumVGPRsForWavesPerEU: 1
; AccumOffset: 4
; Occupancy: 8
; WaveLimiterHint : 0
; COMPUTE_PGM_RSRC2:SCRATCH_EN: 0
; COMPUTE_PGM_RSRC2:USER_SGPR: 6
; COMPUTE_PGM_RSRC2:TRAP_HANDLER: 0
; COMPUTE_PGM_RSRC2:TGID_X_EN: 1
; COMPUTE_PGM_RSRC2:TGID_Y_EN: 0
; COMPUTE_PGM_RSRC2:TGID_Z_EN: 0
; COMPUTE_PGM_RSRC2:TIDIG_COMP_CNT: 0
; COMPUTE_PGM_RSRC3_GFX90A:ACCUM_OFFSET: 0
; COMPUTE_PGM_RSRC3_GFX90A:TG_SPLIT: 0
	.section	.text._ZN7rocprim17ROCPRIM_400000_NS6detail17trampoline_kernelINS0_14default_configENS1_38merge_sort_block_merge_config_selectorIslEEZZNS1_27merge_sort_block_merge_implIS3_PsN6thrust23THRUST_200600_302600_NS10device_ptrIlEEjNS1_19radix_merge_compareILb0ELb1EsNS0_19identity_decomposerEEEEE10hipError_tT0_T1_T2_jT3_P12ihipStream_tbPNSt15iterator_traitsISG_E10value_typeEPNSM_ISH_E10value_typeEPSI_NS1_7vsmem_tEENKUlT_SG_SH_SI_E_clIS7_S7_PlSB_EESF_SV_SG_SH_SI_EUlSV_E0_NS1_11comp_targetILNS1_3genE4ELNS1_11target_archE910ELNS1_3gpuE8ELNS1_3repE0EEENS1_38merge_mergepath_config_static_selectorELNS0_4arch9wavefront6targetE1EEEvSH_,"axG",@progbits,_ZN7rocprim17ROCPRIM_400000_NS6detail17trampoline_kernelINS0_14default_configENS1_38merge_sort_block_merge_config_selectorIslEEZZNS1_27merge_sort_block_merge_implIS3_PsN6thrust23THRUST_200600_302600_NS10device_ptrIlEEjNS1_19radix_merge_compareILb0ELb1EsNS0_19identity_decomposerEEEEE10hipError_tT0_T1_T2_jT3_P12ihipStream_tbPNSt15iterator_traitsISG_E10value_typeEPNSM_ISH_E10value_typeEPSI_NS1_7vsmem_tEENKUlT_SG_SH_SI_E_clIS7_S7_PlSB_EESF_SV_SG_SH_SI_EUlSV_E0_NS1_11comp_targetILNS1_3genE4ELNS1_11target_archE910ELNS1_3gpuE8ELNS1_3repE0EEENS1_38merge_mergepath_config_static_selectorELNS0_4arch9wavefront6targetE1EEEvSH_,comdat
	.protected	_ZN7rocprim17ROCPRIM_400000_NS6detail17trampoline_kernelINS0_14default_configENS1_38merge_sort_block_merge_config_selectorIslEEZZNS1_27merge_sort_block_merge_implIS3_PsN6thrust23THRUST_200600_302600_NS10device_ptrIlEEjNS1_19radix_merge_compareILb0ELb1EsNS0_19identity_decomposerEEEEE10hipError_tT0_T1_T2_jT3_P12ihipStream_tbPNSt15iterator_traitsISG_E10value_typeEPNSM_ISH_E10value_typeEPSI_NS1_7vsmem_tEENKUlT_SG_SH_SI_E_clIS7_S7_PlSB_EESF_SV_SG_SH_SI_EUlSV_E0_NS1_11comp_targetILNS1_3genE4ELNS1_11target_archE910ELNS1_3gpuE8ELNS1_3repE0EEENS1_38merge_mergepath_config_static_selectorELNS0_4arch9wavefront6targetE1EEEvSH_ ; -- Begin function _ZN7rocprim17ROCPRIM_400000_NS6detail17trampoline_kernelINS0_14default_configENS1_38merge_sort_block_merge_config_selectorIslEEZZNS1_27merge_sort_block_merge_implIS3_PsN6thrust23THRUST_200600_302600_NS10device_ptrIlEEjNS1_19radix_merge_compareILb0ELb1EsNS0_19identity_decomposerEEEEE10hipError_tT0_T1_T2_jT3_P12ihipStream_tbPNSt15iterator_traitsISG_E10value_typeEPNSM_ISH_E10value_typeEPSI_NS1_7vsmem_tEENKUlT_SG_SH_SI_E_clIS7_S7_PlSB_EESF_SV_SG_SH_SI_EUlSV_E0_NS1_11comp_targetILNS1_3genE4ELNS1_11target_archE910ELNS1_3gpuE8ELNS1_3repE0EEENS1_38merge_mergepath_config_static_selectorELNS0_4arch9wavefront6targetE1EEEvSH_
	.globl	_ZN7rocprim17ROCPRIM_400000_NS6detail17trampoline_kernelINS0_14default_configENS1_38merge_sort_block_merge_config_selectorIslEEZZNS1_27merge_sort_block_merge_implIS3_PsN6thrust23THRUST_200600_302600_NS10device_ptrIlEEjNS1_19radix_merge_compareILb0ELb1EsNS0_19identity_decomposerEEEEE10hipError_tT0_T1_T2_jT3_P12ihipStream_tbPNSt15iterator_traitsISG_E10value_typeEPNSM_ISH_E10value_typeEPSI_NS1_7vsmem_tEENKUlT_SG_SH_SI_E_clIS7_S7_PlSB_EESF_SV_SG_SH_SI_EUlSV_E0_NS1_11comp_targetILNS1_3genE4ELNS1_11target_archE910ELNS1_3gpuE8ELNS1_3repE0EEENS1_38merge_mergepath_config_static_selectorELNS0_4arch9wavefront6targetE1EEEvSH_
	.p2align	8
	.type	_ZN7rocprim17ROCPRIM_400000_NS6detail17trampoline_kernelINS0_14default_configENS1_38merge_sort_block_merge_config_selectorIslEEZZNS1_27merge_sort_block_merge_implIS3_PsN6thrust23THRUST_200600_302600_NS10device_ptrIlEEjNS1_19radix_merge_compareILb0ELb1EsNS0_19identity_decomposerEEEEE10hipError_tT0_T1_T2_jT3_P12ihipStream_tbPNSt15iterator_traitsISG_E10value_typeEPNSM_ISH_E10value_typeEPSI_NS1_7vsmem_tEENKUlT_SG_SH_SI_E_clIS7_S7_PlSB_EESF_SV_SG_SH_SI_EUlSV_E0_NS1_11comp_targetILNS1_3genE4ELNS1_11target_archE910ELNS1_3gpuE8ELNS1_3repE0EEENS1_38merge_mergepath_config_static_selectorELNS0_4arch9wavefront6targetE1EEEvSH_,@function
_ZN7rocprim17ROCPRIM_400000_NS6detail17trampoline_kernelINS0_14default_configENS1_38merge_sort_block_merge_config_selectorIslEEZZNS1_27merge_sort_block_merge_implIS3_PsN6thrust23THRUST_200600_302600_NS10device_ptrIlEEjNS1_19radix_merge_compareILb0ELb1EsNS0_19identity_decomposerEEEEE10hipError_tT0_T1_T2_jT3_P12ihipStream_tbPNSt15iterator_traitsISG_E10value_typeEPNSM_ISH_E10value_typeEPSI_NS1_7vsmem_tEENKUlT_SG_SH_SI_E_clIS7_S7_PlSB_EESF_SV_SG_SH_SI_EUlSV_E0_NS1_11comp_targetILNS1_3genE4ELNS1_11target_archE910ELNS1_3gpuE8ELNS1_3repE0EEENS1_38merge_mergepath_config_static_selectorELNS0_4arch9wavefront6targetE1EEEvSH_: ; @_ZN7rocprim17ROCPRIM_400000_NS6detail17trampoline_kernelINS0_14default_configENS1_38merge_sort_block_merge_config_selectorIslEEZZNS1_27merge_sort_block_merge_implIS3_PsN6thrust23THRUST_200600_302600_NS10device_ptrIlEEjNS1_19radix_merge_compareILb0ELb1EsNS0_19identity_decomposerEEEEE10hipError_tT0_T1_T2_jT3_P12ihipStream_tbPNSt15iterator_traitsISG_E10value_typeEPNSM_ISH_E10value_typeEPSI_NS1_7vsmem_tEENKUlT_SG_SH_SI_E_clIS7_S7_PlSB_EESF_SV_SG_SH_SI_EUlSV_E0_NS1_11comp_targetILNS1_3genE4ELNS1_11target_archE910ELNS1_3gpuE8ELNS1_3repE0EEENS1_38merge_mergepath_config_static_selectorELNS0_4arch9wavefront6targetE1EEEvSH_
; %bb.0:
	s_load_dwordx2 s[24:25], s[4:5], 0x40
	s_load_dword s2, s[4:5], 0x30
	s_add_u32 s0, s4, 64
	s_addc_u32 s1, s5, 0
	s_waitcnt lgkmcnt(0)
	s_mul_i32 s3, s25, s8
	s_add_i32 s3, s3, s7
	s_mul_i32 s3, s3, s24
	s_add_i32 s22, s3, s6
	s_cmp_ge_u32 s22, s2
	s_cbranch_scc1 .LBB1343_53
; %bb.1:
	s_load_dwordx8 s[8:15], s[4:5], 0x10
	s_load_dwordx2 s[28:29], s[4:5], 0x8
	s_load_dwordx2 s[2:3], s[4:5], 0x38
	s_mov_b32 s23, 0
	v_mov_b32_e32 v3, 0
	s_waitcnt lgkmcnt(0)
	s_lshr_b32 s7, s14, 10
	s_cmp_lg_u32 s22, s7
	s_cselect_b64 s[18:19], -1, 0
	s_lshl_b64 s[16:17], s[22:23], 2
	s_add_u32 s2, s2, s16
	s_addc_u32 s3, s3, s17
	s_lshr_b32 s16, s15, 9
	s_and_b32 s16, s16, 0x7ffffe
	s_load_dwordx2 s[2:3], s[2:3], 0x0
	s_sub_i32 s17, 0, s16
	s_and_b32 s20, s22, s17
	s_lshl_b32 s21, s20, 10
	s_lshl_b32 s16, s22, 10
	;; [unrolled: 1-line block ×3, first 2 shown]
	s_sub_i32 s25, s16, s21
	s_add_i32 s26, s20, s15
	s_add_i32 s25, s26, s25
	s_waitcnt lgkmcnt(0)
	s_sub_i32 s20, s25, s2
	s_sub_i32 s25, s25, s3
	;; [unrolled: 1-line block ×3, first 2 shown]
	s_min_u32 s20, s14, s20
	s_addk_i32 s25, 0x400
	s_or_b32 s17, s22, s17
	s_min_u32 s26, s14, s21
	s_add_i32 s21, s21, s15
	s_cmp_eq_u32 s17, -1
	s_cselect_b32 s15, s21, s25
	s_cselect_b32 s3, s26, s3
	s_min_u32 s17, s15, s14
	s_sub_i32 s15, s3, s2
	s_mov_b32 s3, s23
	s_lshl_b64 s[26:27], s[2:3], 1
	s_add_u32 s26, s28, s26
	s_mov_b32 s21, s23
	s_addc_u32 s27, s29, s27
	s_lshl_b64 s[30:31], s[20:21], 1
	s_add_u32 s23, s28, s30
	s_addc_u32 s25, s29, s31
	s_cmp_lt_u32 s6, s24
	s_cselect_b32 s6, 12, 18
	global_load_dword v1, v3, s[0:1] offset:14
	s_add_u32 s0, s0, s6
	s_addc_u32 s1, s1, 0
	global_load_ushort v2, v3, s[0:1]
	s_cmp_eq_u32 s22, s7
	s_waitcnt vmcnt(1)
	v_lshrrev_b32_e32 v4, 16, v1
	v_and_b32_e32 v1, 0xffff, v1
	v_mul_lo_u32 v1, v1, v4
	s_waitcnt vmcnt(0)
	v_mul_lo_u32 v17, v1, v2
	v_add_u32_e32 v6, v17, v0
	v_lshlrev_b32_e32 v1, 1, v0
	v_add_u32_e32 v4, v6, v17
	s_cbranch_scc1 .LBB1343_3
; %bb.2:
	v_mov_b32_e32 v2, s27
	v_add_co_u32_e32 v5, vcc, s26, v1
	v_addc_co_u32_e32 v7, vcc, 0, v2, vcc
	v_subrev_u32_e32 v2, s15, v0
	v_lshlrev_b64 v[8:9], 1, v[2:3]
	v_mov_b32_e32 v2, s25
	v_add_co_u32_e32 v8, vcc, s23, v8
	v_addc_co_u32_e32 v2, vcc, v2, v9, vcc
	v_cmp_gt_u32_e32 vcc, s15, v0
	v_cndmask_b32_e32 v9, v2, v7, vcc
	v_cndmask_b32_e32 v8, v8, v5, vcc
	v_mov_b32_e32 v7, v3
	global_load_ushort v10, v[8:9], off
	v_lshlrev_b64 v[8:9], 1, v[6:7]
	v_mov_b32_e32 v2, s27
	v_add_co_u32_e32 v5, vcc, s26, v8
	v_addc_co_u32_e32 v7, vcc, v2, v9, vcc
	v_subrev_u32_e32 v2, s15, v6
	v_lshlrev_b64 v[8:9], 1, v[2:3]
	v_mov_b32_e32 v2, s25
	v_add_co_u32_e32 v8, vcc, s23, v8
	v_addc_co_u32_e32 v2, vcc, v2, v9, vcc
	v_cmp_gt_u32_e32 vcc, s15, v6
	v_cndmask_b32_e32 v9, v2, v7, vcc
	v_cndmask_b32_e32 v8, v8, v5, vcc
	v_mov_b32_e32 v5, v3
	global_load_ushort v7, v[8:9], off
	v_lshlrev_b64 v[8:9], 1, v[4:5]
	v_mov_b32_e32 v2, s27
	v_add_co_u32_e32 v5, vcc, s26, v8
	v_addc_co_u32_e32 v8, vcc, v2, v9, vcc
	v_subrev_u32_e32 v2, s15, v4
	v_lshlrev_b64 v[2:3], 1, v[2:3]
	v_mov_b32_e32 v9, s25
	v_add_co_u32_e32 v2, vcc, s23, v2
	v_addc_co_u32_e32 v3, vcc, v9, v3, vcc
	v_cmp_gt_u32_e32 vcc, s15, v4
	v_cndmask_b32_e32 v3, v3, v8, vcc
	v_cndmask_b32_e32 v2, v2, v5, vcc
	global_load_ushort v3, v[2:3], off
	s_mov_b32 s0, 0x5040100
	v_add_u32_e32 v8, v4, v17
	s_waitcnt vmcnt(1)
	v_perm_b32 v2, v7, v10, s0
	s_mov_b64 s[0:1], -1
	s_sub_i32 s17, s17, s20
	s_cbranch_execz .LBB1343_4
	s_branch .LBB1343_9
.LBB1343_3:
	s_mov_b64 s[0:1], 0
                                        ; implicit-def: $vgpr2_vgpr3
                                        ; implicit-def: $vgpr8
	s_sub_i32 s17, s17, s20
.LBB1343_4:
	s_add_i32 s6, s17, s15
	v_cmp_gt_u32_e32 vcc, s6, v0
                                        ; implicit-def: $vgpr2_vgpr3
	s_and_saveexec_b64 s[0:1], vcc
	s_cbranch_execz .LBB1343_13
; %bb.5:
	v_mov_b32_e32 v2, s27
	v_add_co_u32_e32 v5, vcc, s26, v1
	s_waitcnt vmcnt(0)
	v_mov_b32_e32 v3, 0
	v_addc_co_u32_e32 v7, vcc, 0, v2, vcc
	v_subrev_u32_e32 v2, s15, v0
	v_lshlrev_b64 v[2:3], 1, v[2:3]
	v_mov_b32_e32 v8, s25
	v_add_co_u32_e32 v2, vcc, s23, v2
	v_addc_co_u32_e32 v3, vcc, v8, v3, vcc
	v_cmp_gt_u32_e32 vcc, s15, v0
	v_cndmask_b32_e32 v3, v3, v7, vcc
	v_cndmask_b32_e32 v2, v2, v5, vcc
	global_load_ushort v2, v[2:3], off
	s_or_b64 exec, exec, s[0:1]
	v_cmp_gt_u32_e32 vcc, s6, v6
	s_and_saveexec_b64 s[0:1], vcc
	s_cbranch_execnz .LBB1343_14
.LBB1343_6:
	s_or_b64 exec, exec, s[0:1]
	v_cmp_gt_u32_e32 vcc, s6, v4
	s_and_saveexec_b64 s[0:1], vcc
	s_cbranch_execz .LBB1343_8
.LBB1343_7:
	v_mov_b32_e32 v5, 0
	v_lshlrev_b64 v[8:9], 1, v[4:5]
	v_mov_b32_e32 v7, s27
	v_add_co_u32_e32 v10, vcc, s26, v8
	v_addc_co_u32_e32 v7, vcc, v7, v9, vcc
	v_subrev_u32_e32 v8, s15, v4
	v_mov_b32_e32 v9, v5
	v_lshlrev_b64 v[8:9], 1, v[8:9]
	v_mov_b32_e32 v5, s25
	v_add_co_u32_e32 v8, vcc, s23, v8
	v_addc_co_u32_e32 v5, vcc, v5, v9, vcc
	v_cmp_gt_u32_e32 vcc, s15, v4
	v_cndmask_b32_e32 v9, v5, v7, vcc
	v_cndmask_b32_e32 v8, v8, v10, vcc
	global_load_ushort v5, v[8:9], off
	s_mov_b32 s7, 0xffff
	s_waitcnt vmcnt(0)
	v_bfi_b32 v3, s7, v5, v3
.LBB1343_8:
	s_or_b64 exec, exec, s[0:1]
	v_add_u32_e32 v8, v4, v17
	v_cmp_gt_u32_e64 s[0:1], s6, v8
.LBB1343_9:
	s_and_saveexec_b64 s[6:7], s[0:1]
	s_cbranch_execz .LBB1343_11
; %bb.10:
	v_mov_b32_e32 v9, 0
	v_lshlrev_b64 v[10:11], 1, v[8:9]
	v_mov_b32_e32 v5, s27
	v_add_co_u32_e32 v7, vcc, s26, v10
	v_addc_co_u32_e32 v5, vcc, v5, v11, vcc
	v_cmp_gt_u32_e32 vcc, s15, v8
	v_subrev_u32_e32 v8, s15, v8
	v_lshlrev_b64 v[8:9], 1, v[8:9]
	v_mov_b32_e32 v10, s25
	v_add_co_u32_e64 v8, s[0:1], s23, v8
	v_addc_co_u32_e64 v9, s[0:1], v10, v9, s[0:1]
	v_cndmask_b32_e32 v9, v9, v5, vcc
	v_cndmask_b32_e32 v8, v8, v7, vcc
	global_load_ushort v5, v[8:9], off
	s_mov_b32 s0, 0x5040100
	s_waitcnt vmcnt(0)
	v_perm_b32 v3, v5, v3, s0
.LBB1343_11:
	s_or_b64 exec, exec, s[6:7]
	s_lshl_b64 s[0:1], s[2:3], 3
	s_add_u32 s22, s10, s0
	s_addc_u32 s23, s11, s1
	s_lshl_b64 s[0:1], s[20:21], 3
	s_add_u32 s6, s10, s0
	s_waitcnt vmcnt(0)
	v_lshrrev_b32_e32 v18, 16, v2
	v_lshrrev_b32_e32 v19, 16, v3
	s_addc_u32 s7, s11, s1
	s_andn2_b64 vcc, exec, s[18:19]
	v_lshlrev_b32_e32 v16, 3, v0
	ds_write_b16 v1, v2
	ds_write_b16 v1, v18 offset:512
	ds_write_b16 v1, v3 offset:1024
	;; [unrolled: 1-line block ×3, first 2 shown]
	s_cbranch_vccnz .LBB1343_15
; %bb.12:
	v_mov_b32_e32 v15, 0
	v_mov_b32_e32 v5, s23
	v_add_co_u32_e32 v7, vcc, s22, v16
	v_subrev_u32_e32 v14, s15, v0
	v_addc_co_u32_e32 v5, vcc, 0, v5, vcc
	v_lshlrev_b64 v[8:9], 3, v[14:15]
	v_mov_b32_e32 v10, s7
	v_add_co_u32_e32 v8, vcc, s6, v8
	v_addc_co_u32_e32 v9, vcc, v10, v9, vcc
	v_cmp_gt_u32_e32 vcc, s15, v0
	v_cndmask_b32_e32 v8, v8, v7, vcc
	v_mov_b32_e32 v7, v15
	v_lshlrev_b64 v[10:11], 3, v[6:7]
	v_cndmask_b32_e32 v9, v9, v5, vcc
	v_mov_b32_e32 v5, s23
	v_add_co_u32_e32 v7, vcc, s22, v10
	v_subrev_u32_e32 v14, s15, v6
	v_addc_co_u32_e32 v5, vcc, v5, v11, vcc
	v_lshlrev_b64 v[10:11], 3, v[14:15]
	v_mov_b32_e32 v12, s7
	v_add_co_u32_e32 v10, vcc, s6, v10
	v_addc_co_u32_e32 v11, vcc, v12, v11, vcc
	v_cmp_gt_u32_e32 vcc, s15, v6
	v_cndmask_b32_e32 v11, v11, v5, vcc
	v_mov_b32_e32 v5, v15
	v_lshlrev_b64 v[12:13], 3, v[4:5]
	v_cndmask_b32_e32 v10, v10, v7, vcc
	v_mov_b32_e32 v5, s23
	v_add_co_u32_e32 v7, vcc, s22, v12
	v_subrev_u32_e32 v14, s15, v4
	v_addc_co_u32_e32 v5, vcc, v5, v13, vcc
	v_lshlrev_b64 v[12:13], 3, v[14:15]
	v_mov_b32_e32 v14, s7
	v_add_co_u32_e32 v12, vcc, s6, v12
	v_addc_co_u32_e32 v13, vcc, v14, v13, vcc
	v_add_u32_e32 v14, v4, v17
	v_cmp_gt_u32_e32 vcc, s15, v4
	v_lshlrev_b64 v[20:21], 3, v[14:15]
	v_cndmask_b32_e32 v13, v13, v5, vcc
	v_cndmask_b32_e32 v12, v12, v7, vcc
	v_mov_b32_e32 v5, s23
	v_add_co_u32_e32 v7, vcc, s22, v20
	v_addc_co_u32_e32 v5, vcc, v5, v21, vcc
	v_cmp_gt_u32_e32 vcc, s15, v14
	v_subrev_u32_e32 v14, s15, v14
	v_lshlrev_b64 v[14:15], 3, v[14:15]
	v_mov_b32_e32 v20, s7
	v_add_co_u32_e64 v14, s[0:1], s6, v14
	v_addc_co_u32_e64 v15, s[0:1], v20, v15, s[0:1]
	v_cndmask_b32_e32 v15, v15, v5, vcc
	v_cndmask_b32_e32 v14, v14, v7, vcc
	global_load_dwordx2 v[8:9], v[8:9], off
	s_add_i32 s20, s17, s15
	global_load_dwordx2 v[10:11], v[10:11], off
	s_nop 0
	global_load_dwordx2 v[12:13], v[12:13], off
	s_nop 0
	global_load_dwordx2 v[14:15], v[14:15], off
	s_cbranch_execz .LBB1343_16
	s_branch .LBB1343_25
.LBB1343_13:
	s_or_b64 exec, exec, s[0:1]
	v_cmp_gt_u32_e32 vcc, s6, v6
	s_and_saveexec_b64 s[0:1], vcc
	s_cbranch_execz .LBB1343_6
.LBB1343_14:
	v_mov_b32_e32 v7, 0
	v_lshlrev_b64 v[8:9], 1, v[6:7]
	v_mov_b32_e32 v5, s27
	v_add_co_u32_e32 v10, vcc, s26, v8
	v_addc_co_u32_e32 v5, vcc, v5, v9, vcc
	v_subrev_u32_e32 v8, s15, v6
	v_mov_b32_e32 v9, v7
	v_lshlrev_b64 v[8:9], 1, v[8:9]
	v_mov_b32_e32 v7, s25
	v_add_co_u32_e32 v8, vcc, s23, v8
	v_addc_co_u32_e32 v7, vcc, v7, v9, vcc
	v_cmp_gt_u32_e32 vcc, s15, v6
	v_cndmask_b32_e32 v9, v7, v5, vcc
	v_cndmask_b32_e32 v8, v8, v10, vcc
	global_load_ushort v5, v[8:9], off
	s_mov_b32 s7, 0x5040100
	s_waitcnt vmcnt(0)
	v_perm_b32 v2, v5, v2, s7
	s_or_b64 exec, exec, s[0:1]
	v_cmp_gt_u32_e32 vcc, s6, v4
	s_and_saveexec_b64 s[0:1], vcc
	s_cbranch_execnz .LBB1343_7
	s_branch .LBB1343_8
.LBB1343_15:
                                        ; implicit-def: $vgpr8_vgpr9
                                        ; implicit-def: $vgpr10_vgpr11
                                        ; implicit-def: $vgpr12_vgpr13
                                        ; implicit-def: $vgpr14_vgpr15
                                        ; implicit-def: $sgpr20
.LBB1343_16:
	s_add_i32 s20, s17, s15
	v_cmp_gt_u32_e32 vcc, s20, v0
                                        ; implicit-def: $vgpr8_vgpr9
	s_and_saveexec_b64 s[0:1], vcc
	s_cbranch_execz .LBB1343_18
; %bb.17:
	s_waitcnt vmcnt(3)
	v_mov_b32_e32 v9, 0
	v_mov_b32_e32 v5, s23
	v_add_co_u32_e32 v7, vcc, s22, v16
	v_subrev_u32_e32 v8, s15, v0
	v_addc_co_u32_e32 v5, vcc, 0, v5, vcc
	v_lshlrev_b64 v[8:9], 3, v[8:9]
	s_waitcnt vmcnt(2)
	v_mov_b32_e32 v10, s7
	v_add_co_u32_e32 v8, vcc, s6, v8
	v_addc_co_u32_e32 v9, vcc, v10, v9, vcc
	v_cmp_gt_u32_e32 vcc, s15, v0
	v_cndmask_b32_e32 v9, v9, v5, vcc
	v_cndmask_b32_e32 v8, v8, v7, vcc
	global_load_dwordx2 v[8:9], v[8:9], off
.LBB1343_18:
	s_or_b64 exec, exec, s[0:1]
	v_cmp_gt_u32_e32 vcc, s20, v6
                                        ; implicit-def: $vgpr10_vgpr11
	s_and_saveexec_b64 s[2:3], vcc
	s_cbranch_execz .LBB1343_20
; %bb.19:
	v_mov_b32_e32 v7, 0
	s_waitcnt vmcnt(2)
	v_lshlrev_b64 v[10:11], 3, v[6:7]
	v_mov_b32_e32 v5, s23
	v_add_co_u32_e32 v10, vcc, s22, v10
	v_addc_co_u32_e32 v5, vcc, v5, v11, vcc
	v_cmp_gt_u32_e32 vcc, s15, v6
	v_subrev_u32_e32 v6, s15, v6
	v_lshlrev_b64 v[6:7], 3, v[6:7]
	v_mov_b32_e32 v11, s7
	v_add_co_u32_e64 v6, s[0:1], s6, v6
	v_addc_co_u32_e64 v7, s[0:1], v11, v7, s[0:1]
	v_cndmask_b32_e32 v7, v7, v5, vcc
	v_cndmask_b32_e32 v6, v6, v10, vcc
	global_load_dwordx2 v[10:11], v[6:7], off
.LBB1343_20:
	s_or_b64 exec, exec, s[2:3]
	v_cmp_gt_u32_e32 vcc, s20, v4
                                        ; implicit-def: $vgpr12_vgpr13
	s_and_saveexec_b64 s[0:1], vcc
	s_cbranch_execz .LBB1343_22
; %bb.21:
	v_mov_b32_e32 v5, 0
	v_lshlrev_b64 v[6:7], 3, v[4:5]
	s_waitcnt vmcnt(1)
	v_mov_b32_e32 v12, s23
	v_add_co_u32_e32 v13, vcc, s22, v6
	v_addc_co_u32_e32 v12, vcc, v12, v7, vcc
	v_subrev_u32_e32 v6, s15, v4
	v_mov_b32_e32 v7, v5
	v_lshlrev_b64 v[6:7], 3, v[6:7]
	v_mov_b32_e32 v5, s7
	v_add_co_u32_e32 v6, vcc, s6, v6
	v_addc_co_u32_e32 v5, vcc, v5, v7, vcc
	v_cmp_gt_u32_e32 vcc, s15, v4
	v_cndmask_b32_e32 v7, v5, v12, vcc
	v_cndmask_b32_e32 v6, v6, v13, vcc
	global_load_dwordx2 v[12:13], v[6:7], off
.LBB1343_22:
	s_or_b64 exec, exec, s[0:1]
	v_add_u32_e32 v4, v4, v17
	v_cmp_gt_u32_e32 vcc, s20, v4
                                        ; implicit-def: $vgpr14_vgpr15
	s_and_saveexec_b64 s[2:3], vcc
	s_cbranch_execz .LBB1343_24
; %bb.23:
	v_mov_b32_e32 v5, 0
	v_lshlrev_b64 v[6:7], 3, v[4:5]
	s_waitcnt vmcnt(0)
	v_mov_b32_e32 v14, s23
	v_add_co_u32_e32 v6, vcc, s22, v6
	v_addc_co_u32_e32 v7, vcc, v14, v7, vcc
	v_cmp_gt_u32_e32 vcc, s15, v4
	v_subrev_u32_e32 v4, s15, v4
	v_lshlrev_b64 v[4:5], 3, v[4:5]
	v_mov_b32_e32 v14, s7
	v_add_co_u32_e64 v4, s[0:1], s6, v4
	v_addc_co_u32_e64 v5, s[0:1], v14, v5, s[0:1]
	v_cndmask_b32_e32 v5, v5, v7, vcc
	v_cndmask_b32_e32 v4, v4, v6, vcc
	global_load_dwordx2 v[14:15], v[4:5], off
.LBB1343_24:
	s_or_b64 exec, exec, s[2:3]
.LBB1343_25:
	s_load_dword s21, s[4:5], 0x34
	v_lshlrev_b32_e32 v17, 2, v0
	v_min_u32_e32 v5, s20, v17
	v_sub_u32_e64 v4, v5, s17 clamp
	v_min_u32_e32 v6, s15, v5
	v_cmp_lt_u32_e32 vcc, v4, v6
	s_waitcnt lgkmcnt(0)
	s_barrier
	s_and_saveexec_b64 s[0:1], vcc
	s_cbranch_execz .LBB1343_29
; %bb.26:
	v_lshlrev_b32_e32 v7, 1, v5
	v_lshl_add_u32 v7, s15, 1, v7
	s_mov_b64 s[2:3], 0
.LBB1343_27:                            ; =>This Inner Loop Header: Depth=1
	v_add_u32_e32 v20, v6, v4
	v_lshrrev_b32_e32 v21, 1, v20
	v_not_b32_e32 v22, v21
	v_and_b32_e32 v20, -2, v20
	v_lshl_add_u32 v22, v22, 1, v7
	ds_read_u16 v20, v20
	ds_read_u16 v22, v22
	v_add_u32_e32 v23, 1, v21
	s_waitcnt lgkmcnt(1)
	v_and_b32_e32 v20, s21, v20
	s_waitcnt lgkmcnt(0)
	v_and_b32_e32 v22, s21, v22
	v_cmp_gt_i16_e32 vcc, v20, v22
	v_cndmask_b32_e32 v6, v6, v21, vcc
	v_cndmask_b32_e32 v4, v23, v4, vcc
	v_cmp_ge_u32_e32 vcc, v4, v6
	s_or_b64 s[2:3], vcc, s[2:3]
	s_andn2_b64 exec, exec, s[2:3]
	s_cbranch_execnz .LBB1343_27
; %bb.28:
	s_or_b64 exec, exec, s[2:3]
.LBB1343_29:
	s_or_b64 exec, exec, s[0:1]
	v_sub_u32_e32 v5, v5, v4
	v_add_u32_e32 v20, s15, v5
	v_cmp_ge_u32_e32 vcc, s15, v4
	v_cmp_ge_u32_e64 s[0:1], s20, v20
	s_or_b64 s[0:1], vcc, s[0:1]
                                        ; implicit-def: $vgpr21
                                        ; implicit-def: $vgpr7
                                        ; implicit-def: $vgpr6
                                        ; implicit-def: $vgpr5
	s_and_saveexec_b64 s[10:11], s[0:1]
	s_cbranch_execz .LBB1343_35
; %bb.30:
	v_cmp_gt_u32_e32 vcc, s15, v4
                                        ; implicit-def: $vgpr2
	s_and_saveexec_b64 s[0:1], vcc
	s_cbranch_execz .LBB1343_32
; %bb.31:
	v_lshlrev_b32_e32 v2, 1, v4
	ds_read_u16 v2, v2
.LBB1343_32:
	s_or_b64 exec, exec, s[0:1]
	v_cmp_le_u32_e64 s[0:1], s20, v20
	v_cmp_gt_u32_e64 s[2:3], s20, v20
                                        ; implicit-def: $vgpr3
	s_and_saveexec_b64 s[4:5], s[2:3]
	s_cbranch_execz .LBB1343_34
; %bb.33:
	v_lshlrev_b32_e32 v3, 1, v20
	ds_read_u16 v3, v3
.LBB1343_34:
	s_or_b64 exec, exec, s[4:5]
	s_waitcnt lgkmcnt(0)
	v_and_b32_e32 v5, s21, v3
	v_and_b32_e32 v6, s21, v2
	v_cmp_le_i16_e64 s[2:3], v6, v5
	s_and_b64 s[2:3], vcc, s[2:3]
	s_or_b64 vcc, s[0:1], s[2:3]
	v_mov_b32_e32 v18, s20
	v_mov_b32_e32 v19, s15
	v_cndmask_b32_e32 v5, v20, v4, vcc
	v_cndmask_b32_e32 v6, v18, v19, vcc
	v_add_u32_e32 v7, 1, v5
	v_add_u32_e32 v6, -1, v6
	v_min_u32_e32 v6, v7, v6
	v_lshlrev_b32_e32 v6, 1, v6
	ds_read_u16 v6, v6
	v_cndmask_b32_e32 v20, v7, v20, vcc
	v_cndmask_b32_e32 v4, v4, v7, vcc
	v_cmp_gt_u32_e64 s[2:3], s15, v4
	v_cmp_le_u32_e64 s[0:1], s20, v20
	s_waitcnt lgkmcnt(0)
	v_cndmask_b32_e32 v21, v6, v3, vcc
	v_cndmask_b32_e32 v22, v2, v6, vcc
	v_and_b32_e32 v6, s21, v21
	v_and_b32_e32 v7, s21, v22
	v_cmp_le_i16_e64 s[4:5], v7, v6
	s_and_b64 s[2:3], s[2:3], s[4:5]
	s_or_b64 s[0:1], s[0:1], s[2:3]
	v_cndmask_b32_e64 v6, v20, v4, s[0:1]
	v_cndmask_b32_e64 v7, v18, v19, s[0:1]
	v_add_u32_e32 v23, 1, v6
	v_add_u32_e32 v7, -1, v7
	v_min_u32_e32 v7, v23, v7
	v_lshlrev_b32_e32 v7, 1, v7
	ds_read_u16 v7, v7
	v_cndmask_b32_e64 v20, v23, v20, s[0:1]
	v_cndmask_b32_e64 v4, v4, v23, s[0:1]
	v_cmp_gt_u32_e64 s[4:5], s15, v4
	v_cmp_le_u32_e64 s[2:3], s20, v20
	s_waitcnt lgkmcnt(0)
	v_cndmask_b32_e64 v24, v7, v21, s[0:1]
	v_cndmask_b32_e64 v25, v22, v7, s[0:1]
	v_and_b32_e32 v7, s21, v24
	v_and_b32_e32 v23, s21, v25
	v_cmp_le_i16_e64 s[6:7], v23, v7
	s_and_b64 s[4:5], s[4:5], s[6:7]
	s_or_b64 s[2:3], s[2:3], s[4:5]
	v_cndmask_b32_e64 v7, v20, v4, s[2:3]
	v_cndmask_b32_e64 v18, v18, v19, s[2:3]
	v_add_u32_e32 v19, 1, v7
	v_add_u32_e32 v18, -1, v18
	v_min_u32_e32 v18, v19, v18
	v_lshlrev_b32_e32 v18, 1, v18
	ds_read_u16 v23, v18
	v_cndmask_b32_e64 v18, v21, v22, s[0:1]
	v_cndmask_b32_e64 v20, v19, v20, s[2:3]
	;; [unrolled: 1-line block ×3, first 2 shown]
	v_cndmask_b32_e32 v2, v3, v2, vcc
	s_waitcnt lgkmcnt(0)
	v_cndmask_b32_e64 v22, v23, v24, s[2:3]
	v_cndmask_b32_e64 v23, v25, v23, s[2:3]
	v_and_b32_e32 v19, s21, v22
	v_and_b32_e32 v21, s21, v23
	v_cndmask_b32_e64 v3, v24, v25, s[2:3]
	v_cmp_gt_u32_e64 s[0:1], s15, v4
	v_cmp_le_i16_e64 s[2:3], v21, v19
	v_cmp_le_u32_e32 vcc, s20, v20
	s_and_b64 s[0:1], s[0:1], s[2:3]
	s_or_b64 vcc, vcc, s[0:1]
	v_cndmask_b32_e32 v21, v20, v4, vcc
	v_cndmask_b32_e32 v19, v22, v23, vcc
.LBB1343_35:
	s_or_b64 exec, exec, s[10:11]
	v_mad_u32_u24 v20, v0, 6, v1
	s_barrier
	s_waitcnt vmcnt(0)
	ds_write2st64_b64 v20, v[8:9], v[10:11] offset1:4
	ds_write2st64_b64 v20, v[12:13], v[14:15] offset0:8 offset1:12
	v_lshrrev_b32_e32 v12, 2, v0
	v_and_b32_e32 v12, 60, v12
	s_mov_b32 s2, 0x5040100
	v_lshlrev_b32_e32 v4, 3, v5
	v_lshlrev_b32_e32 v5, 3, v6
	;; [unrolled: 1-line block ×4, first 2 shown]
	v_add_u32_e32 v12, v20, v12
	v_perm_b32 v3, v19, v3, s2
	v_perm_b32 v2, v18, v2, s2
	s_waitcnt lgkmcnt(0)
	s_barrier
	ds_read_b64 v[8:9], v4
	ds_read_b64 v[10:11], v5
	;; [unrolled: 1-line block ×4, first 2 shown]
	s_waitcnt lgkmcnt(0)
	s_barrier
	s_barrier
	ds_write2_b32 v12, v2, v3 offset1:1
	v_lshrrev_b32_e32 v2, 4, v0
	v_and_b32_e32 v2, 12, v2
	v_or_b32_e32 v23, 0x100, v0
	v_add_u32_e32 v24, v1, v2
	v_lshrrev_b32_e32 v2, 4, v23
	v_and_b32_e32 v2, 28, v2
	v_or_b32_e32 v22, 0x200, v0
	s_mov_b32 s17, 0
	v_add_u32_e32 v25, v1, v2
	v_lshrrev_b32_e32 v2, 4, v22
	s_lshl_b64 s[0:1], s[16:17], 1
	v_and_b32_e32 v2, 44, v2
	v_or_b32_e32 v21, 0x300, v0
	s_add_u32 s0, s8, s0
	v_add_u32_e32 v26, v1, v2
	v_lshrrev_b32_e32 v2, 4, v21
	s_addc_u32 s1, s9, s1
	v_and_b32_e32 v2, 60, v2
	v_add_u32_e32 v27, v1, v2
	v_mov_b32_e32 v3, s1
	v_add_co_u32_e32 v2, vcc, s0, v1
	v_lshrrev_b32_e32 v12, 5, v23
	v_lshrrev_b32_e32 v13, 5, v22
	;; [unrolled: 1-line block ×3, first 2 shown]
	v_addc_co_u32_e32 v3, vcc, 0, v3, vcc
	v_lshrrev_b32_e32 v15, 3, v0
	v_lshrrev_b32_e32 v14, 5, v0
	s_and_b64 vcc, exec, s[18:19]
	v_lshlrev_b32_e32 v19, 3, v17
	v_lshl_add_u32 v1, v12, 3, v20
	v_lshl_add_u32 v17, v13, 3, v20
	;; [unrolled: 1-line block ×3, first 2 shown]
	s_waitcnt lgkmcnt(0)
	s_cbranch_vccz .LBB1343_37
; %bb.36:
	s_barrier
	ds_read_u16 v12, v24
	ds_read_u16 v13, v25 offset:512
	ds_read_u16 v28, v26 offset:1024
	;; [unrolled: 1-line block ×3, first 2 shown]
	s_lshl_b64 s[0:1], s[16:17], 3
	s_add_u32 s0, s12, s0
	s_waitcnt lgkmcnt(3)
	global_store_short v[2:3], v12, off
	s_waitcnt lgkmcnt(2)
	global_store_short v[2:3], v13, off offset:512
	s_waitcnt lgkmcnt(1)
	global_store_short v[2:3], v28, off offset:1024
	;; [unrolled: 2-line block ×3, first 2 shown]
	v_lshl_add_u32 v12, v15, 3, v19
	s_barrier
	ds_write2_b64 v12, v[8:9], v[10:11] offset1:1
	ds_write2_b64 v12, v[4:5], v[6:7] offset0:2 offset1:3
	v_lshl_add_u32 v12, v14, 3, v20
	s_addc_u32 s1, s13, s1
	s_waitcnt lgkmcnt(0)
	s_barrier
	ds_read_b64 v[28:29], v12
	ds_read_b64 v[30:31], v1 offset:2048
	ds_read_b64 v[32:33], v17 offset:4096
	;; [unrolled: 1-line block ×3, first 2 shown]
	v_mov_b32_e32 v34, s1
	v_add_co_u32_e32 v35, vcc, s0, v16
	v_addc_co_u32_e32 v34, vcc, 0, v34, vcc
	s_waitcnt lgkmcnt(3)
	global_store_dwordx2 v16, v[28:29], s[0:1]
	s_waitcnt lgkmcnt(2)
	global_store_dwordx2 v16, v[30:31], s[0:1] offset:2048
	v_add_co_u32_e32 v28, vcc, 0x1000, v35
	v_addc_co_u32_e32 v29, vcc, 0, v34, vcc
	s_waitcnt lgkmcnt(1)
	global_store_dwordx2 v[28:29], v[32:33], off
	s_mov_b64 s[6:7], -1
	s_cbranch_execz .LBB1343_38
	s_branch .LBB1343_51
.LBB1343_37:
	s_mov_b64 s[6:7], 0
                                        ; implicit-def: $vgpr12_vgpr13
.LBB1343_38:
	s_barrier
	s_waitcnt lgkmcnt(0)
	ds_read_u16 v25, v25 offset:512
	ds_read_u16 v13, v26 offset:1024
	;; [unrolled: 1-line block ×3, first 2 shown]
	s_sub_i32 s6, s14, s16
	v_cmp_gt_u32_e32 vcc, s6, v0
	s_and_saveexec_b64 s[0:1], vcc
	s_cbranch_execz .LBB1343_42
; %bb.39:
	ds_read_u16 v0, v24
	s_waitcnt lgkmcnt(0)
	global_store_short v[2:3], v0, off
	s_or_b64 exec, exec, s[0:1]
	v_cmp_gt_u32_e64 s[0:1], s6, v23
	s_and_saveexec_b64 s[2:3], s[0:1]
	s_cbranch_execnz .LBB1343_43
.LBB1343_40:
	s_or_b64 exec, exec, s[2:3]
	v_cmp_gt_u32_e64 s[2:3], s6, v22
	s_and_saveexec_b64 s[4:5], s[2:3]
	s_cbranch_execz .LBB1343_44
.LBB1343_41:
	s_waitcnt lgkmcnt(1)
	global_store_short v[2:3], v13, off offset:1024
	s_or_b64 exec, exec, s[4:5]
	v_cmp_gt_u32_e64 s[6:7], s6, v21
	s_and_saveexec_b64 s[4:5], s[6:7]
	s_cbranch_execnz .LBB1343_45
	s_branch .LBB1343_46
.LBB1343_42:
	s_or_b64 exec, exec, s[0:1]
	v_cmp_gt_u32_e64 s[0:1], s6, v23
	s_and_saveexec_b64 s[2:3], s[0:1]
	s_cbranch_execz .LBB1343_40
.LBB1343_43:
	s_waitcnt lgkmcnt(2)
	global_store_short v[2:3], v25, off offset:512
	s_or_b64 exec, exec, s[2:3]
	v_cmp_gt_u32_e64 s[2:3], s6, v22
	s_and_saveexec_b64 s[4:5], s[2:3]
	s_cbranch_execnz .LBB1343_41
.LBB1343_44:
	s_or_b64 exec, exec, s[4:5]
	v_cmp_gt_u32_e64 s[6:7], s6, v21
	s_and_saveexec_b64 s[4:5], s[6:7]
	s_cbranch_execz .LBB1343_46
.LBB1343_45:
	s_waitcnt lgkmcnt(0)
	global_store_short v[2:3], v12, off offset:1536
.LBB1343_46:
	s_or_b64 exec, exec, s[4:5]
	v_lshl_add_u32 v0, v15, 3, v19
	s_waitcnt lgkmcnt(0)
	s_barrier
	ds_write2_b64 v0, v[8:9], v[10:11] offset1:1
	ds_write2_b64 v0, v[4:5], v[6:7] offset0:2 offset1:3
	s_waitcnt lgkmcnt(0)
	s_barrier
	ds_read_b64 v[4:5], v1 offset:2048
	ds_read_b64 v[0:1], v17 offset:4096
	;; [unrolled: 1-line block ×3, first 2 shown]
	s_lshl_b64 s[4:5], s[16:17], 3
	s_add_u32 s4, s12, s4
	s_addc_u32 s5, s13, s5
	v_mov_b32_e32 v3, s5
	v_add_co_u32_e64 v2, s[4:5], s4, v16
	v_addc_co_u32_e64 v3, s[4:5], 0, v3, s[4:5]
	s_and_saveexec_b64 s[4:5], vcc
	s_cbranch_execz .LBB1343_54
; %bb.47:
	v_lshl_add_u32 v6, v14, 3, v20
	ds_read_b64 v[6:7], v6
	s_waitcnt lgkmcnt(0)
	global_store_dwordx2 v[2:3], v[6:7], off
	s_or_b64 exec, exec, s[4:5]
	s_and_saveexec_b64 s[4:5], s[0:1]
	s_cbranch_execnz .LBB1343_55
.LBB1343_48:
	s_or_b64 exec, exec, s[4:5]
	s_and_saveexec_b64 s[0:1], s[2:3]
	s_cbranch_execz .LBB1343_50
.LBB1343_49:
	v_add_co_u32_e32 v2, vcc, 0x1000, v2
	v_addc_co_u32_e32 v3, vcc, 0, v3, vcc
	s_waitcnt lgkmcnt(1)
	global_store_dwordx2 v[2:3], v[0:1], off
.LBB1343_50:
	s_or_b64 exec, exec, s[0:1]
.LBB1343_51:
	s_and_saveexec_b64 s[0:1], s[6:7]
	s_cbranch_execz .LBB1343_53
; %bb.52:
	s_lshl_b64 s[0:1], s[16:17], 3
	s_add_u32 s0, s12, s0
	s_addc_u32 s1, s13, s1
	s_waitcnt lgkmcnt(1)
	v_mov_b32_e32 v0, s1
	v_add_co_u32_e32 v1, vcc, s0, v16
	v_addc_co_u32_e32 v2, vcc, 0, v0, vcc
	v_add_co_u32_e32 v0, vcc, 0x1000, v1
	v_addc_co_u32_e32 v1, vcc, 0, v2, vcc
	s_waitcnt lgkmcnt(0)
	global_store_dwordx2 v[0:1], v[12:13], off offset:2048
.LBB1343_53:
	s_endpgm
.LBB1343_54:
	s_or_b64 exec, exec, s[4:5]
	s_and_saveexec_b64 s[4:5], s[0:1]
	s_cbranch_execz .LBB1343_48
.LBB1343_55:
	s_waitcnt lgkmcnt(2)
	global_store_dwordx2 v[2:3], v[4:5], off offset:2048
	s_or_b64 exec, exec, s[4:5]
	s_and_saveexec_b64 s[0:1], s[2:3]
	s_cbranch_execnz .LBB1343_49
	s_branch .LBB1343_50
	.section	.rodata,"a",@progbits
	.p2align	6, 0x0
	.amdhsa_kernel _ZN7rocprim17ROCPRIM_400000_NS6detail17trampoline_kernelINS0_14default_configENS1_38merge_sort_block_merge_config_selectorIslEEZZNS1_27merge_sort_block_merge_implIS3_PsN6thrust23THRUST_200600_302600_NS10device_ptrIlEEjNS1_19radix_merge_compareILb0ELb1EsNS0_19identity_decomposerEEEEE10hipError_tT0_T1_T2_jT3_P12ihipStream_tbPNSt15iterator_traitsISG_E10value_typeEPNSM_ISH_E10value_typeEPSI_NS1_7vsmem_tEENKUlT_SG_SH_SI_E_clIS7_S7_PlSB_EESF_SV_SG_SH_SI_EUlSV_E0_NS1_11comp_targetILNS1_3genE4ELNS1_11target_archE910ELNS1_3gpuE8ELNS1_3repE0EEENS1_38merge_mergepath_config_static_selectorELNS0_4arch9wavefront6targetE1EEEvSH_
		.amdhsa_group_segment_fixed_size 8448
		.amdhsa_private_segment_fixed_size 0
		.amdhsa_kernarg_size 320
		.amdhsa_user_sgpr_count 6
		.amdhsa_user_sgpr_private_segment_buffer 1
		.amdhsa_user_sgpr_dispatch_ptr 0
		.amdhsa_user_sgpr_queue_ptr 0
		.amdhsa_user_sgpr_kernarg_segment_ptr 1
		.amdhsa_user_sgpr_dispatch_id 0
		.amdhsa_user_sgpr_flat_scratch_init 0
		.amdhsa_user_sgpr_kernarg_preload_length 0
		.amdhsa_user_sgpr_kernarg_preload_offset 0
		.amdhsa_user_sgpr_private_segment_size 0
		.amdhsa_uses_dynamic_stack 0
		.amdhsa_system_sgpr_private_segment_wavefront_offset 0
		.amdhsa_system_sgpr_workgroup_id_x 1
		.amdhsa_system_sgpr_workgroup_id_y 1
		.amdhsa_system_sgpr_workgroup_id_z 1
		.amdhsa_system_sgpr_workgroup_info 0
		.amdhsa_system_vgpr_workitem_id 0
		.amdhsa_next_free_vgpr 36
		.amdhsa_next_free_sgpr 32
		.amdhsa_accum_offset 36
		.amdhsa_reserve_vcc 1
		.amdhsa_reserve_flat_scratch 0
		.amdhsa_float_round_mode_32 0
		.amdhsa_float_round_mode_16_64 0
		.amdhsa_float_denorm_mode_32 3
		.amdhsa_float_denorm_mode_16_64 3
		.amdhsa_dx10_clamp 1
		.amdhsa_ieee_mode 1
		.amdhsa_fp16_overflow 0
		.amdhsa_tg_split 0
		.amdhsa_exception_fp_ieee_invalid_op 0
		.amdhsa_exception_fp_denorm_src 0
		.amdhsa_exception_fp_ieee_div_zero 0
		.amdhsa_exception_fp_ieee_overflow 0
		.amdhsa_exception_fp_ieee_underflow 0
		.amdhsa_exception_fp_ieee_inexact 0
		.amdhsa_exception_int_div_zero 0
	.end_amdhsa_kernel
	.section	.text._ZN7rocprim17ROCPRIM_400000_NS6detail17trampoline_kernelINS0_14default_configENS1_38merge_sort_block_merge_config_selectorIslEEZZNS1_27merge_sort_block_merge_implIS3_PsN6thrust23THRUST_200600_302600_NS10device_ptrIlEEjNS1_19radix_merge_compareILb0ELb1EsNS0_19identity_decomposerEEEEE10hipError_tT0_T1_T2_jT3_P12ihipStream_tbPNSt15iterator_traitsISG_E10value_typeEPNSM_ISH_E10value_typeEPSI_NS1_7vsmem_tEENKUlT_SG_SH_SI_E_clIS7_S7_PlSB_EESF_SV_SG_SH_SI_EUlSV_E0_NS1_11comp_targetILNS1_3genE4ELNS1_11target_archE910ELNS1_3gpuE8ELNS1_3repE0EEENS1_38merge_mergepath_config_static_selectorELNS0_4arch9wavefront6targetE1EEEvSH_,"axG",@progbits,_ZN7rocprim17ROCPRIM_400000_NS6detail17trampoline_kernelINS0_14default_configENS1_38merge_sort_block_merge_config_selectorIslEEZZNS1_27merge_sort_block_merge_implIS3_PsN6thrust23THRUST_200600_302600_NS10device_ptrIlEEjNS1_19radix_merge_compareILb0ELb1EsNS0_19identity_decomposerEEEEE10hipError_tT0_T1_T2_jT3_P12ihipStream_tbPNSt15iterator_traitsISG_E10value_typeEPNSM_ISH_E10value_typeEPSI_NS1_7vsmem_tEENKUlT_SG_SH_SI_E_clIS7_S7_PlSB_EESF_SV_SG_SH_SI_EUlSV_E0_NS1_11comp_targetILNS1_3genE4ELNS1_11target_archE910ELNS1_3gpuE8ELNS1_3repE0EEENS1_38merge_mergepath_config_static_selectorELNS0_4arch9wavefront6targetE1EEEvSH_,comdat
.Lfunc_end1343:
	.size	_ZN7rocprim17ROCPRIM_400000_NS6detail17trampoline_kernelINS0_14default_configENS1_38merge_sort_block_merge_config_selectorIslEEZZNS1_27merge_sort_block_merge_implIS3_PsN6thrust23THRUST_200600_302600_NS10device_ptrIlEEjNS1_19radix_merge_compareILb0ELb1EsNS0_19identity_decomposerEEEEE10hipError_tT0_T1_T2_jT3_P12ihipStream_tbPNSt15iterator_traitsISG_E10value_typeEPNSM_ISH_E10value_typeEPSI_NS1_7vsmem_tEENKUlT_SG_SH_SI_E_clIS7_S7_PlSB_EESF_SV_SG_SH_SI_EUlSV_E0_NS1_11comp_targetILNS1_3genE4ELNS1_11target_archE910ELNS1_3gpuE8ELNS1_3repE0EEENS1_38merge_mergepath_config_static_selectorELNS0_4arch9wavefront6targetE1EEEvSH_, .Lfunc_end1343-_ZN7rocprim17ROCPRIM_400000_NS6detail17trampoline_kernelINS0_14default_configENS1_38merge_sort_block_merge_config_selectorIslEEZZNS1_27merge_sort_block_merge_implIS3_PsN6thrust23THRUST_200600_302600_NS10device_ptrIlEEjNS1_19radix_merge_compareILb0ELb1EsNS0_19identity_decomposerEEEEE10hipError_tT0_T1_T2_jT3_P12ihipStream_tbPNSt15iterator_traitsISG_E10value_typeEPNSM_ISH_E10value_typeEPSI_NS1_7vsmem_tEENKUlT_SG_SH_SI_E_clIS7_S7_PlSB_EESF_SV_SG_SH_SI_EUlSV_E0_NS1_11comp_targetILNS1_3genE4ELNS1_11target_archE910ELNS1_3gpuE8ELNS1_3repE0EEENS1_38merge_mergepath_config_static_selectorELNS0_4arch9wavefront6targetE1EEEvSH_
                                        ; -- End function
	.section	.AMDGPU.csdata,"",@progbits
; Kernel info:
; codeLenInByte = 3504
; NumSgprs: 36
; NumVgprs: 36
; NumAgprs: 0
; TotalNumVgprs: 36
; ScratchSize: 0
; MemoryBound: 0
; FloatMode: 240
; IeeeMode: 1
; LDSByteSize: 8448 bytes/workgroup (compile time only)
; SGPRBlocks: 4
; VGPRBlocks: 4
; NumSGPRsForWavesPerEU: 36
; NumVGPRsForWavesPerEU: 36
; AccumOffset: 36
; Occupancy: 7
; WaveLimiterHint : 1
; COMPUTE_PGM_RSRC2:SCRATCH_EN: 0
; COMPUTE_PGM_RSRC2:USER_SGPR: 6
; COMPUTE_PGM_RSRC2:TRAP_HANDLER: 0
; COMPUTE_PGM_RSRC2:TGID_X_EN: 1
; COMPUTE_PGM_RSRC2:TGID_Y_EN: 1
; COMPUTE_PGM_RSRC2:TGID_Z_EN: 1
; COMPUTE_PGM_RSRC2:TIDIG_COMP_CNT: 0
; COMPUTE_PGM_RSRC3_GFX90A:ACCUM_OFFSET: 8
; COMPUTE_PGM_RSRC3_GFX90A:TG_SPLIT: 0
	.section	.text._ZN7rocprim17ROCPRIM_400000_NS6detail17trampoline_kernelINS0_14default_configENS1_38merge_sort_block_merge_config_selectorIslEEZZNS1_27merge_sort_block_merge_implIS3_PsN6thrust23THRUST_200600_302600_NS10device_ptrIlEEjNS1_19radix_merge_compareILb0ELb1EsNS0_19identity_decomposerEEEEE10hipError_tT0_T1_T2_jT3_P12ihipStream_tbPNSt15iterator_traitsISG_E10value_typeEPNSM_ISH_E10value_typeEPSI_NS1_7vsmem_tEENKUlT_SG_SH_SI_E_clIS7_S7_PlSB_EESF_SV_SG_SH_SI_EUlSV_E0_NS1_11comp_targetILNS1_3genE3ELNS1_11target_archE908ELNS1_3gpuE7ELNS1_3repE0EEENS1_38merge_mergepath_config_static_selectorELNS0_4arch9wavefront6targetE1EEEvSH_,"axG",@progbits,_ZN7rocprim17ROCPRIM_400000_NS6detail17trampoline_kernelINS0_14default_configENS1_38merge_sort_block_merge_config_selectorIslEEZZNS1_27merge_sort_block_merge_implIS3_PsN6thrust23THRUST_200600_302600_NS10device_ptrIlEEjNS1_19radix_merge_compareILb0ELb1EsNS0_19identity_decomposerEEEEE10hipError_tT0_T1_T2_jT3_P12ihipStream_tbPNSt15iterator_traitsISG_E10value_typeEPNSM_ISH_E10value_typeEPSI_NS1_7vsmem_tEENKUlT_SG_SH_SI_E_clIS7_S7_PlSB_EESF_SV_SG_SH_SI_EUlSV_E0_NS1_11comp_targetILNS1_3genE3ELNS1_11target_archE908ELNS1_3gpuE7ELNS1_3repE0EEENS1_38merge_mergepath_config_static_selectorELNS0_4arch9wavefront6targetE1EEEvSH_,comdat
	.protected	_ZN7rocprim17ROCPRIM_400000_NS6detail17trampoline_kernelINS0_14default_configENS1_38merge_sort_block_merge_config_selectorIslEEZZNS1_27merge_sort_block_merge_implIS3_PsN6thrust23THRUST_200600_302600_NS10device_ptrIlEEjNS1_19radix_merge_compareILb0ELb1EsNS0_19identity_decomposerEEEEE10hipError_tT0_T1_T2_jT3_P12ihipStream_tbPNSt15iterator_traitsISG_E10value_typeEPNSM_ISH_E10value_typeEPSI_NS1_7vsmem_tEENKUlT_SG_SH_SI_E_clIS7_S7_PlSB_EESF_SV_SG_SH_SI_EUlSV_E0_NS1_11comp_targetILNS1_3genE3ELNS1_11target_archE908ELNS1_3gpuE7ELNS1_3repE0EEENS1_38merge_mergepath_config_static_selectorELNS0_4arch9wavefront6targetE1EEEvSH_ ; -- Begin function _ZN7rocprim17ROCPRIM_400000_NS6detail17trampoline_kernelINS0_14default_configENS1_38merge_sort_block_merge_config_selectorIslEEZZNS1_27merge_sort_block_merge_implIS3_PsN6thrust23THRUST_200600_302600_NS10device_ptrIlEEjNS1_19radix_merge_compareILb0ELb1EsNS0_19identity_decomposerEEEEE10hipError_tT0_T1_T2_jT3_P12ihipStream_tbPNSt15iterator_traitsISG_E10value_typeEPNSM_ISH_E10value_typeEPSI_NS1_7vsmem_tEENKUlT_SG_SH_SI_E_clIS7_S7_PlSB_EESF_SV_SG_SH_SI_EUlSV_E0_NS1_11comp_targetILNS1_3genE3ELNS1_11target_archE908ELNS1_3gpuE7ELNS1_3repE0EEENS1_38merge_mergepath_config_static_selectorELNS0_4arch9wavefront6targetE1EEEvSH_
	.globl	_ZN7rocprim17ROCPRIM_400000_NS6detail17trampoline_kernelINS0_14default_configENS1_38merge_sort_block_merge_config_selectorIslEEZZNS1_27merge_sort_block_merge_implIS3_PsN6thrust23THRUST_200600_302600_NS10device_ptrIlEEjNS1_19radix_merge_compareILb0ELb1EsNS0_19identity_decomposerEEEEE10hipError_tT0_T1_T2_jT3_P12ihipStream_tbPNSt15iterator_traitsISG_E10value_typeEPNSM_ISH_E10value_typeEPSI_NS1_7vsmem_tEENKUlT_SG_SH_SI_E_clIS7_S7_PlSB_EESF_SV_SG_SH_SI_EUlSV_E0_NS1_11comp_targetILNS1_3genE3ELNS1_11target_archE908ELNS1_3gpuE7ELNS1_3repE0EEENS1_38merge_mergepath_config_static_selectorELNS0_4arch9wavefront6targetE1EEEvSH_
	.p2align	8
	.type	_ZN7rocprim17ROCPRIM_400000_NS6detail17trampoline_kernelINS0_14default_configENS1_38merge_sort_block_merge_config_selectorIslEEZZNS1_27merge_sort_block_merge_implIS3_PsN6thrust23THRUST_200600_302600_NS10device_ptrIlEEjNS1_19radix_merge_compareILb0ELb1EsNS0_19identity_decomposerEEEEE10hipError_tT0_T1_T2_jT3_P12ihipStream_tbPNSt15iterator_traitsISG_E10value_typeEPNSM_ISH_E10value_typeEPSI_NS1_7vsmem_tEENKUlT_SG_SH_SI_E_clIS7_S7_PlSB_EESF_SV_SG_SH_SI_EUlSV_E0_NS1_11comp_targetILNS1_3genE3ELNS1_11target_archE908ELNS1_3gpuE7ELNS1_3repE0EEENS1_38merge_mergepath_config_static_selectorELNS0_4arch9wavefront6targetE1EEEvSH_,@function
_ZN7rocprim17ROCPRIM_400000_NS6detail17trampoline_kernelINS0_14default_configENS1_38merge_sort_block_merge_config_selectorIslEEZZNS1_27merge_sort_block_merge_implIS3_PsN6thrust23THRUST_200600_302600_NS10device_ptrIlEEjNS1_19radix_merge_compareILb0ELb1EsNS0_19identity_decomposerEEEEE10hipError_tT0_T1_T2_jT3_P12ihipStream_tbPNSt15iterator_traitsISG_E10value_typeEPNSM_ISH_E10value_typeEPSI_NS1_7vsmem_tEENKUlT_SG_SH_SI_E_clIS7_S7_PlSB_EESF_SV_SG_SH_SI_EUlSV_E0_NS1_11comp_targetILNS1_3genE3ELNS1_11target_archE908ELNS1_3gpuE7ELNS1_3repE0EEENS1_38merge_mergepath_config_static_selectorELNS0_4arch9wavefront6targetE1EEEvSH_: ; @_ZN7rocprim17ROCPRIM_400000_NS6detail17trampoline_kernelINS0_14default_configENS1_38merge_sort_block_merge_config_selectorIslEEZZNS1_27merge_sort_block_merge_implIS3_PsN6thrust23THRUST_200600_302600_NS10device_ptrIlEEjNS1_19radix_merge_compareILb0ELb1EsNS0_19identity_decomposerEEEEE10hipError_tT0_T1_T2_jT3_P12ihipStream_tbPNSt15iterator_traitsISG_E10value_typeEPNSM_ISH_E10value_typeEPSI_NS1_7vsmem_tEENKUlT_SG_SH_SI_E_clIS7_S7_PlSB_EESF_SV_SG_SH_SI_EUlSV_E0_NS1_11comp_targetILNS1_3genE3ELNS1_11target_archE908ELNS1_3gpuE7ELNS1_3repE0EEENS1_38merge_mergepath_config_static_selectorELNS0_4arch9wavefront6targetE1EEEvSH_
; %bb.0:
	.section	.rodata,"a",@progbits
	.p2align	6, 0x0
	.amdhsa_kernel _ZN7rocprim17ROCPRIM_400000_NS6detail17trampoline_kernelINS0_14default_configENS1_38merge_sort_block_merge_config_selectorIslEEZZNS1_27merge_sort_block_merge_implIS3_PsN6thrust23THRUST_200600_302600_NS10device_ptrIlEEjNS1_19radix_merge_compareILb0ELb1EsNS0_19identity_decomposerEEEEE10hipError_tT0_T1_T2_jT3_P12ihipStream_tbPNSt15iterator_traitsISG_E10value_typeEPNSM_ISH_E10value_typeEPSI_NS1_7vsmem_tEENKUlT_SG_SH_SI_E_clIS7_S7_PlSB_EESF_SV_SG_SH_SI_EUlSV_E0_NS1_11comp_targetILNS1_3genE3ELNS1_11target_archE908ELNS1_3gpuE7ELNS1_3repE0EEENS1_38merge_mergepath_config_static_selectorELNS0_4arch9wavefront6targetE1EEEvSH_
		.amdhsa_group_segment_fixed_size 0
		.amdhsa_private_segment_fixed_size 0
		.amdhsa_kernarg_size 64
		.amdhsa_user_sgpr_count 6
		.amdhsa_user_sgpr_private_segment_buffer 1
		.amdhsa_user_sgpr_dispatch_ptr 0
		.amdhsa_user_sgpr_queue_ptr 0
		.amdhsa_user_sgpr_kernarg_segment_ptr 1
		.amdhsa_user_sgpr_dispatch_id 0
		.amdhsa_user_sgpr_flat_scratch_init 0
		.amdhsa_user_sgpr_kernarg_preload_length 0
		.amdhsa_user_sgpr_kernarg_preload_offset 0
		.amdhsa_user_sgpr_private_segment_size 0
		.amdhsa_uses_dynamic_stack 0
		.amdhsa_system_sgpr_private_segment_wavefront_offset 0
		.amdhsa_system_sgpr_workgroup_id_x 1
		.amdhsa_system_sgpr_workgroup_id_y 0
		.amdhsa_system_sgpr_workgroup_id_z 0
		.amdhsa_system_sgpr_workgroup_info 0
		.amdhsa_system_vgpr_workitem_id 0
		.amdhsa_next_free_vgpr 1
		.amdhsa_next_free_sgpr 0
		.amdhsa_accum_offset 4
		.amdhsa_reserve_vcc 0
		.amdhsa_reserve_flat_scratch 0
		.amdhsa_float_round_mode_32 0
		.amdhsa_float_round_mode_16_64 0
		.amdhsa_float_denorm_mode_32 3
		.amdhsa_float_denorm_mode_16_64 3
		.amdhsa_dx10_clamp 1
		.amdhsa_ieee_mode 1
		.amdhsa_fp16_overflow 0
		.amdhsa_tg_split 0
		.amdhsa_exception_fp_ieee_invalid_op 0
		.amdhsa_exception_fp_denorm_src 0
		.amdhsa_exception_fp_ieee_div_zero 0
		.amdhsa_exception_fp_ieee_overflow 0
		.amdhsa_exception_fp_ieee_underflow 0
		.amdhsa_exception_fp_ieee_inexact 0
		.amdhsa_exception_int_div_zero 0
	.end_amdhsa_kernel
	.section	.text._ZN7rocprim17ROCPRIM_400000_NS6detail17trampoline_kernelINS0_14default_configENS1_38merge_sort_block_merge_config_selectorIslEEZZNS1_27merge_sort_block_merge_implIS3_PsN6thrust23THRUST_200600_302600_NS10device_ptrIlEEjNS1_19radix_merge_compareILb0ELb1EsNS0_19identity_decomposerEEEEE10hipError_tT0_T1_T2_jT3_P12ihipStream_tbPNSt15iterator_traitsISG_E10value_typeEPNSM_ISH_E10value_typeEPSI_NS1_7vsmem_tEENKUlT_SG_SH_SI_E_clIS7_S7_PlSB_EESF_SV_SG_SH_SI_EUlSV_E0_NS1_11comp_targetILNS1_3genE3ELNS1_11target_archE908ELNS1_3gpuE7ELNS1_3repE0EEENS1_38merge_mergepath_config_static_selectorELNS0_4arch9wavefront6targetE1EEEvSH_,"axG",@progbits,_ZN7rocprim17ROCPRIM_400000_NS6detail17trampoline_kernelINS0_14default_configENS1_38merge_sort_block_merge_config_selectorIslEEZZNS1_27merge_sort_block_merge_implIS3_PsN6thrust23THRUST_200600_302600_NS10device_ptrIlEEjNS1_19radix_merge_compareILb0ELb1EsNS0_19identity_decomposerEEEEE10hipError_tT0_T1_T2_jT3_P12ihipStream_tbPNSt15iterator_traitsISG_E10value_typeEPNSM_ISH_E10value_typeEPSI_NS1_7vsmem_tEENKUlT_SG_SH_SI_E_clIS7_S7_PlSB_EESF_SV_SG_SH_SI_EUlSV_E0_NS1_11comp_targetILNS1_3genE3ELNS1_11target_archE908ELNS1_3gpuE7ELNS1_3repE0EEENS1_38merge_mergepath_config_static_selectorELNS0_4arch9wavefront6targetE1EEEvSH_,comdat
.Lfunc_end1344:
	.size	_ZN7rocprim17ROCPRIM_400000_NS6detail17trampoline_kernelINS0_14default_configENS1_38merge_sort_block_merge_config_selectorIslEEZZNS1_27merge_sort_block_merge_implIS3_PsN6thrust23THRUST_200600_302600_NS10device_ptrIlEEjNS1_19radix_merge_compareILb0ELb1EsNS0_19identity_decomposerEEEEE10hipError_tT0_T1_T2_jT3_P12ihipStream_tbPNSt15iterator_traitsISG_E10value_typeEPNSM_ISH_E10value_typeEPSI_NS1_7vsmem_tEENKUlT_SG_SH_SI_E_clIS7_S7_PlSB_EESF_SV_SG_SH_SI_EUlSV_E0_NS1_11comp_targetILNS1_3genE3ELNS1_11target_archE908ELNS1_3gpuE7ELNS1_3repE0EEENS1_38merge_mergepath_config_static_selectorELNS0_4arch9wavefront6targetE1EEEvSH_, .Lfunc_end1344-_ZN7rocprim17ROCPRIM_400000_NS6detail17trampoline_kernelINS0_14default_configENS1_38merge_sort_block_merge_config_selectorIslEEZZNS1_27merge_sort_block_merge_implIS3_PsN6thrust23THRUST_200600_302600_NS10device_ptrIlEEjNS1_19radix_merge_compareILb0ELb1EsNS0_19identity_decomposerEEEEE10hipError_tT0_T1_T2_jT3_P12ihipStream_tbPNSt15iterator_traitsISG_E10value_typeEPNSM_ISH_E10value_typeEPSI_NS1_7vsmem_tEENKUlT_SG_SH_SI_E_clIS7_S7_PlSB_EESF_SV_SG_SH_SI_EUlSV_E0_NS1_11comp_targetILNS1_3genE3ELNS1_11target_archE908ELNS1_3gpuE7ELNS1_3repE0EEENS1_38merge_mergepath_config_static_selectorELNS0_4arch9wavefront6targetE1EEEvSH_
                                        ; -- End function
	.section	.AMDGPU.csdata,"",@progbits
; Kernel info:
; codeLenInByte = 0
; NumSgprs: 4
; NumVgprs: 0
; NumAgprs: 0
; TotalNumVgprs: 0
; ScratchSize: 0
; MemoryBound: 0
; FloatMode: 240
; IeeeMode: 1
; LDSByteSize: 0 bytes/workgroup (compile time only)
; SGPRBlocks: 0
; VGPRBlocks: 0
; NumSGPRsForWavesPerEU: 4
; NumVGPRsForWavesPerEU: 1
; AccumOffset: 4
; Occupancy: 8
; WaveLimiterHint : 0
; COMPUTE_PGM_RSRC2:SCRATCH_EN: 0
; COMPUTE_PGM_RSRC2:USER_SGPR: 6
; COMPUTE_PGM_RSRC2:TRAP_HANDLER: 0
; COMPUTE_PGM_RSRC2:TGID_X_EN: 1
; COMPUTE_PGM_RSRC2:TGID_Y_EN: 0
; COMPUTE_PGM_RSRC2:TGID_Z_EN: 0
; COMPUTE_PGM_RSRC2:TIDIG_COMP_CNT: 0
; COMPUTE_PGM_RSRC3_GFX90A:ACCUM_OFFSET: 0
; COMPUTE_PGM_RSRC3_GFX90A:TG_SPLIT: 0
	.section	.text._ZN7rocprim17ROCPRIM_400000_NS6detail17trampoline_kernelINS0_14default_configENS1_38merge_sort_block_merge_config_selectorIslEEZZNS1_27merge_sort_block_merge_implIS3_PsN6thrust23THRUST_200600_302600_NS10device_ptrIlEEjNS1_19radix_merge_compareILb0ELb1EsNS0_19identity_decomposerEEEEE10hipError_tT0_T1_T2_jT3_P12ihipStream_tbPNSt15iterator_traitsISG_E10value_typeEPNSM_ISH_E10value_typeEPSI_NS1_7vsmem_tEENKUlT_SG_SH_SI_E_clIS7_S7_PlSB_EESF_SV_SG_SH_SI_EUlSV_E0_NS1_11comp_targetILNS1_3genE2ELNS1_11target_archE906ELNS1_3gpuE6ELNS1_3repE0EEENS1_38merge_mergepath_config_static_selectorELNS0_4arch9wavefront6targetE1EEEvSH_,"axG",@progbits,_ZN7rocprim17ROCPRIM_400000_NS6detail17trampoline_kernelINS0_14default_configENS1_38merge_sort_block_merge_config_selectorIslEEZZNS1_27merge_sort_block_merge_implIS3_PsN6thrust23THRUST_200600_302600_NS10device_ptrIlEEjNS1_19radix_merge_compareILb0ELb1EsNS0_19identity_decomposerEEEEE10hipError_tT0_T1_T2_jT3_P12ihipStream_tbPNSt15iterator_traitsISG_E10value_typeEPNSM_ISH_E10value_typeEPSI_NS1_7vsmem_tEENKUlT_SG_SH_SI_E_clIS7_S7_PlSB_EESF_SV_SG_SH_SI_EUlSV_E0_NS1_11comp_targetILNS1_3genE2ELNS1_11target_archE906ELNS1_3gpuE6ELNS1_3repE0EEENS1_38merge_mergepath_config_static_selectorELNS0_4arch9wavefront6targetE1EEEvSH_,comdat
	.protected	_ZN7rocprim17ROCPRIM_400000_NS6detail17trampoline_kernelINS0_14default_configENS1_38merge_sort_block_merge_config_selectorIslEEZZNS1_27merge_sort_block_merge_implIS3_PsN6thrust23THRUST_200600_302600_NS10device_ptrIlEEjNS1_19radix_merge_compareILb0ELb1EsNS0_19identity_decomposerEEEEE10hipError_tT0_T1_T2_jT3_P12ihipStream_tbPNSt15iterator_traitsISG_E10value_typeEPNSM_ISH_E10value_typeEPSI_NS1_7vsmem_tEENKUlT_SG_SH_SI_E_clIS7_S7_PlSB_EESF_SV_SG_SH_SI_EUlSV_E0_NS1_11comp_targetILNS1_3genE2ELNS1_11target_archE906ELNS1_3gpuE6ELNS1_3repE0EEENS1_38merge_mergepath_config_static_selectorELNS0_4arch9wavefront6targetE1EEEvSH_ ; -- Begin function _ZN7rocprim17ROCPRIM_400000_NS6detail17trampoline_kernelINS0_14default_configENS1_38merge_sort_block_merge_config_selectorIslEEZZNS1_27merge_sort_block_merge_implIS3_PsN6thrust23THRUST_200600_302600_NS10device_ptrIlEEjNS1_19radix_merge_compareILb0ELb1EsNS0_19identity_decomposerEEEEE10hipError_tT0_T1_T2_jT3_P12ihipStream_tbPNSt15iterator_traitsISG_E10value_typeEPNSM_ISH_E10value_typeEPSI_NS1_7vsmem_tEENKUlT_SG_SH_SI_E_clIS7_S7_PlSB_EESF_SV_SG_SH_SI_EUlSV_E0_NS1_11comp_targetILNS1_3genE2ELNS1_11target_archE906ELNS1_3gpuE6ELNS1_3repE0EEENS1_38merge_mergepath_config_static_selectorELNS0_4arch9wavefront6targetE1EEEvSH_
	.globl	_ZN7rocprim17ROCPRIM_400000_NS6detail17trampoline_kernelINS0_14default_configENS1_38merge_sort_block_merge_config_selectorIslEEZZNS1_27merge_sort_block_merge_implIS3_PsN6thrust23THRUST_200600_302600_NS10device_ptrIlEEjNS1_19radix_merge_compareILb0ELb1EsNS0_19identity_decomposerEEEEE10hipError_tT0_T1_T2_jT3_P12ihipStream_tbPNSt15iterator_traitsISG_E10value_typeEPNSM_ISH_E10value_typeEPSI_NS1_7vsmem_tEENKUlT_SG_SH_SI_E_clIS7_S7_PlSB_EESF_SV_SG_SH_SI_EUlSV_E0_NS1_11comp_targetILNS1_3genE2ELNS1_11target_archE906ELNS1_3gpuE6ELNS1_3repE0EEENS1_38merge_mergepath_config_static_selectorELNS0_4arch9wavefront6targetE1EEEvSH_
	.p2align	8
	.type	_ZN7rocprim17ROCPRIM_400000_NS6detail17trampoline_kernelINS0_14default_configENS1_38merge_sort_block_merge_config_selectorIslEEZZNS1_27merge_sort_block_merge_implIS3_PsN6thrust23THRUST_200600_302600_NS10device_ptrIlEEjNS1_19radix_merge_compareILb0ELb1EsNS0_19identity_decomposerEEEEE10hipError_tT0_T1_T2_jT3_P12ihipStream_tbPNSt15iterator_traitsISG_E10value_typeEPNSM_ISH_E10value_typeEPSI_NS1_7vsmem_tEENKUlT_SG_SH_SI_E_clIS7_S7_PlSB_EESF_SV_SG_SH_SI_EUlSV_E0_NS1_11comp_targetILNS1_3genE2ELNS1_11target_archE906ELNS1_3gpuE6ELNS1_3repE0EEENS1_38merge_mergepath_config_static_selectorELNS0_4arch9wavefront6targetE1EEEvSH_,@function
_ZN7rocprim17ROCPRIM_400000_NS6detail17trampoline_kernelINS0_14default_configENS1_38merge_sort_block_merge_config_selectorIslEEZZNS1_27merge_sort_block_merge_implIS3_PsN6thrust23THRUST_200600_302600_NS10device_ptrIlEEjNS1_19radix_merge_compareILb0ELb1EsNS0_19identity_decomposerEEEEE10hipError_tT0_T1_T2_jT3_P12ihipStream_tbPNSt15iterator_traitsISG_E10value_typeEPNSM_ISH_E10value_typeEPSI_NS1_7vsmem_tEENKUlT_SG_SH_SI_E_clIS7_S7_PlSB_EESF_SV_SG_SH_SI_EUlSV_E0_NS1_11comp_targetILNS1_3genE2ELNS1_11target_archE906ELNS1_3gpuE6ELNS1_3repE0EEENS1_38merge_mergepath_config_static_selectorELNS0_4arch9wavefront6targetE1EEEvSH_: ; @_ZN7rocprim17ROCPRIM_400000_NS6detail17trampoline_kernelINS0_14default_configENS1_38merge_sort_block_merge_config_selectorIslEEZZNS1_27merge_sort_block_merge_implIS3_PsN6thrust23THRUST_200600_302600_NS10device_ptrIlEEjNS1_19radix_merge_compareILb0ELb1EsNS0_19identity_decomposerEEEEE10hipError_tT0_T1_T2_jT3_P12ihipStream_tbPNSt15iterator_traitsISG_E10value_typeEPNSM_ISH_E10value_typeEPSI_NS1_7vsmem_tEENKUlT_SG_SH_SI_E_clIS7_S7_PlSB_EESF_SV_SG_SH_SI_EUlSV_E0_NS1_11comp_targetILNS1_3genE2ELNS1_11target_archE906ELNS1_3gpuE6ELNS1_3repE0EEENS1_38merge_mergepath_config_static_selectorELNS0_4arch9wavefront6targetE1EEEvSH_
; %bb.0:
	.section	.rodata,"a",@progbits
	.p2align	6, 0x0
	.amdhsa_kernel _ZN7rocprim17ROCPRIM_400000_NS6detail17trampoline_kernelINS0_14default_configENS1_38merge_sort_block_merge_config_selectorIslEEZZNS1_27merge_sort_block_merge_implIS3_PsN6thrust23THRUST_200600_302600_NS10device_ptrIlEEjNS1_19radix_merge_compareILb0ELb1EsNS0_19identity_decomposerEEEEE10hipError_tT0_T1_T2_jT3_P12ihipStream_tbPNSt15iterator_traitsISG_E10value_typeEPNSM_ISH_E10value_typeEPSI_NS1_7vsmem_tEENKUlT_SG_SH_SI_E_clIS7_S7_PlSB_EESF_SV_SG_SH_SI_EUlSV_E0_NS1_11comp_targetILNS1_3genE2ELNS1_11target_archE906ELNS1_3gpuE6ELNS1_3repE0EEENS1_38merge_mergepath_config_static_selectorELNS0_4arch9wavefront6targetE1EEEvSH_
		.amdhsa_group_segment_fixed_size 0
		.amdhsa_private_segment_fixed_size 0
		.amdhsa_kernarg_size 64
		.amdhsa_user_sgpr_count 6
		.amdhsa_user_sgpr_private_segment_buffer 1
		.amdhsa_user_sgpr_dispatch_ptr 0
		.amdhsa_user_sgpr_queue_ptr 0
		.amdhsa_user_sgpr_kernarg_segment_ptr 1
		.amdhsa_user_sgpr_dispatch_id 0
		.amdhsa_user_sgpr_flat_scratch_init 0
		.amdhsa_user_sgpr_kernarg_preload_length 0
		.amdhsa_user_sgpr_kernarg_preload_offset 0
		.amdhsa_user_sgpr_private_segment_size 0
		.amdhsa_uses_dynamic_stack 0
		.amdhsa_system_sgpr_private_segment_wavefront_offset 0
		.amdhsa_system_sgpr_workgroup_id_x 1
		.amdhsa_system_sgpr_workgroup_id_y 0
		.amdhsa_system_sgpr_workgroup_id_z 0
		.amdhsa_system_sgpr_workgroup_info 0
		.amdhsa_system_vgpr_workitem_id 0
		.amdhsa_next_free_vgpr 1
		.amdhsa_next_free_sgpr 0
		.amdhsa_accum_offset 4
		.amdhsa_reserve_vcc 0
		.amdhsa_reserve_flat_scratch 0
		.amdhsa_float_round_mode_32 0
		.amdhsa_float_round_mode_16_64 0
		.amdhsa_float_denorm_mode_32 3
		.amdhsa_float_denorm_mode_16_64 3
		.amdhsa_dx10_clamp 1
		.amdhsa_ieee_mode 1
		.amdhsa_fp16_overflow 0
		.amdhsa_tg_split 0
		.amdhsa_exception_fp_ieee_invalid_op 0
		.amdhsa_exception_fp_denorm_src 0
		.amdhsa_exception_fp_ieee_div_zero 0
		.amdhsa_exception_fp_ieee_overflow 0
		.amdhsa_exception_fp_ieee_underflow 0
		.amdhsa_exception_fp_ieee_inexact 0
		.amdhsa_exception_int_div_zero 0
	.end_amdhsa_kernel
	.section	.text._ZN7rocprim17ROCPRIM_400000_NS6detail17trampoline_kernelINS0_14default_configENS1_38merge_sort_block_merge_config_selectorIslEEZZNS1_27merge_sort_block_merge_implIS3_PsN6thrust23THRUST_200600_302600_NS10device_ptrIlEEjNS1_19radix_merge_compareILb0ELb1EsNS0_19identity_decomposerEEEEE10hipError_tT0_T1_T2_jT3_P12ihipStream_tbPNSt15iterator_traitsISG_E10value_typeEPNSM_ISH_E10value_typeEPSI_NS1_7vsmem_tEENKUlT_SG_SH_SI_E_clIS7_S7_PlSB_EESF_SV_SG_SH_SI_EUlSV_E0_NS1_11comp_targetILNS1_3genE2ELNS1_11target_archE906ELNS1_3gpuE6ELNS1_3repE0EEENS1_38merge_mergepath_config_static_selectorELNS0_4arch9wavefront6targetE1EEEvSH_,"axG",@progbits,_ZN7rocprim17ROCPRIM_400000_NS6detail17trampoline_kernelINS0_14default_configENS1_38merge_sort_block_merge_config_selectorIslEEZZNS1_27merge_sort_block_merge_implIS3_PsN6thrust23THRUST_200600_302600_NS10device_ptrIlEEjNS1_19radix_merge_compareILb0ELb1EsNS0_19identity_decomposerEEEEE10hipError_tT0_T1_T2_jT3_P12ihipStream_tbPNSt15iterator_traitsISG_E10value_typeEPNSM_ISH_E10value_typeEPSI_NS1_7vsmem_tEENKUlT_SG_SH_SI_E_clIS7_S7_PlSB_EESF_SV_SG_SH_SI_EUlSV_E0_NS1_11comp_targetILNS1_3genE2ELNS1_11target_archE906ELNS1_3gpuE6ELNS1_3repE0EEENS1_38merge_mergepath_config_static_selectorELNS0_4arch9wavefront6targetE1EEEvSH_,comdat
.Lfunc_end1345:
	.size	_ZN7rocprim17ROCPRIM_400000_NS6detail17trampoline_kernelINS0_14default_configENS1_38merge_sort_block_merge_config_selectorIslEEZZNS1_27merge_sort_block_merge_implIS3_PsN6thrust23THRUST_200600_302600_NS10device_ptrIlEEjNS1_19radix_merge_compareILb0ELb1EsNS0_19identity_decomposerEEEEE10hipError_tT0_T1_T2_jT3_P12ihipStream_tbPNSt15iterator_traitsISG_E10value_typeEPNSM_ISH_E10value_typeEPSI_NS1_7vsmem_tEENKUlT_SG_SH_SI_E_clIS7_S7_PlSB_EESF_SV_SG_SH_SI_EUlSV_E0_NS1_11comp_targetILNS1_3genE2ELNS1_11target_archE906ELNS1_3gpuE6ELNS1_3repE0EEENS1_38merge_mergepath_config_static_selectorELNS0_4arch9wavefront6targetE1EEEvSH_, .Lfunc_end1345-_ZN7rocprim17ROCPRIM_400000_NS6detail17trampoline_kernelINS0_14default_configENS1_38merge_sort_block_merge_config_selectorIslEEZZNS1_27merge_sort_block_merge_implIS3_PsN6thrust23THRUST_200600_302600_NS10device_ptrIlEEjNS1_19radix_merge_compareILb0ELb1EsNS0_19identity_decomposerEEEEE10hipError_tT0_T1_T2_jT3_P12ihipStream_tbPNSt15iterator_traitsISG_E10value_typeEPNSM_ISH_E10value_typeEPSI_NS1_7vsmem_tEENKUlT_SG_SH_SI_E_clIS7_S7_PlSB_EESF_SV_SG_SH_SI_EUlSV_E0_NS1_11comp_targetILNS1_3genE2ELNS1_11target_archE906ELNS1_3gpuE6ELNS1_3repE0EEENS1_38merge_mergepath_config_static_selectorELNS0_4arch9wavefront6targetE1EEEvSH_
                                        ; -- End function
	.section	.AMDGPU.csdata,"",@progbits
; Kernel info:
; codeLenInByte = 0
; NumSgprs: 4
; NumVgprs: 0
; NumAgprs: 0
; TotalNumVgprs: 0
; ScratchSize: 0
; MemoryBound: 0
; FloatMode: 240
; IeeeMode: 1
; LDSByteSize: 0 bytes/workgroup (compile time only)
; SGPRBlocks: 0
; VGPRBlocks: 0
; NumSGPRsForWavesPerEU: 4
; NumVGPRsForWavesPerEU: 1
; AccumOffset: 4
; Occupancy: 8
; WaveLimiterHint : 0
; COMPUTE_PGM_RSRC2:SCRATCH_EN: 0
; COMPUTE_PGM_RSRC2:USER_SGPR: 6
; COMPUTE_PGM_RSRC2:TRAP_HANDLER: 0
; COMPUTE_PGM_RSRC2:TGID_X_EN: 1
; COMPUTE_PGM_RSRC2:TGID_Y_EN: 0
; COMPUTE_PGM_RSRC2:TGID_Z_EN: 0
; COMPUTE_PGM_RSRC2:TIDIG_COMP_CNT: 0
; COMPUTE_PGM_RSRC3_GFX90A:ACCUM_OFFSET: 0
; COMPUTE_PGM_RSRC3_GFX90A:TG_SPLIT: 0
	.section	.text._ZN7rocprim17ROCPRIM_400000_NS6detail17trampoline_kernelINS0_14default_configENS1_38merge_sort_block_merge_config_selectorIslEEZZNS1_27merge_sort_block_merge_implIS3_PsN6thrust23THRUST_200600_302600_NS10device_ptrIlEEjNS1_19radix_merge_compareILb0ELb1EsNS0_19identity_decomposerEEEEE10hipError_tT0_T1_T2_jT3_P12ihipStream_tbPNSt15iterator_traitsISG_E10value_typeEPNSM_ISH_E10value_typeEPSI_NS1_7vsmem_tEENKUlT_SG_SH_SI_E_clIS7_S7_PlSB_EESF_SV_SG_SH_SI_EUlSV_E0_NS1_11comp_targetILNS1_3genE9ELNS1_11target_archE1100ELNS1_3gpuE3ELNS1_3repE0EEENS1_38merge_mergepath_config_static_selectorELNS0_4arch9wavefront6targetE1EEEvSH_,"axG",@progbits,_ZN7rocprim17ROCPRIM_400000_NS6detail17trampoline_kernelINS0_14default_configENS1_38merge_sort_block_merge_config_selectorIslEEZZNS1_27merge_sort_block_merge_implIS3_PsN6thrust23THRUST_200600_302600_NS10device_ptrIlEEjNS1_19radix_merge_compareILb0ELb1EsNS0_19identity_decomposerEEEEE10hipError_tT0_T1_T2_jT3_P12ihipStream_tbPNSt15iterator_traitsISG_E10value_typeEPNSM_ISH_E10value_typeEPSI_NS1_7vsmem_tEENKUlT_SG_SH_SI_E_clIS7_S7_PlSB_EESF_SV_SG_SH_SI_EUlSV_E0_NS1_11comp_targetILNS1_3genE9ELNS1_11target_archE1100ELNS1_3gpuE3ELNS1_3repE0EEENS1_38merge_mergepath_config_static_selectorELNS0_4arch9wavefront6targetE1EEEvSH_,comdat
	.protected	_ZN7rocprim17ROCPRIM_400000_NS6detail17trampoline_kernelINS0_14default_configENS1_38merge_sort_block_merge_config_selectorIslEEZZNS1_27merge_sort_block_merge_implIS3_PsN6thrust23THRUST_200600_302600_NS10device_ptrIlEEjNS1_19radix_merge_compareILb0ELb1EsNS0_19identity_decomposerEEEEE10hipError_tT0_T1_T2_jT3_P12ihipStream_tbPNSt15iterator_traitsISG_E10value_typeEPNSM_ISH_E10value_typeEPSI_NS1_7vsmem_tEENKUlT_SG_SH_SI_E_clIS7_S7_PlSB_EESF_SV_SG_SH_SI_EUlSV_E0_NS1_11comp_targetILNS1_3genE9ELNS1_11target_archE1100ELNS1_3gpuE3ELNS1_3repE0EEENS1_38merge_mergepath_config_static_selectorELNS0_4arch9wavefront6targetE1EEEvSH_ ; -- Begin function _ZN7rocprim17ROCPRIM_400000_NS6detail17trampoline_kernelINS0_14default_configENS1_38merge_sort_block_merge_config_selectorIslEEZZNS1_27merge_sort_block_merge_implIS3_PsN6thrust23THRUST_200600_302600_NS10device_ptrIlEEjNS1_19radix_merge_compareILb0ELb1EsNS0_19identity_decomposerEEEEE10hipError_tT0_T1_T2_jT3_P12ihipStream_tbPNSt15iterator_traitsISG_E10value_typeEPNSM_ISH_E10value_typeEPSI_NS1_7vsmem_tEENKUlT_SG_SH_SI_E_clIS7_S7_PlSB_EESF_SV_SG_SH_SI_EUlSV_E0_NS1_11comp_targetILNS1_3genE9ELNS1_11target_archE1100ELNS1_3gpuE3ELNS1_3repE0EEENS1_38merge_mergepath_config_static_selectorELNS0_4arch9wavefront6targetE1EEEvSH_
	.globl	_ZN7rocprim17ROCPRIM_400000_NS6detail17trampoline_kernelINS0_14default_configENS1_38merge_sort_block_merge_config_selectorIslEEZZNS1_27merge_sort_block_merge_implIS3_PsN6thrust23THRUST_200600_302600_NS10device_ptrIlEEjNS1_19radix_merge_compareILb0ELb1EsNS0_19identity_decomposerEEEEE10hipError_tT0_T1_T2_jT3_P12ihipStream_tbPNSt15iterator_traitsISG_E10value_typeEPNSM_ISH_E10value_typeEPSI_NS1_7vsmem_tEENKUlT_SG_SH_SI_E_clIS7_S7_PlSB_EESF_SV_SG_SH_SI_EUlSV_E0_NS1_11comp_targetILNS1_3genE9ELNS1_11target_archE1100ELNS1_3gpuE3ELNS1_3repE0EEENS1_38merge_mergepath_config_static_selectorELNS0_4arch9wavefront6targetE1EEEvSH_
	.p2align	8
	.type	_ZN7rocprim17ROCPRIM_400000_NS6detail17trampoline_kernelINS0_14default_configENS1_38merge_sort_block_merge_config_selectorIslEEZZNS1_27merge_sort_block_merge_implIS3_PsN6thrust23THRUST_200600_302600_NS10device_ptrIlEEjNS1_19radix_merge_compareILb0ELb1EsNS0_19identity_decomposerEEEEE10hipError_tT0_T1_T2_jT3_P12ihipStream_tbPNSt15iterator_traitsISG_E10value_typeEPNSM_ISH_E10value_typeEPSI_NS1_7vsmem_tEENKUlT_SG_SH_SI_E_clIS7_S7_PlSB_EESF_SV_SG_SH_SI_EUlSV_E0_NS1_11comp_targetILNS1_3genE9ELNS1_11target_archE1100ELNS1_3gpuE3ELNS1_3repE0EEENS1_38merge_mergepath_config_static_selectorELNS0_4arch9wavefront6targetE1EEEvSH_,@function
_ZN7rocprim17ROCPRIM_400000_NS6detail17trampoline_kernelINS0_14default_configENS1_38merge_sort_block_merge_config_selectorIslEEZZNS1_27merge_sort_block_merge_implIS3_PsN6thrust23THRUST_200600_302600_NS10device_ptrIlEEjNS1_19radix_merge_compareILb0ELb1EsNS0_19identity_decomposerEEEEE10hipError_tT0_T1_T2_jT3_P12ihipStream_tbPNSt15iterator_traitsISG_E10value_typeEPNSM_ISH_E10value_typeEPSI_NS1_7vsmem_tEENKUlT_SG_SH_SI_E_clIS7_S7_PlSB_EESF_SV_SG_SH_SI_EUlSV_E0_NS1_11comp_targetILNS1_3genE9ELNS1_11target_archE1100ELNS1_3gpuE3ELNS1_3repE0EEENS1_38merge_mergepath_config_static_selectorELNS0_4arch9wavefront6targetE1EEEvSH_: ; @_ZN7rocprim17ROCPRIM_400000_NS6detail17trampoline_kernelINS0_14default_configENS1_38merge_sort_block_merge_config_selectorIslEEZZNS1_27merge_sort_block_merge_implIS3_PsN6thrust23THRUST_200600_302600_NS10device_ptrIlEEjNS1_19radix_merge_compareILb0ELb1EsNS0_19identity_decomposerEEEEE10hipError_tT0_T1_T2_jT3_P12ihipStream_tbPNSt15iterator_traitsISG_E10value_typeEPNSM_ISH_E10value_typeEPSI_NS1_7vsmem_tEENKUlT_SG_SH_SI_E_clIS7_S7_PlSB_EESF_SV_SG_SH_SI_EUlSV_E0_NS1_11comp_targetILNS1_3genE9ELNS1_11target_archE1100ELNS1_3gpuE3ELNS1_3repE0EEENS1_38merge_mergepath_config_static_selectorELNS0_4arch9wavefront6targetE1EEEvSH_
; %bb.0:
	.section	.rodata,"a",@progbits
	.p2align	6, 0x0
	.amdhsa_kernel _ZN7rocprim17ROCPRIM_400000_NS6detail17trampoline_kernelINS0_14default_configENS1_38merge_sort_block_merge_config_selectorIslEEZZNS1_27merge_sort_block_merge_implIS3_PsN6thrust23THRUST_200600_302600_NS10device_ptrIlEEjNS1_19radix_merge_compareILb0ELb1EsNS0_19identity_decomposerEEEEE10hipError_tT0_T1_T2_jT3_P12ihipStream_tbPNSt15iterator_traitsISG_E10value_typeEPNSM_ISH_E10value_typeEPSI_NS1_7vsmem_tEENKUlT_SG_SH_SI_E_clIS7_S7_PlSB_EESF_SV_SG_SH_SI_EUlSV_E0_NS1_11comp_targetILNS1_3genE9ELNS1_11target_archE1100ELNS1_3gpuE3ELNS1_3repE0EEENS1_38merge_mergepath_config_static_selectorELNS0_4arch9wavefront6targetE1EEEvSH_
		.amdhsa_group_segment_fixed_size 0
		.amdhsa_private_segment_fixed_size 0
		.amdhsa_kernarg_size 64
		.amdhsa_user_sgpr_count 6
		.amdhsa_user_sgpr_private_segment_buffer 1
		.amdhsa_user_sgpr_dispatch_ptr 0
		.amdhsa_user_sgpr_queue_ptr 0
		.amdhsa_user_sgpr_kernarg_segment_ptr 1
		.amdhsa_user_sgpr_dispatch_id 0
		.amdhsa_user_sgpr_flat_scratch_init 0
		.amdhsa_user_sgpr_kernarg_preload_length 0
		.amdhsa_user_sgpr_kernarg_preload_offset 0
		.amdhsa_user_sgpr_private_segment_size 0
		.amdhsa_uses_dynamic_stack 0
		.amdhsa_system_sgpr_private_segment_wavefront_offset 0
		.amdhsa_system_sgpr_workgroup_id_x 1
		.amdhsa_system_sgpr_workgroup_id_y 0
		.amdhsa_system_sgpr_workgroup_id_z 0
		.amdhsa_system_sgpr_workgroup_info 0
		.amdhsa_system_vgpr_workitem_id 0
		.amdhsa_next_free_vgpr 1
		.amdhsa_next_free_sgpr 0
		.amdhsa_accum_offset 4
		.amdhsa_reserve_vcc 0
		.amdhsa_reserve_flat_scratch 0
		.amdhsa_float_round_mode_32 0
		.amdhsa_float_round_mode_16_64 0
		.amdhsa_float_denorm_mode_32 3
		.amdhsa_float_denorm_mode_16_64 3
		.amdhsa_dx10_clamp 1
		.amdhsa_ieee_mode 1
		.amdhsa_fp16_overflow 0
		.amdhsa_tg_split 0
		.amdhsa_exception_fp_ieee_invalid_op 0
		.amdhsa_exception_fp_denorm_src 0
		.amdhsa_exception_fp_ieee_div_zero 0
		.amdhsa_exception_fp_ieee_overflow 0
		.amdhsa_exception_fp_ieee_underflow 0
		.amdhsa_exception_fp_ieee_inexact 0
		.amdhsa_exception_int_div_zero 0
	.end_amdhsa_kernel
	.section	.text._ZN7rocprim17ROCPRIM_400000_NS6detail17trampoline_kernelINS0_14default_configENS1_38merge_sort_block_merge_config_selectorIslEEZZNS1_27merge_sort_block_merge_implIS3_PsN6thrust23THRUST_200600_302600_NS10device_ptrIlEEjNS1_19radix_merge_compareILb0ELb1EsNS0_19identity_decomposerEEEEE10hipError_tT0_T1_T2_jT3_P12ihipStream_tbPNSt15iterator_traitsISG_E10value_typeEPNSM_ISH_E10value_typeEPSI_NS1_7vsmem_tEENKUlT_SG_SH_SI_E_clIS7_S7_PlSB_EESF_SV_SG_SH_SI_EUlSV_E0_NS1_11comp_targetILNS1_3genE9ELNS1_11target_archE1100ELNS1_3gpuE3ELNS1_3repE0EEENS1_38merge_mergepath_config_static_selectorELNS0_4arch9wavefront6targetE1EEEvSH_,"axG",@progbits,_ZN7rocprim17ROCPRIM_400000_NS6detail17trampoline_kernelINS0_14default_configENS1_38merge_sort_block_merge_config_selectorIslEEZZNS1_27merge_sort_block_merge_implIS3_PsN6thrust23THRUST_200600_302600_NS10device_ptrIlEEjNS1_19radix_merge_compareILb0ELb1EsNS0_19identity_decomposerEEEEE10hipError_tT0_T1_T2_jT3_P12ihipStream_tbPNSt15iterator_traitsISG_E10value_typeEPNSM_ISH_E10value_typeEPSI_NS1_7vsmem_tEENKUlT_SG_SH_SI_E_clIS7_S7_PlSB_EESF_SV_SG_SH_SI_EUlSV_E0_NS1_11comp_targetILNS1_3genE9ELNS1_11target_archE1100ELNS1_3gpuE3ELNS1_3repE0EEENS1_38merge_mergepath_config_static_selectorELNS0_4arch9wavefront6targetE1EEEvSH_,comdat
.Lfunc_end1346:
	.size	_ZN7rocprim17ROCPRIM_400000_NS6detail17trampoline_kernelINS0_14default_configENS1_38merge_sort_block_merge_config_selectorIslEEZZNS1_27merge_sort_block_merge_implIS3_PsN6thrust23THRUST_200600_302600_NS10device_ptrIlEEjNS1_19radix_merge_compareILb0ELb1EsNS0_19identity_decomposerEEEEE10hipError_tT0_T1_T2_jT3_P12ihipStream_tbPNSt15iterator_traitsISG_E10value_typeEPNSM_ISH_E10value_typeEPSI_NS1_7vsmem_tEENKUlT_SG_SH_SI_E_clIS7_S7_PlSB_EESF_SV_SG_SH_SI_EUlSV_E0_NS1_11comp_targetILNS1_3genE9ELNS1_11target_archE1100ELNS1_3gpuE3ELNS1_3repE0EEENS1_38merge_mergepath_config_static_selectorELNS0_4arch9wavefront6targetE1EEEvSH_, .Lfunc_end1346-_ZN7rocprim17ROCPRIM_400000_NS6detail17trampoline_kernelINS0_14default_configENS1_38merge_sort_block_merge_config_selectorIslEEZZNS1_27merge_sort_block_merge_implIS3_PsN6thrust23THRUST_200600_302600_NS10device_ptrIlEEjNS1_19radix_merge_compareILb0ELb1EsNS0_19identity_decomposerEEEEE10hipError_tT0_T1_T2_jT3_P12ihipStream_tbPNSt15iterator_traitsISG_E10value_typeEPNSM_ISH_E10value_typeEPSI_NS1_7vsmem_tEENKUlT_SG_SH_SI_E_clIS7_S7_PlSB_EESF_SV_SG_SH_SI_EUlSV_E0_NS1_11comp_targetILNS1_3genE9ELNS1_11target_archE1100ELNS1_3gpuE3ELNS1_3repE0EEENS1_38merge_mergepath_config_static_selectorELNS0_4arch9wavefront6targetE1EEEvSH_
                                        ; -- End function
	.section	.AMDGPU.csdata,"",@progbits
; Kernel info:
; codeLenInByte = 0
; NumSgprs: 4
; NumVgprs: 0
; NumAgprs: 0
; TotalNumVgprs: 0
; ScratchSize: 0
; MemoryBound: 0
; FloatMode: 240
; IeeeMode: 1
; LDSByteSize: 0 bytes/workgroup (compile time only)
; SGPRBlocks: 0
; VGPRBlocks: 0
; NumSGPRsForWavesPerEU: 4
; NumVGPRsForWavesPerEU: 1
; AccumOffset: 4
; Occupancy: 8
; WaveLimiterHint : 0
; COMPUTE_PGM_RSRC2:SCRATCH_EN: 0
; COMPUTE_PGM_RSRC2:USER_SGPR: 6
; COMPUTE_PGM_RSRC2:TRAP_HANDLER: 0
; COMPUTE_PGM_RSRC2:TGID_X_EN: 1
; COMPUTE_PGM_RSRC2:TGID_Y_EN: 0
; COMPUTE_PGM_RSRC2:TGID_Z_EN: 0
; COMPUTE_PGM_RSRC2:TIDIG_COMP_CNT: 0
; COMPUTE_PGM_RSRC3_GFX90A:ACCUM_OFFSET: 0
; COMPUTE_PGM_RSRC3_GFX90A:TG_SPLIT: 0
	.section	.text._ZN7rocprim17ROCPRIM_400000_NS6detail17trampoline_kernelINS0_14default_configENS1_38merge_sort_block_merge_config_selectorIslEEZZNS1_27merge_sort_block_merge_implIS3_PsN6thrust23THRUST_200600_302600_NS10device_ptrIlEEjNS1_19radix_merge_compareILb0ELb1EsNS0_19identity_decomposerEEEEE10hipError_tT0_T1_T2_jT3_P12ihipStream_tbPNSt15iterator_traitsISG_E10value_typeEPNSM_ISH_E10value_typeEPSI_NS1_7vsmem_tEENKUlT_SG_SH_SI_E_clIS7_S7_PlSB_EESF_SV_SG_SH_SI_EUlSV_E0_NS1_11comp_targetILNS1_3genE8ELNS1_11target_archE1030ELNS1_3gpuE2ELNS1_3repE0EEENS1_38merge_mergepath_config_static_selectorELNS0_4arch9wavefront6targetE1EEEvSH_,"axG",@progbits,_ZN7rocprim17ROCPRIM_400000_NS6detail17trampoline_kernelINS0_14default_configENS1_38merge_sort_block_merge_config_selectorIslEEZZNS1_27merge_sort_block_merge_implIS3_PsN6thrust23THRUST_200600_302600_NS10device_ptrIlEEjNS1_19radix_merge_compareILb0ELb1EsNS0_19identity_decomposerEEEEE10hipError_tT0_T1_T2_jT3_P12ihipStream_tbPNSt15iterator_traitsISG_E10value_typeEPNSM_ISH_E10value_typeEPSI_NS1_7vsmem_tEENKUlT_SG_SH_SI_E_clIS7_S7_PlSB_EESF_SV_SG_SH_SI_EUlSV_E0_NS1_11comp_targetILNS1_3genE8ELNS1_11target_archE1030ELNS1_3gpuE2ELNS1_3repE0EEENS1_38merge_mergepath_config_static_selectorELNS0_4arch9wavefront6targetE1EEEvSH_,comdat
	.protected	_ZN7rocprim17ROCPRIM_400000_NS6detail17trampoline_kernelINS0_14default_configENS1_38merge_sort_block_merge_config_selectorIslEEZZNS1_27merge_sort_block_merge_implIS3_PsN6thrust23THRUST_200600_302600_NS10device_ptrIlEEjNS1_19radix_merge_compareILb0ELb1EsNS0_19identity_decomposerEEEEE10hipError_tT0_T1_T2_jT3_P12ihipStream_tbPNSt15iterator_traitsISG_E10value_typeEPNSM_ISH_E10value_typeEPSI_NS1_7vsmem_tEENKUlT_SG_SH_SI_E_clIS7_S7_PlSB_EESF_SV_SG_SH_SI_EUlSV_E0_NS1_11comp_targetILNS1_3genE8ELNS1_11target_archE1030ELNS1_3gpuE2ELNS1_3repE0EEENS1_38merge_mergepath_config_static_selectorELNS0_4arch9wavefront6targetE1EEEvSH_ ; -- Begin function _ZN7rocprim17ROCPRIM_400000_NS6detail17trampoline_kernelINS0_14default_configENS1_38merge_sort_block_merge_config_selectorIslEEZZNS1_27merge_sort_block_merge_implIS3_PsN6thrust23THRUST_200600_302600_NS10device_ptrIlEEjNS1_19radix_merge_compareILb0ELb1EsNS0_19identity_decomposerEEEEE10hipError_tT0_T1_T2_jT3_P12ihipStream_tbPNSt15iterator_traitsISG_E10value_typeEPNSM_ISH_E10value_typeEPSI_NS1_7vsmem_tEENKUlT_SG_SH_SI_E_clIS7_S7_PlSB_EESF_SV_SG_SH_SI_EUlSV_E0_NS1_11comp_targetILNS1_3genE8ELNS1_11target_archE1030ELNS1_3gpuE2ELNS1_3repE0EEENS1_38merge_mergepath_config_static_selectorELNS0_4arch9wavefront6targetE1EEEvSH_
	.globl	_ZN7rocprim17ROCPRIM_400000_NS6detail17trampoline_kernelINS0_14default_configENS1_38merge_sort_block_merge_config_selectorIslEEZZNS1_27merge_sort_block_merge_implIS3_PsN6thrust23THRUST_200600_302600_NS10device_ptrIlEEjNS1_19radix_merge_compareILb0ELb1EsNS0_19identity_decomposerEEEEE10hipError_tT0_T1_T2_jT3_P12ihipStream_tbPNSt15iterator_traitsISG_E10value_typeEPNSM_ISH_E10value_typeEPSI_NS1_7vsmem_tEENKUlT_SG_SH_SI_E_clIS7_S7_PlSB_EESF_SV_SG_SH_SI_EUlSV_E0_NS1_11comp_targetILNS1_3genE8ELNS1_11target_archE1030ELNS1_3gpuE2ELNS1_3repE0EEENS1_38merge_mergepath_config_static_selectorELNS0_4arch9wavefront6targetE1EEEvSH_
	.p2align	8
	.type	_ZN7rocprim17ROCPRIM_400000_NS6detail17trampoline_kernelINS0_14default_configENS1_38merge_sort_block_merge_config_selectorIslEEZZNS1_27merge_sort_block_merge_implIS3_PsN6thrust23THRUST_200600_302600_NS10device_ptrIlEEjNS1_19radix_merge_compareILb0ELb1EsNS0_19identity_decomposerEEEEE10hipError_tT0_T1_T2_jT3_P12ihipStream_tbPNSt15iterator_traitsISG_E10value_typeEPNSM_ISH_E10value_typeEPSI_NS1_7vsmem_tEENKUlT_SG_SH_SI_E_clIS7_S7_PlSB_EESF_SV_SG_SH_SI_EUlSV_E0_NS1_11comp_targetILNS1_3genE8ELNS1_11target_archE1030ELNS1_3gpuE2ELNS1_3repE0EEENS1_38merge_mergepath_config_static_selectorELNS0_4arch9wavefront6targetE1EEEvSH_,@function
_ZN7rocprim17ROCPRIM_400000_NS6detail17trampoline_kernelINS0_14default_configENS1_38merge_sort_block_merge_config_selectorIslEEZZNS1_27merge_sort_block_merge_implIS3_PsN6thrust23THRUST_200600_302600_NS10device_ptrIlEEjNS1_19radix_merge_compareILb0ELb1EsNS0_19identity_decomposerEEEEE10hipError_tT0_T1_T2_jT3_P12ihipStream_tbPNSt15iterator_traitsISG_E10value_typeEPNSM_ISH_E10value_typeEPSI_NS1_7vsmem_tEENKUlT_SG_SH_SI_E_clIS7_S7_PlSB_EESF_SV_SG_SH_SI_EUlSV_E0_NS1_11comp_targetILNS1_3genE8ELNS1_11target_archE1030ELNS1_3gpuE2ELNS1_3repE0EEENS1_38merge_mergepath_config_static_selectorELNS0_4arch9wavefront6targetE1EEEvSH_: ; @_ZN7rocprim17ROCPRIM_400000_NS6detail17trampoline_kernelINS0_14default_configENS1_38merge_sort_block_merge_config_selectorIslEEZZNS1_27merge_sort_block_merge_implIS3_PsN6thrust23THRUST_200600_302600_NS10device_ptrIlEEjNS1_19radix_merge_compareILb0ELb1EsNS0_19identity_decomposerEEEEE10hipError_tT0_T1_T2_jT3_P12ihipStream_tbPNSt15iterator_traitsISG_E10value_typeEPNSM_ISH_E10value_typeEPSI_NS1_7vsmem_tEENKUlT_SG_SH_SI_E_clIS7_S7_PlSB_EESF_SV_SG_SH_SI_EUlSV_E0_NS1_11comp_targetILNS1_3genE8ELNS1_11target_archE1030ELNS1_3gpuE2ELNS1_3repE0EEENS1_38merge_mergepath_config_static_selectorELNS0_4arch9wavefront6targetE1EEEvSH_
; %bb.0:
	.section	.rodata,"a",@progbits
	.p2align	6, 0x0
	.amdhsa_kernel _ZN7rocprim17ROCPRIM_400000_NS6detail17trampoline_kernelINS0_14default_configENS1_38merge_sort_block_merge_config_selectorIslEEZZNS1_27merge_sort_block_merge_implIS3_PsN6thrust23THRUST_200600_302600_NS10device_ptrIlEEjNS1_19radix_merge_compareILb0ELb1EsNS0_19identity_decomposerEEEEE10hipError_tT0_T1_T2_jT3_P12ihipStream_tbPNSt15iterator_traitsISG_E10value_typeEPNSM_ISH_E10value_typeEPSI_NS1_7vsmem_tEENKUlT_SG_SH_SI_E_clIS7_S7_PlSB_EESF_SV_SG_SH_SI_EUlSV_E0_NS1_11comp_targetILNS1_3genE8ELNS1_11target_archE1030ELNS1_3gpuE2ELNS1_3repE0EEENS1_38merge_mergepath_config_static_selectorELNS0_4arch9wavefront6targetE1EEEvSH_
		.amdhsa_group_segment_fixed_size 0
		.amdhsa_private_segment_fixed_size 0
		.amdhsa_kernarg_size 64
		.amdhsa_user_sgpr_count 6
		.amdhsa_user_sgpr_private_segment_buffer 1
		.amdhsa_user_sgpr_dispatch_ptr 0
		.amdhsa_user_sgpr_queue_ptr 0
		.amdhsa_user_sgpr_kernarg_segment_ptr 1
		.amdhsa_user_sgpr_dispatch_id 0
		.amdhsa_user_sgpr_flat_scratch_init 0
		.amdhsa_user_sgpr_kernarg_preload_length 0
		.amdhsa_user_sgpr_kernarg_preload_offset 0
		.amdhsa_user_sgpr_private_segment_size 0
		.amdhsa_uses_dynamic_stack 0
		.amdhsa_system_sgpr_private_segment_wavefront_offset 0
		.amdhsa_system_sgpr_workgroup_id_x 1
		.amdhsa_system_sgpr_workgroup_id_y 0
		.amdhsa_system_sgpr_workgroup_id_z 0
		.amdhsa_system_sgpr_workgroup_info 0
		.amdhsa_system_vgpr_workitem_id 0
		.amdhsa_next_free_vgpr 1
		.amdhsa_next_free_sgpr 0
		.amdhsa_accum_offset 4
		.amdhsa_reserve_vcc 0
		.amdhsa_reserve_flat_scratch 0
		.amdhsa_float_round_mode_32 0
		.amdhsa_float_round_mode_16_64 0
		.amdhsa_float_denorm_mode_32 3
		.amdhsa_float_denorm_mode_16_64 3
		.amdhsa_dx10_clamp 1
		.amdhsa_ieee_mode 1
		.amdhsa_fp16_overflow 0
		.amdhsa_tg_split 0
		.amdhsa_exception_fp_ieee_invalid_op 0
		.amdhsa_exception_fp_denorm_src 0
		.amdhsa_exception_fp_ieee_div_zero 0
		.amdhsa_exception_fp_ieee_overflow 0
		.amdhsa_exception_fp_ieee_underflow 0
		.amdhsa_exception_fp_ieee_inexact 0
		.amdhsa_exception_int_div_zero 0
	.end_amdhsa_kernel
	.section	.text._ZN7rocprim17ROCPRIM_400000_NS6detail17trampoline_kernelINS0_14default_configENS1_38merge_sort_block_merge_config_selectorIslEEZZNS1_27merge_sort_block_merge_implIS3_PsN6thrust23THRUST_200600_302600_NS10device_ptrIlEEjNS1_19radix_merge_compareILb0ELb1EsNS0_19identity_decomposerEEEEE10hipError_tT0_T1_T2_jT3_P12ihipStream_tbPNSt15iterator_traitsISG_E10value_typeEPNSM_ISH_E10value_typeEPSI_NS1_7vsmem_tEENKUlT_SG_SH_SI_E_clIS7_S7_PlSB_EESF_SV_SG_SH_SI_EUlSV_E0_NS1_11comp_targetILNS1_3genE8ELNS1_11target_archE1030ELNS1_3gpuE2ELNS1_3repE0EEENS1_38merge_mergepath_config_static_selectorELNS0_4arch9wavefront6targetE1EEEvSH_,"axG",@progbits,_ZN7rocprim17ROCPRIM_400000_NS6detail17trampoline_kernelINS0_14default_configENS1_38merge_sort_block_merge_config_selectorIslEEZZNS1_27merge_sort_block_merge_implIS3_PsN6thrust23THRUST_200600_302600_NS10device_ptrIlEEjNS1_19radix_merge_compareILb0ELb1EsNS0_19identity_decomposerEEEEE10hipError_tT0_T1_T2_jT3_P12ihipStream_tbPNSt15iterator_traitsISG_E10value_typeEPNSM_ISH_E10value_typeEPSI_NS1_7vsmem_tEENKUlT_SG_SH_SI_E_clIS7_S7_PlSB_EESF_SV_SG_SH_SI_EUlSV_E0_NS1_11comp_targetILNS1_3genE8ELNS1_11target_archE1030ELNS1_3gpuE2ELNS1_3repE0EEENS1_38merge_mergepath_config_static_selectorELNS0_4arch9wavefront6targetE1EEEvSH_,comdat
.Lfunc_end1347:
	.size	_ZN7rocprim17ROCPRIM_400000_NS6detail17trampoline_kernelINS0_14default_configENS1_38merge_sort_block_merge_config_selectorIslEEZZNS1_27merge_sort_block_merge_implIS3_PsN6thrust23THRUST_200600_302600_NS10device_ptrIlEEjNS1_19radix_merge_compareILb0ELb1EsNS0_19identity_decomposerEEEEE10hipError_tT0_T1_T2_jT3_P12ihipStream_tbPNSt15iterator_traitsISG_E10value_typeEPNSM_ISH_E10value_typeEPSI_NS1_7vsmem_tEENKUlT_SG_SH_SI_E_clIS7_S7_PlSB_EESF_SV_SG_SH_SI_EUlSV_E0_NS1_11comp_targetILNS1_3genE8ELNS1_11target_archE1030ELNS1_3gpuE2ELNS1_3repE0EEENS1_38merge_mergepath_config_static_selectorELNS0_4arch9wavefront6targetE1EEEvSH_, .Lfunc_end1347-_ZN7rocprim17ROCPRIM_400000_NS6detail17trampoline_kernelINS0_14default_configENS1_38merge_sort_block_merge_config_selectorIslEEZZNS1_27merge_sort_block_merge_implIS3_PsN6thrust23THRUST_200600_302600_NS10device_ptrIlEEjNS1_19radix_merge_compareILb0ELb1EsNS0_19identity_decomposerEEEEE10hipError_tT0_T1_T2_jT3_P12ihipStream_tbPNSt15iterator_traitsISG_E10value_typeEPNSM_ISH_E10value_typeEPSI_NS1_7vsmem_tEENKUlT_SG_SH_SI_E_clIS7_S7_PlSB_EESF_SV_SG_SH_SI_EUlSV_E0_NS1_11comp_targetILNS1_3genE8ELNS1_11target_archE1030ELNS1_3gpuE2ELNS1_3repE0EEENS1_38merge_mergepath_config_static_selectorELNS0_4arch9wavefront6targetE1EEEvSH_
                                        ; -- End function
	.section	.AMDGPU.csdata,"",@progbits
; Kernel info:
; codeLenInByte = 0
; NumSgprs: 4
; NumVgprs: 0
; NumAgprs: 0
; TotalNumVgprs: 0
; ScratchSize: 0
; MemoryBound: 0
; FloatMode: 240
; IeeeMode: 1
; LDSByteSize: 0 bytes/workgroup (compile time only)
; SGPRBlocks: 0
; VGPRBlocks: 0
; NumSGPRsForWavesPerEU: 4
; NumVGPRsForWavesPerEU: 1
; AccumOffset: 4
; Occupancy: 8
; WaveLimiterHint : 0
; COMPUTE_PGM_RSRC2:SCRATCH_EN: 0
; COMPUTE_PGM_RSRC2:USER_SGPR: 6
; COMPUTE_PGM_RSRC2:TRAP_HANDLER: 0
; COMPUTE_PGM_RSRC2:TGID_X_EN: 1
; COMPUTE_PGM_RSRC2:TGID_Y_EN: 0
; COMPUTE_PGM_RSRC2:TGID_Z_EN: 0
; COMPUTE_PGM_RSRC2:TIDIG_COMP_CNT: 0
; COMPUTE_PGM_RSRC3_GFX90A:ACCUM_OFFSET: 0
; COMPUTE_PGM_RSRC3_GFX90A:TG_SPLIT: 0
	.section	.text._ZN7rocprim17ROCPRIM_400000_NS6detail17trampoline_kernelINS0_14default_configENS1_38merge_sort_block_merge_config_selectorIslEEZZNS1_27merge_sort_block_merge_implIS3_PsN6thrust23THRUST_200600_302600_NS10device_ptrIlEEjNS1_19radix_merge_compareILb0ELb1EsNS0_19identity_decomposerEEEEE10hipError_tT0_T1_T2_jT3_P12ihipStream_tbPNSt15iterator_traitsISG_E10value_typeEPNSM_ISH_E10value_typeEPSI_NS1_7vsmem_tEENKUlT_SG_SH_SI_E_clIS7_S7_PlSB_EESF_SV_SG_SH_SI_EUlSV_E1_NS1_11comp_targetILNS1_3genE0ELNS1_11target_archE4294967295ELNS1_3gpuE0ELNS1_3repE0EEENS1_36merge_oddeven_config_static_selectorELNS0_4arch9wavefront6targetE1EEEvSH_,"axG",@progbits,_ZN7rocprim17ROCPRIM_400000_NS6detail17trampoline_kernelINS0_14default_configENS1_38merge_sort_block_merge_config_selectorIslEEZZNS1_27merge_sort_block_merge_implIS3_PsN6thrust23THRUST_200600_302600_NS10device_ptrIlEEjNS1_19radix_merge_compareILb0ELb1EsNS0_19identity_decomposerEEEEE10hipError_tT0_T1_T2_jT3_P12ihipStream_tbPNSt15iterator_traitsISG_E10value_typeEPNSM_ISH_E10value_typeEPSI_NS1_7vsmem_tEENKUlT_SG_SH_SI_E_clIS7_S7_PlSB_EESF_SV_SG_SH_SI_EUlSV_E1_NS1_11comp_targetILNS1_3genE0ELNS1_11target_archE4294967295ELNS1_3gpuE0ELNS1_3repE0EEENS1_36merge_oddeven_config_static_selectorELNS0_4arch9wavefront6targetE1EEEvSH_,comdat
	.protected	_ZN7rocprim17ROCPRIM_400000_NS6detail17trampoline_kernelINS0_14default_configENS1_38merge_sort_block_merge_config_selectorIslEEZZNS1_27merge_sort_block_merge_implIS3_PsN6thrust23THRUST_200600_302600_NS10device_ptrIlEEjNS1_19radix_merge_compareILb0ELb1EsNS0_19identity_decomposerEEEEE10hipError_tT0_T1_T2_jT3_P12ihipStream_tbPNSt15iterator_traitsISG_E10value_typeEPNSM_ISH_E10value_typeEPSI_NS1_7vsmem_tEENKUlT_SG_SH_SI_E_clIS7_S7_PlSB_EESF_SV_SG_SH_SI_EUlSV_E1_NS1_11comp_targetILNS1_3genE0ELNS1_11target_archE4294967295ELNS1_3gpuE0ELNS1_3repE0EEENS1_36merge_oddeven_config_static_selectorELNS0_4arch9wavefront6targetE1EEEvSH_ ; -- Begin function _ZN7rocprim17ROCPRIM_400000_NS6detail17trampoline_kernelINS0_14default_configENS1_38merge_sort_block_merge_config_selectorIslEEZZNS1_27merge_sort_block_merge_implIS3_PsN6thrust23THRUST_200600_302600_NS10device_ptrIlEEjNS1_19radix_merge_compareILb0ELb1EsNS0_19identity_decomposerEEEEE10hipError_tT0_T1_T2_jT3_P12ihipStream_tbPNSt15iterator_traitsISG_E10value_typeEPNSM_ISH_E10value_typeEPSI_NS1_7vsmem_tEENKUlT_SG_SH_SI_E_clIS7_S7_PlSB_EESF_SV_SG_SH_SI_EUlSV_E1_NS1_11comp_targetILNS1_3genE0ELNS1_11target_archE4294967295ELNS1_3gpuE0ELNS1_3repE0EEENS1_36merge_oddeven_config_static_selectorELNS0_4arch9wavefront6targetE1EEEvSH_
	.globl	_ZN7rocprim17ROCPRIM_400000_NS6detail17trampoline_kernelINS0_14default_configENS1_38merge_sort_block_merge_config_selectorIslEEZZNS1_27merge_sort_block_merge_implIS3_PsN6thrust23THRUST_200600_302600_NS10device_ptrIlEEjNS1_19radix_merge_compareILb0ELb1EsNS0_19identity_decomposerEEEEE10hipError_tT0_T1_T2_jT3_P12ihipStream_tbPNSt15iterator_traitsISG_E10value_typeEPNSM_ISH_E10value_typeEPSI_NS1_7vsmem_tEENKUlT_SG_SH_SI_E_clIS7_S7_PlSB_EESF_SV_SG_SH_SI_EUlSV_E1_NS1_11comp_targetILNS1_3genE0ELNS1_11target_archE4294967295ELNS1_3gpuE0ELNS1_3repE0EEENS1_36merge_oddeven_config_static_selectorELNS0_4arch9wavefront6targetE1EEEvSH_
	.p2align	8
	.type	_ZN7rocprim17ROCPRIM_400000_NS6detail17trampoline_kernelINS0_14default_configENS1_38merge_sort_block_merge_config_selectorIslEEZZNS1_27merge_sort_block_merge_implIS3_PsN6thrust23THRUST_200600_302600_NS10device_ptrIlEEjNS1_19radix_merge_compareILb0ELb1EsNS0_19identity_decomposerEEEEE10hipError_tT0_T1_T2_jT3_P12ihipStream_tbPNSt15iterator_traitsISG_E10value_typeEPNSM_ISH_E10value_typeEPSI_NS1_7vsmem_tEENKUlT_SG_SH_SI_E_clIS7_S7_PlSB_EESF_SV_SG_SH_SI_EUlSV_E1_NS1_11comp_targetILNS1_3genE0ELNS1_11target_archE4294967295ELNS1_3gpuE0ELNS1_3repE0EEENS1_36merge_oddeven_config_static_selectorELNS0_4arch9wavefront6targetE1EEEvSH_,@function
_ZN7rocprim17ROCPRIM_400000_NS6detail17trampoline_kernelINS0_14default_configENS1_38merge_sort_block_merge_config_selectorIslEEZZNS1_27merge_sort_block_merge_implIS3_PsN6thrust23THRUST_200600_302600_NS10device_ptrIlEEjNS1_19radix_merge_compareILb0ELb1EsNS0_19identity_decomposerEEEEE10hipError_tT0_T1_T2_jT3_P12ihipStream_tbPNSt15iterator_traitsISG_E10value_typeEPNSM_ISH_E10value_typeEPSI_NS1_7vsmem_tEENKUlT_SG_SH_SI_E_clIS7_S7_PlSB_EESF_SV_SG_SH_SI_EUlSV_E1_NS1_11comp_targetILNS1_3genE0ELNS1_11target_archE4294967295ELNS1_3gpuE0ELNS1_3repE0EEENS1_36merge_oddeven_config_static_selectorELNS0_4arch9wavefront6targetE1EEEvSH_: ; @_ZN7rocprim17ROCPRIM_400000_NS6detail17trampoline_kernelINS0_14default_configENS1_38merge_sort_block_merge_config_selectorIslEEZZNS1_27merge_sort_block_merge_implIS3_PsN6thrust23THRUST_200600_302600_NS10device_ptrIlEEjNS1_19radix_merge_compareILb0ELb1EsNS0_19identity_decomposerEEEEE10hipError_tT0_T1_T2_jT3_P12ihipStream_tbPNSt15iterator_traitsISG_E10value_typeEPNSM_ISH_E10value_typeEPSI_NS1_7vsmem_tEENKUlT_SG_SH_SI_E_clIS7_S7_PlSB_EESF_SV_SG_SH_SI_EUlSV_E1_NS1_11comp_targetILNS1_3genE0ELNS1_11target_archE4294967295ELNS1_3gpuE0ELNS1_3repE0EEENS1_36merge_oddeven_config_static_selectorELNS0_4arch9wavefront6targetE1EEEvSH_
; %bb.0:
	.section	.rodata,"a",@progbits
	.p2align	6, 0x0
	.amdhsa_kernel _ZN7rocprim17ROCPRIM_400000_NS6detail17trampoline_kernelINS0_14default_configENS1_38merge_sort_block_merge_config_selectorIslEEZZNS1_27merge_sort_block_merge_implIS3_PsN6thrust23THRUST_200600_302600_NS10device_ptrIlEEjNS1_19radix_merge_compareILb0ELb1EsNS0_19identity_decomposerEEEEE10hipError_tT0_T1_T2_jT3_P12ihipStream_tbPNSt15iterator_traitsISG_E10value_typeEPNSM_ISH_E10value_typeEPSI_NS1_7vsmem_tEENKUlT_SG_SH_SI_E_clIS7_S7_PlSB_EESF_SV_SG_SH_SI_EUlSV_E1_NS1_11comp_targetILNS1_3genE0ELNS1_11target_archE4294967295ELNS1_3gpuE0ELNS1_3repE0EEENS1_36merge_oddeven_config_static_selectorELNS0_4arch9wavefront6targetE1EEEvSH_
		.amdhsa_group_segment_fixed_size 0
		.amdhsa_private_segment_fixed_size 0
		.amdhsa_kernarg_size 48
		.amdhsa_user_sgpr_count 6
		.amdhsa_user_sgpr_private_segment_buffer 1
		.amdhsa_user_sgpr_dispatch_ptr 0
		.amdhsa_user_sgpr_queue_ptr 0
		.amdhsa_user_sgpr_kernarg_segment_ptr 1
		.amdhsa_user_sgpr_dispatch_id 0
		.amdhsa_user_sgpr_flat_scratch_init 0
		.amdhsa_user_sgpr_kernarg_preload_length 0
		.amdhsa_user_sgpr_kernarg_preload_offset 0
		.amdhsa_user_sgpr_private_segment_size 0
		.amdhsa_uses_dynamic_stack 0
		.amdhsa_system_sgpr_private_segment_wavefront_offset 0
		.amdhsa_system_sgpr_workgroup_id_x 1
		.amdhsa_system_sgpr_workgroup_id_y 0
		.amdhsa_system_sgpr_workgroup_id_z 0
		.amdhsa_system_sgpr_workgroup_info 0
		.amdhsa_system_vgpr_workitem_id 0
		.amdhsa_next_free_vgpr 1
		.amdhsa_next_free_sgpr 0
		.amdhsa_accum_offset 4
		.amdhsa_reserve_vcc 0
		.amdhsa_reserve_flat_scratch 0
		.amdhsa_float_round_mode_32 0
		.amdhsa_float_round_mode_16_64 0
		.amdhsa_float_denorm_mode_32 3
		.amdhsa_float_denorm_mode_16_64 3
		.amdhsa_dx10_clamp 1
		.amdhsa_ieee_mode 1
		.amdhsa_fp16_overflow 0
		.amdhsa_tg_split 0
		.amdhsa_exception_fp_ieee_invalid_op 0
		.amdhsa_exception_fp_denorm_src 0
		.amdhsa_exception_fp_ieee_div_zero 0
		.amdhsa_exception_fp_ieee_overflow 0
		.amdhsa_exception_fp_ieee_underflow 0
		.amdhsa_exception_fp_ieee_inexact 0
		.amdhsa_exception_int_div_zero 0
	.end_amdhsa_kernel
	.section	.text._ZN7rocprim17ROCPRIM_400000_NS6detail17trampoline_kernelINS0_14default_configENS1_38merge_sort_block_merge_config_selectorIslEEZZNS1_27merge_sort_block_merge_implIS3_PsN6thrust23THRUST_200600_302600_NS10device_ptrIlEEjNS1_19radix_merge_compareILb0ELb1EsNS0_19identity_decomposerEEEEE10hipError_tT0_T1_T2_jT3_P12ihipStream_tbPNSt15iterator_traitsISG_E10value_typeEPNSM_ISH_E10value_typeEPSI_NS1_7vsmem_tEENKUlT_SG_SH_SI_E_clIS7_S7_PlSB_EESF_SV_SG_SH_SI_EUlSV_E1_NS1_11comp_targetILNS1_3genE0ELNS1_11target_archE4294967295ELNS1_3gpuE0ELNS1_3repE0EEENS1_36merge_oddeven_config_static_selectorELNS0_4arch9wavefront6targetE1EEEvSH_,"axG",@progbits,_ZN7rocprim17ROCPRIM_400000_NS6detail17trampoline_kernelINS0_14default_configENS1_38merge_sort_block_merge_config_selectorIslEEZZNS1_27merge_sort_block_merge_implIS3_PsN6thrust23THRUST_200600_302600_NS10device_ptrIlEEjNS1_19radix_merge_compareILb0ELb1EsNS0_19identity_decomposerEEEEE10hipError_tT0_T1_T2_jT3_P12ihipStream_tbPNSt15iterator_traitsISG_E10value_typeEPNSM_ISH_E10value_typeEPSI_NS1_7vsmem_tEENKUlT_SG_SH_SI_E_clIS7_S7_PlSB_EESF_SV_SG_SH_SI_EUlSV_E1_NS1_11comp_targetILNS1_3genE0ELNS1_11target_archE4294967295ELNS1_3gpuE0ELNS1_3repE0EEENS1_36merge_oddeven_config_static_selectorELNS0_4arch9wavefront6targetE1EEEvSH_,comdat
.Lfunc_end1348:
	.size	_ZN7rocprim17ROCPRIM_400000_NS6detail17trampoline_kernelINS0_14default_configENS1_38merge_sort_block_merge_config_selectorIslEEZZNS1_27merge_sort_block_merge_implIS3_PsN6thrust23THRUST_200600_302600_NS10device_ptrIlEEjNS1_19radix_merge_compareILb0ELb1EsNS0_19identity_decomposerEEEEE10hipError_tT0_T1_T2_jT3_P12ihipStream_tbPNSt15iterator_traitsISG_E10value_typeEPNSM_ISH_E10value_typeEPSI_NS1_7vsmem_tEENKUlT_SG_SH_SI_E_clIS7_S7_PlSB_EESF_SV_SG_SH_SI_EUlSV_E1_NS1_11comp_targetILNS1_3genE0ELNS1_11target_archE4294967295ELNS1_3gpuE0ELNS1_3repE0EEENS1_36merge_oddeven_config_static_selectorELNS0_4arch9wavefront6targetE1EEEvSH_, .Lfunc_end1348-_ZN7rocprim17ROCPRIM_400000_NS6detail17trampoline_kernelINS0_14default_configENS1_38merge_sort_block_merge_config_selectorIslEEZZNS1_27merge_sort_block_merge_implIS3_PsN6thrust23THRUST_200600_302600_NS10device_ptrIlEEjNS1_19radix_merge_compareILb0ELb1EsNS0_19identity_decomposerEEEEE10hipError_tT0_T1_T2_jT3_P12ihipStream_tbPNSt15iterator_traitsISG_E10value_typeEPNSM_ISH_E10value_typeEPSI_NS1_7vsmem_tEENKUlT_SG_SH_SI_E_clIS7_S7_PlSB_EESF_SV_SG_SH_SI_EUlSV_E1_NS1_11comp_targetILNS1_3genE0ELNS1_11target_archE4294967295ELNS1_3gpuE0ELNS1_3repE0EEENS1_36merge_oddeven_config_static_selectorELNS0_4arch9wavefront6targetE1EEEvSH_
                                        ; -- End function
	.section	.AMDGPU.csdata,"",@progbits
; Kernel info:
; codeLenInByte = 0
; NumSgprs: 4
; NumVgprs: 0
; NumAgprs: 0
; TotalNumVgprs: 0
; ScratchSize: 0
; MemoryBound: 0
; FloatMode: 240
; IeeeMode: 1
; LDSByteSize: 0 bytes/workgroup (compile time only)
; SGPRBlocks: 0
; VGPRBlocks: 0
; NumSGPRsForWavesPerEU: 4
; NumVGPRsForWavesPerEU: 1
; AccumOffset: 4
; Occupancy: 8
; WaveLimiterHint : 0
; COMPUTE_PGM_RSRC2:SCRATCH_EN: 0
; COMPUTE_PGM_RSRC2:USER_SGPR: 6
; COMPUTE_PGM_RSRC2:TRAP_HANDLER: 0
; COMPUTE_PGM_RSRC2:TGID_X_EN: 1
; COMPUTE_PGM_RSRC2:TGID_Y_EN: 0
; COMPUTE_PGM_RSRC2:TGID_Z_EN: 0
; COMPUTE_PGM_RSRC2:TIDIG_COMP_CNT: 0
; COMPUTE_PGM_RSRC3_GFX90A:ACCUM_OFFSET: 0
; COMPUTE_PGM_RSRC3_GFX90A:TG_SPLIT: 0
	.section	.text._ZN7rocprim17ROCPRIM_400000_NS6detail17trampoline_kernelINS0_14default_configENS1_38merge_sort_block_merge_config_selectorIslEEZZNS1_27merge_sort_block_merge_implIS3_PsN6thrust23THRUST_200600_302600_NS10device_ptrIlEEjNS1_19radix_merge_compareILb0ELb1EsNS0_19identity_decomposerEEEEE10hipError_tT0_T1_T2_jT3_P12ihipStream_tbPNSt15iterator_traitsISG_E10value_typeEPNSM_ISH_E10value_typeEPSI_NS1_7vsmem_tEENKUlT_SG_SH_SI_E_clIS7_S7_PlSB_EESF_SV_SG_SH_SI_EUlSV_E1_NS1_11comp_targetILNS1_3genE10ELNS1_11target_archE1201ELNS1_3gpuE5ELNS1_3repE0EEENS1_36merge_oddeven_config_static_selectorELNS0_4arch9wavefront6targetE1EEEvSH_,"axG",@progbits,_ZN7rocprim17ROCPRIM_400000_NS6detail17trampoline_kernelINS0_14default_configENS1_38merge_sort_block_merge_config_selectorIslEEZZNS1_27merge_sort_block_merge_implIS3_PsN6thrust23THRUST_200600_302600_NS10device_ptrIlEEjNS1_19radix_merge_compareILb0ELb1EsNS0_19identity_decomposerEEEEE10hipError_tT0_T1_T2_jT3_P12ihipStream_tbPNSt15iterator_traitsISG_E10value_typeEPNSM_ISH_E10value_typeEPSI_NS1_7vsmem_tEENKUlT_SG_SH_SI_E_clIS7_S7_PlSB_EESF_SV_SG_SH_SI_EUlSV_E1_NS1_11comp_targetILNS1_3genE10ELNS1_11target_archE1201ELNS1_3gpuE5ELNS1_3repE0EEENS1_36merge_oddeven_config_static_selectorELNS0_4arch9wavefront6targetE1EEEvSH_,comdat
	.protected	_ZN7rocprim17ROCPRIM_400000_NS6detail17trampoline_kernelINS0_14default_configENS1_38merge_sort_block_merge_config_selectorIslEEZZNS1_27merge_sort_block_merge_implIS3_PsN6thrust23THRUST_200600_302600_NS10device_ptrIlEEjNS1_19radix_merge_compareILb0ELb1EsNS0_19identity_decomposerEEEEE10hipError_tT0_T1_T2_jT3_P12ihipStream_tbPNSt15iterator_traitsISG_E10value_typeEPNSM_ISH_E10value_typeEPSI_NS1_7vsmem_tEENKUlT_SG_SH_SI_E_clIS7_S7_PlSB_EESF_SV_SG_SH_SI_EUlSV_E1_NS1_11comp_targetILNS1_3genE10ELNS1_11target_archE1201ELNS1_3gpuE5ELNS1_3repE0EEENS1_36merge_oddeven_config_static_selectorELNS0_4arch9wavefront6targetE1EEEvSH_ ; -- Begin function _ZN7rocprim17ROCPRIM_400000_NS6detail17trampoline_kernelINS0_14default_configENS1_38merge_sort_block_merge_config_selectorIslEEZZNS1_27merge_sort_block_merge_implIS3_PsN6thrust23THRUST_200600_302600_NS10device_ptrIlEEjNS1_19radix_merge_compareILb0ELb1EsNS0_19identity_decomposerEEEEE10hipError_tT0_T1_T2_jT3_P12ihipStream_tbPNSt15iterator_traitsISG_E10value_typeEPNSM_ISH_E10value_typeEPSI_NS1_7vsmem_tEENKUlT_SG_SH_SI_E_clIS7_S7_PlSB_EESF_SV_SG_SH_SI_EUlSV_E1_NS1_11comp_targetILNS1_3genE10ELNS1_11target_archE1201ELNS1_3gpuE5ELNS1_3repE0EEENS1_36merge_oddeven_config_static_selectorELNS0_4arch9wavefront6targetE1EEEvSH_
	.globl	_ZN7rocprim17ROCPRIM_400000_NS6detail17trampoline_kernelINS0_14default_configENS1_38merge_sort_block_merge_config_selectorIslEEZZNS1_27merge_sort_block_merge_implIS3_PsN6thrust23THRUST_200600_302600_NS10device_ptrIlEEjNS1_19radix_merge_compareILb0ELb1EsNS0_19identity_decomposerEEEEE10hipError_tT0_T1_T2_jT3_P12ihipStream_tbPNSt15iterator_traitsISG_E10value_typeEPNSM_ISH_E10value_typeEPSI_NS1_7vsmem_tEENKUlT_SG_SH_SI_E_clIS7_S7_PlSB_EESF_SV_SG_SH_SI_EUlSV_E1_NS1_11comp_targetILNS1_3genE10ELNS1_11target_archE1201ELNS1_3gpuE5ELNS1_3repE0EEENS1_36merge_oddeven_config_static_selectorELNS0_4arch9wavefront6targetE1EEEvSH_
	.p2align	8
	.type	_ZN7rocprim17ROCPRIM_400000_NS6detail17trampoline_kernelINS0_14default_configENS1_38merge_sort_block_merge_config_selectorIslEEZZNS1_27merge_sort_block_merge_implIS3_PsN6thrust23THRUST_200600_302600_NS10device_ptrIlEEjNS1_19radix_merge_compareILb0ELb1EsNS0_19identity_decomposerEEEEE10hipError_tT0_T1_T2_jT3_P12ihipStream_tbPNSt15iterator_traitsISG_E10value_typeEPNSM_ISH_E10value_typeEPSI_NS1_7vsmem_tEENKUlT_SG_SH_SI_E_clIS7_S7_PlSB_EESF_SV_SG_SH_SI_EUlSV_E1_NS1_11comp_targetILNS1_3genE10ELNS1_11target_archE1201ELNS1_3gpuE5ELNS1_3repE0EEENS1_36merge_oddeven_config_static_selectorELNS0_4arch9wavefront6targetE1EEEvSH_,@function
_ZN7rocprim17ROCPRIM_400000_NS6detail17trampoline_kernelINS0_14default_configENS1_38merge_sort_block_merge_config_selectorIslEEZZNS1_27merge_sort_block_merge_implIS3_PsN6thrust23THRUST_200600_302600_NS10device_ptrIlEEjNS1_19radix_merge_compareILb0ELb1EsNS0_19identity_decomposerEEEEE10hipError_tT0_T1_T2_jT3_P12ihipStream_tbPNSt15iterator_traitsISG_E10value_typeEPNSM_ISH_E10value_typeEPSI_NS1_7vsmem_tEENKUlT_SG_SH_SI_E_clIS7_S7_PlSB_EESF_SV_SG_SH_SI_EUlSV_E1_NS1_11comp_targetILNS1_3genE10ELNS1_11target_archE1201ELNS1_3gpuE5ELNS1_3repE0EEENS1_36merge_oddeven_config_static_selectorELNS0_4arch9wavefront6targetE1EEEvSH_: ; @_ZN7rocprim17ROCPRIM_400000_NS6detail17trampoline_kernelINS0_14default_configENS1_38merge_sort_block_merge_config_selectorIslEEZZNS1_27merge_sort_block_merge_implIS3_PsN6thrust23THRUST_200600_302600_NS10device_ptrIlEEjNS1_19radix_merge_compareILb0ELb1EsNS0_19identity_decomposerEEEEE10hipError_tT0_T1_T2_jT3_P12ihipStream_tbPNSt15iterator_traitsISG_E10value_typeEPNSM_ISH_E10value_typeEPSI_NS1_7vsmem_tEENKUlT_SG_SH_SI_E_clIS7_S7_PlSB_EESF_SV_SG_SH_SI_EUlSV_E1_NS1_11comp_targetILNS1_3genE10ELNS1_11target_archE1201ELNS1_3gpuE5ELNS1_3repE0EEENS1_36merge_oddeven_config_static_selectorELNS0_4arch9wavefront6targetE1EEEvSH_
; %bb.0:
	.section	.rodata,"a",@progbits
	.p2align	6, 0x0
	.amdhsa_kernel _ZN7rocprim17ROCPRIM_400000_NS6detail17trampoline_kernelINS0_14default_configENS1_38merge_sort_block_merge_config_selectorIslEEZZNS1_27merge_sort_block_merge_implIS3_PsN6thrust23THRUST_200600_302600_NS10device_ptrIlEEjNS1_19radix_merge_compareILb0ELb1EsNS0_19identity_decomposerEEEEE10hipError_tT0_T1_T2_jT3_P12ihipStream_tbPNSt15iterator_traitsISG_E10value_typeEPNSM_ISH_E10value_typeEPSI_NS1_7vsmem_tEENKUlT_SG_SH_SI_E_clIS7_S7_PlSB_EESF_SV_SG_SH_SI_EUlSV_E1_NS1_11comp_targetILNS1_3genE10ELNS1_11target_archE1201ELNS1_3gpuE5ELNS1_3repE0EEENS1_36merge_oddeven_config_static_selectorELNS0_4arch9wavefront6targetE1EEEvSH_
		.amdhsa_group_segment_fixed_size 0
		.amdhsa_private_segment_fixed_size 0
		.amdhsa_kernarg_size 48
		.amdhsa_user_sgpr_count 6
		.amdhsa_user_sgpr_private_segment_buffer 1
		.amdhsa_user_sgpr_dispatch_ptr 0
		.amdhsa_user_sgpr_queue_ptr 0
		.amdhsa_user_sgpr_kernarg_segment_ptr 1
		.amdhsa_user_sgpr_dispatch_id 0
		.amdhsa_user_sgpr_flat_scratch_init 0
		.amdhsa_user_sgpr_kernarg_preload_length 0
		.amdhsa_user_sgpr_kernarg_preload_offset 0
		.amdhsa_user_sgpr_private_segment_size 0
		.amdhsa_uses_dynamic_stack 0
		.amdhsa_system_sgpr_private_segment_wavefront_offset 0
		.amdhsa_system_sgpr_workgroup_id_x 1
		.amdhsa_system_sgpr_workgroup_id_y 0
		.amdhsa_system_sgpr_workgroup_id_z 0
		.amdhsa_system_sgpr_workgroup_info 0
		.amdhsa_system_vgpr_workitem_id 0
		.amdhsa_next_free_vgpr 1
		.amdhsa_next_free_sgpr 0
		.amdhsa_accum_offset 4
		.amdhsa_reserve_vcc 0
		.amdhsa_reserve_flat_scratch 0
		.amdhsa_float_round_mode_32 0
		.amdhsa_float_round_mode_16_64 0
		.amdhsa_float_denorm_mode_32 3
		.amdhsa_float_denorm_mode_16_64 3
		.amdhsa_dx10_clamp 1
		.amdhsa_ieee_mode 1
		.amdhsa_fp16_overflow 0
		.amdhsa_tg_split 0
		.amdhsa_exception_fp_ieee_invalid_op 0
		.amdhsa_exception_fp_denorm_src 0
		.amdhsa_exception_fp_ieee_div_zero 0
		.amdhsa_exception_fp_ieee_overflow 0
		.amdhsa_exception_fp_ieee_underflow 0
		.amdhsa_exception_fp_ieee_inexact 0
		.amdhsa_exception_int_div_zero 0
	.end_amdhsa_kernel
	.section	.text._ZN7rocprim17ROCPRIM_400000_NS6detail17trampoline_kernelINS0_14default_configENS1_38merge_sort_block_merge_config_selectorIslEEZZNS1_27merge_sort_block_merge_implIS3_PsN6thrust23THRUST_200600_302600_NS10device_ptrIlEEjNS1_19radix_merge_compareILb0ELb1EsNS0_19identity_decomposerEEEEE10hipError_tT0_T1_T2_jT3_P12ihipStream_tbPNSt15iterator_traitsISG_E10value_typeEPNSM_ISH_E10value_typeEPSI_NS1_7vsmem_tEENKUlT_SG_SH_SI_E_clIS7_S7_PlSB_EESF_SV_SG_SH_SI_EUlSV_E1_NS1_11comp_targetILNS1_3genE10ELNS1_11target_archE1201ELNS1_3gpuE5ELNS1_3repE0EEENS1_36merge_oddeven_config_static_selectorELNS0_4arch9wavefront6targetE1EEEvSH_,"axG",@progbits,_ZN7rocprim17ROCPRIM_400000_NS6detail17trampoline_kernelINS0_14default_configENS1_38merge_sort_block_merge_config_selectorIslEEZZNS1_27merge_sort_block_merge_implIS3_PsN6thrust23THRUST_200600_302600_NS10device_ptrIlEEjNS1_19radix_merge_compareILb0ELb1EsNS0_19identity_decomposerEEEEE10hipError_tT0_T1_T2_jT3_P12ihipStream_tbPNSt15iterator_traitsISG_E10value_typeEPNSM_ISH_E10value_typeEPSI_NS1_7vsmem_tEENKUlT_SG_SH_SI_E_clIS7_S7_PlSB_EESF_SV_SG_SH_SI_EUlSV_E1_NS1_11comp_targetILNS1_3genE10ELNS1_11target_archE1201ELNS1_3gpuE5ELNS1_3repE0EEENS1_36merge_oddeven_config_static_selectorELNS0_4arch9wavefront6targetE1EEEvSH_,comdat
.Lfunc_end1349:
	.size	_ZN7rocprim17ROCPRIM_400000_NS6detail17trampoline_kernelINS0_14default_configENS1_38merge_sort_block_merge_config_selectorIslEEZZNS1_27merge_sort_block_merge_implIS3_PsN6thrust23THRUST_200600_302600_NS10device_ptrIlEEjNS1_19radix_merge_compareILb0ELb1EsNS0_19identity_decomposerEEEEE10hipError_tT0_T1_T2_jT3_P12ihipStream_tbPNSt15iterator_traitsISG_E10value_typeEPNSM_ISH_E10value_typeEPSI_NS1_7vsmem_tEENKUlT_SG_SH_SI_E_clIS7_S7_PlSB_EESF_SV_SG_SH_SI_EUlSV_E1_NS1_11comp_targetILNS1_3genE10ELNS1_11target_archE1201ELNS1_3gpuE5ELNS1_3repE0EEENS1_36merge_oddeven_config_static_selectorELNS0_4arch9wavefront6targetE1EEEvSH_, .Lfunc_end1349-_ZN7rocprim17ROCPRIM_400000_NS6detail17trampoline_kernelINS0_14default_configENS1_38merge_sort_block_merge_config_selectorIslEEZZNS1_27merge_sort_block_merge_implIS3_PsN6thrust23THRUST_200600_302600_NS10device_ptrIlEEjNS1_19radix_merge_compareILb0ELb1EsNS0_19identity_decomposerEEEEE10hipError_tT0_T1_T2_jT3_P12ihipStream_tbPNSt15iterator_traitsISG_E10value_typeEPNSM_ISH_E10value_typeEPSI_NS1_7vsmem_tEENKUlT_SG_SH_SI_E_clIS7_S7_PlSB_EESF_SV_SG_SH_SI_EUlSV_E1_NS1_11comp_targetILNS1_3genE10ELNS1_11target_archE1201ELNS1_3gpuE5ELNS1_3repE0EEENS1_36merge_oddeven_config_static_selectorELNS0_4arch9wavefront6targetE1EEEvSH_
                                        ; -- End function
	.section	.AMDGPU.csdata,"",@progbits
; Kernel info:
; codeLenInByte = 0
; NumSgprs: 4
; NumVgprs: 0
; NumAgprs: 0
; TotalNumVgprs: 0
; ScratchSize: 0
; MemoryBound: 0
; FloatMode: 240
; IeeeMode: 1
; LDSByteSize: 0 bytes/workgroup (compile time only)
; SGPRBlocks: 0
; VGPRBlocks: 0
; NumSGPRsForWavesPerEU: 4
; NumVGPRsForWavesPerEU: 1
; AccumOffset: 4
; Occupancy: 8
; WaveLimiterHint : 0
; COMPUTE_PGM_RSRC2:SCRATCH_EN: 0
; COMPUTE_PGM_RSRC2:USER_SGPR: 6
; COMPUTE_PGM_RSRC2:TRAP_HANDLER: 0
; COMPUTE_PGM_RSRC2:TGID_X_EN: 1
; COMPUTE_PGM_RSRC2:TGID_Y_EN: 0
; COMPUTE_PGM_RSRC2:TGID_Z_EN: 0
; COMPUTE_PGM_RSRC2:TIDIG_COMP_CNT: 0
; COMPUTE_PGM_RSRC3_GFX90A:ACCUM_OFFSET: 0
; COMPUTE_PGM_RSRC3_GFX90A:TG_SPLIT: 0
	.section	.text._ZN7rocprim17ROCPRIM_400000_NS6detail17trampoline_kernelINS0_14default_configENS1_38merge_sort_block_merge_config_selectorIslEEZZNS1_27merge_sort_block_merge_implIS3_PsN6thrust23THRUST_200600_302600_NS10device_ptrIlEEjNS1_19radix_merge_compareILb0ELb1EsNS0_19identity_decomposerEEEEE10hipError_tT0_T1_T2_jT3_P12ihipStream_tbPNSt15iterator_traitsISG_E10value_typeEPNSM_ISH_E10value_typeEPSI_NS1_7vsmem_tEENKUlT_SG_SH_SI_E_clIS7_S7_PlSB_EESF_SV_SG_SH_SI_EUlSV_E1_NS1_11comp_targetILNS1_3genE5ELNS1_11target_archE942ELNS1_3gpuE9ELNS1_3repE0EEENS1_36merge_oddeven_config_static_selectorELNS0_4arch9wavefront6targetE1EEEvSH_,"axG",@progbits,_ZN7rocprim17ROCPRIM_400000_NS6detail17trampoline_kernelINS0_14default_configENS1_38merge_sort_block_merge_config_selectorIslEEZZNS1_27merge_sort_block_merge_implIS3_PsN6thrust23THRUST_200600_302600_NS10device_ptrIlEEjNS1_19radix_merge_compareILb0ELb1EsNS0_19identity_decomposerEEEEE10hipError_tT0_T1_T2_jT3_P12ihipStream_tbPNSt15iterator_traitsISG_E10value_typeEPNSM_ISH_E10value_typeEPSI_NS1_7vsmem_tEENKUlT_SG_SH_SI_E_clIS7_S7_PlSB_EESF_SV_SG_SH_SI_EUlSV_E1_NS1_11comp_targetILNS1_3genE5ELNS1_11target_archE942ELNS1_3gpuE9ELNS1_3repE0EEENS1_36merge_oddeven_config_static_selectorELNS0_4arch9wavefront6targetE1EEEvSH_,comdat
	.protected	_ZN7rocprim17ROCPRIM_400000_NS6detail17trampoline_kernelINS0_14default_configENS1_38merge_sort_block_merge_config_selectorIslEEZZNS1_27merge_sort_block_merge_implIS3_PsN6thrust23THRUST_200600_302600_NS10device_ptrIlEEjNS1_19radix_merge_compareILb0ELb1EsNS0_19identity_decomposerEEEEE10hipError_tT0_T1_T2_jT3_P12ihipStream_tbPNSt15iterator_traitsISG_E10value_typeEPNSM_ISH_E10value_typeEPSI_NS1_7vsmem_tEENKUlT_SG_SH_SI_E_clIS7_S7_PlSB_EESF_SV_SG_SH_SI_EUlSV_E1_NS1_11comp_targetILNS1_3genE5ELNS1_11target_archE942ELNS1_3gpuE9ELNS1_3repE0EEENS1_36merge_oddeven_config_static_selectorELNS0_4arch9wavefront6targetE1EEEvSH_ ; -- Begin function _ZN7rocprim17ROCPRIM_400000_NS6detail17trampoline_kernelINS0_14default_configENS1_38merge_sort_block_merge_config_selectorIslEEZZNS1_27merge_sort_block_merge_implIS3_PsN6thrust23THRUST_200600_302600_NS10device_ptrIlEEjNS1_19radix_merge_compareILb0ELb1EsNS0_19identity_decomposerEEEEE10hipError_tT0_T1_T2_jT3_P12ihipStream_tbPNSt15iterator_traitsISG_E10value_typeEPNSM_ISH_E10value_typeEPSI_NS1_7vsmem_tEENKUlT_SG_SH_SI_E_clIS7_S7_PlSB_EESF_SV_SG_SH_SI_EUlSV_E1_NS1_11comp_targetILNS1_3genE5ELNS1_11target_archE942ELNS1_3gpuE9ELNS1_3repE0EEENS1_36merge_oddeven_config_static_selectorELNS0_4arch9wavefront6targetE1EEEvSH_
	.globl	_ZN7rocprim17ROCPRIM_400000_NS6detail17trampoline_kernelINS0_14default_configENS1_38merge_sort_block_merge_config_selectorIslEEZZNS1_27merge_sort_block_merge_implIS3_PsN6thrust23THRUST_200600_302600_NS10device_ptrIlEEjNS1_19radix_merge_compareILb0ELb1EsNS0_19identity_decomposerEEEEE10hipError_tT0_T1_T2_jT3_P12ihipStream_tbPNSt15iterator_traitsISG_E10value_typeEPNSM_ISH_E10value_typeEPSI_NS1_7vsmem_tEENKUlT_SG_SH_SI_E_clIS7_S7_PlSB_EESF_SV_SG_SH_SI_EUlSV_E1_NS1_11comp_targetILNS1_3genE5ELNS1_11target_archE942ELNS1_3gpuE9ELNS1_3repE0EEENS1_36merge_oddeven_config_static_selectorELNS0_4arch9wavefront6targetE1EEEvSH_
	.p2align	8
	.type	_ZN7rocprim17ROCPRIM_400000_NS6detail17trampoline_kernelINS0_14default_configENS1_38merge_sort_block_merge_config_selectorIslEEZZNS1_27merge_sort_block_merge_implIS3_PsN6thrust23THRUST_200600_302600_NS10device_ptrIlEEjNS1_19radix_merge_compareILb0ELb1EsNS0_19identity_decomposerEEEEE10hipError_tT0_T1_T2_jT3_P12ihipStream_tbPNSt15iterator_traitsISG_E10value_typeEPNSM_ISH_E10value_typeEPSI_NS1_7vsmem_tEENKUlT_SG_SH_SI_E_clIS7_S7_PlSB_EESF_SV_SG_SH_SI_EUlSV_E1_NS1_11comp_targetILNS1_3genE5ELNS1_11target_archE942ELNS1_3gpuE9ELNS1_3repE0EEENS1_36merge_oddeven_config_static_selectorELNS0_4arch9wavefront6targetE1EEEvSH_,@function
_ZN7rocprim17ROCPRIM_400000_NS6detail17trampoline_kernelINS0_14default_configENS1_38merge_sort_block_merge_config_selectorIslEEZZNS1_27merge_sort_block_merge_implIS3_PsN6thrust23THRUST_200600_302600_NS10device_ptrIlEEjNS1_19radix_merge_compareILb0ELb1EsNS0_19identity_decomposerEEEEE10hipError_tT0_T1_T2_jT3_P12ihipStream_tbPNSt15iterator_traitsISG_E10value_typeEPNSM_ISH_E10value_typeEPSI_NS1_7vsmem_tEENKUlT_SG_SH_SI_E_clIS7_S7_PlSB_EESF_SV_SG_SH_SI_EUlSV_E1_NS1_11comp_targetILNS1_3genE5ELNS1_11target_archE942ELNS1_3gpuE9ELNS1_3repE0EEENS1_36merge_oddeven_config_static_selectorELNS0_4arch9wavefront6targetE1EEEvSH_: ; @_ZN7rocprim17ROCPRIM_400000_NS6detail17trampoline_kernelINS0_14default_configENS1_38merge_sort_block_merge_config_selectorIslEEZZNS1_27merge_sort_block_merge_implIS3_PsN6thrust23THRUST_200600_302600_NS10device_ptrIlEEjNS1_19radix_merge_compareILb0ELb1EsNS0_19identity_decomposerEEEEE10hipError_tT0_T1_T2_jT3_P12ihipStream_tbPNSt15iterator_traitsISG_E10value_typeEPNSM_ISH_E10value_typeEPSI_NS1_7vsmem_tEENKUlT_SG_SH_SI_E_clIS7_S7_PlSB_EESF_SV_SG_SH_SI_EUlSV_E1_NS1_11comp_targetILNS1_3genE5ELNS1_11target_archE942ELNS1_3gpuE9ELNS1_3repE0EEENS1_36merge_oddeven_config_static_selectorELNS0_4arch9wavefront6targetE1EEEvSH_
; %bb.0:
	.section	.rodata,"a",@progbits
	.p2align	6, 0x0
	.amdhsa_kernel _ZN7rocprim17ROCPRIM_400000_NS6detail17trampoline_kernelINS0_14default_configENS1_38merge_sort_block_merge_config_selectorIslEEZZNS1_27merge_sort_block_merge_implIS3_PsN6thrust23THRUST_200600_302600_NS10device_ptrIlEEjNS1_19radix_merge_compareILb0ELb1EsNS0_19identity_decomposerEEEEE10hipError_tT0_T1_T2_jT3_P12ihipStream_tbPNSt15iterator_traitsISG_E10value_typeEPNSM_ISH_E10value_typeEPSI_NS1_7vsmem_tEENKUlT_SG_SH_SI_E_clIS7_S7_PlSB_EESF_SV_SG_SH_SI_EUlSV_E1_NS1_11comp_targetILNS1_3genE5ELNS1_11target_archE942ELNS1_3gpuE9ELNS1_3repE0EEENS1_36merge_oddeven_config_static_selectorELNS0_4arch9wavefront6targetE1EEEvSH_
		.amdhsa_group_segment_fixed_size 0
		.amdhsa_private_segment_fixed_size 0
		.amdhsa_kernarg_size 48
		.amdhsa_user_sgpr_count 6
		.amdhsa_user_sgpr_private_segment_buffer 1
		.amdhsa_user_sgpr_dispatch_ptr 0
		.amdhsa_user_sgpr_queue_ptr 0
		.amdhsa_user_sgpr_kernarg_segment_ptr 1
		.amdhsa_user_sgpr_dispatch_id 0
		.amdhsa_user_sgpr_flat_scratch_init 0
		.amdhsa_user_sgpr_kernarg_preload_length 0
		.amdhsa_user_sgpr_kernarg_preload_offset 0
		.amdhsa_user_sgpr_private_segment_size 0
		.amdhsa_uses_dynamic_stack 0
		.amdhsa_system_sgpr_private_segment_wavefront_offset 0
		.amdhsa_system_sgpr_workgroup_id_x 1
		.amdhsa_system_sgpr_workgroup_id_y 0
		.amdhsa_system_sgpr_workgroup_id_z 0
		.amdhsa_system_sgpr_workgroup_info 0
		.amdhsa_system_vgpr_workitem_id 0
		.amdhsa_next_free_vgpr 1
		.amdhsa_next_free_sgpr 0
		.amdhsa_accum_offset 4
		.amdhsa_reserve_vcc 0
		.amdhsa_reserve_flat_scratch 0
		.amdhsa_float_round_mode_32 0
		.amdhsa_float_round_mode_16_64 0
		.amdhsa_float_denorm_mode_32 3
		.amdhsa_float_denorm_mode_16_64 3
		.amdhsa_dx10_clamp 1
		.amdhsa_ieee_mode 1
		.amdhsa_fp16_overflow 0
		.amdhsa_tg_split 0
		.amdhsa_exception_fp_ieee_invalid_op 0
		.amdhsa_exception_fp_denorm_src 0
		.amdhsa_exception_fp_ieee_div_zero 0
		.amdhsa_exception_fp_ieee_overflow 0
		.amdhsa_exception_fp_ieee_underflow 0
		.amdhsa_exception_fp_ieee_inexact 0
		.amdhsa_exception_int_div_zero 0
	.end_amdhsa_kernel
	.section	.text._ZN7rocprim17ROCPRIM_400000_NS6detail17trampoline_kernelINS0_14default_configENS1_38merge_sort_block_merge_config_selectorIslEEZZNS1_27merge_sort_block_merge_implIS3_PsN6thrust23THRUST_200600_302600_NS10device_ptrIlEEjNS1_19radix_merge_compareILb0ELb1EsNS0_19identity_decomposerEEEEE10hipError_tT0_T1_T2_jT3_P12ihipStream_tbPNSt15iterator_traitsISG_E10value_typeEPNSM_ISH_E10value_typeEPSI_NS1_7vsmem_tEENKUlT_SG_SH_SI_E_clIS7_S7_PlSB_EESF_SV_SG_SH_SI_EUlSV_E1_NS1_11comp_targetILNS1_3genE5ELNS1_11target_archE942ELNS1_3gpuE9ELNS1_3repE0EEENS1_36merge_oddeven_config_static_selectorELNS0_4arch9wavefront6targetE1EEEvSH_,"axG",@progbits,_ZN7rocprim17ROCPRIM_400000_NS6detail17trampoline_kernelINS0_14default_configENS1_38merge_sort_block_merge_config_selectorIslEEZZNS1_27merge_sort_block_merge_implIS3_PsN6thrust23THRUST_200600_302600_NS10device_ptrIlEEjNS1_19radix_merge_compareILb0ELb1EsNS0_19identity_decomposerEEEEE10hipError_tT0_T1_T2_jT3_P12ihipStream_tbPNSt15iterator_traitsISG_E10value_typeEPNSM_ISH_E10value_typeEPSI_NS1_7vsmem_tEENKUlT_SG_SH_SI_E_clIS7_S7_PlSB_EESF_SV_SG_SH_SI_EUlSV_E1_NS1_11comp_targetILNS1_3genE5ELNS1_11target_archE942ELNS1_3gpuE9ELNS1_3repE0EEENS1_36merge_oddeven_config_static_selectorELNS0_4arch9wavefront6targetE1EEEvSH_,comdat
.Lfunc_end1350:
	.size	_ZN7rocprim17ROCPRIM_400000_NS6detail17trampoline_kernelINS0_14default_configENS1_38merge_sort_block_merge_config_selectorIslEEZZNS1_27merge_sort_block_merge_implIS3_PsN6thrust23THRUST_200600_302600_NS10device_ptrIlEEjNS1_19radix_merge_compareILb0ELb1EsNS0_19identity_decomposerEEEEE10hipError_tT0_T1_T2_jT3_P12ihipStream_tbPNSt15iterator_traitsISG_E10value_typeEPNSM_ISH_E10value_typeEPSI_NS1_7vsmem_tEENKUlT_SG_SH_SI_E_clIS7_S7_PlSB_EESF_SV_SG_SH_SI_EUlSV_E1_NS1_11comp_targetILNS1_3genE5ELNS1_11target_archE942ELNS1_3gpuE9ELNS1_3repE0EEENS1_36merge_oddeven_config_static_selectorELNS0_4arch9wavefront6targetE1EEEvSH_, .Lfunc_end1350-_ZN7rocprim17ROCPRIM_400000_NS6detail17trampoline_kernelINS0_14default_configENS1_38merge_sort_block_merge_config_selectorIslEEZZNS1_27merge_sort_block_merge_implIS3_PsN6thrust23THRUST_200600_302600_NS10device_ptrIlEEjNS1_19radix_merge_compareILb0ELb1EsNS0_19identity_decomposerEEEEE10hipError_tT0_T1_T2_jT3_P12ihipStream_tbPNSt15iterator_traitsISG_E10value_typeEPNSM_ISH_E10value_typeEPSI_NS1_7vsmem_tEENKUlT_SG_SH_SI_E_clIS7_S7_PlSB_EESF_SV_SG_SH_SI_EUlSV_E1_NS1_11comp_targetILNS1_3genE5ELNS1_11target_archE942ELNS1_3gpuE9ELNS1_3repE0EEENS1_36merge_oddeven_config_static_selectorELNS0_4arch9wavefront6targetE1EEEvSH_
                                        ; -- End function
	.section	.AMDGPU.csdata,"",@progbits
; Kernel info:
; codeLenInByte = 0
; NumSgprs: 4
; NumVgprs: 0
; NumAgprs: 0
; TotalNumVgprs: 0
; ScratchSize: 0
; MemoryBound: 0
; FloatMode: 240
; IeeeMode: 1
; LDSByteSize: 0 bytes/workgroup (compile time only)
; SGPRBlocks: 0
; VGPRBlocks: 0
; NumSGPRsForWavesPerEU: 4
; NumVGPRsForWavesPerEU: 1
; AccumOffset: 4
; Occupancy: 8
; WaveLimiterHint : 0
; COMPUTE_PGM_RSRC2:SCRATCH_EN: 0
; COMPUTE_PGM_RSRC2:USER_SGPR: 6
; COMPUTE_PGM_RSRC2:TRAP_HANDLER: 0
; COMPUTE_PGM_RSRC2:TGID_X_EN: 1
; COMPUTE_PGM_RSRC2:TGID_Y_EN: 0
; COMPUTE_PGM_RSRC2:TGID_Z_EN: 0
; COMPUTE_PGM_RSRC2:TIDIG_COMP_CNT: 0
; COMPUTE_PGM_RSRC3_GFX90A:ACCUM_OFFSET: 0
; COMPUTE_PGM_RSRC3_GFX90A:TG_SPLIT: 0
	.section	.text._ZN7rocprim17ROCPRIM_400000_NS6detail17trampoline_kernelINS0_14default_configENS1_38merge_sort_block_merge_config_selectorIslEEZZNS1_27merge_sort_block_merge_implIS3_PsN6thrust23THRUST_200600_302600_NS10device_ptrIlEEjNS1_19radix_merge_compareILb0ELb1EsNS0_19identity_decomposerEEEEE10hipError_tT0_T1_T2_jT3_P12ihipStream_tbPNSt15iterator_traitsISG_E10value_typeEPNSM_ISH_E10value_typeEPSI_NS1_7vsmem_tEENKUlT_SG_SH_SI_E_clIS7_S7_PlSB_EESF_SV_SG_SH_SI_EUlSV_E1_NS1_11comp_targetILNS1_3genE4ELNS1_11target_archE910ELNS1_3gpuE8ELNS1_3repE0EEENS1_36merge_oddeven_config_static_selectorELNS0_4arch9wavefront6targetE1EEEvSH_,"axG",@progbits,_ZN7rocprim17ROCPRIM_400000_NS6detail17trampoline_kernelINS0_14default_configENS1_38merge_sort_block_merge_config_selectorIslEEZZNS1_27merge_sort_block_merge_implIS3_PsN6thrust23THRUST_200600_302600_NS10device_ptrIlEEjNS1_19radix_merge_compareILb0ELb1EsNS0_19identity_decomposerEEEEE10hipError_tT0_T1_T2_jT3_P12ihipStream_tbPNSt15iterator_traitsISG_E10value_typeEPNSM_ISH_E10value_typeEPSI_NS1_7vsmem_tEENKUlT_SG_SH_SI_E_clIS7_S7_PlSB_EESF_SV_SG_SH_SI_EUlSV_E1_NS1_11comp_targetILNS1_3genE4ELNS1_11target_archE910ELNS1_3gpuE8ELNS1_3repE0EEENS1_36merge_oddeven_config_static_selectorELNS0_4arch9wavefront6targetE1EEEvSH_,comdat
	.protected	_ZN7rocprim17ROCPRIM_400000_NS6detail17trampoline_kernelINS0_14default_configENS1_38merge_sort_block_merge_config_selectorIslEEZZNS1_27merge_sort_block_merge_implIS3_PsN6thrust23THRUST_200600_302600_NS10device_ptrIlEEjNS1_19radix_merge_compareILb0ELb1EsNS0_19identity_decomposerEEEEE10hipError_tT0_T1_T2_jT3_P12ihipStream_tbPNSt15iterator_traitsISG_E10value_typeEPNSM_ISH_E10value_typeEPSI_NS1_7vsmem_tEENKUlT_SG_SH_SI_E_clIS7_S7_PlSB_EESF_SV_SG_SH_SI_EUlSV_E1_NS1_11comp_targetILNS1_3genE4ELNS1_11target_archE910ELNS1_3gpuE8ELNS1_3repE0EEENS1_36merge_oddeven_config_static_selectorELNS0_4arch9wavefront6targetE1EEEvSH_ ; -- Begin function _ZN7rocprim17ROCPRIM_400000_NS6detail17trampoline_kernelINS0_14default_configENS1_38merge_sort_block_merge_config_selectorIslEEZZNS1_27merge_sort_block_merge_implIS3_PsN6thrust23THRUST_200600_302600_NS10device_ptrIlEEjNS1_19radix_merge_compareILb0ELb1EsNS0_19identity_decomposerEEEEE10hipError_tT0_T1_T2_jT3_P12ihipStream_tbPNSt15iterator_traitsISG_E10value_typeEPNSM_ISH_E10value_typeEPSI_NS1_7vsmem_tEENKUlT_SG_SH_SI_E_clIS7_S7_PlSB_EESF_SV_SG_SH_SI_EUlSV_E1_NS1_11comp_targetILNS1_3genE4ELNS1_11target_archE910ELNS1_3gpuE8ELNS1_3repE0EEENS1_36merge_oddeven_config_static_selectorELNS0_4arch9wavefront6targetE1EEEvSH_
	.globl	_ZN7rocprim17ROCPRIM_400000_NS6detail17trampoline_kernelINS0_14default_configENS1_38merge_sort_block_merge_config_selectorIslEEZZNS1_27merge_sort_block_merge_implIS3_PsN6thrust23THRUST_200600_302600_NS10device_ptrIlEEjNS1_19radix_merge_compareILb0ELb1EsNS0_19identity_decomposerEEEEE10hipError_tT0_T1_T2_jT3_P12ihipStream_tbPNSt15iterator_traitsISG_E10value_typeEPNSM_ISH_E10value_typeEPSI_NS1_7vsmem_tEENKUlT_SG_SH_SI_E_clIS7_S7_PlSB_EESF_SV_SG_SH_SI_EUlSV_E1_NS1_11comp_targetILNS1_3genE4ELNS1_11target_archE910ELNS1_3gpuE8ELNS1_3repE0EEENS1_36merge_oddeven_config_static_selectorELNS0_4arch9wavefront6targetE1EEEvSH_
	.p2align	8
	.type	_ZN7rocprim17ROCPRIM_400000_NS6detail17trampoline_kernelINS0_14default_configENS1_38merge_sort_block_merge_config_selectorIslEEZZNS1_27merge_sort_block_merge_implIS3_PsN6thrust23THRUST_200600_302600_NS10device_ptrIlEEjNS1_19radix_merge_compareILb0ELb1EsNS0_19identity_decomposerEEEEE10hipError_tT0_T1_T2_jT3_P12ihipStream_tbPNSt15iterator_traitsISG_E10value_typeEPNSM_ISH_E10value_typeEPSI_NS1_7vsmem_tEENKUlT_SG_SH_SI_E_clIS7_S7_PlSB_EESF_SV_SG_SH_SI_EUlSV_E1_NS1_11comp_targetILNS1_3genE4ELNS1_11target_archE910ELNS1_3gpuE8ELNS1_3repE0EEENS1_36merge_oddeven_config_static_selectorELNS0_4arch9wavefront6targetE1EEEvSH_,@function
_ZN7rocprim17ROCPRIM_400000_NS6detail17trampoline_kernelINS0_14default_configENS1_38merge_sort_block_merge_config_selectorIslEEZZNS1_27merge_sort_block_merge_implIS3_PsN6thrust23THRUST_200600_302600_NS10device_ptrIlEEjNS1_19radix_merge_compareILb0ELb1EsNS0_19identity_decomposerEEEEE10hipError_tT0_T1_T2_jT3_P12ihipStream_tbPNSt15iterator_traitsISG_E10value_typeEPNSM_ISH_E10value_typeEPSI_NS1_7vsmem_tEENKUlT_SG_SH_SI_E_clIS7_S7_PlSB_EESF_SV_SG_SH_SI_EUlSV_E1_NS1_11comp_targetILNS1_3genE4ELNS1_11target_archE910ELNS1_3gpuE8ELNS1_3repE0EEENS1_36merge_oddeven_config_static_selectorELNS0_4arch9wavefront6targetE1EEEvSH_: ; @_ZN7rocprim17ROCPRIM_400000_NS6detail17trampoline_kernelINS0_14default_configENS1_38merge_sort_block_merge_config_selectorIslEEZZNS1_27merge_sort_block_merge_implIS3_PsN6thrust23THRUST_200600_302600_NS10device_ptrIlEEjNS1_19radix_merge_compareILb0ELb1EsNS0_19identity_decomposerEEEEE10hipError_tT0_T1_T2_jT3_P12ihipStream_tbPNSt15iterator_traitsISG_E10value_typeEPNSM_ISH_E10value_typeEPSI_NS1_7vsmem_tEENKUlT_SG_SH_SI_E_clIS7_S7_PlSB_EESF_SV_SG_SH_SI_EUlSV_E1_NS1_11comp_targetILNS1_3genE4ELNS1_11target_archE910ELNS1_3gpuE8ELNS1_3repE0EEENS1_36merge_oddeven_config_static_selectorELNS0_4arch9wavefront6targetE1EEEvSH_
; %bb.0:
	s_load_dword s21, s[4:5], 0x20
	s_waitcnt lgkmcnt(0)
	s_lshr_b32 s2, s21, 8
	s_cmp_lg_u32 s6, s2
	s_cselect_b64 s[0:1], -1, 0
	s_cmp_eq_u32 s6, s2
	s_cselect_b64 s[16:17], -1, 0
	s_lshl_b32 s18, s6, 8
	s_sub_i32 s2, s21, s18
	v_cmp_gt_u32_e64 s[2:3], s2, v0
	s_or_b64 s[0:1], s[0:1], s[2:3]
	s_and_saveexec_b64 s[8:9], s[0:1]
	s_cbranch_execz .LBB1351_26
; %bb.1:
	s_load_dwordx8 s[8:15], s[4:5], 0x0
	s_mov_b32 s19, 0
	s_lshl_b64 s[0:1], s[18:19], 1
	v_lshlrev_b32_e32 v4, 3, v0
	v_lshlrev_b32_e32 v1, 1, v0
	s_waitcnt lgkmcnt(0)
	s_add_u32 s0, s8, s0
	s_addc_u32 s1, s9, s1
	s_lshl_b64 s[22:23], s[18:19], 3
	s_add_u32 s12, s12, s22
	s_addc_u32 s13, s13, s23
	global_load_dwordx2 v[2:3], v4, s[12:13]
	global_load_ushort v6, v1, s[0:1]
	s_load_dword s22, s[4:5], 0x24
	v_add_u32_e32 v4, s18, v0
	s_waitcnt lgkmcnt(0)
	s_lshr_b32 s0, s22, 8
	s_sub_i32 s1, 0, s0
	s_and_b32 s1, s6, s1
	s_and_b32 s0, s1, s0
	s_lshl_b32 s23, s1, 8
	s_sub_i32 s12, 0, s22
	s_cmp_eq_u32 s0, 0
	s_cselect_b64 s[0:1], -1, 0
	s_and_b64 s[6:7], s[0:1], exec
	s_cselect_b32 s20, s22, s12
	s_add_i32 s20, s20, s23
	s_cmp_lt_u32 s20, s21
	s_cbranch_scc1 .LBB1351_6
; %bb.2:
	s_and_b64 vcc, exec, s[16:17]
	s_cbranch_vccz .LBB1351_7
; %bb.3:
	v_cmp_gt_u32_e32 vcc, s21, v4
	s_mov_b64 s[12:13], 0
	s_mov_b64 s[6:7], 0
                                        ; implicit-def: $vgpr0_vgpr1
	s_and_saveexec_b64 s[18:19], vcc
	s_cbranch_execz .LBB1351_5
; %bb.4:
	v_mov_b32_e32 v5, 0
	v_lshlrev_b64 v[0:1], 3, v[4:5]
	v_mov_b32_e32 v7, s15
	v_add_co_u32_e32 v0, vcc, s14, v0
	v_addc_co_u32_e32 v1, vcc, v7, v1, vcc
	v_lshlrev_b64 v[8:9], 1, v[4:5]
	v_mov_b32_e32 v5, s11
	v_add_co_u32_e32 v8, vcc, s10, v8
	s_mov_b64 s[6:7], exec
	v_addc_co_u32_e32 v9, vcc, v5, v9, vcc
	s_waitcnt vmcnt(0)
	global_store_short v[8:9], v6, off
.LBB1351_5:
	s_or_b64 exec, exec, s[18:19]
	s_and_b64 vcc, exec, s[12:13]
	s_cbranch_vccnz .LBB1351_8
	s_branch .LBB1351_9
.LBB1351_6:
	s_mov_b64 s[6:7], 0
                                        ; implicit-def: $vgpr0_vgpr1
	s_cbranch_execnz .LBB1351_10
	s_branch .LBB1351_24
.LBB1351_7:
	s_mov_b64 s[6:7], 0
                                        ; implicit-def: $vgpr0_vgpr1
	s_cbranch_execz .LBB1351_9
.LBB1351_8:
	v_mov_b32_e32 v5, 0
	v_lshlrev_b64 v[0:1], 1, v[4:5]
	v_mov_b32_e32 v7, s11
	v_add_co_u32_e32 v0, vcc, s10, v0
	v_addc_co_u32_e32 v1, vcc, v7, v1, vcc
	s_waitcnt vmcnt(0)
	global_store_short v[0:1], v6, off
	v_lshlrev_b64 v[0:1], 3, v[4:5]
	v_mov_b32_e32 v5, s15
	v_add_co_u32_e32 v0, vcc, s14, v0
	v_addc_co_u32_e32 v1, vcc, v5, v1, vcc
	s_or_b64 s[6:7], s[6:7], exec
.LBB1351_9:
	s_branch .LBB1351_24
.LBB1351_10:
	s_load_dword s12, s[4:5], 0x28
	s_min_u32 s13, s20, s21
	s_add_i32 s4, s13, s22
	s_min_u32 s18, s4, s21
	s_min_u32 s4, s23, s13
	s_add_i32 s23, s23, s13
	v_subrev_u32_e32 v0, s23, v4
	v_add_u32_e32 v4, s4, v0
	s_and_b64 vcc, exec, s[16:17]
	s_cbranch_vccz .LBB1351_18
; %bb.11:
                                        ; implicit-def: $vgpr0_vgpr1
	s_and_saveexec_b64 s[4:5], s[2:3]
	s_cbranch_execz .LBB1351_17
; %bb.12:
	s_cmp_ge_u32 s20, s18
	v_mov_b32_e32 v0, s13
	s_cbranch_scc1 .LBB1351_16
; %bb.13:
	s_waitcnt vmcnt(0) lgkmcnt(0)
	v_and_b32_e32 v1, s12, v6
	s_mov_b64 s[2:3], 0
	v_mov_b32_e32 v5, s18
	v_mov_b32_e32 v0, s13
.LBB1351_14:                            ; =>This Inner Loop Header: Depth=1
	v_add_u32_e32 v7, v0, v5
	v_and_b32_e32 v8, -2, v7
	global_load_ushort v8, v8, s[8:9]
	v_lshrrev_b32_e32 v7, 1, v7
	v_add_u32_e32 v9, 1, v7
	s_waitcnt vmcnt(0)
	v_and_b32_e32 v8, s12, v8
	v_cmp_gt_i16_e32 vcc, v1, v8
	v_cndmask_b32_e64 v10, 0, 1, vcc
	v_cmp_le_i16_e32 vcc, v8, v1
	v_cndmask_b32_e64 v8, 0, 1, vcc
	v_cndmask_b32_e64 v8, v8, v10, s[0:1]
	v_and_b32_e32 v8, 1, v8
	v_cmp_eq_u32_e32 vcc, 1, v8
	v_cndmask_b32_e32 v5, v7, v5, vcc
	v_cndmask_b32_e32 v0, v0, v9, vcc
	v_cmp_ge_u32_e32 vcc, v0, v5
	s_or_b64 s[2:3], vcc, s[2:3]
	s_andn2_b64 exec, exec, s[2:3]
	s_cbranch_execnz .LBB1351_14
; %bb.15:
	s_or_b64 exec, exec, s[2:3]
.LBB1351_16:
	v_add_u32_e32 v0, v0, v4
	v_mov_b32_e32 v1, 0
	v_lshlrev_b64 v[8:9], 1, v[0:1]
	v_mov_b32_e32 v5, s11
	v_add_co_u32_e32 v8, vcc, s10, v8
	v_addc_co_u32_e32 v9, vcc, v5, v9, vcc
	v_lshlrev_b64 v[0:1], 3, v[0:1]
	v_mov_b32_e32 v5, s15
	v_add_co_u32_e32 v0, vcc, s14, v0
	s_waitcnt vmcnt(0)
	global_store_short v[8:9], v6, off
	v_addc_co_u32_e32 v1, vcc, v5, v1, vcc
	s_or_b64 s[6:7], s[6:7], exec
.LBB1351_17:
	s_or_b64 exec, exec, s[4:5]
	s_branch .LBB1351_24
.LBB1351_18:
                                        ; implicit-def: $vgpr0_vgpr1
	s_cbranch_execz .LBB1351_24
; %bb.19:
	s_cmp_ge_u32 s20, s18
	v_mov_b32_e32 v0, s13
	s_cbranch_scc1 .LBB1351_23
; %bb.20:
	s_waitcnt vmcnt(0) lgkmcnt(0)
	v_and_b32_e32 v1, s12, v6
	s_mov_b64 s[2:3], 0
	v_mov_b32_e32 v5, s18
	v_mov_b32_e32 v0, s13
.LBB1351_21:                            ; =>This Inner Loop Header: Depth=1
	v_add_u32_e32 v7, v0, v5
	v_and_b32_e32 v8, -2, v7
	global_load_ushort v8, v8, s[8:9]
	v_lshrrev_b32_e32 v7, 1, v7
	v_add_u32_e32 v9, 1, v7
	s_waitcnt vmcnt(0)
	v_and_b32_e32 v8, s12, v8
	v_cmp_gt_i16_e32 vcc, v1, v8
	v_cndmask_b32_e64 v10, 0, 1, vcc
	v_cmp_le_i16_e32 vcc, v8, v1
	v_cndmask_b32_e64 v8, 0, 1, vcc
	v_cndmask_b32_e64 v8, v8, v10, s[0:1]
	v_and_b32_e32 v8, 1, v8
	v_cmp_eq_u32_e32 vcc, 1, v8
	v_cndmask_b32_e32 v5, v7, v5, vcc
	v_cndmask_b32_e32 v0, v0, v9, vcc
	v_cmp_ge_u32_e32 vcc, v0, v5
	s_or_b64 s[2:3], vcc, s[2:3]
	s_andn2_b64 exec, exec, s[2:3]
	s_cbranch_execnz .LBB1351_21
; %bb.22:
	s_or_b64 exec, exec, s[2:3]
.LBB1351_23:
	v_add_u32_e32 v0, v0, v4
	v_mov_b32_e32 v1, 0
	v_lshlrev_b64 v[4:5], 1, v[0:1]
	v_mov_b32_e32 v7, s11
	v_add_co_u32_e32 v4, vcc, s10, v4
	v_addc_co_u32_e32 v5, vcc, v7, v5, vcc
	v_lshlrev_b64 v[0:1], 3, v[0:1]
	s_waitcnt vmcnt(0)
	global_store_short v[4:5], v6, off
	v_mov_b32_e32 v4, s15
	v_add_co_u32_e32 v0, vcc, s14, v0
	v_addc_co_u32_e32 v1, vcc, v4, v1, vcc
	s_mov_b64 s[6:7], -1
.LBB1351_24:
	s_and_b64 exec, exec, s[6:7]
	s_cbranch_execz .LBB1351_26
; %bb.25:
	s_waitcnt vmcnt(1)
	global_store_dwordx2 v[0:1], v[2:3], off
.LBB1351_26:
	s_endpgm
	.section	.rodata,"a",@progbits
	.p2align	6, 0x0
	.amdhsa_kernel _ZN7rocprim17ROCPRIM_400000_NS6detail17trampoline_kernelINS0_14default_configENS1_38merge_sort_block_merge_config_selectorIslEEZZNS1_27merge_sort_block_merge_implIS3_PsN6thrust23THRUST_200600_302600_NS10device_ptrIlEEjNS1_19radix_merge_compareILb0ELb1EsNS0_19identity_decomposerEEEEE10hipError_tT0_T1_T2_jT3_P12ihipStream_tbPNSt15iterator_traitsISG_E10value_typeEPNSM_ISH_E10value_typeEPSI_NS1_7vsmem_tEENKUlT_SG_SH_SI_E_clIS7_S7_PlSB_EESF_SV_SG_SH_SI_EUlSV_E1_NS1_11comp_targetILNS1_3genE4ELNS1_11target_archE910ELNS1_3gpuE8ELNS1_3repE0EEENS1_36merge_oddeven_config_static_selectorELNS0_4arch9wavefront6targetE1EEEvSH_
		.amdhsa_group_segment_fixed_size 0
		.amdhsa_private_segment_fixed_size 0
		.amdhsa_kernarg_size 48
		.amdhsa_user_sgpr_count 6
		.amdhsa_user_sgpr_private_segment_buffer 1
		.amdhsa_user_sgpr_dispatch_ptr 0
		.amdhsa_user_sgpr_queue_ptr 0
		.amdhsa_user_sgpr_kernarg_segment_ptr 1
		.amdhsa_user_sgpr_dispatch_id 0
		.amdhsa_user_sgpr_flat_scratch_init 0
		.amdhsa_user_sgpr_kernarg_preload_length 0
		.amdhsa_user_sgpr_kernarg_preload_offset 0
		.amdhsa_user_sgpr_private_segment_size 0
		.amdhsa_uses_dynamic_stack 0
		.amdhsa_system_sgpr_private_segment_wavefront_offset 0
		.amdhsa_system_sgpr_workgroup_id_x 1
		.amdhsa_system_sgpr_workgroup_id_y 0
		.amdhsa_system_sgpr_workgroup_id_z 0
		.amdhsa_system_sgpr_workgroup_info 0
		.amdhsa_system_vgpr_workitem_id 0
		.amdhsa_next_free_vgpr 11
		.amdhsa_next_free_sgpr 24
		.amdhsa_accum_offset 12
		.amdhsa_reserve_vcc 1
		.amdhsa_reserve_flat_scratch 0
		.amdhsa_float_round_mode_32 0
		.amdhsa_float_round_mode_16_64 0
		.amdhsa_float_denorm_mode_32 3
		.amdhsa_float_denorm_mode_16_64 3
		.amdhsa_dx10_clamp 1
		.amdhsa_ieee_mode 1
		.amdhsa_fp16_overflow 0
		.amdhsa_tg_split 0
		.amdhsa_exception_fp_ieee_invalid_op 0
		.amdhsa_exception_fp_denorm_src 0
		.amdhsa_exception_fp_ieee_div_zero 0
		.amdhsa_exception_fp_ieee_overflow 0
		.amdhsa_exception_fp_ieee_underflow 0
		.amdhsa_exception_fp_ieee_inexact 0
		.amdhsa_exception_int_div_zero 0
	.end_amdhsa_kernel
	.section	.text._ZN7rocprim17ROCPRIM_400000_NS6detail17trampoline_kernelINS0_14default_configENS1_38merge_sort_block_merge_config_selectorIslEEZZNS1_27merge_sort_block_merge_implIS3_PsN6thrust23THRUST_200600_302600_NS10device_ptrIlEEjNS1_19radix_merge_compareILb0ELb1EsNS0_19identity_decomposerEEEEE10hipError_tT0_T1_T2_jT3_P12ihipStream_tbPNSt15iterator_traitsISG_E10value_typeEPNSM_ISH_E10value_typeEPSI_NS1_7vsmem_tEENKUlT_SG_SH_SI_E_clIS7_S7_PlSB_EESF_SV_SG_SH_SI_EUlSV_E1_NS1_11comp_targetILNS1_3genE4ELNS1_11target_archE910ELNS1_3gpuE8ELNS1_3repE0EEENS1_36merge_oddeven_config_static_selectorELNS0_4arch9wavefront6targetE1EEEvSH_,"axG",@progbits,_ZN7rocprim17ROCPRIM_400000_NS6detail17trampoline_kernelINS0_14default_configENS1_38merge_sort_block_merge_config_selectorIslEEZZNS1_27merge_sort_block_merge_implIS3_PsN6thrust23THRUST_200600_302600_NS10device_ptrIlEEjNS1_19radix_merge_compareILb0ELb1EsNS0_19identity_decomposerEEEEE10hipError_tT0_T1_T2_jT3_P12ihipStream_tbPNSt15iterator_traitsISG_E10value_typeEPNSM_ISH_E10value_typeEPSI_NS1_7vsmem_tEENKUlT_SG_SH_SI_E_clIS7_S7_PlSB_EESF_SV_SG_SH_SI_EUlSV_E1_NS1_11comp_targetILNS1_3genE4ELNS1_11target_archE910ELNS1_3gpuE8ELNS1_3repE0EEENS1_36merge_oddeven_config_static_selectorELNS0_4arch9wavefront6targetE1EEEvSH_,comdat
.Lfunc_end1351:
	.size	_ZN7rocprim17ROCPRIM_400000_NS6detail17trampoline_kernelINS0_14default_configENS1_38merge_sort_block_merge_config_selectorIslEEZZNS1_27merge_sort_block_merge_implIS3_PsN6thrust23THRUST_200600_302600_NS10device_ptrIlEEjNS1_19radix_merge_compareILb0ELb1EsNS0_19identity_decomposerEEEEE10hipError_tT0_T1_T2_jT3_P12ihipStream_tbPNSt15iterator_traitsISG_E10value_typeEPNSM_ISH_E10value_typeEPSI_NS1_7vsmem_tEENKUlT_SG_SH_SI_E_clIS7_S7_PlSB_EESF_SV_SG_SH_SI_EUlSV_E1_NS1_11comp_targetILNS1_3genE4ELNS1_11target_archE910ELNS1_3gpuE8ELNS1_3repE0EEENS1_36merge_oddeven_config_static_selectorELNS0_4arch9wavefront6targetE1EEEvSH_, .Lfunc_end1351-_ZN7rocprim17ROCPRIM_400000_NS6detail17trampoline_kernelINS0_14default_configENS1_38merge_sort_block_merge_config_selectorIslEEZZNS1_27merge_sort_block_merge_implIS3_PsN6thrust23THRUST_200600_302600_NS10device_ptrIlEEjNS1_19radix_merge_compareILb0ELb1EsNS0_19identity_decomposerEEEEE10hipError_tT0_T1_T2_jT3_P12ihipStream_tbPNSt15iterator_traitsISG_E10value_typeEPNSM_ISH_E10value_typeEPSI_NS1_7vsmem_tEENKUlT_SG_SH_SI_E_clIS7_S7_PlSB_EESF_SV_SG_SH_SI_EUlSV_E1_NS1_11comp_targetILNS1_3genE4ELNS1_11target_archE910ELNS1_3gpuE8ELNS1_3repE0EEENS1_36merge_oddeven_config_static_selectorELNS0_4arch9wavefront6targetE1EEEvSH_
                                        ; -- End function
	.section	.AMDGPU.csdata,"",@progbits
; Kernel info:
; codeLenInByte = 860
; NumSgprs: 28
; NumVgprs: 11
; NumAgprs: 0
; TotalNumVgprs: 11
; ScratchSize: 0
; MemoryBound: 0
; FloatMode: 240
; IeeeMode: 1
; LDSByteSize: 0 bytes/workgroup (compile time only)
; SGPRBlocks: 3
; VGPRBlocks: 1
; NumSGPRsForWavesPerEU: 28
; NumVGPRsForWavesPerEU: 11
; AccumOffset: 12
; Occupancy: 8
; WaveLimiterHint : 0
; COMPUTE_PGM_RSRC2:SCRATCH_EN: 0
; COMPUTE_PGM_RSRC2:USER_SGPR: 6
; COMPUTE_PGM_RSRC2:TRAP_HANDLER: 0
; COMPUTE_PGM_RSRC2:TGID_X_EN: 1
; COMPUTE_PGM_RSRC2:TGID_Y_EN: 0
; COMPUTE_PGM_RSRC2:TGID_Z_EN: 0
; COMPUTE_PGM_RSRC2:TIDIG_COMP_CNT: 0
; COMPUTE_PGM_RSRC3_GFX90A:ACCUM_OFFSET: 2
; COMPUTE_PGM_RSRC3_GFX90A:TG_SPLIT: 0
	.section	.text._ZN7rocprim17ROCPRIM_400000_NS6detail17trampoline_kernelINS0_14default_configENS1_38merge_sort_block_merge_config_selectorIslEEZZNS1_27merge_sort_block_merge_implIS3_PsN6thrust23THRUST_200600_302600_NS10device_ptrIlEEjNS1_19radix_merge_compareILb0ELb1EsNS0_19identity_decomposerEEEEE10hipError_tT0_T1_T2_jT3_P12ihipStream_tbPNSt15iterator_traitsISG_E10value_typeEPNSM_ISH_E10value_typeEPSI_NS1_7vsmem_tEENKUlT_SG_SH_SI_E_clIS7_S7_PlSB_EESF_SV_SG_SH_SI_EUlSV_E1_NS1_11comp_targetILNS1_3genE3ELNS1_11target_archE908ELNS1_3gpuE7ELNS1_3repE0EEENS1_36merge_oddeven_config_static_selectorELNS0_4arch9wavefront6targetE1EEEvSH_,"axG",@progbits,_ZN7rocprim17ROCPRIM_400000_NS6detail17trampoline_kernelINS0_14default_configENS1_38merge_sort_block_merge_config_selectorIslEEZZNS1_27merge_sort_block_merge_implIS3_PsN6thrust23THRUST_200600_302600_NS10device_ptrIlEEjNS1_19radix_merge_compareILb0ELb1EsNS0_19identity_decomposerEEEEE10hipError_tT0_T1_T2_jT3_P12ihipStream_tbPNSt15iterator_traitsISG_E10value_typeEPNSM_ISH_E10value_typeEPSI_NS1_7vsmem_tEENKUlT_SG_SH_SI_E_clIS7_S7_PlSB_EESF_SV_SG_SH_SI_EUlSV_E1_NS1_11comp_targetILNS1_3genE3ELNS1_11target_archE908ELNS1_3gpuE7ELNS1_3repE0EEENS1_36merge_oddeven_config_static_selectorELNS0_4arch9wavefront6targetE1EEEvSH_,comdat
	.protected	_ZN7rocprim17ROCPRIM_400000_NS6detail17trampoline_kernelINS0_14default_configENS1_38merge_sort_block_merge_config_selectorIslEEZZNS1_27merge_sort_block_merge_implIS3_PsN6thrust23THRUST_200600_302600_NS10device_ptrIlEEjNS1_19radix_merge_compareILb0ELb1EsNS0_19identity_decomposerEEEEE10hipError_tT0_T1_T2_jT3_P12ihipStream_tbPNSt15iterator_traitsISG_E10value_typeEPNSM_ISH_E10value_typeEPSI_NS1_7vsmem_tEENKUlT_SG_SH_SI_E_clIS7_S7_PlSB_EESF_SV_SG_SH_SI_EUlSV_E1_NS1_11comp_targetILNS1_3genE3ELNS1_11target_archE908ELNS1_3gpuE7ELNS1_3repE0EEENS1_36merge_oddeven_config_static_selectorELNS0_4arch9wavefront6targetE1EEEvSH_ ; -- Begin function _ZN7rocprim17ROCPRIM_400000_NS6detail17trampoline_kernelINS0_14default_configENS1_38merge_sort_block_merge_config_selectorIslEEZZNS1_27merge_sort_block_merge_implIS3_PsN6thrust23THRUST_200600_302600_NS10device_ptrIlEEjNS1_19radix_merge_compareILb0ELb1EsNS0_19identity_decomposerEEEEE10hipError_tT0_T1_T2_jT3_P12ihipStream_tbPNSt15iterator_traitsISG_E10value_typeEPNSM_ISH_E10value_typeEPSI_NS1_7vsmem_tEENKUlT_SG_SH_SI_E_clIS7_S7_PlSB_EESF_SV_SG_SH_SI_EUlSV_E1_NS1_11comp_targetILNS1_3genE3ELNS1_11target_archE908ELNS1_3gpuE7ELNS1_3repE0EEENS1_36merge_oddeven_config_static_selectorELNS0_4arch9wavefront6targetE1EEEvSH_
	.globl	_ZN7rocprim17ROCPRIM_400000_NS6detail17trampoline_kernelINS0_14default_configENS1_38merge_sort_block_merge_config_selectorIslEEZZNS1_27merge_sort_block_merge_implIS3_PsN6thrust23THRUST_200600_302600_NS10device_ptrIlEEjNS1_19radix_merge_compareILb0ELb1EsNS0_19identity_decomposerEEEEE10hipError_tT0_T1_T2_jT3_P12ihipStream_tbPNSt15iterator_traitsISG_E10value_typeEPNSM_ISH_E10value_typeEPSI_NS1_7vsmem_tEENKUlT_SG_SH_SI_E_clIS7_S7_PlSB_EESF_SV_SG_SH_SI_EUlSV_E1_NS1_11comp_targetILNS1_3genE3ELNS1_11target_archE908ELNS1_3gpuE7ELNS1_3repE0EEENS1_36merge_oddeven_config_static_selectorELNS0_4arch9wavefront6targetE1EEEvSH_
	.p2align	8
	.type	_ZN7rocprim17ROCPRIM_400000_NS6detail17trampoline_kernelINS0_14default_configENS1_38merge_sort_block_merge_config_selectorIslEEZZNS1_27merge_sort_block_merge_implIS3_PsN6thrust23THRUST_200600_302600_NS10device_ptrIlEEjNS1_19radix_merge_compareILb0ELb1EsNS0_19identity_decomposerEEEEE10hipError_tT0_T1_T2_jT3_P12ihipStream_tbPNSt15iterator_traitsISG_E10value_typeEPNSM_ISH_E10value_typeEPSI_NS1_7vsmem_tEENKUlT_SG_SH_SI_E_clIS7_S7_PlSB_EESF_SV_SG_SH_SI_EUlSV_E1_NS1_11comp_targetILNS1_3genE3ELNS1_11target_archE908ELNS1_3gpuE7ELNS1_3repE0EEENS1_36merge_oddeven_config_static_selectorELNS0_4arch9wavefront6targetE1EEEvSH_,@function
_ZN7rocprim17ROCPRIM_400000_NS6detail17trampoline_kernelINS0_14default_configENS1_38merge_sort_block_merge_config_selectorIslEEZZNS1_27merge_sort_block_merge_implIS3_PsN6thrust23THRUST_200600_302600_NS10device_ptrIlEEjNS1_19radix_merge_compareILb0ELb1EsNS0_19identity_decomposerEEEEE10hipError_tT0_T1_T2_jT3_P12ihipStream_tbPNSt15iterator_traitsISG_E10value_typeEPNSM_ISH_E10value_typeEPSI_NS1_7vsmem_tEENKUlT_SG_SH_SI_E_clIS7_S7_PlSB_EESF_SV_SG_SH_SI_EUlSV_E1_NS1_11comp_targetILNS1_3genE3ELNS1_11target_archE908ELNS1_3gpuE7ELNS1_3repE0EEENS1_36merge_oddeven_config_static_selectorELNS0_4arch9wavefront6targetE1EEEvSH_: ; @_ZN7rocprim17ROCPRIM_400000_NS6detail17trampoline_kernelINS0_14default_configENS1_38merge_sort_block_merge_config_selectorIslEEZZNS1_27merge_sort_block_merge_implIS3_PsN6thrust23THRUST_200600_302600_NS10device_ptrIlEEjNS1_19radix_merge_compareILb0ELb1EsNS0_19identity_decomposerEEEEE10hipError_tT0_T1_T2_jT3_P12ihipStream_tbPNSt15iterator_traitsISG_E10value_typeEPNSM_ISH_E10value_typeEPSI_NS1_7vsmem_tEENKUlT_SG_SH_SI_E_clIS7_S7_PlSB_EESF_SV_SG_SH_SI_EUlSV_E1_NS1_11comp_targetILNS1_3genE3ELNS1_11target_archE908ELNS1_3gpuE7ELNS1_3repE0EEENS1_36merge_oddeven_config_static_selectorELNS0_4arch9wavefront6targetE1EEEvSH_
; %bb.0:
	.section	.rodata,"a",@progbits
	.p2align	6, 0x0
	.amdhsa_kernel _ZN7rocprim17ROCPRIM_400000_NS6detail17trampoline_kernelINS0_14default_configENS1_38merge_sort_block_merge_config_selectorIslEEZZNS1_27merge_sort_block_merge_implIS3_PsN6thrust23THRUST_200600_302600_NS10device_ptrIlEEjNS1_19radix_merge_compareILb0ELb1EsNS0_19identity_decomposerEEEEE10hipError_tT0_T1_T2_jT3_P12ihipStream_tbPNSt15iterator_traitsISG_E10value_typeEPNSM_ISH_E10value_typeEPSI_NS1_7vsmem_tEENKUlT_SG_SH_SI_E_clIS7_S7_PlSB_EESF_SV_SG_SH_SI_EUlSV_E1_NS1_11comp_targetILNS1_3genE3ELNS1_11target_archE908ELNS1_3gpuE7ELNS1_3repE0EEENS1_36merge_oddeven_config_static_selectorELNS0_4arch9wavefront6targetE1EEEvSH_
		.amdhsa_group_segment_fixed_size 0
		.amdhsa_private_segment_fixed_size 0
		.amdhsa_kernarg_size 48
		.amdhsa_user_sgpr_count 6
		.amdhsa_user_sgpr_private_segment_buffer 1
		.amdhsa_user_sgpr_dispatch_ptr 0
		.amdhsa_user_sgpr_queue_ptr 0
		.amdhsa_user_sgpr_kernarg_segment_ptr 1
		.amdhsa_user_sgpr_dispatch_id 0
		.amdhsa_user_sgpr_flat_scratch_init 0
		.amdhsa_user_sgpr_kernarg_preload_length 0
		.amdhsa_user_sgpr_kernarg_preload_offset 0
		.amdhsa_user_sgpr_private_segment_size 0
		.amdhsa_uses_dynamic_stack 0
		.amdhsa_system_sgpr_private_segment_wavefront_offset 0
		.amdhsa_system_sgpr_workgroup_id_x 1
		.amdhsa_system_sgpr_workgroup_id_y 0
		.amdhsa_system_sgpr_workgroup_id_z 0
		.amdhsa_system_sgpr_workgroup_info 0
		.amdhsa_system_vgpr_workitem_id 0
		.amdhsa_next_free_vgpr 1
		.amdhsa_next_free_sgpr 0
		.amdhsa_accum_offset 4
		.amdhsa_reserve_vcc 0
		.amdhsa_reserve_flat_scratch 0
		.amdhsa_float_round_mode_32 0
		.amdhsa_float_round_mode_16_64 0
		.amdhsa_float_denorm_mode_32 3
		.amdhsa_float_denorm_mode_16_64 3
		.amdhsa_dx10_clamp 1
		.amdhsa_ieee_mode 1
		.amdhsa_fp16_overflow 0
		.amdhsa_tg_split 0
		.amdhsa_exception_fp_ieee_invalid_op 0
		.amdhsa_exception_fp_denorm_src 0
		.amdhsa_exception_fp_ieee_div_zero 0
		.amdhsa_exception_fp_ieee_overflow 0
		.amdhsa_exception_fp_ieee_underflow 0
		.amdhsa_exception_fp_ieee_inexact 0
		.amdhsa_exception_int_div_zero 0
	.end_amdhsa_kernel
	.section	.text._ZN7rocprim17ROCPRIM_400000_NS6detail17trampoline_kernelINS0_14default_configENS1_38merge_sort_block_merge_config_selectorIslEEZZNS1_27merge_sort_block_merge_implIS3_PsN6thrust23THRUST_200600_302600_NS10device_ptrIlEEjNS1_19radix_merge_compareILb0ELb1EsNS0_19identity_decomposerEEEEE10hipError_tT0_T1_T2_jT3_P12ihipStream_tbPNSt15iterator_traitsISG_E10value_typeEPNSM_ISH_E10value_typeEPSI_NS1_7vsmem_tEENKUlT_SG_SH_SI_E_clIS7_S7_PlSB_EESF_SV_SG_SH_SI_EUlSV_E1_NS1_11comp_targetILNS1_3genE3ELNS1_11target_archE908ELNS1_3gpuE7ELNS1_3repE0EEENS1_36merge_oddeven_config_static_selectorELNS0_4arch9wavefront6targetE1EEEvSH_,"axG",@progbits,_ZN7rocprim17ROCPRIM_400000_NS6detail17trampoline_kernelINS0_14default_configENS1_38merge_sort_block_merge_config_selectorIslEEZZNS1_27merge_sort_block_merge_implIS3_PsN6thrust23THRUST_200600_302600_NS10device_ptrIlEEjNS1_19radix_merge_compareILb0ELb1EsNS0_19identity_decomposerEEEEE10hipError_tT0_T1_T2_jT3_P12ihipStream_tbPNSt15iterator_traitsISG_E10value_typeEPNSM_ISH_E10value_typeEPSI_NS1_7vsmem_tEENKUlT_SG_SH_SI_E_clIS7_S7_PlSB_EESF_SV_SG_SH_SI_EUlSV_E1_NS1_11comp_targetILNS1_3genE3ELNS1_11target_archE908ELNS1_3gpuE7ELNS1_3repE0EEENS1_36merge_oddeven_config_static_selectorELNS0_4arch9wavefront6targetE1EEEvSH_,comdat
.Lfunc_end1352:
	.size	_ZN7rocprim17ROCPRIM_400000_NS6detail17trampoline_kernelINS0_14default_configENS1_38merge_sort_block_merge_config_selectorIslEEZZNS1_27merge_sort_block_merge_implIS3_PsN6thrust23THRUST_200600_302600_NS10device_ptrIlEEjNS1_19radix_merge_compareILb0ELb1EsNS0_19identity_decomposerEEEEE10hipError_tT0_T1_T2_jT3_P12ihipStream_tbPNSt15iterator_traitsISG_E10value_typeEPNSM_ISH_E10value_typeEPSI_NS1_7vsmem_tEENKUlT_SG_SH_SI_E_clIS7_S7_PlSB_EESF_SV_SG_SH_SI_EUlSV_E1_NS1_11comp_targetILNS1_3genE3ELNS1_11target_archE908ELNS1_3gpuE7ELNS1_3repE0EEENS1_36merge_oddeven_config_static_selectorELNS0_4arch9wavefront6targetE1EEEvSH_, .Lfunc_end1352-_ZN7rocprim17ROCPRIM_400000_NS6detail17trampoline_kernelINS0_14default_configENS1_38merge_sort_block_merge_config_selectorIslEEZZNS1_27merge_sort_block_merge_implIS3_PsN6thrust23THRUST_200600_302600_NS10device_ptrIlEEjNS1_19radix_merge_compareILb0ELb1EsNS0_19identity_decomposerEEEEE10hipError_tT0_T1_T2_jT3_P12ihipStream_tbPNSt15iterator_traitsISG_E10value_typeEPNSM_ISH_E10value_typeEPSI_NS1_7vsmem_tEENKUlT_SG_SH_SI_E_clIS7_S7_PlSB_EESF_SV_SG_SH_SI_EUlSV_E1_NS1_11comp_targetILNS1_3genE3ELNS1_11target_archE908ELNS1_3gpuE7ELNS1_3repE0EEENS1_36merge_oddeven_config_static_selectorELNS0_4arch9wavefront6targetE1EEEvSH_
                                        ; -- End function
	.section	.AMDGPU.csdata,"",@progbits
; Kernel info:
; codeLenInByte = 0
; NumSgprs: 4
; NumVgprs: 0
; NumAgprs: 0
; TotalNumVgprs: 0
; ScratchSize: 0
; MemoryBound: 0
; FloatMode: 240
; IeeeMode: 1
; LDSByteSize: 0 bytes/workgroup (compile time only)
; SGPRBlocks: 0
; VGPRBlocks: 0
; NumSGPRsForWavesPerEU: 4
; NumVGPRsForWavesPerEU: 1
; AccumOffset: 4
; Occupancy: 8
; WaveLimiterHint : 0
; COMPUTE_PGM_RSRC2:SCRATCH_EN: 0
; COMPUTE_PGM_RSRC2:USER_SGPR: 6
; COMPUTE_PGM_RSRC2:TRAP_HANDLER: 0
; COMPUTE_PGM_RSRC2:TGID_X_EN: 1
; COMPUTE_PGM_RSRC2:TGID_Y_EN: 0
; COMPUTE_PGM_RSRC2:TGID_Z_EN: 0
; COMPUTE_PGM_RSRC2:TIDIG_COMP_CNT: 0
; COMPUTE_PGM_RSRC3_GFX90A:ACCUM_OFFSET: 0
; COMPUTE_PGM_RSRC3_GFX90A:TG_SPLIT: 0
	.section	.text._ZN7rocprim17ROCPRIM_400000_NS6detail17trampoline_kernelINS0_14default_configENS1_38merge_sort_block_merge_config_selectorIslEEZZNS1_27merge_sort_block_merge_implIS3_PsN6thrust23THRUST_200600_302600_NS10device_ptrIlEEjNS1_19radix_merge_compareILb0ELb1EsNS0_19identity_decomposerEEEEE10hipError_tT0_T1_T2_jT3_P12ihipStream_tbPNSt15iterator_traitsISG_E10value_typeEPNSM_ISH_E10value_typeEPSI_NS1_7vsmem_tEENKUlT_SG_SH_SI_E_clIS7_S7_PlSB_EESF_SV_SG_SH_SI_EUlSV_E1_NS1_11comp_targetILNS1_3genE2ELNS1_11target_archE906ELNS1_3gpuE6ELNS1_3repE0EEENS1_36merge_oddeven_config_static_selectorELNS0_4arch9wavefront6targetE1EEEvSH_,"axG",@progbits,_ZN7rocprim17ROCPRIM_400000_NS6detail17trampoline_kernelINS0_14default_configENS1_38merge_sort_block_merge_config_selectorIslEEZZNS1_27merge_sort_block_merge_implIS3_PsN6thrust23THRUST_200600_302600_NS10device_ptrIlEEjNS1_19radix_merge_compareILb0ELb1EsNS0_19identity_decomposerEEEEE10hipError_tT0_T1_T2_jT3_P12ihipStream_tbPNSt15iterator_traitsISG_E10value_typeEPNSM_ISH_E10value_typeEPSI_NS1_7vsmem_tEENKUlT_SG_SH_SI_E_clIS7_S7_PlSB_EESF_SV_SG_SH_SI_EUlSV_E1_NS1_11comp_targetILNS1_3genE2ELNS1_11target_archE906ELNS1_3gpuE6ELNS1_3repE0EEENS1_36merge_oddeven_config_static_selectorELNS0_4arch9wavefront6targetE1EEEvSH_,comdat
	.protected	_ZN7rocprim17ROCPRIM_400000_NS6detail17trampoline_kernelINS0_14default_configENS1_38merge_sort_block_merge_config_selectorIslEEZZNS1_27merge_sort_block_merge_implIS3_PsN6thrust23THRUST_200600_302600_NS10device_ptrIlEEjNS1_19radix_merge_compareILb0ELb1EsNS0_19identity_decomposerEEEEE10hipError_tT0_T1_T2_jT3_P12ihipStream_tbPNSt15iterator_traitsISG_E10value_typeEPNSM_ISH_E10value_typeEPSI_NS1_7vsmem_tEENKUlT_SG_SH_SI_E_clIS7_S7_PlSB_EESF_SV_SG_SH_SI_EUlSV_E1_NS1_11comp_targetILNS1_3genE2ELNS1_11target_archE906ELNS1_3gpuE6ELNS1_3repE0EEENS1_36merge_oddeven_config_static_selectorELNS0_4arch9wavefront6targetE1EEEvSH_ ; -- Begin function _ZN7rocprim17ROCPRIM_400000_NS6detail17trampoline_kernelINS0_14default_configENS1_38merge_sort_block_merge_config_selectorIslEEZZNS1_27merge_sort_block_merge_implIS3_PsN6thrust23THRUST_200600_302600_NS10device_ptrIlEEjNS1_19radix_merge_compareILb0ELb1EsNS0_19identity_decomposerEEEEE10hipError_tT0_T1_T2_jT3_P12ihipStream_tbPNSt15iterator_traitsISG_E10value_typeEPNSM_ISH_E10value_typeEPSI_NS1_7vsmem_tEENKUlT_SG_SH_SI_E_clIS7_S7_PlSB_EESF_SV_SG_SH_SI_EUlSV_E1_NS1_11comp_targetILNS1_3genE2ELNS1_11target_archE906ELNS1_3gpuE6ELNS1_3repE0EEENS1_36merge_oddeven_config_static_selectorELNS0_4arch9wavefront6targetE1EEEvSH_
	.globl	_ZN7rocprim17ROCPRIM_400000_NS6detail17trampoline_kernelINS0_14default_configENS1_38merge_sort_block_merge_config_selectorIslEEZZNS1_27merge_sort_block_merge_implIS3_PsN6thrust23THRUST_200600_302600_NS10device_ptrIlEEjNS1_19radix_merge_compareILb0ELb1EsNS0_19identity_decomposerEEEEE10hipError_tT0_T1_T2_jT3_P12ihipStream_tbPNSt15iterator_traitsISG_E10value_typeEPNSM_ISH_E10value_typeEPSI_NS1_7vsmem_tEENKUlT_SG_SH_SI_E_clIS7_S7_PlSB_EESF_SV_SG_SH_SI_EUlSV_E1_NS1_11comp_targetILNS1_3genE2ELNS1_11target_archE906ELNS1_3gpuE6ELNS1_3repE0EEENS1_36merge_oddeven_config_static_selectorELNS0_4arch9wavefront6targetE1EEEvSH_
	.p2align	8
	.type	_ZN7rocprim17ROCPRIM_400000_NS6detail17trampoline_kernelINS0_14default_configENS1_38merge_sort_block_merge_config_selectorIslEEZZNS1_27merge_sort_block_merge_implIS3_PsN6thrust23THRUST_200600_302600_NS10device_ptrIlEEjNS1_19radix_merge_compareILb0ELb1EsNS0_19identity_decomposerEEEEE10hipError_tT0_T1_T2_jT3_P12ihipStream_tbPNSt15iterator_traitsISG_E10value_typeEPNSM_ISH_E10value_typeEPSI_NS1_7vsmem_tEENKUlT_SG_SH_SI_E_clIS7_S7_PlSB_EESF_SV_SG_SH_SI_EUlSV_E1_NS1_11comp_targetILNS1_3genE2ELNS1_11target_archE906ELNS1_3gpuE6ELNS1_3repE0EEENS1_36merge_oddeven_config_static_selectorELNS0_4arch9wavefront6targetE1EEEvSH_,@function
_ZN7rocprim17ROCPRIM_400000_NS6detail17trampoline_kernelINS0_14default_configENS1_38merge_sort_block_merge_config_selectorIslEEZZNS1_27merge_sort_block_merge_implIS3_PsN6thrust23THRUST_200600_302600_NS10device_ptrIlEEjNS1_19radix_merge_compareILb0ELb1EsNS0_19identity_decomposerEEEEE10hipError_tT0_T1_T2_jT3_P12ihipStream_tbPNSt15iterator_traitsISG_E10value_typeEPNSM_ISH_E10value_typeEPSI_NS1_7vsmem_tEENKUlT_SG_SH_SI_E_clIS7_S7_PlSB_EESF_SV_SG_SH_SI_EUlSV_E1_NS1_11comp_targetILNS1_3genE2ELNS1_11target_archE906ELNS1_3gpuE6ELNS1_3repE0EEENS1_36merge_oddeven_config_static_selectorELNS0_4arch9wavefront6targetE1EEEvSH_: ; @_ZN7rocprim17ROCPRIM_400000_NS6detail17trampoline_kernelINS0_14default_configENS1_38merge_sort_block_merge_config_selectorIslEEZZNS1_27merge_sort_block_merge_implIS3_PsN6thrust23THRUST_200600_302600_NS10device_ptrIlEEjNS1_19radix_merge_compareILb0ELb1EsNS0_19identity_decomposerEEEEE10hipError_tT0_T1_T2_jT3_P12ihipStream_tbPNSt15iterator_traitsISG_E10value_typeEPNSM_ISH_E10value_typeEPSI_NS1_7vsmem_tEENKUlT_SG_SH_SI_E_clIS7_S7_PlSB_EESF_SV_SG_SH_SI_EUlSV_E1_NS1_11comp_targetILNS1_3genE2ELNS1_11target_archE906ELNS1_3gpuE6ELNS1_3repE0EEENS1_36merge_oddeven_config_static_selectorELNS0_4arch9wavefront6targetE1EEEvSH_
; %bb.0:
	.section	.rodata,"a",@progbits
	.p2align	6, 0x0
	.amdhsa_kernel _ZN7rocprim17ROCPRIM_400000_NS6detail17trampoline_kernelINS0_14default_configENS1_38merge_sort_block_merge_config_selectorIslEEZZNS1_27merge_sort_block_merge_implIS3_PsN6thrust23THRUST_200600_302600_NS10device_ptrIlEEjNS1_19radix_merge_compareILb0ELb1EsNS0_19identity_decomposerEEEEE10hipError_tT0_T1_T2_jT3_P12ihipStream_tbPNSt15iterator_traitsISG_E10value_typeEPNSM_ISH_E10value_typeEPSI_NS1_7vsmem_tEENKUlT_SG_SH_SI_E_clIS7_S7_PlSB_EESF_SV_SG_SH_SI_EUlSV_E1_NS1_11comp_targetILNS1_3genE2ELNS1_11target_archE906ELNS1_3gpuE6ELNS1_3repE0EEENS1_36merge_oddeven_config_static_selectorELNS0_4arch9wavefront6targetE1EEEvSH_
		.amdhsa_group_segment_fixed_size 0
		.amdhsa_private_segment_fixed_size 0
		.amdhsa_kernarg_size 48
		.amdhsa_user_sgpr_count 6
		.amdhsa_user_sgpr_private_segment_buffer 1
		.amdhsa_user_sgpr_dispatch_ptr 0
		.amdhsa_user_sgpr_queue_ptr 0
		.amdhsa_user_sgpr_kernarg_segment_ptr 1
		.amdhsa_user_sgpr_dispatch_id 0
		.amdhsa_user_sgpr_flat_scratch_init 0
		.amdhsa_user_sgpr_kernarg_preload_length 0
		.amdhsa_user_sgpr_kernarg_preload_offset 0
		.amdhsa_user_sgpr_private_segment_size 0
		.amdhsa_uses_dynamic_stack 0
		.amdhsa_system_sgpr_private_segment_wavefront_offset 0
		.amdhsa_system_sgpr_workgroup_id_x 1
		.amdhsa_system_sgpr_workgroup_id_y 0
		.amdhsa_system_sgpr_workgroup_id_z 0
		.amdhsa_system_sgpr_workgroup_info 0
		.amdhsa_system_vgpr_workitem_id 0
		.amdhsa_next_free_vgpr 1
		.amdhsa_next_free_sgpr 0
		.amdhsa_accum_offset 4
		.amdhsa_reserve_vcc 0
		.amdhsa_reserve_flat_scratch 0
		.amdhsa_float_round_mode_32 0
		.amdhsa_float_round_mode_16_64 0
		.amdhsa_float_denorm_mode_32 3
		.amdhsa_float_denorm_mode_16_64 3
		.amdhsa_dx10_clamp 1
		.amdhsa_ieee_mode 1
		.amdhsa_fp16_overflow 0
		.amdhsa_tg_split 0
		.amdhsa_exception_fp_ieee_invalid_op 0
		.amdhsa_exception_fp_denorm_src 0
		.amdhsa_exception_fp_ieee_div_zero 0
		.amdhsa_exception_fp_ieee_overflow 0
		.amdhsa_exception_fp_ieee_underflow 0
		.amdhsa_exception_fp_ieee_inexact 0
		.amdhsa_exception_int_div_zero 0
	.end_amdhsa_kernel
	.section	.text._ZN7rocprim17ROCPRIM_400000_NS6detail17trampoline_kernelINS0_14default_configENS1_38merge_sort_block_merge_config_selectorIslEEZZNS1_27merge_sort_block_merge_implIS3_PsN6thrust23THRUST_200600_302600_NS10device_ptrIlEEjNS1_19radix_merge_compareILb0ELb1EsNS0_19identity_decomposerEEEEE10hipError_tT0_T1_T2_jT3_P12ihipStream_tbPNSt15iterator_traitsISG_E10value_typeEPNSM_ISH_E10value_typeEPSI_NS1_7vsmem_tEENKUlT_SG_SH_SI_E_clIS7_S7_PlSB_EESF_SV_SG_SH_SI_EUlSV_E1_NS1_11comp_targetILNS1_3genE2ELNS1_11target_archE906ELNS1_3gpuE6ELNS1_3repE0EEENS1_36merge_oddeven_config_static_selectorELNS0_4arch9wavefront6targetE1EEEvSH_,"axG",@progbits,_ZN7rocprim17ROCPRIM_400000_NS6detail17trampoline_kernelINS0_14default_configENS1_38merge_sort_block_merge_config_selectorIslEEZZNS1_27merge_sort_block_merge_implIS3_PsN6thrust23THRUST_200600_302600_NS10device_ptrIlEEjNS1_19radix_merge_compareILb0ELb1EsNS0_19identity_decomposerEEEEE10hipError_tT0_T1_T2_jT3_P12ihipStream_tbPNSt15iterator_traitsISG_E10value_typeEPNSM_ISH_E10value_typeEPSI_NS1_7vsmem_tEENKUlT_SG_SH_SI_E_clIS7_S7_PlSB_EESF_SV_SG_SH_SI_EUlSV_E1_NS1_11comp_targetILNS1_3genE2ELNS1_11target_archE906ELNS1_3gpuE6ELNS1_3repE0EEENS1_36merge_oddeven_config_static_selectorELNS0_4arch9wavefront6targetE1EEEvSH_,comdat
.Lfunc_end1353:
	.size	_ZN7rocprim17ROCPRIM_400000_NS6detail17trampoline_kernelINS0_14default_configENS1_38merge_sort_block_merge_config_selectorIslEEZZNS1_27merge_sort_block_merge_implIS3_PsN6thrust23THRUST_200600_302600_NS10device_ptrIlEEjNS1_19radix_merge_compareILb0ELb1EsNS0_19identity_decomposerEEEEE10hipError_tT0_T1_T2_jT3_P12ihipStream_tbPNSt15iterator_traitsISG_E10value_typeEPNSM_ISH_E10value_typeEPSI_NS1_7vsmem_tEENKUlT_SG_SH_SI_E_clIS7_S7_PlSB_EESF_SV_SG_SH_SI_EUlSV_E1_NS1_11comp_targetILNS1_3genE2ELNS1_11target_archE906ELNS1_3gpuE6ELNS1_3repE0EEENS1_36merge_oddeven_config_static_selectorELNS0_4arch9wavefront6targetE1EEEvSH_, .Lfunc_end1353-_ZN7rocprim17ROCPRIM_400000_NS6detail17trampoline_kernelINS0_14default_configENS1_38merge_sort_block_merge_config_selectorIslEEZZNS1_27merge_sort_block_merge_implIS3_PsN6thrust23THRUST_200600_302600_NS10device_ptrIlEEjNS1_19radix_merge_compareILb0ELb1EsNS0_19identity_decomposerEEEEE10hipError_tT0_T1_T2_jT3_P12ihipStream_tbPNSt15iterator_traitsISG_E10value_typeEPNSM_ISH_E10value_typeEPSI_NS1_7vsmem_tEENKUlT_SG_SH_SI_E_clIS7_S7_PlSB_EESF_SV_SG_SH_SI_EUlSV_E1_NS1_11comp_targetILNS1_3genE2ELNS1_11target_archE906ELNS1_3gpuE6ELNS1_3repE0EEENS1_36merge_oddeven_config_static_selectorELNS0_4arch9wavefront6targetE1EEEvSH_
                                        ; -- End function
	.section	.AMDGPU.csdata,"",@progbits
; Kernel info:
; codeLenInByte = 0
; NumSgprs: 4
; NumVgprs: 0
; NumAgprs: 0
; TotalNumVgprs: 0
; ScratchSize: 0
; MemoryBound: 0
; FloatMode: 240
; IeeeMode: 1
; LDSByteSize: 0 bytes/workgroup (compile time only)
; SGPRBlocks: 0
; VGPRBlocks: 0
; NumSGPRsForWavesPerEU: 4
; NumVGPRsForWavesPerEU: 1
; AccumOffset: 4
; Occupancy: 8
; WaveLimiterHint : 0
; COMPUTE_PGM_RSRC2:SCRATCH_EN: 0
; COMPUTE_PGM_RSRC2:USER_SGPR: 6
; COMPUTE_PGM_RSRC2:TRAP_HANDLER: 0
; COMPUTE_PGM_RSRC2:TGID_X_EN: 1
; COMPUTE_PGM_RSRC2:TGID_Y_EN: 0
; COMPUTE_PGM_RSRC2:TGID_Z_EN: 0
; COMPUTE_PGM_RSRC2:TIDIG_COMP_CNT: 0
; COMPUTE_PGM_RSRC3_GFX90A:ACCUM_OFFSET: 0
; COMPUTE_PGM_RSRC3_GFX90A:TG_SPLIT: 0
	.section	.text._ZN7rocprim17ROCPRIM_400000_NS6detail17trampoline_kernelINS0_14default_configENS1_38merge_sort_block_merge_config_selectorIslEEZZNS1_27merge_sort_block_merge_implIS3_PsN6thrust23THRUST_200600_302600_NS10device_ptrIlEEjNS1_19radix_merge_compareILb0ELb1EsNS0_19identity_decomposerEEEEE10hipError_tT0_T1_T2_jT3_P12ihipStream_tbPNSt15iterator_traitsISG_E10value_typeEPNSM_ISH_E10value_typeEPSI_NS1_7vsmem_tEENKUlT_SG_SH_SI_E_clIS7_S7_PlSB_EESF_SV_SG_SH_SI_EUlSV_E1_NS1_11comp_targetILNS1_3genE9ELNS1_11target_archE1100ELNS1_3gpuE3ELNS1_3repE0EEENS1_36merge_oddeven_config_static_selectorELNS0_4arch9wavefront6targetE1EEEvSH_,"axG",@progbits,_ZN7rocprim17ROCPRIM_400000_NS6detail17trampoline_kernelINS0_14default_configENS1_38merge_sort_block_merge_config_selectorIslEEZZNS1_27merge_sort_block_merge_implIS3_PsN6thrust23THRUST_200600_302600_NS10device_ptrIlEEjNS1_19radix_merge_compareILb0ELb1EsNS0_19identity_decomposerEEEEE10hipError_tT0_T1_T2_jT3_P12ihipStream_tbPNSt15iterator_traitsISG_E10value_typeEPNSM_ISH_E10value_typeEPSI_NS1_7vsmem_tEENKUlT_SG_SH_SI_E_clIS7_S7_PlSB_EESF_SV_SG_SH_SI_EUlSV_E1_NS1_11comp_targetILNS1_3genE9ELNS1_11target_archE1100ELNS1_3gpuE3ELNS1_3repE0EEENS1_36merge_oddeven_config_static_selectorELNS0_4arch9wavefront6targetE1EEEvSH_,comdat
	.protected	_ZN7rocprim17ROCPRIM_400000_NS6detail17trampoline_kernelINS0_14default_configENS1_38merge_sort_block_merge_config_selectorIslEEZZNS1_27merge_sort_block_merge_implIS3_PsN6thrust23THRUST_200600_302600_NS10device_ptrIlEEjNS1_19radix_merge_compareILb0ELb1EsNS0_19identity_decomposerEEEEE10hipError_tT0_T1_T2_jT3_P12ihipStream_tbPNSt15iterator_traitsISG_E10value_typeEPNSM_ISH_E10value_typeEPSI_NS1_7vsmem_tEENKUlT_SG_SH_SI_E_clIS7_S7_PlSB_EESF_SV_SG_SH_SI_EUlSV_E1_NS1_11comp_targetILNS1_3genE9ELNS1_11target_archE1100ELNS1_3gpuE3ELNS1_3repE0EEENS1_36merge_oddeven_config_static_selectorELNS0_4arch9wavefront6targetE1EEEvSH_ ; -- Begin function _ZN7rocprim17ROCPRIM_400000_NS6detail17trampoline_kernelINS0_14default_configENS1_38merge_sort_block_merge_config_selectorIslEEZZNS1_27merge_sort_block_merge_implIS3_PsN6thrust23THRUST_200600_302600_NS10device_ptrIlEEjNS1_19radix_merge_compareILb0ELb1EsNS0_19identity_decomposerEEEEE10hipError_tT0_T1_T2_jT3_P12ihipStream_tbPNSt15iterator_traitsISG_E10value_typeEPNSM_ISH_E10value_typeEPSI_NS1_7vsmem_tEENKUlT_SG_SH_SI_E_clIS7_S7_PlSB_EESF_SV_SG_SH_SI_EUlSV_E1_NS1_11comp_targetILNS1_3genE9ELNS1_11target_archE1100ELNS1_3gpuE3ELNS1_3repE0EEENS1_36merge_oddeven_config_static_selectorELNS0_4arch9wavefront6targetE1EEEvSH_
	.globl	_ZN7rocprim17ROCPRIM_400000_NS6detail17trampoline_kernelINS0_14default_configENS1_38merge_sort_block_merge_config_selectorIslEEZZNS1_27merge_sort_block_merge_implIS3_PsN6thrust23THRUST_200600_302600_NS10device_ptrIlEEjNS1_19radix_merge_compareILb0ELb1EsNS0_19identity_decomposerEEEEE10hipError_tT0_T1_T2_jT3_P12ihipStream_tbPNSt15iterator_traitsISG_E10value_typeEPNSM_ISH_E10value_typeEPSI_NS1_7vsmem_tEENKUlT_SG_SH_SI_E_clIS7_S7_PlSB_EESF_SV_SG_SH_SI_EUlSV_E1_NS1_11comp_targetILNS1_3genE9ELNS1_11target_archE1100ELNS1_3gpuE3ELNS1_3repE0EEENS1_36merge_oddeven_config_static_selectorELNS0_4arch9wavefront6targetE1EEEvSH_
	.p2align	8
	.type	_ZN7rocprim17ROCPRIM_400000_NS6detail17trampoline_kernelINS0_14default_configENS1_38merge_sort_block_merge_config_selectorIslEEZZNS1_27merge_sort_block_merge_implIS3_PsN6thrust23THRUST_200600_302600_NS10device_ptrIlEEjNS1_19radix_merge_compareILb0ELb1EsNS0_19identity_decomposerEEEEE10hipError_tT0_T1_T2_jT3_P12ihipStream_tbPNSt15iterator_traitsISG_E10value_typeEPNSM_ISH_E10value_typeEPSI_NS1_7vsmem_tEENKUlT_SG_SH_SI_E_clIS7_S7_PlSB_EESF_SV_SG_SH_SI_EUlSV_E1_NS1_11comp_targetILNS1_3genE9ELNS1_11target_archE1100ELNS1_3gpuE3ELNS1_3repE0EEENS1_36merge_oddeven_config_static_selectorELNS0_4arch9wavefront6targetE1EEEvSH_,@function
_ZN7rocprim17ROCPRIM_400000_NS6detail17trampoline_kernelINS0_14default_configENS1_38merge_sort_block_merge_config_selectorIslEEZZNS1_27merge_sort_block_merge_implIS3_PsN6thrust23THRUST_200600_302600_NS10device_ptrIlEEjNS1_19radix_merge_compareILb0ELb1EsNS0_19identity_decomposerEEEEE10hipError_tT0_T1_T2_jT3_P12ihipStream_tbPNSt15iterator_traitsISG_E10value_typeEPNSM_ISH_E10value_typeEPSI_NS1_7vsmem_tEENKUlT_SG_SH_SI_E_clIS7_S7_PlSB_EESF_SV_SG_SH_SI_EUlSV_E1_NS1_11comp_targetILNS1_3genE9ELNS1_11target_archE1100ELNS1_3gpuE3ELNS1_3repE0EEENS1_36merge_oddeven_config_static_selectorELNS0_4arch9wavefront6targetE1EEEvSH_: ; @_ZN7rocprim17ROCPRIM_400000_NS6detail17trampoline_kernelINS0_14default_configENS1_38merge_sort_block_merge_config_selectorIslEEZZNS1_27merge_sort_block_merge_implIS3_PsN6thrust23THRUST_200600_302600_NS10device_ptrIlEEjNS1_19radix_merge_compareILb0ELb1EsNS0_19identity_decomposerEEEEE10hipError_tT0_T1_T2_jT3_P12ihipStream_tbPNSt15iterator_traitsISG_E10value_typeEPNSM_ISH_E10value_typeEPSI_NS1_7vsmem_tEENKUlT_SG_SH_SI_E_clIS7_S7_PlSB_EESF_SV_SG_SH_SI_EUlSV_E1_NS1_11comp_targetILNS1_3genE9ELNS1_11target_archE1100ELNS1_3gpuE3ELNS1_3repE0EEENS1_36merge_oddeven_config_static_selectorELNS0_4arch9wavefront6targetE1EEEvSH_
; %bb.0:
	.section	.rodata,"a",@progbits
	.p2align	6, 0x0
	.amdhsa_kernel _ZN7rocprim17ROCPRIM_400000_NS6detail17trampoline_kernelINS0_14default_configENS1_38merge_sort_block_merge_config_selectorIslEEZZNS1_27merge_sort_block_merge_implIS3_PsN6thrust23THRUST_200600_302600_NS10device_ptrIlEEjNS1_19radix_merge_compareILb0ELb1EsNS0_19identity_decomposerEEEEE10hipError_tT0_T1_T2_jT3_P12ihipStream_tbPNSt15iterator_traitsISG_E10value_typeEPNSM_ISH_E10value_typeEPSI_NS1_7vsmem_tEENKUlT_SG_SH_SI_E_clIS7_S7_PlSB_EESF_SV_SG_SH_SI_EUlSV_E1_NS1_11comp_targetILNS1_3genE9ELNS1_11target_archE1100ELNS1_3gpuE3ELNS1_3repE0EEENS1_36merge_oddeven_config_static_selectorELNS0_4arch9wavefront6targetE1EEEvSH_
		.amdhsa_group_segment_fixed_size 0
		.amdhsa_private_segment_fixed_size 0
		.amdhsa_kernarg_size 48
		.amdhsa_user_sgpr_count 6
		.amdhsa_user_sgpr_private_segment_buffer 1
		.amdhsa_user_sgpr_dispatch_ptr 0
		.amdhsa_user_sgpr_queue_ptr 0
		.amdhsa_user_sgpr_kernarg_segment_ptr 1
		.amdhsa_user_sgpr_dispatch_id 0
		.amdhsa_user_sgpr_flat_scratch_init 0
		.amdhsa_user_sgpr_kernarg_preload_length 0
		.amdhsa_user_sgpr_kernarg_preload_offset 0
		.amdhsa_user_sgpr_private_segment_size 0
		.amdhsa_uses_dynamic_stack 0
		.amdhsa_system_sgpr_private_segment_wavefront_offset 0
		.amdhsa_system_sgpr_workgroup_id_x 1
		.amdhsa_system_sgpr_workgroup_id_y 0
		.amdhsa_system_sgpr_workgroup_id_z 0
		.amdhsa_system_sgpr_workgroup_info 0
		.amdhsa_system_vgpr_workitem_id 0
		.amdhsa_next_free_vgpr 1
		.amdhsa_next_free_sgpr 0
		.amdhsa_accum_offset 4
		.amdhsa_reserve_vcc 0
		.amdhsa_reserve_flat_scratch 0
		.amdhsa_float_round_mode_32 0
		.amdhsa_float_round_mode_16_64 0
		.amdhsa_float_denorm_mode_32 3
		.amdhsa_float_denorm_mode_16_64 3
		.amdhsa_dx10_clamp 1
		.amdhsa_ieee_mode 1
		.amdhsa_fp16_overflow 0
		.amdhsa_tg_split 0
		.amdhsa_exception_fp_ieee_invalid_op 0
		.amdhsa_exception_fp_denorm_src 0
		.amdhsa_exception_fp_ieee_div_zero 0
		.amdhsa_exception_fp_ieee_overflow 0
		.amdhsa_exception_fp_ieee_underflow 0
		.amdhsa_exception_fp_ieee_inexact 0
		.amdhsa_exception_int_div_zero 0
	.end_amdhsa_kernel
	.section	.text._ZN7rocprim17ROCPRIM_400000_NS6detail17trampoline_kernelINS0_14default_configENS1_38merge_sort_block_merge_config_selectorIslEEZZNS1_27merge_sort_block_merge_implIS3_PsN6thrust23THRUST_200600_302600_NS10device_ptrIlEEjNS1_19radix_merge_compareILb0ELb1EsNS0_19identity_decomposerEEEEE10hipError_tT0_T1_T2_jT3_P12ihipStream_tbPNSt15iterator_traitsISG_E10value_typeEPNSM_ISH_E10value_typeEPSI_NS1_7vsmem_tEENKUlT_SG_SH_SI_E_clIS7_S7_PlSB_EESF_SV_SG_SH_SI_EUlSV_E1_NS1_11comp_targetILNS1_3genE9ELNS1_11target_archE1100ELNS1_3gpuE3ELNS1_3repE0EEENS1_36merge_oddeven_config_static_selectorELNS0_4arch9wavefront6targetE1EEEvSH_,"axG",@progbits,_ZN7rocprim17ROCPRIM_400000_NS6detail17trampoline_kernelINS0_14default_configENS1_38merge_sort_block_merge_config_selectorIslEEZZNS1_27merge_sort_block_merge_implIS3_PsN6thrust23THRUST_200600_302600_NS10device_ptrIlEEjNS1_19radix_merge_compareILb0ELb1EsNS0_19identity_decomposerEEEEE10hipError_tT0_T1_T2_jT3_P12ihipStream_tbPNSt15iterator_traitsISG_E10value_typeEPNSM_ISH_E10value_typeEPSI_NS1_7vsmem_tEENKUlT_SG_SH_SI_E_clIS7_S7_PlSB_EESF_SV_SG_SH_SI_EUlSV_E1_NS1_11comp_targetILNS1_3genE9ELNS1_11target_archE1100ELNS1_3gpuE3ELNS1_3repE0EEENS1_36merge_oddeven_config_static_selectorELNS0_4arch9wavefront6targetE1EEEvSH_,comdat
.Lfunc_end1354:
	.size	_ZN7rocprim17ROCPRIM_400000_NS6detail17trampoline_kernelINS0_14default_configENS1_38merge_sort_block_merge_config_selectorIslEEZZNS1_27merge_sort_block_merge_implIS3_PsN6thrust23THRUST_200600_302600_NS10device_ptrIlEEjNS1_19radix_merge_compareILb0ELb1EsNS0_19identity_decomposerEEEEE10hipError_tT0_T1_T2_jT3_P12ihipStream_tbPNSt15iterator_traitsISG_E10value_typeEPNSM_ISH_E10value_typeEPSI_NS1_7vsmem_tEENKUlT_SG_SH_SI_E_clIS7_S7_PlSB_EESF_SV_SG_SH_SI_EUlSV_E1_NS1_11comp_targetILNS1_3genE9ELNS1_11target_archE1100ELNS1_3gpuE3ELNS1_3repE0EEENS1_36merge_oddeven_config_static_selectorELNS0_4arch9wavefront6targetE1EEEvSH_, .Lfunc_end1354-_ZN7rocprim17ROCPRIM_400000_NS6detail17trampoline_kernelINS0_14default_configENS1_38merge_sort_block_merge_config_selectorIslEEZZNS1_27merge_sort_block_merge_implIS3_PsN6thrust23THRUST_200600_302600_NS10device_ptrIlEEjNS1_19radix_merge_compareILb0ELb1EsNS0_19identity_decomposerEEEEE10hipError_tT0_T1_T2_jT3_P12ihipStream_tbPNSt15iterator_traitsISG_E10value_typeEPNSM_ISH_E10value_typeEPSI_NS1_7vsmem_tEENKUlT_SG_SH_SI_E_clIS7_S7_PlSB_EESF_SV_SG_SH_SI_EUlSV_E1_NS1_11comp_targetILNS1_3genE9ELNS1_11target_archE1100ELNS1_3gpuE3ELNS1_3repE0EEENS1_36merge_oddeven_config_static_selectorELNS0_4arch9wavefront6targetE1EEEvSH_
                                        ; -- End function
	.section	.AMDGPU.csdata,"",@progbits
; Kernel info:
; codeLenInByte = 0
; NumSgprs: 4
; NumVgprs: 0
; NumAgprs: 0
; TotalNumVgprs: 0
; ScratchSize: 0
; MemoryBound: 0
; FloatMode: 240
; IeeeMode: 1
; LDSByteSize: 0 bytes/workgroup (compile time only)
; SGPRBlocks: 0
; VGPRBlocks: 0
; NumSGPRsForWavesPerEU: 4
; NumVGPRsForWavesPerEU: 1
; AccumOffset: 4
; Occupancy: 8
; WaveLimiterHint : 0
; COMPUTE_PGM_RSRC2:SCRATCH_EN: 0
; COMPUTE_PGM_RSRC2:USER_SGPR: 6
; COMPUTE_PGM_RSRC2:TRAP_HANDLER: 0
; COMPUTE_PGM_RSRC2:TGID_X_EN: 1
; COMPUTE_PGM_RSRC2:TGID_Y_EN: 0
; COMPUTE_PGM_RSRC2:TGID_Z_EN: 0
; COMPUTE_PGM_RSRC2:TIDIG_COMP_CNT: 0
; COMPUTE_PGM_RSRC3_GFX90A:ACCUM_OFFSET: 0
; COMPUTE_PGM_RSRC3_GFX90A:TG_SPLIT: 0
	.section	.text._ZN7rocprim17ROCPRIM_400000_NS6detail17trampoline_kernelINS0_14default_configENS1_38merge_sort_block_merge_config_selectorIslEEZZNS1_27merge_sort_block_merge_implIS3_PsN6thrust23THRUST_200600_302600_NS10device_ptrIlEEjNS1_19radix_merge_compareILb0ELb1EsNS0_19identity_decomposerEEEEE10hipError_tT0_T1_T2_jT3_P12ihipStream_tbPNSt15iterator_traitsISG_E10value_typeEPNSM_ISH_E10value_typeEPSI_NS1_7vsmem_tEENKUlT_SG_SH_SI_E_clIS7_S7_PlSB_EESF_SV_SG_SH_SI_EUlSV_E1_NS1_11comp_targetILNS1_3genE8ELNS1_11target_archE1030ELNS1_3gpuE2ELNS1_3repE0EEENS1_36merge_oddeven_config_static_selectorELNS0_4arch9wavefront6targetE1EEEvSH_,"axG",@progbits,_ZN7rocprim17ROCPRIM_400000_NS6detail17trampoline_kernelINS0_14default_configENS1_38merge_sort_block_merge_config_selectorIslEEZZNS1_27merge_sort_block_merge_implIS3_PsN6thrust23THRUST_200600_302600_NS10device_ptrIlEEjNS1_19radix_merge_compareILb0ELb1EsNS0_19identity_decomposerEEEEE10hipError_tT0_T1_T2_jT3_P12ihipStream_tbPNSt15iterator_traitsISG_E10value_typeEPNSM_ISH_E10value_typeEPSI_NS1_7vsmem_tEENKUlT_SG_SH_SI_E_clIS7_S7_PlSB_EESF_SV_SG_SH_SI_EUlSV_E1_NS1_11comp_targetILNS1_3genE8ELNS1_11target_archE1030ELNS1_3gpuE2ELNS1_3repE0EEENS1_36merge_oddeven_config_static_selectorELNS0_4arch9wavefront6targetE1EEEvSH_,comdat
	.protected	_ZN7rocprim17ROCPRIM_400000_NS6detail17trampoline_kernelINS0_14default_configENS1_38merge_sort_block_merge_config_selectorIslEEZZNS1_27merge_sort_block_merge_implIS3_PsN6thrust23THRUST_200600_302600_NS10device_ptrIlEEjNS1_19radix_merge_compareILb0ELb1EsNS0_19identity_decomposerEEEEE10hipError_tT0_T1_T2_jT3_P12ihipStream_tbPNSt15iterator_traitsISG_E10value_typeEPNSM_ISH_E10value_typeEPSI_NS1_7vsmem_tEENKUlT_SG_SH_SI_E_clIS7_S7_PlSB_EESF_SV_SG_SH_SI_EUlSV_E1_NS1_11comp_targetILNS1_3genE8ELNS1_11target_archE1030ELNS1_3gpuE2ELNS1_3repE0EEENS1_36merge_oddeven_config_static_selectorELNS0_4arch9wavefront6targetE1EEEvSH_ ; -- Begin function _ZN7rocprim17ROCPRIM_400000_NS6detail17trampoline_kernelINS0_14default_configENS1_38merge_sort_block_merge_config_selectorIslEEZZNS1_27merge_sort_block_merge_implIS3_PsN6thrust23THRUST_200600_302600_NS10device_ptrIlEEjNS1_19radix_merge_compareILb0ELb1EsNS0_19identity_decomposerEEEEE10hipError_tT0_T1_T2_jT3_P12ihipStream_tbPNSt15iterator_traitsISG_E10value_typeEPNSM_ISH_E10value_typeEPSI_NS1_7vsmem_tEENKUlT_SG_SH_SI_E_clIS7_S7_PlSB_EESF_SV_SG_SH_SI_EUlSV_E1_NS1_11comp_targetILNS1_3genE8ELNS1_11target_archE1030ELNS1_3gpuE2ELNS1_3repE0EEENS1_36merge_oddeven_config_static_selectorELNS0_4arch9wavefront6targetE1EEEvSH_
	.globl	_ZN7rocprim17ROCPRIM_400000_NS6detail17trampoline_kernelINS0_14default_configENS1_38merge_sort_block_merge_config_selectorIslEEZZNS1_27merge_sort_block_merge_implIS3_PsN6thrust23THRUST_200600_302600_NS10device_ptrIlEEjNS1_19radix_merge_compareILb0ELb1EsNS0_19identity_decomposerEEEEE10hipError_tT0_T1_T2_jT3_P12ihipStream_tbPNSt15iterator_traitsISG_E10value_typeEPNSM_ISH_E10value_typeEPSI_NS1_7vsmem_tEENKUlT_SG_SH_SI_E_clIS7_S7_PlSB_EESF_SV_SG_SH_SI_EUlSV_E1_NS1_11comp_targetILNS1_3genE8ELNS1_11target_archE1030ELNS1_3gpuE2ELNS1_3repE0EEENS1_36merge_oddeven_config_static_selectorELNS0_4arch9wavefront6targetE1EEEvSH_
	.p2align	8
	.type	_ZN7rocprim17ROCPRIM_400000_NS6detail17trampoline_kernelINS0_14default_configENS1_38merge_sort_block_merge_config_selectorIslEEZZNS1_27merge_sort_block_merge_implIS3_PsN6thrust23THRUST_200600_302600_NS10device_ptrIlEEjNS1_19radix_merge_compareILb0ELb1EsNS0_19identity_decomposerEEEEE10hipError_tT0_T1_T2_jT3_P12ihipStream_tbPNSt15iterator_traitsISG_E10value_typeEPNSM_ISH_E10value_typeEPSI_NS1_7vsmem_tEENKUlT_SG_SH_SI_E_clIS7_S7_PlSB_EESF_SV_SG_SH_SI_EUlSV_E1_NS1_11comp_targetILNS1_3genE8ELNS1_11target_archE1030ELNS1_3gpuE2ELNS1_3repE0EEENS1_36merge_oddeven_config_static_selectorELNS0_4arch9wavefront6targetE1EEEvSH_,@function
_ZN7rocprim17ROCPRIM_400000_NS6detail17trampoline_kernelINS0_14default_configENS1_38merge_sort_block_merge_config_selectorIslEEZZNS1_27merge_sort_block_merge_implIS3_PsN6thrust23THRUST_200600_302600_NS10device_ptrIlEEjNS1_19radix_merge_compareILb0ELb1EsNS0_19identity_decomposerEEEEE10hipError_tT0_T1_T2_jT3_P12ihipStream_tbPNSt15iterator_traitsISG_E10value_typeEPNSM_ISH_E10value_typeEPSI_NS1_7vsmem_tEENKUlT_SG_SH_SI_E_clIS7_S7_PlSB_EESF_SV_SG_SH_SI_EUlSV_E1_NS1_11comp_targetILNS1_3genE8ELNS1_11target_archE1030ELNS1_3gpuE2ELNS1_3repE0EEENS1_36merge_oddeven_config_static_selectorELNS0_4arch9wavefront6targetE1EEEvSH_: ; @_ZN7rocprim17ROCPRIM_400000_NS6detail17trampoline_kernelINS0_14default_configENS1_38merge_sort_block_merge_config_selectorIslEEZZNS1_27merge_sort_block_merge_implIS3_PsN6thrust23THRUST_200600_302600_NS10device_ptrIlEEjNS1_19radix_merge_compareILb0ELb1EsNS0_19identity_decomposerEEEEE10hipError_tT0_T1_T2_jT3_P12ihipStream_tbPNSt15iterator_traitsISG_E10value_typeEPNSM_ISH_E10value_typeEPSI_NS1_7vsmem_tEENKUlT_SG_SH_SI_E_clIS7_S7_PlSB_EESF_SV_SG_SH_SI_EUlSV_E1_NS1_11comp_targetILNS1_3genE8ELNS1_11target_archE1030ELNS1_3gpuE2ELNS1_3repE0EEENS1_36merge_oddeven_config_static_selectorELNS0_4arch9wavefront6targetE1EEEvSH_
; %bb.0:
	.section	.rodata,"a",@progbits
	.p2align	6, 0x0
	.amdhsa_kernel _ZN7rocprim17ROCPRIM_400000_NS6detail17trampoline_kernelINS0_14default_configENS1_38merge_sort_block_merge_config_selectorIslEEZZNS1_27merge_sort_block_merge_implIS3_PsN6thrust23THRUST_200600_302600_NS10device_ptrIlEEjNS1_19radix_merge_compareILb0ELb1EsNS0_19identity_decomposerEEEEE10hipError_tT0_T1_T2_jT3_P12ihipStream_tbPNSt15iterator_traitsISG_E10value_typeEPNSM_ISH_E10value_typeEPSI_NS1_7vsmem_tEENKUlT_SG_SH_SI_E_clIS7_S7_PlSB_EESF_SV_SG_SH_SI_EUlSV_E1_NS1_11comp_targetILNS1_3genE8ELNS1_11target_archE1030ELNS1_3gpuE2ELNS1_3repE0EEENS1_36merge_oddeven_config_static_selectorELNS0_4arch9wavefront6targetE1EEEvSH_
		.amdhsa_group_segment_fixed_size 0
		.amdhsa_private_segment_fixed_size 0
		.amdhsa_kernarg_size 48
		.amdhsa_user_sgpr_count 6
		.amdhsa_user_sgpr_private_segment_buffer 1
		.amdhsa_user_sgpr_dispatch_ptr 0
		.amdhsa_user_sgpr_queue_ptr 0
		.amdhsa_user_sgpr_kernarg_segment_ptr 1
		.amdhsa_user_sgpr_dispatch_id 0
		.amdhsa_user_sgpr_flat_scratch_init 0
		.amdhsa_user_sgpr_kernarg_preload_length 0
		.amdhsa_user_sgpr_kernarg_preload_offset 0
		.amdhsa_user_sgpr_private_segment_size 0
		.amdhsa_uses_dynamic_stack 0
		.amdhsa_system_sgpr_private_segment_wavefront_offset 0
		.amdhsa_system_sgpr_workgroup_id_x 1
		.amdhsa_system_sgpr_workgroup_id_y 0
		.amdhsa_system_sgpr_workgroup_id_z 0
		.amdhsa_system_sgpr_workgroup_info 0
		.amdhsa_system_vgpr_workitem_id 0
		.amdhsa_next_free_vgpr 1
		.amdhsa_next_free_sgpr 0
		.amdhsa_accum_offset 4
		.amdhsa_reserve_vcc 0
		.amdhsa_reserve_flat_scratch 0
		.amdhsa_float_round_mode_32 0
		.amdhsa_float_round_mode_16_64 0
		.amdhsa_float_denorm_mode_32 3
		.amdhsa_float_denorm_mode_16_64 3
		.amdhsa_dx10_clamp 1
		.amdhsa_ieee_mode 1
		.amdhsa_fp16_overflow 0
		.amdhsa_tg_split 0
		.amdhsa_exception_fp_ieee_invalid_op 0
		.amdhsa_exception_fp_denorm_src 0
		.amdhsa_exception_fp_ieee_div_zero 0
		.amdhsa_exception_fp_ieee_overflow 0
		.amdhsa_exception_fp_ieee_underflow 0
		.amdhsa_exception_fp_ieee_inexact 0
		.amdhsa_exception_int_div_zero 0
	.end_amdhsa_kernel
	.section	.text._ZN7rocprim17ROCPRIM_400000_NS6detail17trampoline_kernelINS0_14default_configENS1_38merge_sort_block_merge_config_selectorIslEEZZNS1_27merge_sort_block_merge_implIS3_PsN6thrust23THRUST_200600_302600_NS10device_ptrIlEEjNS1_19radix_merge_compareILb0ELb1EsNS0_19identity_decomposerEEEEE10hipError_tT0_T1_T2_jT3_P12ihipStream_tbPNSt15iterator_traitsISG_E10value_typeEPNSM_ISH_E10value_typeEPSI_NS1_7vsmem_tEENKUlT_SG_SH_SI_E_clIS7_S7_PlSB_EESF_SV_SG_SH_SI_EUlSV_E1_NS1_11comp_targetILNS1_3genE8ELNS1_11target_archE1030ELNS1_3gpuE2ELNS1_3repE0EEENS1_36merge_oddeven_config_static_selectorELNS0_4arch9wavefront6targetE1EEEvSH_,"axG",@progbits,_ZN7rocprim17ROCPRIM_400000_NS6detail17trampoline_kernelINS0_14default_configENS1_38merge_sort_block_merge_config_selectorIslEEZZNS1_27merge_sort_block_merge_implIS3_PsN6thrust23THRUST_200600_302600_NS10device_ptrIlEEjNS1_19radix_merge_compareILb0ELb1EsNS0_19identity_decomposerEEEEE10hipError_tT0_T1_T2_jT3_P12ihipStream_tbPNSt15iterator_traitsISG_E10value_typeEPNSM_ISH_E10value_typeEPSI_NS1_7vsmem_tEENKUlT_SG_SH_SI_E_clIS7_S7_PlSB_EESF_SV_SG_SH_SI_EUlSV_E1_NS1_11comp_targetILNS1_3genE8ELNS1_11target_archE1030ELNS1_3gpuE2ELNS1_3repE0EEENS1_36merge_oddeven_config_static_selectorELNS0_4arch9wavefront6targetE1EEEvSH_,comdat
.Lfunc_end1355:
	.size	_ZN7rocprim17ROCPRIM_400000_NS6detail17trampoline_kernelINS0_14default_configENS1_38merge_sort_block_merge_config_selectorIslEEZZNS1_27merge_sort_block_merge_implIS3_PsN6thrust23THRUST_200600_302600_NS10device_ptrIlEEjNS1_19radix_merge_compareILb0ELb1EsNS0_19identity_decomposerEEEEE10hipError_tT0_T1_T2_jT3_P12ihipStream_tbPNSt15iterator_traitsISG_E10value_typeEPNSM_ISH_E10value_typeEPSI_NS1_7vsmem_tEENKUlT_SG_SH_SI_E_clIS7_S7_PlSB_EESF_SV_SG_SH_SI_EUlSV_E1_NS1_11comp_targetILNS1_3genE8ELNS1_11target_archE1030ELNS1_3gpuE2ELNS1_3repE0EEENS1_36merge_oddeven_config_static_selectorELNS0_4arch9wavefront6targetE1EEEvSH_, .Lfunc_end1355-_ZN7rocprim17ROCPRIM_400000_NS6detail17trampoline_kernelINS0_14default_configENS1_38merge_sort_block_merge_config_selectorIslEEZZNS1_27merge_sort_block_merge_implIS3_PsN6thrust23THRUST_200600_302600_NS10device_ptrIlEEjNS1_19radix_merge_compareILb0ELb1EsNS0_19identity_decomposerEEEEE10hipError_tT0_T1_T2_jT3_P12ihipStream_tbPNSt15iterator_traitsISG_E10value_typeEPNSM_ISH_E10value_typeEPSI_NS1_7vsmem_tEENKUlT_SG_SH_SI_E_clIS7_S7_PlSB_EESF_SV_SG_SH_SI_EUlSV_E1_NS1_11comp_targetILNS1_3genE8ELNS1_11target_archE1030ELNS1_3gpuE2ELNS1_3repE0EEENS1_36merge_oddeven_config_static_selectorELNS0_4arch9wavefront6targetE1EEEvSH_
                                        ; -- End function
	.section	.AMDGPU.csdata,"",@progbits
; Kernel info:
; codeLenInByte = 0
; NumSgprs: 4
; NumVgprs: 0
; NumAgprs: 0
; TotalNumVgprs: 0
; ScratchSize: 0
; MemoryBound: 0
; FloatMode: 240
; IeeeMode: 1
; LDSByteSize: 0 bytes/workgroup (compile time only)
; SGPRBlocks: 0
; VGPRBlocks: 0
; NumSGPRsForWavesPerEU: 4
; NumVGPRsForWavesPerEU: 1
; AccumOffset: 4
; Occupancy: 8
; WaveLimiterHint : 0
; COMPUTE_PGM_RSRC2:SCRATCH_EN: 0
; COMPUTE_PGM_RSRC2:USER_SGPR: 6
; COMPUTE_PGM_RSRC2:TRAP_HANDLER: 0
; COMPUTE_PGM_RSRC2:TGID_X_EN: 1
; COMPUTE_PGM_RSRC2:TGID_Y_EN: 0
; COMPUTE_PGM_RSRC2:TGID_Z_EN: 0
; COMPUTE_PGM_RSRC2:TIDIG_COMP_CNT: 0
; COMPUTE_PGM_RSRC3_GFX90A:ACCUM_OFFSET: 0
; COMPUTE_PGM_RSRC3_GFX90A:TG_SPLIT: 0
	.section	.text._ZN7rocprim17ROCPRIM_400000_NS6detail17trampoline_kernelINS0_14default_configENS1_38merge_sort_block_merge_config_selectorIslEEZZNS1_27merge_sort_block_merge_implIS3_PsN6thrust23THRUST_200600_302600_NS10device_ptrIlEEjNS1_19radix_merge_compareILb0ELb1EsNS0_19identity_decomposerEEEEE10hipError_tT0_T1_T2_jT3_P12ihipStream_tbPNSt15iterator_traitsISG_E10value_typeEPNSM_ISH_E10value_typeEPSI_NS1_7vsmem_tEENKUlT_SG_SH_SI_E_clIS7_S7_SB_PlEESF_SV_SG_SH_SI_EUlSV_E_NS1_11comp_targetILNS1_3genE0ELNS1_11target_archE4294967295ELNS1_3gpuE0ELNS1_3repE0EEENS1_48merge_mergepath_partition_config_static_selectorELNS0_4arch9wavefront6targetE1EEEvSH_,"axG",@progbits,_ZN7rocprim17ROCPRIM_400000_NS6detail17trampoline_kernelINS0_14default_configENS1_38merge_sort_block_merge_config_selectorIslEEZZNS1_27merge_sort_block_merge_implIS3_PsN6thrust23THRUST_200600_302600_NS10device_ptrIlEEjNS1_19radix_merge_compareILb0ELb1EsNS0_19identity_decomposerEEEEE10hipError_tT0_T1_T2_jT3_P12ihipStream_tbPNSt15iterator_traitsISG_E10value_typeEPNSM_ISH_E10value_typeEPSI_NS1_7vsmem_tEENKUlT_SG_SH_SI_E_clIS7_S7_SB_PlEESF_SV_SG_SH_SI_EUlSV_E_NS1_11comp_targetILNS1_3genE0ELNS1_11target_archE4294967295ELNS1_3gpuE0ELNS1_3repE0EEENS1_48merge_mergepath_partition_config_static_selectorELNS0_4arch9wavefront6targetE1EEEvSH_,comdat
	.protected	_ZN7rocprim17ROCPRIM_400000_NS6detail17trampoline_kernelINS0_14default_configENS1_38merge_sort_block_merge_config_selectorIslEEZZNS1_27merge_sort_block_merge_implIS3_PsN6thrust23THRUST_200600_302600_NS10device_ptrIlEEjNS1_19radix_merge_compareILb0ELb1EsNS0_19identity_decomposerEEEEE10hipError_tT0_T1_T2_jT3_P12ihipStream_tbPNSt15iterator_traitsISG_E10value_typeEPNSM_ISH_E10value_typeEPSI_NS1_7vsmem_tEENKUlT_SG_SH_SI_E_clIS7_S7_SB_PlEESF_SV_SG_SH_SI_EUlSV_E_NS1_11comp_targetILNS1_3genE0ELNS1_11target_archE4294967295ELNS1_3gpuE0ELNS1_3repE0EEENS1_48merge_mergepath_partition_config_static_selectorELNS0_4arch9wavefront6targetE1EEEvSH_ ; -- Begin function _ZN7rocprim17ROCPRIM_400000_NS6detail17trampoline_kernelINS0_14default_configENS1_38merge_sort_block_merge_config_selectorIslEEZZNS1_27merge_sort_block_merge_implIS3_PsN6thrust23THRUST_200600_302600_NS10device_ptrIlEEjNS1_19radix_merge_compareILb0ELb1EsNS0_19identity_decomposerEEEEE10hipError_tT0_T1_T2_jT3_P12ihipStream_tbPNSt15iterator_traitsISG_E10value_typeEPNSM_ISH_E10value_typeEPSI_NS1_7vsmem_tEENKUlT_SG_SH_SI_E_clIS7_S7_SB_PlEESF_SV_SG_SH_SI_EUlSV_E_NS1_11comp_targetILNS1_3genE0ELNS1_11target_archE4294967295ELNS1_3gpuE0ELNS1_3repE0EEENS1_48merge_mergepath_partition_config_static_selectorELNS0_4arch9wavefront6targetE1EEEvSH_
	.globl	_ZN7rocprim17ROCPRIM_400000_NS6detail17trampoline_kernelINS0_14default_configENS1_38merge_sort_block_merge_config_selectorIslEEZZNS1_27merge_sort_block_merge_implIS3_PsN6thrust23THRUST_200600_302600_NS10device_ptrIlEEjNS1_19radix_merge_compareILb0ELb1EsNS0_19identity_decomposerEEEEE10hipError_tT0_T1_T2_jT3_P12ihipStream_tbPNSt15iterator_traitsISG_E10value_typeEPNSM_ISH_E10value_typeEPSI_NS1_7vsmem_tEENKUlT_SG_SH_SI_E_clIS7_S7_SB_PlEESF_SV_SG_SH_SI_EUlSV_E_NS1_11comp_targetILNS1_3genE0ELNS1_11target_archE4294967295ELNS1_3gpuE0ELNS1_3repE0EEENS1_48merge_mergepath_partition_config_static_selectorELNS0_4arch9wavefront6targetE1EEEvSH_
	.p2align	8
	.type	_ZN7rocprim17ROCPRIM_400000_NS6detail17trampoline_kernelINS0_14default_configENS1_38merge_sort_block_merge_config_selectorIslEEZZNS1_27merge_sort_block_merge_implIS3_PsN6thrust23THRUST_200600_302600_NS10device_ptrIlEEjNS1_19radix_merge_compareILb0ELb1EsNS0_19identity_decomposerEEEEE10hipError_tT0_T1_T2_jT3_P12ihipStream_tbPNSt15iterator_traitsISG_E10value_typeEPNSM_ISH_E10value_typeEPSI_NS1_7vsmem_tEENKUlT_SG_SH_SI_E_clIS7_S7_SB_PlEESF_SV_SG_SH_SI_EUlSV_E_NS1_11comp_targetILNS1_3genE0ELNS1_11target_archE4294967295ELNS1_3gpuE0ELNS1_3repE0EEENS1_48merge_mergepath_partition_config_static_selectorELNS0_4arch9wavefront6targetE1EEEvSH_,@function
_ZN7rocprim17ROCPRIM_400000_NS6detail17trampoline_kernelINS0_14default_configENS1_38merge_sort_block_merge_config_selectorIslEEZZNS1_27merge_sort_block_merge_implIS3_PsN6thrust23THRUST_200600_302600_NS10device_ptrIlEEjNS1_19radix_merge_compareILb0ELb1EsNS0_19identity_decomposerEEEEE10hipError_tT0_T1_T2_jT3_P12ihipStream_tbPNSt15iterator_traitsISG_E10value_typeEPNSM_ISH_E10value_typeEPSI_NS1_7vsmem_tEENKUlT_SG_SH_SI_E_clIS7_S7_SB_PlEESF_SV_SG_SH_SI_EUlSV_E_NS1_11comp_targetILNS1_3genE0ELNS1_11target_archE4294967295ELNS1_3gpuE0ELNS1_3repE0EEENS1_48merge_mergepath_partition_config_static_selectorELNS0_4arch9wavefront6targetE1EEEvSH_: ; @_ZN7rocprim17ROCPRIM_400000_NS6detail17trampoline_kernelINS0_14default_configENS1_38merge_sort_block_merge_config_selectorIslEEZZNS1_27merge_sort_block_merge_implIS3_PsN6thrust23THRUST_200600_302600_NS10device_ptrIlEEjNS1_19radix_merge_compareILb0ELb1EsNS0_19identity_decomposerEEEEE10hipError_tT0_T1_T2_jT3_P12ihipStream_tbPNSt15iterator_traitsISG_E10value_typeEPNSM_ISH_E10value_typeEPSI_NS1_7vsmem_tEENKUlT_SG_SH_SI_E_clIS7_S7_SB_PlEESF_SV_SG_SH_SI_EUlSV_E_NS1_11comp_targetILNS1_3genE0ELNS1_11target_archE4294967295ELNS1_3gpuE0ELNS1_3repE0EEENS1_48merge_mergepath_partition_config_static_selectorELNS0_4arch9wavefront6targetE1EEEvSH_
; %bb.0:
	.section	.rodata,"a",@progbits
	.p2align	6, 0x0
	.amdhsa_kernel _ZN7rocprim17ROCPRIM_400000_NS6detail17trampoline_kernelINS0_14default_configENS1_38merge_sort_block_merge_config_selectorIslEEZZNS1_27merge_sort_block_merge_implIS3_PsN6thrust23THRUST_200600_302600_NS10device_ptrIlEEjNS1_19radix_merge_compareILb0ELb1EsNS0_19identity_decomposerEEEEE10hipError_tT0_T1_T2_jT3_P12ihipStream_tbPNSt15iterator_traitsISG_E10value_typeEPNSM_ISH_E10value_typeEPSI_NS1_7vsmem_tEENKUlT_SG_SH_SI_E_clIS7_S7_SB_PlEESF_SV_SG_SH_SI_EUlSV_E_NS1_11comp_targetILNS1_3genE0ELNS1_11target_archE4294967295ELNS1_3gpuE0ELNS1_3repE0EEENS1_48merge_mergepath_partition_config_static_selectorELNS0_4arch9wavefront6targetE1EEEvSH_
		.amdhsa_group_segment_fixed_size 0
		.amdhsa_private_segment_fixed_size 0
		.amdhsa_kernarg_size 40
		.amdhsa_user_sgpr_count 6
		.amdhsa_user_sgpr_private_segment_buffer 1
		.amdhsa_user_sgpr_dispatch_ptr 0
		.amdhsa_user_sgpr_queue_ptr 0
		.amdhsa_user_sgpr_kernarg_segment_ptr 1
		.amdhsa_user_sgpr_dispatch_id 0
		.amdhsa_user_sgpr_flat_scratch_init 0
		.amdhsa_user_sgpr_kernarg_preload_length 0
		.amdhsa_user_sgpr_kernarg_preload_offset 0
		.amdhsa_user_sgpr_private_segment_size 0
		.amdhsa_uses_dynamic_stack 0
		.amdhsa_system_sgpr_private_segment_wavefront_offset 0
		.amdhsa_system_sgpr_workgroup_id_x 1
		.amdhsa_system_sgpr_workgroup_id_y 0
		.amdhsa_system_sgpr_workgroup_id_z 0
		.amdhsa_system_sgpr_workgroup_info 0
		.amdhsa_system_vgpr_workitem_id 0
		.amdhsa_next_free_vgpr 1
		.amdhsa_next_free_sgpr 0
		.amdhsa_accum_offset 4
		.amdhsa_reserve_vcc 0
		.amdhsa_reserve_flat_scratch 0
		.amdhsa_float_round_mode_32 0
		.amdhsa_float_round_mode_16_64 0
		.amdhsa_float_denorm_mode_32 3
		.amdhsa_float_denorm_mode_16_64 3
		.amdhsa_dx10_clamp 1
		.amdhsa_ieee_mode 1
		.amdhsa_fp16_overflow 0
		.amdhsa_tg_split 0
		.amdhsa_exception_fp_ieee_invalid_op 0
		.amdhsa_exception_fp_denorm_src 0
		.amdhsa_exception_fp_ieee_div_zero 0
		.amdhsa_exception_fp_ieee_overflow 0
		.amdhsa_exception_fp_ieee_underflow 0
		.amdhsa_exception_fp_ieee_inexact 0
		.amdhsa_exception_int_div_zero 0
	.end_amdhsa_kernel
	.section	.text._ZN7rocprim17ROCPRIM_400000_NS6detail17trampoline_kernelINS0_14default_configENS1_38merge_sort_block_merge_config_selectorIslEEZZNS1_27merge_sort_block_merge_implIS3_PsN6thrust23THRUST_200600_302600_NS10device_ptrIlEEjNS1_19radix_merge_compareILb0ELb1EsNS0_19identity_decomposerEEEEE10hipError_tT0_T1_T2_jT3_P12ihipStream_tbPNSt15iterator_traitsISG_E10value_typeEPNSM_ISH_E10value_typeEPSI_NS1_7vsmem_tEENKUlT_SG_SH_SI_E_clIS7_S7_SB_PlEESF_SV_SG_SH_SI_EUlSV_E_NS1_11comp_targetILNS1_3genE0ELNS1_11target_archE4294967295ELNS1_3gpuE0ELNS1_3repE0EEENS1_48merge_mergepath_partition_config_static_selectorELNS0_4arch9wavefront6targetE1EEEvSH_,"axG",@progbits,_ZN7rocprim17ROCPRIM_400000_NS6detail17trampoline_kernelINS0_14default_configENS1_38merge_sort_block_merge_config_selectorIslEEZZNS1_27merge_sort_block_merge_implIS3_PsN6thrust23THRUST_200600_302600_NS10device_ptrIlEEjNS1_19radix_merge_compareILb0ELb1EsNS0_19identity_decomposerEEEEE10hipError_tT0_T1_T2_jT3_P12ihipStream_tbPNSt15iterator_traitsISG_E10value_typeEPNSM_ISH_E10value_typeEPSI_NS1_7vsmem_tEENKUlT_SG_SH_SI_E_clIS7_S7_SB_PlEESF_SV_SG_SH_SI_EUlSV_E_NS1_11comp_targetILNS1_3genE0ELNS1_11target_archE4294967295ELNS1_3gpuE0ELNS1_3repE0EEENS1_48merge_mergepath_partition_config_static_selectorELNS0_4arch9wavefront6targetE1EEEvSH_,comdat
.Lfunc_end1356:
	.size	_ZN7rocprim17ROCPRIM_400000_NS6detail17trampoline_kernelINS0_14default_configENS1_38merge_sort_block_merge_config_selectorIslEEZZNS1_27merge_sort_block_merge_implIS3_PsN6thrust23THRUST_200600_302600_NS10device_ptrIlEEjNS1_19radix_merge_compareILb0ELb1EsNS0_19identity_decomposerEEEEE10hipError_tT0_T1_T2_jT3_P12ihipStream_tbPNSt15iterator_traitsISG_E10value_typeEPNSM_ISH_E10value_typeEPSI_NS1_7vsmem_tEENKUlT_SG_SH_SI_E_clIS7_S7_SB_PlEESF_SV_SG_SH_SI_EUlSV_E_NS1_11comp_targetILNS1_3genE0ELNS1_11target_archE4294967295ELNS1_3gpuE0ELNS1_3repE0EEENS1_48merge_mergepath_partition_config_static_selectorELNS0_4arch9wavefront6targetE1EEEvSH_, .Lfunc_end1356-_ZN7rocprim17ROCPRIM_400000_NS6detail17trampoline_kernelINS0_14default_configENS1_38merge_sort_block_merge_config_selectorIslEEZZNS1_27merge_sort_block_merge_implIS3_PsN6thrust23THRUST_200600_302600_NS10device_ptrIlEEjNS1_19radix_merge_compareILb0ELb1EsNS0_19identity_decomposerEEEEE10hipError_tT0_T1_T2_jT3_P12ihipStream_tbPNSt15iterator_traitsISG_E10value_typeEPNSM_ISH_E10value_typeEPSI_NS1_7vsmem_tEENKUlT_SG_SH_SI_E_clIS7_S7_SB_PlEESF_SV_SG_SH_SI_EUlSV_E_NS1_11comp_targetILNS1_3genE0ELNS1_11target_archE4294967295ELNS1_3gpuE0ELNS1_3repE0EEENS1_48merge_mergepath_partition_config_static_selectorELNS0_4arch9wavefront6targetE1EEEvSH_
                                        ; -- End function
	.section	.AMDGPU.csdata,"",@progbits
; Kernel info:
; codeLenInByte = 0
; NumSgprs: 4
; NumVgprs: 0
; NumAgprs: 0
; TotalNumVgprs: 0
; ScratchSize: 0
; MemoryBound: 0
; FloatMode: 240
; IeeeMode: 1
; LDSByteSize: 0 bytes/workgroup (compile time only)
; SGPRBlocks: 0
; VGPRBlocks: 0
; NumSGPRsForWavesPerEU: 4
; NumVGPRsForWavesPerEU: 1
; AccumOffset: 4
; Occupancy: 8
; WaveLimiterHint : 0
; COMPUTE_PGM_RSRC2:SCRATCH_EN: 0
; COMPUTE_PGM_RSRC2:USER_SGPR: 6
; COMPUTE_PGM_RSRC2:TRAP_HANDLER: 0
; COMPUTE_PGM_RSRC2:TGID_X_EN: 1
; COMPUTE_PGM_RSRC2:TGID_Y_EN: 0
; COMPUTE_PGM_RSRC2:TGID_Z_EN: 0
; COMPUTE_PGM_RSRC2:TIDIG_COMP_CNT: 0
; COMPUTE_PGM_RSRC3_GFX90A:ACCUM_OFFSET: 0
; COMPUTE_PGM_RSRC3_GFX90A:TG_SPLIT: 0
	.section	.text._ZN7rocprim17ROCPRIM_400000_NS6detail17trampoline_kernelINS0_14default_configENS1_38merge_sort_block_merge_config_selectorIslEEZZNS1_27merge_sort_block_merge_implIS3_PsN6thrust23THRUST_200600_302600_NS10device_ptrIlEEjNS1_19radix_merge_compareILb0ELb1EsNS0_19identity_decomposerEEEEE10hipError_tT0_T1_T2_jT3_P12ihipStream_tbPNSt15iterator_traitsISG_E10value_typeEPNSM_ISH_E10value_typeEPSI_NS1_7vsmem_tEENKUlT_SG_SH_SI_E_clIS7_S7_SB_PlEESF_SV_SG_SH_SI_EUlSV_E_NS1_11comp_targetILNS1_3genE10ELNS1_11target_archE1201ELNS1_3gpuE5ELNS1_3repE0EEENS1_48merge_mergepath_partition_config_static_selectorELNS0_4arch9wavefront6targetE1EEEvSH_,"axG",@progbits,_ZN7rocprim17ROCPRIM_400000_NS6detail17trampoline_kernelINS0_14default_configENS1_38merge_sort_block_merge_config_selectorIslEEZZNS1_27merge_sort_block_merge_implIS3_PsN6thrust23THRUST_200600_302600_NS10device_ptrIlEEjNS1_19radix_merge_compareILb0ELb1EsNS0_19identity_decomposerEEEEE10hipError_tT0_T1_T2_jT3_P12ihipStream_tbPNSt15iterator_traitsISG_E10value_typeEPNSM_ISH_E10value_typeEPSI_NS1_7vsmem_tEENKUlT_SG_SH_SI_E_clIS7_S7_SB_PlEESF_SV_SG_SH_SI_EUlSV_E_NS1_11comp_targetILNS1_3genE10ELNS1_11target_archE1201ELNS1_3gpuE5ELNS1_3repE0EEENS1_48merge_mergepath_partition_config_static_selectorELNS0_4arch9wavefront6targetE1EEEvSH_,comdat
	.protected	_ZN7rocprim17ROCPRIM_400000_NS6detail17trampoline_kernelINS0_14default_configENS1_38merge_sort_block_merge_config_selectorIslEEZZNS1_27merge_sort_block_merge_implIS3_PsN6thrust23THRUST_200600_302600_NS10device_ptrIlEEjNS1_19radix_merge_compareILb0ELb1EsNS0_19identity_decomposerEEEEE10hipError_tT0_T1_T2_jT3_P12ihipStream_tbPNSt15iterator_traitsISG_E10value_typeEPNSM_ISH_E10value_typeEPSI_NS1_7vsmem_tEENKUlT_SG_SH_SI_E_clIS7_S7_SB_PlEESF_SV_SG_SH_SI_EUlSV_E_NS1_11comp_targetILNS1_3genE10ELNS1_11target_archE1201ELNS1_3gpuE5ELNS1_3repE0EEENS1_48merge_mergepath_partition_config_static_selectorELNS0_4arch9wavefront6targetE1EEEvSH_ ; -- Begin function _ZN7rocprim17ROCPRIM_400000_NS6detail17trampoline_kernelINS0_14default_configENS1_38merge_sort_block_merge_config_selectorIslEEZZNS1_27merge_sort_block_merge_implIS3_PsN6thrust23THRUST_200600_302600_NS10device_ptrIlEEjNS1_19radix_merge_compareILb0ELb1EsNS0_19identity_decomposerEEEEE10hipError_tT0_T1_T2_jT3_P12ihipStream_tbPNSt15iterator_traitsISG_E10value_typeEPNSM_ISH_E10value_typeEPSI_NS1_7vsmem_tEENKUlT_SG_SH_SI_E_clIS7_S7_SB_PlEESF_SV_SG_SH_SI_EUlSV_E_NS1_11comp_targetILNS1_3genE10ELNS1_11target_archE1201ELNS1_3gpuE5ELNS1_3repE0EEENS1_48merge_mergepath_partition_config_static_selectorELNS0_4arch9wavefront6targetE1EEEvSH_
	.globl	_ZN7rocprim17ROCPRIM_400000_NS6detail17trampoline_kernelINS0_14default_configENS1_38merge_sort_block_merge_config_selectorIslEEZZNS1_27merge_sort_block_merge_implIS3_PsN6thrust23THRUST_200600_302600_NS10device_ptrIlEEjNS1_19radix_merge_compareILb0ELb1EsNS0_19identity_decomposerEEEEE10hipError_tT0_T1_T2_jT3_P12ihipStream_tbPNSt15iterator_traitsISG_E10value_typeEPNSM_ISH_E10value_typeEPSI_NS1_7vsmem_tEENKUlT_SG_SH_SI_E_clIS7_S7_SB_PlEESF_SV_SG_SH_SI_EUlSV_E_NS1_11comp_targetILNS1_3genE10ELNS1_11target_archE1201ELNS1_3gpuE5ELNS1_3repE0EEENS1_48merge_mergepath_partition_config_static_selectorELNS0_4arch9wavefront6targetE1EEEvSH_
	.p2align	8
	.type	_ZN7rocprim17ROCPRIM_400000_NS6detail17trampoline_kernelINS0_14default_configENS1_38merge_sort_block_merge_config_selectorIslEEZZNS1_27merge_sort_block_merge_implIS3_PsN6thrust23THRUST_200600_302600_NS10device_ptrIlEEjNS1_19radix_merge_compareILb0ELb1EsNS0_19identity_decomposerEEEEE10hipError_tT0_T1_T2_jT3_P12ihipStream_tbPNSt15iterator_traitsISG_E10value_typeEPNSM_ISH_E10value_typeEPSI_NS1_7vsmem_tEENKUlT_SG_SH_SI_E_clIS7_S7_SB_PlEESF_SV_SG_SH_SI_EUlSV_E_NS1_11comp_targetILNS1_3genE10ELNS1_11target_archE1201ELNS1_3gpuE5ELNS1_3repE0EEENS1_48merge_mergepath_partition_config_static_selectorELNS0_4arch9wavefront6targetE1EEEvSH_,@function
_ZN7rocprim17ROCPRIM_400000_NS6detail17trampoline_kernelINS0_14default_configENS1_38merge_sort_block_merge_config_selectorIslEEZZNS1_27merge_sort_block_merge_implIS3_PsN6thrust23THRUST_200600_302600_NS10device_ptrIlEEjNS1_19radix_merge_compareILb0ELb1EsNS0_19identity_decomposerEEEEE10hipError_tT0_T1_T2_jT3_P12ihipStream_tbPNSt15iterator_traitsISG_E10value_typeEPNSM_ISH_E10value_typeEPSI_NS1_7vsmem_tEENKUlT_SG_SH_SI_E_clIS7_S7_SB_PlEESF_SV_SG_SH_SI_EUlSV_E_NS1_11comp_targetILNS1_3genE10ELNS1_11target_archE1201ELNS1_3gpuE5ELNS1_3repE0EEENS1_48merge_mergepath_partition_config_static_selectorELNS0_4arch9wavefront6targetE1EEEvSH_: ; @_ZN7rocprim17ROCPRIM_400000_NS6detail17trampoline_kernelINS0_14default_configENS1_38merge_sort_block_merge_config_selectorIslEEZZNS1_27merge_sort_block_merge_implIS3_PsN6thrust23THRUST_200600_302600_NS10device_ptrIlEEjNS1_19radix_merge_compareILb0ELb1EsNS0_19identity_decomposerEEEEE10hipError_tT0_T1_T2_jT3_P12ihipStream_tbPNSt15iterator_traitsISG_E10value_typeEPNSM_ISH_E10value_typeEPSI_NS1_7vsmem_tEENKUlT_SG_SH_SI_E_clIS7_S7_SB_PlEESF_SV_SG_SH_SI_EUlSV_E_NS1_11comp_targetILNS1_3genE10ELNS1_11target_archE1201ELNS1_3gpuE5ELNS1_3repE0EEENS1_48merge_mergepath_partition_config_static_selectorELNS0_4arch9wavefront6targetE1EEEvSH_
; %bb.0:
	.section	.rodata,"a",@progbits
	.p2align	6, 0x0
	.amdhsa_kernel _ZN7rocprim17ROCPRIM_400000_NS6detail17trampoline_kernelINS0_14default_configENS1_38merge_sort_block_merge_config_selectorIslEEZZNS1_27merge_sort_block_merge_implIS3_PsN6thrust23THRUST_200600_302600_NS10device_ptrIlEEjNS1_19radix_merge_compareILb0ELb1EsNS0_19identity_decomposerEEEEE10hipError_tT0_T1_T2_jT3_P12ihipStream_tbPNSt15iterator_traitsISG_E10value_typeEPNSM_ISH_E10value_typeEPSI_NS1_7vsmem_tEENKUlT_SG_SH_SI_E_clIS7_S7_SB_PlEESF_SV_SG_SH_SI_EUlSV_E_NS1_11comp_targetILNS1_3genE10ELNS1_11target_archE1201ELNS1_3gpuE5ELNS1_3repE0EEENS1_48merge_mergepath_partition_config_static_selectorELNS0_4arch9wavefront6targetE1EEEvSH_
		.amdhsa_group_segment_fixed_size 0
		.amdhsa_private_segment_fixed_size 0
		.amdhsa_kernarg_size 40
		.amdhsa_user_sgpr_count 6
		.amdhsa_user_sgpr_private_segment_buffer 1
		.amdhsa_user_sgpr_dispatch_ptr 0
		.amdhsa_user_sgpr_queue_ptr 0
		.amdhsa_user_sgpr_kernarg_segment_ptr 1
		.amdhsa_user_sgpr_dispatch_id 0
		.amdhsa_user_sgpr_flat_scratch_init 0
		.amdhsa_user_sgpr_kernarg_preload_length 0
		.amdhsa_user_sgpr_kernarg_preload_offset 0
		.amdhsa_user_sgpr_private_segment_size 0
		.amdhsa_uses_dynamic_stack 0
		.amdhsa_system_sgpr_private_segment_wavefront_offset 0
		.amdhsa_system_sgpr_workgroup_id_x 1
		.amdhsa_system_sgpr_workgroup_id_y 0
		.amdhsa_system_sgpr_workgroup_id_z 0
		.amdhsa_system_sgpr_workgroup_info 0
		.amdhsa_system_vgpr_workitem_id 0
		.amdhsa_next_free_vgpr 1
		.amdhsa_next_free_sgpr 0
		.amdhsa_accum_offset 4
		.amdhsa_reserve_vcc 0
		.amdhsa_reserve_flat_scratch 0
		.amdhsa_float_round_mode_32 0
		.amdhsa_float_round_mode_16_64 0
		.amdhsa_float_denorm_mode_32 3
		.amdhsa_float_denorm_mode_16_64 3
		.amdhsa_dx10_clamp 1
		.amdhsa_ieee_mode 1
		.amdhsa_fp16_overflow 0
		.amdhsa_tg_split 0
		.amdhsa_exception_fp_ieee_invalid_op 0
		.amdhsa_exception_fp_denorm_src 0
		.amdhsa_exception_fp_ieee_div_zero 0
		.amdhsa_exception_fp_ieee_overflow 0
		.amdhsa_exception_fp_ieee_underflow 0
		.amdhsa_exception_fp_ieee_inexact 0
		.amdhsa_exception_int_div_zero 0
	.end_amdhsa_kernel
	.section	.text._ZN7rocprim17ROCPRIM_400000_NS6detail17trampoline_kernelINS0_14default_configENS1_38merge_sort_block_merge_config_selectorIslEEZZNS1_27merge_sort_block_merge_implIS3_PsN6thrust23THRUST_200600_302600_NS10device_ptrIlEEjNS1_19radix_merge_compareILb0ELb1EsNS0_19identity_decomposerEEEEE10hipError_tT0_T1_T2_jT3_P12ihipStream_tbPNSt15iterator_traitsISG_E10value_typeEPNSM_ISH_E10value_typeEPSI_NS1_7vsmem_tEENKUlT_SG_SH_SI_E_clIS7_S7_SB_PlEESF_SV_SG_SH_SI_EUlSV_E_NS1_11comp_targetILNS1_3genE10ELNS1_11target_archE1201ELNS1_3gpuE5ELNS1_3repE0EEENS1_48merge_mergepath_partition_config_static_selectorELNS0_4arch9wavefront6targetE1EEEvSH_,"axG",@progbits,_ZN7rocprim17ROCPRIM_400000_NS6detail17trampoline_kernelINS0_14default_configENS1_38merge_sort_block_merge_config_selectorIslEEZZNS1_27merge_sort_block_merge_implIS3_PsN6thrust23THRUST_200600_302600_NS10device_ptrIlEEjNS1_19radix_merge_compareILb0ELb1EsNS0_19identity_decomposerEEEEE10hipError_tT0_T1_T2_jT3_P12ihipStream_tbPNSt15iterator_traitsISG_E10value_typeEPNSM_ISH_E10value_typeEPSI_NS1_7vsmem_tEENKUlT_SG_SH_SI_E_clIS7_S7_SB_PlEESF_SV_SG_SH_SI_EUlSV_E_NS1_11comp_targetILNS1_3genE10ELNS1_11target_archE1201ELNS1_3gpuE5ELNS1_3repE0EEENS1_48merge_mergepath_partition_config_static_selectorELNS0_4arch9wavefront6targetE1EEEvSH_,comdat
.Lfunc_end1357:
	.size	_ZN7rocprim17ROCPRIM_400000_NS6detail17trampoline_kernelINS0_14default_configENS1_38merge_sort_block_merge_config_selectorIslEEZZNS1_27merge_sort_block_merge_implIS3_PsN6thrust23THRUST_200600_302600_NS10device_ptrIlEEjNS1_19radix_merge_compareILb0ELb1EsNS0_19identity_decomposerEEEEE10hipError_tT0_T1_T2_jT3_P12ihipStream_tbPNSt15iterator_traitsISG_E10value_typeEPNSM_ISH_E10value_typeEPSI_NS1_7vsmem_tEENKUlT_SG_SH_SI_E_clIS7_S7_SB_PlEESF_SV_SG_SH_SI_EUlSV_E_NS1_11comp_targetILNS1_3genE10ELNS1_11target_archE1201ELNS1_3gpuE5ELNS1_3repE0EEENS1_48merge_mergepath_partition_config_static_selectorELNS0_4arch9wavefront6targetE1EEEvSH_, .Lfunc_end1357-_ZN7rocprim17ROCPRIM_400000_NS6detail17trampoline_kernelINS0_14default_configENS1_38merge_sort_block_merge_config_selectorIslEEZZNS1_27merge_sort_block_merge_implIS3_PsN6thrust23THRUST_200600_302600_NS10device_ptrIlEEjNS1_19radix_merge_compareILb0ELb1EsNS0_19identity_decomposerEEEEE10hipError_tT0_T1_T2_jT3_P12ihipStream_tbPNSt15iterator_traitsISG_E10value_typeEPNSM_ISH_E10value_typeEPSI_NS1_7vsmem_tEENKUlT_SG_SH_SI_E_clIS7_S7_SB_PlEESF_SV_SG_SH_SI_EUlSV_E_NS1_11comp_targetILNS1_3genE10ELNS1_11target_archE1201ELNS1_3gpuE5ELNS1_3repE0EEENS1_48merge_mergepath_partition_config_static_selectorELNS0_4arch9wavefront6targetE1EEEvSH_
                                        ; -- End function
	.section	.AMDGPU.csdata,"",@progbits
; Kernel info:
; codeLenInByte = 0
; NumSgprs: 4
; NumVgprs: 0
; NumAgprs: 0
; TotalNumVgprs: 0
; ScratchSize: 0
; MemoryBound: 0
; FloatMode: 240
; IeeeMode: 1
; LDSByteSize: 0 bytes/workgroup (compile time only)
; SGPRBlocks: 0
; VGPRBlocks: 0
; NumSGPRsForWavesPerEU: 4
; NumVGPRsForWavesPerEU: 1
; AccumOffset: 4
; Occupancy: 8
; WaveLimiterHint : 0
; COMPUTE_PGM_RSRC2:SCRATCH_EN: 0
; COMPUTE_PGM_RSRC2:USER_SGPR: 6
; COMPUTE_PGM_RSRC2:TRAP_HANDLER: 0
; COMPUTE_PGM_RSRC2:TGID_X_EN: 1
; COMPUTE_PGM_RSRC2:TGID_Y_EN: 0
; COMPUTE_PGM_RSRC2:TGID_Z_EN: 0
; COMPUTE_PGM_RSRC2:TIDIG_COMP_CNT: 0
; COMPUTE_PGM_RSRC3_GFX90A:ACCUM_OFFSET: 0
; COMPUTE_PGM_RSRC3_GFX90A:TG_SPLIT: 0
	.section	.text._ZN7rocprim17ROCPRIM_400000_NS6detail17trampoline_kernelINS0_14default_configENS1_38merge_sort_block_merge_config_selectorIslEEZZNS1_27merge_sort_block_merge_implIS3_PsN6thrust23THRUST_200600_302600_NS10device_ptrIlEEjNS1_19radix_merge_compareILb0ELb1EsNS0_19identity_decomposerEEEEE10hipError_tT0_T1_T2_jT3_P12ihipStream_tbPNSt15iterator_traitsISG_E10value_typeEPNSM_ISH_E10value_typeEPSI_NS1_7vsmem_tEENKUlT_SG_SH_SI_E_clIS7_S7_SB_PlEESF_SV_SG_SH_SI_EUlSV_E_NS1_11comp_targetILNS1_3genE5ELNS1_11target_archE942ELNS1_3gpuE9ELNS1_3repE0EEENS1_48merge_mergepath_partition_config_static_selectorELNS0_4arch9wavefront6targetE1EEEvSH_,"axG",@progbits,_ZN7rocprim17ROCPRIM_400000_NS6detail17trampoline_kernelINS0_14default_configENS1_38merge_sort_block_merge_config_selectorIslEEZZNS1_27merge_sort_block_merge_implIS3_PsN6thrust23THRUST_200600_302600_NS10device_ptrIlEEjNS1_19radix_merge_compareILb0ELb1EsNS0_19identity_decomposerEEEEE10hipError_tT0_T1_T2_jT3_P12ihipStream_tbPNSt15iterator_traitsISG_E10value_typeEPNSM_ISH_E10value_typeEPSI_NS1_7vsmem_tEENKUlT_SG_SH_SI_E_clIS7_S7_SB_PlEESF_SV_SG_SH_SI_EUlSV_E_NS1_11comp_targetILNS1_3genE5ELNS1_11target_archE942ELNS1_3gpuE9ELNS1_3repE0EEENS1_48merge_mergepath_partition_config_static_selectorELNS0_4arch9wavefront6targetE1EEEvSH_,comdat
	.protected	_ZN7rocprim17ROCPRIM_400000_NS6detail17trampoline_kernelINS0_14default_configENS1_38merge_sort_block_merge_config_selectorIslEEZZNS1_27merge_sort_block_merge_implIS3_PsN6thrust23THRUST_200600_302600_NS10device_ptrIlEEjNS1_19radix_merge_compareILb0ELb1EsNS0_19identity_decomposerEEEEE10hipError_tT0_T1_T2_jT3_P12ihipStream_tbPNSt15iterator_traitsISG_E10value_typeEPNSM_ISH_E10value_typeEPSI_NS1_7vsmem_tEENKUlT_SG_SH_SI_E_clIS7_S7_SB_PlEESF_SV_SG_SH_SI_EUlSV_E_NS1_11comp_targetILNS1_3genE5ELNS1_11target_archE942ELNS1_3gpuE9ELNS1_3repE0EEENS1_48merge_mergepath_partition_config_static_selectorELNS0_4arch9wavefront6targetE1EEEvSH_ ; -- Begin function _ZN7rocprim17ROCPRIM_400000_NS6detail17trampoline_kernelINS0_14default_configENS1_38merge_sort_block_merge_config_selectorIslEEZZNS1_27merge_sort_block_merge_implIS3_PsN6thrust23THRUST_200600_302600_NS10device_ptrIlEEjNS1_19radix_merge_compareILb0ELb1EsNS0_19identity_decomposerEEEEE10hipError_tT0_T1_T2_jT3_P12ihipStream_tbPNSt15iterator_traitsISG_E10value_typeEPNSM_ISH_E10value_typeEPSI_NS1_7vsmem_tEENKUlT_SG_SH_SI_E_clIS7_S7_SB_PlEESF_SV_SG_SH_SI_EUlSV_E_NS1_11comp_targetILNS1_3genE5ELNS1_11target_archE942ELNS1_3gpuE9ELNS1_3repE0EEENS1_48merge_mergepath_partition_config_static_selectorELNS0_4arch9wavefront6targetE1EEEvSH_
	.globl	_ZN7rocprim17ROCPRIM_400000_NS6detail17trampoline_kernelINS0_14default_configENS1_38merge_sort_block_merge_config_selectorIslEEZZNS1_27merge_sort_block_merge_implIS3_PsN6thrust23THRUST_200600_302600_NS10device_ptrIlEEjNS1_19radix_merge_compareILb0ELb1EsNS0_19identity_decomposerEEEEE10hipError_tT0_T1_T2_jT3_P12ihipStream_tbPNSt15iterator_traitsISG_E10value_typeEPNSM_ISH_E10value_typeEPSI_NS1_7vsmem_tEENKUlT_SG_SH_SI_E_clIS7_S7_SB_PlEESF_SV_SG_SH_SI_EUlSV_E_NS1_11comp_targetILNS1_3genE5ELNS1_11target_archE942ELNS1_3gpuE9ELNS1_3repE0EEENS1_48merge_mergepath_partition_config_static_selectorELNS0_4arch9wavefront6targetE1EEEvSH_
	.p2align	8
	.type	_ZN7rocprim17ROCPRIM_400000_NS6detail17trampoline_kernelINS0_14default_configENS1_38merge_sort_block_merge_config_selectorIslEEZZNS1_27merge_sort_block_merge_implIS3_PsN6thrust23THRUST_200600_302600_NS10device_ptrIlEEjNS1_19radix_merge_compareILb0ELb1EsNS0_19identity_decomposerEEEEE10hipError_tT0_T1_T2_jT3_P12ihipStream_tbPNSt15iterator_traitsISG_E10value_typeEPNSM_ISH_E10value_typeEPSI_NS1_7vsmem_tEENKUlT_SG_SH_SI_E_clIS7_S7_SB_PlEESF_SV_SG_SH_SI_EUlSV_E_NS1_11comp_targetILNS1_3genE5ELNS1_11target_archE942ELNS1_3gpuE9ELNS1_3repE0EEENS1_48merge_mergepath_partition_config_static_selectorELNS0_4arch9wavefront6targetE1EEEvSH_,@function
_ZN7rocprim17ROCPRIM_400000_NS6detail17trampoline_kernelINS0_14default_configENS1_38merge_sort_block_merge_config_selectorIslEEZZNS1_27merge_sort_block_merge_implIS3_PsN6thrust23THRUST_200600_302600_NS10device_ptrIlEEjNS1_19radix_merge_compareILb0ELb1EsNS0_19identity_decomposerEEEEE10hipError_tT0_T1_T2_jT3_P12ihipStream_tbPNSt15iterator_traitsISG_E10value_typeEPNSM_ISH_E10value_typeEPSI_NS1_7vsmem_tEENKUlT_SG_SH_SI_E_clIS7_S7_SB_PlEESF_SV_SG_SH_SI_EUlSV_E_NS1_11comp_targetILNS1_3genE5ELNS1_11target_archE942ELNS1_3gpuE9ELNS1_3repE0EEENS1_48merge_mergepath_partition_config_static_selectorELNS0_4arch9wavefront6targetE1EEEvSH_: ; @_ZN7rocprim17ROCPRIM_400000_NS6detail17trampoline_kernelINS0_14default_configENS1_38merge_sort_block_merge_config_selectorIslEEZZNS1_27merge_sort_block_merge_implIS3_PsN6thrust23THRUST_200600_302600_NS10device_ptrIlEEjNS1_19radix_merge_compareILb0ELb1EsNS0_19identity_decomposerEEEEE10hipError_tT0_T1_T2_jT3_P12ihipStream_tbPNSt15iterator_traitsISG_E10value_typeEPNSM_ISH_E10value_typeEPSI_NS1_7vsmem_tEENKUlT_SG_SH_SI_E_clIS7_S7_SB_PlEESF_SV_SG_SH_SI_EUlSV_E_NS1_11comp_targetILNS1_3genE5ELNS1_11target_archE942ELNS1_3gpuE9ELNS1_3repE0EEENS1_48merge_mergepath_partition_config_static_selectorELNS0_4arch9wavefront6targetE1EEEvSH_
; %bb.0:
	.section	.rodata,"a",@progbits
	.p2align	6, 0x0
	.amdhsa_kernel _ZN7rocprim17ROCPRIM_400000_NS6detail17trampoline_kernelINS0_14default_configENS1_38merge_sort_block_merge_config_selectorIslEEZZNS1_27merge_sort_block_merge_implIS3_PsN6thrust23THRUST_200600_302600_NS10device_ptrIlEEjNS1_19radix_merge_compareILb0ELb1EsNS0_19identity_decomposerEEEEE10hipError_tT0_T1_T2_jT3_P12ihipStream_tbPNSt15iterator_traitsISG_E10value_typeEPNSM_ISH_E10value_typeEPSI_NS1_7vsmem_tEENKUlT_SG_SH_SI_E_clIS7_S7_SB_PlEESF_SV_SG_SH_SI_EUlSV_E_NS1_11comp_targetILNS1_3genE5ELNS1_11target_archE942ELNS1_3gpuE9ELNS1_3repE0EEENS1_48merge_mergepath_partition_config_static_selectorELNS0_4arch9wavefront6targetE1EEEvSH_
		.amdhsa_group_segment_fixed_size 0
		.amdhsa_private_segment_fixed_size 0
		.amdhsa_kernarg_size 40
		.amdhsa_user_sgpr_count 6
		.amdhsa_user_sgpr_private_segment_buffer 1
		.amdhsa_user_sgpr_dispatch_ptr 0
		.amdhsa_user_sgpr_queue_ptr 0
		.amdhsa_user_sgpr_kernarg_segment_ptr 1
		.amdhsa_user_sgpr_dispatch_id 0
		.amdhsa_user_sgpr_flat_scratch_init 0
		.amdhsa_user_sgpr_kernarg_preload_length 0
		.amdhsa_user_sgpr_kernarg_preload_offset 0
		.amdhsa_user_sgpr_private_segment_size 0
		.amdhsa_uses_dynamic_stack 0
		.amdhsa_system_sgpr_private_segment_wavefront_offset 0
		.amdhsa_system_sgpr_workgroup_id_x 1
		.amdhsa_system_sgpr_workgroup_id_y 0
		.amdhsa_system_sgpr_workgroup_id_z 0
		.amdhsa_system_sgpr_workgroup_info 0
		.amdhsa_system_vgpr_workitem_id 0
		.amdhsa_next_free_vgpr 1
		.amdhsa_next_free_sgpr 0
		.amdhsa_accum_offset 4
		.amdhsa_reserve_vcc 0
		.amdhsa_reserve_flat_scratch 0
		.amdhsa_float_round_mode_32 0
		.amdhsa_float_round_mode_16_64 0
		.amdhsa_float_denorm_mode_32 3
		.amdhsa_float_denorm_mode_16_64 3
		.amdhsa_dx10_clamp 1
		.amdhsa_ieee_mode 1
		.amdhsa_fp16_overflow 0
		.amdhsa_tg_split 0
		.amdhsa_exception_fp_ieee_invalid_op 0
		.amdhsa_exception_fp_denorm_src 0
		.amdhsa_exception_fp_ieee_div_zero 0
		.amdhsa_exception_fp_ieee_overflow 0
		.amdhsa_exception_fp_ieee_underflow 0
		.amdhsa_exception_fp_ieee_inexact 0
		.amdhsa_exception_int_div_zero 0
	.end_amdhsa_kernel
	.section	.text._ZN7rocprim17ROCPRIM_400000_NS6detail17trampoline_kernelINS0_14default_configENS1_38merge_sort_block_merge_config_selectorIslEEZZNS1_27merge_sort_block_merge_implIS3_PsN6thrust23THRUST_200600_302600_NS10device_ptrIlEEjNS1_19radix_merge_compareILb0ELb1EsNS0_19identity_decomposerEEEEE10hipError_tT0_T1_T2_jT3_P12ihipStream_tbPNSt15iterator_traitsISG_E10value_typeEPNSM_ISH_E10value_typeEPSI_NS1_7vsmem_tEENKUlT_SG_SH_SI_E_clIS7_S7_SB_PlEESF_SV_SG_SH_SI_EUlSV_E_NS1_11comp_targetILNS1_3genE5ELNS1_11target_archE942ELNS1_3gpuE9ELNS1_3repE0EEENS1_48merge_mergepath_partition_config_static_selectorELNS0_4arch9wavefront6targetE1EEEvSH_,"axG",@progbits,_ZN7rocprim17ROCPRIM_400000_NS6detail17trampoline_kernelINS0_14default_configENS1_38merge_sort_block_merge_config_selectorIslEEZZNS1_27merge_sort_block_merge_implIS3_PsN6thrust23THRUST_200600_302600_NS10device_ptrIlEEjNS1_19radix_merge_compareILb0ELb1EsNS0_19identity_decomposerEEEEE10hipError_tT0_T1_T2_jT3_P12ihipStream_tbPNSt15iterator_traitsISG_E10value_typeEPNSM_ISH_E10value_typeEPSI_NS1_7vsmem_tEENKUlT_SG_SH_SI_E_clIS7_S7_SB_PlEESF_SV_SG_SH_SI_EUlSV_E_NS1_11comp_targetILNS1_3genE5ELNS1_11target_archE942ELNS1_3gpuE9ELNS1_3repE0EEENS1_48merge_mergepath_partition_config_static_selectorELNS0_4arch9wavefront6targetE1EEEvSH_,comdat
.Lfunc_end1358:
	.size	_ZN7rocprim17ROCPRIM_400000_NS6detail17trampoline_kernelINS0_14default_configENS1_38merge_sort_block_merge_config_selectorIslEEZZNS1_27merge_sort_block_merge_implIS3_PsN6thrust23THRUST_200600_302600_NS10device_ptrIlEEjNS1_19radix_merge_compareILb0ELb1EsNS0_19identity_decomposerEEEEE10hipError_tT0_T1_T2_jT3_P12ihipStream_tbPNSt15iterator_traitsISG_E10value_typeEPNSM_ISH_E10value_typeEPSI_NS1_7vsmem_tEENKUlT_SG_SH_SI_E_clIS7_S7_SB_PlEESF_SV_SG_SH_SI_EUlSV_E_NS1_11comp_targetILNS1_3genE5ELNS1_11target_archE942ELNS1_3gpuE9ELNS1_3repE0EEENS1_48merge_mergepath_partition_config_static_selectorELNS0_4arch9wavefront6targetE1EEEvSH_, .Lfunc_end1358-_ZN7rocprim17ROCPRIM_400000_NS6detail17trampoline_kernelINS0_14default_configENS1_38merge_sort_block_merge_config_selectorIslEEZZNS1_27merge_sort_block_merge_implIS3_PsN6thrust23THRUST_200600_302600_NS10device_ptrIlEEjNS1_19radix_merge_compareILb0ELb1EsNS0_19identity_decomposerEEEEE10hipError_tT0_T1_T2_jT3_P12ihipStream_tbPNSt15iterator_traitsISG_E10value_typeEPNSM_ISH_E10value_typeEPSI_NS1_7vsmem_tEENKUlT_SG_SH_SI_E_clIS7_S7_SB_PlEESF_SV_SG_SH_SI_EUlSV_E_NS1_11comp_targetILNS1_3genE5ELNS1_11target_archE942ELNS1_3gpuE9ELNS1_3repE0EEENS1_48merge_mergepath_partition_config_static_selectorELNS0_4arch9wavefront6targetE1EEEvSH_
                                        ; -- End function
	.section	.AMDGPU.csdata,"",@progbits
; Kernel info:
; codeLenInByte = 0
; NumSgprs: 4
; NumVgprs: 0
; NumAgprs: 0
; TotalNumVgprs: 0
; ScratchSize: 0
; MemoryBound: 0
; FloatMode: 240
; IeeeMode: 1
; LDSByteSize: 0 bytes/workgroup (compile time only)
; SGPRBlocks: 0
; VGPRBlocks: 0
; NumSGPRsForWavesPerEU: 4
; NumVGPRsForWavesPerEU: 1
; AccumOffset: 4
; Occupancy: 8
; WaveLimiterHint : 0
; COMPUTE_PGM_RSRC2:SCRATCH_EN: 0
; COMPUTE_PGM_RSRC2:USER_SGPR: 6
; COMPUTE_PGM_RSRC2:TRAP_HANDLER: 0
; COMPUTE_PGM_RSRC2:TGID_X_EN: 1
; COMPUTE_PGM_RSRC2:TGID_Y_EN: 0
; COMPUTE_PGM_RSRC2:TGID_Z_EN: 0
; COMPUTE_PGM_RSRC2:TIDIG_COMP_CNT: 0
; COMPUTE_PGM_RSRC3_GFX90A:ACCUM_OFFSET: 0
; COMPUTE_PGM_RSRC3_GFX90A:TG_SPLIT: 0
	.section	.text._ZN7rocprim17ROCPRIM_400000_NS6detail17trampoline_kernelINS0_14default_configENS1_38merge_sort_block_merge_config_selectorIslEEZZNS1_27merge_sort_block_merge_implIS3_PsN6thrust23THRUST_200600_302600_NS10device_ptrIlEEjNS1_19radix_merge_compareILb0ELb1EsNS0_19identity_decomposerEEEEE10hipError_tT0_T1_T2_jT3_P12ihipStream_tbPNSt15iterator_traitsISG_E10value_typeEPNSM_ISH_E10value_typeEPSI_NS1_7vsmem_tEENKUlT_SG_SH_SI_E_clIS7_S7_SB_PlEESF_SV_SG_SH_SI_EUlSV_E_NS1_11comp_targetILNS1_3genE4ELNS1_11target_archE910ELNS1_3gpuE8ELNS1_3repE0EEENS1_48merge_mergepath_partition_config_static_selectorELNS0_4arch9wavefront6targetE1EEEvSH_,"axG",@progbits,_ZN7rocprim17ROCPRIM_400000_NS6detail17trampoline_kernelINS0_14default_configENS1_38merge_sort_block_merge_config_selectorIslEEZZNS1_27merge_sort_block_merge_implIS3_PsN6thrust23THRUST_200600_302600_NS10device_ptrIlEEjNS1_19radix_merge_compareILb0ELb1EsNS0_19identity_decomposerEEEEE10hipError_tT0_T1_T2_jT3_P12ihipStream_tbPNSt15iterator_traitsISG_E10value_typeEPNSM_ISH_E10value_typeEPSI_NS1_7vsmem_tEENKUlT_SG_SH_SI_E_clIS7_S7_SB_PlEESF_SV_SG_SH_SI_EUlSV_E_NS1_11comp_targetILNS1_3genE4ELNS1_11target_archE910ELNS1_3gpuE8ELNS1_3repE0EEENS1_48merge_mergepath_partition_config_static_selectorELNS0_4arch9wavefront6targetE1EEEvSH_,comdat
	.protected	_ZN7rocprim17ROCPRIM_400000_NS6detail17trampoline_kernelINS0_14default_configENS1_38merge_sort_block_merge_config_selectorIslEEZZNS1_27merge_sort_block_merge_implIS3_PsN6thrust23THRUST_200600_302600_NS10device_ptrIlEEjNS1_19radix_merge_compareILb0ELb1EsNS0_19identity_decomposerEEEEE10hipError_tT0_T1_T2_jT3_P12ihipStream_tbPNSt15iterator_traitsISG_E10value_typeEPNSM_ISH_E10value_typeEPSI_NS1_7vsmem_tEENKUlT_SG_SH_SI_E_clIS7_S7_SB_PlEESF_SV_SG_SH_SI_EUlSV_E_NS1_11comp_targetILNS1_3genE4ELNS1_11target_archE910ELNS1_3gpuE8ELNS1_3repE0EEENS1_48merge_mergepath_partition_config_static_selectorELNS0_4arch9wavefront6targetE1EEEvSH_ ; -- Begin function _ZN7rocprim17ROCPRIM_400000_NS6detail17trampoline_kernelINS0_14default_configENS1_38merge_sort_block_merge_config_selectorIslEEZZNS1_27merge_sort_block_merge_implIS3_PsN6thrust23THRUST_200600_302600_NS10device_ptrIlEEjNS1_19radix_merge_compareILb0ELb1EsNS0_19identity_decomposerEEEEE10hipError_tT0_T1_T2_jT3_P12ihipStream_tbPNSt15iterator_traitsISG_E10value_typeEPNSM_ISH_E10value_typeEPSI_NS1_7vsmem_tEENKUlT_SG_SH_SI_E_clIS7_S7_SB_PlEESF_SV_SG_SH_SI_EUlSV_E_NS1_11comp_targetILNS1_3genE4ELNS1_11target_archE910ELNS1_3gpuE8ELNS1_3repE0EEENS1_48merge_mergepath_partition_config_static_selectorELNS0_4arch9wavefront6targetE1EEEvSH_
	.globl	_ZN7rocprim17ROCPRIM_400000_NS6detail17trampoline_kernelINS0_14default_configENS1_38merge_sort_block_merge_config_selectorIslEEZZNS1_27merge_sort_block_merge_implIS3_PsN6thrust23THRUST_200600_302600_NS10device_ptrIlEEjNS1_19radix_merge_compareILb0ELb1EsNS0_19identity_decomposerEEEEE10hipError_tT0_T1_T2_jT3_P12ihipStream_tbPNSt15iterator_traitsISG_E10value_typeEPNSM_ISH_E10value_typeEPSI_NS1_7vsmem_tEENKUlT_SG_SH_SI_E_clIS7_S7_SB_PlEESF_SV_SG_SH_SI_EUlSV_E_NS1_11comp_targetILNS1_3genE4ELNS1_11target_archE910ELNS1_3gpuE8ELNS1_3repE0EEENS1_48merge_mergepath_partition_config_static_selectorELNS0_4arch9wavefront6targetE1EEEvSH_
	.p2align	8
	.type	_ZN7rocprim17ROCPRIM_400000_NS6detail17trampoline_kernelINS0_14default_configENS1_38merge_sort_block_merge_config_selectorIslEEZZNS1_27merge_sort_block_merge_implIS3_PsN6thrust23THRUST_200600_302600_NS10device_ptrIlEEjNS1_19radix_merge_compareILb0ELb1EsNS0_19identity_decomposerEEEEE10hipError_tT0_T1_T2_jT3_P12ihipStream_tbPNSt15iterator_traitsISG_E10value_typeEPNSM_ISH_E10value_typeEPSI_NS1_7vsmem_tEENKUlT_SG_SH_SI_E_clIS7_S7_SB_PlEESF_SV_SG_SH_SI_EUlSV_E_NS1_11comp_targetILNS1_3genE4ELNS1_11target_archE910ELNS1_3gpuE8ELNS1_3repE0EEENS1_48merge_mergepath_partition_config_static_selectorELNS0_4arch9wavefront6targetE1EEEvSH_,@function
_ZN7rocprim17ROCPRIM_400000_NS6detail17trampoline_kernelINS0_14default_configENS1_38merge_sort_block_merge_config_selectorIslEEZZNS1_27merge_sort_block_merge_implIS3_PsN6thrust23THRUST_200600_302600_NS10device_ptrIlEEjNS1_19radix_merge_compareILb0ELb1EsNS0_19identity_decomposerEEEEE10hipError_tT0_T1_T2_jT3_P12ihipStream_tbPNSt15iterator_traitsISG_E10value_typeEPNSM_ISH_E10value_typeEPSI_NS1_7vsmem_tEENKUlT_SG_SH_SI_E_clIS7_S7_SB_PlEESF_SV_SG_SH_SI_EUlSV_E_NS1_11comp_targetILNS1_3genE4ELNS1_11target_archE910ELNS1_3gpuE8ELNS1_3repE0EEENS1_48merge_mergepath_partition_config_static_selectorELNS0_4arch9wavefront6targetE1EEEvSH_: ; @_ZN7rocprim17ROCPRIM_400000_NS6detail17trampoline_kernelINS0_14default_configENS1_38merge_sort_block_merge_config_selectorIslEEZZNS1_27merge_sort_block_merge_implIS3_PsN6thrust23THRUST_200600_302600_NS10device_ptrIlEEjNS1_19radix_merge_compareILb0ELb1EsNS0_19identity_decomposerEEEEE10hipError_tT0_T1_T2_jT3_P12ihipStream_tbPNSt15iterator_traitsISG_E10value_typeEPNSM_ISH_E10value_typeEPSI_NS1_7vsmem_tEENKUlT_SG_SH_SI_E_clIS7_S7_SB_PlEESF_SV_SG_SH_SI_EUlSV_E_NS1_11comp_targetILNS1_3genE4ELNS1_11target_archE910ELNS1_3gpuE8ELNS1_3repE0EEENS1_48merge_mergepath_partition_config_static_selectorELNS0_4arch9wavefront6targetE1EEEvSH_
; %bb.0:
	s_load_dword s0, s[4:5], 0x0
	v_lshl_or_b32 v0, s6, 7, v0
	s_waitcnt lgkmcnt(0)
	v_cmp_gt_u32_e32 vcc, s0, v0
	s_and_saveexec_b64 s[0:1], vcc
	s_cbranch_execz .LBB1359_6
; %bb.1:
	s_load_dwordx2 s[2:3], s[4:5], 0x4
	s_load_dwordx2 s[0:1], s[4:5], 0x20
	s_waitcnt lgkmcnt(0)
	s_lshr_b32 s6, s2, 9
	s_and_b32 s6, s6, 0x7ffffe
	s_add_i32 s7, s6, -1
	s_sub_i32 s6, 0, s6
	v_and_b32_e32 v1, s6, v0
	v_lshlrev_b32_e32 v1, 10, v1
	v_min_u32_e32 v2, s3, v1
	v_add_u32_e32 v1, s2, v1
	v_min_u32_e32 v4, s3, v1
	v_add_u32_e32 v1, s2, v4
	v_and_b32_e32 v3, s7, v0
	v_min_u32_e32 v1, s3, v1
	v_sub_u32_e32 v5, v1, v2
	v_lshlrev_b32_e32 v3, 10, v3
	v_min_u32_e32 v6, v5, v3
	v_sub_u32_e32 v3, v4, v2
	v_sub_u32_e32 v1, v1, v4
	v_sub_u32_e64 v1, v6, v1 clamp
	v_min_u32_e32 v7, v6, v3
	v_cmp_lt_u32_e32 vcc, v1, v7
	s_and_saveexec_b64 s[2:3], vcc
	s_cbranch_execz .LBB1359_5
; %bb.2:
	s_load_dwordx2 s[8:9], s[4:5], 0x10
	s_load_dword s6, s[4:5], 0x18
	v_mov_b32_e32 v5, 0
	v_mov_b32_e32 v3, v5
	v_lshlrev_b64 v[8:9], 1, v[2:3]
	s_waitcnt lgkmcnt(0)
	v_mov_b32_e32 v12, s9
	v_add_co_u32_e32 v3, vcc, s8, v8
	v_addc_co_u32_e32 v8, vcc, v12, v9, vcc
	v_lshlrev_b64 v[10:11], 1, v[4:5]
	v_add_co_u32_e32 v9, vcc, s8, v10
	v_addc_co_u32_e32 v10, vcc, v12, v11, vcc
	s_mov_b64 s[4:5], 0
.LBB1359_3:                             ; =>This Inner Loop Header: Depth=1
	v_add_u32_e32 v4, v7, v1
	v_and_b32_e32 v12, -2, v4
	v_lshrrev_b32_e32 v11, 1, v4
	v_add_co_u32_e32 v12, vcc, v3, v12
	v_xad_u32 v4, v11, -1, v6
	v_addc_co_u32_e32 v13, vcc, 0, v8, vcc
	global_load_ushort v14, v[12:13], off
	v_lshlrev_b64 v[12:13], 1, v[4:5]
	v_add_co_u32_e32 v12, vcc, v9, v12
	v_addc_co_u32_e32 v13, vcc, v10, v13, vcc
	global_load_ushort v4, v[12:13], off
	v_add_u32_e32 v12, 1, v11
	s_waitcnt vmcnt(1)
	v_and_b32_e32 v13, s6, v14
	s_waitcnt vmcnt(0)
	v_and_b32_e32 v4, s6, v4
	v_cmp_gt_i16_e32 vcc, v13, v4
	v_cndmask_b32_e32 v7, v7, v11, vcc
	v_cndmask_b32_e32 v1, v12, v1, vcc
	v_cmp_ge_u32_e32 vcc, v1, v7
	s_or_b64 s[4:5], vcc, s[4:5]
	s_andn2_b64 exec, exec, s[4:5]
	s_cbranch_execnz .LBB1359_3
; %bb.4:
	s_or_b64 exec, exec, s[4:5]
.LBB1359_5:
	s_or_b64 exec, exec, s[2:3]
	v_add_u32_e32 v2, v1, v2
	v_mov_b32_e32 v1, 0
	v_lshlrev_b64 v[0:1], 2, v[0:1]
	v_mov_b32_e32 v3, s1
	v_add_co_u32_e32 v0, vcc, s0, v0
	v_addc_co_u32_e32 v1, vcc, v3, v1, vcc
	global_store_dword v[0:1], v2, off
.LBB1359_6:
	s_endpgm
	.section	.rodata,"a",@progbits
	.p2align	6, 0x0
	.amdhsa_kernel _ZN7rocprim17ROCPRIM_400000_NS6detail17trampoline_kernelINS0_14default_configENS1_38merge_sort_block_merge_config_selectorIslEEZZNS1_27merge_sort_block_merge_implIS3_PsN6thrust23THRUST_200600_302600_NS10device_ptrIlEEjNS1_19radix_merge_compareILb0ELb1EsNS0_19identity_decomposerEEEEE10hipError_tT0_T1_T2_jT3_P12ihipStream_tbPNSt15iterator_traitsISG_E10value_typeEPNSM_ISH_E10value_typeEPSI_NS1_7vsmem_tEENKUlT_SG_SH_SI_E_clIS7_S7_SB_PlEESF_SV_SG_SH_SI_EUlSV_E_NS1_11comp_targetILNS1_3genE4ELNS1_11target_archE910ELNS1_3gpuE8ELNS1_3repE0EEENS1_48merge_mergepath_partition_config_static_selectorELNS0_4arch9wavefront6targetE1EEEvSH_
		.amdhsa_group_segment_fixed_size 0
		.amdhsa_private_segment_fixed_size 0
		.amdhsa_kernarg_size 40
		.amdhsa_user_sgpr_count 6
		.amdhsa_user_sgpr_private_segment_buffer 1
		.amdhsa_user_sgpr_dispatch_ptr 0
		.amdhsa_user_sgpr_queue_ptr 0
		.amdhsa_user_sgpr_kernarg_segment_ptr 1
		.amdhsa_user_sgpr_dispatch_id 0
		.amdhsa_user_sgpr_flat_scratch_init 0
		.amdhsa_user_sgpr_kernarg_preload_length 0
		.amdhsa_user_sgpr_kernarg_preload_offset 0
		.amdhsa_user_sgpr_private_segment_size 0
		.amdhsa_uses_dynamic_stack 0
		.amdhsa_system_sgpr_private_segment_wavefront_offset 0
		.amdhsa_system_sgpr_workgroup_id_x 1
		.amdhsa_system_sgpr_workgroup_id_y 0
		.amdhsa_system_sgpr_workgroup_id_z 0
		.amdhsa_system_sgpr_workgroup_info 0
		.amdhsa_system_vgpr_workitem_id 0
		.amdhsa_next_free_vgpr 15
		.amdhsa_next_free_sgpr 10
		.amdhsa_accum_offset 16
		.amdhsa_reserve_vcc 1
		.amdhsa_reserve_flat_scratch 0
		.amdhsa_float_round_mode_32 0
		.amdhsa_float_round_mode_16_64 0
		.amdhsa_float_denorm_mode_32 3
		.amdhsa_float_denorm_mode_16_64 3
		.amdhsa_dx10_clamp 1
		.amdhsa_ieee_mode 1
		.amdhsa_fp16_overflow 0
		.amdhsa_tg_split 0
		.amdhsa_exception_fp_ieee_invalid_op 0
		.amdhsa_exception_fp_denorm_src 0
		.amdhsa_exception_fp_ieee_div_zero 0
		.amdhsa_exception_fp_ieee_overflow 0
		.amdhsa_exception_fp_ieee_underflow 0
		.amdhsa_exception_fp_ieee_inexact 0
		.amdhsa_exception_int_div_zero 0
	.end_amdhsa_kernel
	.section	.text._ZN7rocprim17ROCPRIM_400000_NS6detail17trampoline_kernelINS0_14default_configENS1_38merge_sort_block_merge_config_selectorIslEEZZNS1_27merge_sort_block_merge_implIS3_PsN6thrust23THRUST_200600_302600_NS10device_ptrIlEEjNS1_19radix_merge_compareILb0ELb1EsNS0_19identity_decomposerEEEEE10hipError_tT0_T1_T2_jT3_P12ihipStream_tbPNSt15iterator_traitsISG_E10value_typeEPNSM_ISH_E10value_typeEPSI_NS1_7vsmem_tEENKUlT_SG_SH_SI_E_clIS7_S7_SB_PlEESF_SV_SG_SH_SI_EUlSV_E_NS1_11comp_targetILNS1_3genE4ELNS1_11target_archE910ELNS1_3gpuE8ELNS1_3repE0EEENS1_48merge_mergepath_partition_config_static_selectorELNS0_4arch9wavefront6targetE1EEEvSH_,"axG",@progbits,_ZN7rocprim17ROCPRIM_400000_NS6detail17trampoline_kernelINS0_14default_configENS1_38merge_sort_block_merge_config_selectorIslEEZZNS1_27merge_sort_block_merge_implIS3_PsN6thrust23THRUST_200600_302600_NS10device_ptrIlEEjNS1_19radix_merge_compareILb0ELb1EsNS0_19identity_decomposerEEEEE10hipError_tT0_T1_T2_jT3_P12ihipStream_tbPNSt15iterator_traitsISG_E10value_typeEPNSM_ISH_E10value_typeEPSI_NS1_7vsmem_tEENKUlT_SG_SH_SI_E_clIS7_S7_SB_PlEESF_SV_SG_SH_SI_EUlSV_E_NS1_11comp_targetILNS1_3genE4ELNS1_11target_archE910ELNS1_3gpuE8ELNS1_3repE0EEENS1_48merge_mergepath_partition_config_static_selectorELNS0_4arch9wavefront6targetE1EEEvSH_,comdat
.Lfunc_end1359:
	.size	_ZN7rocprim17ROCPRIM_400000_NS6detail17trampoline_kernelINS0_14default_configENS1_38merge_sort_block_merge_config_selectorIslEEZZNS1_27merge_sort_block_merge_implIS3_PsN6thrust23THRUST_200600_302600_NS10device_ptrIlEEjNS1_19radix_merge_compareILb0ELb1EsNS0_19identity_decomposerEEEEE10hipError_tT0_T1_T2_jT3_P12ihipStream_tbPNSt15iterator_traitsISG_E10value_typeEPNSM_ISH_E10value_typeEPSI_NS1_7vsmem_tEENKUlT_SG_SH_SI_E_clIS7_S7_SB_PlEESF_SV_SG_SH_SI_EUlSV_E_NS1_11comp_targetILNS1_3genE4ELNS1_11target_archE910ELNS1_3gpuE8ELNS1_3repE0EEENS1_48merge_mergepath_partition_config_static_selectorELNS0_4arch9wavefront6targetE1EEEvSH_, .Lfunc_end1359-_ZN7rocprim17ROCPRIM_400000_NS6detail17trampoline_kernelINS0_14default_configENS1_38merge_sort_block_merge_config_selectorIslEEZZNS1_27merge_sort_block_merge_implIS3_PsN6thrust23THRUST_200600_302600_NS10device_ptrIlEEjNS1_19radix_merge_compareILb0ELb1EsNS0_19identity_decomposerEEEEE10hipError_tT0_T1_T2_jT3_P12ihipStream_tbPNSt15iterator_traitsISG_E10value_typeEPNSM_ISH_E10value_typeEPSI_NS1_7vsmem_tEENKUlT_SG_SH_SI_E_clIS7_S7_SB_PlEESF_SV_SG_SH_SI_EUlSV_E_NS1_11comp_targetILNS1_3genE4ELNS1_11target_archE910ELNS1_3gpuE8ELNS1_3repE0EEENS1_48merge_mergepath_partition_config_static_selectorELNS0_4arch9wavefront6targetE1EEEvSH_
                                        ; -- End function
	.section	.AMDGPU.csdata,"",@progbits
; Kernel info:
; codeLenInByte = 372
; NumSgprs: 14
; NumVgprs: 15
; NumAgprs: 0
; TotalNumVgprs: 15
; ScratchSize: 0
; MemoryBound: 0
; FloatMode: 240
; IeeeMode: 1
; LDSByteSize: 0 bytes/workgroup (compile time only)
; SGPRBlocks: 1
; VGPRBlocks: 1
; NumSGPRsForWavesPerEU: 14
; NumVGPRsForWavesPerEU: 15
; AccumOffset: 16
; Occupancy: 8
; WaveLimiterHint : 0
; COMPUTE_PGM_RSRC2:SCRATCH_EN: 0
; COMPUTE_PGM_RSRC2:USER_SGPR: 6
; COMPUTE_PGM_RSRC2:TRAP_HANDLER: 0
; COMPUTE_PGM_RSRC2:TGID_X_EN: 1
; COMPUTE_PGM_RSRC2:TGID_Y_EN: 0
; COMPUTE_PGM_RSRC2:TGID_Z_EN: 0
; COMPUTE_PGM_RSRC2:TIDIG_COMP_CNT: 0
; COMPUTE_PGM_RSRC3_GFX90A:ACCUM_OFFSET: 3
; COMPUTE_PGM_RSRC3_GFX90A:TG_SPLIT: 0
	.section	.text._ZN7rocprim17ROCPRIM_400000_NS6detail17trampoline_kernelINS0_14default_configENS1_38merge_sort_block_merge_config_selectorIslEEZZNS1_27merge_sort_block_merge_implIS3_PsN6thrust23THRUST_200600_302600_NS10device_ptrIlEEjNS1_19radix_merge_compareILb0ELb1EsNS0_19identity_decomposerEEEEE10hipError_tT0_T1_T2_jT3_P12ihipStream_tbPNSt15iterator_traitsISG_E10value_typeEPNSM_ISH_E10value_typeEPSI_NS1_7vsmem_tEENKUlT_SG_SH_SI_E_clIS7_S7_SB_PlEESF_SV_SG_SH_SI_EUlSV_E_NS1_11comp_targetILNS1_3genE3ELNS1_11target_archE908ELNS1_3gpuE7ELNS1_3repE0EEENS1_48merge_mergepath_partition_config_static_selectorELNS0_4arch9wavefront6targetE1EEEvSH_,"axG",@progbits,_ZN7rocprim17ROCPRIM_400000_NS6detail17trampoline_kernelINS0_14default_configENS1_38merge_sort_block_merge_config_selectorIslEEZZNS1_27merge_sort_block_merge_implIS3_PsN6thrust23THRUST_200600_302600_NS10device_ptrIlEEjNS1_19radix_merge_compareILb0ELb1EsNS0_19identity_decomposerEEEEE10hipError_tT0_T1_T2_jT3_P12ihipStream_tbPNSt15iterator_traitsISG_E10value_typeEPNSM_ISH_E10value_typeEPSI_NS1_7vsmem_tEENKUlT_SG_SH_SI_E_clIS7_S7_SB_PlEESF_SV_SG_SH_SI_EUlSV_E_NS1_11comp_targetILNS1_3genE3ELNS1_11target_archE908ELNS1_3gpuE7ELNS1_3repE0EEENS1_48merge_mergepath_partition_config_static_selectorELNS0_4arch9wavefront6targetE1EEEvSH_,comdat
	.protected	_ZN7rocprim17ROCPRIM_400000_NS6detail17trampoline_kernelINS0_14default_configENS1_38merge_sort_block_merge_config_selectorIslEEZZNS1_27merge_sort_block_merge_implIS3_PsN6thrust23THRUST_200600_302600_NS10device_ptrIlEEjNS1_19radix_merge_compareILb0ELb1EsNS0_19identity_decomposerEEEEE10hipError_tT0_T1_T2_jT3_P12ihipStream_tbPNSt15iterator_traitsISG_E10value_typeEPNSM_ISH_E10value_typeEPSI_NS1_7vsmem_tEENKUlT_SG_SH_SI_E_clIS7_S7_SB_PlEESF_SV_SG_SH_SI_EUlSV_E_NS1_11comp_targetILNS1_3genE3ELNS1_11target_archE908ELNS1_3gpuE7ELNS1_3repE0EEENS1_48merge_mergepath_partition_config_static_selectorELNS0_4arch9wavefront6targetE1EEEvSH_ ; -- Begin function _ZN7rocprim17ROCPRIM_400000_NS6detail17trampoline_kernelINS0_14default_configENS1_38merge_sort_block_merge_config_selectorIslEEZZNS1_27merge_sort_block_merge_implIS3_PsN6thrust23THRUST_200600_302600_NS10device_ptrIlEEjNS1_19radix_merge_compareILb0ELb1EsNS0_19identity_decomposerEEEEE10hipError_tT0_T1_T2_jT3_P12ihipStream_tbPNSt15iterator_traitsISG_E10value_typeEPNSM_ISH_E10value_typeEPSI_NS1_7vsmem_tEENKUlT_SG_SH_SI_E_clIS7_S7_SB_PlEESF_SV_SG_SH_SI_EUlSV_E_NS1_11comp_targetILNS1_3genE3ELNS1_11target_archE908ELNS1_3gpuE7ELNS1_3repE0EEENS1_48merge_mergepath_partition_config_static_selectorELNS0_4arch9wavefront6targetE1EEEvSH_
	.globl	_ZN7rocprim17ROCPRIM_400000_NS6detail17trampoline_kernelINS0_14default_configENS1_38merge_sort_block_merge_config_selectorIslEEZZNS1_27merge_sort_block_merge_implIS3_PsN6thrust23THRUST_200600_302600_NS10device_ptrIlEEjNS1_19radix_merge_compareILb0ELb1EsNS0_19identity_decomposerEEEEE10hipError_tT0_T1_T2_jT3_P12ihipStream_tbPNSt15iterator_traitsISG_E10value_typeEPNSM_ISH_E10value_typeEPSI_NS1_7vsmem_tEENKUlT_SG_SH_SI_E_clIS7_S7_SB_PlEESF_SV_SG_SH_SI_EUlSV_E_NS1_11comp_targetILNS1_3genE3ELNS1_11target_archE908ELNS1_3gpuE7ELNS1_3repE0EEENS1_48merge_mergepath_partition_config_static_selectorELNS0_4arch9wavefront6targetE1EEEvSH_
	.p2align	8
	.type	_ZN7rocprim17ROCPRIM_400000_NS6detail17trampoline_kernelINS0_14default_configENS1_38merge_sort_block_merge_config_selectorIslEEZZNS1_27merge_sort_block_merge_implIS3_PsN6thrust23THRUST_200600_302600_NS10device_ptrIlEEjNS1_19radix_merge_compareILb0ELb1EsNS0_19identity_decomposerEEEEE10hipError_tT0_T1_T2_jT3_P12ihipStream_tbPNSt15iterator_traitsISG_E10value_typeEPNSM_ISH_E10value_typeEPSI_NS1_7vsmem_tEENKUlT_SG_SH_SI_E_clIS7_S7_SB_PlEESF_SV_SG_SH_SI_EUlSV_E_NS1_11comp_targetILNS1_3genE3ELNS1_11target_archE908ELNS1_3gpuE7ELNS1_3repE0EEENS1_48merge_mergepath_partition_config_static_selectorELNS0_4arch9wavefront6targetE1EEEvSH_,@function
_ZN7rocprim17ROCPRIM_400000_NS6detail17trampoline_kernelINS0_14default_configENS1_38merge_sort_block_merge_config_selectorIslEEZZNS1_27merge_sort_block_merge_implIS3_PsN6thrust23THRUST_200600_302600_NS10device_ptrIlEEjNS1_19radix_merge_compareILb0ELb1EsNS0_19identity_decomposerEEEEE10hipError_tT0_T1_T2_jT3_P12ihipStream_tbPNSt15iterator_traitsISG_E10value_typeEPNSM_ISH_E10value_typeEPSI_NS1_7vsmem_tEENKUlT_SG_SH_SI_E_clIS7_S7_SB_PlEESF_SV_SG_SH_SI_EUlSV_E_NS1_11comp_targetILNS1_3genE3ELNS1_11target_archE908ELNS1_3gpuE7ELNS1_3repE0EEENS1_48merge_mergepath_partition_config_static_selectorELNS0_4arch9wavefront6targetE1EEEvSH_: ; @_ZN7rocprim17ROCPRIM_400000_NS6detail17trampoline_kernelINS0_14default_configENS1_38merge_sort_block_merge_config_selectorIslEEZZNS1_27merge_sort_block_merge_implIS3_PsN6thrust23THRUST_200600_302600_NS10device_ptrIlEEjNS1_19radix_merge_compareILb0ELb1EsNS0_19identity_decomposerEEEEE10hipError_tT0_T1_T2_jT3_P12ihipStream_tbPNSt15iterator_traitsISG_E10value_typeEPNSM_ISH_E10value_typeEPSI_NS1_7vsmem_tEENKUlT_SG_SH_SI_E_clIS7_S7_SB_PlEESF_SV_SG_SH_SI_EUlSV_E_NS1_11comp_targetILNS1_3genE3ELNS1_11target_archE908ELNS1_3gpuE7ELNS1_3repE0EEENS1_48merge_mergepath_partition_config_static_selectorELNS0_4arch9wavefront6targetE1EEEvSH_
; %bb.0:
	.section	.rodata,"a",@progbits
	.p2align	6, 0x0
	.amdhsa_kernel _ZN7rocprim17ROCPRIM_400000_NS6detail17trampoline_kernelINS0_14default_configENS1_38merge_sort_block_merge_config_selectorIslEEZZNS1_27merge_sort_block_merge_implIS3_PsN6thrust23THRUST_200600_302600_NS10device_ptrIlEEjNS1_19radix_merge_compareILb0ELb1EsNS0_19identity_decomposerEEEEE10hipError_tT0_T1_T2_jT3_P12ihipStream_tbPNSt15iterator_traitsISG_E10value_typeEPNSM_ISH_E10value_typeEPSI_NS1_7vsmem_tEENKUlT_SG_SH_SI_E_clIS7_S7_SB_PlEESF_SV_SG_SH_SI_EUlSV_E_NS1_11comp_targetILNS1_3genE3ELNS1_11target_archE908ELNS1_3gpuE7ELNS1_3repE0EEENS1_48merge_mergepath_partition_config_static_selectorELNS0_4arch9wavefront6targetE1EEEvSH_
		.amdhsa_group_segment_fixed_size 0
		.amdhsa_private_segment_fixed_size 0
		.amdhsa_kernarg_size 40
		.amdhsa_user_sgpr_count 6
		.amdhsa_user_sgpr_private_segment_buffer 1
		.amdhsa_user_sgpr_dispatch_ptr 0
		.amdhsa_user_sgpr_queue_ptr 0
		.amdhsa_user_sgpr_kernarg_segment_ptr 1
		.amdhsa_user_sgpr_dispatch_id 0
		.amdhsa_user_sgpr_flat_scratch_init 0
		.amdhsa_user_sgpr_kernarg_preload_length 0
		.amdhsa_user_sgpr_kernarg_preload_offset 0
		.amdhsa_user_sgpr_private_segment_size 0
		.amdhsa_uses_dynamic_stack 0
		.amdhsa_system_sgpr_private_segment_wavefront_offset 0
		.amdhsa_system_sgpr_workgroup_id_x 1
		.amdhsa_system_sgpr_workgroup_id_y 0
		.amdhsa_system_sgpr_workgroup_id_z 0
		.amdhsa_system_sgpr_workgroup_info 0
		.amdhsa_system_vgpr_workitem_id 0
		.amdhsa_next_free_vgpr 1
		.amdhsa_next_free_sgpr 0
		.amdhsa_accum_offset 4
		.amdhsa_reserve_vcc 0
		.amdhsa_reserve_flat_scratch 0
		.amdhsa_float_round_mode_32 0
		.amdhsa_float_round_mode_16_64 0
		.amdhsa_float_denorm_mode_32 3
		.amdhsa_float_denorm_mode_16_64 3
		.amdhsa_dx10_clamp 1
		.amdhsa_ieee_mode 1
		.amdhsa_fp16_overflow 0
		.amdhsa_tg_split 0
		.amdhsa_exception_fp_ieee_invalid_op 0
		.amdhsa_exception_fp_denorm_src 0
		.amdhsa_exception_fp_ieee_div_zero 0
		.amdhsa_exception_fp_ieee_overflow 0
		.amdhsa_exception_fp_ieee_underflow 0
		.amdhsa_exception_fp_ieee_inexact 0
		.amdhsa_exception_int_div_zero 0
	.end_amdhsa_kernel
	.section	.text._ZN7rocprim17ROCPRIM_400000_NS6detail17trampoline_kernelINS0_14default_configENS1_38merge_sort_block_merge_config_selectorIslEEZZNS1_27merge_sort_block_merge_implIS3_PsN6thrust23THRUST_200600_302600_NS10device_ptrIlEEjNS1_19radix_merge_compareILb0ELb1EsNS0_19identity_decomposerEEEEE10hipError_tT0_T1_T2_jT3_P12ihipStream_tbPNSt15iterator_traitsISG_E10value_typeEPNSM_ISH_E10value_typeEPSI_NS1_7vsmem_tEENKUlT_SG_SH_SI_E_clIS7_S7_SB_PlEESF_SV_SG_SH_SI_EUlSV_E_NS1_11comp_targetILNS1_3genE3ELNS1_11target_archE908ELNS1_3gpuE7ELNS1_3repE0EEENS1_48merge_mergepath_partition_config_static_selectorELNS0_4arch9wavefront6targetE1EEEvSH_,"axG",@progbits,_ZN7rocprim17ROCPRIM_400000_NS6detail17trampoline_kernelINS0_14default_configENS1_38merge_sort_block_merge_config_selectorIslEEZZNS1_27merge_sort_block_merge_implIS3_PsN6thrust23THRUST_200600_302600_NS10device_ptrIlEEjNS1_19radix_merge_compareILb0ELb1EsNS0_19identity_decomposerEEEEE10hipError_tT0_T1_T2_jT3_P12ihipStream_tbPNSt15iterator_traitsISG_E10value_typeEPNSM_ISH_E10value_typeEPSI_NS1_7vsmem_tEENKUlT_SG_SH_SI_E_clIS7_S7_SB_PlEESF_SV_SG_SH_SI_EUlSV_E_NS1_11comp_targetILNS1_3genE3ELNS1_11target_archE908ELNS1_3gpuE7ELNS1_3repE0EEENS1_48merge_mergepath_partition_config_static_selectorELNS0_4arch9wavefront6targetE1EEEvSH_,comdat
.Lfunc_end1360:
	.size	_ZN7rocprim17ROCPRIM_400000_NS6detail17trampoline_kernelINS0_14default_configENS1_38merge_sort_block_merge_config_selectorIslEEZZNS1_27merge_sort_block_merge_implIS3_PsN6thrust23THRUST_200600_302600_NS10device_ptrIlEEjNS1_19radix_merge_compareILb0ELb1EsNS0_19identity_decomposerEEEEE10hipError_tT0_T1_T2_jT3_P12ihipStream_tbPNSt15iterator_traitsISG_E10value_typeEPNSM_ISH_E10value_typeEPSI_NS1_7vsmem_tEENKUlT_SG_SH_SI_E_clIS7_S7_SB_PlEESF_SV_SG_SH_SI_EUlSV_E_NS1_11comp_targetILNS1_3genE3ELNS1_11target_archE908ELNS1_3gpuE7ELNS1_3repE0EEENS1_48merge_mergepath_partition_config_static_selectorELNS0_4arch9wavefront6targetE1EEEvSH_, .Lfunc_end1360-_ZN7rocprim17ROCPRIM_400000_NS6detail17trampoline_kernelINS0_14default_configENS1_38merge_sort_block_merge_config_selectorIslEEZZNS1_27merge_sort_block_merge_implIS3_PsN6thrust23THRUST_200600_302600_NS10device_ptrIlEEjNS1_19radix_merge_compareILb0ELb1EsNS0_19identity_decomposerEEEEE10hipError_tT0_T1_T2_jT3_P12ihipStream_tbPNSt15iterator_traitsISG_E10value_typeEPNSM_ISH_E10value_typeEPSI_NS1_7vsmem_tEENKUlT_SG_SH_SI_E_clIS7_S7_SB_PlEESF_SV_SG_SH_SI_EUlSV_E_NS1_11comp_targetILNS1_3genE3ELNS1_11target_archE908ELNS1_3gpuE7ELNS1_3repE0EEENS1_48merge_mergepath_partition_config_static_selectorELNS0_4arch9wavefront6targetE1EEEvSH_
                                        ; -- End function
	.section	.AMDGPU.csdata,"",@progbits
; Kernel info:
; codeLenInByte = 0
; NumSgprs: 4
; NumVgprs: 0
; NumAgprs: 0
; TotalNumVgprs: 0
; ScratchSize: 0
; MemoryBound: 0
; FloatMode: 240
; IeeeMode: 1
; LDSByteSize: 0 bytes/workgroup (compile time only)
; SGPRBlocks: 0
; VGPRBlocks: 0
; NumSGPRsForWavesPerEU: 4
; NumVGPRsForWavesPerEU: 1
; AccumOffset: 4
; Occupancy: 8
; WaveLimiterHint : 0
; COMPUTE_PGM_RSRC2:SCRATCH_EN: 0
; COMPUTE_PGM_RSRC2:USER_SGPR: 6
; COMPUTE_PGM_RSRC2:TRAP_HANDLER: 0
; COMPUTE_PGM_RSRC2:TGID_X_EN: 1
; COMPUTE_PGM_RSRC2:TGID_Y_EN: 0
; COMPUTE_PGM_RSRC2:TGID_Z_EN: 0
; COMPUTE_PGM_RSRC2:TIDIG_COMP_CNT: 0
; COMPUTE_PGM_RSRC3_GFX90A:ACCUM_OFFSET: 0
; COMPUTE_PGM_RSRC3_GFX90A:TG_SPLIT: 0
	.section	.text._ZN7rocprim17ROCPRIM_400000_NS6detail17trampoline_kernelINS0_14default_configENS1_38merge_sort_block_merge_config_selectorIslEEZZNS1_27merge_sort_block_merge_implIS3_PsN6thrust23THRUST_200600_302600_NS10device_ptrIlEEjNS1_19radix_merge_compareILb0ELb1EsNS0_19identity_decomposerEEEEE10hipError_tT0_T1_T2_jT3_P12ihipStream_tbPNSt15iterator_traitsISG_E10value_typeEPNSM_ISH_E10value_typeEPSI_NS1_7vsmem_tEENKUlT_SG_SH_SI_E_clIS7_S7_SB_PlEESF_SV_SG_SH_SI_EUlSV_E_NS1_11comp_targetILNS1_3genE2ELNS1_11target_archE906ELNS1_3gpuE6ELNS1_3repE0EEENS1_48merge_mergepath_partition_config_static_selectorELNS0_4arch9wavefront6targetE1EEEvSH_,"axG",@progbits,_ZN7rocprim17ROCPRIM_400000_NS6detail17trampoline_kernelINS0_14default_configENS1_38merge_sort_block_merge_config_selectorIslEEZZNS1_27merge_sort_block_merge_implIS3_PsN6thrust23THRUST_200600_302600_NS10device_ptrIlEEjNS1_19radix_merge_compareILb0ELb1EsNS0_19identity_decomposerEEEEE10hipError_tT0_T1_T2_jT3_P12ihipStream_tbPNSt15iterator_traitsISG_E10value_typeEPNSM_ISH_E10value_typeEPSI_NS1_7vsmem_tEENKUlT_SG_SH_SI_E_clIS7_S7_SB_PlEESF_SV_SG_SH_SI_EUlSV_E_NS1_11comp_targetILNS1_3genE2ELNS1_11target_archE906ELNS1_3gpuE6ELNS1_3repE0EEENS1_48merge_mergepath_partition_config_static_selectorELNS0_4arch9wavefront6targetE1EEEvSH_,comdat
	.protected	_ZN7rocprim17ROCPRIM_400000_NS6detail17trampoline_kernelINS0_14default_configENS1_38merge_sort_block_merge_config_selectorIslEEZZNS1_27merge_sort_block_merge_implIS3_PsN6thrust23THRUST_200600_302600_NS10device_ptrIlEEjNS1_19radix_merge_compareILb0ELb1EsNS0_19identity_decomposerEEEEE10hipError_tT0_T1_T2_jT3_P12ihipStream_tbPNSt15iterator_traitsISG_E10value_typeEPNSM_ISH_E10value_typeEPSI_NS1_7vsmem_tEENKUlT_SG_SH_SI_E_clIS7_S7_SB_PlEESF_SV_SG_SH_SI_EUlSV_E_NS1_11comp_targetILNS1_3genE2ELNS1_11target_archE906ELNS1_3gpuE6ELNS1_3repE0EEENS1_48merge_mergepath_partition_config_static_selectorELNS0_4arch9wavefront6targetE1EEEvSH_ ; -- Begin function _ZN7rocprim17ROCPRIM_400000_NS6detail17trampoline_kernelINS0_14default_configENS1_38merge_sort_block_merge_config_selectorIslEEZZNS1_27merge_sort_block_merge_implIS3_PsN6thrust23THRUST_200600_302600_NS10device_ptrIlEEjNS1_19radix_merge_compareILb0ELb1EsNS0_19identity_decomposerEEEEE10hipError_tT0_T1_T2_jT3_P12ihipStream_tbPNSt15iterator_traitsISG_E10value_typeEPNSM_ISH_E10value_typeEPSI_NS1_7vsmem_tEENKUlT_SG_SH_SI_E_clIS7_S7_SB_PlEESF_SV_SG_SH_SI_EUlSV_E_NS1_11comp_targetILNS1_3genE2ELNS1_11target_archE906ELNS1_3gpuE6ELNS1_3repE0EEENS1_48merge_mergepath_partition_config_static_selectorELNS0_4arch9wavefront6targetE1EEEvSH_
	.globl	_ZN7rocprim17ROCPRIM_400000_NS6detail17trampoline_kernelINS0_14default_configENS1_38merge_sort_block_merge_config_selectorIslEEZZNS1_27merge_sort_block_merge_implIS3_PsN6thrust23THRUST_200600_302600_NS10device_ptrIlEEjNS1_19radix_merge_compareILb0ELb1EsNS0_19identity_decomposerEEEEE10hipError_tT0_T1_T2_jT3_P12ihipStream_tbPNSt15iterator_traitsISG_E10value_typeEPNSM_ISH_E10value_typeEPSI_NS1_7vsmem_tEENKUlT_SG_SH_SI_E_clIS7_S7_SB_PlEESF_SV_SG_SH_SI_EUlSV_E_NS1_11comp_targetILNS1_3genE2ELNS1_11target_archE906ELNS1_3gpuE6ELNS1_3repE0EEENS1_48merge_mergepath_partition_config_static_selectorELNS0_4arch9wavefront6targetE1EEEvSH_
	.p2align	8
	.type	_ZN7rocprim17ROCPRIM_400000_NS6detail17trampoline_kernelINS0_14default_configENS1_38merge_sort_block_merge_config_selectorIslEEZZNS1_27merge_sort_block_merge_implIS3_PsN6thrust23THRUST_200600_302600_NS10device_ptrIlEEjNS1_19radix_merge_compareILb0ELb1EsNS0_19identity_decomposerEEEEE10hipError_tT0_T1_T2_jT3_P12ihipStream_tbPNSt15iterator_traitsISG_E10value_typeEPNSM_ISH_E10value_typeEPSI_NS1_7vsmem_tEENKUlT_SG_SH_SI_E_clIS7_S7_SB_PlEESF_SV_SG_SH_SI_EUlSV_E_NS1_11comp_targetILNS1_3genE2ELNS1_11target_archE906ELNS1_3gpuE6ELNS1_3repE0EEENS1_48merge_mergepath_partition_config_static_selectorELNS0_4arch9wavefront6targetE1EEEvSH_,@function
_ZN7rocprim17ROCPRIM_400000_NS6detail17trampoline_kernelINS0_14default_configENS1_38merge_sort_block_merge_config_selectorIslEEZZNS1_27merge_sort_block_merge_implIS3_PsN6thrust23THRUST_200600_302600_NS10device_ptrIlEEjNS1_19radix_merge_compareILb0ELb1EsNS0_19identity_decomposerEEEEE10hipError_tT0_T1_T2_jT3_P12ihipStream_tbPNSt15iterator_traitsISG_E10value_typeEPNSM_ISH_E10value_typeEPSI_NS1_7vsmem_tEENKUlT_SG_SH_SI_E_clIS7_S7_SB_PlEESF_SV_SG_SH_SI_EUlSV_E_NS1_11comp_targetILNS1_3genE2ELNS1_11target_archE906ELNS1_3gpuE6ELNS1_3repE0EEENS1_48merge_mergepath_partition_config_static_selectorELNS0_4arch9wavefront6targetE1EEEvSH_: ; @_ZN7rocprim17ROCPRIM_400000_NS6detail17trampoline_kernelINS0_14default_configENS1_38merge_sort_block_merge_config_selectorIslEEZZNS1_27merge_sort_block_merge_implIS3_PsN6thrust23THRUST_200600_302600_NS10device_ptrIlEEjNS1_19radix_merge_compareILb0ELb1EsNS0_19identity_decomposerEEEEE10hipError_tT0_T1_T2_jT3_P12ihipStream_tbPNSt15iterator_traitsISG_E10value_typeEPNSM_ISH_E10value_typeEPSI_NS1_7vsmem_tEENKUlT_SG_SH_SI_E_clIS7_S7_SB_PlEESF_SV_SG_SH_SI_EUlSV_E_NS1_11comp_targetILNS1_3genE2ELNS1_11target_archE906ELNS1_3gpuE6ELNS1_3repE0EEENS1_48merge_mergepath_partition_config_static_selectorELNS0_4arch9wavefront6targetE1EEEvSH_
; %bb.0:
	.section	.rodata,"a",@progbits
	.p2align	6, 0x0
	.amdhsa_kernel _ZN7rocprim17ROCPRIM_400000_NS6detail17trampoline_kernelINS0_14default_configENS1_38merge_sort_block_merge_config_selectorIslEEZZNS1_27merge_sort_block_merge_implIS3_PsN6thrust23THRUST_200600_302600_NS10device_ptrIlEEjNS1_19radix_merge_compareILb0ELb1EsNS0_19identity_decomposerEEEEE10hipError_tT0_T1_T2_jT3_P12ihipStream_tbPNSt15iterator_traitsISG_E10value_typeEPNSM_ISH_E10value_typeEPSI_NS1_7vsmem_tEENKUlT_SG_SH_SI_E_clIS7_S7_SB_PlEESF_SV_SG_SH_SI_EUlSV_E_NS1_11comp_targetILNS1_3genE2ELNS1_11target_archE906ELNS1_3gpuE6ELNS1_3repE0EEENS1_48merge_mergepath_partition_config_static_selectorELNS0_4arch9wavefront6targetE1EEEvSH_
		.amdhsa_group_segment_fixed_size 0
		.amdhsa_private_segment_fixed_size 0
		.amdhsa_kernarg_size 40
		.amdhsa_user_sgpr_count 6
		.amdhsa_user_sgpr_private_segment_buffer 1
		.amdhsa_user_sgpr_dispatch_ptr 0
		.amdhsa_user_sgpr_queue_ptr 0
		.amdhsa_user_sgpr_kernarg_segment_ptr 1
		.amdhsa_user_sgpr_dispatch_id 0
		.amdhsa_user_sgpr_flat_scratch_init 0
		.amdhsa_user_sgpr_kernarg_preload_length 0
		.amdhsa_user_sgpr_kernarg_preload_offset 0
		.amdhsa_user_sgpr_private_segment_size 0
		.amdhsa_uses_dynamic_stack 0
		.amdhsa_system_sgpr_private_segment_wavefront_offset 0
		.amdhsa_system_sgpr_workgroup_id_x 1
		.amdhsa_system_sgpr_workgroup_id_y 0
		.amdhsa_system_sgpr_workgroup_id_z 0
		.amdhsa_system_sgpr_workgroup_info 0
		.amdhsa_system_vgpr_workitem_id 0
		.amdhsa_next_free_vgpr 1
		.amdhsa_next_free_sgpr 0
		.amdhsa_accum_offset 4
		.amdhsa_reserve_vcc 0
		.amdhsa_reserve_flat_scratch 0
		.amdhsa_float_round_mode_32 0
		.amdhsa_float_round_mode_16_64 0
		.amdhsa_float_denorm_mode_32 3
		.amdhsa_float_denorm_mode_16_64 3
		.amdhsa_dx10_clamp 1
		.amdhsa_ieee_mode 1
		.amdhsa_fp16_overflow 0
		.amdhsa_tg_split 0
		.amdhsa_exception_fp_ieee_invalid_op 0
		.amdhsa_exception_fp_denorm_src 0
		.amdhsa_exception_fp_ieee_div_zero 0
		.amdhsa_exception_fp_ieee_overflow 0
		.amdhsa_exception_fp_ieee_underflow 0
		.amdhsa_exception_fp_ieee_inexact 0
		.amdhsa_exception_int_div_zero 0
	.end_amdhsa_kernel
	.section	.text._ZN7rocprim17ROCPRIM_400000_NS6detail17trampoline_kernelINS0_14default_configENS1_38merge_sort_block_merge_config_selectorIslEEZZNS1_27merge_sort_block_merge_implIS3_PsN6thrust23THRUST_200600_302600_NS10device_ptrIlEEjNS1_19radix_merge_compareILb0ELb1EsNS0_19identity_decomposerEEEEE10hipError_tT0_T1_T2_jT3_P12ihipStream_tbPNSt15iterator_traitsISG_E10value_typeEPNSM_ISH_E10value_typeEPSI_NS1_7vsmem_tEENKUlT_SG_SH_SI_E_clIS7_S7_SB_PlEESF_SV_SG_SH_SI_EUlSV_E_NS1_11comp_targetILNS1_3genE2ELNS1_11target_archE906ELNS1_3gpuE6ELNS1_3repE0EEENS1_48merge_mergepath_partition_config_static_selectorELNS0_4arch9wavefront6targetE1EEEvSH_,"axG",@progbits,_ZN7rocprim17ROCPRIM_400000_NS6detail17trampoline_kernelINS0_14default_configENS1_38merge_sort_block_merge_config_selectorIslEEZZNS1_27merge_sort_block_merge_implIS3_PsN6thrust23THRUST_200600_302600_NS10device_ptrIlEEjNS1_19radix_merge_compareILb0ELb1EsNS0_19identity_decomposerEEEEE10hipError_tT0_T1_T2_jT3_P12ihipStream_tbPNSt15iterator_traitsISG_E10value_typeEPNSM_ISH_E10value_typeEPSI_NS1_7vsmem_tEENKUlT_SG_SH_SI_E_clIS7_S7_SB_PlEESF_SV_SG_SH_SI_EUlSV_E_NS1_11comp_targetILNS1_3genE2ELNS1_11target_archE906ELNS1_3gpuE6ELNS1_3repE0EEENS1_48merge_mergepath_partition_config_static_selectorELNS0_4arch9wavefront6targetE1EEEvSH_,comdat
.Lfunc_end1361:
	.size	_ZN7rocprim17ROCPRIM_400000_NS6detail17trampoline_kernelINS0_14default_configENS1_38merge_sort_block_merge_config_selectorIslEEZZNS1_27merge_sort_block_merge_implIS3_PsN6thrust23THRUST_200600_302600_NS10device_ptrIlEEjNS1_19radix_merge_compareILb0ELb1EsNS0_19identity_decomposerEEEEE10hipError_tT0_T1_T2_jT3_P12ihipStream_tbPNSt15iterator_traitsISG_E10value_typeEPNSM_ISH_E10value_typeEPSI_NS1_7vsmem_tEENKUlT_SG_SH_SI_E_clIS7_S7_SB_PlEESF_SV_SG_SH_SI_EUlSV_E_NS1_11comp_targetILNS1_3genE2ELNS1_11target_archE906ELNS1_3gpuE6ELNS1_3repE0EEENS1_48merge_mergepath_partition_config_static_selectorELNS0_4arch9wavefront6targetE1EEEvSH_, .Lfunc_end1361-_ZN7rocprim17ROCPRIM_400000_NS6detail17trampoline_kernelINS0_14default_configENS1_38merge_sort_block_merge_config_selectorIslEEZZNS1_27merge_sort_block_merge_implIS3_PsN6thrust23THRUST_200600_302600_NS10device_ptrIlEEjNS1_19radix_merge_compareILb0ELb1EsNS0_19identity_decomposerEEEEE10hipError_tT0_T1_T2_jT3_P12ihipStream_tbPNSt15iterator_traitsISG_E10value_typeEPNSM_ISH_E10value_typeEPSI_NS1_7vsmem_tEENKUlT_SG_SH_SI_E_clIS7_S7_SB_PlEESF_SV_SG_SH_SI_EUlSV_E_NS1_11comp_targetILNS1_3genE2ELNS1_11target_archE906ELNS1_3gpuE6ELNS1_3repE0EEENS1_48merge_mergepath_partition_config_static_selectorELNS0_4arch9wavefront6targetE1EEEvSH_
                                        ; -- End function
	.section	.AMDGPU.csdata,"",@progbits
; Kernel info:
; codeLenInByte = 0
; NumSgprs: 4
; NumVgprs: 0
; NumAgprs: 0
; TotalNumVgprs: 0
; ScratchSize: 0
; MemoryBound: 0
; FloatMode: 240
; IeeeMode: 1
; LDSByteSize: 0 bytes/workgroup (compile time only)
; SGPRBlocks: 0
; VGPRBlocks: 0
; NumSGPRsForWavesPerEU: 4
; NumVGPRsForWavesPerEU: 1
; AccumOffset: 4
; Occupancy: 8
; WaveLimiterHint : 0
; COMPUTE_PGM_RSRC2:SCRATCH_EN: 0
; COMPUTE_PGM_RSRC2:USER_SGPR: 6
; COMPUTE_PGM_RSRC2:TRAP_HANDLER: 0
; COMPUTE_PGM_RSRC2:TGID_X_EN: 1
; COMPUTE_PGM_RSRC2:TGID_Y_EN: 0
; COMPUTE_PGM_RSRC2:TGID_Z_EN: 0
; COMPUTE_PGM_RSRC2:TIDIG_COMP_CNT: 0
; COMPUTE_PGM_RSRC3_GFX90A:ACCUM_OFFSET: 0
; COMPUTE_PGM_RSRC3_GFX90A:TG_SPLIT: 0
	.section	.text._ZN7rocprim17ROCPRIM_400000_NS6detail17trampoline_kernelINS0_14default_configENS1_38merge_sort_block_merge_config_selectorIslEEZZNS1_27merge_sort_block_merge_implIS3_PsN6thrust23THRUST_200600_302600_NS10device_ptrIlEEjNS1_19radix_merge_compareILb0ELb1EsNS0_19identity_decomposerEEEEE10hipError_tT0_T1_T2_jT3_P12ihipStream_tbPNSt15iterator_traitsISG_E10value_typeEPNSM_ISH_E10value_typeEPSI_NS1_7vsmem_tEENKUlT_SG_SH_SI_E_clIS7_S7_SB_PlEESF_SV_SG_SH_SI_EUlSV_E_NS1_11comp_targetILNS1_3genE9ELNS1_11target_archE1100ELNS1_3gpuE3ELNS1_3repE0EEENS1_48merge_mergepath_partition_config_static_selectorELNS0_4arch9wavefront6targetE1EEEvSH_,"axG",@progbits,_ZN7rocprim17ROCPRIM_400000_NS6detail17trampoline_kernelINS0_14default_configENS1_38merge_sort_block_merge_config_selectorIslEEZZNS1_27merge_sort_block_merge_implIS3_PsN6thrust23THRUST_200600_302600_NS10device_ptrIlEEjNS1_19radix_merge_compareILb0ELb1EsNS0_19identity_decomposerEEEEE10hipError_tT0_T1_T2_jT3_P12ihipStream_tbPNSt15iterator_traitsISG_E10value_typeEPNSM_ISH_E10value_typeEPSI_NS1_7vsmem_tEENKUlT_SG_SH_SI_E_clIS7_S7_SB_PlEESF_SV_SG_SH_SI_EUlSV_E_NS1_11comp_targetILNS1_3genE9ELNS1_11target_archE1100ELNS1_3gpuE3ELNS1_3repE0EEENS1_48merge_mergepath_partition_config_static_selectorELNS0_4arch9wavefront6targetE1EEEvSH_,comdat
	.protected	_ZN7rocprim17ROCPRIM_400000_NS6detail17trampoline_kernelINS0_14default_configENS1_38merge_sort_block_merge_config_selectorIslEEZZNS1_27merge_sort_block_merge_implIS3_PsN6thrust23THRUST_200600_302600_NS10device_ptrIlEEjNS1_19radix_merge_compareILb0ELb1EsNS0_19identity_decomposerEEEEE10hipError_tT0_T1_T2_jT3_P12ihipStream_tbPNSt15iterator_traitsISG_E10value_typeEPNSM_ISH_E10value_typeEPSI_NS1_7vsmem_tEENKUlT_SG_SH_SI_E_clIS7_S7_SB_PlEESF_SV_SG_SH_SI_EUlSV_E_NS1_11comp_targetILNS1_3genE9ELNS1_11target_archE1100ELNS1_3gpuE3ELNS1_3repE0EEENS1_48merge_mergepath_partition_config_static_selectorELNS0_4arch9wavefront6targetE1EEEvSH_ ; -- Begin function _ZN7rocprim17ROCPRIM_400000_NS6detail17trampoline_kernelINS0_14default_configENS1_38merge_sort_block_merge_config_selectorIslEEZZNS1_27merge_sort_block_merge_implIS3_PsN6thrust23THRUST_200600_302600_NS10device_ptrIlEEjNS1_19radix_merge_compareILb0ELb1EsNS0_19identity_decomposerEEEEE10hipError_tT0_T1_T2_jT3_P12ihipStream_tbPNSt15iterator_traitsISG_E10value_typeEPNSM_ISH_E10value_typeEPSI_NS1_7vsmem_tEENKUlT_SG_SH_SI_E_clIS7_S7_SB_PlEESF_SV_SG_SH_SI_EUlSV_E_NS1_11comp_targetILNS1_3genE9ELNS1_11target_archE1100ELNS1_3gpuE3ELNS1_3repE0EEENS1_48merge_mergepath_partition_config_static_selectorELNS0_4arch9wavefront6targetE1EEEvSH_
	.globl	_ZN7rocprim17ROCPRIM_400000_NS6detail17trampoline_kernelINS0_14default_configENS1_38merge_sort_block_merge_config_selectorIslEEZZNS1_27merge_sort_block_merge_implIS3_PsN6thrust23THRUST_200600_302600_NS10device_ptrIlEEjNS1_19radix_merge_compareILb0ELb1EsNS0_19identity_decomposerEEEEE10hipError_tT0_T1_T2_jT3_P12ihipStream_tbPNSt15iterator_traitsISG_E10value_typeEPNSM_ISH_E10value_typeEPSI_NS1_7vsmem_tEENKUlT_SG_SH_SI_E_clIS7_S7_SB_PlEESF_SV_SG_SH_SI_EUlSV_E_NS1_11comp_targetILNS1_3genE9ELNS1_11target_archE1100ELNS1_3gpuE3ELNS1_3repE0EEENS1_48merge_mergepath_partition_config_static_selectorELNS0_4arch9wavefront6targetE1EEEvSH_
	.p2align	8
	.type	_ZN7rocprim17ROCPRIM_400000_NS6detail17trampoline_kernelINS0_14default_configENS1_38merge_sort_block_merge_config_selectorIslEEZZNS1_27merge_sort_block_merge_implIS3_PsN6thrust23THRUST_200600_302600_NS10device_ptrIlEEjNS1_19radix_merge_compareILb0ELb1EsNS0_19identity_decomposerEEEEE10hipError_tT0_T1_T2_jT3_P12ihipStream_tbPNSt15iterator_traitsISG_E10value_typeEPNSM_ISH_E10value_typeEPSI_NS1_7vsmem_tEENKUlT_SG_SH_SI_E_clIS7_S7_SB_PlEESF_SV_SG_SH_SI_EUlSV_E_NS1_11comp_targetILNS1_3genE9ELNS1_11target_archE1100ELNS1_3gpuE3ELNS1_3repE0EEENS1_48merge_mergepath_partition_config_static_selectorELNS0_4arch9wavefront6targetE1EEEvSH_,@function
_ZN7rocprim17ROCPRIM_400000_NS6detail17trampoline_kernelINS0_14default_configENS1_38merge_sort_block_merge_config_selectorIslEEZZNS1_27merge_sort_block_merge_implIS3_PsN6thrust23THRUST_200600_302600_NS10device_ptrIlEEjNS1_19radix_merge_compareILb0ELb1EsNS0_19identity_decomposerEEEEE10hipError_tT0_T1_T2_jT3_P12ihipStream_tbPNSt15iterator_traitsISG_E10value_typeEPNSM_ISH_E10value_typeEPSI_NS1_7vsmem_tEENKUlT_SG_SH_SI_E_clIS7_S7_SB_PlEESF_SV_SG_SH_SI_EUlSV_E_NS1_11comp_targetILNS1_3genE9ELNS1_11target_archE1100ELNS1_3gpuE3ELNS1_3repE0EEENS1_48merge_mergepath_partition_config_static_selectorELNS0_4arch9wavefront6targetE1EEEvSH_: ; @_ZN7rocprim17ROCPRIM_400000_NS6detail17trampoline_kernelINS0_14default_configENS1_38merge_sort_block_merge_config_selectorIslEEZZNS1_27merge_sort_block_merge_implIS3_PsN6thrust23THRUST_200600_302600_NS10device_ptrIlEEjNS1_19radix_merge_compareILb0ELb1EsNS0_19identity_decomposerEEEEE10hipError_tT0_T1_T2_jT3_P12ihipStream_tbPNSt15iterator_traitsISG_E10value_typeEPNSM_ISH_E10value_typeEPSI_NS1_7vsmem_tEENKUlT_SG_SH_SI_E_clIS7_S7_SB_PlEESF_SV_SG_SH_SI_EUlSV_E_NS1_11comp_targetILNS1_3genE9ELNS1_11target_archE1100ELNS1_3gpuE3ELNS1_3repE0EEENS1_48merge_mergepath_partition_config_static_selectorELNS0_4arch9wavefront6targetE1EEEvSH_
; %bb.0:
	.section	.rodata,"a",@progbits
	.p2align	6, 0x0
	.amdhsa_kernel _ZN7rocprim17ROCPRIM_400000_NS6detail17trampoline_kernelINS0_14default_configENS1_38merge_sort_block_merge_config_selectorIslEEZZNS1_27merge_sort_block_merge_implIS3_PsN6thrust23THRUST_200600_302600_NS10device_ptrIlEEjNS1_19radix_merge_compareILb0ELb1EsNS0_19identity_decomposerEEEEE10hipError_tT0_T1_T2_jT3_P12ihipStream_tbPNSt15iterator_traitsISG_E10value_typeEPNSM_ISH_E10value_typeEPSI_NS1_7vsmem_tEENKUlT_SG_SH_SI_E_clIS7_S7_SB_PlEESF_SV_SG_SH_SI_EUlSV_E_NS1_11comp_targetILNS1_3genE9ELNS1_11target_archE1100ELNS1_3gpuE3ELNS1_3repE0EEENS1_48merge_mergepath_partition_config_static_selectorELNS0_4arch9wavefront6targetE1EEEvSH_
		.amdhsa_group_segment_fixed_size 0
		.amdhsa_private_segment_fixed_size 0
		.amdhsa_kernarg_size 40
		.amdhsa_user_sgpr_count 6
		.amdhsa_user_sgpr_private_segment_buffer 1
		.amdhsa_user_sgpr_dispatch_ptr 0
		.amdhsa_user_sgpr_queue_ptr 0
		.amdhsa_user_sgpr_kernarg_segment_ptr 1
		.amdhsa_user_sgpr_dispatch_id 0
		.amdhsa_user_sgpr_flat_scratch_init 0
		.amdhsa_user_sgpr_kernarg_preload_length 0
		.amdhsa_user_sgpr_kernarg_preload_offset 0
		.amdhsa_user_sgpr_private_segment_size 0
		.amdhsa_uses_dynamic_stack 0
		.amdhsa_system_sgpr_private_segment_wavefront_offset 0
		.amdhsa_system_sgpr_workgroup_id_x 1
		.amdhsa_system_sgpr_workgroup_id_y 0
		.amdhsa_system_sgpr_workgroup_id_z 0
		.amdhsa_system_sgpr_workgroup_info 0
		.amdhsa_system_vgpr_workitem_id 0
		.amdhsa_next_free_vgpr 1
		.amdhsa_next_free_sgpr 0
		.amdhsa_accum_offset 4
		.amdhsa_reserve_vcc 0
		.amdhsa_reserve_flat_scratch 0
		.amdhsa_float_round_mode_32 0
		.amdhsa_float_round_mode_16_64 0
		.amdhsa_float_denorm_mode_32 3
		.amdhsa_float_denorm_mode_16_64 3
		.amdhsa_dx10_clamp 1
		.amdhsa_ieee_mode 1
		.amdhsa_fp16_overflow 0
		.amdhsa_tg_split 0
		.amdhsa_exception_fp_ieee_invalid_op 0
		.amdhsa_exception_fp_denorm_src 0
		.amdhsa_exception_fp_ieee_div_zero 0
		.amdhsa_exception_fp_ieee_overflow 0
		.amdhsa_exception_fp_ieee_underflow 0
		.amdhsa_exception_fp_ieee_inexact 0
		.amdhsa_exception_int_div_zero 0
	.end_amdhsa_kernel
	.section	.text._ZN7rocprim17ROCPRIM_400000_NS6detail17trampoline_kernelINS0_14default_configENS1_38merge_sort_block_merge_config_selectorIslEEZZNS1_27merge_sort_block_merge_implIS3_PsN6thrust23THRUST_200600_302600_NS10device_ptrIlEEjNS1_19radix_merge_compareILb0ELb1EsNS0_19identity_decomposerEEEEE10hipError_tT0_T1_T2_jT3_P12ihipStream_tbPNSt15iterator_traitsISG_E10value_typeEPNSM_ISH_E10value_typeEPSI_NS1_7vsmem_tEENKUlT_SG_SH_SI_E_clIS7_S7_SB_PlEESF_SV_SG_SH_SI_EUlSV_E_NS1_11comp_targetILNS1_3genE9ELNS1_11target_archE1100ELNS1_3gpuE3ELNS1_3repE0EEENS1_48merge_mergepath_partition_config_static_selectorELNS0_4arch9wavefront6targetE1EEEvSH_,"axG",@progbits,_ZN7rocprim17ROCPRIM_400000_NS6detail17trampoline_kernelINS0_14default_configENS1_38merge_sort_block_merge_config_selectorIslEEZZNS1_27merge_sort_block_merge_implIS3_PsN6thrust23THRUST_200600_302600_NS10device_ptrIlEEjNS1_19radix_merge_compareILb0ELb1EsNS0_19identity_decomposerEEEEE10hipError_tT0_T1_T2_jT3_P12ihipStream_tbPNSt15iterator_traitsISG_E10value_typeEPNSM_ISH_E10value_typeEPSI_NS1_7vsmem_tEENKUlT_SG_SH_SI_E_clIS7_S7_SB_PlEESF_SV_SG_SH_SI_EUlSV_E_NS1_11comp_targetILNS1_3genE9ELNS1_11target_archE1100ELNS1_3gpuE3ELNS1_3repE0EEENS1_48merge_mergepath_partition_config_static_selectorELNS0_4arch9wavefront6targetE1EEEvSH_,comdat
.Lfunc_end1362:
	.size	_ZN7rocprim17ROCPRIM_400000_NS6detail17trampoline_kernelINS0_14default_configENS1_38merge_sort_block_merge_config_selectorIslEEZZNS1_27merge_sort_block_merge_implIS3_PsN6thrust23THRUST_200600_302600_NS10device_ptrIlEEjNS1_19radix_merge_compareILb0ELb1EsNS0_19identity_decomposerEEEEE10hipError_tT0_T1_T2_jT3_P12ihipStream_tbPNSt15iterator_traitsISG_E10value_typeEPNSM_ISH_E10value_typeEPSI_NS1_7vsmem_tEENKUlT_SG_SH_SI_E_clIS7_S7_SB_PlEESF_SV_SG_SH_SI_EUlSV_E_NS1_11comp_targetILNS1_3genE9ELNS1_11target_archE1100ELNS1_3gpuE3ELNS1_3repE0EEENS1_48merge_mergepath_partition_config_static_selectorELNS0_4arch9wavefront6targetE1EEEvSH_, .Lfunc_end1362-_ZN7rocprim17ROCPRIM_400000_NS6detail17trampoline_kernelINS0_14default_configENS1_38merge_sort_block_merge_config_selectorIslEEZZNS1_27merge_sort_block_merge_implIS3_PsN6thrust23THRUST_200600_302600_NS10device_ptrIlEEjNS1_19radix_merge_compareILb0ELb1EsNS0_19identity_decomposerEEEEE10hipError_tT0_T1_T2_jT3_P12ihipStream_tbPNSt15iterator_traitsISG_E10value_typeEPNSM_ISH_E10value_typeEPSI_NS1_7vsmem_tEENKUlT_SG_SH_SI_E_clIS7_S7_SB_PlEESF_SV_SG_SH_SI_EUlSV_E_NS1_11comp_targetILNS1_3genE9ELNS1_11target_archE1100ELNS1_3gpuE3ELNS1_3repE0EEENS1_48merge_mergepath_partition_config_static_selectorELNS0_4arch9wavefront6targetE1EEEvSH_
                                        ; -- End function
	.section	.AMDGPU.csdata,"",@progbits
; Kernel info:
; codeLenInByte = 0
; NumSgprs: 4
; NumVgprs: 0
; NumAgprs: 0
; TotalNumVgprs: 0
; ScratchSize: 0
; MemoryBound: 0
; FloatMode: 240
; IeeeMode: 1
; LDSByteSize: 0 bytes/workgroup (compile time only)
; SGPRBlocks: 0
; VGPRBlocks: 0
; NumSGPRsForWavesPerEU: 4
; NumVGPRsForWavesPerEU: 1
; AccumOffset: 4
; Occupancy: 8
; WaveLimiterHint : 0
; COMPUTE_PGM_RSRC2:SCRATCH_EN: 0
; COMPUTE_PGM_RSRC2:USER_SGPR: 6
; COMPUTE_PGM_RSRC2:TRAP_HANDLER: 0
; COMPUTE_PGM_RSRC2:TGID_X_EN: 1
; COMPUTE_PGM_RSRC2:TGID_Y_EN: 0
; COMPUTE_PGM_RSRC2:TGID_Z_EN: 0
; COMPUTE_PGM_RSRC2:TIDIG_COMP_CNT: 0
; COMPUTE_PGM_RSRC3_GFX90A:ACCUM_OFFSET: 0
; COMPUTE_PGM_RSRC3_GFX90A:TG_SPLIT: 0
	.section	.text._ZN7rocprim17ROCPRIM_400000_NS6detail17trampoline_kernelINS0_14default_configENS1_38merge_sort_block_merge_config_selectorIslEEZZNS1_27merge_sort_block_merge_implIS3_PsN6thrust23THRUST_200600_302600_NS10device_ptrIlEEjNS1_19radix_merge_compareILb0ELb1EsNS0_19identity_decomposerEEEEE10hipError_tT0_T1_T2_jT3_P12ihipStream_tbPNSt15iterator_traitsISG_E10value_typeEPNSM_ISH_E10value_typeEPSI_NS1_7vsmem_tEENKUlT_SG_SH_SI_E_clIS7_S7_SB_PlEESF_SV_SG_SH_SI_EUlSV_E_NS1_11comp_targetILNS1_3genE8ELNS1_11target_archE1030ELNS1_3gpuE2ELNS1_3repE0EEENS1_48merge_mergepath_partition_config_static_selectorELNS0_4arch9wavefront6targetE1EEEvSH_,"axG",@progbits,_ZN7rocprim17ROCPRIM_400000_NS6detail17trampoline_kernelINS0_14default_configENS1_38merge_sort_block_merge_config_selectorIslEEZZNS1_27merge_sort_block_merge_implIS3_PsN6thrust23THRUST_200600_302600_NS10device_ptrIlEEjNS1_19radix_merge_compareILb0ELb1EsNS0_19identity_decomposerEEEEE10hipError_tT0_T1_T2_jT3_P12ihipStream_tbPNSt15iterator_traitsISG_E10value_typeEPNSM_ISH_E10value_typeEPSI_NS1_7vsmem_tEENKUlT_SG_SH_SI_E_clIS7_S7_SB_PlEESF_SV_SG_SH_SI_EUlSV_E_NS1_11comp_targetILNS1_3genE8ELNS1_11target_archE1030ELNS1_3gpuE2ELNS1_3repE0EEENS1_48merge_mergepath_partition_config_static_selectorELNS0_4arch9wavefront6targetE1EEEvSH_,comdat
	.protected	_ZN7rocprim17ROCPRIM_400000_NS6detail17trampoline_kernelINS0_14default_configENS1_38merge_sort_block_merge_config_selectorIslEEZZNS1_27merge_sort_block_merge_implIS3_PsN6thrust23THRUST_200600_302600_NS10device_ptrIlEEjNS1_19radix_merge_compareILb0ELb1EsNS0_19identity_decomposerEEEEE10hipError_tT0_T1_T2_jT3_P12ihipStream_tbPNSt15iterator_traitsISG_E10value_typeEPNSM_ISH_E10value_typeEPSI_NS1_7vsmem_tEENKUlT_SG_SH_SI_E_clIS7_S7_SB_PlEESF_SV_SG_SH_SI_EUlSV_E_NS1_11comp_targetILNS1_3genE8ELNS1_11target_archE1030ELNS1_3gpuE2ELNS1_3repE0EEENS1_48merge_mergepath_partition_config_static_selectorELNS0_4arch9wavefront6targetE1EEEvSH_ ; -- Begin function _ZN7rocprim17ROCPRIM_400000_NS6detail17trampoline_kernelINS0_14default_configENS1_38merge_sort_block_merge_config_selectorIslEEZZNS1_27merge_sort_block_merge_implIS3_PsN6thrust23THRUST_200600_302600_NS10device_ptrIlEEjNS1_19radix_merge_compareILb0ELb1EsNS0_19identity_decomposerEEEEE10hipError_tT0_T1_T2_jT3_P12ihipStream_tbPNSt15iterator_traitsISG_E10value_typeEPNSM_ISH_E10value_typeEPSI_NS1_7vsmem_tEENKUlT_SG_SH_SI_E_clIS7_S7_SB_PlEESF_SV_SG_SH_SI_EUlSV_E_NS1_11comp_targetILNS1_3genE8ELNS1_11target_archE1030ELNS1_3gpuE2ELNS1_3repE0EEENS1_48merge_mergepath_partition_config_static_selectorELNS0_4arch9wavefront6targetE1EEEvSH_
	.globl	_ZN7rocprim17ROCPRIM_400000_NS6detail17trampoline_kernelINS0_14default_configENS1_38merge_sort_block_merge_config_selectorIslEEZZNS1_27merge_sort_block_merge_implIS3_PsN6thrust23THRUST_200600_302600_NS10device_ptrIlEEjNS1_19radix_merge_compareILb0ELb1EsNS0_19identity_decomposerEEEEE10hipError_tT0_T1_T2_jT3_P12ihipStream_tbPNSt15iterator_traitsISG_E10value_typeEPNSM_ISH_E10value_typeEPSI_NS1_7vsmem_tEENKUlT_SG_SH_SI_E_clIS7_S7_SB_PlEESF_SV_SG_SH_SI_EUlSV_E_NS1_11comp_targetILNS1_3genE8ELNS1_11target_archE1030ELNS1_3gpuE2ELNS1_3repE0EEENS1_48merge_mergepath_partition_config_static_selectorELNS0_4arch9wavefront6targetE1EEEvSH_
	.p2align	8
	.type	_ZN7rocprim17ROCPRIM_400000_NS6detail17trampoline_kernelINS0_14default_configENS1_38merge_sort_block_merge_config_selectorIslEEZZNS1_27merge_sort_block_merge_implIS3_PsN6thrust23THRUST_200600_302600_NS10device_ptrIlEEjNS1_19radix_merge_compareILb0ELb1EsNS0_19identity_decomposerEEEEE10hipError_tT0_T1_T2_jT3_P12ihipStream_tbPNSt15iterator_traitsISG_E10value_typeEPNSM_ISH_E10value_typeEPSI_NS1_7vsmem_tEENKUlT_SG_SH_SI_E_clIS7_S7_SB_PlEESF_SV_SG_SH_SI_EUlSV_E_NS1_11comp_targetILNS1_3genE8ELNS1_11target_archE1030ELNS1_3gpuE2ELNS1_3repE0EEENS1_48merge_mergepath_partition_config_static_selectorELNS0_4arch9wavefront6targetE1EEEvSH_,@function
_ZN7rocprim17ROCPRIM_400000_NS6detail17trampoline_kernelINS0_14default_configENS1_38merge_sort_block_merge_config_selectorIslEEZZNS1_27merge_sort_block_merge_implIS3_PsN6thrust23THRUST_200600_302600_NS10device_ptrIlEEjNS1_19radix_merge_compareILb0ELb1EsNS0_19identity_decomposerEEEEE10hipError_tT0_T1_T2_jT3_P12ihipStream_tbPNSt15iterator_traitsISG_E10value_typeEPNSM_ISH_E10value_typeEPSI_NS1_7vsmem_tEENKUlT_SG_SH_SI_E_clIS7_S7_SB_PlEESF_SV_SG_SH_SI_EUlSV_E_NS1_11comp_targetILNS1_3genE8ELNS1_11target_archE1030ELNS1_3gpuE2ELNS1_3repE0EEENS1_48merge_mergepath_partition_config_static_selectorELNS0_4arch9wavefront6targetE1EEEvSH_: ; @_ZN7rocprim17ROCPRIM_400000_NS6detail17trampoline_kernelINS0_14default_configENS1_38merge_sort_block_merge_config_selectorIslEEZZNS1_27merge_sort_block_merge_implIS3_PsN6thrust23THRUST_200600_302600_NS10device_ptrIlEEjNS1_19radix_merge_compareILb0ELb1EsNS0_19identity_decomposerEEEEE10hipError_tT0_T1_T2_jT3_P12ihipStream_tbPNSt15iterator_traitsISG_E10value_typeEPNSM_ISH_E10value_typeEPSI_NS1_7vsmem_tEENKUlT_SG_SH_SI_E_clIS7_S7_SB_PlEESF_SV_SG_SH_SI_EUlSV_E_NS1_11comp_targetILNS1_3genE8ELNS1_11target_archE1030ELNS1_3gpuE2ELNS1_3repE0EEENS1_48merge_mergepath_partition_config_static_selectorELNS0_4arch9wavefront6targetE1EEEvSH_
; %bb.0:
	.section	.rodata,"a",@progbits
	.p2align	6, 0x0
	.amdhsa_kernel _ZN7rocprim17ROCPRIM_400000_NS6detail17trampoline_kernelINS0_14default_configENS1_38merge_sort_block_merge_config_selectorIslEEZZNS1_27merge_sort_block_merge_implIS3_PsN6thrust23THRUST_200600_302600_NS10device_ptrIlEEjNS1_19radix_merge_compareILb0ELb1EsNS0_19identity_decomposerEEEEE10hipError_tT0_T1_T2_jT3_P12ihipStream_tbPNSt15iterator_traitsISG_E10value_typeEPNSM_ISH_E10value_typeEPSI_NS1_7vsmem_tEENKUlT_SG_SH_SI_E_clIS7_S7_SB_PlEESF_SV_SG_SH_SI_EUlSV_E_NS1_11comp_targetILNS1_3genE8ELNS1_11target_archE1030ELNS1_3gpuE2ELNS1_3repE0EEENS1_48merge_mergepath_partition_config_static_selectorELNS0_4arch9wavefront6targetE1EEEvSH_
		.amdhsa_group_segment_fixed_size 0
		.amdhsa_private_segment_fixed_size 0
		.amdhsa_kernarg_size 40
		.amdhsa_user_sgpr_count 6
		.amdhsa_user_sgpr_private_segment_buffer 1
		.amdhsa_user_sgpr_dispatch_ptr 0
		.amdhsa_user_sgpr_queue_ptr 0
		.amdhsa_user_sgpr_kernarg_segment_ptr 1
		.amdhsa_user_sgpr_dispatch_id 0
		.amdhsa_user_sgpr_flat_scratch_init 0
		.amdhsa_user_sgpr_kernarg_preload_length 0
		.amdhsa_user_sgpr_kernarg_preload_offset 0
		.amdhsa_user_sgpr_private_segment_size 0
		.amdhsa_uses_dynamic_stack 0
		.amdhsa_system_sgpr_private_segment_wavefront_offset 0
		.amdhsa_system_sgpr_workgroup_id_x 1
		.amdhsa_system_sgpr_workgroup_id_y 0
		.amdhsa_system_sgpr_workgroup_id_z 0
		.amdhsa_system_sgpr_workgroup_info 0
		.amdhsa_system_vgpr_workitem_id 0
		.amdhsa_next_free_vgpr 1
		.amdhsa_next_free_sgpr 0
		.amdhsa_accum_offset 4
		.amdhsa_reserve_vcc 0
		.amdhsa_reserve_flat_scratch 0
		.amdhsa_float_round_mode_32 0
		.amdhsa_float_round_mode_16_64 0
		.amdhsa_float_denorm_mode_32 3
		.amdhsa_float_denorm_mode_16_64 3
		.amdhsa_dx10_clamp 1
		.amdhsa_ieee_mode 1
		.amdhsa_fp16_overflow 0
		.amdhsa_tg_split 0
		.amdhsa_exception_fp_ieee_invalid_op 0
		.amdhsa_exception_fp_denorm_src 0
		.amdhsa_exception_fp_ieee_div_zero 0
		.amdhsa_exception_fp_ieee_overflow 0
		.amdhsa_exception_fp_ieee_underflow 0
		.amdhsa_exception_fp_ieee_inexact 0
		.amdhsa_exception_int_div_zero 0
	.end_amdhsa_kernel
	.section	.text._ZN7rocprim17ROCPRIM_400000_NS6detail17trampoline_kernelINS0_14default_configENS1_38merge_sort_block_merge_config_selectorIslEEZZNS1_27merge_sort_block_merge_implIS3_PsN6thrust23THRUST_200600_302600_NS10device_ptrIlEEjNS1_19radix_merge_compareILb0ELb1EsNS0_19identity_decomposerEEEEE10hipError_tT0_T1_T2_jT3_P12ihipStream_tbPNSt15iterator_traitsISG_E10value_typeEPNSM_ISH_E10value_typeEPSI_NS1_7vsmem_tEENKUlT_SG_SH_SI_E_clIS7_S7_SB_PlEESF_SV_SG_SH_SI_EUlSV_E_NS1_11comp_targetILNS1_3genE8ELNS1_11target_archE1030ELNS1_3gpuE2ELNS1_3repE0EEENS1_48merge_mergepath_partition_config_static_selectorELNS0_4arch9wavefront6targetE1EEEvSH_,"axG",@progbits,_ZN7rocprim17ROCPRIM_400000_NS6detail17trampoline_kernelINS0_14default_configENS1_38merge_sort_block_merge_config_selectorIslEEZZNS1_27merge_sort_block_merge_implIS3_PsN6thrust23THRUST_200600_302600_NS10device_ptrIlEEjNS1_19radix_merge_compareILb0ELb1EsNS0_19identity_decomposerEEEEE10hipError_tT0_T1_T2_jT3_P12ihipStream_tbPNSt15iterator_traitsISG_E10value_typeEPNSM_ISH_E10value_typeEPSI_NS1_7vsmem_tEENKUlT_SG_SH_SI_E_clIS7_S7_SB_PlEESF_SV_SG_SH_SI_EUlSV_E_NS1_11comp_targetILNS1_3genE8ELNS1_11target_archE1030ELNS1_3gpuE2ELNS1_3repE0EEENS1_48merge_mergepath_partition_config_static_selectorELNS0_4arch9wavefront6targetE1EEEvSH_,comdat
.Lfunc_end1363:
	.size	_ZN7rocprim17ROCPRIM_400000_NS6detail17trampoline_kernelINS0_14default_configENS1_38merge_sort_block_merge_config_selectorIslEEZZNS1_27merge_sort_block_merge_implIS3_PsN6thrust23THRUST_200600_302600_NS10device_ptrIlEEjNS1_19radix_merge_compareILb0ELb1EsNS0_19identity_decomposerEEEEE10hipError_tT0_T1_T2_jT3_P12ihipStream_tbPNSt15iterator_traitsISG_E10value_typeEPNSM_ISH_E10value_typeEPSI_NS1_7vsmem_tEENKUlT_SG_SH_SI_E_clIS7_S7_SB_PlEESF_SV_SG_SH_SI_EUlSV_E_NS1_11comp_targetILNS1_3genE8ELNS1_11target_archE1030ELNS1_3gpuE2ELNS1_3repE0EEENS1_48merge_mergepath_partition_config_static_selectorELNS0_4arch9wavefront6targetE1EEEvSH_, .Lfunc_end1363-_ZN7rocprim17ROCPRIM_400000_NS6detail17trampoline_kernelINS0_14default_configENS1_38merge_sort_block_merge_config_selectorIslEEZZNS1_27merge_sort_block_merge_implIS3_PsN6thrust23THRUST_200600_302600_NS10device_ptrIlEEjNS1_19radix_merge_compareILb0ELb1EsNS0_19identity_decomposerEEEEE10hipError_tT0_T1_T2_jT3_P12ihipStream_tbPNSt15iterator_traitsISG_E10value_typeEPNSM_ISH_E10value_typeEPSI_NS1_7vsmem_tEENKUlT_SG_SH_SI_E_clIS7_S7_SB_PlEESF_SV_SG_SH_SI_EUlSV_E_NS1_11comp_targetILNS1_3genE8ELNS1_11target_archE1030ELNS1_3gpuE2ELNS1_3repE0EEENS1_48merge_mergepath_partition_config_static_selectorELNS0_4arch9wavefront6targetE1EEEvSH_
                                        ; -- End function
	.section	.AMDGPU.csdata,"",@progbits
; Kernel info:
; codeLenInByte = 0
; NumSgprs: 4
; NumVgprs: 0
; NumAgprs: 0
; TotalNumVgprs: 0
; ScratchSize: 0
; MemoryBound: 0
; FloatMode: 240
; IeeeMode: 1
; LDSByteSize: 0 bytes/workgroup (compile time only)
; SGPRBlocks: 0
; VGPRBlocks: 0
; NumSGPRsForWavesPerEU: 4
; NumVGPRsForWavesPerEU: 1
; AccumOffset: 4
; Occupancy: 8
; WaveLimiterHint : 0
; COMPUTE_PGM_RSRC2:SCRATCH_EN: 0
; COMPUTE_PGM_RSRC2:USER_SGPR: 6
; COMPUTE_PGM_RSRC2:TRAP_HANDLER: 0
; COMPUTE_PGM_RSRC2:TGID_X_EN: 1
; COMPUTE_PGM_RSRC2:TGID_Y_EN: 0
; COMPUTE_PGM_RSRC2:TGID_Z_EN: 0
; COMPUTE_PGM_RSRC2:TIDIG_COMP_CNT: 0
; COMPUTE_PGM_RSRC3_GFX90A:ACCUM_OFFSET: 0
; COMPUTE_PGM_RSRC3_GFX90A:TG_SPLIT: 0
	.section	.text._ZN7rocprim17ROCPRIM_400000_NS6detail17trampoline_kernelINS0_14default_configENS1_38merge_sort_block_merge_config_selectorIslEEZZNS1_27merge_sort_block_merge_implIS3_PsN6thrust23THRUST_200600_302600_NS10device_ptrIlEEjNS1_19radix_merge_compareILb0ELb1EsNS0_19identity_decomposerEEEEE10hipError_tT0_T1_T2_jT3_P12ihipStream_tbPNSt15iterator_traitsISG_E10value_typeEPNSM_ISH_E10value_typeEPSI_NS1_7vsmem_tEENKUlT_SG_SH_SI_E_clIS7_S7_SB_PlEESF_SV_SG_SH_SI_EUlSV_E0_NS1_11comp_targetILNS1_3genE0ELNS1_11target_archE4294967295ELNS1_3gpuE0ELNS1_3repE0EEENS1_38merge_mergepath_config_static_selectorELNS0_4arch9wavefront6targetE1EEEvSH_,"axG",@progbits,_ZN7rocprim17ROCPRIM_400000_NS6detail17trampoline_kernelINS0_14default_configENS1_38merge_sort_block_merge_config_selectorIslEEZZNS1_27merge_sort_block_merge_implIS3_PsN6thrust23THRUST_200600_302600_NS10device_ptrIlEEjNS1_19radix_merge_compareILb0ELb1EsNS0_19identity_decomposerEEEEE10hipError_tT0_T1_T2_jT3_P12ihipStream_tbPNSt15iterator_traitsISG_E10value_typeEPNSM_ISH_E10value_typeEPSI_NS1_7vsmem_tEENKUlT_SG_SH_SI_E_clIS7_S7_SB_PlEESF_SV_SG_SH_SI_EUlSV_E0_NS1_11comp_targetILNS1_3genE0ELNS1_11target_archE4294967295ELNS1_3gpuE0ELNS1_3repE0EEENS1_38merge_mergepath_config_static_selectorELNS0_4arch9wavefront6targetE1EEEvSH_,comdat
	.protected	_ZN7rocprim17ROCPRIM_400000_NS6detail17trampoline_kernelINS0_14default_configENS1_38merge_sort_block_merge_config_selectorIslEEZZNS1_27merge_sort_block_merge_implIS3_PsN6thrust23THRUST_200600_302600_NS10device_ptrIlEEjNS1_19radix_merge_compareILb0ELb1EsNS0_19identity_decomposerEEEEE10hipError_tT0_T1_T2_jT3_P12ihipStream_tbPNSt15iterator_traitsISG_E10value_typeEPNSM_ISH_E10value_typeEPSI_NS1_7vsmem_tEENKUlT_SG_SH_SI_E_clIS7_S7_SB_PlEESF_SV_SG_SH_SI_EUlSV_E0_NS1_11comp_targetILNS1_3genE0ELNS1_11target_archE4294967295ELNS1_3gpuE0ELNS1_3repE0EEENS1_38merge_mergepath_config_static_selectorELNS0_4arch9wavefront6targetE1EEEvSH_ ; -- Begin function _ZN7rocprim17ROCPRIM_400000_NS6detail17trampoline_kernelINS0_14default_configENS1_38merge_sort_block_merge_config_selectorIslEEZZNS1_27merge_sort_block_merge_implIS3_PsN6thrust23THRUST_200600_302600_NS10device_ptrIlEEjNS1_19radix_merge_compareILb0ELb1EsNS0_19identity_decomposerEEEEE10hipError_tT0_T1_T2_jT3_P12ihipStream_tbPNSt15iterator_traitsISG_E10value_typeEPNSM_ISH_E10value_typeEPSI_NS1_7vsmem_tEENKUlT_SG_SH_SI_E_clIS7_S7_SB_PlEESF_SV_SG_SH_SI_EUlSV_E0_NS1_11comp_targetILNS1_3genE0ELNS1_11target_archE4294967295ELNS1_3gpuE0ELNS1_3repE0EEENS1_38merge_mergepath_config_static_selectorELNS0_4arch9wavefront6targetE1EEEvSH_
	.globl	_ZN7rocprim17ROCPRIM_400000_NS6detail17trampoline_kernelINS0_14default_configENS1_38merge_sort_block_merge_config_selectorIslEEZZNS1_27merge_sort_block_merge_implIS3_PsN6thrust23THRUST_200600_302600_NS10device_ptrIlEEjNS1_19radix_merge_compareILb0ELb1EsNS0_19identity_decomposerEEEEE10hipError_tT0_T1_T2_jT3_P12ihipStream_tbPNSt15iterator_traitsISG_E10value_typeEPNSM_ISH_E10value_typeEPSI_NS1_7vsmem_tEENKUlT_SG_SH_SI_E_clIS7_S7_SB_PlEESF_SV_SG_SH_SI_EUlSV_E0_NS1_11comp_targetILNS1_3genE0ELNS1_11target_archE4294967295ELNS1_3gpuE0ELNS1_3repE0EEENS1_38merge_mergepath_config_static_selectorELNS0_4arch9wavefront6targetE1EEEvSH_
	.p2align	8
	.type	_ZN7rocprim17ROCPRIM_400000_NS6detail17trampoline_kernelINS0_14default_configENS1_38merge_sort_block_merge_config_selectorIslEEZZNS1_27merge_sort_block_merge_implIS3_PsN6thrust23THRUST_200600_302600_NS10device_ptrIlEEjNS1_19radix_merge_compareILb0ELb1EsNS0_19identity_decomposerEEEEE10hipError_tT0_T1_T2_jT3_P12ihipStream_tbPNSt15iterator_traitsISG_E10value_typeEPNSM_ISH_E10value_typeEPSI_NS1_7vsmem_tEENKUlT_SG_SH_SI_E_clIS7_S7_SB_PlEESF_SV_SG_SH_SI_EUlSV_E0_NS1_11comp_targetILNS1_3genE0ELNS1_11target_archE4294967295ELNS1_3gpuE0ELNS1_3repE0EEENS1_38merge_mergepath_config_static_selectorELNS0_4arch9wavefront6targetE1EEEvSH_,@function
_ZN7rocprim17ROCPRIM_400000_NS6detail17trampoline_kernelINS0_14default_configENS1_38merge_sort_block_merge_config_selectorIslEEZZNS1_27merge_sort_block_merge_implIS3_PsN6thrust23THRUST_200600_302600_NS10device_ptrIlEEjNS1_19radix_merge_compareILb0ELb1EsNS0_19identity_decomposerEEEEE10hipError_tT0_T1_T2_jT3_P12ihipStream_tbPNSt15iterator_traitsISG_E10value_typeEPNSM_ISH_E10value_typeEPSI_NS1_7vsmem_tEENKUlT_SG_SH_SI_E_clIS7_S7_SB_PlEESF_SV_SG_SH_SI_EUlSV_E0_NS1_11comp_targetILNS1_3genE0ELNS1_11target_archE4294967295ELNS1_3gpuE0ELNS1_3repE0EEENS1_38merge_mergepath_config_static_selectorELNS0_4arch9wavefront6targetE1EEEvSH_: ; @_ZN7rocprim17ROCPRIM_400000_NS6detail17trampoline_kernelINS0_14default_configENS1_38merge_sort_block_merge_config_selectorIslEEZZNS1_27merge_sort_block_merge_implIS3_PsN6thrust23THRUST_200600_302600_NS10device_ptrIlEEjNS1_19radix_merge_compareILb0ELb1EsNS0_19identity_decomposerEEEEE10hipError_tT0_T1_T2_jT3_P12ihipStream_tbPNSt15iterator_traitsISG_E10value_typeEPNSM_ISH_E10value_typeEPSI_NS1_7vsmem_tEENKUlT_SG_SH_SI_E_clIS7_S7_SB_PlEESF_SV_SG_SH_SI_EUlSV_E0_NS1_11comp_targetILNS1_3genE0ELNS1_11target_archE4294967295ELNS1_3gpuE0ELNS1_3repE0EEENS1_38merge_mergepath_config_static_selectorELNS0_4arch9wavefront6targetE1EEEvSH_
; %bb.0:
	.section	.rodata,"a",@progbits
	.p2align	6, 0x0
	.amdhsa_kernel _ZN7rocprim17ROCPRIM_400000_NS6detail17trampoline_kernelINS0_14default_configENS1_38merge_sort_block_merge_config_selectorIslEEZZNS1_27merge_sort_block_merge_implIS3_PsN6thrust23THRUST_200600_302600_NS10device_ptrIlEEjNS1_19radix_merge_compareILb0ELb1EsNS0_19identity_decomposerEEEEE10hipError_tT0_T1_T2_jT3_P12ihipStream_tbPNSt15iterator_traitsISG_E10value_typeEPNSM_ISH_E10value_typeEPSI_NS1_7vsmem_tEENKUlT_SG_SH_SI_E_clIS7_S7_SB_PlEESF_SV_SG_SH_SI_EUlSV_E0_NS1_11comp_targetILNS1_3genE0ELNS1_11target_archE4294967295ELNS1_3gpuE0ELNS1_3repE0EEENS1_38merge_mergepath_config_static_selectorELNS0_4arch9wavefront6targetE1EEEvSH_
		.amdhsa_group_segment_fixed_size 0
		.amdhsa_private_segment_fixed_size 0
		.amdhsa_kernarg_size 64
		.amdhsa_user_sgpr_count 6
		.amdhsa_user_sgpr_private_segment_buffer 1
		.amdhsa_user_sgpr_dispatch_ptr 0
		.amdhsa_user_sgpr_queue_ptr 0
		.amdhsa_user_sgpr_kernarg_segment_ptr 1
		.amdhsa_user_sgpr_dispatch_id 0
		.amdhsa_user_sgpr_flat_scratch_init 0
		.amdhsa_user_sgpr_kernarg_preload_length 0
		.amdhsa_user_sgpr_kernarg_preload_offset 0
		.amdhsa_user_sgpr_private_segment_size 0
		.amdhsa_uses_dynamic_stack 0
		.amdhsa_system_sgpr_private_segment_wavefront_offset 0
		.amdhsa_system_sgpr_workgroup_id_x 1
		.amdhsa_system_sgpr_workgroup_id_y 0
		.amdhsa_system_sgpr_workgroup_id_z 0
		.amdhsa_system_sgpr_workgroup_info 0
		.amdhsa_system_vgpr_workitem_id 0
		.amdhsa_next_free_vgpr 1
		.amdhsa_next_free_sgpr 0
		.amdhsa_accum_offset 4
		.amdhsa_reserve_vcc 0
		.amdhsa_reserve_flat_scratch 0
		.amdhsa_float_round_mode_32 0
		.amdhsa_float_round_mode_16_64 0
		.amdhsa_float_denorm_mode_32 3
		.amdhsa_float_denorm_mode_16_64 3
		.amdhsa_dx10_clamp 1
		.amdhsa_ieee_mode 1
		.amdhsa_fp16_overflow 0
		.amdhsa_tg_split 0
		.amdhsa_exception_fp_ieee_invalid_op 0
		.amdhsa_exception_fp_denorm_src 0
		.amdhsa_exception_fp_ieee_div_zero 0
		.amdhsa_exception_fp_ieee_overflow 0
		.amdhsa_exception_fp_ieee_underflow 0
		.amdhsa_exception_fp_ieee_inexact 0
		.amdhsa_exception_int_div_zero 0
	.end_amdhsa_kernel
	.section	.text._ZN7rocprim17ROCPRIM_400000_NS6detail17trampoline_kernelINS0_14default_configENS1_38merge_sort_block_merge_config_selectorIslEEZZNS1_27merge_sort_block_merge_implIS3_PsN6thrust23THRUST_200600_302600_NS10device_ptrIlEEjNS1_19radix_merge_compareILb0ELb1EsNS0_19identity_decomposerEEEEE10hipError_tT0_T1_T2_jT3_P12ihipStream_tbPNSt15iterator_traitsISG_E10value_typeEPNSM_ISH_E10value_typeEPSI_NS1_7vsmem_tEENKUlT_SG_SH_SI_E_clIS7_S7_SB_PlEESF_SV_SG_SH_SI_EUlSV_E0_NS1_11comp_targetILNS1_3genE0ELNS1_11target_archE4294967295ELNS1_3gpuE0ELNS1_3repE0EEENS1_38merge_mergepath_config_static_selectorELNS0_4arch9wavefront6targetE1EEEvSH_,"axG",@progbits,_ZN7rocprim17ROCPRIM_400000_NS6detail17trampoline_kernelINS0_14default_configENS1_38merge_sort_block_merge_config_selectorIslEEZZNS1_27merge_sort_block_merge_implIS3_PsN6thrust23THRUST_200600_302600_NS10device_ptrIlEEjNS1_19radix_merge_compareILb0ELb1EsNS0_19identity_decomposerEEEEE10hipError_tT0_T1_T2_jT3_P12ihipStream_tbPNSt15iterator_traitsISG_E10value_typeEPNSM_ISH_E10value_typeEPSI_NS1_7vsmem_tEENKUlT_SG_SH_SI_E_clIS7_S7_SB_PlEESF_SV_SG_SH_SI_EUlSV_E0_NS1_11comp_targetILNS1_3genE0ELNS1_11target_archE4294967295ELNS1_3gpuE0ELNS1_3repE0EEENS1_38merge_mergepath_config_static_selectorELNS0_4arch9wavefront6targetE1EEEvSH_,comdat
.Lfunc_end1364:
	.size	_ZN7rocprim17ROCPRIM_400000_NS6detail17trampoline_kernelINS0_14default_configENS1_38merge_sort_block_merge_config_selectorIslEEZZNS1_27merge_sort_block_merge_implIS3_PsN6thrust23THRUST_200600_302600_NS10device_ptrIlEEjNS1_19radix_merge_compareILb0ELb1EsNS0_19identity_decomposerEEEEE10hipError_tT0_T1_T2_jT3_P12ihipStream_tbPNSt15iterator_traitsISG_E10value_typeEPNSM_ISH_E10value_typeEPSI_NS1_7vsmem_tEENKUlT_SG_SH_SI_E_clIS7_S7_SB_PlEESF_SV_SG_SH_SI_EUlSV_E0_NS1_11comp_targetILNS1_3genE0ELNS1_11target_archE4294967295ELNS1_3gpuE0ELNS1_3repE0EEENS1_38merge_mergepath_config_static_selectorELNS0_4arch9wavefront6targetE1EEEvSH_, .Lfunc_end1364-_ZN7rocprim17ROCPRIM_400000_NS6detail17trampoline_kernelINS0_14default_configENS1_38merge_sort_block_merge_config_selectorIslEEZZNS1_27merge_sort_block_merge_implIS3_PsN6thrust23THRUST_200600_302600_NS10device_ptrIlEEjNS1_19radix_merge_compareILb0ELb1EsNS0_19identity_decomposerEEEEE10hipError_tT0_T1_T2_jT3_P12ihipStream_tbPNSt15iterator_traitsISG_E10value_typeEPNSM_ISH_E10value_typeEPSI_NS1_7vsmem_tEENKUlT_SG_SH_SI_E_clIS7_S7_SB_PlEESF_SV_SG_SH_SI_EUlSV_E0_NS1_11comp_targetILNS1_3genE0ELNS1_11target_archE4294967295ELNS1_3gpuE0ELNS1_3repE0EEENS1_38merge_mergepath_config_static_selectorELNS0_4arch9wavefront6targetE1EEEvSH_
                                        ; -- End function
	.section	.AMDGPU.csdata,"",@progbits
; Kernel info:
; codeLenInByte = 0
; NumSgprs: 4
; NumVgprs: 0
; NumAgprs: 0
; TotalNumVgprs: 0
; ScratchSize: 0
; MemoryBound: 0
; FloatMode: 240
; IeeeMode: 1
; LDSByteSize: 0 bytes/workgroup (compile time only)
; SGPRBlocks: 0
; VGPRBlocks: 0
; NumSGPRsForWavesPerEU: 4
; NumVGPRsForWavesPerEU: 1
; AccumOffset: 4
; Occupancy: 8
; WaveLimiterHint : 0
; COMPUTE_PGM_RSRC2:SCRATCH_EN: 0
; COMPUTE_PGM_RSRC2:USER_SGPR: 6
; COMPUTE_PGM_RSRC2:TRAP_HANDLER: 0
; COMPUTE_PGM_RSRC2:TGID_X_EN: 1
; COMPUTE_PGM_RSRC2:TGID_Y_EN: 0
; COMPUTE_PGM_RSRC2:TGID_Z_EN: 0
; COMPUTE_PGM_RSRC2:TIDIG_COMP_CNT: 0
; COMPUTE_PGM_RSRC3_GFX90A:ACCUM_OFFSET: 0
; COMPUTE_PGM_RSRC3_GFX90A:TG_SPLIT: 0
	.section	.text._ZN7rocprim17ROCPRIM_400000_NS6detail17trampoline_kernelINS0_14default_configENS1_38merge_sort_block_merge_config_selectorIslEEZZNS1_27merge_sort_block_merge_implIS3_PsN6thrust23THRUST_200600_302600_NS10device_ptrIlEEjNS1_19radix_merge_compareILb0ELb1EsNS0_19identity_decomposerEEEEE10hipError_tT0_T1_T2_jT3_P12ihipStream_tbPNSt15iterator_traitsISG_E10value_typeEPNSM_ISH_E10value_typeEPSI_NS1_7vsmem_tEENKUlT_SG_SH_SI_E_clIS7_S7_SB_PlEESF_SV_SG_SH_SI_EUlSV_E0_NS1_11comp_targetILNS1_3genE10ELNS1_11target_archE1201ELNS1_3gpuE5ELNS1_3repE0EEENS1_38merge_mergepath_config_static_selectorELNS0_4arch9wavefront6targetE1EEEvSH_,"axG",@progbits,_ZN7rocprim17ROCPRIM_400000_NS6detail17trampoline_kernelINS0_14default_configENS1_38merge_sort_block_merge_config_selectorIslEEZZNS1_27merge_sort_block_merge_implIS3_PsN6thrust23THRUST_200600_302600_NS10device_ptrIlEEjNS1_19radix_merge_compareILb0ELb1EsNS0_19identity_decomposerEEEEE10hipError_tT0_T1_T2_jT3_P12ihipStream_tbPNSt15iterator_traitsISG_E10value_typeEPNSM_ISH_E10value_typeEPSI_NS1_7vsmem_tEENKUlT_SG_SH_SI_E_clIS7_S7_SB_PlEESF_SV_SG_SH_SI_EUlSV_E0_NS1_11comp_targetILNS1_3genE10ELNS1_11target_archE1201ELNS1_3gpuE5ELNS1_3repE0EEENS1_38merge_mergepath_config_static_selectorELNS0_4arch9wavefront6targetE1EEEvSH_,comdat
	.protected	_ZN7rocprim17ROCPRIM_400000_NS6detail17trampoline_kernelINS0_14default_configENS1_38merge_sort_block_merge_config_selectorIslEEZZNS1_27merge_sort_block_merge_implIS3_PsN6thrust23THRUST_200600_302600_NS10device_ptrIlEEjNS1_19radix_merge_compareILb0ELb1EsNS0_19identity_decomposerEEEEE10hipError_tT0_T1_T2_jT3_P12ihipStream_tbPNSt15iterator_traitsISG_E10value_typeEPNSM_ISH_E10value_typeEPSI_NS1_7vsmem_tEENKUlT_SG_SH_SI_E_clIS7_S7_SB_PlEESF_SV_SG_SH_SI_EUlSV_E0_NS1_11comp_targetILNS1_3genE10ELNS1_11target_archE1201ELNS1_3gpuE5ELNS1_3repE0EEENS1_38merge_mergepath_config_static_selectorELNS0_4arch9wavefront6targetE1EEEvSH_ ; -- Begin function _ZN7rocprim17ROCPRIM_400000_NS6detail17trampoline_kernelINS0_14default_configENS1_38merge_sort_block_merge_config_selectorIslEEZZNS1_27merge_sort_block_merge_implIS3_PsN6thrust23THRUST_200600_302600_NS10device_ptrIlEEjNS1_19radix_merge_compareILb0ELb1EsNS0_19identity_decomposerEEEEE10hipError_tT0_T1_T2_jT3_P12ihipStream_tbPNSt15iterator_traitsISG_E10value_typeEPNSM_ISH_E10value_typeEPSI_NS1_7vsmem_tEENKUlT_SG_SH_SI_E_clIS7_S7_SB_PlEESF_SV_SG_SH_SI_EUlSV_E0_NS1_11comp_targetILNS1_3genE10ELNS1_11target_archE1201ELNS1_3gpuE5ELNS1_3repE0EEENS1_38merge_mergepath_config_static_selectorELNS0_4arch9wavefront6targetE1EEEvSH_
	.globl	_ZN7rocprim17ROCPRIM_400000_NS6detail17trampoline_kernelINS0_14default_configENS1_38merge_sort_block_merge_config_selectorIslEEZZNS1_27merge_sort_block_merge_implIS3_PsN6thrust23THRUST_200600_302600_NS10device_ptrIlEEjNS1_19radix_merge_compareILb0ELb1EsNS0_19identity_decomposerEEEEE10hipError_tT0_T1_T2_jT3_P12ihipStream_tbPNSt15iterator_traitsISG_E10value_typeEPNSM_ISH_E10value_typeEPSI_NS1_7vsmem_tEENKUlT_SG_SH_SI_E_clIS7_S7_SB_PlEESF_SV_SG_SH_SI_EUlSV_E0_NS1_11comp_targetILNS1_3genE10ELNS1_11target_archE1201ELNS1_3gpuE5ELNS1_3repE0EEENS1_38merge_mergepath_config_static_selectorELNS0_4arch9wavefront6targetE1EEEvSH_
	.p2align	8
	.type	_ZN7rocprim17ROCPRIM_400000_NS6detail17trampoline_kernelINS0_14default_configENS1_38merge_sort_block_merge_config_selectorIslEEZZNS1_27merge_sort_block_merge_implIS3_PsN6thrust23THRUST_200600_302600_NS10device_ptrIlEEjNS1_19radix_merge_compareILb0ELb1EsNS0_19identity_decomposerEEEEE10hipError_tT0_T1_T2_jT3_P12ihipStream_tbPNSt15iterator_traitsISG_E10value_typeEPNSM_ISH_E10value_typeEPSI_NS1_7vsmem_tEENKUlT_SG_SH_SI_E_clIS7_S7_SB_PlEESF_SV_SG_SH_SI_EUlSV_E0_NS1_11comp_targetILNS1_3genE10ELNS1_11target_archE1201ELNS1_3gpuE5ELNS1_3repE0EEENS1_38merge_mergepath_config_static_selectorELNS0_4arch9wavefront6targetE1EEEvSH_,@function
_ZN7rocprim17ROCPRIM_400000_NS6detail17trampoline_kernelINS0_14default_configENS1_38merge_sort_block_merge_config_selectorIslEEZZNS1_27merge_sort_block_merge_implIS3_PsN6thrust23THRUST_200600_302600_NS10device_ptrIlEEjNS1_19radix_merge_compareILb0ELb1EsNS0_19identity_decomposerEEEEE10hipError_tT0_T1_T2_jT3_P12ihipStream_tbPNSt15iterator_traitsISG_E10value_typeEPNSM_ISH_E10value_typeEPSI_NS1_7vsmem_tEENKUlT_SG_SH_SI_E_clIS7_S7_SB_PlEESF_SV_SG_SH_SI_EUlSV_E0_NS1_11comp_targetILNS1_3genE10ELNS1_11target_archE1201ELNS1_3gpuE5ELNS1_3repE0EEENS1_38merge_mergepath_config_static_selectorELNS0_4arch9wavefront6targetE1EEEvSH_: ; @_ZN7rocprim17ROCPRIM_400000_NS6detail17trampoline_kernelINS0_14default_configENS1_38merge_sort_block_merge_config_selectorIslEEZZNS1_27merge_sort_block_merge_implIS3_PsN6thrust23THRUST_200600_302600_NS10device_ptrIlEEjNS1_19radix_merge_compareILb0ELb1EsNS0_19identity_decomposerEEEEE10hipError_tT0_T1_T2_jT3_P12ihipStream_tbPNSt15iterator_traitsISG_E10value_typeEPNSM_ISH_E10value_typeEPSI_NS1_7vsmem_tEENKUlT_SG_SH_SI_E_clIS7_S7_SB_PlEESF_SV_SG_SH_SI_EUlSV_E0_NS1_11comp_targetILNS1_3genE10ELNS1_11target_archE1201ELNS1_3gpuE5ELNS1_3repE0EEENS1_38merge_mergepath_config_static_selectorELNS0_4arch9wavefront6targetE1EEEvSH_
; %bb.0:
	.section	.rodata,"a",@progbits
	.p2align	6, 0x0
	.amdhsa_kernel _ZN7rocprim17ROCPRIM_400000_NS6detail17trampoline_kernelINS0_14default_configENS1_38merge_sort_block_merge_config_selectorIslEEZZNS1_27merge_sort_block_merge_implIS3_PsN6thrust23THRUST_200600_302600_NS10device_ptrIlEEjNS1_19radix_merge_compareILb0ELb1EsNS0_19identity_decomposerEEEEE10hipError_tT0_T1_T2_jT3_P12ihipStream_tbPNSt15iterator_traitsISG_E10value_typeEPNSM_ISH_E10value_typeEPSI_NS1_7vsmem_tEENKUlT_SG_SH_SI_E_clIS7_S7_SB_PlEESF_SV_SG_SH_SI_EUlSV_E0_NS1_11comp_targetILNS1_3genE10ELNS1_11target_archE1201ELNS1_3gpuE5ELNS1_3repE0EEENS1_38merge_mergepath_config_static_selectorELNS0_4arch9wavefront6targetE1EEEvSH_
		.amdhsa_group_segment_fixed_size 0
		.amdhsa_private_segment_fixed_size 0
		.amdhsa_kernarg_size 64
		.amdhsa_user_sgpr_count 6
		.amdhsa_user_sgpr_private_segment_buffer 1
		.amdhsa_user_sgpr_dispatch_ptr 0
		.amdhsa_user_sgpr_queue_ptr 0
		.amdhsa_user_sgpr_kernarg_segment_ptr 1
		.amdhsa_user_sgpr_dispatch_id 0
		.amdhsa_user_sgpr_flat_scratch_init 0
		.amdhsa_user_sgpr_kernarg_preload_length 0
		.amdhsa_user_sgpr_kernarg_preload_offset 0
		.amdhsa_user_sgpr_private_segment_size 0
		.amdhsa_uses_dynamic_stack 0
		.amdhsa_system_sgpr_private_segment_wavefront_offset 0
		.amdhsa_system_sgpr_workgroup_id_x 1
		.amdhsa_system_sgpr_workgroup_id_y 0
		.amdhsa_system_sgpr_workgroup_id_z 0
		.amdhsa_system_sgpr_workgroup_info 0
		.amdhsa_system_vgpr_workitem_id 0
		.amdhsa_next_free_vgpr 1
		.amdhsa_next_free_sgpr 0
		.amdhsa_accum_offset 4
		.amdhsa_reserve_vcc 0
		.amdhsa_reserve_flat_scratch 0
		.amdhsa_float_round_mode_32 0
		.amdhsa_float_round_mode_16_64 0
		.amdhsa_float_denorm_mode_32 3
		.amdhsa_float_denorm_mode_16_64 3
		.amdhsa_dx10_clamp 1
		.amdhsa_ieee_mode 1
		.amdhsa_fp16_overflow 0
		.amdhsa_tg_split 0
		.amdhsa_exception_fp_ieee_invalid_op 0
		.amdhsa_exception_fp_denorm_src 0
		.amdhsa_exception_fp_ieee_div_zero 0
		.amdhsa_exception_fp_ieee_overflow 0
		.amdhsa_exception_fp_ieee_underflow 0
		.amdhsa_exception_fp_ieee_inexact 0
		.amdhsa_exception_int_div_zero 0
	.end_amdhsa_kernel
	.section	.text._ZN7rocprim17ROCPRIM_400000_NS6detail17trampoline_kernelINS0_14default_configENS1_38merge_sort_block_merge_config_selectorIslEEZZNS1_27merge_sort_block_merge_implIS3_PsN6thrust23THRUST_200600_302600_NS10device_ptrIlEEjNS1_19radix_merge_compareILb0ELb1EsNS0_19identity_decomposerEEEEE10hipError_tT0_T1_T2_jT3_P12ihipStream_tbPNSt15iterator_traitsISG_E10value_typeEPNSM_ISH_E10value_typeEPSI_NS1_7vsmem_tEENKUlT_SG_SH_SI_E_clIS7_S7_SB_PlEESF_SV_SG_SH_SI_EUlSV_E0_NS1_11comp_targetILNS1_3genE10ELNS1_11target_archE1201ELNS1_3gpuE5ELNS1_3repE0EEENS1_38merge_mergepath_config_static_selectorELNS0_4arch9wavefront6targetE1EEEvSH_,"axG",@progbits,_ZN7rocprim17ROCPRIM_400000_NS6detail17trampoline_kernelINS0_14default_configENS1_38merge_sort_block_merge_config_selectorIslEEZZNS1_27merge_sort_block_merge_implIS3_PsN6thrust23THRUST_200600_302600_NS10device_ptrIlEEjNS1_19radix_merge_compareILb0ELb1EsNS0_19identity_decomposerEEEEE10hipError_tT0_T1_T2_jT3_P12ihipStream_tbPNSt15iterator_traitsISG_E10value_typeEPNSM_ISH_E10value_typeEPSI_NS1_7vsmem_tEENKUlT_SG_SH_SI_E_clIS7_S7_SB_PlEESF_SV_SG_SH_SI_EUlSV_E0_NS1_11comp_targetILNS1_3genE10ELNS1_11target_archE1201ELNS1_3gpuE5ELNS1_3repE0EEENS1_38merge_mergepath_config_static_selectorELNS0_4arch9wavefront6targetE1EEEvSH_,comdat
.Lfunc_end1365:
	.size	_ZN7rocprim17ROCPRIM_400000_NS6detail17trampoline_kernelINS0_14default_configENS1_38merge_sort_block_merge_config_selectorIslEEZZNS1_27merge_sort_block_merge_implIS3_PsN6thrust23THRUST_200600_302600_NS10device_ptrIlEEjNS1_19radix_merge_compareILb0ELb1EsNS0_19identity_decomposerEEEEE10hipError_tT0_T1_T2_jT3_P12ihipStream_tbPNSt15iterator_traitsISG_E10value_typeEPNSM_ISH_E10value_typeEPSI_NS1_7vsmem_tEENKUlT_SG_SH_SI_E_clIS7_S7_SB_PlEESF_SV_SG_SH_SI_EUlSV_E0_NS1_11comp_targetILNS1_3genE10ELNS1_11target_archE1201ELNS1_3gpuE5ELNS1_3repE0EEENS1_38merge_mergepath_config_static_selectorELNS0_4arch9wavefront6targetE1EEEvSH_, .Lfunc_end1365-_ZN7rocprim17ROCPRIM_400000_NS6detail17trampoline_kernelINS0_14default_configENS1_38merge_sort_block_merge_config_selectorIslEEZZNS1_27merge_sort_block_merge_implIS3_PsN6thrust23THRUST_200600_302600_NS10device_ptrIlEEjNS1_19radix_merge_compareILb0ELb1EsNS0_19identity_decomposerEEEEE10hipError_tT0_T1_T2_jT3_P12ihipStream_tbPNSt15iterator_traitsISG_E10value_typeEPNSM_ISH_E10value_typeEPSI_NS1_7vsmem_tEENKUlT_SG_SH_SI_E_clIS7_S7_SB_PlEESF_SV_SG_SH_SI_EUlSV_E0_NS1_11comp_targetILNS1_3genE10ELNS1_11target_archE1201ELNS1_3gpuE5ELNS1_3repE0EEENS1_38merge_mergepath_config_static_selectorELNS0_4arch9wavefront6targetE1EEEvSH_
                                        ; -- End function
	.section	.AMDGPU.csdata,"",@progbits
; Kernel info:
; codeLenInByte = 0
; NumSgprs: 4
; NumVgprs: 0
; NumAgprs: 0
; TotalNumVgprs: 0
; ScratchSize: 0
; MemoryBound: 0
; FloatMode: 240
; IeeeMode: 1
; LDSByteSize: 0 bytes/workgroup (compile time only)
; SGPRBlocks: 0
; VGPRBlocks: 0
; NumSGPRsForWavesPerEU: 4
; NumVGPRsForWavesPerEU: 1
; AccumOffset: 4
; Occupancy: 8
; WaveLimiterHint : 0
; COMPUTE_PGM_RSRC2:SCRATCH_EN: 0
; COMPUTE_PGM_RSRC2:USER_SGPR: 6
; COMPUTE_PGM_RSRC2:TRAP_HANDLER: 0
; COMPUTE_PGM_RSRC2:TGID_X_EN: 1
; COMPUTE_PGM_RSRC2:TGID_Y_EN: 0
; COMPUTE_PGM_RSRC2:TGID_Z_EN: 0
; COMPUTE_PGM_RSRC2:TIDIG_COMP_CNT: 0
; COMPUTE_PGM_RSRC3_GFX90A:ACCUM_OFFSET: 0
; COMPUTE_PGM_RSRC3_GFX90A:TG_SPLIT: 0
	.section	.text._ZN7rocprim17ROCPRIM_400000_NS6detail17trampoline_kernelINS0_14default_configENS1_38merge_sort_block_merge_config_selectorIslEEZZNS1_27merge_sort_block_merge_implIS3_PsN6thrust23THRUST_200600_302600_NS10device_ptrIlEEjNS1_19radix_merge_compareILb0ELb1EsNS0_19identity_decomposerEEEEE10hipError_tT0_T1_T2_jT3_P12ihipStream_tbPNSt15iterator_traitsISG_E10value_typeEPNSM_ISH_E10value_typeEPSI_NS1_7vsmem_tEENKUlT_SG_SH_SI_E_clIS7_S7_SB_PlEESF_SV_SG_SH_SI_EUlSV_E0_NS1_11comp_targetILNS1_3genE5ELNS1_11target_archE942ELNS1_3gpuE9ELNS1_3repE0EEENS1_38merge_mergepath_config_static_selectorELNS0_4arch9wavefront6targetE1EEEvSH_,"axG",@progbits,_ZN7rocprim17ROCPRIM_400000_NS6detail17trampoline_kernelINS0_14default_configENS1_38merge_sort_block_merge_config_selectorIslEEZZNS1_27merge_sort_block_merge_implIS3_PsN6thrust23THRUST_200600_302600_NS10device_ptrIlEEjNS1_19radix_merge_compareILb0ELb1EsNS0_19identity_decomposerEEEEE10hipError_tT0_T1_T2_jT3_P12ihipStream_tbPNSt15iterator_traitsISG_E10value_typeEPNSM_ISH_E10value_typeEPSI_NS1_7vsmem_tEENKUlT_SG_SH_SI_E_clIS7_S7_SB_PlEESF_SV_SG_SH_SI_EUlSV_E0_NS1_11comp_targetILNS1_3genE5ELNS1_11target_archE942ELNS1_3gpuE9ELNS1_3repE0EEENS1_38merge_mergepath_config_static_selectorELNS0_4arch9wavefront6targetE1EEEvSH_,comdat
	.protected	_ZN7rocprim17ROCPRIM_400000_NS6detail17trampoline_kernelINS0_14default_configENS1_38merge_sort_block_merge_config_selectorIslEEZZNS1_27merge_sort_block_merge_implIS3_PsN6thrust23THRUST_200600_302600_NS10device_ptrIlEEjNS1_19radix_merge_compareILb0ELb1EsNS0_19identity_decomposerEEEEE10hipError_tT0_T1_T2_jT3_P12ihipStream_tbPNSt15iterator_traitsISG_E10value_typeEPNSM_ISH_E10value_typeEPSI_NS1_7vsmem_tEENKUlT_SG_SH_SI_E_clIS7_S7_SB_PlEESF_SV_SG_SH_SI_EUlSV_E0_NS1_11comp_targetILNS1_3genE5ELNS1_11target_archE942ELNS1_3gpuE9ELNS1_3repE0EEENS1_38merge_mergepath_config_static_selectorELNS0_4arch9wavefront6targetE1EEEvSH_ ; -- Begin function _ZN7rocprim17ROCPRIM_400000_NS6detail17trampoline_kernelINS0_14default_configENS1_38merge_sort_block_merge_config_selectorIslEEZZNS1_27merge_sort_block_merge_implIS3_PsN6thrust23THRUST_200600_302600_NS10device_ptrIlEEjNS1_19radix_merge_compareILb0ELb1EsNS0_19identity_decomposerEEEEE10hipError_tT0_T1_T2_jT3_P12ihipStream_tbPNSt15iterator_traitsISG_E10value_typeEPNSM_ISH_E10value_typeEPSI_NS1_7vsmem_tEENKUlT_SG_SH_SI_E_clIS7_S7_SB_PlEESF_SV_SG_SH_SI_EUlSV_E0_NS1_11comp_targetILNS1_3genE5ELNS1_11target_archE942ELNS1_3gpuE9ELNS1_3repE0EEENS1_38merge_mergepath_config_static_selectorELNS0_4arch9wavefront6targetE1EEEvSH_
	.globl	_ZN7rocprim17ROCPRIM_400000_NS6detail17trampoline_kernelINS0_14default_configENS1_38merge_sort_block_merge_config_selectorIslEEZZNS1_27merge_sort_block_merge_implIS3_PsN6thrust23THRUST_200600_302600_NS10device_ptrIlEEjNS1_19radix_merge_compareILb0ELb1EsNS0_19identity_decomposerEEEEE10hipError_tT0_T1_T2_jT3_P12ihipStream_tbPNSt15iterator_traitsISG_E10value_typeEPNSM_ISH_E10value_typeEPSI_NS1_7vsmem_tEENKUlT_SG_SH_SI_E_clIS7_S7_SB_PlEESF_SV_SG_SH_SI_EUlSV_E0_NS1_11comp_targetILNS1_3genE5ELNS1_11target_archE942ELNS1_3gpuE9ELNS1_3repE0EEENS1_38merge_mergepath_config_static_selectorELNS0_4arch9wavefront6targetE1EEEvSH_
	.p2align	8
	.type	_ZN7rocprim17ROCPRIM_400000_NS6detail17trampoline_kernelINS0_14default_configENS1_38merge_sort_block_merge_config_selectorIslEEZZNS1_27merge_sort_block_merge_implIS3_PsN6thrust23THRUST_200600_302600_NS10device_ptrIlEEjNS1_19radix_merge_compareILb0ELb1EsNS0_19identity_decomposerEEEEE10hipError_tT0_T1_T2_jT3_P12ihipStream_tbPNSt15iterator_traitsISG_E10value_typeEPNSM_ISH_E10value_typeEPSI_NS1_7vsmem_tEENKUlT_SG_SH_SI_E_clIS7_S7_SB_PlEESF_SV_SG_SH_SI_EUlSV_E0_NS1_11comp_targetILNS1_3genE5ELNS1_11target_archE942ELNS1_3gpuE9ELNS1_3repE0EEENS1_38merge_mergepath_config_static_selectorELNS0_4arch9wavefront6targetE1EEEvSH_,@function
_ZN7rocprim17ROCPRIM_400000_NS6detail17trampoline_kernelINS0_14default_configENS1_38merge_sort_block_merge_config_selectorIslEEZZNS1_27merge_sort_block_merge_implIS3_PsN6thrust23THRUST_200600_302600_NS10device_ptrIlEEjNS1_19radix_merge_compareILb0ELb1EsNS0_19identity_decomposerEEEEE10hipError_tT0_T1_T2_jT3_P12ihipStream_tbPNSt15iterator_traitsISG_E10value_typeEPNSM_ISH_E10value_typeEPSI_NS1_7vsmem_tEENKUlT_SG_SH_SI_E_clIS7_S7_SB_PlEESF_SV_SG_SH_SI_EUlSV_E0_NS1_11comp_targetILNS1_3genE5ELNS1_11target_archE942ELNS1_3gpuE9ELNS1_3repE0EEENS1_38merge_mergepath_config_static_selectorELNS0_4arch9wavefront6targetE1EEEvSH_: ; @_ZN7rocprim17ROCPRIM_400000_NS6detail17trampoline_kernelINS0_14default_configENS1_38merge_sort_block_merge_config_selectorIslEEZZNS1_27merge_sort_block_merge_implIS3_PsN6thrust23THRUST_200600_302600_NS10device_ptrIlEEjNS1_19radix_merge_compareILb0ELb1EsNS0_19identity_decomposerEEEEE10hipError_tT0_T1_T2_jT3_P12ihipStream_tbPNSt15iterator_traitsISG_E10value_typeEPNSM_ISH_E10value_typeEPSI_NS1_7vsmem_tEENKUlT_SG_SH_SI_E_clIS7_S7_SB_PlEESF_SV_SG_SH_SI_EUlSV_E0_NS1_11comp_targetILNS1_3genE5ELNS1_11target_archE942ELNS1_3gpuE9ELNS1_3repE0EEENS1_38merge_mergepath_config_static_selectorELNS0_4arch9wavefront6targetE1EEEvSH_
; %bb.0:
	.section	.rodata,"a",@progbits
	.p2align	6, 0x0
	.amdhsa_kernel _ZN7rocprim17ROCPRIM_400000_NS6detail17trampoline_kernelINS0_14default_configENS1_38merge_sort_block_merge_config_selectorIslEEZZNS1_27merge_sort_block_merge_implIS3_PsN6thrust23THRUST_200600_302600_NS10device_ptrIlEEjNS1_19radix_merge_compareILb0ELb1EsNS0_19identity_decomposerEEEEE10hipError_tT0_T1_T2_jT3_P12ihipStream_tbPNSt15iterator_traitsISG_E10value_typeEPNSM_ISH_E10value_typeEPSI_NS1_7vsmem_tEENKUlT_SG_SH_SI_E_clIS7_S7_SB_PlEESF_SV_SG_SH_SI_EUlSV_E0_NS1_11comp_targetILNS1_3genE5ELNS1_11target_archE942ELNS1_3gpuE9ELNS1_3repE0EEENS1_38merge_mergepath_config_static_selectorELNS0_4arch9wavefront6targetE1EEEvSH_
		.amdhsa_group_segment_fixed_size 0
		.amdhsa_private_segment_fixed_size 0
		.amdhsa_kernarg_size 64
		.amdhsa_user_sgpr_count 6
		.amdhsa_user_sgpr_private_segment_buffer 1
		.amdhsa_user_sgpr_dispatch_ptr 0
		.amdhsa_user_sgpr_queue_ptr 0
		.amdhsa_user_sgpr_kernarg_segment_ptr 1
		.amdhsa_user_sgpr_dispatch_id 0
		.amdhsa_user_sgpr_flat_scratch_init 0
		.amdhsa_user_sgpr_kernarg_preload_length 0
		.amdhsa_user_sgpr_kernarg_preload_offset 0
		.amdhsa_user_sgpr_private_segment_size 0
		.amdhsa_uses_dynamic_stack 0
		.amdhsa_system_sgpr_private_segment_wavefront_offset 0
		.amdhsa_system_sgpr_workgroup_id_x 1
		.amdhsa_system_sgpr_workgroup_id_y 0
		.amdhsa_system_sgpr_workgroup_id_z 0
		.amdhsa_system_sgpr_workgroup_info 0
		.amdhsa_system_vgpr_workitem_id 0
		.amdhsa_next_free_vgpr 1
		.amdhsa_next_free_sgpr 0
		.amdhsa_accum_offset 4
		.amdhsa_reserve_vcc 0
		.amdhsa_reserve_flat_scratch 0
		.amdhsa_float_round_mode_32 0
		.amdhsa_float_round_mode_16_64 0
		.amdhsa_float_denorm_mode_32 3
		.amdhsa_float_denorm_mode_16_64 3
		.amdhsa_dx10_clamp 1
		.amdhsa_ieee_mode 1
		.amdhsa_fp16_overflow 0
		.amdhsa_tg_split 0
		.amdhsa_exception_fp_ieee_invalid_op 0
		.amdhsa_exception_fp_denorm_src 0
		.amdhsa_exception_fp_ieee_div_zero 0
		.amdhsa_exception_fp_ieee_overflow 0
		.amdhsa_exception_fp_ieee_underflow 0
		.amdhsa_exception_fp_ieee_inexact 0
		.amdhsa_exception_int_div_zero 0
	.end_amdhsa_kernel
	.section	.text._ZN7rocprim17ROCPRIM_400000_NS6detail17trampoline_kernelINS0_14default_configENS1_38merge_sort_block_merge_config_selectorIslEEZZNS1_27merge_sort_block_merge_implIS3_PsN6thrust23THRUST_200600_302600_NS10device_ptrIlEEjNS1_19radix_merge_compareILb0ELb1EsNS0_19identity_decomposerEEEEE10hipError_tT0_T1_T2_jT3_P12ihipStream_tbPNSt15iterator_traitsISG_E10value_typeEPNSM_ISH_E10value_typeEPSI_NS1_7vsmem_tEENKUlT_SG_SH_SI_E_clIS7_S7_SB_PlEESF_SV_SG_SH_SI_EUlSV_E0_NS1_11comp_targetILNS1_3genE5ELNS1_11target_archE942ELNS1_3gpuE9ELNS1_3repE0EEENS1_38merge_mergepath_config_static_selectorELNS0_4arch9wavefront6targetE1EEEvSH_,"axG",@progbits,_ZN7rocprim17ROCPRIM_400000_NS6detail17trampoline_kernelINS0_14default_configENS1_38merge_sort_block_merge_config_selectorIslEEZZNS1_27merge_sort_block_merge_implIS3_PsN6thrust23THRUST_200600_302600_NS10device_ptrIlEEjNS1_19radix_merge_compareILb0ELb1EsNS0_19identity_decomposerEEEEE10hipError_tT0_T1_T2_jT3_P12ihipStream_tbPNSt15iterator_traitsISG_E10value_typeEPNSM_ISH_E10value_typeEPSI_NS1_7vsmem_tEENKUlT_SG_SH_SI_E_clIS7_S7_SB_PlEESF_SV_SG_SH_SI_EUlSV_E0_NS1_11comp_targetILNS1_3genE5ELNS1_11target_archE942ELNS1_3gpuE9ELNS1_3repE0EEENS1_38merge_mergepath_config_static_selectorELNS0_4arch9wavefront6targetE1EEEvSH_,comdat
.Lfunc_end1366:
	.size	_ZN7rocprim17ROCPRIM_400000_NS6detail17trampoline_kernelINS0_14default_configENS1_38merge_sort_block_merge_config_selectorIslEEZZNS1_27merge_sort_block_merge_implIS3_PsN6thrust23THRUST_200600_302600_NS10device_ptrIlEEjNS1_19radix_merge_compareILb0ELb1EsNS0_19identity_decomposerEEEEE10hipError_tT0_T1_T2_jT3_P12ihipStream_tbPNSt15iterator_traitsISG_E10value_typeEPNSM_ISH_E10value_typeEPSI_NS1_7vsmem_tEENKUlT_SG_SH_SI_E_clIS7_S7_SB_PlEESF_SV_SG_SH_SI_EUlSV_E0_NS1_11comp_targetILNS1_3genE5ELNS1_11target_archE942ELNS1_3gpuE9ELNS1_3repE0EEENS1_38merge_mergepath_config_static_selectorELNS0_4arch9wavefront6targetE1EEEvSH_, .Lfunc_end1366-_ZN7rocprim17ROCPRIM_400000_NS6detail17trampoline_kernelINS0_14default_configENS1_38merge_sort_block_merge_config_selectorIslEEZZNS1_27merge_sort_block_merge_implIS3_PsN6thrust23THRUST_200600_302600_NS10device_ptrIlEEjNS1_19radix_merge_compareILb0ELb1EsNS0_19identity_decomposerEEEEE10hipError_tT0_T1_T2_jT3_P12ihipStream_tbPNSt15iterator_traitsISG_E10value_typeEPNSM_ISH_E10value_typeEPSI_NS1_7vsmem_tEENKUlT_SG_SH_SI_E_clIS7_S7_SB_PlEESF_SV_SG_SH_SI_EUlSV_E0_NS1_11comp_targetILNS1_3genE5ELNS1_11target_archE942ELNS1_3gpuE9ELNS1_3repE0EEENS1_38merge_mergepath_config_static_selectorELNS0_4arch9wavefront6targetE1EEEvSH_
                                        ; -- End function
	.section	.AMDGPU.csdata,"",@progbits
; Kernel info:
; codeLenInByte = 0
; NumSgprs: 4
; NumVgprs: 0
; NumAgprs: 0
; TotalNumVgprs: 0
; ScratchSize: 0
; MemoryBound: 0
; FloatMode: 240
; IeeeMode: 1
; LDSByteSize: 0 bytes/workgroup (compile time only)
; SGPRBlocks: 0
; VGPRBlocks: 0
; NumSGPRsForWavesPerEU: 4
; NumVGPRsForWavesPerEU: 1
; AccumOffset: 4
; Occupancy: 8
; WaveLimiterHint : 0
; COMPUTE_PGM_RSRC2:SCRATCH_EN: 0
; COMPUTE_PGM_RSRC2:USER_SGPR: 6
; COMPUTE_PGM_RSRC2:TRAP_HANDLER: 0
; COMPUTE_PGM_RSRC2:TGID_X_EN: 1
; COMPUTE_PGM_RSRC2:TGID_Y_EN: 0
; COMPUTE_PGM_RSRC2:TGID_Z_EN: 0
; COMPUTE_PGM_RSRC2:TIDIG_COMP_CNT: 0
; COMPUTE_PGM_RSRC3_GFX90A:ACCUM_OFFSET: 0
; COMPUTE_PGM_RSRC3_GFX90A:TG_SPLIT: 0
	.section	.text._ZN7rocprim17ROCPRIM_400000_NS6detail17trampoline_kernelINS0_14default_configENS1_38merge_sort_block_merge_config_selectorIslEEZZNS1_27merge_sort_block_merge_implIS3_PsN6thrust23THRUST_200600_302600_NS10device_ptrIlEEjNS1_19radix_merge_compareILb0ELb1EsNS0_19identity_decomposerEEEEE10hipError_tT0_T1_T2_jT3_P12ihipStream_tbPNSt15iterator_traitsISG_E10value_typeEPNSM_ISH_E10value_typeEPSI_NS1_7vsmem_tEENKUlT_SG_SH_SI_E_clIS7_S7_SB_PlEESF_SV_SG_SH_SI_EUlSV_E0_NS1_11comp_targetILNS1_3genE4ELNS1_11target_archE910ELNS1_3gpuE8ELNS1_3repE0EEENS1_38merge_mergepath_config_static_selectorELNS0_4arch9wavefront6targetE1EEEvSH_,"axG",@progbits,_ZN7rocprim17ROCPRIM_400000_NS6detail17trampoline_kernelINS0_14default_configENS1_38merge_sort_block_merge_config_selectorIslEEZZNS1_27merge_sort_block_merge_implIS3_PsN6thrust23THRUST_200600_302600_NS10device_ptrIlEEjNS1_19radix_merge_compareILb0ELb1EsNS0_19identity_decomposerEEEEE10hipError_tT0_T1_T2_jT3_P12ihipStream_tbPNSt15iterator_traitsISG_E10value_typeEPNSM_ISH_E10value_typeEPSI_NS1_7vsmem_tEENKUlT_SG_SH_SI_E_clIS7_S7_SB_PlEESF_SV_SG_SH_SI_EUlSV_E0_NS1_11comp_targetILNS1_3genE4ELNS1_11target_archE910ELNS1_3gpuE8ELNS1_3repE0EEENS1_38merge_mergepath_config_static_selectorELNS0_4arch9wavefront6targetE1EEEvSH_,comdat
	.protected	_ZN7rocprim17ROCPRIM_400000_NS6detail17trampoline_kernelINS0_14default_configENS1_38merge_sort_block_merge_config_selectorIslEEZZNS1_27merge_sort_block_merge_implIS3_PsN6thrust23THRUST_200600_302600_NS10device_ptrIlEEjNS1_19radix_merge_compareILb0ELb1EsNS0_19identity_decomposerEEEEE10hipError_tT0_T1_T2_jT3_P12ihipStream_tbPNSt15iterator_traitsISG_E10value_typeEPNSM_ISH_E10value_typeEPSI_NS1_7vsmem_tEENKUlT_SG_SH_SI_E_clIS7_S7_SB_PlEESF_SV_SG_SH_SI_EUlSV_E0_NS1_11comp_targetILNS1_3genE4ELNS1_11target_archE910ELNS1_3gpuE8ELNS1_3repE0EEENS1_38merge_mergepath_config_static_selectorELNS0_4arch9wavefront6targetE1EEEvSH_ ; -- Begin function _ZN7rocprim17ROCPRIM_400000_NS6detail17trampoline_kernelINS0_14default_configENS1_38merge_sort_block_merge_config_selectorIslEEZZNS1_27merge_sort_block_merge_implIS3_PsN6thrust23THRUST_200600_302600_NS10device_ptrIlEEjNS1_19radix_merge_compareILb0ELb1EsNS0_19identity_decomposerEEEEE10hipError_tT0_T1_T2_jT3_P12ihipStream_tbPNSt15iterator_traitsISG_E10value_typeEPNSM_ISH_E10value_typeEPSI_NS1_7vsmem_tEENKUlT_SG_SH_SI_E_clIS7_S7_SB_PlEESF_SV_SG_SH_SI_EUlSV_E0_NS1_11comp_targetILNS1_3genE4ELNS1_11target_archE910ELNS1_3gpuE8ELNS1_3repE0EEENS1_38merge_mergepath_config_static_selectorELNS0_4arch9wavefront6targetE1EEEvSH_
	.globl	_ZN7rocprim17ROCPRIM_400000_NS6detail17trampoline_kernelINS0_14default_configENS1_38merge_sort_block_merge_config_selectorIslEEZZNS1_27merge_sort_block_merge_implIS3_PsN6thrust23THRUST_200600_302600_NS10device_ptrIlEEjNS1_19radix_merge_compareILb0ELb1EsNS0_19identity_decomposerEEEEE10hipError_tT0_T1_T2_jT3_P12ihipStream_tbPNSt15iterator_traitsISG_E10value_typeEPNSM_ISH_E10value_typeEPSI_NS1_7vsmem_tEENKUlT_SG_SH_SI_E_clIS7_S7_SB_PlEESF_SV_SG_SH_SI_EUlSV_E0_NS1_11comp_targetILNS1_3genE4ELNS1_11target_archE910ELNS1_3gpuE8ELNS1_3repE0EEENS1_38merge_mergepath_config_static_selectorELNS0_4arch9wavefront6targetE1EEEvSH_
	.p2align	8
	.type	_ZN7rocprim17ROCPRIM_400000_NS6detail17trampoline_kernelINS0_14default_configENS1_38merge_sort_block_merge_config_selectorIslEEZZNS1_27merge_sort_block_merge_implIS3_PsN6thrust23THRUST_200600_302600_NS10device_ptrIlEEjNS1_19radix_merge_compareILb0ELb1EsNS0_19identity_decomposerEEEEE10hipError_tT0_T1_T2_jT3_P12ihipStream_tbPNSt15iterator_traitsISG_E10value_typeEPNSM_ISH_E10value_typeEPSI_NS1_7vsmem_tEENKUlT_SG_SH_SI_E_clIS7_S7_SB_PlEESF_SV_SG_SH_SI_EUlSV_E0_NS1_11comp_targetILNS1_3genE4ELNS1_11target_archE910ELNS1_3gpuE8ELNS1_3repE0EEENS1_38merge_mergepath_config_static_selectorELNS0_4arch9wavefront6targetE1EEEvSH_,@function
_ZN7rocprim17ROCPRIM_400000_NS6detail17trampoline_kernelINS0_14default_configENS1_38merge_sort_block_merge_config_selectorIslEEZZNS1_27merge_sort_block_merge_implIS3_PsN6thrust23THRUST_200600_302600_NS10device_ptrIlEEjNS1_19radix_merge_compareILb0ELb1EsNS0_19identity_decomposerEEEEE10hipError_tT0_T1_T2_jT3_P12ihipStream_tbPNSt15iterator_traitsISG_E10value_typeEPNSM_ISH_E10value_typeEPSI_NS1_7vsmem_tEENKUlT_SG_SH_SI_E_clIS7_S7_SB_PlEESF_SV_SG_SH_SI_EUlSV_E0_NS1_11comp_targetILNS1_3genE4ELNS1_11target_archE910ELNS1_3gpuE8ELNS1_3repE0EEENS1_38merge_mergepath_config_static_selectorELNS0_4arch9wavefront6targetE1EEEvSH_: ; @_ZN7rocprim17ROCPRIM_400000_NS6detail17trampoline_kernelINS0_14default_configENS1_38merge_sort_block_merge_config_selectorIslEEZZNS1_27merge_sort_block_merge_implIS3_PsN6thrust23THRUST_200600_302600_NS10device_ptrIlEEjNS1_19radix_merge_compareILb0ELb1EsNS0_19identity_decomposerEEEEE10hipError_tT0_T1_T2_jT3_P12ihipStream_tbPNSt15iterator_traitsISG_E10value_typeEPNSM_ISH_E10value_typeEPSI_NS1_7vsmem_tEENKUlT_SG_SH_SI_E_clIS7_S7_SB_PlEESF_SV_SG_SH_SI_EUlSV_E0_NS1_11comp_targetILNS1_3genE4ELNS1_11target_archE910ELNS1_3gpuE8ELNS1_3repE0EEENS1_38merge_mergepath_config_static_selectorELNS0_4arch9wavefront6targetE1EEEvSH_
; %bb.0:
	s_load_dwordx2 s[24:25], s[4:5], 0x40
	s_load_dword s2, s[4:5], 0x30
	s_add_u32 s0, s4, 64
	s_addc_u32 s1, s5, 0
	s_waitcnt lgkmcnt(0)
	s_mul_i32 s3, s25, s8
	s_add_i32 s3, s3, s7
	s_mul_i32 s3, s3, s24
	s_add_i32 s22, s3, s6
	s_cmp_ge_u32 s22, s2
	s_cbranch_scc1 .LBB1367_46
; %bb.1:
	s_load_dwordx8 s[8:15], s[4:5], 0x10
	s_load_dwordx2 s[28:29], s[4:5], 0x8
	s_load_dwordx2 s[2:3], s[4:5], 0x38
	s_mov_b32 s23, 0
	v_mov_b32_e32 v3, 0
	s_waitcnt lgkmcnt(0)
	s_lshr_b32 s7, s14, 10
	s_cmp_lg_u32 s22, s7
	s_cselect_b64 s[18:19], -1, 0
	s_lshl_b64 s[16:17], s[22:23], 2
	s_add_u32 s2, s2, s16
	s_addc_u32 s3, s3, s17
	s_lshr_b32 s16, s15, 9
	s_and_b32 s16, s16, 0x7ffffe
	s_load_dwordx2 s[2:3], s[2:3], 0x0
	s_sub_i32 s17, 0, s16
	s_and_b32 s20, s22, s17
	s_lshl_b32 s21, s20, 10
	s_lshl_b32 s16, s22, 10
	;; [unrolled: 1-line block ×3, first 2 shown]
	s_sub_i32 s25, s16, s21
	s_add_i32 s26, s20, s15
	s_add_i32 s25, s26, s25
	s_waitcnt lgkmcnt(0)
	s_sub_i32 s20, s25, s2
	s_sub_i32 s25, s25, s3
	;; [unrolled: 1-line block ×3, first 2 shown]
	s_min_u32 s20, s14, s20
	s_addk_i32 s25, 0x400
	s_or_b32 s17, s22, s17
	s_min_u32 s26, s14, s21
	s_add_i32 s21, s21, s15
	s_cmp_eq_u32 s17, -1
	s_cselect_b32 s15, s21, s25
	s_cselect_b32 s3, s26, s3
	s_min_u32 s17, s15, s14
	s_sub_i32 s15, s3, s2
	s_mov_b32 s3, s23
	s_lshl_b64 s[26:27], s[2:3], 1
	s_add_u32 s26, s28, s26
	s_mov_b32 s21, s23
	s_addc_u32 s27, s29, s27
	s_lshl_b64 s[30:31], s[20:21], 1
	s_add_u32 s23, s28, s30
	s_addc_u32 s25, s29, s31
	s_cmp_lt_u32 s6, s24
	s_cselect_b32 s6, 12, 18
	global_load_dword v1, v3, s[0:1] offset:14
	s_add_u32 s0, s0, s6
	s_addc_u32 s1, s1, 0
	global_load_ushort v2, v3, s[0:1]
	s_cmp_eq_u32 s22, s7
	s_waitcnt vmcnt(1)
	v_lshrrev_b32_e32 v4, 16, v1
	v_and_b32_e32 v1, 0xffff, v1
	v_mul_lo_u32 v1, v1, v4
	s_waitcnt vmcnt(0)
	v_mul_lo_u32 v17, v1, v2
	v_add_u32_e32 v14, v17, v0
	v_lshlrev_b32_e32 v1, 1, v0
	v_add_u32_e32 v12, v14, v17
	s_cbranch_scc1 .LBB1367_3
; %bb.2:
	v_mov_b32_e32 v2, s27
	v_add_co_u32_e32 v6, vcc, s26, v1
	v_addc_co_u32_e32 v7, vcc, 0, v2, vcc
	v_subrev_u32_e32 v2, s15, v0
	v_lshlrev_b64 v[4:5], 1, v[2:3]
	v_mov_b32_e32 v2, s25
	v_add_co_u32_e32 v4, vcc, s23, v4
	v_addc_co_u32_e32 v2, vcc, v2, v5, vcc
	v_cmp_gt_u32_e32 vcc, s15, v0
	v_cndmask_b32_e32 v5, v2, v7, vcc
	v_cndmask_b32_e32 v4, v4, v6, vcc
	v_mov_b32_e32 v15, v3
	global_load_ushort v6, v[4:5], off
	v_lshlrev_b64 v[4:5], 1, v[14:15]
	v_mov_b32_e32 v2, s27
	v_add_co_u32_e32 v7, vcc, s26, v4
	v_addc_co_u32_e32 v8, vcc, v2, v5, vcc
	v_subrev_u32_e32 v2, s15, v14
	v_lshlrev_b64 v[4:5], 1, v[2:3]
	v_mov_b32_e32 v2, s25
	v_add_co_u32_e32 v4, vcc, s23, v4
	v_addc_co_u32_e32 v2, vcc, v2, v5, vcc
	v_cmp_gt_u32_e32 vcc, s15, v14
	v_cndmask_b32_e32 v5, v2, v8, vcc
	v_cndmask_b32_e32 v4, v4, v7, vcc
	v_mov_b32_e32 v13, v3
	global_load_ushort v7, v[4:5], off
	v_lshlrev_b64 v[4:5], 1, v[12:13]
	v_mov_b32_e32 v2, s27
	v_add_co_u32_e32 v4, vcc, s26, v4
	v_addc_co_u32_e32 v5, vcc, v2, v5, vcc
	v_subrev_u32_e32 v2, s15, v12
	v_lshlrev_b64 v[2:3], 1, v[2:3]
	v_mov_b32_e32 v8, s25
	v_add_co_u32_e32 v2, vcc, s23, v2
	v_addc_co_u32_e32 v3, vcc, v8, v3, vcc
	v_cmp_gt_u32_e32 vcc, s15, v12
	v_cndmask_b32_e32 v3, v3, v5, vcc
	v_cndmask_b32_e32 v2, v2, v4, vcc
	global_load_ushort v11, v[2:3], off
	s_mov_b32 s0, 0x5040100
	v_add_u32_e32 v2, v12, v17
	s_waitcnt vmcnt(1)
	v_perm_b32 v10, v7, v6, s0
	s_mov_b64 s[0:1], -1
	s_sub_i32 s17, s17, s20
	s_cbranch_execz .LBB1367_4
	s_branch .LBB1367_9
.LBB1367_3:
	s_mov_b64 s[0:1], 0
                                        ; implicit-def: $vgpr10_vgpr11
                                        ; implicit-def: $vgpr2
	s_sub_i32 s17, s17, s20
.LBB1367_4:
	s_add_i32 s6, s17, s15
	v_cmp_gt_u32_e32 vcc, s6, v0
                                        ; implicit-def: $vgpr10_vgpr11
	s_and_saveexec_b64 s[0:1], vcc
	s_cbranch_execnz .LBB1367_47
; %bb.5:
	s_or_b64 exec, exec, s[0:1]
	v_cmp_gt_u32_e32 vcc, s6, v14
	s_and_saveexec_b64 s[0:1], vcc
	s_cbranch_execnz .LBB1367_48
.LBB1367_6:
	s_or_b64 exec, exec, s[0:1]
	v_cmp_gt_u32_e32 vcc, s6, v12
	s_and_saveexec_b64 s[0:1], vcc
	s_cbranch_execz .LBB1367_8
.LBB1367_7:
	v_mov_b32_e32 v13, 0
	v_lshlrev_b64 v[2:3], 1, v[12:13]
	v_mov_b32_e32 v4, s27
	v_add_co_u32_e32 v5, vcc, s26, v2
	v_addc_co_u32_e32 v4, vcc, v4, v3, vcc
	v_subrev_u32_e32 v2, s15, v12
	v_mov_b32_e32 v3, v13
	v_lshlrev_b64 v[2:3], 1, v[2:3]
	v_mov_b32_e32 v6, s25
	v_add_co_u32_e32 v2, vcc, s23, v2
	v_addc_co_u32_e32 v3, vcc, v6, v3, vcc
	v_cmp_gt_u32_e32 vcc, s15, v12
	v_cndmask_b32_e32 v3, v3, v4, vcc
	v_cndmask_b32_e32 v2, v2, v5, vcc
	global_load_ushort v2, v[2:3], off
	s_mov_b32 s7, 0xffff
	s_waitcnt vmcnt(0)
	v_bfi_b32 v11, s7, v2, v11
.LBB1367_8:
	s_or_b64 exec, exec, s[0:1]
	v_add_u32_e32 v2, v12, v17
	v_cmp_gt_u32_e64 s[0:1], s6, v2
.LBB1367_9:
	s_and_saveexec_b64 s[6:7], s[0:1]
	s_cbranch_execz .LBB1367_11
; %bb.10:
	v_mov_b32_e32 v3, 0
	v_lshlrev_b64 v[4:5], 1, v[2:3]
	v_mov_b32_e32 v6, s27
	v_add_co_u32_e32 v4, vcc, s26, v4
	v_addc_co_u32_e32 v5, vcc, v6, v5, vcc
	v_cmp_gt_u32_e32 vcc, s15, v2
	v_subrev_u32_e32 v2, s15, v2
	v_lshlrev_b64 v[2:3], 1, v[2:3]
	v_mov_b32_e32 v6, s25
	v_add_co_u32_e64 v2, s[0:1], s23, v2
	v_addc_co_u32_e64 v3, s[0:1], v6, v3, s[0:1]
	v_cndmask_b32_e32 v3, v3, v5, vcc
	v_cndmask_b32_e32 v2, v2, v4, vcc
	global_load_ushort v2, v[2:3], off
	s_mov_b32 s0, 0x5040100
	s_waitcnt vmcnt(0)
	v_perm_b32 v11, v2, v11, s0
.LBB1367_11:
	s_or_b64 exec, exec, s[6:7]
	s_lshl_b64 s[0:1], s[2:3], 3
	s_add_u32 s6, s10, s0
	s_addc_u32 s7, s11, s1
	s_lshl_b64 s[0:1], s[20:21], 3
	s_add_u32 s10, s10, s0
	s_waitcnt vmcnt(0)
	v_lshrrev_b32_e32 v19, 16, v10
	v_lshrrev_b32_e32 v20, 16, v11
	s_addc_u32 s11, s11, s1
	s_andn2_b64 vcc, exec, s[18:19]
	v_lshlrev_b32_e32 v18, 3, v0
	ds_write_b16 v1, v10
	ds_write_b16 v1, v19 offset:512
	ds_write_b16 v1, v11 offset:1024
	;; [unrolled: 1-line block ×3, first 2 shown]
	s_cbranch_vccnz .LBB1367_13
; %bb.12:
	v_subrev_u32_e32 v6, s15, v0
	v_mov_b32_e32 v7, 0
	v_lshlrev_b64 v[2:3], 3, v[6:7]
	v_mov_b32_e32 v4, s11
	v_add_co_u32_e32 v2, vcc, s10, v2
	v_addc_co_u32_e32 v3, vcc, v4, v3, vcc
	v_mov_b32_e32 v4, s7
	v_add_co_u32_e32 v5, vcc, s6, v18
	v_addc_co_u32_e32 v4, vcc, 0, v4, vcc
	v_cmp_gt_u32_e32 vcc, s15, v0
	v_subrev_u32_e32 v6, s15, v14
	v_cndmask_b32_e32 v3, v3, v4, vcc
	v_cndmask_b32_e32 v2, v2, v5, vcc
	v_lshlrev_b64 v[4:5], 3, v[6:7]
	v_mov_b32_e32 v6, s11
	v_add_co_u32_e32 v8, vcc, s10, v4
	v_mov_b32_e32 v15, v7
	v_addc_co_u32_e32 v6, vcc, v6, v5, vcc
	v_lshlrev_b64 v[4:5], 3, v[14:15]
	v_mov_b32_e32 v9, s7
	v_add_co_u32_e32 v4, vcc, s6, v4
	v_addc_co_u32_e32 v5, vcc, v9, v5, vcc
	v_cmp_gt_u32_e32 vcc, s15, v14
	v_cndmask_b32_e32 v5, v6, v5, vcc
	v_subrev_u32_e32 v6, s15, v12
	v_cndmask_b32_e32 v4, v8, v4, vcc
	v_lshlrev_b64 v[8:9], 3, v[6:7]
	v_mov_b32_e32 v6, s11
	v_add_co_u32_e32 v8, vcc, s10, v8
	v_mov_b32_e32 v13, v7
	v_addc_co_u32_e32 v9, vcc, v6, v9, vcc
	v_lshlrev_b64 v[6:7], 3, v[12:13]
	v_mov_b32_e32 v13, s7
	v_add_co_u32_e32 v6, vcc, s6, v6
	v_addc_co_u32_e32 v7, vcc, v13, v7, vcc
	v_cmp_gt_u32_e32 vcc, s15, v12
	v_cndmask_b32_e32 v7, v9, v7, vcc
	v_cndmask_b32_e32 v6, v8, v6, vcc
	global_load_dwordx2 v[2:3], v[2:3], off
	v_add_u32_e32 v16, v12, v17
	global_load_dwordx2 v[4:5], v[4:5], off
	s_add_i32 s20, s17, s15
	global_load_dwordx2 v[6:7], v[6:7], off
	s_mov_b64 s[0:1], -1
	s_cbranch_execz .LBB1367_14
	s_branch .LBB1367_19
.LBB1367_13:
	s_mov_b64 s[0:1], 0
                                        ; implicit-def: $vgpr16
                                        ; implicit-def: $vgpr2_vgpr3_vgpr4_vgpr5_vgpr6_vgpr7_vgpr8_vgpr9
                                        ; implicit-def: $sgpr20
.LBB1367_14:
	s_add_i32 s20, s17, s15
	v_cmp_gt_u32_e32 vcc, s20, v0
                                        ; implicit-def: $vgpr2_vgpr3_vgpr4_vgpr5_vgpr6_vgpr7_vgpr8_vgpr9
	s_and_saveexec_b64 s[0:1], vcc
	s_cbranch_execnz .LBB1367_49
; %bb.15:
	s_or_b64 exec, exec, s[0:1]
	v_cmp_gt_u32_e32 vcc, s20, v14
	s_and_saveexec_b64 s[2:3], vcc
	s_cbranch_execnz .LBB1367_50
.LBB1367_16:
	s_or_b64 exec, exec, s[2:3]
	v_cmp_gt_u32_e32 vcc, s20, v12
	s_and_saveexec_b64 s[0:1], vcc
	s_cbranch_execz .LBB1367_18
.LBB1367_17:
	v_mov_b32_e32 v13, 0
	s_waitcnt vmcnt(0)
	v_lshlrev_b64 v[6:7], 3, v[12:13]
	v_mov_b32_e32 v14, s7
	v_add_co_u32_e32 v15, vcc, s6, v6
	v_addc_co_u32_e32 v14, vcc, v14, v7, vcc
	v_subrev_u32_e32 v6, s15, v12
	v_mov_b32_e32 v7, v13
	v_lshlrev_b64 v[6:7], 3, v[6:7]
	v_mov_b32_e32 v13, s11
	v_add_co_u32_e32 v6, vcc, s10, v6
	v_addc_co_u32_e32 v7, vcc, v13, v7, vcc
	v_cmp_gt_u32_e32 vcc, s15, v12
	v_cndmask_b32_e32 v7, v7, v14, vcc
	v_cndmask_b32_e32 v6, v6, v15, vcc
	global_load_dwordx2 v[6:7], v[6:7], off
.LBB1367_18:
	s_or_b64 exec, exec, s[0:1]
	v_add_u32_e32 v16, v12, v17
	v_cmp_gt_u32_e64 s[0:1], s20, v16
.LBB1367_19:
	v_mov_b32_e32 v13, s20
	s_and_saveexec_b64 s[2:3], s[0:1]
	s_cbranch_execz .LBB1367_21
; %bb.20:
	v_subrev_u32_e32 v8, s15, v16
	v_mov_b32_e32 v9, 0
	v_lshlrev_b64 v[12:13], 3, v[8:9]
	v_mov_b32_e32 v8, s11
	v_add_co_u32_e32 v12, vcc, s10, v12
	v_mov_b32_e32 v17, v9
	v_addc_co_u32_e32 v13, vcc, v8, v13, vcc
	v_lshlrev_b64 v[8:9], 3, v[16:17]
	v_mov_b32_e32 v14, s7
	v_add_co_u32_e32 v8, vcc, s6, v8
	v_addc_co_u32_e32 v9, vcc, v14, v9, vcc
	v_cmp_gt_u32_e32 vcc, s15, v16
	v_cndmask_b32_e32 v9, v13, v9, vcc
	v_cndmask_b32_e32 v8, v12, v8, vcc
	global_load_dwordx2 v[8:9], v[8:9], off
	v_mov_b32_e32 v13, s20
.LBB1367_21:
	s_or_b64 exec, exec, s[2:3]
	s_load_dword s20, s[4:5], 0x34
	v_lshlrev_b32_e32 v12, 2, v0
	v_min_u32_e32 v15, v13, v12
	v_sub_u32_e64 v14, v15, s17 clamp
	v_min_u32_e32 v16, s15, v15
	v_cmp_lt_u32_e32 vcc, v14, v16
	s_waitcnt lgkmcnt(0)
	s_barrier
	s_and_saveexec_b64 s[0:1], vcc
	s_cbranch_execz .LBB1367_25
; %bb.22:
	v_lshlrev_b32_e32 v17, 1, v15
	v_lshl_add_u32 v17, s15, 1, v17
	s_mov_b64 s[2:3], 0
.LBB1367_23:                            ; =>This Inner Loop Header: Depth=1
	v_add_u32_e32 v21, v16, v14
	v_lshrrev_b32_e32 v22, 1, v21
	v_not_b32_e32 v23, v22
	v_and_b32_e32 v21, -2, v21
	v_lshl_add_u32 v23, v23, 1, v17
	ds_read_u16 v21, v21
	ds_read_u16 v23, v23
	v_add_u32_e32 v24, 1, v22
	s_waitcnt lgkmcnt(1)
	v_and_b32_e32 v21, s20, v21
	s_waitcnt lgkmcnt(0)
	v_and_b32_e32 v23, s20, v23
	v_cmp_gt_i16_e32 vcc, v21, v23
	v_cndmask_b32_e32 v16, v16, v22, vcc
	v_cndmask_b32_e32 v14, v24, v14, vcc
	v_cmp_ge_u32_e32 vcc, v14, v16
	s_or_b64 s[2:3], vcc, s[2:3]
	s_andn2_b64 exec, exec, s[2:3]
	s_cbranch_execnz .LBB1367_23
; %bb.24:
	s_or_b64 exec, exec, s[2:3]
.LBB1367_25:
	s_or_b64 exec, exec, s[0:1]
	v_sub_u32_e32 v15, v15, v14
	v_add_u32_e32 v22, s15, v15
	v_cmp_ge_u32_e32 vcc, s15, v14
	v_cmp_le_u32_e64 s[0:1], v22, v13
	s_or_b64 s[0:1], vcc, s[0:1]
                                        ; implicit-def: $vgpr21
                                        ; implicit-def: $vgpr17
                                        ; implicit-def: $vgpr16
                                        ; implicit-def: $vgpr15
	s_and_saveexec_b64 s[10:11], s[0:1]
	s_cbranch_execz .LBB1367_31
; %bb.26:
	v_cmp_gt_u32_e32 vcc, s15, v14
                                        ; implicit-def: $vgpr10
	s_and_saveexec_b64 s[0:1], vcc
	s_cbranch_execz .LBB1367_28
; %bb.27:
	v_lshlrev_b32_e32 v10, 1, v14
	ds_read_u16 v10, v10
.LBB1367_28:
	s_or_b64 exec, exec, s[0:1]
	v_cmp_ge_u32_e64 s[0:1], v22, v13
	v_cmp_lt_u32_e64 s[2:3], v22, v13
                                        ; implicit-def: $vgpr11
	s_and_saveexec_b64 s[4:5], s[2:3]
	s_cbranch_execz .LBB1367_30
; %bb.29:
	v_lshlrev_b32_e32 v11, 1, v22
	ds_read_u16 v11, v11
.LBB1367_30:
	s_or_b64 exec, exec, s[4:5]
	s_waitcnt lgkmcnt(0)
	v_and_b32_e32 v15, s20, v11
	v_and_b32_e32 v16, s20, v10
	v_cmp_le_i16_e64 s[2:3], v16, v15
	s_and_b64 s[2:3], vcc, s[2:3]
	s_or_b64 vcc, s[0:1], s[2:3]
	v_mov_b32_e32 v19, s15
	v_cndmask_b32_e32 v15, v22, v14, vcc
	v_cndmask_b32_e32 v16, v13, v19, vcc
	v_add_u32_e32 v17, 1, v15
	v_add_u32_e32 v16, -1, v16
	v_min_u32_e32 v16, v17, v16
	v_lshlrev_b32_e32 v16, 1, v16
	ds_read_u16 v16, v16
	v_cndmask_b32_e32 v22, v17, v22, vcc
	v_cndmask_b32_e32 v14, v14, v17, vcc
	v_cmp_gt_u32_e64 s[2:3], s15, v14
	v_cmp_ge_u32_e64 s[0:1], v22, v13
	s_waitcnt lgkmcnt(0)
	v_cndmask_b32_e32 v20, v16, v11, vcc
	v_cndmask_b32_e32 v21, v10, v16, vcc
	v_and_b32_e32 v16, s20, v20
	v_and_b32_e32 v17, s20, v21
	v_cmp_le_i16_e64 s[4:5], v17, v16
	s_and_b64 s[2:3], s[2:3], s[4:5]
	s_or_b64 s[0:1], s[0:1], s[2:3]
	v_cndmask_b32_e64 v16, v22, v14, s[0:1]
	v_cndmask_b32_e64 v17, v13, v19, s[0:1]
	v_add_u32_e32 v23, 1, v16
	v_add_u32_e32 v17, -1, v17
	v_min_u32_e32 v17, v23, v17
	v_lshlrev_b32_e32 v17, 1, v17
	ds_read_u16 v17, v17
	v_cndmask_b32_e64 v22, v23, v22, s[0:1]
	v_cndmask_b32_e64 v14, v14, v23, s[0:1]
	v_cmp_gt_u32_e64 s[4:5], s15, v14
	v_cmp_ge_u32_e64 s[2:3], v22, v13
	s_waitcnt lgkmcnt(0)
	v_cndmask_b32_e64 v24, v17, v20, s[0:1]
	v_cndmask_b32_e64 v25, v21, v17, s[0:1]
	v_and_b32_e32 v17, s20, v24
	v_and_b32_e32 v23, s20, v25
	v_cmp_le_i16_e64 s[6:7], v23, v17
	s_and_b64 s[4:5], s[4:5], s[6:7]
	s_or_b64 s[2:3], s[2:3], s[4:5]
	v_cndmask_b32_e64 v17, v22, v14, s[2:3]
	v_cndmask_b32_e64 v19, v13, v19, s[2:3]
	v_add_u32_e32 v23, 1, v17
	v_add_u32_e32 v19, -1, v19
	v_min_u32_e32 v19, v23, v19
	v_lshlrev_b32_e32 v19, 1, v19
	ds_read_u16 v26, v19
	v_cndmask_b32_e32 v10, v11, v10, vcc
	v_cndmask_b32_e64 v19, v20, v21, s[0:1]
	v_cndmask_b32_e64 v11, v24, v25, s[2:3]
	;; [unrolled: 1-line block ×3, first 2 shown]
	s_waitcnt lgkmcnt(0)
	v_cndmask_b32_e64 v20, v26, v24, s[2:3]
	v_cndmask_b32_e64 v24, v25, v26, s[2:3]
	v_cndmask_b32_e64 v14, v14, v23, s[2:3]
	v_cmp_ge_u32_e32 vcc, v21, v13
	v_and_b32_e32 v13, s20, v20
	v_and_b32_e32 v22, s20, v24
	v_cmp_gt_u32_e64 s[0:1], s15, v14
	v_cmp_le_i16_e64 s[2:3], v22, v13
	s_and_b64 s[0:1], s[0:1], s[2:3]
	s_or_b64 vcc, vcc, s[0:1]
	v_cndmask_b32_e32 v21, v21, v14, vcc
	v_cndmask_b32_e32 v20, v20, v24, vcc
.LBB1367_31:
	s_or_b64 exec, exec, s[10:11]
	v_lshrrev_b32_e32 v13, 2, v0
	v_mad_u32_u24 v14, v0, 6, v1
	v_and_b32_e32 v13, 60, v13
	s_mov_b32 s2, 0x5040100
	s_barrier
	s_waitcnt vmcnt(0)
	ds_write2st64_b64 v14, v[2:3], v[4:5] offset1:4
	ds_write2st64_b64 v14, v[6:7], v[8:9] offset0:8 offset1:12
	v_lshlrev_b32_e32 v2, 3, v15
	v_lshlrev_b32_e32 v3, 3, v16
	;; [unrolled: 1-line block ×4, first 2 shown]
	v_add_u32_e32 v13, v14, v13
	v_perm_b32 v11, v20, v11, s2
	v_perm_b32 v10, v19, v10, s2
	s_waitcnt lgkmcnt(0)
	s_barrier
	ds_read_b64 v[6:7], v2
	ds_read_b64 v[8:9], v3
	;; [unrolled: 1-line block ×4, first 2 shown]
	s_waitcnt lgkmcnt(0)
	s_barrier
	s_barrier
	ds_write2_b32 v13, v10, v11 offset1:1
	v_lshrrev_b32_e32 v10, 4, v0
	v_and_b32_e32 v10, 12, v10
	v_or_b32_e32 v23, 0x100, v0
	v_add_u32_e32 v24, v1, v10
	v_lshrrev_b32_e32 v10, 4, v23
	v_and_b32_e32 v10, 28, v10
	v_or_b32_e32 v22, 0x200, v0
	s_mov_b32 s17, 0
	v_add_u32_e32 v25, v1, v10
	v_lshrrev_b32_e32 v10, 4, v22
	s_lshl_b64 s[0:1], s[16:17], 1
	v_and_b32_e32 v10, 44, v10
	v_or_b32_e32 v21, 0x300, v0
	s_add_u32 s0, s8, s0
	v_add_u32_e32 v26, v1, v10
	v_lshrrev_b32_e32 v10, 4, v21
	s_addc_u32 s1, s9, s1
	v_and_b32_e32 v10, 60, v10
	v_add_u32_e32 v27, v1, v10
	v_mov_b32_e32 v11, s1
	v_add_co_u32_e32 v10, vcc, s0, v1
	v_lshrrev_b32_e32 v13, 5, v23
	v_lshrrev_b32_e32 v17, 5, v22
	;; [unrolled: 1-line block ×3, first 2 shown]
	v_addc_co_u32_e32 v11, vcc, 0, v11, vcc
	v_lshrrev_b32_e32 v16, 3, v0
	v_lshrrev_b32_e32 v15, 5, v0
	s_and_b64 vcc, exec, s[18:19]
	v_lshlrev_b32_e32 v20, 3, v12
	v_lshl_add_u32 v1, v13, 3, v14
	v_lshl_add_u32 v17, v17, 3, v14
	;; [unrolled: 1-line block ×3, first 2 shown]
	s_waitcnt lgkmcnt(0)
	s_cbranch_vccz .LBB1367_33
; %bb.32:
	s_barrier
	ds_read_u16 v12, v24
	ds_read_u16 v13, v25 offset:512
	ds_read_u16 v28, v26 offset:1024
	;; [unrolled: 1-line block ×3, first 2 shown]
	s_lshl_b64 s[0:1], s[16:17], 3
	s_add_u32 s0, s12, s0
	s_waitcnt lgkmcnt(3)
	global_store_short v[10:11], v12, off
	s_waitcnt lgkmcnt(2)
	global_store_short v[10:11], v13, off offset:512
	s_waitcnt lgkmcnt(1)
	global_store_short v[10:11], v28, off offset:1024
	;; [unrolled: 2-line block ×3, first 2 shown]
	v_lshl_add_u32 v12, v16, 3, v20
	s_barrier
	ds_write2_b64 v12, v[6:7], v[8:9] offset1:1
	ds_write2_b64 v12, v[2:3], v[4:5] offset0:2 offset1:3
	v_lshl_add_u32 v12, v15, 3, v14
	s_addc_u32 s1, s13, s1
	s_waitcnt lgkmcnt(0)
	s_barrier
	ds_read_b64 v[28:29], v12
	ds_read_b64 v[30:31], v1 offset:2048
	ds_read_b64 v[32:33], v17 offset:4096
	;; [unrolled: 1-line block ×3, first 2 shown]
	v_mov_b32_e32 v34, s1
	v_add_co_u32_e32 v35, vcc, s0, v18
	v_addc_co_u32_e32 v34, vcc, 0, v34, vcc
	s_waitcnt lgkmcnt(3)
	global_store_dwordx2 v18, v[28:29], s[0:1]
	s_waitcnt lgkmcnt(2)
	global_store_dwordx2 v18, v[30:31], s[0:1] offset:2048
	v_add_co_u32_e32 v28, vcc, 0x1000, v35
	v_addc_co_u32_e32 v29, vcc, 0, v34, vcc
	s_waitcnt lgkmcnt(1)
	global_store_dwordx2 v[28:29], v[32:33], off
	s_mov_b64 s[6:7], -1
	s_cbranch_execz .LBB1367_34
	s_branch .LBB1367_44
.LBB1367_33:
	s_mov_b64 s[6:7], 0
                                        ; implicit-def: $vgpr12_vgpr13
.LBB1367_34:
	s_barrier
	s_waitcnt lgkmcnt(0)
	ds_read_u16 v25, v25 offset:512
	ds_read_u16 v13, v26 offset:1024
	;; [unrolled: 1-line block ×3, first 2 shown]
	s_sub_i32 s6, s14, s16
	v_cmp_gt_u32_e32 vcc, s6, v0
	s_and_saveexec_b64 s[0:1], vcc
	s_cbranch_execnz .LBB1367_51
; %bb.35:
	s_or_b64 exec, exec, s[0:1]
	v_cmp_gt_u32_e64 s[0:1], s6, v23
	s_and_saveexec_b64 s[2:3], s[0:1]
	s_cbranch_execnz .LBB1367_52
.LBB1367_36:
	s_or_b64 exec, exec, s[2:3]
	v_cmp_gt_u32_e64 s[2:3], s6, v22
	s_and_saveexec_b64 s[4:5], s[2:3]
	s_cbranch_execnz .LBB1367_53
.LBB1367_37:
	s_or_b64 exec, exec, s[4:5]
	v_cmp_gt_u32_e64 s[6:7], s6, v21
	s_and_saveexec_b64 s[4:5], s[6:7]
	s_cbranch_execz .LBB1367_39
.LBB1367_38:
	s_waitcnt lgkmcnt(0)
	global_store_short v[10:11], v12, off offset:1536
.LBB1367_39:
	s_or_b64 exec, exec, s[4:5]
	v_lshl_add_u32 v0, v16, 3, v20
	s_waitcnt lgkmcnt(0)
	s_barrier
	ds_write2_b64 v0, v[6:7], v[8:9] offset1:1
	ds_write2_b64 v0, v[2:3], v[4:5] offset0:2 offset1:3
	s_waitcnt lgkmcnt(0)
	s_barrier
	ds_read_b64 v[4:5], v1 offset:2048
	ds_read_b64 v[0:1], v17 offset:4096
	;; [unrolled: 1-line block ×3, first 2 shown]
	s_lshl_b64 s[4:5], s[16:17], 3
	s_add_u32 s4, s12, s4
	s_addc_u32 s5, s13, s5
	v_mov_b32_e32 v3, s5
	v_add_co_u32_e64 v2, s[4:5], s4, v18
	v_addc_co_u32_e64 v3, s[4:5], 0, v3, s[4:5]
	s_and_saveexec_b64 s[4:5], vcc
	s_cbranch_execnz .LBB1367_54
; %bb.40:
	s_or_b64 exec, exec, s[4:5]
	s_and_saveexec_b64 s[4:5], s[0:1]
	s_cbranch_execnz .LBB1367_55
.LBB1367_41:
	s_or_b64 exec, exec, s[4:5]
	s_and_saveexec_b64 s[0:1], s[2:3]
	s_cbranch_execz .LBB1367_43
.LBB1367_42:
	v_add_co_u32_e32 v2, vcc, 0x1000, v2
	v_addc_co_u32_e32 v3, vcc, 0, v3, vcc
	s_waitcnt lgkmcnt(1)
	global_store_dwordx2 v[2:3], v[0:1], off
.LBB1367_43:
	s_or_b64 exec, exec, s[0:1]
.LBB1367_44:
	s_and_saveexec_b64 s[0:1], s[6:7]
	s_cbranch_execz .LBB1367_46
; %bb.45:
	s_lshl_b64 s[0:1], s[16:17], 3
	s_add_u32 s0, s12, s0
	s_addc_u32 s1, s13, s1
	s_waitcnt lgkmcnt(1)
	v_mov_b32_e32 v0, s1
	v_add_co_u32_e32 v1, vcc, s0, v18
	v_addc_co_u32_e32 v2, vcc, 0, v0, vcc
	v_add_co_u32_e32 v0, vcc, 0x1000, v1
	v_addc_co_u32_e32 v1, vcc, 0, v2, vcc
	s_waitcnt lgkmcnt(0)
	global_store_dwordx2 v[0:1], v[12:13], off offset:2048
.LBB1367_46:
	s_endpgm
.LBB1367_47:
	v_mov_b32_e32 v2, s27
	v_add_co_u32_e32 v4, vcc, s26, v1
	v_mov_b32_e32 v3, 0
	v_addc_co_u32_e32 v5, vcc, 0, v2, vcc
	v_subrev_u32_e32 v2, s15, v0
	v_lshlrev_b64 v[2:3], 1, v[2:3]
	v_mov_b32_e32 v6, s25
	v_add_co_u32_e32 v2, vcc, s23, v2
	v_addc_co_u32_e32 v3, vcc, v6, v3, vcc
	v_cmp_gt_u32_e32 vcc, s15, v0
	v_cndmask_b32_e32 v3, v3, v5, vcc
	v_cndmask_b32_e32 v2, v2, v4, vcc
	global_load_ushort v10, v[2:3], off
	s_or_b64 exec, exec, s[0:1]
	v_cmp_gt_u32_e32 vcc, s6, v14
	s_and_saveexec_b64 s[0:1], vcc
	s_cbranch_execz .LBB1367_6
.LBB1367_48:
	v_mov_b32_e32 v15, 0
	v_lshlrev_b64 v[2:3], 1, v[14:15]
	v_mov_b32_e32 v4, s27
	v_add_co_u32_e32 v5, vcc, s26, v2
	v_addc_co_u32_e32 v4, vcc, v4, v3, vcc
	v_subrev_u32_e32 v2, s15, v14
	v_mov_b32_e32 v3, v15
	v_lshlrev_b64 v[2:3], 1, v[2:3]
	v_mov_b32_e32 v6, s25
	v_add_co_u32_e32 v2, vcc, s23, v2
	v_addc_co_u32_e32 v3, vcc, v6, v3, vcc
	v_cmp_gt_u32_e32 vcc, s15, v14
	v_cndmask_b32_e32 v3, v3, v4, vcc
	v_cndmask_b32_e32 v2, v2, v5, vcc
	global_load_ushort v2, v[2:3], off
	s_mov_b32 s7, 0x5040100
	s_waitcnt vmcnt(0)
	v_perm_b32 v10, v2, v10, s7
	s_or_b64 exec, exec, s[0:1]
	v_cmp_gt_u32_e32 vcc, s6, v12
	s_and_saveexec_b64 s[0:1], vcc
	s_cbranch_execnz .LBB1367_7
	s_branch .LBB1367_8
.LBB1367_49:
	s_waitcnt vmcnt(2)
	v_mov_b32_e32 v2, s7
	s_waitcnt vmcnt(1)
	v_add_co_u32_e32 v4, vcc, s6, v18
	v_mov_b32_e32 v3, 0
	v_addc_co_u32_e32 v5, vcc, 0, v2, vcc
	v_subrev_u32_e32 v2, s15, v0
	v_lshlrev_b64 v[2:3], 3, v[2:3]
	s_waitcnt vmcnt(0)
	v_mov_b32_e32 v6, s11
	v_add_co_u32_e32 v2, vcc, s10, v2
	v_addc_co_u32_e32 v3, vcc, v6, v3, vcc
	v_cmp_gt_u32_e32 vcc, s15, v0
	v_cndmask_b32_e32 v3, v3, v5, vcc
	v_cndmask_b32_e32 v2, v2, v4, vcc
	global_load_dwordx2 v[2:3], v[2:3], off
	s_or_b64 exec, exec, s[0:1]
	v_cmp_gt_u32_e32 vcc, s20, v14
	s_and_saveexec_b64 s[2:3], vcc
	s_cbranch_execz .LBB1367_16
.LBB1367_50:
	v_mov_b32_e32 v15, 0
	s_waitcnt vmcnt(1)
	v_lshlrev_b64 v[4:5], 3, v[14:15]
	v_mov_b32_e32 v13, s7
	v_add_co_u32_e32 v16, vcc, s6, v4
	v_addc_co_u32_e32 v13, vcc, v13, v5, vcc
	v_cmp_gt_u32_e32 vcc, s15, v14
	v_subrev_u32_e32 v14, s15, v14
	v_lshlrev_b64 v[4:5], 3, v[14:15]
	v_mov_b32_e32 v14, s11
	v_add_co_u32_e64 v4, s[0:1], s10, v4
	v_addc_co_u32_e64 v5, s[0:1], v14, v5, s[0:1]
	v_cndmask_b32_e32 v5, v5, v13, vcc
	v_cndmask_b32_e32 v4, v4, v16, vcc
	global_load_dwordx2 v[4:5], v[4:5], off
	s_or_b64 exec, exec, s[2:3]
	v_cmp_gt_u32_e32 vcc, s20, v12
	s_and_saveexec_b64 s[0:1], vcc
	s_cbranch_execnz .LBB1367_17
	s_branch .LBB1367_18
.LBB1367_51:
	ds_read_u16 v0, v24
	s_waitcnt lgkmcnt(0)
	global_store_short v[10:11], v0, off
	s_or_b64 exec, exec, s[0:1]
	v_cmp_gt_u32_e64 s[0:1], s6, v23
	s_and_saveexec_b64 s[2:3], s[0:1]
	s_cbranch_execz .LBB1367_36
.LBB1367_52:
	s_waitcnt lgkmcnt(2)
	global_store_short v[10:11], v25, off offset:512
	s_or_b64 exec, exec, s[2:3]
	v_cmp_gt_u32_e64 s[2:3], s6, v22
	s_and_saveexec_b64 s[4:5], s[2:3]
	s_cbranch_execz .LBB1367_37
.LBB1367_53:
	s_waitcnt lgkmcnt(1)
	global_store_short v[10:11], v13, off offset:1024
	s_or_b64 exec, exec, s[4:5]
	v_cmp_gt_u32_e64 s[6:7], s6, v21
	s_and_saveexec_b64 s[4:5], s[6:7]
	s_cbranch_execnz .LBB1367_38
	s_branch .LBB1367_39
.LBB1367_54:
	v_lshl_add_u32 v6, v15, 3, v14
	ds_read_b64 v[6:7], v6
	s_waitcnt lgkmcnt(0)
	global_store_dwordx2 v[2:3], v[6:7], off
	s_or_b64 exec, exec, s[4:5]
	s_and_saveexec_b64 s[4:5], s[0:1]
	s_cbranch_execz .LBB1367_41
.LBB1367_55:
	s_waitcnt lgkmcnt(2)
	global_store_dwordx2 v[2:3], v[4:5], off offset:2048
	s_or_b64 exec, exec, s[4:5]
	s_and_saveexec_b64 s[0:1], s[2:3]
	s_cbranch_execnz .LBB1367_42
	s_branch .LBB1367_43
	.section	.rodata,"a",@progbits
	.p2align	6, 0x0
	.amdhsa_kernel _ZN7rocprim17ROCPRIM_400000_NS6detail17trampoline_kernelINS0_14default_configENS1_38merge_sort_block_merge_config_selectorIslEEZZNS1_27merge_sort_block_merge_implIS3_PsN6thrust23THRUST_200600_302600_NS10device_ptrIlEEjNS1_19radix_merge_compareILb0ELb1EsNS0_19identity_decomposerEEEEE10hipError_tT0_T1_T2_jT3_P12ihipStream_tbPNSt15iterator_traitsISG_E10value_typeEPNSM_ISH_E10value_typeEPSI_NS1_7vsmem_tEENKUlT_SG_SH_SI_E_clIS7_S7_SB_PlEESF_SV_SG_SH_SI_EUlSV_E0_NS1_11comp_targetILNS1_3genE4ELNS1_11target_archE910ELNS1_3gpuE8ELNS1_3repE0EEENS1_38merge_mergepath_config_static_selectorELNS0_4arch9wavefront6targetE1EEEvSH_
		.amdhsa_group_segment_fixed_size 8448
		.amdhsa_private_segment_fixed_size 0
		.amdhsa_kernarg_size 320
		.amdhsa_user_sgpr_count 6
		.amdhsa_user_sgpr_private_segment_buffer 1
		.amdhsa_user_sgpr_dispatch_ptr 0
		.amdhsa_user_sgpr_queue_ptr 0
		.amdhsa_user_sgpr_kernarg_segment_ptr 1
		.amdhsa_user_sgpr_dispatch_id 0
		.amdhsa_user_sgpr_flat_scratch_init 0
		.amdhsa_user_sgpr_kernarg_preload_length 0
		.amdhsa_user_sgpr_kernarg_preload_offset 0
		.amdhsa_user_sgpr_private_segment_size 0
		.amdhsa_uses_dynamic_stack 0
		.amdhsa_system_sgpr_private_segment_wavefront_offset 0
		.amdhsa_system_sgpr_workgroup_id_x 1
		.amdhsa_system_sgpr_workgroup_id_y 1
		.amdhsa_system_sgpr_workgroup_id_z 1
		.amdhsa_system_sgpr_workgroup_info 0
		.amdhsa_system_vgpr_workitem_id 0
		.amdhsa_next_free_vgpr 36
		.amdhsa_next_free_sgpr 32
		.amdhsa_accum_offset 36
		.amdhsa_reserve_vcc 1
		.amdhsa_reserve_flat_scratch 0
		.amdhsa_float_round_mode_32 0
		.amdhsa_float_round_mode_16_64 0
		.amdhsa_float_denorm_mode_32 3
		.amdhsa_float_denorm_mode_16_64 3
		.amdhsa_dx10_clamp 1
		.amdhsa_ieee_mode 1
		.amdhsa_fp16_overflow 0
		.amdhsa_tg_split 0
		.amdhsa_exception_fp_ieee_invalid_op 0
		.amdhsa_exception_fp_denorm_src 0
		.amdhsa_exception_fp_ieee_div_zero 0
		.amdhsa_exception_fp_ieee_overflow 0
		.amdhsa_exception_fp_ieee_underflow 0
		.amdhsa_exception_fp_ieee_inexact 0
		.amdhsa_exception_int_div_zero 0
	.end_amdhsa_kernel
	.section	.text._ZN7rocprim17ROCPRIM_400000_NS6detail17trampoline_kernelINS0_14default_configENS1_38merge_sort_block_merge_config_selectorIslEEZZNS1_27merge_sort_block_merge_implIS3_PsN6thrust23THRUST_200600_302600_NS10device_ptrIlEEjNS1_19radix_merge_compareILb0ELb1EsNS0_19identity_decomposerEEEEE10hipError_tT0_T1_T2_jT3_P12ihipStream_tbPNSt15iterator_traitsISG_E10value_typeEPNSM_ISH_E10value_typeEPSI_NS1_7vsmem_tEENKUlT_SG_SH_SI_E_clIS7_S7_SB_PlEESF_SV_SG_SH_SI_EUlSV_E0_NS1_11comp_targetILNS1_3genE4ELNS1_11target_archE910ELNS1_3gpuE8ELNS1_3repE0EEENS1_38merge_mergepath_config_static_selectorELNS0_4arch9wavefront6targetE1EEEvSH_,"axG",@progbits,_ZN7rocprim17ROCPRIM_400000_NS6detail17trampoline_kernelINS0_14default_configENS1_38merge_sort_block_merge_config_selectorIslEEZZNS1_27merge_sort_block_merge_implIS3_PsN6thrust23THRUST_200600_302600_NS10device_ptrIlEEjNS1_19radix_merge_compareILb0ELb1EsNS0_19identity_decomposerEEEEE10hipError_tT0_T1_T2_jT3_P12ihipStream_tbPNSt15iterator_traitsISG_E10value_typeEPNSM_ISH_E10value_typeEPSI_NS1_7vsmem_tEENKUlT_SG_SH_SI_E_clIS7_S7_SB_PlEESF_SV_SG_SH_SI_EUlSV_E0_NS1_11comp_targetILNS1_3genE4ELNS1_11target_archE910ELNS1_3gpuE8ELNS1_3repE0EEENS1_38merge_mergepath_config_static_selectorELNS0_4arch9wavefront6targetE1EEEvSH_,comdat
.Lfunc_end1367:
	.size	_ZN7rocprim17ROCPRIM_400000_NS6detail17trampoline_kernelINS0_14default_configENS1_38merge_sort_block_merge_config_selectorIslEEZZNS1_27merge_sort_block_merge_implIS3_PsN6thrust23THRUST_200600_302600_NS10device_ptrIlEEjNS1_19radix_merge_compareILb0ELb1EsNS0_19identity_decomposerEEEEE10hipError_tT0_T1_T2_jT3_P12ihipStream_tbPNSt15iterator_traitsISG_E10value_typeEPNSM_ISH_E10value_typeEPSI_NS1_7vsmem_tEENKUlT_SG_SH_SI_E_clIS7_S7_SB_PlEESF_SV_SG_SH_SI_EUlSV_E0_NS1_11comp_targetILNS1_3genE4ELNS1_11target_archE910ELNS1_3gpuE8ELNS1_3repE0EEENS1_38merge_mergepath_config_static_selectorELNS0_4arch9wavefront6targetE1EEEvSH_, .Lfunc_end1367-_ZN7rocprim17ROCPRIM_400000_NS6detail17trampoline_kernelINS0_14default_configENS1_38merge_sort_block_merge_config_selectorIslEEZZNS1_27merge_sort_block_merge_implIS3_PsN6thrust23THRUST_200600_302600_NS10device_ptrIlEEjNS1_19radix_merge_compareILb0ELb1EsNS0_19identity_decomposerEEEEE10hipError_tT0_T1_T2_jT3_P12ihipStream_tbPNSt15iterator_traitsISG_E10value_typeEPNSM_ISH_E10value_typeEPSI_NS1_7vsmem_tEENKUlT_SG_SH_SI_E_clIS7_S7_SB_PlEESF_SV_SG_SH_SI_EUlSV_E0_NS1_11comp_targetILNS1_3genE4ELNS1_11target_archE910ELNS1_3gpuE8ELNS1_3repE0EEENS1_38merge_mergepath_config_static_selectorELNS0_4arch9wavefront6targetE1EEEvSH_
                                        ; -- End function
	.section	.AMDGPU.csdata,"",@progbits
; Kernel info:
; codeLenInByte = 3468
; NumSgprs: 36
; NumVgprs: 36
; NumAgprs: 0
; TotalNumVgprs: 36
; ScratchSize: 0
; MemoryBound: 0
; FloatMode: 240
; IeeeMode: 1
; LDSByteSize: 8448 bytes/workgroup (compile time only)
; SGPRBlocks: 4
; VGPRBlocks: 4
; NumSGPRsForWavesPerEU: 36
; NumVGPRsForWavesPerEU: 36
; AccumOffset: 36
; Occupancy: 7
; WaveLimiterHint : 1
; COMPUTE_PGM_RSRC2:SCRATCH_EN: 0
; COMPUTE_PGM_RSRC2:USER_SGPR: 6
; COMPUTE_PGM_RSRC2:TRAP_HANDLER: 0
; COMPUTE_PGM_RSRC2:TGID_X_EN: 1
; COMPUTE_PGM_RSRC2:TGID_Y_EN: 1
; COMPUTE_PGM_RSRC2:TGID_Z_EN: 1
; COMPUTE_PGM_RSRC2:TIDIG_COMP_CNT: 0
; COMPUTE_PGM_RSRC3_GFX90A:ACCUM_OFFSET: 8
; COMPUTE_PGM_RSRC3_GFX90A:TG_SPLIT: 0
	.section	.text._ZN7rocprim17ROCPRIM_400000_NS6detail17trampoline_kernelINS0_14default_configENS1_38merge_sort_block_merge_config_selectorIslEEZZNS1_27merge_sort_block_merge_implIS3_PsN6thrust23THRUST_200600_302600_NS10device_ptrIlEEjNS1_19radix_merge_compareILb0ELb1EsNS0_19identity_decomposerEEEEE10hipError_tT0_T1_T2_jT3_P12ihipStream_tbPNSt15iterator_traitsISG_E10value_typeEPNSM_ISH_E10value_typeEPSI_NS1_7vsmem_tEENKUlT_SG_SH_SI_E_clIS7_S7_SB_PlEESF_SV_SG_SH_SI_EUlSV_E0_NS1_11comp_targetILNS1_3genE3ELNS1_11target_archE908ELNS1_3gpuE7ELNS1_3repE0EEENS1_38merge_mergepath_config_static_selectorELNS0_4arch9wavefront6targetE1EEEvSH_,"axG",@progbits,_ZN7rocprim17ROCPRIM_400000_NS6detail17trampoline_kernelINS0_14default_configENS1_38merge_sort_block_merge_config_selectorIslEEZZNS1_27merge_sort_block_merge_implIS3_PsN6thrust23THRUST_200600_302600_NS10device_ptrIlEEjNS1_19radix_merge_compareILb0ELb1EsNS0_19identity_decomposerEEEEE10hipError_tT0_T1_T2_jT3_P12ihipStream_tbPNSt15iterator_traitsISG_E10value_typeEPNSM_ISH_E10value_typeEPSI_NS1_7vsmem_tEENKUlT_SG_SH_SI_E_clIS7_S7_SB_PlEESF_SV_SG_SH_SI_EUlSV_E0_NS1_11comp_targetILNS1_3genE3ELNS1_11target_archE908ELNS1_3gpuE7ELNS1_3repE0EEENS1_38merge_mergepath_config_static_selectorELNS0_4arch9wavefront6targetE1EEEvSH_,comdat
	.protected	_ZN7rocprim17ROCPRIM_400000_NS6detail17trampoline_kernelINS0_14default_configENS1_38merge_sort_block_merge_config_selectorIslEEZZNS1_27merge_sort_block_merge_implIS3_PsN6thrust23THRUST_200600_302600_NS10device_ptrIlEEjNS1_19radix_merge_compareILb0ELb1EsNS0_19identity_decomposerEEEEE10hipError_tT0_T1_T2_jT3_P12ihipStream_tbPNSt15iterator_traitsISG_E10value_typeEPNSM_ISH_E10value_typeEPSI_NS1_7vsmem_tEENKUlT_SG_SH_SI_E_clIS7_S7_SB_PlEESF_SV_SG_SH_SI_EUlSV_E0_NS1_11comp_targetILNS1_3genE3ELNS1_11target_archE908ELNS1_3gpuE7ELNS1_3repE0EEENS1_38merge_mergepath_config_static_selectorELNS0_4arch9wavefront6targetE1EEEvSH_ ; -- Begin function _ZN7rocprim17ROCPRIM_400000_NS6detail17trampoline_kernelINS0_14default_configENS1_38merge_sort_block_merge_config_selectorIslEEZZNS1_27merge_sort_block_merge_implIS3_PsN6thrust23THRUST_200600_302600_NS10device_ptrIlEEjNS1_19radix_merge_compareILb0ELb1EsNS0_19identity_decomposerEEEEE10hipError_tT0_T1_T2_jT3_P12ihipStream_tbPNSt15iterator_traitsISG_E10value_typeEPNSM_ISH_E10value_typeEPSI_NS1_7vsmem_tEENKUlT_SG_SH_SI_E_clIS7_S7_SB_PlEESF_SV_SG_SH_SI_EUlSV_E0_NS1_11comp_targetILNS1_3genE3ELNS1_11target_archE908ELNS1_3gpuE7ELNS1_3repE0EEENS1_38merge_mergepath_config_static_selectorELNS0_4arch9wavefront6targetE1EEEvSH_
	.globl	_ZN7rocprim17ROCPRIM_400000_NS6detail17trampoline_kernelINS0_14default_configENS1_38merge_sort_block_merge_config_selectorIslEEZZNS1_27merge_sort_block_merge_implIS3_PsN6thrust23THRUST_200600_302600_NS10device_ptrIlEEjNS1_19radix_merge_compareILb0ELb1EsNS0_19identity_decomposerEEEEE10hipError_tT0_T1_T2_jT3_P12ihipStream_tbPNSt15iterator_traitsISG_E10value_typeEPNSM_ISH_E10value_typeEPSI_NS1_7vsmem_tEENKUlT_SG_SH_SI_E_clIS7_S7_SB_PlEESF_SV_SG_SH_SI_EUlSV_E0_NS1_11comp_targetILNS1_3genE3ELNS1_11target_archE908ELNS1_3gpuE7ELNS1_3repE0EEENS1_38merge_mergepath_config_static_selectorELNS0_4arch9wavefront6targetE1EEEvSH_
	.p2align	8
	.type	_ZN7rocprim17ROCPRIM_400000_NS6detail17trampoline_kernelINS0_14default_configENS1_38merge_sort_block_merge_config_selectorIslEEZZNS1_27merge_sort_block_merge_implIS3_PsN6thrust23THRUST_200600_302600_NS10device_ptrIlEEjNS1_19radix_merge_compareILb0ELb1EsNS0_19identity_decomposerEEEEE10hipError_tT0_T1_T2_jT3_P12ihipStream_tbPNSt15iterator_traitsISG_E10value_typeEPNSM_ISH_E10value_typeEPSI_NS1_7vsmem_tEENKUlT_SG_SH_SI_E_clIS7_S7_SB_PlEESF_SV_SG_SH_SI_EUlSV_E0_NS1_11comp_targetILNS1_3genE3ELNS1_11target_archE908ELNS1_3gpuE7ELNS1_3repE0EEENS1_38merge_mergepath_config_static_selectorELNS0_4arch9wavefront6targetE1EEEvSH_,@function
_ZN7rocprim17ROCPRIM_400000_NS6detail17trampoline_kernelINS0_14default_configENS1_38merge_sort_block_merge_config_selectorIslEEZZNS1_27merge_sort_block_merge_implIS3_PsN6thrust23THRUST_200600_302600_NS10device_ptrIlEEjNS1_19radix_merge_compareILb0ELb1EsNS0_19identity_decomposerEEEEE10hipError_tT0_T1_T2_jT3_P12ihipStream_tbPNSt15iterator_traitsISG_E10value_typeEPNSM_ISH_E10value_typeEPSI_NS1_7vsmem_tEENKUlT_SG_SH_SI_E_clIS7_S7_SB_PlEESF_SV_SG_SH_SI_EUlSV_E0_NS1_11comp_targetILNS1_3genE3ELNS1_11target_archE908ELNS1_3gpuE7ELNS1_3repE0EEENS1_38merge_mergepath_config_static_selectorELNS0_4arch9wavefront6targetE1EEEvSH_: ; @_ZN7rocprim17ROCPRIM_400000_NS6detail17trampoline_kernelINS0_14default_configENS1_38merge_sort_block_merge_config_selectorIslEEZZNS1_27merge_sort_block_merge_implIS3_PsN6thrust23THRUST_200600_302600_NS10device_ptrIlEEjNS1_19radix_merge_compareILb0ELb1EsNS0_19identity_decomposerEEEEE10hipError_tT0_T1_T2_jT3_P12ihipStream_tbPNSt15iterator_traitsISG_E10value_typeEPNSM_ISH_E10value_typeEPSI_NS1_7vsmem_tEENKUlT_SG_SH_SI_E_clIS7_S7_SB_PlEESF_SV_SG_SH_SI_EUlSV_E0_NS1_11comp_targetILNS1_3genE3ELNS1_11target_archE908ELNS1_3gpuE7ELNS1_3repE0EEENS1_38merge_mergepath_config_static_selectorELNS0_4arch9wavefront6targetE1EEEvSH_
; %bb.0:
	.section	.rodata,"a",@progbits
	.p2align	6, 0x0
	.amdhsa_kernel _ZN7rocprim17ROCPRIM_400000_NS6detail17trampoline_kernelINS0_14default_configENS1_38merge_sort_block_merge_config_selectorIslEEZZNS1_27merge_sort_block_merge_implIS3_PsN6thrust23THRUST_200600_302600_NS10device_ptrIlEEjNS1_19radix_merge_compareILb0ELb1EsNS0_19identity_decomposerEEEEE10hipError_tT0_T1_T2_jT3_P12ihipStream_tbPNSt15iterator_traitsISG_E10value_typeEPNSM_ISH_E10value_typeEPSI_NS1_7vsmem_tEENKUlT_SG_SH_SI_E_clIS7_S7_SB_PlEESF_SV_SG_SH_SI_EUlSV_E0_NS1_11comp_targetILNS1_3genE3ELNS1_11target_archE908ELNS1_3gpuE7ELNS1_3repE0EEENS1_38merge_mergepath_config_static_selectorELNS0_4arch9wavefront6targetE1EEEvSH_
		.amdhsa_group_segment_fixed_size 0
		.amdhsa_private_segment_fixed_size 0
		.amdhsa_kernarg_size 64
		.amdhsa_user_sgpr_count 6
		.amdhsa_user_sgpr_private_segment_buffer 1
		.amdhsa_user_sgpr_dispatch_ptr 0
		.amdhsa_user_sgpr_queue_ptr 0
		.amdhsa_user_sgpr_kernarg_segment_ptr 1
		.amdhsa_user_sgpr_dispatch_id 0
		.amdhsa_user_sgpr_flat_scratch_init 0
		.amdhsa_user_sgpr_kernarg_preload_length 0
		.amdhsa_user_sgpr_kernarg_preload_offset 0
		.amdhsa_user_sgpr_private_segment_size 0
		.amdhsa_uses_dynamic_stack 0
		.amdhsa_system_sgpr_private_segment_wavefront_offset 0
		.amdhsa_system_sgpr_workgroup_id_x 1
		.amdhsa_system_sgpr_workgroup_id_y 0
		.amdhsa_system_sgpr_workgroup_id_z 0
		.amdhsa_system_sgpr_workgroup_info 0
		.amdhsa_system_vgpr_workitem_id 0
		.amdhsa_next_free_vgpr 1
		.amdhsa_next_free_sgpr 0
		.amdhsa_accum_offset 4
		.amdhsa_reserve_vcc 0
		.amdhsa_reserve_flat_scratch 0
		.amdhsa_float_round_mode_32 0
		.amdhsa_float_round_mode_16_64 0
		.amdhsa_float_denorm_mode_32 3
		.amdhsa_float_denorm_mode_16_64 3
		.amdhsa_dx10_clamp 1
		.amdhsa_ieee_mode 1
		.amdhsa_fp16_overflow 0
		.amdhsa_tg_split 0
		.amdhsa_exception_fp_ieee_invalid_op 0
		.amdhsa_exception_fp_denorm_src 0
		.amdhsa_exception_fp_ieee_div_zero 0
		.amdhsa_exception_fp_ieee_overflow 0
		.amdhsa_exception_fp_ieee_underflow 0
		.amdhsa_exception_fp_ieee_inexact 0
		.amdhsa_exception_int_div_zero 0
	.end_amdhsa_kernel
	.section	.text._ZN7rocprim17ROCPRIM_400000_NS6detail17trampoline_kernelINS0_14default_configENS1_38merge_sort_block_merge_config_selectorIslEEZZNS1_27merge_sort_block_merge_implIS3_PsN6thrust23THRUST_200600_302600_NS10device_ptrIlEEjNS1_19radix_merge_compareILb0ELb1EsNS0_19identity_decomposerEEEEE10hipError_tT0_T1_T2_jT3_P12ihipStream_tbPNSt15iterator_traitsISG_E10value_typeEPNSM_ISH_E10value_typeEPSI_NS1_7vsmem_tEENKUlT_SG_SH_SI_E_clIS7_S7_SB_PlEESF_SV_SG_SH_SI_EUlSV_E0_NS1_11comp_targetILNS1_3genE3ELNS1_11target_archE908ELNS1_3gpuE7ELNS1_3repE0EEENS1_38merge_mergepath_config_static_selectorELNS0_4arch9wavefront6targetE1EEEvSH_,"axG",@progbits,_ZN7rocprim17ROCPRIM_400000_NS6detail17trampoline_kernelINS0_14default_configENS1_38merge_sort_block_merge_config_selectorIslEEZZNS1_27merge_sort_block_merge_implIS3_PsN6thrust23THRUST_200600_302600_NS10device_ptrIlEEjNS1_19radix_merge_compareILb0ELb1EsNS0_19identity_decomposerEEEEE10hipError_tT0_T1_T2_jT3_P12ihipStream_tbPNSt15iterator_traitsISG_E10value_typeEPNSM_ISH_E10value_typeEPSI_NS1_7vsmem_tEENKUlT_SG_SH_SI_E_clIS7_S7_SB_PlEESF_SV_SG_SH_SI_EUlSV_E0_NS1_11comp_targetILNS1_3genE3ELNS1_11target_archE908ELNS1_3gpuE7ELNS1_3repE0EEENS1_38merge_mergepath_config_static_selectorELNS0_4arch9wavefront6targetE1EEEvSH_,comdat
.Lfunc_end1368:
	.size	_ZN7rocprim17ROCPRIM_400000_NS6detail17trampoline_kernelINS0_14default_configENS1_38merge_sort_block_merge_config_selectorIslEEZZNS1_27merge_sort_block_merge_implIS3_PsN6thrust23THRUST_200600_302600_NS10device_ptrIlEEjNS1_19radix_merge_compareILb0ELb1EsNS0_19identity_decomposerEEEEE10hipError_tT0_T1_T2_jT3_P12ihipStream_tbPNSt15iterator_traitsISG_E10value_typeEPNSM_ISH_E10value_typeEPSI_NS1_7vsmem_tEENKUlT_SG_SH_SI_E_clIS7_S7_SB_PlEESF_SV_SG_SH_SI_EUlSV_E0_NS1_11comp_targetILNS1_3genE3ELNS1_11target_archE908ELNS1_3gpuE7ELNS1_3repE0EEENS1_38merge_mergepath_config_static_selectorELNS0_4arch9wavefront6targetE1EEEvSH_, .Lfunc_end1368-_ZN7rocprim17ROCPRIM_400000_NS6detail17trampoline_kernelINS0_14default_configENS1_38merge_sort_block_merge_config_selectorIslEEZZNS1_27merge_sort_block_merge_implIS3_PsN6thrust23THRUST_200600_302600_NS10device_ptrIlEEjNS1_19radix_merge_compareILb0ELb1EsNS0_19identity_decomposerEEEEE10hipError_tT0_T1_T2_jT3_P12ihipStream_tbPNSt15iterator_traitsISG_E10value_typeEPNSM_ISH_E10value_typeEPSI_NS1_7vsmem_tEENKUlT_SG_SH_SI_E_clIS7_S7_SB_PlEESF_SV_SG_SH_SI_EUlSV_E0_NS1_11comp_targetILNS1_3genE3ELNS1_11target_archE908ELNS1_3gpuE7ELNS1_3repE0EEENS1_38merge_mergepath_config_static_selectorELNS0_4arch9wavefront6targetE1EEEvSH_
                                        ; -- End function
	.section	.AMDGPU.csdata,"",@progbits
; Kernel info:
; codeLenInByte = 0
; NumSgprs: 4
; NumVgprs: 0
; NumAgprs: 0
; TotalNumVgprs: 0
; ScratchSize: 0
; MemoryBound: 0
; FloatMode: 240
; IeeeMode: 1
; LDSByteSize: 0 bytes/workgroup (compile time only)
; SGPRBlocks: 0
; VGPRBlocks: 0
; NumSGPRsForWavesPerEU: 4
; NumVGPRsForWavesPerEU: 1
; AccumOffset: 4
; Occupancy: 8
; WaveLimiterHint : 0
; COMPUTE_PGM_RSRC2:SCRATCH_EN: 0
; COMPUTE_PGM_RSRC2:USER_SGPR: 6
; COMPUTE_PGM_RSRC2:TRAP_HANDLER: 0
; COMPUTE_PGM_RSRC2:TGID_X_EN: 1
; COMPUTE_PGM_RSRC2:TGID_Y_EN: 0
; COMPUTE_PGM_RSRC2:TGID_Z_EN: 0
; COMPUTE_PGM_RSRC2:TIDIG_COMP_CNT: 0
; COMPUTE_PGM_RSRC3_GFX90A:ACCUM_OFFSET: 0
; COMPUTE_PGM_RSRC3_GFX90A:TG_SPLIT: 0
	.section	.text._ZN7rocprim17ROCPRIM_400000_NS6detail17trampoline_kernelINS0_14default_configENS1_38merge_sort_block_merge_config_selectorIslEEZZNS1_27merge_sort_block_merge_implIS3_PsN6thrust23THRUST_200600_302600_NS10device_ptrIlEEjNS1_19radix_merge_compareILb0ELb1EsNS0_19identity_decomposerEEEEE10hipError_tT0_T1_T2_jT3_P12ihipStream_tbPNSt15iterator_traitsISG_E10value_typeEPNSM_ISH_E10value_typeEPSI_NS1_7vsmem_tEENKUlT_SG_SH_SI_E_clIS7_S7_SB_PlEESF_SV_SG_SH_SI_EUlSV_E0_NS1_11comp_targetILNS1_3genE2ELNS1_11target_archE906ELNS1_3gpuE6ELNS1_3repE0EEENS1_38merge_mergepath_config_static_selectorELNS0_4arch9wavefront6targetE1EEEvSH_,"axG",@progbits,_ZN7rocprim17ROCPRIM_400000_NS6detail17trampoline_kernelINS0_14default_configENS1_38merge_sort_block_merge_config_selectorIslEEZZNS1_27merge_sort_block_merge_implIS3_PsN6thrust23THRUST_200600_302600_NS10device_ptrIlEEjNS1_19radix_merge_compareILb0ELb1EsNS0_19identity_decomposerEEEEE10hipError_tT0_T1_T2_jT3_P12ihipStream_tbPNSt15iterator_traitsISG_E10value_typeEPNSM_ISH_E10value_typeEPSI_NS1_7vsmem_tEENKUlT_SG_SH_SI_E_clIS7_S7_SB_PlEESF_SV_SG_SH_SI_EUlSV_E0_NS1_11comp_targetILNS1_3genE2ELNS1_11target_archE906ELNS1_3gpuE6ELNS1_3repE0EEENS1_38merge_mergepath_config_static_selectorELNS0_4arch9wavefront6targetE1EEEvSH_,comdat
	.protected	_ZN7rocprim17ROCPRIM_400000_NS6detail17trampoline_kernelINS0_14default_configENS1_38merge_sort_block_merge_config_selectorIslEEZZNS1_27merge_sort_block_merge_implIS3_PsN6thrust23THRUST_200600_302600_NS10device_ptrIlEEjNS1_19radix_merge_compareILb0ELb1EsNS0_19identity_decomposerEEEEE10hipError_tT0_T1_T2_jT3_P12ihipStream_tbPNSt15iterator_traitsISG_E10value_typeEPNSM_ISH_E10value_typeEPSI_NS1_7vsmem_tEENKUlT_SG_SH_SI_E_clIS7_S7_SB_PlEESF_SV_SG_SH_SI_EUlSV_E0_NS1_11comp_targetILNS1_3genE2ELNS1_11target_archE906ELNS1_3gpuE6ELNS1_3repE0EEENS1_38merge_mergepath_config_static_selectorELNS0_4arch9wavefront6targetE1EEEvSH_ ; -- Begin function _ZN7rocprim17ROCPRIM_400000_NS6detail17trampoline_kernelINS0_14default_configENS1_38merge_sort_block_merge_config_selectorIslEEZZNS1_27merge_sort_block_merge_implIS3_PsN6thrust23THRUST_200600_302600_NS10device_ptrIlEEjNS1_19radix_merge_compareILb0ELb1EsNS0_19identity_decomposerEEEEE10hipError_tT0_T1_T2_jT3_P12ihipStream_tbPNSt15iterator_traitsISG_E10value_typeEPNSM_ISH_E10value_typeEPSI_NS1_7vsmem_tEENKUlT_SG_SH_SI_E_clIS7_S7_SB_PlEESF_SV_SG_SH_SI_EUlSV_E0_NS1_11comp_targetILNS1_3genE2ELNS1_11target_archE906ELNS1_3gpuE6ELNS1_3repE0EEENS1_38merge_mergepath_config_static_selectorELNS0_4arch9wavefront6targetE1EEEvSH_
	.globl	_ZN7rocprim17ROCPRIM_400000_NS6detail17trampoline_kernelINS0_14default_configENS1_38merge_sort_block_merge_config_selectorIslEEZZNS1_27merge_sort_block_merge_implIS3_PsN6thrust23THRUST_200600_302600_NS10device_ptrIlEEjNS1_19radix_merge_compareILb0ELb1EsNS0_19identity_decomposerEEEEE10hipError_tT0_T1_T2_jT3_P12ihipStream_tbPNSt15iterator_traitsISG_E10value_typeEPNSM_ISH_E10value_typeEPSI_NS1_7vsmem_tEENKUlT_SG_SH_SI_E_clIS7_S7_SB_PlEESF_SV_SG_SH_SI_EUlSV_E0_NS1_11comp_targetILNS1_3genE2ELNS1_11target_archE906ELNS1_3gpuE6ELNS1_3repE0EEENS1_38merge_mergepath_config_static_selectorELNS0_4arch9wavefront6targetE1EEEvSH_
	.p2align	8
	.type	_ZN7rocprim17ROCPRIM_400000_NS6detail17trampoline_kernelINS0_14default_configENS1_38merge_sort_block_merge_config_selectorIslEEZZNS1_27merge_sort_block_merge_implIS3_PsN6thrust23THRUST_200600_302600_NS10device_ptrIlEEjNS1_19radix_merge_compareILb0ELb1EsNS0_19identity_decomposerEEEEE10hipError_tT0_T1_T2_jT3_P12ihipStream_tbPNSt15iterator_traitsISG_E10value_typeEPNSM_ISH_E10value_typeEPSI_NS1_7vsmem_tEENKUlT_SG_SH_SI_E_clIS7_S7_SB_PlEESF_SV_SG_SH_SI_EUlSV_E0_NS1_11comp_targetILNS1_3genE2ELNS1_11target_archE906ELNS1_3gpuE6ELNS1_3repE0EEENS1_38merge_mergepath_config_static_selectorELNS0_4arch9wavefront6targetE1EEEvSH_,@function
_ZN7rocprim17ROCPRIM_400000_NS6detail17trampoline_kernelINS0_14default_configENS1_38merge_sort_block_merge_config_selectorIslEEZZNS1_27merge_sort_block_merge_implIS3_PsN6thrust23THRUST_200600_302600_NS10device_ptrIlEEjNS1_19radix_merge_compareILb0ELb1EsNS0_19identity_decomposerEEEEE10hipError_tT0_T1_T2_jT3_P12ihipStream_tbPNSt15iterator_traitsISG_E10value_typeEPNSM_ISH_E10value_typeEPSI_NS1_7vsmem_tEENKUlT_SG_SH_SI_E_clIS7_S7_SB_PlEESF_SV_SG_SH_SI_EUlSV_E0_NS1_11comp_targetILNS1_3genE2ELNS1_11target_archE906ELNS1_3gpuE6ELNS1_3repE0EEENS1_38merge_mergepath_config_static_selectorELNS0_4arch9wavefront6targetE1EEEvSH_: ; @_ZN7rocprim17ROCPRIM_400000_NS6detail17trampoline_kernelINS0_14default_configENS1_38merge_sort_block_merge_config_selectorIslEEZZNS1_27merge_sort_block_merge_implIS3_PsN6thrust23THRUST_200600_302600_NS10device_ptrIlEEjNS1_19radix_merge_compareILb0ELb1EsNS0_19identity_decomposerEEEEE10hipError_tT0_T1_T2_jT3_P12ihipStream_tbPNSt15iterator_traitsISG_E10value_typeEPNSM_ISH_E10value_typeEPSI_NS1_7vsmem_tEENKUlT_SG_SH_SI_E_clIS7_S7_SB_PlEESF_SV_SG_SH_SI_EUlSV_E0_NS1_11comp_targetILNS1_3genE2ELNS1_11target_archE906ELNS1_3gpuE6ELNS1_3repE0EEENS1_38merge_mergepath_config_static_selectorELNS0_4arch9wavefront6targetE1EEEvSH_
; %bb.0:
	.section	.rodata,"a",@progbits
	.p2align	6, 0x0
	.amdhsa_kernel _ZN7rocprim17ROCPRIM_400000_NS6detail17trampoline_kernelINS0_14default_configENS1_38merge_sort_block_merge_config_selectorIslEEZZNS1_27merge_sort_block_merge_implIS3_PsN6thrust23THRUST_200600_302600_NS10device_ptrIlEEjNS1_19radix_merge_compareILb0ELb1EsNS0_19identity_decomposerEEEEE10hipError_tT0_T1_T2_jT3_P12ihipStream_tbPNSt15iterator_traitsISG_E10value_typeEPNSM_ISH_E10value_typeEPSI_NS1_7vsmem_tEENKUlT_SG_SH_SI_E_clIS7_S7_SB_PlEESF_SV_SG_SH_SI_EUlSV_E0_NS1_11comp_targetILNS1_3genE2ELNS1_11target_archE906ELNS1_3gpuE6ELNS1_3repE0EEENS1_38merge_mergepath_config_static_selectorELNS0_4arch9wavefront6targetE1EEEvSH_
		.amdhsa_group_segment_fixed_size 0
		.amdhsa_private_segment_fixed_size 0
		.amdhsa_kernarg_size 64
		.amdhsa_user_sgpr_count 6
		.amdhsa_user_sgpr_private_segment_buffer 1
		.amdhsa_user_sgpr_dispatch_ptr 0
		.amdhsa_user_sgpr_queue_ptr 0
		.amdhsa_user_sgpr_kernarg_segment_ptr 1
		.amdhsa_user_sgpr_dispatch_id 0
		.amdhsa_user_sgpr_flat_scratch_init 0
		.amdhsa_user_sgpr_kernarg_preload_length 0
		.amdhsa_user_sgpr_kernarg_preload_offset 0
		.amdhsa_user_sgpr_private_segment_size 0
		.amdhsa_uses_dynamic_stack 0
		.amdhsa_system_sgpr_private_segment_wavefront_offset 0
		.amdhsa_system_sgpr_workgroup_id_x 1
		.amdhsa_system_sgpr_workgroup_id_y 0
		.amdhsa_system_sgpr_workgroup_id_z 0
		.amdhsa_system_sgpr_workgroup_info 0
		.amdhsa_system_vgpr_workitem_id 0
		.amdhsa_next_free_vgpr 1
		.amdhsa_next_free_sgpr 0
		.amdhsa_accum_offset 4
		.amdhsa_reserve_vcc 0
		.amdhsa_reserve_flat_scratch 0
		.amdhsa_float_round_mode_32 0
		.amdhsa_float_round_mode_16_64 0
		.amdhsa_float_denorm_mode_32 3
		.amdhsa_float_denorm_mode_16_64 3
		.amdhsa_dx10_clamp 1
		.amdhsa_ieee_mode 1
		.amdhsa_fp16_overflow 0
		.amdhsa_tg_split 0
		.amdhsa_exception_fp_ieee_invalid_op 0
		.amdhsa_exception_fp_denorm_src 0
		.amdhsa_exception_fp_ieee_div_zero 0
		.amdhsa_exception_fp_ieee_overflow 0
		.amdhsa_exception_fp_ieee_underflow 0
		.amdhsa_exception_fp_ieee_inexact 0
		.amdhsa_exception_int_div_zero 0
	.end_amdhsa_kernel
	.section	.text._ZN7rocprim17ROCPRIM_400000_NS6detail17trampoline_kernelINS0_14default_configENS1_38merge_sort_block_merge_config_selectorIslEEZZNS1_27merge_sort_block_merge_implIS3_PsN6thrust23THRUST_200600_302600_NS10device_ptrIlEEjNS1_19radix_merge_compareILb0ELb1EsNS0_19identity_decomposerEEEEE10hipError_tT0_T1_T2_jT3_P12ihipStream_tbPNSt15iterator_traitsISG_E10value_typeEPNSM_ISH_E10value_typeEPSI_NS1_7vsmem_tEENKUlT_SG_SH_SI_E_clIS7_S7_SB_PlEESF_SV_SG_SH_SI_EUlSV_E0_NS1_11comp_targetILNS1_3genE2ELNS1_11target_archE906ELNS1_3gpuE6ELNS1_3repE0EEENS1_38merge_mergepath_config_static_selectorELNS0_4arch9wavefront6targetE1EEEvSH_,"axG",@progbits,_ZN7rocprim17ROCPRIM_400000_NS6detail17trampoline_kernelINS0_14default_configENS1_38merge_sort_block_merge_config_selectorIslEEZZNS1_27merge_sort_block_merge_implIS3_PsN6thrust23THRUST_200600_302600_NS10device_ptrIlEEjNS1_19radix_merge_compareILb0ELb1EsNS0_19identity_decomposerEEEEE10hipError_tT0_T1_T2_jT3_P12ihipStream_tbPNSt15iterator_traitsISG_E10value_typeEPNSM_ISH_E10value_typeEPSI_NS1_7vsmem_tEENKUlT_SG_SH_SI_E_clIS7_S7_SB_PlEESF_SV_SG_SH_SI_EUlSV_E0_NS1_11comp_targetILNS1_3genE2ELNS1_11target_archE906ELNS1_3gpuE6ELNS1_3repE0EEENS1_38merge_mergepath_config_static_selectorELNS0_4arch9wavefront6targetE1EEEvSH_,comdat
.Lfunc_end1369:
	.size	_ZN7rocprim17ROCPRIM_400000_NS6detail17trampoline_kernelINS0_14default_configENS1_38merge_sort_block_merge_config_selectorIslEEZZNS1_27merge_sort_block_merge_implIS3_PsN6thrust23THRUST_200600_302600_NS10device_ptrIlEEjNS1_19radix_merge_compareILb0ELb1EsNS0_19identity_decomposerEEEEE10hipError_tT0_T1_T2_jT3_P12ihipStream_tbPNSt15iterator_traitsISG_E10value_typeEPNSM_ISH_E10value_typeEPSI_NS1_7vsmem_tEENKUlT_SG_SH_SI_E_clIS7_S7_SB_PlEESF_SV_SG_SH_SI_EUlSV_E0_NS1_11comp_targetILNS1_3genE2ELNS1_11target_archE906ELNS1_3gpuE6ELNS1_3repE0EEENS1_38merge_mergepath_config_static_selectorELNS0_4arch9wavefront6targetE1EEEvSH_, .Lfunc_end1369-_ZN7rocprim17ROCPRIM_400000_NS6detail17trampoline_kernelINS0_14default_configENS1_38merge_sort_block_merge_config_selectorIslEEZZNS1_27merge_sort_block_merge_implIS3_PsN6thrust23THRUST_200600_302600_NS10device_ptrIlEEjNS1_19radix_merge_compareILb0ELb1EsNS0_19identity_decomposerEEEEE10hipError_tT0_T1_T2_jT3_P12ihipStream_tbPNSt15iterator_traitsISG_E10value_typeEPNSM_ISH_E10value_typeEPSI_NS1_7vsmem_tEENKUlT_SG_SH_SI_E_clIS7_S7_SB_PlEESF_SV_SG_SH_SI_EUlSV_E0_NS1_11comp_targetILNS1_3genE2ELNS1_11target_archE906ELNS1_3gpuE6ELNS1_3repE0EEENS1_38merge_mergepath_config_static_selectorELNS0_4arch9wavefront6targetE1EEEvSH_
                                        ; -- End function
	.section	.AMDGPU.csdata,"",@progbits
; Kernel info:
; codeLenInByte = 0
; NumSgprs: 4
; NumVgprs: 0
; NumAgprs: 0
; TotalNumVgprs: 0
; ScratchSize: 0
; MemoryBound: 0
; FloatMode: 240
; IeeeMode: 1
; LDSByteSize: 0 bytes/workgroup (compile time only)
; SGPRBlocks: 0
; VGPRBlocks: 0
; NumSGPRsForWavesPerEU: 4
; NumVGPRsForWavesPerEU: 1
; AccumOffset: 4
; Occupancy: 8
; WaveLimiterHint : 0
; COMPUTE_PGM_RSRC2:SCRATCH_EN: 0
; COMPUTE_PGM_RSRC2:USER_SGPR: 6
; COMPUTE_PGM_RSRC2:TRAP_HANDLER: 0
; COMPUTE_PGM_RSRC2:TGID_X_EN: 1
; COMPUTE_PGM_RSRC2:TGID_Y_EN: 0
; COMPUTE_PGM_RSRC2:TGID_Z_EN: 0
; COMPUTE_PGM_RSRC2:TIDIG_COMP_CNT: 0
; COMPUTE_PGM_RSRC3_GFX90A:ACCUM_OFFSET: 0
; COMPUTE_PGM_RSRC3_GFX90A:TG_SPLIT: 0
	.section	.text._ZN7rocprim17ROCPRIM_400000_NS6detail17trampoline_kernelINS0_14default_configENS1_38merge_sort_block_merge_config_selectorIslEEZZNS1_27merge_sort_block_merge_implIS3_PsN6thrust23THRUST_200600_302600_NS10device_ptrIlEEjNS1_19radix_merge_compareILb0ELb1EsNS0_19identity_decomposerEEEEE10hipError_tT0_T1_T2_jT3_P12ihipStream_tbPNSt15iterator_traitsISG_E10value_typeEPNSM_ISH_E10value_typeEPSI_NS1_7vsmem_tEENKUlT_SG_SH_SI_E_clIS7_S7_SB_PlEESF_SV_SG_SH_SI_EUlSV_E0_NS1_11comp_targetILNS1_3genE9ELNS1_11target_archE1100ELNS1_3gpuE3ELNS1_3repE0EEENS1_38merge_mergepath_config_static_selectorELNS0_4arch9wavefront6targetE1EEEvSH_,"axG",@progbits,_ZN7rocprim17ROCPRIM_400000_NS6detail17trampoline_kernelINS0_14default_configENS1_38merge_sort_block_merge_config_selectorIslEEZZNS1_27merge_sort_block_merge_implIS3_PsN6thrust23THRUST_200600_302600_NS10device_ptrIlEEjNS1_19radix_merge_compareILb0ELb1EsNS0_19identity_decomposerEEEEE10hipError_tT0_T1_T2_jT3_P12ihipStream_tbPNSt15iterator_traitsISG_E10value_typeEPNSM_ISH_E10value_typeEPSI_NS1_7vsmem_tEENKUlT_SG_SH_SI_E_clIS7_S7_SB_PlEESF_SV_SG_SH_SI_EUlSV_E0_NS1_11comp_targetILNS1_3genE9ELNS1_11target_archE1100ELNS1_3gpuE3ELNS1_3repE0EEENS1_38merge_mergepath_config_static_selectorELNS0_4arch9wavefront6targetE1EEEvSH_,comdat
	.protected	_ZN7rocprim17ROCPRIM_400000_NS6detail17trampoline_kernelINS0_14default_configENS1_38merge_sort_block_merge_config_selectorIslEEZZNS1_27merge_sort_block_merge_implIS3_PsN6thrust23THRUST_200600_302600_NS10device_ptrIlEEjNS1_19radix_merge_compareILb0ELb1EsNS0_19identity_decomposerEEEEE10hipError_tT0_T1_T2_jT3_P12ihipStream_tbPNSt15iterator_traitsISG_E10value_typeEPNSM_ISH_E10value_typeEPSI_NS1_7vsmem_tEENKUlT_SG_SH_SI_E_clIS7_S7_SB_PlEESF_SV_SG_SH_SI_EUlSV_E0_NS1_11comp_targetILNS1_3genE9ELNS1_11target_archE1100ELNS1_3gpuE3ELNS1_3repE0EEENS1_38merge_mergepath_config_static_selectorELNS0_4arch9wavefront6targetE1EEEvSH_ ; -- Begin function _ZN7rocprim17ROCPRIM_400000_NS6detail17trampoline_kernelINS0_14default_configENS1_38merge_sort_block_merge_config_selectorIslEEZZNS1_27merge_sort_block_merge_implIS3_PsN6thrust23THRUST_200600_302600_NS10device_ptrIlEEjNS1_19radix_merge_compareILb0ELb1EsNS0_19identity_decomposerEEEEE10hipError_tT0_T1_T2_jT3_P12ihipStream_tbPNSt15iterator_traitsISG_E10value_typeEPNSM_ISH_E10value_typeEPSI_NS1_7vsmem_tEENKUlT_SG_SH_SI_E_clIS7_S7_SB_PlEESF_SV_SG_SH_SI_EUlSV_E0_NS1_11comp_targetILNS1_3genE9ELNS1_11target_archE1100ELNS1_3gpuE3ELNS1_3repE0EEENS1_38merge_mergepath_config_static_selectorELNS0_4arch9wavefront6targetE1EEEvSH_
	.globl	_ZN7rocprim17ROCPRIM_400000_NS6detail17trampoline_kernelINS0_14default_configENS1_38merge_sort_block_merge_config_selectorIslEEZZNS1_27merge_sort_block_merge_implIS3_PsN6thrust23THRUST_200600_302600_NS10device_ptrIlEEjNS1_19radix_merge_compareILb0ELb1EsNS0_19identity_decomposerEEEEE10hipError_tT0_T1_T2_jT3_P12ihipStream_tbPNSt15iterator_traitsISG_E10value_typeEPNSM_ISH_E10value_typeEPSI_NS1_7vsmem_tEENKUlT_SG_SH_SI_E_clIS7_S7_SB_PlEESF_SV_SG_SH_SI_EUlSV_E0_NS1_11comp_targetILNS1_3genE9ELNS1_11target_archE1100ELNS1_3gpuE3ELNS1_3repE0EEENS1_38merge_mergepath_config_static_selectorELNS0_4arch9wavefront6targetE1EEEvSH_
	.p2align	8
	.type	_ZN7rocprim17ROCPRIM_400000_NS6detail17trampoline_kernelINS0_14default_configENS1_38merge_sort_block_merge_config_selectorIslEEZZNS1_27merge_sort_block_merge_implIS3_PsN6thrust23THRUST_200600_302600_NS10device_ptrIlEEjNS1_19radix_merge_compareILb0ELb1EsNS0_19identity_decomposerEEEEE10hipError_tT0_T1_T2_jT3_P12ihipStream_tbPNSt15iterator_traitsISG_E10value_typeEPNSM_ISH_E10value_typeEPSI_NS1_7vsmem_tEENKUlT_SG_SH_SI_E_clIS7_S7_SB_PlEESF_SV_SG_SH_SI_EUlSV_E0_NS1_11comp_targetILNS1_3genE9ELNS1_11target_archE1100ELNS1_3gpuE3ELNS1_3repE0EEENS1_38merge_mergepath_config_static_selectorELNS0_4arch9wavefront6targetE1EEEvSH_,@function
_ZN7rocprim17ROCPRIM_400000_NS6detail17trampoline_kernelINS0_14default_configENS1_38merge_sort_block_merge_config_selectorIslEEZZNS1_27merge_sort_block_merge_implIS3_PsN6thrust23THRUST_200600_302600_NS10device_ptrIlEEjNS1_19radix_merge_compareILb0ELb1EsNS0_19identity_decomposerEEEEE10hipError_tT0_T1_T2_jT3_P12ihipStream_tbPNSt15iterator_traitsISG_E10value_typeEPNSM_ISH_E10value_typeEPSI_NS1_7vsmem_tEENKUlT_SG_SH_SI_E_clIS7_S7_SB_PlEESF_SV_SG_SH_SI_EUlSV_E0_NS1_11comp_targetILNS1_3genE9ELNS1_11target_archE1100ELNS1_3gpuE3ELNS1_3repE0EEENS1_38merge_mergepath_config_static_selectorELNS0_4arch9wavefront6targetE1EEEvSH_: ; @_ZN7rocprim17ROCPRIM_400000_NS6detail17trampoline_kernelINS0_14default_configENS1_38merge_sort_block_merge_config_selectorIslEEZZNS1_27merge_sort_block_merge_implIS3_PsN6thrust23THRUST_200600_302600_NS10device_ptrIlEEjNS1_19radix_merge_compareILb0ELb1EsNS0_19identity_decomposerEEEEE10hipError_tT0_T1_T2_jT3_P12ihipStream_tbPNSt15iterator_traitsISG_E10value_typeEPNSM_ISH_E10value_typeEPSI_NS1_7vsmem_tEENKUlT_SG_SH_SI_E_clIS7_S7_SB_PlEESF_SV_SG_SH_SI_EUlSV_E0_NS1_11comp_targetILNS1_3genE9ELNS1_11target_archE1100ELNS1_3gpuE3ELNS1_3repE0EEENS1_38merge_mergepath_config_static_selectorELNS0_4arch9wavefront6targetE1EEEvSH_
; %bb.0:
	.section	.rodata,"a",@progbits
	.p2align	6, 0x0
	.amdhsa_kernel _ZN7rocprim17ROCPRIM_400000_NS6detail17trampoline_kernelINS0_14default_configENS1_38merge_sort_block_merge_config_selectorIslEEZZNS1_27merge_sort_block_merge_implIS3_PsN6thrust23THRUST_200600_302600_NS10device_ptrIlEEjNS1_19radix_merge_compareILb0ELb1EsNS0_19identity_decomposerEEEEE10hipError_tT0_T1_T2_jT3_P12ihipStream_tbPNSt15iterator_traitsISG_E10value_typeEPNSM_ISH_E10value_typeEPSI_NS1_7vsmem_tEENKUlT_SG_SH_SI_E_clIS7_S7_SB_PlEESF_SV_SG_SH_SI_EUlSV_E0_NS1_11comp_targetILNS1_3genE9ELNS1_11target_archE1100ELNS1_3gpuE3ELNS1_3repE0EEENS1_38merge_mergepath_config_static_selectorELNS0_4arch9wavefront6targetE1EEEvSH_
		.amdhsa_group_segment_fixed_size 0
		.amdhsa_private_segment_fixed_size 0
		.amdhsa_kernarg_size 64
		.amdhsa_user_sgpr_count 6
		.amdhsa_user_sgpr_private_segment_buffer 1
		.amdhsa_user_sgpr_dispatch_ptr 0
		.amdhsa_user_sgpr_queue_ptr 0
		.amdhsa_user_sgpr_kernarg_segment_ptr 1
		.amdhsa_user_sgpr_dispatch_id 0
		.amdhsa_user_sgpr_flat_scratch_init 0
		.amdhsa_user_sgpr_kernarg_preload_length 0
		.amdhsa_user_sgpr_kernarg_preload_offset 0
		.amdhsa_user_sgpr_private_segment_size 0
		.amdhsa_uses_dynamic_stack 0
		.amdhsa_system_sgpr_private_segment_wavefront_offset 0
		.amdhsa_system_sgpr_workgroup_id_x 1
		.amdhsa_system_sgpr_workgroup_id_y 0
		.amdhsa_system_sgpr_workgroup_id_z 0
		.amdhsa_system_sgpr_workgroup_info 0
		.amdhsa_system_vgpr_workitem_id 0
		.amdhsa_next_free_vgpr 1
		.amdhsa_next_free_sgpr 0
		.amdhsa_accum_offset 4
		.amdhsa_reserve_vcc 0
		.amdhsa_reserve_flat_scratch 0
		.amdhsa_float_round_mode_32 0
		.amdhsa_float_round_mode_16_64 0
		.amdhsa_float_denorm_mode_32 3
		.amdhsa_float_denorm_mode_16_64 3
		.amdhsa_dx10_clamp 1
		.amdhsa_ieee_mode 1
		.amdhsa_fp16_overflow 0
		.amdhsa_tg_split 0
		.amdhsa_exception_fp_ieee_invalid_op 0
		.amdhsa_exception_fp_denorm_src 0
		.amdhsa_exception_fp_ieee_div_zero 0
		.amdhsa_exception_fp_ieee_overflow 0
		.amdhsa_exception_fp_ieee_underflow 0
		.amdhsa_exception_fp_ieee_inexact 0
		.amdhsa_exception_int_div_zero 0
	.end_amdhsa_kernel
	.section	.text._ZN7rocprim17ROCPRIM_400000_NS6detail17trampoline_kernelINS0_14default_configENS1_38merge_sort_block_merge_config_selectorIslEEZZNS1_27merge_sort_block_merge_implIS3_PsN6thrust23THRUST_200600_302600_NS10device_ptrIlEEjNS1_19radix_merge_compareILb0ELb1EsNS0_19identity_decomposerEEEEE10hipError_tT0_T1_T2_jT3_P12ihipStream_tbPNSt15iterator_traitsISG_E10value_typeEPNSM_ISH_E10value_typeEPSI_NS1_7vsmem_tEENKUlT_SG_SH_SI_E_clIS7_S7_SB_PlEESF_SV_SG_SH_SI_EUlSV_E0_NS1_11comp_targetILNS1_3genE9ELNS1_11target_archE1100ELNS1_3gpuE3ELNS1_3repE0EEENS1_38merge_mergepath_config_static_selectorELNS0_4arch9wavefront6targetE1EEEvSH_,"axG",@progbits,_ZN7rocprim17ROCPRIM_400000_NS6detail17trampoline_kernelINS0_14default_configENS1_38merge_sort_block_merge_config_selectorIslEEZZNS1_27merge_sort_block_merge_implIS3_PsN6thrust23THRUST_200600_302600_NS10device_ptrIlEEjNS1_19radix_merge_compareILb0ELb1EsNS0_19identity_decomposerEEEEE10hipError_tT0_T1_T2_jT3_P12ihipStream_tbPNSt15iterator_traitsISG_E10value_typeEPNSM_ISH_E10value_typeEPSI_NS1_7vsmem_tEENKUlT_SG_SH_SI_E_clIS7_S7_SB_PlEESF_SV_SG_SH_SI_EUlSV_E0_NS1_11comp_targetILNS1_3genE9ELNS1_11target_archE1100ELNS1_3gpuE3ELNS1_3repE0EEENS1_38merge_mergepath_config_static_selectorELNS0_4arch9wavefront6targetE1EEEvSH_,comdat
.Lfunc_end1370:
	.size	_ZN7rocprim17ROCPRIM_400000_NS6detail17trampoline_kernelINS0_14default_configENS1_38merge_sort_block_merge_config_selectorIslEEZZNS1_27merge_sort_block_merge_implIS3_PsN6thrust23THRUST_200600_302600_NS10device_ptrIlEEjNS1_19radix_merge_compareILb0ELb1EsNS0_19identity_decomposerEEEEE10hipError_tT0_T1_T2_jT3_P12ihipStream_tbPNSt15iterator_traitsISG_E10value_typeEPNSM_ISH_E10value_typeEPSI_NS1_7vsmem_tEENKUlT_SG_SH_SI_E_clIS7_S7_SB_PlEESF_SV_SG_SH_SI_EUlSV_E0_NS1_11comp_targetILNS1_3genE9ELNS1_11target_archE1100ELNS1_3gpuE3ELNS1_3repE0EEENS1_38merge_mergepath_config_static_selectorELNS0_4arch9wavefront6targetE1EEEvSH_, .Lfunc_end1370-_ZN7rocprim17ROCPRIM_400000_NS6detail17trampoline_kernelINS0_14default_configENS1_38merge_sort_block_merge_config_selectorIslEEZZNS1_27merge_sort_block_merge_implIS3_PsN6thrust23THRUST_200600_302600_NS10device_ptrIlEEjNS1_19radix_merge_compareILb0ELb1EsNS0_19identity_decomposerEEEEE10hipError_tT0_T1_T2_jT3_P12ihipStream_tbPNSt15iterator_traitsISG_E10value_typeEPNSM_ISH_E10value_typeEPSI_NS1_7vsmem_tEENKUlT_SG_SH_SI_E_clIS7_S7_SB_PlEESF_SV_SG_SH_SI_EUlSV_E0_NS1_11comp_targetILNS1_3genE9ELNS1_11target_archE1100ELNS1_3gpuE3ELNS1_3repE0EEENS1_38merge_mergepath_config_static_selectorELNS0_4arch9wavefront6targetE1EEEvSH_
                                        ; -- End function
	.section	.AMDGPU.csdata,"",@progbits
; Kernel info:
; codeLenInByte = 0
; NumSgprs: 4
; NumVgprs: 0
; NumAgprs: 0
; TotalNumVgprs: 0
; ScratchSize: 0
; MemoryBound: 0
; FloatMode: 240
; IeeeMode: 1
; LDSByteSize: 0 bytes/workgroup (compile time only)
; SGPRBlocks: 0
; VGPRBlocks: 0
; NumSGPRsForWavesPerEU: 4
; NumVGPRsForWavesPerEU: 1
; AccumOffset: 4
; Occupancy: 8
; WaveLimiterHint : 0
; COMPUTE_PGM_RSRC2:SCRATCH_EN: 0
; COMPUTE_PGM_RSRC2:USER_SGPR: 6
; COMPUTE_PGM_RSRC2:TRAP_HANDLER: 0
; COMPUTE_PGM_RSRC2:TGID_X_EN: 1
; COMPUTE_PGM_RSRC2:TGID_Y_EN: 0
; COMPUTE_PGM_RSRC2:TGID_Z_EN: 0
; COMPUTE_PGM_RSRC2:TIDIG_COMP_CNT: 0
; COMPUTE_PGM_RSRC3_GFX90A:ACCUM_OFFSET: 0
; COMPUTE_PGM_RSRC3_GFX90A:TG_SPLIT: 0
	.section	.text._ZN7rocprim17ROCPRIM_400000_NS6detail17trampoline_kernelINS0_14default_configENS1_38merge_sort_block_merge_config_selectorIslEEZZNS1_27merge_sort_block_merge_implIS3_PsN6thrust23THRUST_200600_302600_NS10device_ptrIlEEjNS1_19radix_merge_compareILb0ELb1EsNS0_19identity_decomposerEEEEE10hipError_tT0_T1_T2_jT3_P12ihipStream_tbPNSt15iterator_traitsISG_E10value_typeEPNSM_ISH_E10value_typeEPSI_NS1_7vsmem_tEENKUlT_SG_SH_SI_E_clIS7_S7_SB_PlEESF_SV_SG_SH_SI_EUlSV_E0_NS1_11comp_targetILNS1_3genE8ELNS1_11target_archE1030ELNS1_3gpuE2ELNS1_3repE0EEENS1_38merge_mergepath_config_static_selectorELNS0_4arch9wavefront6targetE1EEEvSH_,"axG",@progbits,_ZN7rocprim17ROCPRIM_400000_NS6detail17trampoline_kernelINS0_14default_configENS1_38merge_sort_block_merge_config_selectorIslEEZZNS1_27merge_sort_block_merge_implIS3_PsN6thrust23THRUST_200600_302600_NS10device_ptrIlEEjNS1_19radix_merge_compareILb0ELb1EsNS0_19identity_decomposerEEEEE10hipError_tT0_T1_T2_jT3_P12ihipStream_tbPNSt15iterator_traitsISG_E10value_typeEPNSM_ISH_E10value_typeEPSI_NS1_7vsmem_tEENKUlT_SG_SH_SI_E_clIS7_S7_SB_PlEESF_SV_SG_SH_SI_EUlSV_E0_NS1_11comp_targetILNS1_3genE8ELNS1_11target_archE1030ELNS1_3gpuE2ELNS1_3repE0EEENS1_38merge_mergepath_config_static_selectorELNS0_4arch9wavefront6targetE1EEEvSH_,comdat
	.protected	_ZN7rocprim17ROCPRIM_400000_NS6detail17trampoline_kernelINS0_14default_configENS1_38merge_sort_block_merge_config_selectorIslEEZZNS1_27merge_sort_block_merge_implIS3_PsN6thrust23THRUST_200600_302600_NS10device_ptrIlEEjNS1_19radix_merge_compareILb0ELb1EsNS0_19identity_decomposerEEEEE10hipError_tT0_T1_T2_jT3_P12ihipStream_tbPNSt15iterator_traitsISG_E10value_typeEPNSM_ISH_E10value_typeEPSI_NS1_7vsmem_tEENKUlT_SG_SH_SI_E_clIS7_S7_SB_PlEESF_SV_SG_SH_SI_EUlSV_E0_NS1_11comp_targetILNS1_3genE8ELNS1_11target_archE1030ELNS1_3gpuE2ELNS1_3repE0EEENS1_38merge_mergepath_config_static_selectorELNS0_4arch9wavefront6targetE1EEEvSH_ ; -- Begin function _ZN7rocprim17ROCPRIM_400000_NS6detail17trampoline_kernelINS0_14default_configENS1_38merge_sort_block_merge_config_selectorIslEEZZNS1_27merge_sort_block_merge_implIS3_PsN6thrust23THRUST_200600_302600_NS10device_ptrIlEEjNS1_19radix_merge_compareILb0ELb1EsNS0_19identity_decomposerEEEEE10hipError_tT0_T1_T2_jT3_P12ihipStream_tbPNSt15iterator_traitsISG_E10value_typeEPNSM_ISH_E10value_typeEPSI_NS1_7vsmem_tEENKUlT_SG_SH_SI_E_clIS7_S7_SB_PlEESF_SV_SG_SH_SI_EUlSV_E0_NS1_11comp_targetILNS1_3genE8ELNS1_11target_archE1030ELNS1_3gpuE2ELNS1_3repE0EEENS1_38merge_mergepath_config_static_selectorELNS0_4arch9wavefront6targetE1EEEvSH_
	.globl	_ZN7rocprim17ROCPRIM_400000_NS6detail17trampoline_kernelINS0_14default_configENS1_38merge_sort_block_merge_config_selectorIslEEZZNS1_27merge_sort_block_merge_implIS3_PsN6thrust23THRUST_200600_302600_NS10device_ptrIlEEjNS1_19radix_merge_compareILb0ELb1EsNS0_19identity_decomposerEEEEE10hipError_tT0_T1_T2_jT3_P12ihipStream_tbPNSt15iterator_traitsISG_E10value_typeEPNSM_ISH_E10value_typeEPSI_NS1_7vsmem_tEENKUlT_SG_SH_SI_E_clIS7_S7_SB_PlEESF_SV_SG_SH_SI_EUlSV_E0_NS1_11comp_targetILNS1_3genE8ELNS1_11target_archE1030ELNS1_3gpuE2ELNS1_3repE0EEENS1_38merge_mergepath_config_static_selectorELNS0_4arch9wavefront6targetE1EEEvSH_
	.p2align	8
	.type	_ZN7rocprim17ROCPRIM_400000_NS6detail17trampoline_kernelINS0_14default_configENS1_38merge_sort_block_merge_config_selectorIslEEZZNS1_27merge_sort_block_merge_implIS3_PsN6thrust23THRUST_200600_302600_NS10device_ptrIlEEjNS1_19radix_merge_compareILb0ELb1EsNS0_19identity_decomposerEEEEE10hipError_tT0_T1_T2_jT3_P12ihipStream_tbPNSt15iterator_traitsISG_E10value_typeEPNSM_ISH_E10value_typeEPSI_NS1_7vsmem_tEENKUlT_SG_SH_SI_E_clIS7_S7_SB_PlEESF_SV_SG_SH_SI_EUlSV_E0_NS1_11comp_targetILNS1_3genE8ELNS1_11target_archE1030ELNS1_3gpuE2ELNS1_3repE0EEENS1_38merge_mergepath_config_static_selectorELNS0_4arch9wavefront6targetE1EEEvSH_,@function
_ZN7rocprim17ROCPRIM_400000_NS6detail17trampoline_kernelINS0_14default_configENS1_38merge_sort_block_merge_config_selectorIslEEZZNS1_27merge_sort_block_merge_implIS3_PsN6thrust23THRUST_200600_302600_NS10device_ptrIlEEjNS1_19radix_merge_compareILb0ELb1EsNS0_19identity_decomposerEEEEE10hipError_tT0_T1_T2_jT3_P12ihipStream_tbPNSt15iterator_traitsISG_E10value_typeEPNSM_ISH_E10value_typeEPSI_NS1_7vsmem_tEENKUlT_SG_SH_SI_E_clIS7_S7_SB_PlEESF_SV_SG_SH_SI_EUlSV_E0_NS1_11comp_targetILNS1_3genE8ELNS1_11target_archE1030ELNS1_3gpuE2ELNS1_3repE0EEENS1_38merge_mergepath_config_static_selectorELNS0_4arch9wavefront6targetE1EEEvSH_: ; @_ZN7rocprim17ROCPRIM_400000_NS6detail17trampoline_kernelINS0_14default_configENS1_38merge_sort_block_merge_config_selectorIslEEZZNS1_27merge_sort_block_merge_implIS3_PsN6thrust23THRUST_200600_302600_NS10device_ptrIlEEjNS1_19radix_merge_compareILb0ELb1EsNS0_19identity_decomposerEEEEE10hipError_tT0_T1_T2_jT3_P12ihipStream_tbPNSt15iterator_traitsISG_E10value_typeEPNSM_ISH_E10value_typeEPSI_NS1_7vsmem_tEENKUlT_SG_SH_SI_E_clIS7_S7_SB_PlEESF_SV_SG_SH_SI_EUlSV_E0_NS1_11comp_targetILNS1_3genE8ELNS1_11target_archE1030ELNS1_3gpuE2ELNS1_3repE0EEENS1_38merge_mergepath_config_static_selectorELNS0_4arch9wavefront6targetE1EEEvSH_
; %bb.0:
	.section	.rodata,"a",@progbits
	.p2align	6, 0x0
	.amdhsa_kernel _ZN7rocprim17ROCPRIM_400000_NS6detail17trampoline_kernelINS0_14default_configENS1_38merge_sort_block_merge_config_selectorIslEEZZNS1_27merge_sort_block_merge_implIS3_PsN6thrust23THRUST_200600_302600_NS10device_ptrIlEEjNS1_19radix_merge_compareILb0ELb1EsNS0_19identity_decomposerEEEEE10hipError_tT0_T1_T2_jT3_P12ihipStream_tbPNSt15iterator_traitsISG_E10value_typeEPNSM_ISH_E10value_typeEPSI_NS1_7vsmem_tEENKUlT_SG_SH_SI_E_clIS7_S7_SB_PlEESF_SV_SG_SH_SI_EUlSV_E0_NS1_11comp_targetILNS1_3genE8ELNS1_11target_archE1030ELNS1_3gpuE2ELNS1_3repE0EEENS1_38merge_mergepath_config_static_selectorELNS0_4arch9wavefront6targetE1EEEvSH_
		.amdhsa_group_segment_fixed_size 0
		.amdhsa_private_segment_fixed_size 0
		.amdhsa_kernarg_size 64
		.amdhsa_user_sgpr_count 6
		.amdhsa_user_sgpr_private_segment_buffer 1
		.amdhsa_user_sgpr_dispatch_ptr 0
		.amdhsa_user_sgpr_queue_ptr 0
		.amdhsa_user_sgpr_kernarg_segment_ptr 1
		.amdhsa_user_sgpr_dispatch_id 0
		.amdhsa_user_sgpr_flat_scratch_init 0
		.amdhsa_user_sgpr_kernarg_preload_length 0
		.amdhsa_user_sgpr_kernarg_preload_offset 0
		.amdhsa_user_sgpr_private_segment_size 0
		.amdhsa_uses_dynamic_stack 0
		.amdhsa_system_sgpr_private_segment_wavefront_offset 0
		.amdhsa_system_sgpr_workgroup_id_x 1
		.amdhsa_system_sgpr_workgroup_id_y 0
		.amdhsa_system_sgpr_workgroup_id_z 0
		.amdhsa_system_sgpr_workgroup_info 0
		.amdhsa_system_vgpr_workitem_id 0
		.amdhsa_next_free_vgpr 1
		.amdhsa_next_free_sgpr 0
		.amdhsa_accum_offset 4
		.amdhsa_reserve_vcc 0
		.amdhsa_reserve_flat_scratch 0
		.amdhsa_float_round_mode_32 0
		.amdhsa_float_round_mode_16_64 0
		.amdhsa_float_denorm_mode_32 3
		.amdhsa_float_denorm_mode_16_64 3
		.amdhsa_dx10_clamp 1
		.amdhsa_ieee_mode 1
		.amdhsa_fp16_overflow 0
		.amdhsa_tg_split 0
		.amdhsa_exception_fp_ieee_invalid_op 0
		.amdhsa_exception_fp_denorm_src 0
		.amdhsa_exception_fp_ieee_div_zero 0
		.amdhsa_exception_fp_ieee_overflow 0
		.amdhsa_exception_fp_ieee_underflow 0
		.amdhsa_exception_fp_ieee_inexact 0
		.amdhsa_exception_int_div_zero 0
	.end_amdhsa_kernel
	.section	.text._ZN7rocprim17ROCPRIM_400000_NS6detail17trampoline_kernelINS0_14default_configENS1_38merge_sort_block_merge_config_selectorIslEEZZNS1_27merge_sort_block_merge_implIS3_PsN6thrust23THRUST_200600_302600_NS10device_ptrIlEEjNS1_19radix_merge_compareILb0ELb1EsNS0_19identity_decomposerEEEEE10hipError_tT0_T1_T2_jT3_P12ihipStream_tbPNSt15iterator_traitsISG_E10value_typeEPNSM_ISH_E10value_typeEPSI_NS1_7vsmem_tEENKUlT_SG_SH_SI_E_clIS7_S7_SB_PlEESF_SV_SG_SH_SI_EUlSV_E0_NS1_11comp_targetILNS1_3genE8ELNS1_11target_archE1030ELNS1_3gpuE2ELNS1_3repE0EEENS1_38merge_mergepath_config_static_selectorELNS0_4arch9wavefront6targetE1EEEvSH_,"axG",@progbits,_ZN7rocprim17ROCPRIM_400000_NS6detail17trampoline_kernelINS0_14default_configENS1_38merge_sort_block_merge_config_selectorIslEEZZNS1_27merge_sort_block_merge_implIS3_PsN6thrust23THRUST_200600_302600_NS10device_ptrIlEEjNS1_19radix_merge_compareILb0ELb1EsNS0_19identity_decomposerEEEEE10hipError_tT0_T1_T2_jT3_P12ihipStream_tbPNSt15iterator_traitsISG_E10value_typeEPNSM_ISH_E10value_typeEPSI_NS1_7vsmem_tEENKUlT_SG_SH_SI_E_clIS7_S7_SB_PlEESF_SV_SG_SH_SI_EUlSV_E0_NS1_11comp_targetILNS1_3genE8ELNS1_11target_archE1030ELNS1_3gpuE2ELNS1_3repE0EEENS1_38merge_mergepath_config_static_selectorELNS0_4arch9wavefront6targetE1EEEvSH_,comdat
.Lfunc_end1371:
	.size	_ZN7rocprim17ROCPRIM_400000_NS6detail17trampoline_kernelINS0_14default_configENS1_38merge_sort_block_merge_config_selectorIslEEZZNS1_27merge_sort_block_merge_implIS3_PsN6thrust23THRUST_200600_302600_NS10device_ptrIlEEjNS1_19radix_merge_compareILb0ELb1EsNS0_19identity_decomposerEEEEE10hipError_tT0_T1_T2_jT3_P12ihipStream_tbPNSt15iterator_traitsISG_E10value_typeEPNSM_ISH_E10value_typeEPSI_NS1_7vsmem_tEENKUlT_SG_SH_SI_E_clIS7_S7_SB_PlEESF_SV_SG_SH_SI_EUlSV_E0_NS1_11comp_targetILNS1_3genE8ELNS1_11target_archE1030ELNS1_3gpuE2ELNS1_3repE0EEENS1_38merge_mergepath_config_static_selectorELNS0_4arch9wavefront6targetE1EEEvSH_, .Lfunc_end1371-_ZN7rocprim17ROCPRIM_400000_NS6detail17trampoline_kernelINS0_14default_configENS1_38merge_sort_block_merge_config_selectorIslEEZZNS1_27merge_sort_block_merge_implIS3_PsN6thrust23THRUST_200600_302600_NS10device_ptrIlEEjNS1_19radix_merge_compareILb0ELb1EsNS0_19identity_decomposerEEEEE10hipError_tT0_T1_T2_jT3_P12ihipStream_tbPNSt15iterator_traitsISG_E10value_typeEPNSM_ISH_E10value_typeEPSI_NS1_7vsmem_tEENKUlT_SG_SH_SI_E_clIS7_S7_SB_PlEESF_SV_SG_SH_SI_EUlSV_E0_NS1_11comp_targetILNS1_3genE8ELNS1_11target_archE1030ELNS1_3gpuE2ELNS1_3repE0EEENS1_38merge_mergepath_config_static_selectorELNS0_4arch9wavefront6targetE1EEEvSH_
                                        ; -- End function
	.section	.AMDGPU.csdata,"",@progbits
; Kernel info:
; codeLenInByte = 0
; NumSgprs: 4
; NumVgprs: 0
; NumAgprs: 0
; TotalNumVgprs: 0
; ScratchSize: 0
; MemoryBound: 0
; FloatMode: 240
; IeeeMode: 1
; LDSByteSize: 0 bytes/workgroup (compile time only)
; SGPRBlocks: 0
; VGPRBlocks: 0
; NumSGPRsForWavesPerEU: 4
; NumVGPRsForWavesPerEU: 1
; AccumOffset: 4
; Occupancy: 8
; WaveLimiterHint : 0
; COMPUTE_PGM_RSRC2:SCRATCH_EN: 0
; COMPUTE_PGM_RSRC2:USER_SGPR: 6
; COMPUTE_PGM_RSRC2:TRAP_HANDLER: 0
; COMPUTE_PGM_RSRC2:TGID_X_EN: 1
; COMPUTE_PGM_RSRC2:TGID_Y_EN: 0
; COMPUTE_PGM_RSRC2:TGID_Z_EN: 0
; COMPUTE_PGM_RSRC2:TIDIG_COMP_CNT: 0
; COMPUTE_PGM_RSRC3_GFX90A:ACCUM_OFFSET: 0
; COMPUTE_PGM_RSRC3_GFX90A:TG_SPLIT: 0
	.section	.text._ZN7rocprim17ROCPRIM_400000_NS6detail17trampoline_kernelINS0_14default_configENS1_38merge_sort_block_merge_config_selectorIslEEZZNS1_27merge_sort_block_merge_implIS3_PsN6thrust23THRUST_200600_302600_NS10device_ptrIlEEjNS1_19radix_merge_compareILb0ELb1EsNS0_19identity_decomposerEEEEE10hipError_tT0_T1_T2_jT3_P12ihipStream_tbPNSt15iterator_traitsISG_E10value_typeEPNSM_ISH_E10value_typeEPSI_NS1_7vsmem_tEENKUlT_SG_SH_SI_E_clIS7_S7_SB_PlEESF_SV_SG_SH_SI_EUlSV_E1_NS1_11comp_targetILNS1_3genE0ELNS1_11target_archE4294967295ELNS1_3gpuE0ELNS1_3repE0EEENS1_36merge_oddeven_config_static_selectorELNS0_4arch9wavefront6targetE1EEEvSH_,"axG",@progbits,_ZN7rocprim17ROCPRIM_400000_NS6detail17trampoline_kernelINS0_14default_configENS1_38merge_sort_block_merge_config_selectorIslEEZZNS1_27merge_sort_block_merge_implIS3_PsN6thrust23THRUST_200600_302600_NS10device_ptrIlEEjNS1_19radix_merge_compareILb0ELb1EsNS0_19identity_decomposerEEEEE10hipError_tT0_T1_T2_jT3_P12ihipStream_tbPNSt15iterator_traitsISG_E10value_typeEPNSM_ISH_E10value_typeEPSI_NS1_7vsmem_tEENKUlT_SG_SH_SI_E_clIS7_S7_SB_PlEESF_SV_SG_SH_SI_EUlSV_E1_NS1_11comp_targetILNS1_3genE0ELNS1_11target_archE4294967295ELNS1_3gpuE0ELNS1_3repE0EEENS1_36merge_oddeven_config_static_selectorELNS0_4arch9wavefront6targetE1EEEvSH_,comdat
	.protected	_ZN7rocprim17ROCPRIM_400000_NS6detail17trampoline_kernelINS0_14default_configENS1_38merge_sort_block_merge_config_selectorIslEEZZNS1_27merge_sort_block_merge_implIS3_PsN6thrust23THRUST_200600_302600_NS10device_ptrIlEEjNS1_19radix_merge_compareILb0ELb1EsNS0_19identity_decomposerEEEEE10hipError_tT0_T1_T2_jT3_P12ihipStream_tbPNSt15iterator_traitsISG_E10value_typeEPNSM_ISH_E10value_typeEPSI_NS1_7vsmem_tEENKUlT_SG_SH_SI_E_clIS7_S7_SB_PlEESF_SV_SG_SH_SI_EUlSV_E1_NS1_11comp_targetILNS1_3genE0ELNS1_11target_archE4294967295ELNS1_3gpuE0ELNS1_3repE0EEENS1_36merge_oddeven_config_static_selectorELNS0_4arch9wavefront6targetE1EEEvSH_ ; -- Begin function _ZN7rocprim17ROCPRIM_400000_NS6detail17trampoline_kernelINS0_14default_configENS1_38merge_sort_block_merge_config_selectorIslEEZZNS1_27merge_sort_block_merge_implIS3_PsN6thrust23THRUST_200600_302600_NS10device_ptrIlEEjNS1_19radix_merge_compareILb0ELb1EsNS0_19identity_decomposerEEEEE10hipError_tT0_T1_T2_jT3_P12ihipStream_tbPNSt15iterator_traitsISG_E10value_typeEPNSM_ISH_E10value_typeEPSI_NS1_7vsmem_tEENKUlT_SG_SH_SI_E_clIS7_S7_SB_PlEESF_SV_SG_SH_SI_EUlSV_E1_NS1_11comp_targetILNS1_3genE0ELNS1_11target_archE4294967295ELNS1_3gpuE0ELNS1_3repE0EEENS1_36merge_oddeven_config_static_selectorELNS0_4arch9wavefront6targetE1EEEvSH_
	.globl	_ZN7rocprim17ROCPRIM_400000_NS6detail17trampoline_kernelINS0_14default_configENS1_38merge_sort_block_merge_config_selectorIslEEZZNS1_27merge_sort_block_merge_implIS3_PsN6thrust23THRUST_200600_302600_NS10device_ptrIlEEjNS1_19radix_merge_compareILb0ELb1EsNS0_19identity_decomposerEEEEE10hipError_tT0_T1_T2_jT3_P12ihipStream_tbPNSt15iterator_traitsISG_E10value_typeEPNSM_ISH_E10value_typeEPSI_NS1_7vsmem_tEENKUlT_SG_SH_SI_E_clIS7_S7_SB_PlEESF_SV_SG_SH_SI_EUlSV_E1_NS1_11comp_targetILNS1_3genE0ELNS1_11target_archE4294967295ELNS1_3gpuE0ELNS1_3repE0EEENS1_36merge_oddeven_config_static_selectorELNS0_4arch9wavefront6targetE1EEEvSH_
	.p2align	8
	.type	_ZN7rocprim17ROCPRIM_400000_NS6detail17trampoline_kernelINS0_14default_configENS1_38merge_sort_block_merge_config_selectorIslEEZZNS1_27merge_sort_block_merge_implIS3_PsN6thrust23THRUST_200600_302600_NS10device_ptrIlEEjNS1_19radix_merge_compareILb0ELb1EsNS0_19identity_decomposerEEEEE10hipError_tT0_T1_T2_jT3_P12ihipStream_tbPNSt15iterator_traitsISG_E10value_typeEPNSM_ISH_E10value_typeEPSI_NS1_7vsmem_tEENKUlT_SG_SH_SI_E_clIS7_S7_SB_PlEESF_SV_SG_SH_SI_EUlSV_E1_NS1_11comp_targetILNS1_3genE0ELNS1_11target_archE4294967295ELNS1_3gpuE0ELNS1_3repE0EEENS1_36merge_oddeven_config_static_selectorELNS0_4arch9wavefront6targetE1EEEvSH_,@function
_ZN7rocprim17ROCPRIM_400000_NS6detail17trampoline_kernelINS0_14default_configENS1_38merge_sort_block_merge_config_selectorIslEEZZNS1_27merge_sort_block_merge_implIS3_PsN6thrust23THRUST_200600_302600_NS10device_ptrIlEEjNS1_19radix_merge_compareILb0ELb1EsNS0_19identity_decomposerEEEEE10hipError_tT0_T1_T2_jT3_P12ihipStream_tbPNSt15iterator_traitsISG_E10value_typeEPNSM_ISH_E10value_typeEPSI_NS1_7vsmem_tEENKUlT_SG_SH_SI_E_clIS7_S7_SB_PlEESF_SV_SG_SH_SI_EUlSV_E1_NS1_11comp_targetILNS1_3genE0ELNS1_11target_archE4294967295ELNS1_3gpuE0ELNS1_3repE0EEENS1_36merge_oddeven_config_static_selectorELNS0_4arch9wavefront6targetE1EEEvSH_: ; @_ZN7rocprim17ROCPRIM_400000_NS6detail17trampoline_kernelINS0_14default_configENS1_38merge_sort_block_merge_config_selectorIslEEZZNS1_27merge_sort_block_merge_implIS3_PsN6thrust23THRUST_200600_302600_NS10device_ptrIlEEjNS1_19radix_merge_compareILb0ELb1EsNS0_19identity_decomposerEEEEE10hipError_tT0_T1_T2_jT3_P12ihipStream_tbPNSt15iterator_traitsISG_E10value_typeEPNSM_ISH_E10value_typeEPSI_NS1_7vsmem_tEENKUlT_SG_SH_SI_E_clIS7_S7_SB_PlEESF_SV_SG_SH_SI_EUlSV_E1_NS1_11comp_targetILNS1_3genE0ELNS1_11target_archE4294967295ELNS1_3gpuE0ELNS1_3repE0EEENS1_36merge_oddeven_config_static_selectorELNS0_4arch9wavefront6targetE1EEEvSH_
; %bb.0:
	.section	.rodata,"a",@progbits
	.p2align	6, 0x0
	.amdhsa_kernel _ZN7rocprim17ROCPRIM_400000_NS6detail17trampoline_kernelINS0_14default_configENS1_38merge_sort_block_merge_config_selectorIslEEZZNS1_27merge_sort_block_merge_implIS3_PsN6thrust23THRUST_200600_302600_NS10device_ptrIlEEjNS1_19radix_merge_compareILb0ELb1EsNS0_19identity_decomposerEEEEE10hipError_tT0_T1_T2_jT3_P12ihipStream_tbPNSt15iterator_traitsISG_E10value_typeEPNSM_ISH_E10value_typeEPSI_NS1_7vsmem_tEENKUlT_SG_SH_SI_E_clIS7_S7_SB_PlEESF_SV_SG_SH_SI_EUlSV_E1_NS1_11comp_targetILNS1_3genE0ELNS1_11target_archE4294967295ELNS1_3gpuE0ELNS1_3repE0EEENS1_36merge_oddeven_config_static_selectorELNS0_4arch9wavefront6targetE1EEEvSH_
		.amdhsa_group_segment_fixed_size 0
		.amdhsa_private_segment_fixed_size 0
		.amdhsa_kernarg_size 48
		.amdhsa_user_sgpr_count 6
		.amdhsa_user_sgpr_private_segment_buffer 1
		.amdhsa_user_sgpr_dispatch_ptr 0
		.amdhsa_user_sgpr_queue_ptr 0
		.amdhsa_user_sgpr_kernarg_segment_ptr 1
		.amdhsa_user_sgpr_dispatch_id 0
		.amdhsa_user_sgpr_flat_scratch_init 0
		.amdhsa_user_sgpr_kernarg_preload_length 0
		.amdhsa_user_sgpr_kernarg_preload_offset 0
		.amdhsa_user_sgpr_private_segment_size 0
		.amdhsa_uses_dynamic_stack 0
		.amdhsa_system_sgpr_private_segment_wavefront_offset 0
		.amdhsa_system_sgpr_workgroup_id_x 1
		.amdhsa_system_sgpr_workgroup_id_y 0
		.amdhsa_system_sgpr_workgroup_id_z 0
		.amdhsa_system_sgpr_workgroup_info 0
		.amdhsa_system_vgpr_workitem_id 0
		.amdhsa_next_free_vgpr 1
		.amdhsa_next_free_sgpr 0
		.amdhsa_accum_offset 4
		.amdhsa_reserve_vcc 0
		.amdhsa_reserve_flat_scratch 0
		.amdhsa_float_round_mode_32 0
		.amdhsa_float_round_mode_16_64 0
		.amdhsa_float_denorm_mode_32 3
		.amdhsa_float_denorm_mode_16_64 3
		.amdhsa_dx10_clamp 1
		.amdhsa_ieee_mode 1
		.amdhsa_fp16_overflow 0
		.amdhsa_tg_split 0
		.amdhsa_exception_fp_ieee_invalid_op 0
		.amdhsa_exception_fp_denorm_src 0
		.amdhsa_exception_fp_ieee_div_zero 0
		.amdhsa_exception_fp_ieee_overflow 0
		.amdhsa_exception_fp_ieee_underflow 0
		.amdhsa_exception_fp_ieee_inexact 0
		.amdhsa_exception_int_div_zero 0
	.end_amdhsa_kernel
	.section	.text._ZN7rocprim17ROCPRIM_400000_NS6detail17trampoline_kernelINS0_14default_configENS1_38merge_sort_block_merge_config_selectorIslEEZZNS1_27merge_sort_block_merge_implIS3_PsN6thrust23THRUST_200600_302600_NS10device_ptrIlEEjNS1_19radix_merge_compareILb0ELb1EsNS0_19identity_decomposerEEEEE10hipError_tT0_T1_T2_jT3_P12ihipStream_tbPNSt15iterator_traitsISG_E10value_typeEPNSM_ISH_E10value_typeEPSI_NS1_7vsmem_tEENKUlT_SG_SH_SI_E_clIS7_S7_SB_PlEESF_SV_SG_SH_SI_EUlSV_E1_NS1_11comp_targetILNS1_3genE0ELNS1_11target_archE4294967295ELNS1_3gpuE0ELNS1_3repE0EEENS1_36merge_oddeven_config_static_selectorELNS0_4arch9wavefront6targetE1EEEvSH_,"axG",@progbits,_ZN7rocprim17ROCPRIM_400000_NS6detail17trampoline_kernelINS0_14default_configENS1_38merge_sort_block_merge_config_selectorIslEEZZNS1_27merge_sort_block_merge_implIS3_PsN6thrust23THRUST_200600_302600_NS10device_ptrIlEEjNS1_19radix_merge_compareILb0ELb1EsNS0_19identity_decomposerEEEEE10hipError_tT0_T1_T2_jT3_P12ihipStream_tbPNSt15iterator_traitsISG_E10value_typeEPNSM_ISH_E10value_typeEPSI_NS1_7vsmem_tEENKUlT_SG_SH_SI_E_clIS7_S7_SB_PlEESF_SV_SG_SH_SI_EUlSV_E1_NS1_11comp_targetILNS1_3genE0ELNS1_11target_archE4294967295ELNS1_3gpuE0ELNS1_3repE0EEENS1_36merge_oddeven_config_static_selectorELNS0_4arch9wavefront6targetE1EEEvSH_,comdat
.Lfunc_end1372:
	.size	_ZN7rocprim17ROCPRIM_400000_NS6detail17trampoline_kernelINS0_14default_configENS1_38merge_sort_block_merge_config_selectorIslEEZZNS1_27merge_sort_block_merge_implIS3_PsN6thrust23THRUST_200600_302600_NS10device_ptrIlEEjNS1_19radix_merge_compareILb0ELb1EsNS0_19identity_decomposerEEEEE10hipError_tT0_T1_T2_jT3_P12ihipStream_tbPNSt15iterator_traitsISG_E10value_typeEPNSM_ISH_E10value_typeEPSI_NS1_7vsmem_tEENKUlT_SG_SH_SI_E_clIS7_S7_SB_PlEESF_SV_SG_SH_SI_EUlSV_E1_NS1_11comp_targetILNS1_3genE0ELNS1_11target_archE4294967295ELNS1_3gpuE0ELNS1_3repE0EEENS1_36merge_oddeven_config_static_selectorELNS0_4arch9wavefront6targetE1EEEvSH_, .Lfunc_end1372-_ZN7rocprim17ROCPRIM_400000_NS6detail17trampoline_kernelINS0_14default_configENS1_38merge_sort_block_merge_config_selectorIslEEZZNS1_27merge_sort_block_merge_implIS3_PsN6thrust23THRUST_200600_302600_NS10device_ptrIlEEjNS1_19radix_merge_compareILb0ELb1EsNS0_19identity_decomposerEEEEE10hipError_tT0_T1_T2_jT3_P12ihipStream_tbPNSt15iterator_traitsISG_E10value_typeEPNSM_ISH_E10value_typeEPSI_NS1_7vsmem_tEENKUlT_SG_SH_SI_E_clIS7_S7_SB_PlEESF_SV_SG_SH_SI_EUlSV_E1_NS1_11comp_targetILNS1_3genE0ELNS1_11target_archE4294967295ELNS1_3gpuE0ELNS1_3repE0EEENS1_36merge_oddeven_config_static_selectorELNS0_4arch9wavefront6targetE1EEEvSH_
                                        ; -- End function
	.section	.AMDGPU.csdata,"",@progbits
; Kernel info:
; codeLenInByte = 0
; NumSgprs: 4
; NumVgprs: 0
; NumAgprs: 0
; TotalNumVgprs: 0
; ScratchSize: 0
; MemoryBound: 0
; FloatMode: 240
; IeeeMode: 1
; LDSByteSize: 0 bytes/workgroup (compile time only)
; SGPRBlocks: 0
; VGPRBlocks: 0
; NumSGPRsForWavesPerEU: 4
; NumVGPRsForWavesPerEU: 1
; AccumOffset: 4
; Occupancy: 8
; WaveLimiterHint : 0
; COMPUTE_PGM_RSRC2:SCRATCH_EN: 0
; COMPUTE_PGM_RSRC2:USER_SGPR: 6
; COMPUTE_PGM_RSRC2:TRAP_HANDLER: 0
; COMPUTE_PGM_RSRC2:TGID_X_EN: 1
; COMPUTE_PGM_RSRC2:TGID_Y_EN: 0
; COMPUTE_PGM_RSRC2:TGID_Z_EN: 0
; COMPUTE_PGM_RSRC2:TIDIG_COMP_CNT: 0
; COMPUTE_PGM_RSRC3_GFX90A:ACCUM_OFFSET: 0
; COMPUTE_PGM_RSRC3_GFX90A:TG_SPLIT: 0
	.section	.text._ZN7rocprim17ROCPRIM_400000_NS6detail17trampoline_kernelINS0_14default_configENS1_38merge_sort_block_merge_config_selectorIslEEZZNS1_27merge_sort_block_merge_implIS3_PsN6thrust23THRUST_200600_302600_NS10device_ptrIlEEjNS1_19radix_merge_compareILb0ELb1EsNS0_19identity_decomposerEEEEE10hipError_tT0_T1_T2_jT3_P12ihipStream_tbPNSt15iterator_traitsISG_E10value_typeEPNSM_ISH_E10value_typeEPSI_NS1_7vsmem_tEENKUlT_SG_SH_SI_E_clIS7_S7_SB_PlEESF_SV_SG_SH_SI_EUlSV_E1_NS1_11comp_targetILNS1_3genE10ELNS1_11target_archE1201ELNS1_3gpuE5ELNS1_3repE0EEENS1_36merge_oddeven_config_static_selectorELNS0_4arch9wavefront6targetE1EEEvSH_,"axG",@progbits,_ZN7rocprim17ROCPRIM_400000_NS6detail17trampoline_kernelINS0_14default_configENS1_38merge_sort_block_merge_config_selectorIslEEZZNS1_27merge_sort_block_merge_implIS3_PsN6thrust23THRUST_200600_302600_NS10device_ptrIlEEjNS1_19radix_merge_compareILb0ELb1EsNS0_19identity_decomposerEEEEE10hipError_tT0_T1_T2_jT3_P12ihipStream_tbPNSt15iterator_traitsISG_E10value_typeEPNSM_ISH_E10value_typeEPSI_NS1_7vsmem_tEENKUlT_SG_SH_SI_E_clIS7_S7_SB_PlEESF_SV_SG_SH_SI_EUlSV_E1_NS1_11comp_targetILNS1_3genE10ELNS1_11target_archE1201ELNS1_3gpuE5ELNS1_3repE0EEENS1_36merge_oddeven_config_static_selectorELNS0_4arch9wavefront6targetE1EEEvSH_,comdat
	.protected	_ZN7rocprim17ROCPRIM_400000_NS6detail17trampoline_kernelINS0_14default_configENS1_38merge_sort_block_merge_config_selectorIslEEZZNS1_27merge_sort_block_merge_implIS3_PsN6thrust23THRUST_200600_302600_NS10device_ptrIlEEjNS1_19radix_merge_compareILb0ELb1EsNS0_19identity_decomposerEEEEE10hipError_tT0_T1_T2_jT3_P12ihipStream_tbPNSt15iterator_traitsISG_E10value_typeEPNSM_ISH_E10value_typeEPSI_NS1_7vsmem_tEENKUlT_SG_SH_SI_E_clIS7_S7_SB_PlEESF_SV_SG_SH_SI_EUlSV_E1_NS1_11comp_targetILNS1_3genE10ELNS1_11target_archE1201ELNS1_3gpuE5ELNS1_3repE0EEENS1_36merge_oddeven_config_static_selectorELNS0_4arch9wavefront6targetE1EEEvSH_ ; -- Begin function _ZN7rocprim17ROCPRIM_400000_NS6detail17trampoline_kernelINS0_14default_configENS1_38merge_sort_block_merge_config_selectorIslEEZZNS1_27merge_sort_block_merge_implIS3_PsN6thrust23THRUST_200600_302600_NS10device_ptrIlEEjNS1_19radix_merge_compareILb0ELb1EsNS0_19identity_decomposerEEEEE10hipError_tT0_T1_T2_jT3_P12ihipStream_tbPNSt15iterator_traitsISG_E10value_typeEPNSM_ISH_E10value_typeEPSI_NS1_7vsmem_tEENKUlT_SG_SH_SI_E_clIS7_S7_SB_PlEESF_SV_SG_SH_SI_EUlSV_E1_NS1_11comp_targetILNS1_3genE10ELNS1_11target_archE1201ELNS1_3gpuE5ELNS1_3repE0EEENS1_36merge_oddeven_config_static_selectorELNS0_4arch9wavefront6targetE1EEEvSH_
	.globl	_ZN7rocprim17ROCPRIM_400000_NS6detail17trampoline_kernelINS0_14default_configENS1_38merge_sort_block_merge_config_selectorIslEEZZNS1_27merge_sort_block_merge_implIS3_PsN6thrust23THRUST_200600_302600_NS10device_ptrIlEEjNS1_19radix_merge_compareILb0ELb1EsNS0_19identity_decomposerEEEEE10hipError_tT0_T1_T2_jT3_P12ihipStream_tbPNSt15iterator_traitsISG_E10value_typeEPNSM_ISH_E10value_typeEPSI_NS1_7vsmem_tEENKUlT_SG_SH_SI_E_clIS7_S7_SB_PlEESF_SV_SG_SH_SI_EUlSV_E1_NS1_11comp_targetILNS1_3genE10ELNS1_11target_archE1201ELNS1_3gpuE5ELNS1_3repE0EEENS1_36merge_oddeven_config_static_selectorELNS0_4arch9wavefront6targetE1EEEvSH_
	.p2align	8
	.type	_ZN7rocprim17ROCPRIM_400000_NS6detail17trampoline_kernelINS0_14default_configENS1_38merge_sort_block_merge_config_selectorIslEEZZNS1_27merge_sort_block_merge_implIS3_PsN6thrust23THRUST_200600_302600_NS10device_ptrIlEEjNS1_19radix_merge_compareILb0ELb1EsNS0_19identity_decomposerEEEEE10hipError_tT0_T1_T2_jT3_P12ihipStream_tbPNSt15iterator_traitsISG_E10value_typeEPNSM_ISH_E10value_typeEPSI_NS1_7vsmem_tEENKUlT_SG_SH_SI_E_clIS7_S7_SB_PlEESF_SV_SG_SH_SI_EUlSV_E1_NS1_11comp_targetILNS1_3genE10ELNS1_11target_archE1201ELNS1_3gpuE5ELNS1_3repE0EEENS1_36merge_oddeven_config_static_selectorELNS0_4arch9wavefront6targetE1EEEvSH_,@function
_ZN7rocprim17ROCPRIM_400000_NS6detail17trampoline_kernelINS0_14default_configENS1_38merge_sort_block_merge_config_selectorIslEEZZNS1_27merge_sort_block_merge_implIS3_PsN6thrust23THRUST_200600_302600_NS10device_ptrIlEEjNS1_19radix_merge_compareILb0ELb1EsNS0_19identity_decomposerEEEEE10hipError_tT0_T1_T2_jT3_P12ihipStream_tbPNSt15iterator_traitsISG_E10value_typeEPNSM_ISH_E10value_typeEPSI_NS1_7vsmem_tEENKUlT_SG_SH_SI_E_clIS7_S7_SB_PlEESF_SV_SG_SH_SI_EUlSV_E1_NS1_11comp_targetILNS1_3genE10ELNS1_11target_archE1201ELNS1_3gpuE5ELNS1_3repE0EEENS1_36merge_oddeven_config_static_selectorELNS0_4arch9wavefront6targetE1EEEvSH_: ; @_ZN7rocprim17ROCPRIM_400000_NS6detail17trampoline_kernelINS0_14default_configENS1_38merge_sort_block_merge_config_selectorIslEEZZNS1_27merge_sort_block_merge_implIS3_PsN6thrust23THRUST_200600_302600_NS10device_ptrIlEEjNS1_19radix_merge_compareILb0ELb1EsNS0_19identity_decomposerEEEEE10hipError_tT0_T1_T2_jT3_P12ihipStream_tbPNSt15iterator_traitsISG_E10value_typeEPNSM_ISH_E10value_typeEPSI_NS1_7vsmem_tEENKUlT_SG_SH_SI_E_clIS7_S7_SB_PlEESF_SV_SG_SH_SI_EUlSV_E1_NS1_11comp_targetILNS1_3genE10ELNS1_11target_archE1201ELNS1_3gpuE5ELNS1_3repE0EEENS1_36merge_oddeven_config_static_selectorELNS0_4arch9wavefront6targetE1EEEvSH_
; %bb.0:
	.section	.rodata,"a",@progbits
	.p2align	6, 0x0
	.amdhsa_kernel _ZN7rocprim17ROCPRIM_400000_NS6detail17trampoline_kernelINS0_14default_configENS1_38merge_sort_block_merge_config_selectorIslEEZZNS1_27merge_sort_block_merge_implIS3_PsN6thrust23THRUST_200600_302600_NS10device_ptrIlEEjNS1_19radix_merge_compareILb0ELb1EsNS0_19identity_decomposerEEEEE10hipError_tT0_T1_T2_jT3_P12ihipStream_tbPNSt15iterator_traitsISG_E10value_typeEPNSM_ISH_E10value_typeEPSI_NS1_7vsmem_tEENKUlT_SG_SH_SI_E_clIS7_S7_SB_PlEESF_SV_SG_SH_SI_EUlSV_E1_NS1_11comp_targetILNS1_3genE10ELNS1_11target_archE1201ELNS1_3gpuE5ELNS1_3repE0EEENS1_36merge_oddeven_config_static_selectorELNS0_4arch9wavefront6targetE1EEEvSH_
		.amdhsa_group_segment_fixed_size 0
		.amdhsa_private_segment_fixed_size 0
		.amdhsa_kernarg_size 48
		.amdhsa_user_sgpr_count 6
		.amdhsa_user_sgpr_private_segment_buffer 1
		.amdhsa_user_sgpr_dispatch_ptr 0
		.amdhsa_user_sgpr_queue_ptr 0
		.amdhsa_user_sgpr_kernarg_segment_ptr 1
		.amdhsa_user_sgpr_dispatch_id 0
		.amdhsa_user_sgpr_flat_scratch_init 0
		.amdhsa_user_sgpr_kernarg_preload_length 0
		.amdhsa_user_sgpr_kernarg_preload_offset 0
		.amdhsa_user_sgpr_private_segment_size 0
		.amdhsa_uses_dynamic_stack 0
		.amdhsa_system_sgpr_private_segment_wavefront_offset 0
		.amdhsa_system_sgpr_workgroup_id_x 1
		.amdhsa_system_sgpr_workgroup_id_y 0
		.amdhsa_system_sgpr_workgroup_id_z 0
		.amdhsa_system_sgpr_workgroup_info 0
		.amdhsa_system_vgpr_workitem_id 0
		.amdhsa_next_free_vgpr 1
		.amdhsa_next_free_sgpr 0
		.amdhsa_accum_offset 4
		.amdhsa_reserve_vcc 0
		.amdhsa_reserve_flat_scratch 0
		.amdhsa_float_round_mode_32 0
		.amdhsa_float_round_mode_16_64 0
		.amdhsa_float_denorm_mode_32 3
		.amdhsa_float_denorm_mode_16_64 3
		.amdhsa_dx10_clamp 1
		.amdhsa_ieee_mode 1
		.amdhsa_fp16_overflow 0
		.amdhsa_tg_split 0
		.amdhsa_exception_fp_ieee_invalid_op 0
		.amdhsa_exception_fp_denorm_src 0
		.amdhsa_exception_fp_ieee_div_zero 0
		.amdhsa_exception_fp_ieee_overflow 0
		.amdhsa_exception_fp_ieee_underflow 0
		.amdhsa_exception_fp_ieee_inexact 0
		.amdhsa_exception_int_div_zero 0
	.end_amdhsa_kernel
	.section	.text._ZN7rocprim17ROCPRIM_400000_NS6detail17trampoline_kernelINS0_14default_configENS1_38merge_sort_block_merge_config_selectorIslEEZZNS1_27merge_sort_block_merge_implIS3_PsN6thrust23THRUST_200600_302600_NS10device_ptrIlEEjNS1_19radix_merge_compareILb0ELb1EsNS0_19identity_decomposerEEEEE10hipError_tT0_T1_T2_jT3_P12ihipStream_tbPNSt15iterator_traitsISG_E10value_typeEPNSM_ISH_E10value_typeEPSI_NS1_7vsmem_tEENKUlT_SG_SH_SI_E_clIS7_S7_SB_PlEESF_SV_SG_SH_SI_EUlSV_E1_NS1_11comp_targetILNS1_3genE10ELNS1_11target_archE1201ELNS1_3gpuE5ELNS1_3repE0EEENS1_36merge_oddeven_config_static_selectorELNS0_4arch9wavefront6targetE1EEEvSH_,"axG",@progbits,_ZN7rocprim17ROCPRIM_400000_NS6detail17trampoline_kernelINS0_14default_configENS1_38merge_sort_block_merge_config_selectorIslEEZZNS1_27merge_sort_block_merge_implIS3_PsN6thrust23THRUST_200600_302600_NS10device_ptrIlEEjNS1_19radix_merge_compareILb0ELb1EsNS0_19identity_decomposerEEEEE10hipError_tT0_T1_T2_jT3_P12ihipStream_tbPNSt15iterator_traitsISG_E10value_typeEPNSM_ISH_E10value_typeEPSI_NS1_7vsmem_tEENKUlT_SG_SH_SI_E_clIS7_S7_SB_PlEESF_SV_SG_SH_SI_EUlSV_E1_NS1_11comp_targetILNS1_3genE10ELNS1_11target_archE1201ELNS1_3gpuE5ELNS1_3repE0EEENS1_36merge_oddeven_config_static_selectorELNS0_4arch9wavefront6targetE1EEEvSH_,comdat
.Lfunc_end1373:
	.size	_ZN7rocprim17ROCPRIM_400000_NS6detail17trampoline_kernelINS0_14default_configENS1_38merge_sort_block_merge_config_selectorIslEEZZNS1_27merge_sort_block_merge_implIS3_PsN6thrust23THRUST_200600_302600_NS10device_ptrIlEEjNS1_19radix_merge_compareILb0ELb1EsNS0_19identity_decomposerEEEEE10hipError_tT0_T1_T2_jT3_P12ihipStream_tbPNSt15iterator_traitsISG_E10value_typeEPNSM_ISH_E10value_typeEPSI_NS1_7vsmem_tEENKUlT_SG_SH_SI_E_clIS7_S7_SB_PlEESF_SV_SG_SH_SI_EUlSV_E1_NS1_11comp_targetILNS1_3genE10ELNS1_11target_archE1201ELNS1_3gpuE5ELNS1_3repE0EEENS1_36merge_oddeven_config_static_selectorELNS0_4arch9wavefront6targetE1EEEvSH_, .Lfunc_end1373-_ZN7rocprim17ROCPRIM_400000_NS6detail17trampoline_kernelINS0_14default_configENS1_38merge_sort_block_merge_config_selectorIslEEZZNS1_27merge_sort_block_merge_implIS3_PsN6thrust23THRUST_200600_302600_NS10device_ptrIlEEjNS1_19radix_merge_compareILb0ELb1EsNS0_19identity_decomposerEEEEE10hipError_tT0_T1_T2_jT3_P12ihipStream_tbPNSt15iterator_traitsISG_E10value_typeEPNSM_ISH_E10value_typeEPSI_NS1_7vsmem_tEENKUlT_SG_SH_SI_E_clIS7_S7_SB_PlEESF_SV_SG_SH_SI_EUlSV_E1_NS1_11comp_targetILNS1_3genE10ELNS1_11target_archE1201ELNS1_3gpuE5ELNS1_3repE0EEENS1_36merge_oddeven_config_static_selectorELNS0_4arch9wavefront6targetE1EEEvSH_
                                        ; -- End function
	.section	.AMDGPU.csdata,"",@progbits
; Kernel info:
; codeLenInByte = 0
; NumSgprs: 4
; NumVgprs: 0
; NumAgprs: 0
; TotalNumVgprs: 0
; ScratchSize: 0
; MemoryBound: 0
; FloatMode: 240
; IeeeMode: 1
; LDSByteSize: 0 bytes/workgroup (compile time only)
; SGPRBlocks: 0
; VGPRBlocks: 0
; NumSGPRsForWavesPerEU: 4
; NumVGPRsForWavesPerEU: 1
; AccumOffset: 4
; Occupancy: 8
; WaveLimiterHint : 0
; COMPUTE_PGM_RSRC2:SCRATCH_EN: 0
; COMPUTE_PGM_RSRC2:USER_SGPR: 6
; COMPUTE_PGM_RSRC2:TRAP_HANDLER: 0
; COMPUTE_PGM_RSRC2:TGID_X_EN: 1
; COMPUTE_PGM_RSRC2:TGID_Y_EN: 0
; COMPUTE_PGM_RSRC2:TGID_Z_EN: 0
; COMPUTE_PGM_RSRC2:TIDIG_COMP_CNT: 0
; COMPUTE_PGM_RSRC3_GFX90A:ACCUM_OFFSET: 0
; COMPUTE_PGM_RSRC3_GFX90A:TG_SPLIT: 0
	.section	.text._ZN7rocprim17ROCPRIM_400000_NS6detail17trampoline_kernelINS0_14default_configENS1_38merge_sort_block_merge_config_selectorIslEEZZNS1_27merge_sort_block_merge_implIS3_PsN6thrust23THRUST_200600_302600_NS10device_ptrIlEEjNS1_19radix_merge_compareILb0ELb1EsNS0_19identity_decomposerEEEEE10hipError_tT0_T1_T2_jT3_P12ihipStream_tbPNSt15iterator_traitsISG_E10value_typeEPNSM_ISH_E10value_typeEPSI_NS1_7vsmem_tEENKUlT_SG_SH_SI_E_clIS7_S7_SB_PlEESF_SV_SG_SH_SI_EUlSV_E1_NS1_11comp_targetILNS1_3genE5ELNS1_11target_archE942ELNS1_3gpuE9ELNS1_3repE0EEENS1_36merge_oddeven_config_static_selectorELNS0_4arch9wavefront6targetE1EEEvSH_,"axG",@progbits,_ZN7rocprim17ROCPRIM_400000_NS6detail17trampoline_kernelINS0_14default_configENS1_38merge_sort_block_merge_config_selectorIslEEZZNS1_27merge_sort_block_merge_implIS3_PsN6thrust23THRUST_200600_302600_NS10device_ptrIlEEjNS1_19radix_merge_compareILb0ELb1EsNS0_19identity_decomposerEEEEE10hipError_tT0_T1_T2_jT3_P12ihipStream_tbPNSt15iterator_traitsISG_E10value_typeEPNSM_ISH_E10value_typeEPSI_NS1_7vsmem_tEENKUlT_SG_SH_SI_E_clIS7_S7_SB_PlEESF_SV_SG_SH_SI_EUlSV_E1_NS1_11comp_targetILNS1_3genE5ELNS1_11target_archE942ELNS1_3gpuE9ELNS1_3repE0EEENS1_36merge_oddeven_config_static_selectorELNS0_4arch9wavefront6targetE1EEEvSH_,comdat
	.protected	_ZN7rocprim17ROCPRIM_400000_NS6detail17trampoline_kernelINS0_14default_configENS1_38merge_sort_block_merge_config_selectorIslEEZZNS1_27merge_sort_block_merge_implIS3_PsN6thrust23THRUST_200600_302600_NS10device_ptrIlEEjNS1_19radix_merge_compareILb0ELb1EsNS0_19identity_decomposerEEEEE10hipError_tT0_T1_T2_jT3_P12ihipStream_tbPNSt15iterator_traitsISG_E10value_typeEPNSM_ISH_E10value_typeEPSI_NS1_7vsmem_tEENKUlT_SG_SH_SI_E_clIS7_S7_SB_PlEESF_SV_SG_SH_SI_EUlSV_E1_NS1_11comp_targetILNS1_3genE5ELNS1_11target_archE942ELNS1_3gpuE9ELNS1_3repE0EEENS1_36merge_oddeven_config_static_selectorELNS0_4arch9wavefront6targetE1EEEvSH_ ; -- Begin function _ZN7rocprim17ROCPRIM_400000_NS6detail17trampoline_kernelINS0_14default_configENS1_38merge_sort_block_merge_config_selectorIslEEZZNS1_27merge_sort_block_merge_implIS3_PsN6thrust23THRUST_200600_302600_NS10device_ptrIlEEjNS1_19radix_merge_compareILb0ELb1EsNS0_19identity_decomposerEEEEE10hipError_tT0_T1_T2_jT3_P12ihipStream_tbPNSt15iterator_traitsISG_E10value_typeEPNSM_ISH_E10value_typeEPSI_NS1_7vsmem_tEENKUlT_SG_SH_SI_E_clIS7_S7_SB_PlEESF_SV_SG_SH_SI_EUlSV_E1_NS1_11comp_targetILNS1_3genE5ELNS1_11target_archE942ELNS1_3gpuE9ELNS1_3repE0EEENS1_36merge_oddeven_config_static_selectorELNS0_4arch9wavefront6targetE1EEEvSH_
	.globl	_ZN7rocprim17ROCPRIM_400000_NS6detail17trampoline_kernelINS0_14default_configENS1_38merge_sort_block_merge_config_selectorIslEEZZNS1_27merge_sort_block_merge_implIS3_PsN6thrust23THRUST_200600_302600_NS10device_ptrIlEEjNS1_19radix_merge_compareILb0ELb1EsNS0_19identity_decomposerEEEEE10hipError_tT0_T1_T2_jT3_P12ihipStream_tbPNSt15iterator_traitsISG_E10value_typeEPNSM_ISH_E10value_typeEPSI_NS1_7vsmem_tEENKUlT_SG_SH_SI_E_clIS7_S7_SB_PlEESF_SV_SG_SH_SI_EUlSV_E1_NS1_11comp_targetILNS1_3genE5ELNS1_11target_archE942ELNS1_3gpuE9ELNS1_3repE0EEENS1_36merge_oddeven_config_static_selectorELNS0_4arch9wavefront6targetE1EEEvSH_
	.p2align	8
	.type	_ZN7rocprim17ROCPRIM_400000_NS6detail17trampoline_kernelINS0_14default_configENS1_38merge_sort_block_merge_config_selectorIslEEZZNS1_27merge_sort_block_merge_implIS3_PsN6thrust23THRUST_200600_302600_NS10device_ptrIlEEjNS1_19radix_merge_compareILb0ELb1EsNS0_19identity_decomposerEEEEE10hipError_tT0_T1_T2_jT3_P12ihipStream_tbPNSt15iterator_traitsISG_E10value_typeEPNSM_ISH_E10value_typeEPSI_NS1_7vsmem_tEENKUlT_SG_SH_SI_E_clIS7_S7_SB_PlEESF_SV_SG_SH_SI_EUlSV_E1_NS1_11comp_targetILNS1_3genE5ELNS1_11target_archE942ELNS1_3gpuE9ELNS1_3repE0EEENS1_36merge_oddeven_config_static_selectorELNS0_4arch9wavefront6targetE1EEEvSH_,@function
_ZN7rocprim17ROCPRIM_400000_NS6detail17trampoline_kernelINS0_14default_configENS1_38merge_sort_block_merge_config_selectorIslEEZZNS1_27merge_sort_block_merge_implIS3_PsN6thrust23THRUST_200600_302600_NS10device_ptrIlEEjNS1_19radix_merge_compareILb0ELb1EsNS0_19identity_decomposerEEEEE10hipError_tT0_T1_T2_jT3_P12ihipStream_tbPNSt15iterator_traitsISG_E10value_typeEPNSM_ISH_E10value_typeEPSI_NS1_7vsmem_tEENKUlT_SG_SH_SI_E_clIS7_S7_SB_PlEESF_SV_SG_SH_SI_EUlSV_E1_NS1_11comp_targetILNS1_3genE5ELNS1_11target_archE942ELNS1_3gpuE9ELNS1_3repE0EEENS1_36merge_oddeven_config_static_selectorELNS0_4arch9wavefront6targetE1EEEvSH_: ; @_ZN7rocprim17ROCPRIM_400000_NS6detail17trampoline_kernelINS0_14default_configENS1_38merge_sort_block_merge_config_selectorIslEEZZNS1_27merge_sort_block_merge_implIS3_PsN6thrust23THRUST_200600_302600_NS10device_ptrIlEEjNS1_19radix_merge_compareILb0ELb1EsNS0_19identity_decomposerEEEEE10hipError_tT0_T1_T2_jT3_P12ihipStream_tbPNSt15iterator_traitsISG_E10value_typeEPNSM_ISH_E10value_typeEPSI_NS1_7vsmem_tEENKUlT_SG_SH_SI_E_clIS7_S7_SB_PlEESF_SV_SG_SH_SI_EUlSV_E1_NS1_11comp_targetILNS1_3genE5ELNS1_11target_archE942ELNS1_3gpuE9ELNS1_3repE0EEENS1_36merge_oddeven_config_static_selectorELNS0_4arch9wavefront6targetE1EEEvSH_
; %bb.0:
	.section	.rodata,"a",@progbits
	.p2align	6, 0x0
	.amdhsa_kernel _ZN7rocprim17ROCPRIM_400000_NS6detail17trampoline_kernelINS0_14default_configENS1_38merge_sort_block_merge_config_selectorIslEEZZNS1_27merge_sort_block_merge_implIS3_PsN6thrust23THRUST_200600_302600_NS10device_ptrIlEEjNS1_19radix_merge_compareILb0ELb1EsNS0_19identity_decomposerEEEEE10hipError_tT0_T1_T2_jT3_P12ihipStream_tbPNSt15iterator_traitsISG_E10value_typeEPNSM_ISH_E10value_typeEPSI_NS1_7vsmem_tEENKUlT_SG_SH_SI_E_clIS7_S7_SB_PlEESF_SV_SG_SH_SI_EUlSV_E1_NS1_11comp_targetILNS1_3genE5ELNS1_11target_archE942ELNS1_3gpuE9ELNS1_3repE0EEENS1_36merge_oddeven_config_static_selectorELNS0_4arch9wavefront6targetE1EEEvSH_
		.amdhsa_group_segment_fixed_size 0
		.amdhsa_private_segment_fixed_size 0
		.amdhsa_kernarg_size 48
		.amdhsa_user_sgpr_count 6
		.amdhsa_user_sgpr_private_segment_buffer 1
		.amdhsa_user_sgpr_dispatch_ptr 0
		.amdhsa_user_sgpr_queue_ptr 0
		.amdhsa_user_sgpr_kernarg_segment_ptr 1
		.amdhsa_user_sgpr_dispatch_id 0
		.amdhsa_user_sgpr_flat_scratch_init 0
		.amdhsa_user_sgpr_kernarg_preload_length 0
		.amdhsa_user_sgpr_kernarg_preload_offset 0
		.amdhsa_user_sgpr_private_segment_size 0
		.amdhsa_uses_dynamic_stack 0
		.amdhsa_system_sgpr_private_segment_wavefront_offset 0
		.amdhsa_system_sgpr_workgroup_id_x 1
		.amdhsa_system_sgpr_workgroup_id_y 0
		.amdhsa_system_sgpr_workgroup_id_z 0
		.amdhsa_system_sgpr_workgroup_info 0
		.amdhsa_system_vgpr_workitem_id 0
		.amdhsa_next_free_vgpr 1
		.amdhsa_next_free_sgpr 0
		.amdhsa_accum_offset 4
		.amdhsa_reserve_vcc 0
		.amdhsa_reserve_flat_scratch 0
		.amdhsa_float_round_mode_32 0
		.amdhsa_float_round_mode_16_64 0
		.amdhsa_float_denorm_mode_32 3
		.amdhsa_float_denorm_mode_16_64 3
		.amdhsa_dx10_clamp 1
		.amdhsa_ieee_mode 1
		.amdhsa_fp16_overflow 0
		.amdhsa_tg_split 0
		.amdhsa_exception_fp_ieee_invalid_op 0
		.amdhsa_exception_fp_denorm_src 0
		.amdhsa_exception_fp_ieee_div_zero 0
		.amdhsa_exception_fp_ieee_overflow 0
		.amdhsa_exception_fp_ieee_underflow 0
		.amdhsa_exception_fp_ieee_inexact 0
		.amdhsa_exception_int_div_zero 0
	.end_amdhsa_kernel
	.section	.text._ZN7rocprim17ROCPRIM_400000_NS6detail17trampoline_kernelINS0_14default_configENS1_38merge_sort_block_merge_config_selectorIslEEZZNS1_27merge_sort_block_merge_implIS3_PsN6thrust23THRUST_200600_302600_NS10device_ptrIlEEjNS1_19radix_merge_compareILb0ELb1EsNS0_19identity_decomposerEEEEE10hipError_tT0_T1_T2_jT3_P12ihipStream_tbPNSt15iterator_traitsISG_E10value_typeEPNSM_ISH_E10value_typeEPSI_NS1_7vsmem_tEENKUlT_SG_SH_SI_E_clIS7_S7_SB_PlEESF_SV_SG_SH_SI_EUlSV_E1_NS1_11comp_targetILNS1_3genE5ELNS1_11target_archE942ELNS1_3gpuE9ELNS1_3repE0EEENS1_36merge_oddeven_config_static_selectorELNS0_4arch9wavefront6targetE1EEEvSH_,"axG",@progbits,_ZN7rocprim17ROCPRIM_400000_NS6detail17trampoline_kernelINS0_14default_configENS1_38merge_sort_block_merge_config_selectorIslEEZZNS1_27merge_sort_block_merge_implIS3_PsN6thrust23THRUST_200600_302600_NS10device_ptrIlEEjNS1_19radix_merge_compareILb0ELb1EsNS0_19identity_decomposerEEEEE10hipError_tT0_T1_T2_jT3_P12ihipStream_tbPNSt15iterator_traitsISG_E10value_typeEPNSM_ISH_E10value_typeEPSI_NS1_7vsmem_tEENKUlT_SG_SH_SI_E_clIS7_S7_SB_PlEESF_SV_SG_SH_SI_EUlSV_E1_NS1_11comp_targetILNS1_3genE5ELNS1_11target_archE942ELNS1_3gpuE9ELNS1_3repE0EEENS1_36merge_oddeven_config_static_selectorELNS0_4arch9wavefront6targetE1EEEvSH_,comdat
.Lfunc_end1374:
	.size	_ZN7rocprim17ROCPRIM_400000_NS6detail17trampoline_kernelINS0_14default_configENS1_38merge_sort_block_merge_config_selectorIslEEZZNS1_27merge_sort_block_merge_implIS3_PsN6thrust23THRUST_200600_302600_NS10device_ptrIlEEjNS1_19radix_merge_compareILb0ELb1EsNS0_19identity_decomposerEEEEE10hipError_tT0_T1_T2_jT3_P12ihipStream_tbPNSt15iterator_traitsISG_E10value_typeEPNSM_ISH_E10value_typeEPSI_NS1_7vsmem_tEENKUlT_SG_SH_SI_E_clIS7_S7_SB_PlEESF_SV_SG_SH_SI_EUlSV_E1_NS1_11comp_targetILNS1_3genE5ELNS1_11target_archE942ELNS1_3gpuE9ELNS1_3repE0EEENS1_36merge_oddeven_config_static_selectorELNS0_4arch9wavefront6targetE1EEEvSH_, .Lfunc_end1374-_ZN7rocprim17ROCPRIM_400000_NS6detail17trampoline_kernelINS0_14default_configENS1_38merge_sort_block_merge_config_selectorIslEEZZNS1_27merge_sort_block_merge_implIS3_PsN6thrust23THRUST_200600_302600_NS10device_ptrIlEEjNS1_19radix_merge_compareILb0ELb1EsNS0_19identity_decomposerEEEEE10hipError_tT0_T1_T2_jT3_P12ihipStream_tbPNSt15iterator_traitsISG_E10value_typeEPNSM_ISH_E10value_typeEPSI_NS1_7vsmem_tEENKUlT_SG_SH_SI_E_clIS7_S7_SB_PlEESF_SV_SG_SH_SI_EUlSV_E1_NS1_11comp_targetILNS1_3genE5ELNS1_11target_archE942ELNS1_3gpuE9ELNS1_3repE0EEENS1_36merge_oddeven_config_static_selectorELNS0_4arch9wavefront6targetE1EEEvSH_
                                        ; -- End function
	.section	.AMDGPU.csdata,"",@progbits
; Kernel info:
; codeLenInByte = 0
; NumSgprs: 4
; NumVgprs: 0
; NumAgprs: 0
; TotalNumVgprs: 0
; ScratchSize: 0
; MemoryBound: 0
; FloatMode: 240
; IeeeMode: 1
; LDSByteSize: 0 bytes/workgroup (compile time only)
; SGPRBlocks: 0
; VGPRBlocks: 0
; NumSGPRsForWavesPerEU: 4
; NumVGPRsForWavesPerEU: 1
; AccumOffset: 4
; Occupancy: 8
; WaveLimiterHint : 0
; COMPUTE_PGM_RSRC2:SCRATCH_EN: 0
; COMPUTE_PGM_RSRC2:USER_SGPR: 6
; COMPUTE_PGM_RSRC2:TRAP_HANDLER: 0
; COMPUTE_PGM_RSRC2:TGID_X_EN: 1
; COMPUTE_PGM_RSRC2:TGID_Y_EN: 0
; COMPUTE_PGM_RSRC2:TGID_Z_EN: 0
; COMPUTE_PGM_RSRC2:TIDIG_COMP_CNT: 0
; COMPUTE_PGM_RSRC3_GFX90A:ACCUM_OFFSET: 0
; COMPUTE_PGM_RSRC3_GFX90A:TG_SPLIT: 0
	.section	.text._ZN7rocprim17ROCPRIM_400000_NS6detail17trampoline_kernelINS0_14default_configENS1_38merge_sort_block_merge_config_selectorIslEEZZNS1_27merge_sort_block_merge_implIS3_PsN6thrust23THRUST_200600_302600_NS10device_ptrIlEEjNS1_19radix_merge_compareILb0ELb1EsNS0_19identity_decomposerEEEEE10hipError_tT0_T1_T2_jT3_P12ihipStream_tbPNSt15iterator_traitsISG_E10value_typeEPNSM_ISH_E10value_typeEPSI_NS1_7vsmem_tEENKUlT_SG_SH_SI_E_clIS7_S7_SB_PlEESF_SV_SG_SH_SI_EUlSV_E1_NS1_11comp_targetILNS1_3genE4ELNS1_11target_archE910ELNS1_3gpuE8ELNS1_3repE0EEENS1_36merge_oddeven_config_static_selectorELNS0_4arch9wavefront6targetE1EEEvSH_,"axG",@progbits,_ZN7rocprim17ROCPRIM_400000_NS6detail17trampoline_kernelINS0_14default_configENS1_38merge_sort_block_merge_config_selectorIslEEZZNS1_27merge_sort_block_merge_implIS3_PsN6thrust23THRUST_200600_302600_NS10device_ptrIlEEjNS1_19radix_merge_compareILb0ELb1EsNS0_19identity_decomposerEEEEE10hipError_tT0_T1_T2_jT3_P12ihipStream_tbPNSt15iterator_traitsISG_E10value_typeEPNSM_ISH_E10value_typeEPSI_NS1_7vsmem_tEENKUlT_SG_SH_SI_E_clIS7_S7_SB_PlEESF_SV_SG_SH_SI_EUlSV_E1_NS1_11comp_targetILNS1_3genE4ELNS1_11target_archE910ELNS1_3gpuE8ELNS1_3repE0EEENS1_36merge_oddeven_config_static_selectorELNS0_4arch9wavefront6targetE1EEEvSH_,comdat
	.protected	_ZN7rocprim17ROCPRIM_400000_NS6detail17trampoline_kernelINS0_14default_configENS1_38merge_sort_block_merge_config_selectorIslEEZZNS1_27merge_sort_block_merge_implIS3_PsN6thrust23THRUST_200600_302600_NS10device_ptrIlEEjNS1_19radix_merge_compareILb0ELb1EsNS0_19identity_decomposerEEEEE10hipError_tT0_T1_T2_jT3_P12ihipStream_tbPNSt15iterator_traitsISG_E10value_typeEPNSM_ISH_E10value_typeEPSI_NS1_7vsmem_tEENKUlT_SG_SH_SI_E_clIS7_S7_SB_PlEESF_SV_SG_SH_SI_EUlSV_E1_NS1_11comp_targetILNS1_3genE4ELNS1_11target_archE910ELNS1_3gpuE8ELNS1_3repE0EEENS1_36merge_oddeven_config_static_selectorELNS0_4arch9wavefront6targetE1EEEvSH_ ; -- Begin function _ZN7rocprim17ROCPRIM_400000_NS6detail17trampoline_kernelINS0_14default_configENS1_38merge_sort_block_merge_config_selectorIslEEZZNS1_27merge_sort_block_merge_implIS3_PsN6thrust23THRUST_200600_302600_NS10device_ptrIlEEjNS1_19radix_merge_compareILb0ELb1EsNS0_19identity_decomposerEEEEE10hipError_tT0_T1_T2_jT3_P12ihipStream_tbPNSt15iterator_traitsISG_E10value_typeEPNSM_ISH_E10value_typeEPSI_NS1_7vsmem_tEENKUlT_SG_SH_SI_E_clIS7_S7_SB_PlEESF_SV_SG_SH_SI_EUlSV_E1_NS1_11comp_targetILNS1_3genE4ELNS1_11target_archE910ELNS1_3gpuE8ELNS1_3repE0EEENS1_36merge_oddeven_config_static_selectorELNS0_4arch9wavefront6targetE1EEEvSH_
	.globl	_ZN7rocprim17ROCPRIM_400000_NS6detail17trampoline_kernelINS0_14default_configENS1_38merge_sort_block_merge_config_selectorIslEEZZNS1_27merge_sort_block_merge_implIS3_PsN6thrust23THRUST_200600_302600_NS10device_ptrIlEEjNS1_19radix_merge_compareILb0ELb1EsNS0_19identity_decomposerEEEEE10hipError_tT0_T1_T2_jT3_P12ihipStream_tbPNSt15iterator_traitsISG_E10value_typeEPNSM_ISH_E10value_typeEPSI_NS1_7vsmem_tEENKUlT_SG_SH_SI_E_clIS7_S7_SB_PlEESF_SV_SG_SH_SI_EUlSV_E1_NS1_11comp_targetILNS1_3genE4ELNS1_11target_archE910ELNS1_3gpuE8ELNS1_3repE0EEENS1_36merge_oddeven_config_static_selectorELNS0_4arch9wavefront6targetE1EEEvSH_
	.p2align	8
	.type	_ZN7rocprim17ROCPRIM_400000_NS6detail17trampoline_kernelINS0_14default_configENS1_38merge_sort_block_merge_config_selectorIslEEZZNS1_27merge_sort_block_merge_implIS3_PsN6thrust23THRUST_200600_302600_NS10device_ptrIlEEjNS1_19radix_merge_compareILb0ELb1EsNS0_19identity_decomposerEEEEE10hipError_tT0_T1_T2_jT3_P12ihipStream_tbPNSt15iterator_traitsISG_E10value_typeEPNSM_ISH_E10value_typeEPSI_NS1_7vsmem_tEENKUlT_SG_SH_SI_E_clIS7_S7_SB_PlEESF_SV_SG_SH_SI_EUlSV_E1_NS1_11comp_targetILNS1_3genE4ELNS1_11target_archE910ELNS1_3gpuE8ELNS1_3repE0EEENS1_36merge_oddeven_config_static_selectorELNS0_4arch9wavefront6targetE1EEEvSH_,@function
_ZN7rocprim17ROCPRIM_400000_NS6detail17trampoline_kernelINS0_14default_configENS1_38merge_sort_block_merge_config_selectorIslEEZZNS1_27merge_sort_block_merge_implIS3_PsN6thrust23THRUST_200600_302600_NS10device_ptrIlEEjNS1_19radix_merge_compareILb0ELb1EsNS0_19identity_decomposerEEEEE10hipError_tT0_T1_T2_jT3_P12ihipStream_tbPNSt15iterator_traitsISG_E10value_typeEPNSM_ISH_E10value_typeEPSI_NS1_7vsmem_tEENKUlT_SG_SH_SI_E_clIS7_S7_SB_PlEESF_SV_SG_SH_SI_EUlSV_E1_NS1_11comp_targetILNS1_3genE4ELNS1_11target_archE910ELNS1_3gpuE8ELNS1_3repE0EEENS1_36merge_oddeven_config_static_selectorELNS0_4arch9wavefront6targetE1EEEvSH_: ; @_ZN7rocprim17ROCPRIM_400000_NS6detail17trampoline_kernelINS0_14default_configENS1_38merge_sort_block_merge_config_selectorIslEEZZNS1_27merge_sort_block_merge_implIS3_PsN6thrust23THRUST_200600_302600_NS10device_ptrIlEEjNS1_19radix_merge_compareILb0ELb1EsNS0_19identity_decomposerEEEEE10hipError_tT0_T1_T2_jT3_P12ihipStream_tbPNSt15iterator_traitsISG_E10value_typeEPNSM_ISH_E10value_typeEPSI_NS1_7vsmem_tEENKUlT_SG_SH_SI_E_clIS7_S7_SB_PlEESF_SV_SG_SH_SI_EUlSV_E1_NS1_11comp_targetILNS1_3genE4ELNS1_11target_archE910ELNS1_3gpuE8ELNS1_3repE0EEENS1_36merge_oddeven_config_static_selectorELNS0_4arch9wavefront6targetE1EEEvSH_
; %bb.0:
	s_load_dword s21, s[4:5], 0x20
	s_waitcnt lgkmcnt(0)
	s_lshr_b32 s2, s21, 8
	s_cmp_lg_u32 s6, s2
	s_cselect_b64 s[0:1], -1, 0
	s_cmp_eq_u32 s6, s2
	s_cselect_b64 s[16:17], -1, 0
	s_lshl_b32 s18, s6, 8
	s_sub_i32 s2, s21, s18
	v_cmp_gt_u32_e64 s[2:3], s2, v0
	s_or_b64 s[0:1], s[0:1], s[2:3]
	s_and_saveexec_b64 s[8:9], s[0:1]
	s_cbranch_execz .LBB1375_26
; %bb.1:
	s_load_dwordx8 s[8:15], s[4:5], 0x0
	s_mov_b32 s19, 0
	s_lshl_b64 s[0:1], s[18:19], 1
	v_lshlrev_b32_e32 v4, 3, v0
	v_lshlrev_b32_e32 v1, 1, v0
	s_waitcnt lgkmcnt(0)
	s_add_u32 s0, s8, s0
	s_addc_u32 s1, s9, s1
	s_lshl_b64 s[22:23], s[18:19], 3
	s_add_u32 s12, s12, s22
	s_addc_u32 s13, s13, s23
	global_load_dwordx2 v[2:3], v4, s[12:13]
	global_load_ushort v6, v1, s[0:1]
	s_load_dword s22, s[4:5], 0x24
	v_add_u32_e32 v4, s18, v0
	s_waitcnt lgkmcnt(0)
	s_lshr_b32 s0, s22, 8
	s_sub_i32 s1, 0, s0
	s_and_b32 s1, s6, s1
	s_and_b32 s0, s1, s0
	s_lshl_b32 s23, s1, 8
	s_sub_i32 s12, 0, s22
	s_cmp_eq_u32 s0, 0
	s_cselect_b64 s[0:1], -1, 0
	s_and_b64 s[6:7], s[0:1], exec
	s_cselect_b32 s20, s22, s12
	s_add_i32 s20, s20, s23
	s_cmp_lt_u32 s20, s21
	s_cbranch_scc1 .LBB1375_6
; %bb.2:
	s_and_b64 vcc, exec, s[16:17]
	s_cbranch_vccz .LBB1375_7
; %bb.3:
	v_cmp_gt_u32_e32 vcc, s21, v4
	s_mov_b64 s[12:13], 0
	s_mov_b64 s[6:7], 0
                                        ; implicit-def: $vgpr0_vgpr1
	s_and_saveexec_b64 s[18:19], vcc
	s_cbranch_execz .LBB1375_5
; %bb.4:
	v_mov_b32_e32 v5, 0
	v_lshlrev_b64 v[0:1], 3, v[4:5]
	v_mov_b32_e32 v7, s15
	v_add_co_u32_e32 v0, vcc, s14, v0
	v_addc_co_u32_e32 v1, vcc, v7, v1, vcc
	v_lshlrev_b64 v[8:9], 1, v[4:5]
	v_mov_b32_e32 v5, s11
	v_add_co_u32_e32 v8, vcc, s10, v8
	s_mov_b64 s[6:7], exec
	v_addc_co_u32_e32 v9, vcc, v5, v9, vcc
	s_waitcnt vmcnt(0)
	global_store_short v[8:9], v6, off
.LBB1375_5:
	s_or_b64 exec, exec, s[18:19]
	s_and_b64 vcc, exec, s[12:13]
	s_cbranch_vccnz .LBB1375_8
	s_branch .LBB1375_9
.LBB1375_6:
	s_mov_b64 s[6:7], 0
                                        ; implicit-def: $vgpr0_vgpr1
	s_cbranch_execnz .LBB1375_10
	s_branch .LBB1375_24
.LBB1375_7:
	s_mov_b64 s[6:7], 0
                                        ; implicit-def: $vgpr0_vgpr1
	s_cbranch_execz .LBB1375_9
.LBB1375_8:
	v_mov_b32_e32 v5, 0
	v_lshlrev_b64 v[0:1], 1, v[4:5]
	v_mov_b32_e32 v7, s11
	v_add_co_u32_e32 v0, vcc, s10, v0
	v_addc_co_u32_e32 v1, vcc, v7, v1, vcc
	s_waitcnt vmcnt(0)
	global_store_short v[0:1], v6, off
	v_lshlrev_b64 v[0:1], 3, v[4:5]
	v_mov_b32_e32 v5, s15
	v_add_co_u32_e32 v0, vcc, s14, v0
	v_addc_co_u32_e32 v1, vcc, v5, v1, vcc
	s_or_b64 s[6:7], s[6:7], exec
.LBB1375_9:
	s_branch .LBB1375_24
.LBB1375_10:
	s_load_dword s12, s[4:5], 0x28
	s_min_u32 s13, s20, s21
	s_add_i32 s4, s13, s22
	s_min_u32 s18, s4, s21
	s_min_u32 s4, s23, s13
	s_add_i32 s23, s23, s13
	v_subrev_u32_e32 v0, s23, v4
	v_add_u32_e32 v4, s4, v0
	s_and_b64 vcc, exec, s[16:17]
	s_cbranch_vccz .LBB1375_18
; %bb.11:
                                        ; implicit-def: $vgpr0_vgpr1
	s_and_saveexec_b64 s[4:5], s[2:3]
	s_cbranch_execz .LBB1375_17
; %bb.12:
	s_cmp_ge_u32 s20, s18
	v_mov_b32_e32 v0, s13
	s_cbranch_scc1 .LBB1375_16
; %bb.13:
	s_waitcnt vmcnt(0) lgkmcnt(0)
	v_and_b32_e32 v1, s12, v6
	s_mov_b64 s[2:3], 0
	v_mov_b32_e32 v5, s18
	v_mov_b32_e32 v0, s13
.LBB1375_14:                            ; =>This Inner Loop Header: Depth=1
	v_add_u32_e32 v7, v0, v5
	v_and_b32_e32 v8, -2, v7
	global_load_ushort v8, v8, s[8:9]
	v_lshrrev_b32_e32 v7, 1, v7
	v_add_u32_e32 v9, 1, v7
	s_waitcnt vmcnt(0)
	v_and_b32_e32 v8, s12, v8
	v_cmp_gt_i16_e32 vcc, v1, v8
	v_cndmask_b32_e64 v10, 0, 1, vcc
	v_cmp_le_i16_e32 vcc, v8, v1
	v_cndmask_b32_e64 v8, 0, 1, vcc
	v_cndmask_b32_e64 v8, v8, v10, s[0:1]
	v_and_b32_e32 v8, 1, v8
	v_cmp_eq_u32_e32 vcc, 1, v8
	v_cndmask_b32_e32 v5, v7, v5, vcc
	v_cndmask_b32_e32 v0, v0, v9, vcc
	v_cmp_ge_u32_e32 vcc, v0, v5
	s_or_b64 s[2:3], vcc, s[2:3]
	s_andn2_b64 exec, exec, s[2:3]
	s_cbranch_execnz .LBB1375_14
; %bb.15:
	s_or_b64 exec, exec, s[2:3]
.LBB1375_16:
	v_add_u32_e32 v0, v0, v4
	v_mov_b32_e32 v1, 0
	v_lshlrev_b64 v[8:9], 1, v[0:1]
	v_mov_b32_e32 v5, s11
	v_add_co_u32_e32 v8, vcc, s10, v8
	v_addc_co_u32_e32 v9, vcc, v5, v9, vcc
	v_lshlrev_b64 v[0:1], 3, v[0:1]
	v_mov_b32_e32 v5, s15
	v_add_co_u32_e32 v0, vcc, s14, v0
	s_waitcnt vmcnt(0)
	global_store_short v[8:9], v6, off
	v_addc_co_u32_e32 v1, vcc, v5, v1, vcc
	s_or_b64 s[6:7], s[6:7], exec
.LBB1375_17:
	s_or_b64 exec, exec, s[4:5]
	s_branch .LBB1375_24
.LBB1375_18:
                                        ; implicit-def: $vgpr0_vgpr1
	s_cbranch_execz .LBB1375_24
; %bb.19:
	s_cmp_ge_u32 s20, s18
	v_mov_b32_e32 v0, s13
	s_cbranch_scc1 .LBB1375_23
; %bb.20:
	s_waitcnt vmcnt(0) lgkmcnt(0)
	v_and_b32_e32 v1, s12, v6
	s_mov_b64 s[2:3], 0
	v_mov_b32_e32 v5, s18
	v_mov_b32_e32 v0, s13
.LBB1375_21:                            ; =>This Inner Loop Header: Depth=1
	v_add_u32_e32 v7, v0, v5
	v_and_b32_e32 v8, -2, v7
	global_load_ushort v8, v8, s[8:9]
	v_lshrrev_b32_e32 v7, 1, v7
	v_add_u32_e32 v9, 1, v7
	s_waitcnt vmcnt(0)
	v_and_b32_e32 v8, s12, v8
	v_cmp_gt_i16_e32 vcc, v1, v8
	v_cndmask_b32_e64 v10, 0, 1, vcc
	v_cmp_le_i16_e32 vcc, v8, v1
	v_cndmask_b32_e64 v8, 0, 1, vcc
	v_cndmask_b32_e64 v8, v8, v10, s[0:1]
	v_and_b32_e32 v8, 1, v8
	v_cmp_eq_u32_e32 vcc, 1, v8
	v_cndmask_b32_e32 v5, v7, v5, vcc
	v_cndmask_b32_e32 v0, v0, v9, vcc
	v_cmp_ge_u32_e32 vcc, v0, v5
	s_or_b64 s[2:3], vcc, s[2:3]
	s_andn2_b64 exec, exec, s[2:3]
	s_cbranch_execnz .LBB1375_21
; %bb.22:
	s_or_b64 exec, exec, s[2:3]
.LBB1375_23:
	v_add_u32_e32 v0, v0, v4
	v_mov_b32_e32 v1, 0
	v_lshlrev_b64 v[4:5], 1, v[0:1]
	v_mov_b32_e32 v7, s11
	v_add_co_u32_e32 v4, vcc, s10, v4
	v_addc_co_u32_e32 v5, vcc, v7, v5, vcc
	v_lshlrev_b64 v[0:1], 3, v[0:1]
	s_waitcnt vmcnt(0)
	global_store_short v[4:5], v6, off
	v_mov_b32_e32 v4, s15
	v_add_co_u32_e32 v0, vcc, s14, v0
	v_addc_co_u32_e32 v1, vcc, v4, v1, vcc
	s_mov_b64 s[6:7], -1
.LBB1375_24:
	s_and_b64 exec, exec, s[6:7]
	s_cbranch_execz .LBB1375_26
; %bb.25:
	s_waitcnt vmcnt(1)
	global_store_dwordx2 v[0:1], v[2:3], off
.LBB1375_26:
	s_endpgm
	.section	.rodata,"a",@progbits
	.p2align	6, 0x0
	.amdhsa_kernel _ZN7rocprim17ROCPRIM_400000_NS6detail17trampoline_kernelINS0_14default_configENS1_38merge_sort_block_merge_config_selectorIslEEZZNS1_27merge_sort_block_merge_implIS3_PsN6thrust23THRUST_200600_302600_NS10device_ptrIlEEjNS1_19radix_merge_compareILb0ELb1EsNS0_19identity_decomposerEEEEE10hipError_tT0_T1_T2_jT3_P12ihipStream_tbPNSt15iterator_traitsISG_E10value_typeEPNSM_ISH_E10value_typeEPSI_NS1_7vsmem_tEENKUlT_SG_SH_SI_E_clIS7_S7_SB_PlEESF_SV_SG_SH_SI_EUlSV_E1_NS1_11comp_targetILNS1_3genE4ELNS1_11target_archE910ELNS1_3gpuE8ELNS1_3repE0EEENS1_36merge_oddeven_config_static_selectorELNS0_4arch9wavefront6targetE1EEEvSH_
		.amdhsa_group_segment_fixed_size 0
		.amdhsa_private_segment_fixed_size 0
		.amdhsa_kernarg_size 48
		.amdhsa_user_sgpr_count 6
		.amdhsa_user_sgpr_private_segment_buffer 1
		.amdhsa_user_sgpr_dispatch_ptr 0
		.amdhsa_user_sgpr_queue_ptr 0
		.amdhsa_user_sgpr_kernarg_segment_ptr 1
		.amdhsa_user_sgpr_dispatch_id 0
		.amdhsa_user_sgpr_flat_scratch_init 0
		.amdhsa_user_sgpr_kernarg_preload_length 0
		.amdhsa_user_sgpr_kernarg_preload_offset 0
		.amdhsa_user_sgpr_private_segment_size 0
		.amdhsa_uses_dynamic_stack 0
		.amdhsa_system_sgpr_private_segment_wavefront_offset 0
		.amdhsa_system_sgpr_workgroup_id_x 1
		.amdhsa_system_sgpr_workgroup_id_y 0
		.amdhsa_system_sgpr_workgroup_id_z 0
		.amdhsa_system_sgpr_workgroup_info 0
		.amdhsa_system_vgpr_workitem_id 0
		.amdhsa_next_free_vgpr 11
		.amdhsa_next_free_sgpr 24
		.amdhsa_accum_offset 12
		.amdhsa_reserve_vcc 1
		.amdhsa_reserve_flat_scratch 0
		.amdhsa_float_round_mode_32 0
		.amdhsa_float_round_mode_16_64 0
		.amdhsa_float_denorm_mode_32 3
		.amdhsa_float_denorm_mode_16_64 3
		.amdhsa_dx10_clamp 1
		.amdhsa_ieee_mode 1
		.amdhsa_fp16_overflow 0
		.amdhsa_tg_split 0
		.amdhsa_exception_fp_ieee_invalid_op 0
		.amdhsa_exception_fp_denorm_src 0
		.amdhsa_exception_fp_ieee_div_zero 0
		.amdhsa_exception_fp_ieee_overflow 0
		.amdhsa_exception_fp_ieee_underflow 0
		.amdhsa_exception_fp_ieee_inexact 0
		.amdhsa_exception_int_div_zero 0
	.end_amdhsa_kernel
	.section	.text._ZN7rocprim17ROCPRIM_400000_NS6detail17trampoline_kernelINS0_14default_configENS1_38merge_sort_block_merge_config_selectorIslEEZZNS1_27merge_sort_block_merge_implIS3_PsN6thrust23THRUST_200600_302600_NS10device_ptrIlEEjNS1_19radix_merge_compareILb0ELb1EsNS0_19identity_decomposerEEEEE10hipError_tT0_T1_T2_jT3_P12ihipStream_tbPNSt15iterator_traitsISG_E10value_typeEPNSM_ISH_E10value_typeEPSI_NS1_7vsmem_tEENKUlT_SG_SH_SI_E_clIS7_S7_SB_PlEESF_SV_SG_SH_SI_EUlSV_E1_NS1_11comp_targetILNS1_3genE4ELNS1_11target_archE910ELNS1_3gpuE8ELNS1_3repE0EEENS1_36merge_oddeven_config_static_selectorELNS0_4arch9wavefront6targetE1EEEvSH_,"axG",@progbits,_ZN7rocprim17ROCPRIM_400000_NS6detail17trampoline_kernelINS0_14default_configENS1_38merge_sort_block_merge_config_selectorIslEEZZNS1_27merge_sort_block_merge_implIS3_PsN6thrust23THRUST_200600_302600_NS10device_ptrIlEEjNS1_19radix_merge_compareILb0ELb1EsNS0_19identity_decomposerEEEEE10hipError_tT0_T1_T2_jT3_P12ihipStream_tbPNSt15iterator_traitsISG_E10value_typeEPNSM_ISH_E10value_typeEPSI_NS1_7vsmem_tEENKUlT_SG_SH_SI_E_clIS7_S7_SB_PlEESF_SV_SG_SH_SI_EUlSV_E1_NS1_11comp_targetILNS1_3genE4ELNS1_11target_archE910ELNS1_3gpuE8ELNS1_3repE0EEENS1_36merge_oddeven_config_static_selectorELNS0_4arch9wavefront6targetE1EEEvSH_,comdat
.Lfunc_end1375:
	.size	_ZN7rocprim17ROCPRIM_400000_NS6detail17trampoline_kernelINS0_14default_configENS1_38merge_sort_block_merge_config_selectorIslEEZZNS1_27merge_sort_block_merge_implIS3_PsN6thrust23THRUST_200600_302600_NS10device_ptrIlEEjNS1_19radix_merge_compareILb0ELb1EsNS0_19identity_decomposerEEEEE10hipError_tT0_T1_T2_jT3_P12ihipStream_tbPNSt15iterator_traitsISG_E10value_typeEPNSM_ISH_E10value_typeEPSI_NS1_7vsmem_tEENKUlT_SG_SH_SI_E_clIS7_S7_SB_PlEESF_SV_SG_SH_SI_EUlSV_E1_NS1_11comp_targetILNS1_3genE4ELNS1_11target_archE910ELNS1_3gpuE8ELNS1_3repE0EEENS1_36merge_oddeven_config_static_selectorELNS0_4arch9wavefront6targetE1EEEvSH_, .Lfunc_end1375-_ZN7rocprim17ROCPRIM_400000_NS6detail17trampoline_kernelINS0_14default_configENS1_38merge_sort_block_merge_config_selectorIslEEZZNS1_27merge_sort_block_merge_implIS3_PsN6thrust23THRUST_200600_302600_NS10device_ptrIlEEjNS1_19radix_merge_compareILb0ELb1EsNS0_19identity_decomposerEEEEE10hipError_tT0_T1_T2_jT3_P12ihipStream_tbPNSt15iterator_traitsISG_E10value_typeEPNSM_ISH_E10value_typeEPSI_NS1_7vsmem_tEENKUlT_SG_SH_SI_E_clIS7_S7_SB_PlEESF_SV_SG_SH_SI_EUlSV_E1_NS1_11comp_targetILNS1_3genE4ELNS1_11target_archE910ELNS1_3gpuE8ELNS1_3repE0EEENS1_36merge_oddeven_config_static_selectorELNS0_4arch9wavefront6targetE1EEEvSH_
                                        ; -- End function
	.section	.AMDGPU.csdata,"",@progbits
; Kernel info:
; codeLenInByte = 860
; NumSgprs: 28
; NumVgprs: 11
; NumAgprs: 0
; TotalNumVgprs: 11
; ScratchSize: 0
; MemoryBound: 0
; FloatMode: 240
; IeeeMode: 1
; LDSByteSize: 0 bytes/workgroup (compile time only)
; SGPRBlocks: 3
; VGPRBlocks: 1
; NumSGPRsForWavesPerEU: 28
; NumVGPRsForWavesPerEU: 11
; AccumOffset: 12
; Occupancy: 8
; WaveLimiterHint : 0
; COMPUTE_PGM_RSRC2:SCRATCH_EN: 0
; COMPUTE_PGM_RSRC2:USER_SGPR: 6
; COMPUTE_PGM_RSRC2:TRAP_HANDLER: 0
; COMPUTE_PGM_RSRC2:TGID_X_EN: 1
; COMPUTE_PGM_RSRC2:TGID_Y_EN: 0
; COMPUTE_PGM_RSRC2:TGID_Z_EN: 0
; COMPUTE_PGM_RSRC2:TIDIG_COMP_CNT: 0
; COMPUTE_PGM_RSRC3_GFX90A:ACCUM_OFFSET: 2
; COMPUTE_PGM_RSRC3_GFX90A:TG_SPLIT: 0
	.section	.text._ZN7rocprim17ROCPRIM_400000_NS6detail17trampoline_kernelINS0_14default_configENS1_38merge_sort_block_merge_config_selectorIslEEZZNS1_27merge_sort_block_merge_implIS3_PsN6thrust23THRUST_200600_302600_NS10device_ptrIlEEjNS1_19radix_merge_compareILb0ELb1EsNS0_19identity_decomposerEEEEE10hipError_tT0_T1_T2_jT3_P12ihipStream_tbPNSt15iterator_traitsISG_E10value_typeEPNSM_ISH_E10value_typeEPSI_NS1_7vsmem_tEENKUlT_SG_SH_SI_E_clIS7_S7_SB_PlEESF_SV_SG_SH_SI_EUlSV_E1_NS1_11comp_targetILNS1_3genE3ELNS1_11target_archE908ELNS1_3gpuE7ELNS1_3repE0EEENS1_36merge_oddeven_config_static_selectorELNS0_4arch9wavefront6targetE1EEEvSH_,"axG",@progbits,_ZN7rocprim17ROCPRIM_400000_NS6detail17trampoline_kernelINS0_14default_configENS1_38merge_sort_block_merge_config_selectorIslEEZZNS1_27merge_sort_block_merge_implIS3_PsN6thrust23THRUST_200600_302600_NS10device_ptrIlEEjNS1_19radix_merge_compareILb0ELb1EsNS0_19identity_decomposerEEEEE10hipError_tT0_T1_T2_jT3_P12ihipStream_tbPNSt15iterator_traitsISG_E10value_typeEPNSM_ISH_E10value_typeEPSI_NS1_7vsmem_tEENKUlT_SG_SH_SI_E_clIS7_S7_SB_PlEESF_SV_SG_SH_SI_EUlSV_E1_NS1_11comp_targetILNS1_3genE3ELNS1_11target_archE908ELNS1_3gpuE7ELNS1_3repE0EEENS1_36merge_oddeven_config_static_selectorELNS0_4arch9wavefront6targetE1EEEvSH_,comdat
	.protected	_ZN7rocprim17ROCPRIM_400000_NS6detail17trampoline_kernelINS0_14default_configENS1_38merge_sort_block_merge_config_selectorIslEEZZNS1_27merge_sort_block_merge_implIS3_PsN6thrust23THRUST_200600_302600_NS10device_ptrIlEEjNS1_19radix_merge_compareILb0ELb1EsNS0_19identity_decomposerEEEEE10hipError_tT0_T1_T2_jT3_P12ihipStream_tbPNSt15iterator_traitsISG_E10value_typeEPNSM_ISH_E10value_typeEPSI_NS1_7vsmem_tEENKUlT_SG_SH_SI_E_clIS7_S7_SB_PlEESF_SV_SG_SH_SI_EUlSV_E1_NS1_11comp_targetILNS1_3genE3ELNS1_11target_archE908ELNS1_3gpuE7ELNS1_3repE0EEENS1_36merge_oddeven_config_static_selectorELNS0_4arch9wavefront6targetE1EEEvSH_ ; -- Begin function _ZN7rocprim17ROCPRIM_400000_NS6detail17trampoline_kernelINS0_14default_configENS1_38merge_sort_block_merge_config_selectorIslEEZZNS1_27merge_sort_block_merge_implIS3_PsN6thrust23THRUST_200600_302600_NS10device_ptrIlEEjNS1_19radix_merge_compareILb0ELb1EsNS0_19identity_decomposerEEEEE10hipError_tT0_T1_T2_jT3_P12ihipStream_tbPNSt15iterator_traitsISG_E10value_typeEPNSM_ISH_E10value_typeEPSI_NS1_7vsmem_tEENKUlT_SG_SH_SI_E_clIS7_S7_SB_PlEESF_SV_SG_SH_SI_EUlSV_E1_NS1_11comp_targetILNS1_3genE3ELNS1_11target_archE908ELNS1_3gpuE7ELNS1_3repE0EEENS1_36merge_oddeven_config_static_selectorELNS0_4arch9wavefront6targetE1EEEvSH_
	.globl	_ZN7rocprim17ROCPRIM_400000_NS6detail17trampoline_kernelINS0_14default_configENS1_38merge_sort_block_merge_config_selectorIslEEZZNS1_27merge_sort_block_merge_implIS3_PsN6thrust23THRUST_200600_302600_NS10device_ptrIlEEjNS1_19radix_merge_compareILb0ELb1EsNS0_19identity_decomposerEEEEE10hipError_tT0_T1_T2_jT3_P12ihipStream_tbPNSt15iterator_traitsISG_E10value_typeEPNSM_ISH_E10value_typeEPSI_NS1_7vsmem_tEENKUlT_SG_SH_SI_E_clIS7_S7_SB_PlEESF_SV_SG_SH_SI_EUlSV_E1_NS1_11comp_targetILNS1_3genE3ELNS1_11target_archE908ELNS1_3gpuE7ELNS1_3repE0EEENS1_36merge_oddeven_config_static_selectorELNS0_4arch9wavefront6targetE1EEEvSH_
	.p2align	8
	.type	_ZN7rocprim17ROCPRIM_400000_NS6detail17trampoline_kernelINS0_14default_configENS1_38merge_sort_block_merge_config_selectorIslEEZZNS1_27merge_sort_block_merge_implIS3_PsN6thrust23THRUST_200600_302600_NS10device_ptrIlEEjNS1_19radix_merge_compareILb0ELb1EsNS0_19identity_decomposerEEEEE10hipError_tT0_T1_T2_jT3_P12ihipStream_tbPNSt15iterator_traitsISG_E10value_typeEPNSM_ISH_E10value_typeEPSI_NS1_7vsmem_tEENKUlT_SG_SH_SI_E_clIS7_S7_SB_PlEESF_SV_SG_SH_SI_EUlSV_E1_NS1_11comp_targetILNS1_3genE3ELNS1_11target_archE908ELNS1_3gpuE7ELNS1_3repE0EEENS1_36merge_oddeven_config_static_selectorELNS0_4arch9wavefront6targetE1EEEvSH_,@function
_ZN7rocprim17ROCPRIM_400000_NS6detail17trampoline_kernelINS0_14default_configENS1_38merge_sort_block_merge_config_selectorIslEEZZNS1_27merge_sort_block_merge_implIS3_PsN6thrust23THRUST_200600_302600_NS10device_ptrIlEEjNS1_19radix_merge_compareILb0ELb1EsNS0_19identity_decomposerEEEEE10hipError_tT0_T1_T2_jT3_P12ihipStream_tbPNSt15iterator_traitsISG_E10value_typeEPNSM_ISH_E10value_typeEPSI_NS1_7vsmem_tEENKUlT_SG_SH_SI_E_clIS7_S7_SB_PlEESF_SV_SG_SH_SI_EUlSV_E1_NS1_11comp_targetILNS1_3genE3ELNS1_11target_archE908ELNS1_3gpuE7ELNS1_3repE0EEENS1_36merge_oddeven_config_static_selectorELNS0_4arch9wavefront6targetE1EEEvSH_: ; @_ZN7rocprim17ROCPRIM_400000_NS6detail17trampoline_kernelINS0_14default_configENS1_38merge_sort_block_merge_config_selectorIslEEZZNS1_27merge_sort_block_merge_implIS3_PsN6thrust23THRUST_200600_302600_NS10device_ptrIlEEjNS1_19radix_merge_compareILb0ELb1EsNS0_19identity_decomposerEEEEE10hipError_tT0_T1_T2_jT3_P12ihipStream_tbPNSt15iterator_traitsISG_E10value_typeEPNSM_ISH_E10value_typeEPSI_NS1_7vsmem_tEENKUlT_SG_SH_SI_E_clIS7_S7_SB_PlEESF_SV_SG_SH_SI_EUlSV_E1_NS1_11comp_targetILNS1_3genE3ELNS1_11target_archE908ELNS1_3gpuE7ELNS1_3repE0EEENS1_36merge_oddeven_config_static_selectorELNS0_4arch9wavefront6targetE1EEEvSH_
; %bb.0:
	.section	.rodata,"a",@progbits
	.p2align	6, 0x0
	.amdhsa_kernel _ZN7rocprim17ROCPRIM_400000_NS6detail17trampoline_kernelINS0_14default_configENS1_38merge_sort_block_merge_config_selectorIslEEZZNS1_27merge_sort_block_merge_implIS3_PsN6thrust23THRUST_200600_302600_NS10device_ptrIlEEjNS1_19radix_merge_compareILb0ELb1EsNS0_19identity_decomposerEEEEE10hipError_tT0_T1_T2_jT3_P12ihipStream_tbPNSt15iterator_traitsISG_E10value_typeEPNSM_ISH_E10value_typeEPSI_NS1_7vsmem_tEENKUlT_SG_SH_SI_E_clIS7_S7_SB_PlEESF_SV_SG_SH_SI_EUlSV_E1_NS1_11comp_targetILNS1_3genE3ELNS1_11target_archE908ELNS1_3gpuE7ELNS1_3repE0EEENS1_36merge_oddeven_config_static_selectorELNS0_4arch9wavefront6targetE1EEEvSH_
		.amdhsa_group_segment_fixed_size 0
		.amdhsa_private_segment_fixed_size 0
		.amdhsa_kernarg_size 48
		.amdhsa_user_sgpr_count 6
		.amdhsa_user_sgpr_private_segment_buffer 1
		.amdhsa_user_sgpr_dispatch_ptr 0
		.amdhsa_user_sgpr_queue_ptr 0
		.amdhsa_user_sgpr_kernarg_segment_ptr 1
		.amdhsa_user_sgpr_dispatch_id 0
		.amdhsa_user_sgpr_flat_scratch_init 0
		.amdhsa_user_sgpr_kernarg_preload_length 0
		.amdhsa_user_sgpr_kernarg_preload_offset 0
		.amdhsa_user_sgpr_private_segment_size 0
		.amdhsa_uses_dynamic_stack 0
		.amdhsa_system_sgpr_private_segment_wavefront_offset 0
		.amdhsa_system_sgpr_workgroup_id_x 1
		.amdhsa_system_sgpr_workgroup_id_y 0
		.amdhsa_system_sgpr_workgroup_id_z 0
		.amdhsa_system_sgpr_workgroup_info 0
		.amdhsa_system_vgpr_workitem_id 0
		.amdhsa_next_free_vgpr 1
		.amdhsa_next_free_sgpr 0
		.amdhsa_accum_offset 4
		.amdhsa_reserve_vcc 0
		.amdhsa_reserve_flat_scratch 0
		.amdhsa_float_round_mode_32 0
		.amdhsa_float_round_mode_16_64 0
		.amdhsa_float_denorm_mode_32 3
		.amdhsa_float_denorm_mode_16_64 3
		.amdhsa_dx10_clamp 1
		.amdhsa_ieee_mode 1
		.amdhsa_fp16_overflow 0
		.amdhsa_tg_split 0
		.amdhsa_exception_fp_ieee_invalid_op 0
		.amdhsa_exception_fp_denorm_src 0
		.amdhsa_exception_fp_ieee_div_zero 0
		.amdhsa_exception_fp_ieee_overflow 0
		.amdhsa_exception_fp_ieee_underflow 0
		.amdhsa_exception_fp_ieee_inexact 0
		.amdhsa_exception_int_div_zero 0
	.end_amdhsa_kernel
	.section	.text._ZN7rocprim17ROCPRIM_400000_NS6detail17trampoline_kernelINS0_14default_configENS1_38merge_sort_block_merge_config_selectorIslEEZZNS1_27merge_sort_block_merge_implIS3_PsN6thrust23THRUST_200600_302600_NS10device_ptrIlEEjNS1_19radix_merge_compareILb0ELb1EsNS0_19identity_decomposerEEEEE10hipError_tT0_T1_T2_jT3_P12ihipStream_tbPNSt15iterator_traitsISG_E10value_typeEPNSM_ISH_E10value_typeEPSI_NS1_7vsmem_tEENKUlT_SG_SH_SI_E_clIS7_S7_SB_PlEESF_SV_SG_SH_SI_EUlSV_E1_NS1_11comp_targetILNS1_3genE3ELNS1_11target_archE908ELNS1_3gpuE7ELNS1_3repE0EEENS1_36merge_oddeven_config_static_selectorELNS0_4arch9wavefront6targetE1EEEvSH_,"axG",@progbits,_ZN7rocprim17ROCPRIM_400000_NS6detail17trampoline_kernelINS0_14default_configENS1_38merge_sort_block_merge_config_selectorIslEEZZNS1_27merge_sort_block_merge_implIS3_PsN6thrust23THRUST_200600_302600_NS10device_ptrIlEEjNS1_19radix_merge_compareILb0ELb1EsNS0_19identity_decomposerEEEEE10hipError_tT0_T1_T2_jT3_P12ihipStream_tbPNSt15iterator_traitsISG_E10value_typeEPNSM_ISH_E10value_typeEPSI_NS1_7vsmem_tEENKUlT_SG_SH_SI_E_clIS7_S7_SB_PlEESF_SV_SG_SH_SI_EUlSV_E1_NS1_11comp_targetILNS1_3genE3ELNS1_11target_archE908ELNS1_3gpuE7ELNS1_3repE0EEENS1_36merge_oddeven_config_static_selectorELNS0_4arch9wavefront6targetE1EEEvSH_,comdat
.Lfunc_end1376:
	.size	_ZN7rocprim17ROCPRIM_400000_NS6detail17trampoline_kernelINS0_14default_configENS1_38merge_sort_block_merge_config_selectorIslEEZZNS1_27merge_sort_block_merge_implIS3_PsN6thrust23THRUST_200600_302600_NS10device_ptrIlEEjNS1_19radix_merge_compareILb0ELb1EsNS0_19identity_decomposerEEEEE10hipError_tT0_T1_T2_jT3_P12ihipStream_tbPNSt15iterator_traitsISG_E10value_typeEPNSM_ISH_E10value_typeEPSI_NS1_7vsmem_tEENKUlT_SG_SH_SI_E_clIS7_S7_SB_PlEESF_SV_SG_SH_SI_EUlSV_E1_NS1_11comp_targetILNS1_3genE3ELNS1_11target_archE908ELNS1_3gpuE7ELNS1_3repE0EEENS1_36merge_oddeven_config_static_selectorELNS0_4arch9wavefront6targetE1EEEvSH_, .Lfunc_end1376-_ZN7rocprim17ROCPRIM_400000_NS6detail17trampoline_kernelINS0_14default_configENS1_38merge_sort_block_merge_config_selectorIslEEZZNS1_27merge_sort_block_merge_implIS3_PsN6thrust23THRUST_200600_302600_NS10device_ptrIlEEjNS1_19radix_merge_compareILb0ELb1EsNS0_19identity_decomposerEEEEE10hipError_tT0_T1_T2_jT3_P12ihipStream_tbPNSt15iterator_traitsISG_E10value_typeEPNSM_ISH_E10value_typeEPSI_NS1_7vsmem_tEENKUlT_SG_SH_SI_E_clIS7_S7_SB_PlEESF_SV_SG_SH_SI_EUlSV_E1_NS1_11comp_targetILNS1_3genE3ELNS1_11target_archE908ELNS1_3gpuE7ELNS1_3repE0EEENS1_36merge_oddeven_config_static_selectorELNS0_4arch9wavefront6targetE1EEEvSH_
                                        ; -- End function
	.section	.AMDGPU.csdata,"",@progbits
; Kernel info:
; codeLenInByte = 0
; NumSgprs: 4
; NumVgprs: 0
; NumAgprs: 0
; TotalNumVgprs: 0
; ScratchSize: 0
; MemoryBound: 0
; FloatMode: 240
; IeeeMode: 1
; LDSByteSize: 0 bytes/workgroup (compile time only)
; SGPRBlocks: 0
; VGPRBlocks: 0
; NumSGPRsForWavesPerEU: 4
; NumVGPRsForWavesPerEU: 1
; AccumOffset: 4
; Occupancy: 8
; WaveLimiterHint : 0
; COMPUTE_PGM_RSRC2:SCRATCH_EN: 0
; COMPUTE_PGM_RSRC2:USER_SGPR: 6
; COMPUTE_PGM_RSRC2:TRAP_HANDLER: 0
; COMPUTE_PGM_RSRC2:TGID_X_EN: 1
; COMPUTE_PGM_RSRC2:TGID_Y_EN: 0
; COMPUTE_PGM_RSRC2:TGID_Z_EN: 0
; COMPUTE_PGM_RSRC2:TIDIG_COMP_CNT: 0
; COMPUTE_PGM_RSRC3_GFX90A:ACCUM_OFFSET: 0
; COMPUTE_PGM_RSRC3_GFX90A:TG_SPLIT: 0
	.section	.text._ZN7rocprim17ROCPRIM_400000_NS6detail17trampoline_kernelINS0_14default_configENS1_38merge_sort_block_merge_config_selectorIslEEZZNS1_27merge_sort_block_merge_implIS3_PsN6thrust23THRUST_200600_302600_NS10device_ptrIlEEjNS1_19radix_merge_compareILb0ELb1EsNS0_19identity_decomposerEEEEE10hipError_tT0_T1_T2_jT3_P12ihipStream_tbPNSt15iterator_traitsISG_E10value_typeEPNSM_ISH_E10value_typeEPSI_NS1_7vsmem_tEENKUlT_SG_SH_SI_E_clIS7_S7_SB_PlEESF_SV_SG_SH_SI_EUlSV_E1_NS1_11comp_targetILNS1_3genE2ELNS1_11target_archE906ELNS1_3gpuE6ELNS1_3repE0EEENS1_36merge_oddeven_config_static_selectorELNS0_4arch9wavefront6targetE1EEEvSH_,"axG",@progbits,_ZN7rocprim17ROCPRIM_400000_NS6detail17trampoline_kernelINS0_14default_configENS1_38merge_sort_block_merge_config_selectorIslEEZZNS1_27merge_sort_block_merge_implIS3_PsN6thrust23THRUST_200600_302600_NS10device_ptrIlEEjNS1_19radix_merge_compareILb0ELb1EsNS0_19identity_decomposerEEEEE10hipError_tT0_T1_T2_jT3_P12ihipStream_tbPNSt15iterator_traitsISG_E10value_typeEPNSM_ISH_E10value_typeEPSI_NS1_7vsmem_tEENKUlT_SG_SH_SI_E_clIS7_S7_SB_PlEESF_SV_SG_SH_SI_EUlSV_E1_NS1_11comp_targetILNS1_3genE2ELNS1_11target_archE906ELNS1_3gpuE6ELNS1_3repE0EEENS1_36merge_oddeven_config_static_selectorELNS0_4arch9wavefront6targetE1EEEvSH_,comdat
	.protected	_ZN7rocprim17ROCPRIM_400000_NS6detail17trampoline_kernelINS0_14default_configENS1_38merge_sort_block_merge_config_selectorIslEEZZNS1_27merge_sort_block_merge_implIS3_PsN6thrust23THRUST_200600_302600_NS10device_ptrIlEEjNS1_19radix_merge_compareILb0ELb1EsNS0_19identity_decomposerEEEEE10hipError_tT0_T1_T2_jT3_P12ihipStream_tbPNSt15iterator_traitsISG_E10value_typeEPNSM_ISH_E10value_typeEPSI_NS1_7vsmem_tEENKUlT_SG_SH_SI_E_clIS7_S7_SB_PlEESF_SV_SG_SH_SI_EUlSV_E1_NS1_11comp_targetILNS1_3genE2ELNS1_11target_archE906ELNS1_3gpuE6ELNS1_3repE0EEENS1_36merge_oddeven_config_static_selectorELNS0_4arch9wavefront6targetE1EEEvSH_ ; -- Begin function _ZN7rocprim17ROCPRIM_400000_NS6detail17trampoline_kernelINS0_14default_configENS1_38merge_sort_block_merge_config_selectorIslEEZZNS1_27merge_sort_block_merge_implIS3_PsN6thrust23THRUST_200600_302600_NS10device_ptrIlEEjNS1_19radix_merge_compareILb0ELb1EsNS0_19identity_decomposerEEEEE10hipError_tT0_T1_T2_jT3_P12ihipStream_tbPNSt15iterator_traitsISG_E10value_typeEPNSM_ISH_E10value_typeEPSI_NS1_7vsmem_tEENKUlT_SG_SH_SI_E_clIS7_S7_SB_PlEESF_SV_SG_SH_SI_EUlSV_E1_NS1_11comp_targetILNS1_3genE2ELNS1_11target_archE906ELNS1_3gpuE6ELNS1_3repE0EEENS1_36merge_oddeven_config_static_selectorELNS0_4arch9wavefront6targetE1EEEvSH_
	.globl	_ZN7rocprim17ROCPRIM_400000_NS6detail17trampoline_kernelINS0_14default_configENS1_38merge_sort_block_merge_config_selectorIslEEZZNS1_27merge_sort_block_merge_implIS3_PsN6thrust23THRUST_200600_302600_NS10device_ptrIlEEjNS1_19radix_merge_compareILb0ELb1EsNS0_19identity_decomposerEEEEE10hipError_tT0_T1_T2_jT3_P12ihipStream_tbPNSt15iterator_traitsISG_E10value_typeEPNSM_ISH_E10value_typeEPSI_NS1_7vsmem_tEENKUlT_SG_SH_SI_E_clIS7_S7_SB_PlEESF_SV_SG_SH_SI_EUlSV_E1_NS1_11comp_targetILNS1_3genE2ELNS1_11target_archE906ELNS1_3gpuE6ELNS1_3repE0EEENS1_36merge_oddeven_config_static_selectorELNS0_4arch9wavefront6targetE1EEEvSH_
	.p2align	8
	.type	_ZN7rocprim17ROCPRIM_400000_NS6detail17trampoline_kernelINS0_14default_configENS1_38merge_sort_block_merge_config_selectorIslEEZZNS1_27merge_sort_block_merge_implIS3_PsN6thrust23THRUST_200600_302600_NS10device_ptrIlEEjNS1_19radix_merge_compareILb0ELb1EsNS0_19identity_decomposerEEEEE10hipError_tT0_T1_T2_jT3_P12ihipStream_tbPNSt15iterator_traitsISG_E10value_typeEPNSM_ISH_E10value_typeEPSI_NS1_7vsmem_tEENKUlT_SG_SH_SI_E_clIS7_S7_SB_PlEESF_SV_SG_SH_SI_EUlSV_E1_NS1_11comp_targetILNS1_3genE2ELNS1_11target_archE906ELNS1_3gpuE6ELNS1_3repE0EEENS1_36merge_oddeven_config_static_selectorELNS0_4arch9wavefront6targetE1EEEvSH_,@function
_ZN7rocprim17ROCPRIM_400000_NS6detail17trampoline_kernelINS0_14default_configENS1_38merge_sort_block_merge_config_selectorIslEEZZNS1_27merge_sort_block_merge_implIS3_PsN6thrust23THRUST_200600_302600_NS10device_ptrIlEEjNS1_19radix_merge_compareILb0ELb1EsNS0_19identity_decomposerEEEEE10hipError_tT0_T1_T2_jT3_P12ihipStream_tbPNSt15iterator_traitsISG_E10value_typeEPNSM_ISH_E10value_typeEPSI_NS1_7vsmem_tEENKUlT_SG_SH_SI_E_clIS7_S7_SB_PlEESF_SV_SG_SH_SI_EUlSV_E1_NS1_11comp_targetILNS1_3genE2ELNS1_11target_archE906ELNS1_3gpuE6ELNS1_3repE0EEENS1_36merge_oddeven_config_static_selectorELNS0_4arch9wavefront6targetE1EEEvSH_: ; @_ZN7rocprim17ROCPRIM_400000_NS6detail17trampoline_kernelINS0_14default_configENS1_38merge_sort_block_merge_config_selectorIslEEZZNS1_27merge_sort_block_merge_implIS3_PsN6thrust23THRUST_200600_302600_NS10device_ptrIlEEjNS1_19radix_merge_compareILb0ELb1EsNS0_19identity_decomposerEEEEE10hipError_tT0_T1_T2_jT3_P12ihipStream_tbPNSt15iterator_traitsISG_E10value_typeEPNSM_ISH_E10value_typeEPSI_NS1_7vsmem_tEENKUlT_SG_SH_SI_E_clIS7_S7_SB_PlEESF_SV_SG_SH_SI_EUlSV_E1_NS1_11comp_targetILNS1_3genE2ELNS1_11target_archE906ELNS1_3gpuE6ELNS1_3repE0EEENS1_36merge_oddeven_config_static_selectorELNS0_4arch9wavefront6targetE1EEEvSH_
; %bb.0:
	.section	.rodata,"a",@progbits
	.p2align	6, 0x0
	.amdhsa_kernel _ZN7rocprim17ROCPRIM_400000_NS6detail17trampoline_kernelINS0_14default_configENS1_38merge_sort_block_merge_config_selectorIslEEZZNS1_27merge_sort_block_merge_implIS3_PsN6thrust23THRUST_200600_302600_NS10device_ptrIlEEjNS1_19radix_merge_compareILb0ELb1EsNS0_19identity_decomposerEEEEE10hipError_tT0_T1_T2_jT3_P12ihipStream_tbPNSt15iterator_traitsISG_E10value_typeEPNSM_ISH_E10value_typeEPSI_NS1_7vsmem_tEENKUlT_SG_SH_SI_E_clIS7_S7_SB_PlEESF_SV_SG_SH_SI_EUlSV_E1_NS1_11comp_targetILNS1_3genE2ELNS1_11target_archE906ELNS1_3gpuE6ELNS1_3repE0EEENS1_36merge_oddeven_config_static_selectorELNS0_4arch9wavefront6targetE1EEEvSH_
		.amdhsa_group_segment_fixed_size 0
		.amdhsa_private_segment_fixed_size 0
		.amdhsa_kernarg_size 48
		.amdhsa_user_sgpr_count 6
		.amdhsa_user_sgpr_private_segment_buffer 1
		.amdhsa_user_sgpr_dispatch_ptr 0
		.amdhsa_user_sgpr_queue_ptr 0
		.amdhsa_user_sgpr_kernarg_segment_ptr 1
		.amdhsa_user_sgpr_dispatch_id 0
		.amdhsa_user_sgpr_flat_scratch_init 0
		.amdhsa_user_sgpr_kernarg_preload_length 0
		.amdhsa_user_sgpr_kernarg_preload_offset 0
		.amdhsa_user_sgpr_private_segment_size 0
		.amdhsa_uses_dynamic_stack 0
		.amdhsa_system_sgpr_private_segment_wavefront_offset 0
		.amdhsa_system_sgpr_workgroup_id_x 1
		.amdhsa_system_sgpr_workgroup_id_y 0
		.amdhsa_system_sgpr_workgroup_id_z 0
		.amdhsa_system_sgpr_workgroup_info 0
		.amdhsa_system_vgpr_workitem_id 0
		.amdhsa_next_free_vgpr 1
		.amdhsa_next_free_sgpr 0
		.amdhsa_accum_offset 4
		.amdhsa_reserve_vcc 0
		.amdhsa_reserve_flat_scratch 0
		.amdhsa_float_round_mode_32 0
		.amdhsa_float_round_mode_16_64 0
		.amdhsa_float_denorm_mode_32 3
		.amdhsa_float_denorm_mode_16_64 3
		.amdhsa_dx10_clamp 1
		.amdhsa_ieee_mode 1
		.amdhsa_fp16_overflow 0
		.amdhsa_tg_split 0
		.amdhsa_exception_fp_ieee_invalid_op 0
		.amdhsa_exception_fp_denorm_src 0
		.amdhsa_exception_fp_ieee_div_zero 0
		.amdhsa_exception_fp_ieee_overflow 0
		.amdhsa_exception_fp_ieee_underflow 0
		.amdhsa_exception_fp_ieee_inexact 0
		.amdhsa_exception_int_div_zero 0
	.end_amdhsa_kernel
	.section	.text._ZN7rocprim17ROCPRIM_400000_NS6detail17trampoline_kernelINS0_14default_configENS1_38merge_sort_block_merge_config_selectorIslEEZZNS1_27merge_sort_block_merge_implIS3_PsN6thrust23THRUST_200600_302600_NS10device_ptrIlEEjNS1_19radix_merge_compareILb0ELb1EsNS0_19identity_decomposerEEEEE10hipError_tT0_T1_T2_jT3_P12ihipStream_tbPNSt15iterator_traitsISG_E10value_typeEPNSM_ISH_E10value_typeEPSI_NS1_7vsmem_tEENKUlT_SG_SH_SI_E_clIS7_S7_SB_PlEESF_SV_SG_SH_SI_EUlSV_E1_NS1_11comp_targetILNS1_3genE2ELNS1_11target_archE906ELNS1_3gpuE6ELNS1_3repE0EEENS1_36merge_oddeven_config_static_selectorELNS0_4arch9wavefront6targetE1EEEvSH_,"axG",@progbits,_ZN7rocprim17ROCPRIM_400000_NS6detail17trampoline_kernelINS0_14default_configENS1_38merge_sort_block_merge_config_selectorIslEEZZNS1_27merge_sort_block_merge_implIS3_PsN6thrust23THRUST_200600_302600_NS10device_ptrIlEEjNS1_19radix_merge_compareILb0ELb1EsNS0_19identity_decomposerEEEEE10hipError_tT0_T1_T2_jT3_P12ihipStream_tbPNSt15iterator_traitsISG_E10value_typeEPNSM_ISH_E10value_typeEPSI_NS1_7vsmem_tEENKUlT_SG_SH_SI_E_clIS7_S7_SB_PlEESF_SV_SG_SH_SI_EUlSV_E1_NS1_11comp_targetILNS1_3genE2ELNS1_11target_archE906ELNS1_3gpuE6ELNS1_3repE0EEENS1_36merge_oddeven_config_static_selectorELNS0_4arch9wavefront6targetE1EEEvSH_,comdat
.Lfunc_end1377:
	.size	_ZN7rocprim17ROCPRIM_400000_NS6detail17trampoline_kernelINS0_14default_configENS1_38merge_sort_block_merge_config_selectorIslEEZZNS1_27merge_sort_block_merge_implIS3_PsN6thrust23THRUST_200600_302600_NS10device_ptrIlEEjNS1_19radix_merge_compareILb0ELb1EsNS0_19identity_decomposerEEEEE10hipError_tT0_T1_T2_jT3_P12ihipStream_tbPNSt15iterator_traitsISG_E10value_typeEPNSM_ISH_E10value_typeEPSI_NS1_7vsmem_tEENKUlT_SG_SH_SI_E_clIS7_S7_SB_PlEESF_SV_SG_SH_SI_EUlSV_E1_NS1_11comp_targetILNS1_3genE2ELNS1_11target_archE906ELNS1_3gpuE6ELNS1_3repE0EEENS1_36merge_oddeven_config_static_selectorELNS0_4arch9wavefront6targetE1EEEvSH_, .Lfunc_end1377-_ZN7rocprim17ROCPRIM_400000_NS6detail17trampoline_kernelINS0_14default_configENS1_38merge_sort_block_merge_config_selectorIslEEZZNS1_27merge_sort_block_merge_implIS3_PsN6thrust23THRUST_200600_302600_NS10device_ptrIlEEjNS1_19radix_merge_compareILb0ELb1EsNS0_19identity_decomposerEEEEE10hipError_tT0_T1_T2_jT3_P12ihipStream_tbPNSt15iterator_traitsISG_E10value_typeEPNSM_ISH_E10value_typeEPSI_NS1_7vsmem_tEENKUlT_SG_SH_SI_E_clIS7_S7_SB_PlEESF_SV_SG_SH_SI_EUlSV_E1_NS1_11comp_targetILNS1_3genE2ELNS1_11target_archE906ELNS1_3gpuE6ELNS1_3repE0EEENS1_36merge_oddeven_config_static_selectorELNS0_4arch9wavefront6targetE1EEEvSH_
                                        ; -- End function
	.section	.AMDGPU.csdata,"",@progbits
; Kernel info:
; codeLenInByte = 0
; NumSgprs: 4
; NumVgprs: 0
; NumAgprs: 0
; TotalNumVgprs: 0
; ScratchSize: 0
; MemoryBound: 0
; FloatMode: 240
; IeeeMode: 1
; LDSByteSize: 0 bytes/workgroup (compile time only)
; SGPRBlocks: 0
; VGPRBlocks: 0
; NumSGPRsForWavesPerEU: 4
; NumVGPRsForWavesPerEU: 1
; AccumOffset: 4
; Occupancy: 8
; WaveLimiterHint : 0
; COMPUTE_PGM_RSRC2:SCRATCH_EN: 0
; COMPUTE_PGM_RSRC2:USER_SGPR: 6
; COMPUTE_PGM_RSRC2:TRAP_HANDLER: 0
; COMPUTE_PGM_RSRC2:TGID_X_EN: 1
; COMPUTE_PGM_RSRC2:TGID_Y_EN: 0
; COMPUTE_PGM_RSRC2:TGID_Z_EN: 0
; COMPUTE_PGM_RSRC2:TIDIG_COMP_CNT: 0
; COMPUTE_PGM_RSRC3_GFX90A:ACCUM_OFFSET: 0
; COMPUTE_PGM_RSRC3_GFX90A:TG_SPLIT: 0
	.section	.text._ZN7rocprim17ROCPRIM_400000_NS6detail17trampoline_kernelINS0_14default_configENS1_38merge_sort_block_merge_config_selectorIslEEZZNS1_27merge_sort_block_merge_implIS3_PsN6thrust23THRUST_200600_302600_NS10device_ptrIlEEjNS1_19radix_merge_compareILb0ELb1EsNS0_19identity_decomposerEEEEE10hipError_tT0_T1_T2_jT3_P12ihipStream_tbPNSt15iterator_traitsISG_E10value_typeEPNSM_ISH_E10value_typeEPSI_NS1_7vsmem_tEENKUlT_SG_SH_SI_E_clIS7_S7_SB_PlEESF_SV_SG_SH_SI_EUlSV_E1_NS1_11comp_targetILNS1_3genE9ELNS1_11target_archE1100ELNS1_3gpuE3ELNS1_3repE0EEENS1_36merge_oddeven_config_static_selectorELNS0_4arch9wavefront6targetE1EEEvSH_,"axG",@progbits,_ZN7rocprim17ROCPRIM_400000_NS6detail17trampoline_kernelINS0_14default_configENS1_38merge_sort_block_merge_config_selectorIslEEZZNS1_27merge_sort_block_merge_implIS3_PsN6thrust23THRUST_200600_302600_NS10device_ptrIlEEjNS1_19radix_merge_compareILb0ELb1EsNS0_19identity_decomposerEEEEE10hipError_tT0_T1_T2_jT3_P12ihipStream_tbPNSt15iterator_traitsISG_E10value_typeEPNSM_ISH_E10value_typeEPSI_NS1_7vsmem_tEENKUlT_SG_SH_SI_E_clIS7_S7_SB_PlEESF_SV_SG_SH_SI_EUlSV_E1_NS1_11comp_targetILNS1_3genE9ELNS1_11target_archE1100ELNS1_3gpuE3ELNS1_3repE0EEENS1_36merge_oddeven_config_static_selectorELNS0_4arch9wavefront6targetE1EEEvSH_,comdat
	.protected	_ZN7rocprim17ROCPRIM_400000_NS6detail17trampoline_kernelINS0_14default_configENS1_38merge_sort_block_merge_config_selectorIslEEZZNS1_27merge_sort_block_merge_implIS3_PsN6thrust23THRUST_200600_302600_NS10device_ptrIlEEjNS1_19radix_merge_compareILb0ELb1EsNS0_19identity_decomposerEEEEE10hipError_tT0_T1_T2_jT3_P12ihipStream_tbPNSt15iterator_traitsISG_E10value_typeEPNSM_ISH_E10value_typeEPSI_NS1_7vsmem_tEENKUlT_SG_SH_SI_E_clIS7_S7_SB_PlEESF_SV_SG_SH_SI_EUlSV_E1_NS1_11comp_targetILNS1_3genE9ELNS1_11target_archE1100ELNS1_3gpuE3ELNS1_3repE0EEENS1_36merge_oddeven_config_static_selectorELNS0_4arch9wavefront6targetE1EEEvSH_ ; -- Begin function _ZN7rocprim17ROCPRIM_400000_NS6detail17trampoline_kernelINS0_14default_configENS1_38merge_sort_block_merge_config_selectorIslEEZZNS1_27merge_sort_block_merge_implIS3_PsN6thrust23THRUST_200600_302600_NS10device_ptrIlEEjNS1_19radix_merge_compareILb0ELb1EsNS0_19identity_decomposerEEEEE10hipError_tT0_T1_T2_jT3_P12ihipStream_tbPNSt15iterator_traitsISG_E10value_typeEPNSM_ISH_E10value_typeEPSI_NS1_7vsmem_tEENKUlT_SG_SH_SI_E_clIS7_S7_SB_PlEESF_SV_SG_SH_SI_EUlSV_E1_NS1_11comp_targetILNS1_3genE9ELNS1_11target_archE1100ELNS1_3gpuE3ELNS1_3repE0EEENS1_36merge_oddeven_config_static_selectorELNS0_4arch9wavefront6targetE1EEEvSH_
	.globl	_ZN7rocprim17ROCPRIM_400000_NS6detail17trampoline_kernelINS0_14default_configENS1_38merge_sort_block_merge_config_selectorIslEEZZNS1_27merge_sort_block_merge_implIS3_PsN6thrust23THRUST_200600_302600_NS10device_ptrIlEEjNS1_19radix_merge_compareILb0ELb1EsNS0_19identity_decomposerEEEEE10hipError_tT0_T1_T2_jT3_P12ihipStream_tbPNSt15iterator_traitsISG_E10value_typeEPNSM_ISH_E10value_typeEPSI_NS1_7vsmem_tEENKUlT_SG_SH_SI_E_clIS7_S7_SB_PlEESF_SV_SG_SH_SI_EUlSV_E1_NS1_11comp_targetILNS1_3genE9ELNS1_11target_archE1100ELNS1_3gpuE3ELNS1_3repE0EEENS1_36merge_oddeven_config_static_selectorELNS0_4arch9wavefront6targetE1EEEvSH_
	.p2align	8
	.type	_ZN7rocprim17ROCPRIM_400000_NS6detail17trampoline_kernelINS0_14default_configENS1_38merge_sort_block_merge_config_selectorIslEEZZNS1_27merge_sort_block_merge_implIS3_PsN6thrust23THRUST_200600_302600_NS10device_ptrIlEEjNS1_19radix_merge_compareILb0ELb1EsNS0_19identity_decomposerEEEEE10hipError_tT0_T1_T2_jT3_P12ihipStream_tbPNSt15iterator_traitsISG_E10value_typeEPNSM_ISH_E10value_typeEPSI_NS1_7vsmem_tEENKUlT_SG_SH_SI_E_clIS7_S7_SB_PlEESF_SV_SG_SH_SI_EUlSV_E1_NS1_11comp_targetILNS1_3genE9ELNS1_11target_archE1100ELNS1_3gpuE3ELNS1_3repE0EEENS1_36merge_oddeven_config_static_selectorELNS0_4arch9wavefront6targetE1EEEvSH_,@function
_ZN7rocprim17ROCPRIM_400000_NS6detail17trampoline_kernelINS0_14default_configENS1_38merge_sort_block_merge_config_selectorIslEEZZNS1_27merge_sort_block_merge_implIS3_PsN6thrust23THRUST_200600_302600_NS10device_ptrIlEEjNS1_19radix_merge_compareILb0ELb1EsNS0_19identity_decomposerEEEEE10hipError_tT0_T1_T2_jT3_P12ihipStream_tbPNSt15iterator_traitsISG_E10value_typeEPNSM_ISH_E10value_typeEPSI_NS1_7vsmem_tEENKUlT_SG_SH_SI_E_clIS7_S7_SB_PlEESF_SV_SG_SH_SI_EUlSV_E1_NS1_11comp_targetILNS1_3genE9ELNS1_11target_archE1100ELNS1_3gpuE3ELNS1_3repE0EEENS1_36merge_oddeven_config_static_selectorELNS0_4arch9wavefront6targetE1EEEvSH_: ; @_ZN7rocprim17ROCPRIM_400000_NS6detail17trampoline_kernelINS0_14default_configENS1_38merge_sort_block_merge_config_selectorIslEEZZNS1_27merge_sort_block_merge_implIS3_PsN6thrust23THRUST_200600_302600_NS10device_ptrIlEEjNS1_19radix_merge_compareILb0ELb1EsNS0_19identity_decomposerEEEEE10hipError_tT0_T1_T2_jT3_P12ihipStream_tbPNSt15iterator_traitsISG_E10value_typeEPNSM_ISH_E10value_typeEPSI_NS1_7vsmem_tEENKUlT_SG_SH_SI_E_clIS7_S7_SB_PlEESF_SV_SG_SH_SI_EUlSV_E1_NS1_11comp_targetILNS1_3genE9ELNS1_11target_archE1100ELNS1_3gpuE3ELNS1_3repE0EEENS1_36merge_oddeven_config_static_selectorELNS0_4arch9wavefront6targetE1EEEvSH_
; %bb.0:
	.section	.rodata,"a",@progbits
	.p2align	6, 0x0
	.amdhsa_kernel _ZN7rocprim17ROCPRIM_400000_NS6detail17trampoline_kernelINS0_14default_configENS1_38merge_sort_block_merge_config_selectorIslEEZZNS1_27merge_sort_block_merge_implIS3_PsN6thrust23THRUST_200600_302600_NS10device_ptrIlEEjNS1_19radix_merge_compareILb0ELb1EsNS0_19identity_decomposerEEEEE10hipError_tT0_T1_T2_jT3_P12ihipStream_tbPNSt15iterator_traitsISG_E10value_typeEPNSM_ISH_E10value_typeEPSI_NS1_7vsmem_tEENKUlT_SG_SH_SI_E_clIS7_S7_SB_PlEESF_SV_SG_SH_SI_EUlSV_E1_NS1_11comp_targetILNS1_3genE9ELNS1_11target_archE1100ELNS1_3gpuE3ELNS1_3repE0EEENS1_36merge_oddeven_config_static_selectorELNS0_4arch9wavefront6targetE1EEEvSH_
		.amdhsa_group_segment_fixed_size 0
		.amdhsa_private_segment_fixed_size 0
		.amdhsa_kernarg_size 48
		.amdhsa_user_sgpr_count 6
		.amdhsa_user_sgpr_private_segment_buffer 1
		.amdhsa_user_sgpr_dispatch_ptr 0
		.amdhsa_user_sgpr_queue_ptr 0
		.amdhsa_user_sgpr_kernarg_segment_ptr 1
		.amdhsa_user_sgpr_dispatch_id 0
		.amdhsa_user_sgpr_flat_scratch_init 0
		.amdhsa_user_sgpr_kernarg_preload_length 0
		.amdhsa_user_sgpr_kernarg_preload_offset 0
		.amdhsa_user_sgpr_private_segment_size 0
		.amdhsa_uses_dynamic_stack 0
		.amdhsa_system_sgpr_private_segment_wavefront_offset 0
		.amdhsa_system_sgpr_workgroup_id_x 1
		.amdhsa_system_sgpr_workgroup_id_y 0
		.amdhsa_system_sgpr_workgroup_id_z 0
		.amdhsa_system_sgpr_workgroup_info 0
		.amdhsa_system_vgpr_workitem_id 0
		.amdhsa_next_free_vgpr 1
		.amdhsa_next_free_sgpr 0
		.amdhsa_accum_offset 4
		.amdhsa_reserve_vcc 0
		.amdhsa_reserve_flat_scratch 0
		.amdhsa_float_round_mode_32 0
		.amdhsa_float_round_mode_16_64 0
		.amdhsa_float_denorm_mode_32 3
		.amdhsa_float_denorm_mode_16_64 3
		.amdhsa_dx10_clamp 1
		.amdhsa_ieee_mode 1
		.amdhsa_fp16_overflow 0
		.amdhsa_tg_split 0
		.amdhsa_exception_fp_ieee_invalid_op 0
		.amdhsa_exception_fp_denorm_src 0
		.amdhsa_exception_fp_ieee_div_zero 0
		.amdhsa_exception_fp_ieee_overflow 0
		.amdhsa_exception_fp_ieee_underflow 0
		.amdhsa_exception_fp_ieee_inexact 0
		.amdhsa_exception_int_div_zero 0
	.end_amdhsa_kernel
	.section	.text._ZN7rocprim17ROCPRIM_400000_NS6detail17trampoline_kernelINS0_14default_configENS1_38merge_sort_block_merge_config_selectorIslEEZZNS1_27merge_sort_block_merge_implIS3_PsN6thrust23THRUST_200600_302600_NS10device_ptrIlEEjNS1_19radix_merge_compareILb0ELb1EsNS0_19identity_decomposerEEEEE10hipError_tT0_T1_T2_jT3_P12ihipStream_tbPNSt15iterator_traitsISG_E10value_typeEPNSM_ISH_E10value_typeEPSI_NS1_7vsmem_tEENKUlT_SG_SH_SI_E_clIS7_S7_SB_PlEESF_SV_SG_SH_SI_EUlSV_E1_NS1_11comp_targetILNS1_3genE9ELNS1_11target_archE1100ELNS1_3gpuE3ELNS1_3repE0EEENS1_36merge_oddeven_config_static_selectorELNS0_4arch9wavefront6targetE1EEEvSH_,"axG",@progbits,_ZN7rocprim17ROCPRIM_400000_NS6detail17trampoline_kernelINS0_14default_configENS1_38merge_sort_block_merge_config_selectorIslEEZZNS1_27merge_sort_block_merge_implIS3_PsN6thrust23THRUST_200600_302600_NS10device_ptrIlEEjNS1_19radix_merge_compareILb0ELb1EsNS0_19identity_decomposerEEEEE10hipError_tT0_T1_T2_jT3_P12ihipStream_tbPNSt15iterator_traitsISG_E10value_typeEPNSM_ISH_E10value_typeEPSI_NS1_7vsmem_tEENKUlT_SG_SH_SI_E_clIS7_S7_SB_PlEESF_SV_SG_SH_SI_EUlSV_E1_NS1_11comp_targetILNS1_3genE9ELNS1_11target_archE1100ELNS1_3gpuE3ELNS1_3repE0EEENS1_36merge_oddeven_config_static_selectorELNS0_4arch9wavefront6targetE1EEEvSH_,comdat
.Lfunc_end1378:
	.size	_ZN7rocprim17ROCPRIM_400000_NS6detail17trampoline_kernelINS0_14default_configENS1_38merge_sort_block_merge_config_selectorIslEEZZNS1_27merge_sort_block_merge_implIS3_PsN6thrust23THRUST_200600_302600_NS10device_ptrIlEEjNS1_19radix_merge_compareILb0ELb1EsNS0_19identity_decomposerEEEEE10hipError_tT0_T1_T2_jT3_P12ihipStream_tbPNSt15iterator_traitsISG_E10value_typeEPNSM_ISH_E10value_typeEPSI_NS1_7vsmem_tEENKUlT_SG_SH_SI_E_clIS7_S7_SB_PlEESF_SV_SG_SH_SI_EUlSV_E1_NS1_11comp_targetILNS1_3genE9ELNS1_11target_archE1100ELNS1_3gpuE3ELNS1_3repE0EEENS1_36merge_oddeven_config_static_selectorELNS0_4arch9wavefront6targetE1EEEvSH_, .Lfunc_end1378-_ZN7rocprim17ROCPRIM_400000_NS6detail17trampoline_kernelINS0_14default_configENS1_38merge_sort_block_merge_config_selectorIslEEZZNS1_27merge_sort_block_merge_implIS3_PsN6thrust23THRUST_200600_302600_NS10device_ptrIlEEjNS1_19radix_merge_compareILb0ELb1EsNS0_19identity_decomposerEEEEE10hipError_tT0_T1_T2_jT3_P12ihipStream_tbPNSt15iterator_traitsISG_E10value_typeEPNSM_ISH_E10value_typeEPSI_NS1_7vsmem_tEENKUlT_SG_SH_SI_E_clIS7_S7_SB_PlEESF_SV_SG_SH_SI_EUlSV_E1_NS1_11comp_targetILNS1_3genE9ELNS1_11target_archE1100ELNS1_3gpuE3ELNS1_3repE0EEENS1_36merge_oddeven_config_static_selectorELNS0_4arch9wavefront6targetE1EEEvSH_
                                        ; -- End function
	.section	.AMDGPU.csdata,"",@progbits
; Kernel info:
; codeLenInByte = 0
; NumSgprs: 4
; NumVgprs: 0
; NumAgprs: 0
; TotalNumVgprs: 0
; ScratchSize: 0
; MemoryBound: 0
; FloatMode: 240
; IeeeMode: 1
; LDSByteSize: 0 bytes/workgroup (compile time only)
; SGPRBlocks: 0
; VGPRBlocks: 0
; NumSGPRsForWavesPerEU: 4
; NumVGPRsForWavesPerEU: 1
; AccumOffset: 4
; Occupancy: 8
; WaveLimiterHint : 0
; COMPUTE_PGM_RSRC2:SCRATCH_EN: 0
; COMPUTE_PGM_RSRC2:USER_SGPR: 6
; COMPUTE_PGM_RSRC2:TRAP_HANDLER: 0
; COMPUTE_PGM_RSRC2:TGID_X_EN: 1
; COMPUTE_PGM_RSRC2:TGID_Y_EN: 0
; COMPUTE_PGM_RSRC2:TGID_Z_EN: 0
; COMPUTE_PGM_RSRC2:TIDIG_COMP_CNT: 0
; COMPUTE_PGM_RSRC3_GFX90A:ACCUM_OFFSET: 0
; COMPUTE_PGM_RSRC3_GFX90A:TG_SPLIT: 0
	.section	.text._ZN7rocprim17ROCPRIM_400000_NS6detail17trampoline_kernelINS0_14default_configENS1_38merge_sort_block_merge_config_selectorIslEEZZNS1_27merge_sort_block_merge_implIS3_PsN6thrust23THRUST_200600_302600_NS10device_ptrIlEEjNS1_19radix_merge_compareILb0ELb1EsNS0_19identity_decomposerEEEEE10hipError_tT0_T1_T2_jT3_P12ihipStream_tbPNSt15iterator_traitsISG_E10value_typeEPNSM_ISH_E10value_typeEPSI_NS1_7vsmem_tEENKUlT_SG_SH_SI_E_clIS7_S7_SB_PlEESF_SV_SG_SH_SI_EUlSV_E1_NS1_11comp_targetILNS1_3genE8ELNS1_11target_archE1030ELNS1_3gpuE2ELNS1_3repE0EEENS1_36merge_oddeven_config_static_selectorELNS0_4arch9wavefront6targetE1EEEvSH_,"axG",@progbits,_ZN7rocprim17ROCPRIM_400000_NS6detail17trampoline_kernelINS0_14default_configENS1_38merge_sort_block_merge_config_selectorIslEEZZNS1_27merge_sort_block_merge_implIS3_PsN6thrust23THRUST_200600_302600_NS10device_ptrIlEEjNS1_19radix_merge_compareILb0ELb1EsNS0_19identity_decomposerEEEEE10hipError_tT0_T1_T2_jT3_P12ihipStream_tbPNSt15iterator_traitsISG_E10value_typeEPNSM_ISH_E10value_typeEPSI_NS1_7vsmem_tEENKUlT_SG_SH_SI_E_clIS7_S7_SB_PlEESF_SV_SG_SH_SI_EUlSV_E1_NS1_11comp_targetILNS1_3genE8ELNS1_11target_archE1030ELNS1_3gpuE2ELNS1_3repE0EEENS1_36merge_oddeven_config_static_selectorELNS0_4arch9wavefront6targetE1EEEvSH_,comdat
	.protected	_ZN7rocprim17ROCPRIM_400000_NS6detail17trampoline_kernelINS0_14default_configENS1_38merge_sort_block_merge_config_selectorIslEEZZNS1_27merge_sort_block_merge_implIS3_PsN6thrust23THRUST_200600_302600_NS10device_ptrIlEEjNS1_19radix_merge_compareILb0ELb1EsNS0_19identity_decomposerEEEEE10hipError_tT0_T1_T2_jT3_P12ihipStream_tbPNSt15iterator_traitsISG_E10value_typeEPNSM_ISH_E10value_typeEPSI_NS1_7vsmem_tEENKUlT_SG_SH_SI_E_clIS7_S7_SB_PlEESF_SV_SG_SH_SI_EUlSV_E1_NS1_11comp_targetILNS1_3genE8ELNS1_11target_archE1030ELNS1_3gpuE2ELNS1_3repE0EEENS1_36merge_oddeven_config_static_selectorELNS0_4arch9wavefront6targetE1EEEvSH_ ; -- Begin function _ZN7rocprim17ROCPRIM_400000_NS6detail17trampoline_kernelINS0_14default_configENS1_38merge_sort_block_merge_config_selectorIslEEZZNS1_27merge_sort_block_merge_implIS3_PsN6thrust23THRUST_200600_302600_NS10device_ptrIlEEjNS1_19radix_merge_compareILb0ELb1EsNS0_19identity_decomposerEEEEE10hipError_tT0_T1_T2_jT3_P12ihipStream_tbPNSt15iterator_traitsISG_E10value_typeEPNSM_ISH_E10value_typeEPSI_NS1_7vsmem_tEENKUlT_SG_SH_SI_E_clIS7_S7_SB_PlEESF_SV_SG_SH_SI_EUlSV_E1_NS1_11comp_targetILNS1_3genE8ELNS1_11target_archE1030ELNS1_3gpuE2ELNS1_3repE0EEENS1_36merge_oddeven_config_static_selectorELNS0_4arch9wavefront6targetE1EEEvSH_
	.globl	_ZN7rocprim17ROCPRIM_400000_NS6detail17trampoline_kernelINS0_14default_configENS1_38merge_sort_block_merge_config_selectorIslEEZZNS1_27merge_sort_block_merge_implIS3_PsN6thrust23THRUST_200600_302600_NS10device_ptrIlEEjNS1_19radix_merge_compareILb0ELb1EsNS0_19identity_decomposerEEEEE10hipError_tT0_T1_T2_jT3_P12ihipStream_tbPNSt15iterator_traitsISG_E10value_typeEPNSM_ISH_E10value_typeEPSI_NS1_7vsmem_tEENKUlT_SG_SH_SI_E_clIS7_S7_SB_PlEESF_SV_SG_SH_SI_EUlSV_E1_NS1_11comp_targetILNS1_3genE8ELNS1_11target_archE1030ELNS1_3gpuE2ELNS1_3repE0EEENS1_36merge_oddeven_config_static_selectorELNS0_4arch9wavefront6targetE1EEEvSH_
	.p2align	8
	.type	_ZN7rocprim17ROCPRIM_400000_NS6detail17trampoline_kernelINS0_14default_configENS1_38merge_sort_block_merge_config_selectorIslEEZZNS1_27merge_sort_block_merge_implIS3_PsN6thrust23THRUST_200600_302600_NS10device_ptrIlEEjNS1_19radix_merge_compareILb0ELb1EsNS0_19identity_decomposerEEEEE10hipError_tT0_T1_T2_jT3_P12ihipStream_tbPNSt15iterator_traitsISG_E10value_typeEPNSM_ISH_E10value_typeEPSI_NS1_7vsmem_tEENKUlT_SG_SH_SI_E_clIS7_S7_SB_PlEESF_SV_SG_SH_SI_EUlSV_E1_NS1_11comp_targetILNS1_3genE8ELNS1_11target_archE1030ELNS1_3gpuE2ELNS1_3repE0EEENS1_36merge_oddeven_config_static_selectorELNS0_4arch9wavefront6targetE1EEEvSH_,@function
_ZN7rocprim17ROCPRIM_400000_NS6detail17trampoline_kernelINS0_14default_configENS1_38merge_sort_block_merge_config_selectorIslEEZZNS1_27merge_sort_block_merge_implIS3_PsN6thrust23THRUST_200600_302600_NS10device_ptrIlEEjNS1_19radix_merge_compareILb0ELb1EsNS0_19identity_decomposerEEEEE10hipError_tT0_T1_T2_jT3_P12ihipStream_tbPNSt15iterator_traitsISG_E10value_typeEPNSM_ISH_E10value_typeEPSI_NS1_7vsmem_tEENKUlT_SG_SH_SI_E_clIS7_S7_SB_PlEESF_SV_SG_SH_SI_EUlSV_E1_NS1_11comp_targetILNS1_3genE8ELNS1_11target_archE1030ELNS1_3gpuE2ELNS1_3repE0EEENS1_36merge_oddeven_config_static_selectorELNS0_4arch9wavefront6targetE1EEEvSH_: ; @_ZN7rocprim17ROCPRIM_400000_NS6detail17trampoline_kernelINS0_14default_configENS1_38merge_sort_block_merge_config_selectorIslEEZZNS1_27merge_sort_block_merge_implIS3_PsN6thrust23THRUST_200600_302600_NS10device_ptrIlEEjNS1_19radix_merge_compareILb0ELb1EsNS0_19identity_decomposerEEEEE10hipError_tT0_T1_T2_jT3_P12ihipStream_tbPNSt15iterator_traitsISG_E10value_typeEPNSM_ISH_E10value_typeEPSI_NS1_7vsmem_tEENKUlT_SG_SH_SI_E_clIS7_S7_SB_PlEESF_SV_SG_SH_SI_EUlSV_E1_NS1_11comp_targetILNS1_3genE8ELNS1_11target_archE1030ELNS1_3gpuE2ELNS1_3repE0EEENS1_36merge_oddeven_config_static_selectorELNS0_4arch9wavefront6targetE1EEEvSH_
; %bb.0:
	.section	.rodata,"a",@progbits
	.p2align	6, 0x0
	.amdhsa_kernel _ZN7rocprim17ROCPRIM_400000_NS6detail17trampoline_kernelINS0_14default_configENS1_38merge_sort_block_merge_config_selectorIslEEZZNS1_27merge_sort_block_merge_implIS3_PsN6thrust23THRUST_200600_302600_NS10device_ptrIlEEjNS1_19radix_merge_compareILb0ELb1EsNS0_19identity_decomposerEEEEE10hipError_tT0_T1_T2_jT3_P12ihipStream_tbPNSt15iterator_traitsISG_E10value_typeEPNSM_ISH_E10value_typeEPSI_NS1_7vsmem_tEENKUlT_SG_SH_SI_E_clIS7_S7_SB_PlEESF_SV_SG_SH_SI_EUlSV_E1_NS1_11comp_targetILNS1_3genE8ELNS1_11target_archE1030ELNS1_3gpuE2ELNS1_3repE0EEENS1_36merge_oddeven_config_static_selectorELNS0_4arch9wavefront6targetE1EEEvSH_
		.amdhsa_group_segment_fixed_size 0
		.amdhsa_private_segment_fixed_size 0
		.amdhsa_kernarg_size 48
		.amdhsa_user_sgpr_count 6
		.amdhsa_user_sgpr_private_segment_buffer 1
		.amdhsa_user_sgpr_dispatch_ptr 0
		.amdhsa_user_sgpr_queue_ptr 0
		.amdhsa_user_sgpr_kernarg_segment_ptr 1
		.amdhsa_user_sgpr_dispatch_id 0
		.amdhsa_user_sgpr_flat_scratch_init 0
		.amdhsa_user_sgpr_kernarg_preload_length 0
		.amdhsa_user_sgpr_kernarg_preload_offset 0
		.amdhsa_user_sgpr_private_segment_size 0
		.amdhsa_uses_dynamic_stack 0
		.amdhsa_system_sgpr_private_segment_wavefront_offset 0
		.amdhsa_system_sgpr_workgroup_id_x 1
		.amdhsa_system_sgpr_workgroup_id_y 0
		.amdhsa_system_sgpr_workgroup_id_z 0
		.amdhsa_system_sgpr_workgroup_info 0
		.amdhsa_system_vgpr_workitem_id 0
		.amdhsa_next_free_vgpr 1
		.amdhsa_next_free_sgpr 0
		.amdhsa_accum_offset 4
		.amdhsa_reserve_vcc 0
		.amdhsa_reserve_flat_scratch 0
		.amdhsa_float_round_mode_32 0
		.amdhsa_float_round_mode_16_64 0
		.amdhsa_float_denorm_mode_32 3
		.amdhsa_float_denorm_mode_16_64 3
		.amdhsa_dx10_clamp 1
		.amdhsa_ieee_mode 1
		.amdhsa_fp16_overflow 0
		.amdhsa_tg_split 0
		.amdhsa_exception_fp_ieee_invalid_op 0
		.amdhsa_exception_fp_denorm_src 0
		.amdhsa_exception_fp_ieee_div_zero 0
		.amdhsa_exception_fp_ieee_overflow 0
		.amdhsa_exception_fp_ieee_underflow 0
		.amdhsa_exception_fp_ieee_inexact 0
		.amdhsa_exception_int_div_zero 0
	.end_amdhsa_kernel
	.section	.text._ZN7rocprim17ROCPRIM_400000_NS6detail17trampoline_kernelINS0_14default_configENS1_38merge_sort_block_merge_config_selectorIslEEZZNS1_27merge_sort_block_merge_implIS3_PsN6thrust23THRUST_200600_302600_NS10device_ptrIlEEjNS1_19radix_merge_compareILb0ELb1EsNS0_19identity_decomposerEEEEE10hipError_tT0_T1_T2_jT3_P12ihipStream_tbPNSt15iterator_traitsISG_E10value_typeEPNSM_ISH_E10value_typeEPSI_NS1_7vsmem_tEENKUlT_SG_SH_SI_E_clIS7_S7_SB_PlEESF_SV_SG_SH_SI_EUlSV_E1_NS1_11comp_targetILNS1_3genE8ELNS1_11target_archE1030ELNS1_3gpuE2ELNS1_3repE0EEENS1_36merge_oddeven_config_static_selectorELNS0_4arch9wavefront6targetE1EEEvSH_,"axG",@progbits,_ZN7rocprim17ROCPRIM_400000_NS6detail17trampoline_kernelINS0_14default_configENS1_38merge_sort_block_merge_config_selectorIslEEZZNS1_27merge_sort_block_merge_implIS3_PsN6thrust23THRUST_200600_302600_NS10device_ptrIlEEjNS1_19radix_merge_compareILb0ELb1EsNS0_19identity_decomposerEEEEE10hipError_tT0_T1_T2_jT3_P12ihipStream_tbPNSt15iterator_traitsISG_E10value_typeEPNSM_ISH_E10value_typeEPSI_NS1_7vsmem_tEENKUlT_SG_SH_SI_E_clIS7_S7_SB_PlEESF_SV_SG_SH_SI_EUlSV_E1_NS1_11comp_targetILNS1_3genE8ELNS1_11target_archE1030ELNS1_3gpuE2ELNS1_3repE0EEENS1_36merge_oddeven_config_static_selectorELNS0_4arch9wavefront6targetE1EEEvSH_,comdat
.Lfunc_end1379:
	.size	_ZN7rocprim17ROCPRIM_400000_NS6detail17trampoline_kernelINS0_14default_configENS1_38merge_sort_block_merge_config_selectorIslEEZZNS1_27merge_sort_block_merge_implIS3_PsN6thrust23THRUST_200600_302600_NS10device_ptrIlEEjNS1_19radix_merge_compareILb0ELb1EsNS0_19identity_decomposerEEEEE10hipError_tT0_T1_T2_jT3_P12ihipStream_tbPNSt15iterator_traitsISG_E10value_typeEPNSM_ISH_E10value_typeEPSI_NS1_7vsmem_tEENKUlT_SG_SH_SI_E_clIS7_S7_SB_PlEESF_SV_SG_SH_SI_EUlSV_E1_NS1_11comp_targetILNS1_3genE8ELNS1_11target_archE1030ELNS1_3gpuE2ELNS1_3repE0EEENS1_36merge_oddeven_config_static_selectorELNS0_4arch9wavefront6targetE1EEEvSH_, .Lfunc_end1379-_ZN7rocprim17ROCPRIM_400000_NS6detail17trampoline_kernelINS0_14default_configENS1_38merge_sort_block_merge_config_selectorIslEEZZNS1_27merge_sort_block_merge_implIS3_PsN6thrust23THRUST_200600_302600_NS10device_ptrIlEEjNS1_19radix_merge_compareILb0ELb1EsNS0_19identity_decomposerEEEEE10hipError_tT0_T1_T2_jT3_P12ihipStream_tbPNSt15iterator_traitsISG_E10value_typeEPNSM_ISH_E10value_typeEPSI_NS1_7vsmem_tEENKUlT_SG_SH_SI_E_clIS7_S7_SB_PlEESF_SV_SG_SH_SI_EUlSV_E1_NS1_11comp_targetILNS1_3genE8ELNS1_11target_archE1030ELNS1_3gpuE2ELNS1_3repE0EEENS1_36merge_oddeven_config_static_selectorELNS0_4arch9wavefront6targetE1EEEvSH_
                                        ; -- End function
	.section	.AMDGPU.csdata,"",@progbits
; Kernel info:
; codeLenInByte = 0
; NumSgprs: 4
; NumVgprs: 0
; NumAgprs: 0
; TotalNumVgprs: 0
; ScratchSize: 0
; MemoryBound: 0
; FloatMode: 240
; IeeeMode: 1
; LDSByteSize: 0 bytes/workgroup (compile time only)
; SGPRBlocks: 0
; VGPRBlocks: 0
; NumSGPRsForWavesPerEU: 4
; NumVGPRsForWavesPerEU: 1
; AccumOffset: 4
; Occupancy: 8
; WaveLimiterHint : 0
; COMPUTE_PGM_RSRC2:SCRATCH_EN: 0
; COMPUTE_PGM_RSRC2:USER_SGPR: 6
; COMPUTE_PGM_RSRC2:TRAP_HANDLER: 0
; COMPUTE_PGM_RSRC2:TGID_X_EN: 1
; COMPUTE_PGM_RSRC2:TGID_Y_EN: 0
; COMPUTE_PGM_RSRC2:TGID_Z_EN: 0
; COMPUTE_PGM_RSRC2:TIDIG_COMP_CNT: 0
; COMPUTE_PGM_RSRC3_GFX90A:ACCUM_OFFSET: 0
; COMPUTE_PGM_RSRC3_GFX90A:TG_SPLIT: 0
	.section	.text._ZN7rocprim17ROCPRIM_400000_NS6detail17trampoline_kernelINS0_14default_configENS1_35radix_sort_onesweep_config_selectorIslEEZNS1_34radix_sort_onesweep_global_offsetsIS3_Lb0EPsN6thrust23THRUST_200600_302600_NS10device_ptrIlEEjNS0_19identity_decomposerEEE10hipError_tT1_T2_PT3_SG_jT4_jjP12ihipStream_tbEUlT_E_NS1_11comp_targetILNS1_3genE0ELNS1_11target_archE4294967295ELNS1_3gpuE0ELNS1_3repE0EEENS1_52radix_sort_onesweep_histogram_config_static_selectorELNS0_4arch9wavefront6targetE1EEEvSE_,"axG",@progbits,_ZN7rocprim17ROCPRIM_400000_NS6detail17trampoline_kernelINS0_14default_configENS1_35radix_sort_onesweep_config_selectorIslEEZNS1_34radix_sort_onesweep_global_offsetsIS3_Lb0EPsN6thrust23THRUST_200600_302600_NS10device_ptrIlEEjNS0_19identity_decomposerEEE10hipError_tT1_T2_PT3_SG_jT4_jjP12ihipStream_tbEUlT_E_NS1_11comp_targetILNS1_3genE0ELNS1_11target_archE4294967295ELNS1_3gpuE0ELNS1_3repE0EEENS1_52radix_sort_onesweep_histogram_config_static_selectorELNS0_4arch9wavefront6targetE1EEEvSE_,comdat
	.protected	_ZN7rocprim17ROCPRIM_400000_NS6detail17trampoline_kernelINS0_14default_configENS1_35radix_sort_onesweep_config_selectorIslEEZNS1_34radix_sort_onesweep_global_offsetsIS3_Lb0EPsN6thrust23THRUST_200600_302600_NS10device_ptrIlEEjNS0_19identity_decomposerEEE10hipError_tT1_T2_PT3_SG_jT4_jjP12ihipStream_tbEUlT_E_NS1_11comp_targetILNS1_3genE0ELNS1_11target_archE4294967295ELNS1_3gpuE0ELNS1_3repE0EEENS1_52radix_sort_onesweep_histogram_config_static_selectorELNS0_4arch9wavefront6targetE1EEEvSE_ ; -- Begin function _ZN7rocprim17ROCPRIM_400000_NS6detail17trampoline_kernelINS0_14default_configENS1_35radix_sort_onesweep_config_selectorIslEEZNS1_34radix_sort_onesweep_global_offsetsIS3_Lb0EPsN6thrust23THRUST_200600_302600_NS10device_ptrIlEEjNS0_19identity_decomposerEEE10hipError_tT1_T2_PT3_SG_jT4_jjP12ihipStream_tbEUlT_E_NS1_11comp_targetILNS1_3genE0ELNS1_11target_archE4294967295ELNS1_3gpuE0ELNS1_3repE0EEENS1_52radix_sort_onesweep_histogram_config_static_selectorELNS0_4arch9wavefront6targetE1EEEvSE_
	.globl	_ZN7rocprim17ROCPRIM_400000_NS6detail17trampoline_kernelINS0_14default_configENS1_35radix_sort_onesweep_config_selectorIslEEZNS1_34radix_sort_onesweep_global_offsetsIS3_Lb0EPsN6thrust23THRUST_200600_302600_NS10device_ptrIlEEjNS0_19identity_decomposerEEE10hipError_tT1_T2_PT3_SG_jT4_jjP12ihipStream_tbEUlT_E_NS1_11comp_targetILNS1_3genE0ELNS1_11target_archE4294967295ELNS1_3gpuE0ELNS1_3repE0EEENS1_52radix_sort_onesweep_histogram_config_static_selectorELNS0_4arch9wavefront6targetE1EEEvSE_
	.p2align	8
	.type	_ZN7rocprim17ROCPRIM_400000_NS6detail17trampoline_kernelINS0_14default_configENS1_35radix_sort_onesweep_config_selectorIslEEZNS1_34radix_sort_onesweep_global_offsetsIS3_Lb0EPsN6thrust23THRUST_200600_302600_NS10device_ptrIlEEjNS0_19identity_decomposerEEE10hipError_tT1_T2_PT3_SG_jT4_jjP12ihipStream_tbEUlT_E_NS1_11comp_targetILNS1_3genE0ELNS1_11target_archE4294967295ELNS1_3gpuE0ELNS1_3repE0EEENS1_52radix_sort_onesweep_histogram_config_static_selectorELNS0_4arch9wavefront6targetE1EEEvSE_,@function
_ZN7rocprim17ROCPRIM_400000_NS6detail17trampoline_kernelINS0_14default_configENS1_35radix_sort_onesweep_config_selectorIslEEZNS1_34radix_sort_onesweep_global_offsetsIS3_Lb0EPsN6thrust23THRUST_200600_302600_NS10device_ptrIlEEjNS0_19identity_decomposerEEE10hipError_tT1_T2_PT3_SG_jT4_jjP12ihipStream_tbEUlT_E_NS1_11comp_targetILNS1_3genE0ELNS1_11target_archE4294967295ELNS1_3gpuE0ELNS1_3repE0EEENS1_52radix_sort_onesweep_histogram_config_static_selectorELNS0_4arch9wavefront6targetE1EEEvSE_: ; @_ZN7rocprim17ROCPRIM_400000_NS6detail17trampoline_kernelINS0_14default_configENS1_35radix_sort_onesweep_config_selectorIslEEZNS1_34radix_sort_onesweep_global_offsetsIS3_Lb0EPsN6thrust23THRUST_200600_302600_NS10device_ptrIlEEjNS0_19identity_decomposerEEE10hipError_tT1_T2_PT3_SG_jT4_jjP12ihipStream_tbEUlT_E_NS1_11comp_targetILNS1_3genE0ELNS1_11target_archE4294967295ELNS1_3gpuE0ELNS1_3repE0EEENS1_52radix_sort_onesweep_histogram_config_static_selectorELNS0_4arch9wavefront6targetE1EEEvSE_
; %bb.0:
	.section	.rodata,"a",@progbits
	.p2align	6, 0x0
	.amdhsa_kernel _ZN7rocprim17ROCPRIM_400000_NS6detail17trampoline_kernelINS0_14default_configENS1_35radix_sort_onesweep_config_selectorIslEEZNS1_34radix_sort_onesweep_global_offsetsIS3_Lb0EPsN6thrust23THRUST_200600_302600_NS10device_ptrIlEEjNS0_19identity_decomposerEEE10hipError_tT1_T2_PT3_SG_jT4_jjP12ihipStream_tbEUlT_E_NS1_11comp_targetILNS1_3genE0ELNS1_11target_archE4294967295ELNS1_3gpuE0ELNS1_3repE0EEENS1_52radix_sort_onesweep_histogram_config_static_selectorELNS0_4arch9wavefront6targetE1EEEvSE_
		.amdhsa_group_segment_fixed_size 0
		.amdhsa_private_segment_fixed_size 0
		.amdhsa_kernarg_size 40
		.amdhsa_user_sgpr_count 6
		.amdhsa_user_sgpr_private_segment_buffer 1
		.amdhsa_user_sgpr_dispatch_ptr 0
		.amdhsa_user_sgpr_queue_ptr 0
		.amdhsa_user_sgpr_kernarg_segment_ptr 1
		.amdhsa_user_sgpr_dispatch_id 0
		.amdhsa_user_sgpr_flat_scratch_init 0
		.amdhsa_user_sgpr_kernarg_preload_length 0
		.amdhsa_user_sgpr_kernarg_preload_offset 0
		.amdhsa_user_sgpr_private_segment_size 0
		.amdhsa_uses_dynamic_stack 0
		.amdhsa_system_sgpr_private_segment_wavefront_offset 0
		.amdhsa_system_sgpr_workgroup_id_x 1
		.amdhsa_system_sgpr_workgroup_id_y 0
		.amdhsa_system_sgpr_workgroup_id_z 0
		.amdhsa_system_sgpr_workgroup_info 0
		.amdhsa_system_vgpr_workitem_id 0
		.amdhsa_next_free_vgpr 1
		.amdhsa_next_free_sgpr 0
		.amdhsa_accum_offset 4
		.amdhsa_reserve_vcc 0
		.amdhsa_reserve_flat_scratch 0
		.amdhsa_float_round_mode_32 0
		.amdhsa_float_round_mode_16_64 0
		.amdhsa_float_denorm_mode_32 3
		.amdhsa_float_denorm_mode_16_64 3
		.amdhsa_dx10_clamp 1
		.amdhsa_ieee_mode 1
		.amdhsa_fp16_overflow 0
		.amdhsa_tg_split 0
		.amdhsa_exception_fp_ieee_invalid_op 0
		.amdhsa_exception_fp_denorm_src 0
		.amdhsa_exception_fp_ieee_div_zero 0
		.amdhsa_exception_fp_ieee_overflow 0
		.amdhsa_exception_fp_ieee_underflow 0
		.amdhsa_exception_fp_ieee_inexact 0
		.amdhsa_exception_int_div_zero 0
	.end_amdhsa_kernel
	.section	.text._ZN7rocprim17ROCPRIM_400000_NS6detail17trampoline_kernelINS0_14default_configENS1_35radix_sort_onesweep_config_selectorIslEEZNS1_34radix_sort_onesweep_global_offsetsIS3_Lb0EPsN6thrust23THRUST_200600_302600_NS10device_ptrIlEEjNS0_19identity_decomposerEEE10hipError_tT1_T2_PT3_SG_jT4_jjP12ihipStream_tbEUlT_E_NS1_11comp_targetILNS1_3genE0ELNS1_11target_archE4294967295ELNS1_3gpuE0ELNS1_3repE0EEENS1_52radix_sort_onesweep_histogram_config_static_selectorELNS0_4arch9wavefront6targetE1EEEvSE_,"axG",@progbits,_ZN7rocprim17ROCPRIM_400000_NS6detail17trampoline_kernelINS0_14default_configENS1_35radix_sort_onesweep_config_selectorIslEEZNS1_34radix_sort_onesweep_global_offsetsIS3_Lb0EPsN6thrust23THRUST_200600_302600_NS10device_ptrIlEEjNS0_19identity_decomposerEEE10hipError_tT1_T2_PT3_SG_jT4_jjP12ihipStream_tbEUlT_E_NS1_11comp_targetILNS1_3genE0ELNS1_11target_archE4294967295ELNS1_3gpuE0ELNS1_3repE0EEENS1_52radix_sort_onesweep_histogram_config_static_selectorELNS0_4arch9wavefront6targetE1EEEvSE_,comdat
.Lfunc_end1380:
	.size	_ZN7rocprim17ROCPRIM_400000_NS6detail17trampoline_kernelINS0_14default_configENS1_35radix_sort_onesweep_config_selectorIslEEZNS1_34radix_sort_onesweep_global_offsetsIS3_Lb0EPsN6thrust23THRUST_200600_302600_NS10device_ptrIlEEjNS0_19identity_decomposerEEE10hipError_tT1_T2_PT3_SG_jT4_jjP12ihipStream_tbEUlT_E_NS1_11comp_targetILNS1_3genE0ELNS1_11target_archE4294967295ELNS1_3gpuE0ELNS1_3repE0EEENS1_52radix_sort_onesweep_histogram_config_static_selectorELNS0_4arch9wavefront6targetE1EEEvSE_, .Lfunc_end1380-_ZN7rocprim17ROCPRIM_400000_NS6detail17trampoline_kernelINS0_14default_configENS1_35radix_sort_onesweep_config_selectorIslEEZNS1_34radix_sort_onesweep_global_offsetsIS3_Lb0EPsN6thrust23THRUST_200600_302600_NS10device_ptrIlEEjNS0_19identity_decomposerEEE10hipError_tT1_T2_PT3_SG_jT4_jjP12ihipStream_tbEUlT_E_NS1_11comp_targetILNS1_3genE0ELNS1_11target_archE4294967295ELNS1_3gpuE0ELNS1_3repE0EEENS1_52radix_sort_onesweep_histogram_config_static_selectorELNS0_4arch9wavefront6targetE1EEEvSE_
                                        ; -- End function
	.section	.AMDGPU.csdata,"",@progbits
; Kernel info:
; codeLenInByte = 0
; NumSgprs: 4
; NumVgprs: 0
; NumAgprs: 0
; TotalNumVgprs: 0
; ScratchSize: 0
; MemoryBound: 0
; FloatMode: 240
; IeeeMode: 1
; LDSByteSize: 0 bytes/workgroup (compile time only)
; SGPRBlocks: 0
; VGPRBlocks: 0
; NumSGPRsForWavesPerEU: 4
; NumVGPRsForWavesPerEU: 1
; AccumOffset: 4
; Occupancy: 8
; WaveLimiterHint : 0
; COMPUTE_PGM_RSRC2:SCRATCH_EN: 0
; COMPUTE_PGM_RSRC2:USER_SGPR: 6
; COMPUTE_PGM_RSRC2:TRAP_HANDLER: 0
; COMPUTE_PGM_RSRC2:TGID_X_EN: 1
; COMPUTE_PGM_RSRC2:TGID_Y_EN: 0
; COMPUTE_PGM_RSRC2:TGID_Z_EN: 0
; COMPUTE_PGM_RSRC2:TIDIG_COMP_CNT: 0
; COMPUTE_PGM_RSRC3_GFX90A:ACCUM_OFFSET: 0
; COMPUTE_PGM_RSRC3_GFX90A:TG_SPLIT: 0
	.section	.text._ZN7rocprim17ROCPRIM_400000_NS6detail17trampoline_kernelINS0_14default_configENS1_35radix_sort_onesweep_config_selectorIslEEZNS1_34radix_sort_onesweep_global_offsetsIS3_Lb0EPsN6thrust23THRUST_200600_302600_NS10device_ptrIlEEjNS0_19identity_decomposerEEE10hipError_tT1_T2_PT3_SG_jT4_jjP12ihipStream_tbEUlT_E_NS1_11comp_targetILNS1_3genE6ELNS1_11target_archE950ELNS1_3gpuE13ELNS1_3repE0EEENS1_52radix_sort_onesweep_histogram_config_static_selectorELNS0_4arch9wavefront6targetE1EEEvSE_,"axG",@progbits,_ZN7rocprim17ROCPRIM_400000_NS6detail17trampoline_kernelINS0_14default_configENS1_35radix_sort_onesweep_config_selectorIslEEZNS1_34radix_sort_onesweep_global_offsetsIS3_Lb0EPsN6thrust23THRUST_200600_302600_NS10device_ptrIlEEjNS0_19identity_decomposerEEE10hipError_tT1_T2_PT3_SG_jT4_jjP12ihipStream_tbEUlT_E_NS1_11comp_targetILNS1_3genE6ELNS1_11target_archE950ELNS1_3gpuE13ELNS1_3repE0EEENS1_52radix_sort_onesweep_histogram_config_static_selectorELNS0_4arch9wavefront6targetE1EEEvSE_,comdat
	.protected	_ZN7rocprim17ROCPRIM_400000_NS6detail17trampoline_kernelINS0_14default_configENS1_35radix_sort_onesweep_config_selectorIslEEZNS1_34radix_sort_onesweep_global_offsetsIS3_Lb0EPsN6thrust23THRUST_200600_302600_NS10device_ptrIlEEjNS0_19identity_decomposerEEE10hipError_tT1_T2_PT3_SG_jT4_jjP12ihipStream_tbEUlT_E_NS1_11comp_targetILNS1_3genE6ELNS1_11target_archE950ELNS1_3gpuE13ELNS1_3repE0EEENS1_52radix_sort_onesweep_histogram_config_static_selectorELNS0_4arch9wavefront6targetE1EEEvSE_ ; -- Begin function _ZN7rocprim17ROCPRIM_400000_NS6detail17trampoline_kernelINS0_14default_configENS1_35radix_sort_onesweep_config_selectorIslEEZNS1_34radix_sort_onesweep_global_offsetsIS3_Lb0EPsN6thrust23THRUST_200600_302600_NS10device_ptrIlEEjNS0_19identity_decomposerEEE10hipError_tT1_T2_PT3_SG_jT4_jjP12ihipStream_tbEUlT_E_NS1_11comp_targetILNS1_3genE6ELNS1_11target_archE950ELNS1_3gpuE13ELNS1_3repE0EEENS1_52radix_sort_onesweep_histogram_config_static_selectorELNS0_4arch9wavefront6targetE1EEEvSE_
	.globl	_ZN7rocprim17ROCPRIM_400000_NS6detail17trampoline_kernelINS0_14default_configENS1_35radix_sort_onesweep_config_selectorIslEEZNS1_34radix_sort_onesweep_global_offsetsIS3_Lb0EPsN6thrust23THRUST_200600_302600_NS10device_ptrIlEEjNS0_19identity_decomposerEEE10hipError_tT1_T2_PT3_SG_jT4_jjP12ihipStream_tbEUlT_E_NS1_11comp_targetILNS1_3genE6ELNS1_11target_archE950ELNS1_3gpuE13ELNS1_3repE0EEENS1_52radix_sort_onesweep_histogram_config_static_selectorELNS0_4arch9wavefront6targetE1EEEvSE_
	.p2align	8
	.type	_ZN7rocprim17ROCPRIM_400000_NS6detail17trampoline_kernelINS0_14default_configENS1_35radix_sort_onesweep_config_selectorIslEEZNS1_34radix_sort_onesweep_global_offsetsIS3_Lb0EPsN6thrust23THRUST_200600_302600_NS10device_ptrIlEEjNS0_19identity_decomposerEEE10hipError_tT1_T2_PT3_SG_jT4_jjP12ihipStream_tbEUlT_E_NS1_11comp_targetILNS1_3genE6ELNS1_11target_archE950ELNS1_3gpuE13ELNS1_3repE0EEENS1_52radix_sort_onesweep_histogram_config_static_selectorELNS0_4arch9wavefront6targetE1EEEvSE_,@function
_ZN7rocprim17ROCPRIM_400000_NS6detail17trampoline_kernelINS0_14default_configENS1_35radix_sort_onesweep_config_selectorIslEEZNS1_34radix_sort_onesweep_global_offsetsIS3_Lb0EPsN6thrust23THRUST_200600_302600_NS10device_ptrIlEEjNS0_19identity_decomposerEEE10hipError_tT1_T2_PT3_SG_jT4_jjP12ihipStream_tbEUlT_E_NS1_11comp_targetILNS1_3genE6ELNS1_11target_archE950ELNS1_3gpuE13ELNS1_3repE0EEENS1_52radix_sort_onesweep_histogram_config_static_selectorELNS0_4arch9wavefront6targetE1EEEvSE_: ; @_ZN7rocprim17ROCPRIM_400000_NS6detail17trampoline_kernelINS0_14default_configENS1_35radix_sort_onesweep_config_selectorIslEEZNS1_34radix_sort_onesweep_global_offsetsIS3_Lb0EPsN6thrust23THRUST_200600_302600_NS10device_ptrIlEEjNS0_19identity_decomposerEEE10hipError_tT1_T2_PT3_SG_jT4_jjP12ihipStream_tbEUlT_E_NS1_11comp_targetILNS1_3genE6ELNS1_11target_archE950ELNS1_3gpuE13ELNS1_3repE0EEENS1_52radix_sort_onesweep_histogram_config_static_selectorELNS0_4arch9wavefront6targetE1EEEvSE_
; %bb.0:
	.section	.rodata,"a",@progbits
	.p2align	6, 0x0
	.amdhsa_kernel _ZN7rocprim17ROCPRIM_400000_NS6detail17trampoline_kernelINS0_14default_configENS1_35radix_sort_onesweep_config_selectorIslEEZNS1_34radix_sort_onesweep_global_offsetsIS3_Lb0EPsN6thrust23THRUST_200600_302600_NS10device_ptrIlEEjNS0_19identity_decomposerEEE10hipError_tT1_T2_PT3_SG_jT4_jjP12ihipStream_tbEUlT_E_NS1_11comp_targetILNS1_3genE6ELNS1_11target_archE950ELNS1_3gpuE13ELNS1_3repE0EEENS1_52radix_sort_onesweep_histogram_config_static_selectorELNS0_4arch9wavefront6targetE1EEEvSE_
		.amdhsa_group_segment_fixed_size 0
		.amdhsa_private_segment_fixed_size 0
		.amdhsa_kernarg_size 40
		.amdhsa_user_sgpr_count 6
		.amdhsa_user_sgpr_private_segment_buffer 1
		.amdhsa_user_sgpr_dispatch_ptr 0
		.amdhsa_user_sgpr_queue_ptr 0
		.amdhsa_user_sgpr_kernarg_segment_ptr 1
		.amdhsa_user_sgpr_dispatch_id 0
		.amdhsa_user_sgpr_flat_scratch_init 0
		.amdhsa_user_sgpr_kernarg_preload_length 0
		.amdhsa_user_sgpr_kernarg_preload_offset 0
		.amdhsa_user_sgpr_private_segment_size 0
		.amdhsa_uses_dynamic_stack 0
		.amdhsa_system_sgpr_private_segment_wavefront_offset 0
		.amdhsa_system_sgpr_workgroup_id_x 1
		.amdhsa_system_sgpr_workgroup_id_y 0
		.amdhsa_system_sgpr_workgroup_id_z 0
		.amdhsa_system_sgpr_workgroup_info 0
		.amdhsa_system_vgpr_workitem_id 0
		.amdhsa_next_free_vgpr 1
		.amdhsa_next_free_sgpr 0
		.amdhsa_accum_offset 4
		.amdhsa_reserve_vcc 0
		.amdhsa_reserve_flat_scratch 0
		.amdhsa_float_round_mode_32 0
		.amdhsa_float_round_mode_16_64 0
		.amdhsa_float_denorm_mode_32 3
		.amdhsa_float_denorm_mode_16_64 3
		.amdhsa_dx10_clamp 1
		.amdhsa_ieee_mode 1
		.amdhsa_fp16_overflow 0
		.amdhsa_tg_split 0
		.amdhsa_exception_fp_ieee_invalid_op 0
		.amdhsa_exception_fp_denorm_src 0
		.amdhsa_exception_fp_ieee_div_zero 0
		.amdhsa_exception_fp_ieee_overflow 0
		.amdhsa_exception_fp_ieee_underflow 0
		.amdhsa_exception_fp_ieee_inexact 0
		.amdhsa_exception_int_div_zero 0
	.end_amdhsa_kernel
	.section	.text._ZN7rocprim17ROCPRIM_400000_NS6detail17trampoline_kernelINS0_14default_configENS1_35radix_sort_onesweep_config_selectorIslEEZNS1_34radix_sort_onesweep_global_offsetsIS3_Lb0EPsN6thrust23THRUST_200600_302600_NS10device_ptrIlEEjNS0_19identity_decomposerEEE10hipError_tT1_T2_PT3_SG_jT4_jjP12ihipStream_tbEUlT_E_NS1_11comp_targetILNS1_3genE6ELNS1_11target_archE950ELNS1_3gpuE13ELNS1_3repE0EEENS1_52radix_sort_onesweep_histogram_config_static_selectorELNS0_4arch9wavefront6targetE1EEEvSE_,"axG",@progbits,_ZN7rocprim17ROCPRIM_400000_NS6detail17trampoline_kernelINS0_14default_configENS1_35radix_sort_onesweep_config_selectorIslEEZNS1_34radix_sort_onesweep_global_offsetsIS3_Lb0EPsN6thrust23THRUST_200600_302600_NS10device_ptrIlEEjNS0_19identity_decomposerEEE10hipError_tT1_T2_PT3_SG_jT4_jjP12ihipStream_tbEUlT_E_NS1_11comp_targetILNS1_3genE6ELNS1_11target_archE950ELNS1_3gpuE13ELNS1_3repE0EEENS1_52radix_sort_onesweep_histogram_config_static_selectorELNS0_4arch9wavefront6targetE1EEEvSE_,comdat
.Lfunc_end1381:
	.size	_ZN7rocprim17ROCPRIM_400000_NS6detail17trampoline_kernelINS0_14default_configENS1_35radix_sort_onesweep_config_selectorIslEEZNS1_34radix_sort_onesweep_global_offsetsIS3_Lb0EPsN6thrust23THRUST_200600_302600_NS10device_ptrIlEEjNS0_19identity_decomposerEEE10hipError_tT1_T2_PT3_SG_jT4_jjP12ihipStream_tbEUlT_E_NS1_11comp_targetILNS1_3genE6ELNS1_11target_archE950ELNS1_3gpuE13ELNS1_3repE0EEENS1_52radix_sort_onesweep_histogram_config_static_selectorELNS0_4arch9wavefront6targetE1EEEvSE_, .Lfunc_end1381-_ZN7rocprim17ROCPRIM_400000_NS6detail17trampoline_kernelINS0_14default_configENS1_35radix_sort_onesweep_config_selectorIslEEZNS1_34radix_sort_onesweep_global_offsetsIS3_Lb0EPsN6thrust23THRUST_200600_302600_NS10device_ptrIlEEjNS0_19identity_decomposerEEE10hipError_tT1_T2_PT3_SG_jT4_jjP12ihipStream_tbEUlT_E_NS1_11comp_targetILNS1_3genE6ELNS1_11target_archE950ELNS1_3gpuE13ELNS1_3repE0EEENS1_52radix_sort_onesweep_histogram_config_static_selectorELNS0_4arch9wavefront6targetE1EEEvSE_
                                        ; -- End function
	.section	.AMDGPU.csdata,"",@progbits
; Kernel info:
; codeLenInByte = 0
; NumSgprs: 4
; NumVgprs: 0
; NumAgprs: 0
; TotalNumVgprs: 0
; ScratchSize: 0
; MemoryBound: 0
; FloatMode: 240
; IeeeMode: 1
; LDSByteSize: 0 bytes/workgroup (compile time only)
; SGPRBlocks: 0
; VGPRBlocks: 0
; NumSGPRsForWavesPerEU: 4
; NumVGPRsForWavesPerEU: 1
; AccumOffset: 4
; Occupancy: 8
; WaveLimiterHint : 0
; COMPUTE_PGM_RSRC2:SCRATCH_EN: 0
; COMPUTE_PGM_RSRC2:USER_SGPR: 6
; COMPUTE_PGM_RSRC2:TRAP_HANDLER: 0
; COMPUTE_PGM_RSRC2:TGID_X_EN: 1
; COMPUTE_PGM_RSRC2:TGID_Y_EN: 0
; COMPUTE_PGM_RSRC2:TGID_Z_EN: 0
; COMPUTE_PGM_RSRC2:TIDIG_COMP_CNT: 0
; COMPUTE_PGM_RSRC3_GFX90A:ACCUM_OFFSET: 0
; COMPUTE_PGM_RSRC3_GFX90A:TG_SPLIT: 0
	.section	.text._ZN7rocprim17ROCPRIM_400000_NS6detail17trampoline_kernelINS0_14default_configENS1_35radix_sort_onesweep_config_selectorIslEEZNS1_34radix_sort_onesweep_global_offsetsIS3_Lb0EPsN6thrust23THRUST_200600_302600_NS10device_ptrIlEEjNS0_19identity_decomposerEEE10hipError_tT1_T2_PT3_SG_jT4_jjP12ihipStream_tbEUlT_E_NS1_11comp_targetILNS1_3genE5ELNS1_11target_archE942ELNS1_3gpuE9ELNS1_3repE0EEENS1_52radix_sort_onesweep_histogram_config_static_selectorELNS0_4arch9wavefront6targetE1EEEvSE_,"axG",@progbits,_ZN7rocprim17ROCPRIM_400000_NS6detail17trampoline_kernelINS0_14default_configENS1_35radix_sort_onesweep_config_selectorIslEEZNS1_34radix_sort_onesweep_global_offsetsIS3_Lb0EPsN6thrust23THRUST_200600_302600_NS10device_ptrIlEEjNS0_19identity_decomposerEEE10hipError_tT1_T2_PT3_SG_jT4_jjP12ihipStream_tbEUlT_E_NS1_11comp_targetILNS1_3genE5ELNS1_11target_archE942ELNS1_3gpuE9ELNS1_3repE0EEENS1_52radix_sort_onesweep_histogram_config_static_selectorELNS0_4arch9wavefront6targetE1EEEvSE_,comdat
	.protected	_ZN7rocprim17ROCPRIM_400000_NS6detail17trampoline_kernelINS0_14default_configENS1_35radix_sort_onesweep_config_selectorIslEEZNS1_34radix_sort_onesweep_global_offsetsIS3_Lb0EPsN6thrust23THRUST_200600_302600_NS10device_ptrIlEEjNS0_19identity_decomposerEEE10hipError_tT1_T2_PT3_SG_jT4_jjP12ihipStream_tbEUlT_E_NS1_11comp_targetILNS1_3genE5ELNS1_11target_archE942ELNS1_3gpuE9ELNS1_3repE0EEENS1_52radix_sort_onesweep_histogram_config_static_selectorELNS0_4arch9wavefront6targetE1EEEvSE_ ; -- Begin function _ZN7rocprim17ROCPRIM_400000_NS6detail17trampoline_kernelINS0_14default_configENS1_35radix_sort_onesweep_config_selectorIslEEZNS1_34radix_sort_onesweep_global_offsetsIS3_Lb0EPsN6thrust23THRUST_200600_302600_NS10device_ptrIlEEjNS0_19identity_decomposerEEE10hipError_tT1_T2_PT3_SG_jT4_jjP12ihipStream_tbEUlT_E_NS1_11comp_targetILNS1_3genE5ELNS1_11target_archE942ELNS1_3gpuE9ELNS1_3repE0EEENS1_52radix_sort_onesweep_histogram_config_static_selectorELNS0_4arch9wavefront6targetE1EEEvSE_
	.globl	_ZN7rocprim17ROCPRIM_400000_NS6detail17trampoline_kernelINS0_14default_configENS1_35radix_sort_onesweep_config_selectorIslEEZNS1_34radix_sort_onesweep_global_offsetsIS3_Lb0EPsN6thrust23THRUST_200600_302600_NS10device_ptrIlEEjNS0_19identity_decomposerEEE10hipError_tT1_T2_PT3_SG_jT4_jjP12ihipStream_tbEUlT_E_NS1_11comp_targetILNS1_3genE5ELNS1_11target_archE942ELNS1_3gpuE9ELNS1_3repE0EEENS1_52radix_sort_onesweep_histogram_config_static_selectorELNS0_4arch9wavefront6targetE1EEEvSE_
	.p2align	8
	.type	_ZN7rocprim17ROCPRIM_400000_NS6detail17trampoline_kernelINS0_14default_configENS1_35radix_sort_onesweep_config_selectorIslEEZNS1_34radix_sort_onesweep_global_offsetsIS3_Lb0EPsN6thrust23THRUST_200600_302600_NS10device_ptrIlEEjNS0_19identity_decomposerEEE10hipError_tT1_T2_PT3_SG_jT4_jjP12ihipStream_tbEUlT_E_NS1_11comp_targetILNS1_3genE5ELNS1_11target_archE942ELNS1_3gpuE9ELNS1_3repE0EEENS1_52radix_sort_onesweep_histogram_config_static_selectorELNS0_4arch9wavefront6targetE1EEEvSE_,@function
_ZN7rocprim17ROCPRIM_400000_NS6detail17trampoline_kernelINS0_14default_configENS1_35radix_sort_onesweep_config_selectorIslEEZNS1_34radix_sort_onesweep_global_offsetsIS3_Lb0EPsN6thrust23THRUST_200600_302600_NS10device_ptrIlEEjNS0_19identity_decomposerEEE10hipError_tT1_T2_PT3_SG_jT4_jjP12ihipStream_tbEUlT_E_NS1_11comp_targetILNS1_3genE5ELNS1_11target_archE942ELNS1_3gpuE9ELNS1_3repE0EEENS1_52radix_sort_onesweep_histogram_config_static_selectorELNS0_4arch9wavefront6targetE1EEEvSE_: ; @_ZN7rocprim17ROCPRIM_400000_NS6detail17trampoline_kernelINS0_14default_configENS1_35radix_sort_onesweep_config_selectorIslEEZNS1_34radix_sort_onesweep_global_offsetsIS3_Lb0EPsN6thrust23THRUST_200600_302600_NS10device_ptrIlEEjNS0_19identity_decomposerEEE10hipError_tT1_T2_PT3_SG_jT4_jjP12ihipStream_tbEUlT_E_NS1_11comp_targetILNS1_3genE5ELNS1_11target_archE942ELNS1_3gpuE9ELNS1_3repE0EEENS1_52radix_sort_onesweep_histogram_config_static_selectorELNS0_4arch9wavefront6targetE1EEEvSE_
; %bb.0:
	.section	.rodata,"a",@progbits
	.p2align	6, 0x0
	.amdhsa_kernel _ZN7rocprim17ROCPRIM_400000_NS6detail17trampoline_kernelINS0_14default_configENS1_35radix_sort_onesweep_config_selectorIslEEZNS1_34radix_sort_onesweep_global_offsetsIS3_Lb0EPsN6thrust23THRUST_200600_302600_NS10device_ptrIlEEjNS0_19identity_decomposerEEE10hipError_tT1_T2_PT3_SG_jT4_jjP12ihipStream_tbEUlT_E_NS1_11comp_targetILNS1_3genE5ELNS1_11target_archE942ELNS1_3gpuE9ELNS1_3repE0EEENS1_52radix_sort_onesweep_histogram_config_static_selectorELNS0_4arch9wavefront6targetE1EEEvSE_
		.amdhsa_group_segment_fixed_size 0
		.amdhsa_private_segment_fixed_size 0
		.amdhsa_kernarg_size 40
		.amdhsa_user_sgpr_count 6
		.amdhsa_user_sgpr_private_segment_buffer 1
		.amdhsa_user_sgpr_dispatch_ptr 0
		.amdhsa_user_sgpr_queue_ptr 0
		.amdhsa_user_sgpr_kernarg_segment_ptr 1
		.amdhsa_user_sgpr_dispatch_id 0
		.amdhsa_user_sgpr_flat_scratch_init 0
		.amdhsa_user_sgpr_kernarg_preload_length 0
		.amdhsa_user_sgpr_kernarg_preload_offset 0
		.amdhsa_user_sgpr_private_segment_size 0
		.amdhsa_uses_dynamic_stack 0
		.amdhsa_system_sgpr_private_segment_wavefront_offset 0
		.amdhsa_system_sgpr_workgroup_id_x 1
		.amdhsa_system_sgpr_workgroup_id_y 0
		.amdhsa_system_sgpr_workgroup_id_z 0
		.amdhsa_system_sgpr_workgroup_info 0
		.amdhsa_system_vgpr_workitem_id 0
		.amdhsa_next_free_vgpr 1
		.amdhsa_next_free_sgpr 0
		.amdhsa_accum_offset 4
		.amdhsa_reserve_vcc 0
		.amdhsa_reserve_flat_scratch 0
		.amdhsa_float_round_mode_32 0
		.amdhsa_float_round_mode_16_64 0
		.amdhsa_float_denorm_mode_32 3
		.amdhsa_float_denorm_mode_16_64 3
		.amdhsa_dx10_clamp 1
		.amdhsa_ieee_mode 1
		.amdhsa_fp16_overflow 0
		.amdhsa_tg_split 0
		.amdhsa_exception_fp_ieee_invalid_op 0
		.amdhsa_exception_fp_denorm_src 0
		.amdhsa_exception_fp_ieee_div_zero 0
		.amdhsa_exception_fp_ieee_overflow 0
		.amdhsa_exception_fp_ieee_underflow 0
		.amdhsa_exception_fp_ieee_inexact 0
		.amdhsa_exception_int_div_zero 0
	.end_amdhsa_kernel
	.section	.text._ZN7rocprim17ROCPRIM_400000_NS6detail17trampoline_kernelINS0_14default_configENS1_35radix_sort_onesweep_config_selectorIslEEZNS1_34radix_sort_onesweep_global_offsetsIS3_Lb0EPsN6thrust23THRUST_200600_302600_NS10device_ptrIlEEjNS0_19identity_decomposerEEE10hipError_tT1_T2_PT3_SG_jT4_jjP12ihipStream_tbEUlT_E_NS1_11comp_targetILNS1_3genE5ELNS1_11target_archE942ELNS1_3gpuE9ELNS1_3repE0EEENS1_52radix_sort_onesweep_histogram_config_static_selectorELNS0_4arch9wavefront6targetE1EEEvSE_,"axG",@progbits,_ZN7rocprim17ROCPRIM_400000_NS6detail17trampoline_kernelINS0_14default_configENS1_35radix_sort_onesweep_config_selectorIslEEZNS1_34radix_sort_onesweep_global_offsetsIS3_Lb0EPsN6thrust23THRUST_200600_302600_NS10device_ptrIlEEjNS0_19identity_decomposerEEE10hipError_tT1_T2_PT3_SG_jT4_jjP12ihipStream_tbEUlT_E_NS1_11comp_targetILNS1_3genE5ELNS1_11target_archE942ELNS1_3gpuE9ELNS1_3repE0EEENS1_52radix_sort_onesweep_histogram_config_static_selectorELNS0_4arch9wavefront6targetE1EEEvSE_,comdat
.Lfunc_end1382:
	.size	_ZN7rocprim17ROCPRIM_400000_NS6detail17trampoline_kernelINS0_14default_configENS1_35radix_sort_onesweep_config_selectorIslEEZNS1_34radix_sort_onesweep_global_offsetsIS3_Lb0EPsN6thrust23THRUST_200600_302600_NS10device_ptrIlEEjNS0_19identity_decomposerEEE10hipError_tT1_T2_PT3_SG_jT4_jjP12ihipStream_tbEUlT_E_NS1_11comp_targetILNS1_3genE5ELNS1_11target_archE942ELNS1_3gpuE9ELNS1_3repE0EEENS1_52radix_sort_onesweep_histogram_config_static_selectorELNS0_4arch9wavefront6targetE1EEEvSE_, .Lfunc_end1382-_ZN7rocprim17ROCPRIM_400000_NS6detail17trampoline_kernelINS0_14default_configENS1_35radix_sort_onesweep_config_selectorIslEEZNS1_34radix_sort_onesweep_global_offsetsIS3_Lb0EPsN6thrust23THRUST_200600_302600_NS10device_ptrIlEEjNS0_19identity_decomposerEEE10hipError_tT1_T2_PT3_SG_jT4_jjP12ihipStream_tbEUlT_E_NS1_11comp_targetILNS1_3genE5ELNS1_11target_archE942ELNS1_3gpuE9ELNS1_3repE0EEENS1_52radix_sort_onesweep_histogram_config_static_selectorELNS0_4arch9wavefront6targetE1EEEvSE_
                                        ; -- End function
	.section	.AMDGPU.csdata,"",@progbits
; Kernel info:
; codeLenInByte = 0
; NumSgprs: 4
; NumVgprs: 0
; NumAgprs: 0
; TotalNumVgprs: 0
; ScratchSize: 0
; MemoryBound: 0
; FloatMode: 240
; IeeeMode: 1
; LDSByteSize: 0 bytes/workgroup (compile time only)
; SGPRBlocks: 0
; VGPRBlocks: 0
; NumSGPRsForWavesPerEU: 4
; NumVGPRsForWavesPerEU: 1
; AccumOffset: 4
; Occupancy: 8
; WaveLimiterHint : 0
; COMPUTE_PGM_RSRC2:SCRATCH_EN: 0
; COMPUTE_PGM_RSRC2:USER_SGPR: 6
; COMPUTE_PGM_RSRC2:TRAP_HANDLER: 0
; COMPUTE_PGM_RSRC2:TGID_X_EN: 1
; COMPUTE_PGM_RSRC2:TGID_Y_EN: 0
; COMPUTE_PGM_RSRC2:TGID_Z_EN: 0
; COMPUTE_PGM_RSRC2:TIDIG_COMP_CNT: 0
; COMPUTE_PGM_RSRC3_GFX90A:ACCUM_OFFSET: 0
; COMPUTE_PGM_RSRC3_GFX90A:TG_SPLIT: 0
	.section	.text._ZN7rocprim17ROCPRIM_400000_NS6detail17trampoline_kernelINS0_14default_configENS1_35radix_sort_onesweep_config_selectorIslEEZNS1_34radix_sort_onesweep_global_offsetsIS3_Lb0EPsN6thrust23THRUST_200600_302600_NS10device_ptrIlEEjNS0_19identity_decomposerEEE10hipError_tT1_T2_PT3_SG_jT4_jjP12ihipStream_tbEUlT_E_NS1_11comp_targetILNS1_3genE2ELNS1_11target_archE906ELNS1_3gpuE6ELNS1_3repE0EEENS1_52radix_sort_onesweep_histogram_config_static_selectorELNS0_4arch9wavefront6targetE1EEEvSE_,"axG",@progbits,_ZN7rocprim17ROCPRIM_400000_NS6detail17trampoline_kernelINS0_14default_configENS1_35radix_sort_onesweep_config_selectorIslEEZNS1_34radix_sort_onesweep_global_offsetsIS3_Lb0EPsN6thrust23THRUST_200600_302600_NS10device_ptrIlEEjNS0_19identity_decomposerEEE10hipError_tT1_T2_PT3_SG_jT4_jjP12ihipStream_tbEUlT_E_NS1_11comp_targetILNS1_3genE2ELNS1_11target_archE906ELNS1_3gpuE6ELNS1_3repE0EEENS1_52radix_sort_onesweep_histogram_config_static_selectorELNS0_4arch9wavefront6targetE1EEEvSE_,comdat
	.protected	_ZN7rocprim17ROCPRIM_400000_NS6detail17trampoline_kernelINS0_14default_configENS1_35radix_sort_onesweep_config_selectorIslEEZNS1_34radix_sort_onesweep_global_offsetsIS3_Lb0EPsN6thrust23THRUST_200600_302600_NS10device_ptrIlEEjNS0_19identity_decomposerEEE10hipError_tT1_T2_PT3_SG_jT4_jjP12ihipStream_tbEUlT_E_NS1_11comp_targetILNS1_3genE2ELNS1_11target_archE906ELNS1_3gpuE6ELNS1_3repE0EEENS1_52radix_sort_onesweep_histogram_config_static_selectorELNS0_4arch9wavefront6targetE1EEEvSE_ ; -- Begin function _ZN7rocprim17ROCPRIM_400000_NS6detail17trampoline_kernelINS0_14default_configENS1_35radix_sort_onesweep_config_selectorIslEEZNS1_34radix_sort_onesweep_global_offsetsIS3_Lb0EPsN6thrust23THRUST_200600_302600_NS10device_ptrIlEEjNS0_19identity_decomposerEEE10hipError_tT1_T2_PT3_SG_jT4_jjP12ihipStream_tbEUlT_E_NS1_11comp_targetILNS1_3genE2ELNS1_11target_archE906ELNS1_3gpuE6ELNS1_3repE0EEENS1_52radix_sort_onesweep_histogram_config_static_selectorELNS0_4arch9wavefront6targetE1EEEvSE_
	.globl	_ZN7rocprim17ROCPRIM_400000_NS6detail17trampoline_kernelINS0_14default_configENS1_35radix_sort_onesweep_config_selectorIslEEZNS1_34radix_sort_onesweep_global_offsetsIS3_Lb0EPsN6thrust23THRUST_200600_302600_NS10device_ptrIlEEjNS0_19identity_decomposerEEE10hipError_tT1_T2_PT3_SG_jT4_jjP12ihipStream_tbEUlT_E_NS1_11comp_targetILNS1_3genE2ELNS1_11target_archE906ELNS1_3gpuE6ELNS1_3repE0EEENS1_52radix_sort_onesweep_histogram_config_static_selectorELNS0_4arch9wavefront6targetE1EEEvSE_
	.p2align	8
	.type	_ZN7rocprim17ROCPRIM_400000_NS6detail17trampoline_kernelINS0_14default_configENS1_35radix_sort_onesweep_config_selectorIslEEZNS1_34radix_sort_onesweep_global_offsetsIS3_Lb0EPsN6thrust23THRUST_200600_302600_NS10device_ptrIlEEjNS0_19identity_decomposerEEE10hipError_tT1_T2_PT3_SG_jT4_jjP12ihipStream_tbEUlT_E_NS1_11comp_targetILNS1_3genE2ELNS1_11target_archE906ELNS1_3gpuE6ELNS1_3repE0EEENS1_52radix_sort_onesweep_histogram_config_static_selectorELNS0_4arch9wavefront6targetE1EEEvSE_,@function
_ZN7rocprim17ROCPRIM_400000_NS6detail17trampoline_kernelINS0_14default_configENS1_35radix_sort_onesweep_config_selectorIslEEZNS1_34radix_sort_onesweep_global_offsetsIS3_Lb0EPsN6thrust23THRUST_200600_302600_NS10device_ptrIlEEjNS0_19identity_decomposerEEE10hipError_tT1_T2_PT3_SG_jT4_jjP12ihipStream_tbEUlT_E_NS1_11comp_targetILNS1_3genE2ELNS1_11target_archE906ELNS1_3gpuE6ELNS1_3repE0EEENS1_52radix_sort_onesweep_histogram_config_static_selectorELNS0_4arch9wavefront6targetE1EEEvSE_: ; @_ZN7rocprim17ROCPRIM_400000_NS6detail17trampoline_kernelINS0_14default_configENS1_35radix_sort_onesweep_config_selectorIslEEZNS1_34radix_sort_onesweep_global_offsetsIS3_Lb0EPsN6thrust23THRUST_200600_302600_NS10device_ptrIlEEjNS0_19identity_decomposerEEE10hipError_tT1_T2_PT3_SG_jT4_jjP12ihipStream_tbEUlT_E_NS1_11comp_targetILNS1_3genE2ELNS1_11target_archE906ELNS1_3gpuE6ELNS1_3repE0EEENS1_52radix_sort_onesweep_histogram_config_static_selectorELNS0_4arch9wavefront6targetE1EEEvSE_
; %bb.0:
	.section	.rodata,"a",@progbits
	.p2align	6, 0x0
	.amdhsa_kernel _ZN7rocprim17ROCPRIM_400000_NS6detail17trampoline_kernelINS0_14default_configENS1_35radix_sort_onesweep_config_selectorIslEEZNS1_34radix_sort_onesweep_global_offsetsIS3_Lb0EPsN6thrust23THRUST_200600_302600_NS10device_ptrIlEEjNS0_19identity_decomposerEEE10hipError_tT1_T2_PT3_SG_jT4_jjP12ihipStream_tbEUlT_E_NS1_11comp_targetILNS1_3genE2ELNS1_11target_archE906ELNS1_3gpuE6ELNS1_3repE0EEENS1_52radix_sort_onesweep_histogram_config_static_selectorELNS0_4arch9wavefront6targetE1EEEvSE_
		.amdhsa_group_segment_fixed_size 0
		.amdhsa_private_segment_fixed_size 0
		.amdhsa_kernarg_size 40
		.amdhsa_user_sgpr_count 6
		.amdhsa_user_sgpr_private_segment_buffer 1
		.amdhsa_user_sgpr_dispatch_ptr 0
		.amdhsa_user_sgpr_queue_ptr 0
		.amdhsa_user_sgpr_kernarg_segment_ptr 1
		.amdhsa_user_sgpr_dispatch_id 0
		.amdhsa_user_sgpr_flat_scratch_init 0
		.amdhsa_user_sgpr_kernarg_preload_length 0
		.amdhsa_user_sgpr_kernarg_preload_offset 0
		.amdhsa_user_sgpr_private_segment_size 0
		.amdhsa_uses_dynamic_stack 0
		.amdhsa_system_sgpr_private_segment_wavefront_offset 0
		.amdhsa_system_sgpr_workgroup_id_x 1
		.amdhsa_system_sgpr_workgroup_id_y 0
		.amdhsa_system_sgpr_workgroup_id_z 0
		.amdhsa_system_sgpr_workgroup_info 0
		.amdhsa_system_vgpr_workitem_id 0
		.amdhsa_next_free_vgpr 1
		.amdhsa_next_free_sgpr 0
		.amdhsa_accum_offset 4
		.amdhsa_reserve_vcc 0
		.amdhsa_reserve_flat_scratch 0
		.amdhsa_float_round_mode_32 0
		.amdhsa_float_round_mode_16_64 0
		.amdhsa_float_denorm_mode_32 3
		.amdhsa_float_denorm_mode_16_64 3
		.amdhsa_dx10_clamp 1
		.amdhsa_ieee_mode 1
		.amdhsa_fp16_overflow 0
		.amdhsa_tg_split 0
		.amdhsa_exception_fp_ieee_invalid_op 0
		.amdhsa_exception_fp_denorm_src 0
		.amdhsa_exception_fp_ieee_div_zero 0
		.amdhsa_exception_fp_ieee_overflow 0
		.amdhsa_exception_fp_ieee_underflow 0
		.amdhsa_exception_fp_ieee_inexact 0
		.amdhsa_exception_int_div_zero 0
	.end_amdhsa_kernel
	.section	.text._ZN7rocprim17ROCPRIM_400000_NS6detail17trampoline_kernelINS0_14default_configENS1_35radix_sort_onesweep_config_selectorIslEEZNS1_34radix_sort_onesweep_global_offsetsIS3_Lb0EPsN6thrust23THRUST_200600_302600_NS10device_ptrIlEEjNS0_19identity_decomposerEEE10hipError_tT1_T2_PT3_SG_jT4_jjP12ihipStream_tbEUlT_E_NS1_11comp_targetILNS1_3genE2ELNS1_11target_archE906ELNS1_3gpuE6ELNS1_3repE0EEENS1_52radix_sort_onesweep_histogram_config_static_selectorELNS0_4arch9wavefront6targetE1EEEvSE_,"axG",@progbits,_ZN7rocprim17ROCPRIM_400000_NS6detail17trampoline_kernelINS0_14default_configENS1_35radix_sort_onesweep_config_selectorIslEEZNS1_34radix_sort_onesweep_global_offsetsIS3_Lb0EPsN6thrust23THRUST_200600_302600_NS10device_ptrIlEEjNS0_19identity_decomposerEEE10hipError_tT1_T2_PT3_SG_jT4_jjP12ihipStream_tbEUlT_E_NS1_11comp_targetILNS1_3genE2ELNS1_11target_archE906ELNS1_3gpuE6ELNS1_3repE0EEENS1_52radix_sort_onesweep_histogram_config_static_selectorELNS0_4arch9wavefront6targetE1EEEvSE_,comdat
.Lfunc_end1383:
	.size	_ZN7rocprim17ROCPRIM_400000_NS6detail17trampoline_kernelINS0_14default_configENS1_35radix_sort_onesweep_config_selectorIslEEZNS1_34radix_sort_onesweep_global_offsetsIS3_Lb0EPsN6thrust23THRUST_200600_302600_NS10device_ptrIlEEjNS0_19identity_decomposerEEE10hipError_tT1_T2_PT3_SG_jT4_jjP12ihipStream_tbEUlT_E_NS1_11comp_targetILNS1_3genE2ELNS1_11target_archE906ELNS1_3gpuE6ELNS1_3repE0EEENS1_52radix_sort_onesweep_histogram_config_static_selectorELNS0_4arch9wavefront6targetE1EEEvSE_, .Lfunc_end1383-_ZN7rocprim17ROCPRIM_400000_NS6detail17trampoline_kernelINS0_14default_configENS1_35radix_sort_onesweep_config_selectorIslEEZNS1_34radix_sort_onesweep_global_offsetsIS3_Lb0EPsN6thrust23THRUST_200600_302600_NS10device_ptrIlEEjNS0_19identity_decomposerEEE10hipError_tT1_T2_PT3_SG_jT4_jjP12ihipStream_tbEUlT_E_NS1_11comp_targetILNS1_3genE2ELNS1_11target_archE906ELNS1_3gpuE6ELNS1_3repE0EEENS1_52radix_sort_onesweep_histogram_config_static_selectorELNS0_4arch9wavefront6targetE1EEEvSE_
                                        ; -- End function
	.section	.AMDGPU.csdata,"",@progbits
; Kernel info:
; codeLenInByte = 0
; NumSgprs: 4
; NumVgprs: 0
; NumAgprs: 0
; TotalNumVgprs: 0
; ScratchSize: 0
; MemoryBound: 0
; FloatMode: 240
; IeeeMode: 1
; LDSByteSize: 0 bytes/workgroup (compile time only)
; SGPRBlocks: 0
; VGPRBlocks: 0
; NumSGPRsForWavesPerEU: 4
; NumVGPRsForWavesPerEU: 1
; AccumOffset: 4
; Occupancy: 8
; WaveLimiterHint : 0
; COMPUTE_PGM_RSRC2:SCRATCH_EN: 0
; COMPUTE_PGM_RSRC2:USER_SGPR: 6
; COMPUTE_PGM_RSRC2:TRAP_HANDLER: 0
; COMPUTE_PGM_RSRC2:TGID_X_EN: 1
; COMPUTE_PGM_RSRC2:TGID_Y_EN: 0
; COMPUTE_PGM_RSRC2:TGID_Z_EN: 0
; COMPUTE_PGM_RSRC2:TIDIG_COMP_CNT: 0
; COMPUTE_PGM_RSRC3_GFX90A:ACCUM_OFFSET: 0
; COMPUTE_PGM_RSRC3_GFX90A:TG_SPLIT: 0
	.section	.text._ZN7rocprim17ROCPRIM_400000_NS6detail17trampoline_kernelINS0_14default_configENS1_35radix_sort_onesweep_config_selectorIslEEZNS1_34radix_sort_onesweep_global_offsetsIS3_Lb0EPsN6thrust23THRUST_200600_302600_NS10device_ptrIlEEjNS0_19identity_decomposerEEE10hipError_tT1_T2_PT3_SG_jT4_jjP12ihipStream_tbEUlT_E_NS1_11comp_targetILNS1_3genE4ELNS1_11target_archE910ELNS1_3gpuE8ELNS1_3repE0EEENS1_52radix_sort_onesweep_histogram_config_static_selectorELNS0_4arch9wavefront6targetE1EEEvSE_,"axG",@progbits,_ZN7rocprim17ROCPRIM_400000_NS6detail17trampoline_kernelINS0_14default_configENS1_35radix_sort_onesweep_config_selectorIslEEZNS1_34radix_sort_onesweep_global_offsetsIS3_Lb0EPsN6thrust23THRUST_200600_302600_NS10device_ptrIlEEjNS0_19identity_decomposerEEE10hipError_tT1_T2_PT3_SG_jT4_jjP12ihipStream_tbEUlT_E_NS1_11comp_targetILNS1_3genE4ELNS1_11target_archE910ELNS1_3gpuE8ELNS1_3repE0EEENS1_52radix_sort_onesweep_histogram_config_static_selectorELNS0_4arch9wavefront6targetE1EEEvSE_,comdat
	.protected	_ZN7rocprim17ROCPRIM_400000_NS6detail17trampoline_kernelINS0_14default_configENS1_35radix_sort_onesweep_config_selectorIslEEZNS1_34radix_sort_onesweep_global_offsetsIS3_Lb0EPsN6thrust23THRUST_200600_302600_NS10device_ptrIlEEjNS0_19identity_decomposerEEE10hipError_tT1_T2_PT3_SG_jT4_jjP12ihipStream_tbEUlT_E_NS1_11comp_targetILNS1_3genE4ELNS1_11target_archE910ELNS1_3gpuE8ELNS1_3repE0EEENS1_52radix_sort_onesweep_histogram_config_static_selectorELNS0_4arch9wavefront6targetE1EEEvSE_ ; -- Begin function _ZN7rocprim17ROCPRIM_400000_NS6detail17trampoline_kernelINS0_14default_configENS1_35radix_sort_onesweep_config_selectorIslEEZNS1_34radix_sort_onesweep_global_offsetsIS3_Lb0EPsN6thrust23THRUST_200600_302600_NS10device_ptrIlEEjNS0_19identity_decomposerEEE10hipError_tT1_T2_PT3_SG_jT4_jjP12ihipStream_tbEUlT_E_NS1_11comp_targetILNS1_3genE4ELNS1_11target_archE910ELNS1_3gpuE8ELNS1_3repE0EEENS1_52radix_sort_onesweep_histogram_config_static_selectorELNS0_4arch9wavefront6targetE1EEEvSE_
	.globl	_ZN7rocprim17ROCPRIM_400000_NS6detail17trampoline_kernelINS0_14default_configENS1_35radix_sort_onesweep_config_selectorIslEEZNS1_34radix_sort_onesweep_global_offsetsIS3_Lb0EPsN6thrust23THRUST_200600_302600_NS10device_ptrIlEEjNS0_19identity_decomposerEEE10hipError_tT1_T2_PT3_SG_jT4_jjP12ihipStream_tbEUlT_E_NS1_11comp_targetILNS1_3genE4ELNS1_11target_archE910ELNS1_3gpuE8ELNS1_3repE0EEENS1_52radix_sort_onesweep_histogram_config_static_selectorELNS0_4arch9wavefront6targetE1EEEvSE_
	.p2align	8
	.type	_ZN7rocprim17ROCPRIM_400000_NS6detail17trampoline_kernelINS0_14default_configENS1_35radix_sort_onesweep_config_selectorIslEEZNS1_34radix_sort_onesweep_global_offsetsIS3_Lb0EPsN6thrust23THRUST_200600_302600_NS10device_ptrIlEEjNS0_19identity_decomposerEEE10hipError_tT1_T2_PT3_SG_jT4_jjP12ihipStream_tbEUlT_E_NS1_11comp_targetILNS1_3genE4ELNS1_11target_archE910ELNS1_3gpuE8ELNS1_3repE0EEENS1_52radix_sort_onesweep_histogram_config_static_selectorELNS0_4arch9wavefront6targetE1EEEvSE_,@function
_ZN7rocprim17ROCPRIM_400000_NS6detail17trampoline_kernelINS0_14default_configENS1_35radix_sort_onesweep_config_selectorIslEEZNS1_34radix_sort_onesweep_global_offsetsIS3_Lb0EPsN6thrust23THRUST_200600_302600_NS10device_ptrIlEEjNS0_19identity_decomposerEEE10hipError_tT1_T2_PT3_SG_jT4_jjP12ihipStream_tbEUlT_E_NS1_11comp_targetILNS1_3genE4ELNS1_11target_archE910ELNS1_3gpuE8ELNS1_3repE0EEENS1_52radix_sort_onesweep_histogram_config_static_selectorELNS0_4arch9wavefront6targetE1EEEvSE_: ; @_ZN7rocprim17ROCPRIM_400000_NS6detail17trampoline_kernelINS0_14default_configENS1_35radix_sort_onesweep_config_selectorIslEEZNS1_34radix_sort_onesweep_global_offsetsIS3_Lb0EPsN6thrust23THRUST_200600_302600_NS10device_ptrIlEEjNS0_19identity_decomposerEEE10hipError_tT1_T2_PT3_SG_jT4_jjP12ihipStream_tbEUlT_E_NS1_11comp_targetILNS1_3genE4ELNS1_11target_archE910ELNS1_3gpuE8ELNS1_3repE0EEENS1_52radix_sort_onesweep_histogram_config_static_selectorELNS0_4arch9wavefront6targetE1EEEvSE_
; %bb.0:
	s_load_dword s7, s[4:5], 0x14
	s_load_dwordx4 s[8:11], s[4:5], 0x0
	s_load_dwordx2 s[2:3], s[4:5], 0x1c
	s_lshl_b32 s12, s6, 13
	s_mov_b64 s[0:1], -1
	s_waitcnt lgkmcnt(0)
	s_cmp_ge_u32 s6, s7
	s_cbranch_scc0 .LBB1384_79
; %bb.1:
	s_load_dword s4, s[4:5], 0x10
	s_lshl_b32 s5, s7, 13
	s_mov_b32 s13, 0
	s_lshl_b64 s[0:1], s[12:13], 1
                                        ; implicit-def: $vgpr2_vgpr3_vgpr4_vgpr5
	s_waitcnt lgkmcnt(0)
	s_sub_i32 s13, s4, s5
	s_add_u32 s0, s8, s0
	s_addc_u32 s1, s9, s1
	v_cmp_gt_u32_e32 vcc, s13, v0
	s_and_saveexec_b64 s[4:5], vcc
	s_cbranch_execz .LBB1384_3
; %bb.2:
	v_lshlrev_b32_e32 v1, 1, v0
	global_load_ushort v2, v1, s[0:1]
.LBB1384_3:
	s_or_b64 exec, exec, s[4:5]
	v_or_b32_e32 v12, 0x400, v0
	v_cmp_gt_u32_e32 vcc, s13, v12
	s_and_saveexec_b64 s[4:5], vcc
	s_cbranch_execz .LBB1384_5
; %bb.4:
	v_lshlrev_b32_e32 v1, 1, v0
	global_load_ushort v1, v1, s[0:1] offset:2048
	s_mov_b32 s6, 0x5040100
	s_waitcnt vmcnt(0)
	v_perm_b32 v2, v1, v2, s6
.LBB1384_5:
	s_or_b64 exec, exec, s[4:5]
	v_or_b32_e32 v11, 0x800, v0
	v_cmp_gt_u32_e32 vcc, s13, v11
	s_and_saveexec_b64 s[4:5], vcc
	s_cbranch_execz .LBB1384_7
; %bb.6:
	v_lshlrev_b32_e32 v1, 1, v11
	global_load_ushort v1, v1, s[0:1]
	s_mov_b32 s6, 0xffff
	s_waitcnt vmcnt(0)
	v_bfi_b32 v3, s6, v1, v3
.LBB1384_7:
	s_or_b64 exec, exec, s[4:5]
	v_or_b32_e32 v10, 0xc00, v0
	v_cmp_gt_u32_e32 vcc, s13, v10
	s_and_saveexec_b64 s[4:5], vcc
	s_cbranch_execz .LBB1384_9
; %bb.8:
	v_lshlrev_b32_e32 v1, 1, v10
	global_load_ushort v1, v1, s[0:1]
	s_mov_b32 s6, 0x5040100
	s_waitcnt vmcnt(0)
	v_perm_b32 v3, v1, v3, s6
.LBB1384_9:
	s_or_b64 exec, exec, s[4:5]
	v_or_b32_e32 v9, 0x1000, v0
	v_cmp_gt_u32_e32 vcc, s13, v9
	s_and_saveexec_b64 s[4:5], vcc
	s_cbranch_execz .LBB1384_11
; %bb.10:
	v_lshlrev_b32_e32 v1, 1, v9
	global_load_ushort v1, v1, s[0:1]
	s_mov_b32 s6, 0xffff
	s_waitcnt vmcnt(0)
	v_bfi_b32 v4, s6, v1, v4
.LBB1384_11:
	s_or_b64 exec, exec, s[4:5]
	v_or_b32_e32 v8, 0x1400, v0
	v_cmp_gt_u32_e32 vcc, s13, v8
	s_and_saveexec_b64 s[4:5], vcc
	s_cbranch_execz .LBB1384_13
; %bb.12:
	v_lshlrev_b32_e32 v1, 1, v8
	global_load_ushort v1, v1, s[0:1]
	s_mov_b32 s6, 0x5040100
	s_waitcnt vmcnt(0)
	v_perm_b32 v4, v1, v4, s6
.LBB1384_13:
	;; [unrolled: 24-line block ×3, first 2 shown]
	s_or_b64 exec, exec, s[4:5]
	s_cmp_le_u32 s3, s2
	s_cselect_b64 s[4:5], -1, 0
	v_cmp_le_u32_e32 vcc, s13, v0
	s_and_b64 s[0:1], s[4:5], exec
	v_lshlrev_b32_e32 v13, 2, v0
	v_mov_b32_e32 v14, 0
	s_cselect_b32 s16, 8, 10
	s_or_b64 s[0:1], s[4:5], vcc
	v_and_b32_e32 v1, 3, v0
	ds_write2st64_b32 v13, v14, v14 offset1:16
	s_waitcnt vmcnt(0)
	v_xor_b32_e32 v13, 0xffff8000, v2
	s_xor_b64 s[6:7], s[0:1], -1
	v_mov_b32_e32 v14, s16
	s_waitcnt lgkmcnt(0)
	s_barrier
	s_and_saveexec_b64 s[0:1], s[6:7]
	s_cbranch_execz .LBB1384_19
; %bb.18:
	s_sub_i32 s6, s3, s2
	s_min_u32 s6, s6, 8
	v_lshrrev_b32_sdwa v14, s2, v13 dst_sel:DWORD dst_unused:UNUSED_PAD src0_sel:DWORD src1_sel:WORD_0
	v_bfe_u32 v14, v14, 0, s6
	v_lshlrev_b32_e32 v15, 2, v1
	v_lshl_or_b32 v14, v14, 4, v15
	v_mov_b32_e32 v15, 1
	ds_add_u32 v14, v15
	v_mov_b32_e32 v14, 0
.LBB1384_19:
	s_or_b64 exec, exec, s[0:1]
	v_cmp_gt_i32_e64 s[0:1], 10, v14
	s_mov_b64 s[6:7], -1
	s_and_saveexec_b64 s[14:15], s[0:1]
; %bb.20:
	v_cmp_eq_u32_e64 s[0:1], 0, v14
	s_orn2_b64 s[6:7], s[0:1], exec
; %bb.21:
	s_or_b64 exec, exec, s[14:15]
	s_and_saveexec_b64 s[0:1], s[6:7]
	s_cbranch_execz .LBB1384_24
; %bb.22:
	s_add_i32 s6, s2, 8
	s_cmp_gt_u32 s3, s6
	s_cselect_b64 s[14:15], -1, 0
	s_xor_b64 s[18:19], vcc, -1
	s_and_b64 s[14:15], s[14:15], s[18:19]
	s_and_b64 exec, exec, s[14:15]
	s_cbranch_execz .LBB1384_24
; %bb.23:
	s_sub_i32 s7, s3, s6
	s_min_u32 s7, s7, 8
	v_lshrrev_b32_sdwa v13, s6, v13 dst_sel:DWORD dst_unused:UNUSED_PAD src0_sel:DWORD src1_sel:WORD_0
	v_bfe_u32 v13, v13, 0, s7
	v_lshlrev_b32_e32 v14, 2, v1
	v_lshl_or_b32 v13, v13, 4, v14
	v_mov_b32_e32 v14, 1
	ds_add_u32 v13, v14 offset:4096
.LBB1384_24:
	s_or_b64 exec, exec, s[0:1]
	s_movk_i32 s0, 0x8000
	v_cmp_le_u32_e32 vcc, s13, v12
	v_xor_b32_sdwa v2, v2, s0 dst_sel:DWORD dst_unused:UNUSED_PAD src0_sel:WORD_1 src1_sel:DWORD
	s_or_b64 s[0:1], s[4:5], vcc
	s_xor_b64 s[6:7], s[0:1], -1
	v_mov_b32_e32 v12, s16
	s_and_saveexec_b64 s[0:1], s[6:7]
	s_cbranch_execz .LBB1384_26
; %bb.25:
	s_sub_i32 s6, s3, s2
	s_min_u32 s6, s6, 8
	v_lshrrev_b32_sdwa v12, s2, v2 dst_sel:DWORD dst_unused:UNUSED_PAD src0_sel:DWORD src1_sel:WORD_0
	v_bfe_u32 v12, v12, 0, s6
	v_lshlrev_b32_e32 v13, 2, v1
	v_lshl_or_b32 v12, v12, 4, v13
	v_mov_b32_e32 v13, 1
	ds_add_u32 v12, v13
	v_mov_b32_e32 v12, 0
.LBB1384_26:
	s_or_b64 exec, exec, s[0:1]
	v_cmp_gt_i32_e64 s[0:1], 10, v12
	s_mov_b64 s[6:7], -1
	s_and_saveexec_b64 s[14:15], s[0:1]
; %bb.27:
	v_cmp_eq_u32_e64 s[0:1], 0, v12
	s_orn2_b64 s[6:7], s[0:1], exec
; %bb.28:
	s_or_b64 exec, exec, s[14:15]
	s_and_saveexec_b64 s[0:1], s[6:7]
	s_cbranch_execz .LBB1384_31
; %bb.29:
	s_add_i32 s6, s2, 8
	s_cmp_gt_u32 s3, s6
	s_cselect_b64 s[14:15], -1, 0
	s_xor_b64 s[18:19], vcc, -1
	s_and_b64 s[14:15], s[14:15], s[18:19]
	s_and_b64 exec, exec, s[14:15]
	s_cbranch_execz .LBB1384_31
; %bb.30:
	s_sub_i32 s7, s3, s6
	s_min_u32 s7, s7, 8
	v_lshrrev_b32_sdwa v2, s6, v2 dst_sel:DWORD dst_unused:UNUSED_PAD src0_sel:DWORD src1_sel:WORD_0
	v_bfe_u32 v2, v2, 0, s7
	v_lshlrev_b32_e32 v12, 2, v1
	v_lshl_or_b32 v2, v2, 4, v12
	v_mov_b32_e32 v12, 1
	ds_add_u32 v2, v12 offset:4096
.LBB1384_31:
	s_or_b64 exec, exec, s[0:1]
	v_cmp_le_u32_e32 vcc, s13, v11
	s_or_b64 s[0:1], s[4:5], vcc
	v_xor_b32_e32 v2, 0xffff8000, v3
	s_xor_b64 s[6:7], s[0:1], -1
	v_mov_b32_e32 v11, s16
	s_and_saveexec_b64 s[0:1], s[6:7]
	s_cbranch_execz .LBB1384_33
; %bb.32:
	s_sub_i32 s6, s3, s2
	s_min_u32 s6, s6, 8
	v_lshrrev_b32_sdwa v11, s2, v2 dst_sel:DWORD dst_unused:UNUSED_PAD src0_sel:DWORD src1_sel:WORD_0
	v_bfe_u32 v11, v11, 0, s6
	v_lshlrev_b32_e32 v12, 2, v1
	v_lshl_or_b32 v11, v11, 4, v12
	v_mov_b32_e32 v12, 1
	ds_add_u32 v11, v12
	v_mov_b32_e32 v11, 0
.LBB1384_33:
	s_or_b64 exec, exec, s[0:1]
	v_cmp_gt_i32_e64 s[0:1], 10, v11
	s_mov_b64 s[6:7], -1
	s_and_saveexec_b64 s[14:15], s[0:1]
; %bb.34:
	v_cmp_eq_u32_e64 s[0:1], 0, v11
	s_orn2_b64 s[6:7], s[0:1], exec
; %bb.35:
	s_or_b64 exec, exec, s[14:15]
	s_and_saveexec_b64 s[0:1], s[6:7]
	s_cbranch_execz .LBB1384_38
; %bb.36:
	s_add_i32 s6, s2, 8
	s_cmp_gt_u32 s3, s6
	s_cselect_b64 s[14:15], -1, 0
	s_xor_b64 s[18:19], vcc, -1
	s_and_b64 s[14:15], s[14:15], s[18:19]
	s_and_b64 exec, exec, s[14:15]
	s_cbranch_execz .LBB1384_38
; %bb.37:
	s_sub_i32 s7, s3, s6
	s_min_u32 s7, s7, 8
	v_lshrrev_b32_sdwa v2, s6, v2 dst_sel:DWORD dst_unused:UNUSED_PAD src0_sel:DWORD src1_sel:WORD_0
	v_bfe_u32 v2, v2, 0, s7
	v_lshlrev_b32_e32 v11, 2, v1
	v_lshl_or_b32 v2, v2, 4, v11
	v_mov_b32_e32 v11, 1
	ds_add_u32 v2, v11 offset:4096
.LBB1384_38:
	s_or_b64 exec, exec, s[0:1]
	s_movk_i32 s0, 0x8000
	v_cmp_le_u32_e32 vcc, s13, v10
	v_xor_b32_sdwa v2, v3, s0 dst_sel:DWORD dst_unused:UNUSED_PAD src0_sel:WORD_1 src1_sel:DWORD
	s_or_b64 s[0:1], s[4:5], vcc
	s_xor_b64 s[6:7], s[0:1], -1
	v_mov_b32_e32 v3, s16
	s_and_saveexec_b64 s[0:1], s[6:7]
	s_cbranch_execz .LBB1384_40
; %bb.39:
	s_sub_i32 s6, s3, s2
	s_min_u32 s6, s6, 8
	v_lshrrev_b32_sdwa v3, s2, v2 dst_sel:DWORD dst_unused:UNUSED_PAD src0_sel:DWORD src1_sel:WORD_0
	v_bfe_u32 v3, v3, 0, s6
	v_lshlrev_b32_e32 v10, 2, v1
	v_lshl_or_b32 v3, v3, 4, v10
	v_mov_b32_e32 v10, 1
	ds_add_u32 v3, v10
	v_mov_b32_e32 v3, 0
.LBB1384_40:
	s_or_b64 exec, exec, s[0:1]
	v_cmp_gt_i32_e64 s[0:1], 10, v3
	s_mov_b64 s[6:7], -1
	s_and_saveexec_b64 s[14:15], s[0:1]
; %bb.41:
	v_cmp_eq_u32_e64 s[0:1], 0, v3
	s_orn2_b64 s[6:7], s[0:1], exec
; %bb.42:
	s_or_b64 exec, exec, s[14:15]
	s_and_saveexec_b64 s[0:1], s[6:7]
	s_cbranch_execz .LBB1384_45
; %bb.43:
	s_add_i32 s6, s2, 8
	s_cmp_gt_u32 s3, s6
	s_cselect_b64 s[14:15], -1, 0
	s_xor_b64 s[18:19], vcc, -1
	s_and_b64 s[14:15], s[14:15], s[18:19]
	s_and_b64 exec, exec, s[14:15]
	s_cbranch_execz .LBB1384_45
; %bb.44:
	s_sub_i32 s7, s3, s6
	s_min_u32 s7, s7, 8
	v_lshrrev_b32_sdwa v2, s6, v2 dst_sel:DWORD dst_unused:UNUSED_PAD src0_sel:DWORD src1_sel:WORD_0
	v_bfe_u32 v2, v2, 0, s7
	v_lshlrev_b32_e32 v3, 2, v1
	v_lshl_or_b32 v2, v2, 4, v3
	v_mov_b32_e32 v3, 1
	ds_add_u32 v2, v3 offset:4096
.LBB1384_45:
	s_or_b64 exec, exec, s[0:1]
	v_cmp_le_u32_e32 vcc, s13, v9
	s_or_b64 s[0:1], s[4:5], vcc
	v_xor_b32_e32 v2, 0xffff8000, v4
	s_xor_b64 s[6:7], s[0:1], -1
	v_mov_b32_e32 v3, s16
	s_and_saveexec_b64 s[0:1], s[6:7]
	s_cbranch_execz .LBB1384_47
; %bb.46:
	s_sub_i32 s6, s3, s2
	s_min_u32 s6, s6, 8
	v_lshrrev_b32_sdwa v3, s2, v2 dst_sel:DWORD dst_unused:UNUSED_PAD src0_sel:DWORD src1_sel:WORD_0
	v_bfe_u32 v3, v3, 0, s6
	v_lshlrev_b32_e32 v9, 2, v1
	v_lshl_or_b32 v3, v3, 4, v9
	v_mov_b32_e32 v9, 1
	ds_add_u32 v3, v9
	v_mov_b32_e32 v3, 0
.LBB1384_47:
	s_or_b64 exec, exec, s[0:1]
	v_cmp_gt_i32_e64 s[0:1], 10, v3
	s_mov_b64 s[6:7], -1
	s_and_saveexec_b64 s[14:15], s[0:1]
; %bb.48:
	v_cmp_eq_u32_e64 s[0:1], 0, v3
	s_orn2_b64 s[6:7], s[0:1], exec
; %bb.49:
	s_or_b64 exec, exec, s[14:15]
	s_and_saveexec_b64 s[0:1], s[6:7]
	s_cbranch_execz .LBB1384_52
; %bb.50:
	s_add_i32 s6, s2, 8
	s_cmp_gt_u32 s3, s6
	s_cselect_b64 s[14:15], -1, 0
	s_xor_b64 s[18:19], vcc, -1
	s_and_b64 s[14:15], s[14:15], s[18:19]
	s_and_b64 exec, exec, s[14:15]
	s_cbranch_execz .LBB1384_52
; %bb.51:
	s_sub_i32 s7, s3, s6
	s_min_u32 s7, s7, 8
	v_lshrrev_b32_sdwa v2, s6, v2 dst_sel:DWORD dst_unused:UNUSED_PAD src0_sel:DWORD src1_sel:WORD_0
	v_bfe_u32 v2, v2, 0, s7
	v_lshlrev_b32_e32 v3, 2, v1
	v_lshl_or_b32 v2, v2, 4, v3
	v_mov_b32_e32 v3, 1
	ds_add_u32 v2, v3 offset:4096
.LBB1384_52:
	s_or_b64 exec, exec, s[0:1]
	s_movk_i32 s0, 0x8000
	v_cmp_le_u32_e32 vcc, s13, v8
	v_xor_b32_sdwa v2, v4, s0 dst_sel:DWORD dst_unused:UNUSED_PAD src0_sel:WORD_1 src1_sel:DWORD
	s_or_b64 s[0:1], s[4:5], vcc
	s_xor_b64 s[6:7], s[0:1], -1
	v_mov_b32_e32 v3, s16
	s_and_saveexec_b64 s[0:1], s[6:7]
	s_cbranch_execz .LBB1384_54
; %bb.53:
	s_sub_i32 s6, s3, s2
	s_min_u32 s6, s6, 8
	v_lshrrev_b32_sdwa v3, s2, v2 dst_sel:DWORD dst_unused:UNUSED_PAD src0_sel:DWORD src1_sel:WORD_0
	v_bfe_u32 v3, v3, 0, s6
	v_lshlrev_b32_e32 v4, 2, v1
	v_lshl_or_b32 v3, v3, 4, v4
	v_mov_b32_e32 v4, 1
	ds_add_u32 v3, v4
	v_mov_b32_e32 v3, 0
.LBB1384_54:
	s_or_b64 exec, exec, s[0:1]
	v_cmp_gt_i32_e64 s[0:1], 10, v3
	s_mov_b64 s[6:7], -1
	s_and_saveexec_b64 s[14:15], s[0:1]
; %bb.55:
	v_cmp_eq_u32_e64 s[0:1], 0, v3
	s_orn2_b64 s[6:7], s[0:1], exec
; %bb.56:
	s_or_b64 exec, exec, s[14:15]
	s_and_saveexec_b64 s[0:1], s[6:7]
	s_cbranch_execz .LBB1384_59
; %bb.57:
	s_add_i32 s6, s2, 8
	s_cmp_gt_u32 s3, s6
	s_cselect_b64 s[14:15], -1, 0
	s_xor_b64 s[18:19], vcc, -1
	s_and_b64 s[14:15], s[14:15], s[18:19]
	s_and_b64 exec, exec, s[14:15]
	s_cbranch_execz .LBB1384_59
; %bb.58:
	s_sub_i32 s7, s3, s6
	s_min_u32 s7, s7, 8
	v_lshrrev_b32_sdwa v2, s6, v2 dst_sel:DWORD dst_unused:UNUSED_PAD src0_sel:DWORD src1_sel:WORD_0
	v_bfe_u32 v2, v2, 0, s7
	v_lshlrev_b32_e32 v3, 2, v1
	v_lshl_or_b32 v2, v2, 4, v3
	v_mov_b32_e32 v3, 1
	ds_add_u32 v2, v3 offset:4096
.LBB1384_59:
	s_or_b64 exec, exec, s[0:1]
	v_cmp_le_u32_e32 vcc, s13, v7
	s_or_b64 s[0:1], s[4:5], vcc
	v_xor_b32_e32 v2, 0xffff8000, v5
	s_xor_b64 s[6:7], s[0:1], -1
	v_mov_b32_e32 v3, s16
	s_and_saveexec_b64 s[0:1], s[6:7]
	s_cbranch_execz .LBB1384_61
; %bb.60:
	s_sub_i32 s6, s3, s2
	s_min_u32 s6, s6, 8
	v_lshrrev_b32_sdwa v3, s2, v2 dst_sel:DWORD dst_unused:UNUSED_PAD src0_sel:DWORD src1_sel:WORD_0
	v_bfe_u32 v3, v3, 0, s6
	v_lshlrev_b32_e32 v4, 2, v1
	v_lshl_or_b32 v3, v3, 4, v4
	v_mov_b32_e32 v4, 1
	ds_add_u32 v3, v4
	v_mov_b32_e32 v3, 0
.LBB1384_61:
	s_or_b64 exec, exec, s[0:1]
	v_cmp_gt_i32_e64 s[0:1], 10, v3
	s_mov_b64 s[6:7], -1
	s_and_saveexec_b64 s[14:15], s[0:1]
; %bb.62:
	v_cmp_eq_u32_e64 s[0:1], 0, v3
	s_orn2_b64 s[6:7], s[0:1], exec
; %bb.63:
	s_or_b64 exec, exec, s[14:15]
	s_and_saveexec_b64 s[0:1], s[6:7]
	s_cbranch_execz .LBB1384_66
; %bb.64:
	s_add_i32 s6, s2, 8
	s_cmp_gt_u32 s3, s6
	s_cselect_b64 s[14:15], -1, 0
	s_xor_b64 s[18:19], vcc, -1
	s_and_b64 s[14:15], s[14:15], s[18:19]
	s_and_b64 exec, exec, s[14:15]
	s_cbranch_execz .LBB1384_66
; %bb.65:
	s_sub_i32 s7, s3, s6
	s_min_u32 s7, s7, 8
	v_lshrrev_b32_sdwa v2, s6, v2 dst_sel:DWORD dst_unused:UNUSED_PAD src0_sel:DWORD src1_sel:WORD_0
	v_bfe_u32 v2, v2, 0, s7
	v_lshlrev_b32_e32 v3, 2, v1
	v_lshl_or_b32 v2, v2, 4, v3
	v_mov_b32_e32 v3, 1
	ds_add_u32 v2, v3 offset:4096
.LBB1384_66:
	s_or_b64 exec, exec, s[0:1]
	s_movk_i32 s0, 0x8000
	v_cmp_le_u32_e32 vcc, s13, v6
	v_xor_b32_sdwa v2, v5, s0 dst_sel:DWORD dst_unused:UNUSED_PAD src0_sel:WORD_1 src1_sel:DWORD
	s_or_b64 s[0:1], s[4:5], vcc
	s_xor_b64 s[4:5], s[0:1], -1
	v_mov_b32_e32 v3, s16
	s_and_saveexec_b64 s[0:1], s[4:5]
	s_cbranch_execz .LBB1384_68
; %bb.67:
	s_sub_i32 s4, s3, s2
	s_min_u32 s4, s4, 8
	v_lshrrev_b32_sdwa v3, s2, v2 dst_sel:DWORD dst_unused:UNUSED_PAD src0_sel:DWORD src1_sel:WORD_0
	v_bfe_u32 v3, v3, 0, s4
	v_lshlrev_b32_e32 v4, 2, v1
	v_lshl_or_b32 v3, v3, 4, v4
	v_mov_b32_e32 v4, 1
	ds_add_u32 v3, v4
	v_mov_b32_e32 v3, 0
.LBB1384_68:
	s_or_b64 exec, exec, s[0:1]
	v_cmp_gt_i32_e64 s[0:1], 10, v3
	s_mov_b64 s[4:5], -1
	s_and_saveexec_b64 s[6:7], s[0:1]
; %bb.69:
	v_cmp_eq_u32_e64 s[0:1], 0, v3
	s_orn2_b64 s[4:5], s[0:1], exec
; %bb.70:
	s_or_b64 exec, exec, s[6:7]
	s_and_saveexec_b64 s[0:1], s[4:5]
	s_cbranch_execz .LBB1384_73
; %bb.71:
	s_add_i32 s4, s2, 8
	s_cmp_gt_u32 s3, s4
	s_cselect_b64 s[6:7], -1, 0
	s_xor_b64 s[14:15], vcc, -1
	s_and_b64 s[6:7], s[6:7], s[14:15]
	s_and_b64 exec, exec, s[6:7]
	s_cbranch_execz .LBB1384_73
; %bb.72:
	s_sub_i32 s5, s3, s4
	s_min_u32 s5, s5, 8
	v_lshrrev_b32_sdwa v2, s4, v2 dst_sel:DWORD dst_unused:UNUSED_PAD src0_sel:DWORD src1_sel:WORD_0
	v_bfe_u32 v2, v2, 0, s5
	v_lshlrev_b32_e32 v1, 2, v1
	v_lshl_or_b32 v1, v2, 4, v1
	v_mov_b32_e32 v2, 1
	ds_add_u32 v1, v2 offset:4096
.LBB1384_73:
	s_or_b64 exec, exec, s[0:1]
	s_cmp_gt_u32 s3, s2
	s_waitcnt lgkmcnt(0)
	s_barrier
	s_cbranch_scc0 .LBB1384_78
; %bb.74:
	s_movk_i32 s0, 0x100
	v_cmp_gt_u32_e32 vcc, s0, v0
	v_lshlrev_b32_e32 v1, 4, v0
	v_mov_b32_e32 v3, 0
	v_mov_b32_e32 v2, v0
	s_mov_b32 s6, s2
	s_branch .LBB1384_76
.LBB1384_75:                            ;   in Loop: Header=BB1384_76 Depth=1
	s_or_b64 exec, exec, s[4:5]
	s_add_i32 s6, s6, 8
	v_add_u32_e32 v2, 0x100, v2
	s_cmp_lt_u32 s6, s3
	v_add_u32_e32 v1, 0x1000, v1
	s_cbranch_scc0 .LBB1384_78
.LBB1384_76:                            ; =>This Inner Loop Header: Depth=1
	s_and_saveexec_b64 s[4:5], vcc
	s_cbranch_execz .LBB1384_75
; %bb.77:                               ;   in Loop: Header=BB1384_76 Depth=1
	ds_read2_b32 v[4:5], v1 offset1:1
	ds_read2_b32 v[6:7], v1 offset0:2 offset1:3
	v_lshlrev_b64 v[8:9], 2, v[2:3]
	v_mov_b32_e32 v10, s11
	s_waitcnt lgkmcnt(1)
	v_add_u32_e32 v4, v5, v4
	s_waitcnt lgkmcnt(0)
	v_add3_u32 v6, v4, v6, v7
	v_add_co_u32_e64 v4, s[0:1], s10, v8
	v_addc_co_u32_e64 v5, s[0:1], v10, v9, s[0:1]
	global_atomic_add v[4:5], v6, off
	s_branch .LBB1384_75
.LBB1384_78:
	s_mov_b64 s[0:1], 0
.LBB1384_79:
	s_and_b64 vcc, exec, s[0:1]
	s_cbranch_vccz .LBB1384_114
; %bb.80:
	s_cmp_eq_u32 s2, 0
	s_cselect_b64 s[0:1], -1, 0
	s_cmp_eq_u32 s3, 16
	s_mov_b32 s13, 0
	s_cselect_b64 s[4:5], -1, 0
	s_and_b64 s[4:5], s[0:1], s[4:5]
	s_lshl_b64 s[0:1], s[12:13], 1
	s_add_u32 s0, s8, s0
	s_addc_u32 s1, s9, s1
	v_lshlrev_b32_e32 v1, 1, v0
	v_mov_b32_e32 v2, s1
	v_add_co_u32_e32 v6, vcc, s0, v1
	v_addc_co_u32_e32 v7, vcc, 0, v2, vcc
	s_movk_i32 s6, 0x1000
	v_add_co_u32_e32 v2, vcc, s6, v6
	v_addc_co_u32_e32 v3, vcc, 0, v7, vcc
	s_movk_i32 s6, 0x2000
	v_add_co_u32_e32 v4, vcc, s6, v6
	v_addc_co_u32_e32 v5, vcc, 0, v7, vcc
	global_load_ushort v8, v1, s[0:1]
	global_load_ushort v9, v1, s[0:1] offset:2048
	global_load_ushort v13, v[2:3], off offset:2048
	global_load_ushort v10, v[4:5], off offset:-4096
	global_load_ushort v14, v[4:5], off
	global_load_ushort v15, v[4:5], off offset:2048
	s_movk_i32 s0, 0x3000
	v_add_co_u32_e32 v2, vcc, s0, v6
	v_addc_co_u32_e32 v3, vcc, 0, v7, vcc
	global_load_ushort v5, v[2:3], off
	global_load_ushort v16, v[2:3], off offset:2048
	v_mov_b32_e32 v2, 0
	v_lshlrev_b32_e32 v1, 2, v0
	ds_write2st64_b32 v1, v2, v2 offset1:16
	v_and_b32_e32 v4, 3, v0
	s_mov_b64 s[0:1], -1
	s_and_b64 vcc, exec, s[4:5]
	s_waitcnt vmcnt(7) lgkmcnt(0)
	v_xor_b32_e32 v2, 0xffff8000, v8
	s_waitcnt vmcnt(6)
	v_xor_b32_e32 v11, 0xffff8000, v9
	v_and_b32_e32 v12, 0xffff, v2
	s_waitcnt vmcnt(4)
	v_xor_b32_e32 v10, 0xffff8000, v10
	v_xor_b32_e32 v9, 0xffff8000, v13
	s_waitcnt vmcnt(3)
	v_xor_b32_e32 v8, 0xffff8000, v14
	s_waitcnt vmcnt(2)
	;; [unrolled: 2-line block ×4, first 2 shown]
	v_xor_b32_e32 v5, 0xffff8000, v16
	s_cbranch_vccnz .LBB1384_111
; %bb.81:
	s_cmp_gt_u32 s3, s2
	s_cselect_b64 s[4:5], -1, 0
	s_and_b64 vcc, exec, s[4:5]
	v_lshlrev_b32_e32 v2, 2, v4
	s_barrier
	s_cbranch_vccz .LBB1384_84
; %bb.82:
	s_sub_i32 s0, s3, s2
	s_min_u32 s0, s0, 8
	v_lshrrev_b32_e32 v3, s2, v12
	v_bfe_u32 v3, v3, 0, s0
	v_lshl_or_b32 v13, v3, 4, v2
	v_mov_b32_e32 v3, 1
	ds_add_u32 v13, v3
	s_add_i32 s0, s2, 8
	s_cmp_le_u32 s3, s0
	s_cbranch_scc1 .LBB1384_84
; %bb.83:
	s_sub_i32 s1, s3, s0
	s_min_u32 s1, s1, 8
	v_lshrrev_b32_e32 v13, s0, v12
	v_bfe_u32 v13, v13, 0, s1
	v_lshl_or_b32 v13, v13, 4, v2
	ds_add_u32 v13, v3 offset:4096
.LBB1384_84:
	v_cndmask_b32_e64 v3, 0, 1, s[4:5]
	v_cmp_ne_u32_e64 s[0:1], 1, v3
	s_andn2_b64 vcc, exec, s[4:5]
	s_cbranch_vccnz .LBB1384_87
; %bb.85:
	s_sub_i32 s6, s3, s2
	s_min_u32 s6, s6, 8
	v_lshrrev_b32_sdwa v3, s2, v11 dst_sel:DWORD dst_unused:UNUSED_PAD src0_sel:DWORD src1_sel:WORD_0
	v_bfe_u32 v3, v3, 0, s6
	v_lshl_or_b32 v13, v3, 4, v2
	v_mov_b32_e32 v3, 1
	ds_add_u32 v13, v3
	s_add_i32 s6, s2, 8
	s_cmp_le_u32 s3, s6
	s_cbranch_scc1 .LBB1384_87
; %bb.86:
	s_sub_i32 s7, s3, s6
	s_min_u32 s7, s7, 8
	v_lshrrev_b32_sdwa v13, s6, v11 dst_sel:DWORD dst_unused:UNUSED_PAD src0_sel:DWORD src1_sel:WORD_0
	v_bfe_u32 v13, v13, 0, s7
	v_lshl_or_b32 v13, v13, 4, v2
	ds_add_u32 v13, v3 offset:4096
.LBB1384_87:
	s_and_b64 vcc, exec, s[0:1]
	s_cbranch_vccnz .LBB1384_90
; %bb.88:
	s_sub_i32 s6, s3, s2
	s_min_u32 s6, s6, 8
	v_lshrrev_b32_sdwa v3, s2, v10 dst_sel:DWORD dst_unused:UNUSED_PAD src0_sel:DWORD src1_sel:WORD_0
	v_bfe_u32 v3, v3, 0, s6
	v_lshl_or_b32 v13, v3, 4, v2
	v_mov_b32_e32 v3, 1
	ds_add_u32 v13, v3
	s_add_i32 s6, s2, 8
	s_cmp_le_u32 s3, s6
	s_cbranch_scc1 .LBB1384_90
; %bb.89:
	s_sub_i32 s7, s3, s6
	s_min_u32 s7, s7, 8
	v_lshrrev_b32_sdwa v13, s6, v10 dst_sel:DWORD dst_unused:UNUSED_PAD src0_sel:DWORD src1_sel:WORD_0
	v_bfe_u32 v13, v13, 0, s7
	v_lshl_or_b32 v13, v13, 4, v2
	ds_add_u32 v13, v3 offset:4096
.LBB1384_90:
	s_and_b64 vcc, exec, s[0:1]
	;; [unrolled: 21-line block ×7, first 2 shown]
	s_waitcnt lgkmcnt(0)
	s_barrier
	s_cbranch_vccz .LBB1384_110
; %bb.106:
	s_movk_i32 s0, 0x100
	v_cmp_gt_u32_e32 vcc, s0, v0
	v_lshlrev_b32_e32 v13, 4, v0
	v_mov_b32_e32 v3, 0
	v_mov_b32_e32 v2, v0
	s_branch .LBB1384_108
.LBB1384_107:                           ;   in Loop: Header=BB1384_108 Depth=1
	s_or_b64 exec, exec, s[4:5]
	s_add_i32 s2, s2, 8
	v_add_u32_e32 v2, 0x100, v2
	s_cmp_ge_u32 s2, s3
	v_add_u32_e32 v13, 0x1000, v13
	s_cbranch_scc1 .LBB1384_110
.LBB1384_108:                           ; =>This Inner Loop Header: Depth=1
	s_and_saveexec_b64 s[4:5], vcc
	s_cbranch_execz .LBB1384_107
; %bb.109:                              ;   in Loop: Header=BB1384_108 Depth=1
	ds_read2_b32 v[14:15], v13 offset1:1
	ds_read2_b32 v[16:17], v13 offset0:2 offset1:3
	v_lshlrev_b64 v[18:19], 2, v[2:3]
	v_mov_b32_e32 v20, s11
	s_waitcnt lgkmcnt(1)
	v_add_u32_e32 v14, v15, v14
	s_waitcnt lgkmcnt(0)
	v_add3_u32 v16, v14, v16, v17
	v_add_co_u32_e64 v14, s[0:1], s10, v18
	v_addc_co_u32_e64 v15, s[0:1], v20, v19, s[0:1]
	global_atomic_add v[14:15], v16, off
	s_branch .LBB1384_107
.LBB1384_110:
	s_mov_b64 s[0:1], 0
.LBB1384_111:
	s_and_b64 vcc, exec, s[0:1]
	s_cbranch_vccz .LBB1384_114
; %bb.112:
	v_lshlrev_b32_e32 v2, 2, v12
	s_movk_i32 s0, 0x3fc
	v_and_or_b32 v2, v2, s0, v4
	v_lshlrev_b32_e32 v2, 2, v2
	v_mov_b32_e32 v3, 1
	s_barrier
	ds_add_u32 v2, v3
	v_bfe_u32 v2, v12, 8, 8
	v_lshl_or_b32 v2, v2, 2, v4
	v_lshlrev_b32_e32 v2, 2, v2
	ds_add_u32 v2, v3 offset:4096
	v_and_b32_e32 v2, 0xffff, v11
	v_lshlrev_b32_e32 v11, 2, v2
	v_and_or_b32 v11, v11, s0, v4
	v_bfe_u32 v2, v2, 8, 8
	v_lshlrev_b32_e32 v11, 2, v11
	v_lshl_or_b32 v2, v2, 2, v4
	ds_add_u32 v11, v3
	v_lshlrev_b32_e32 v2, 2, v2
	ds_add_u32 v2, v3 offset:4096
	v_and_b32_e32 v2, 0xffff, v10
	v_lshlrev_b32_e32 v10, 2, v2
	v_and_or_b32 v10, v10, s0, v4
	v_bfe_u32 v2, v2, 8, 8
	v_lshlrev_b32_e32 v10, 2, v10
	v_lshl_or_b32 v2, v2, 2, v4
	ds_add_u32 v10, v3
	;; [unrolled: 9-line block ×7, first 2 shown]
	v_lshlrev_b32_e32 v2, 2, v2
	ds_add_u32 v2, v3 offset:4096
	s_movk_i32 s0, 0x100
	v_cmp_gt_u32_e32 vcc, s0, v0
	s_waitcnt lgkmcnt(0)
	s_barrier
	s_and_saveexec_b64 s[0:1], vcc
	s_cbranch_execz .LBB1384_114
; %bb.113:
	v_lshlrev_b32_e32 v0, 4, v0
	ds_read2_b32 v[2:3], v0 offset1:1
	ds_read2_b32 v[4:5], v0 offset0:2 offset1:3
	v_add_u32_e32 v6, 0x1000, v0
	v_add_u32_e32 v0, 0x1008, v0
	s_waitcnt lgkmcnt(1)
	v_add_u32_e32 v2, v3, v2
	s_waitcnt lgkmcnt(0)
	v_add3_u32 v2, v2, v4, v5
	global_atomic_add v1, v2, s[10:11]
	ds_read2_b32 v[2:3], v6 offset1:1
	ds_read2_b32 v[4:5], v0 offset1:1
	s_waitcnt lgkmcnt(1)
	v_add_u32_e32 v0, v3, v2
	s_waitcnt lgkmcnt(0)
	v_add3_u32 v0, v0, v4, v5
	global_atomic_add v1, v0, s[10:11] offset:1024
.LBB1384_114:
	s_endpgm
	.section	.rodata,"a",@progbits
	.p2align	6, 0x0
	.amdhsa_kernel _ZN7rocprim17ROCPRIM_400000_NS6detail17trampoline_kernelINS0_14default_configENS1_35radix_sort_onesweep_config_selectorIslEEZNS1_34radix_sort_onesweep_global_offsetsIS3_Lb0EPsN6thrust23THRUST_200600_302600_NS10device_ptrIlEEjNS0_19identity_decomposerEEE10hipError_tT1_T2_PT3_SG_jT4_jjP12ihipStream_tbEUlT_E_NS1_11comp_targetILNS1_3genE4ELNS1_11target_archE910ELNS1_3gpuE8ELNS1_3repE0EEENS1_52radix_sort_onesweep_histogram_config_static_selectorELNS0_4arch9wavefront6targetE1EEEvSE_
		.amdhsa_group_segment_fixed_size 8192
		.amdhsa_private_segment_fixed_size 0
		.amdhsa_kernarg_size 40
		.amdhsa_user_sgpr_count 6
		.amdhsa_user_sgpr_private_segment_buffer 1
		.amdhsa_user_sgpr_dispatch_ptr 0
		.amdhsa_user_sgpr_queue_ptr 0
		.amdhsa_user_sgpr_kernarg_segment_ptr 1
		.amdhsa_user_sgpr_dispatch_id 0
		.amdhsa_user_sgpr_flat_scratch_init 0
		.amdhsa_user_sgpr_kernarg_preload_length 0
		.amdhsa_user_sgpr_kernarg_preload_offset 0
		.amdhsa_user_sgpr_private_segment_size 0
		.amdhsa_uses_dynamic_stack 0
		.amdhsa_system_sgpr_private_segment_wavefront_offset 0
		.amdhsa_system_sgpr_workgroup_id_x 1
		.amdhsa_system_sgpr_workgroup_id_y 0
		.amdhsa_system_sgpr_workgroup_id_z 0
		.amdhsa_system_sgpr_workgroup_info 0
		.amdhsa_system_vgpr_workitem_id 0
		.amdhsa_next_free_vgpr 21
		.amdhsa_next_free_sgpr 20
		.amdhsa_accum_offset 24
		.amdhsa_reserve_vcc 1
		.amdhsa_reserve_flat_scratch 0
		.amdhsa_float_round_mode_32 0
		.amdhsa_float_round_mode_16_64 0
		.amdhsa_float_denorm_mode_32 3
		.amdhsa_float_denorm_mode_16_64 3
		.amdhsa_dx10_clamp 1
		.amdhsa_ieee_mode 1
		.amdhsa_fp16_overflow 0
		.amdhsa_tg_split 0
		.amdhsa_exception_fp_ieee_invalid_op 0
		.amdhsa_exception_fp_denorm_src 0
		.amdhsa_exception_fp_ieee_div_zero 0
		.amdhsa_exception_fp_ieee_overflow 0
		.amdhsa_exception_fp_ieee_underflow 0
		.amdhsa_exception_fp_ieee_inexact 0
		.amdhsa_exception_int_div_zero 0
	.end_amdhsa_kernel
	.section	.text._ZN7rocprim17ROCPRIM_400000_NS6detail17trampoline_kernelINS0_14default_configENS1_35radix_sort_onesweep_config_selectorIslEEZNS1_34radix_sort_onesweep_global_offsetsIS3_Lb0EPsN6thrust23THRUST_200600_302600_NS10device_ptrIlEEjNS0_19identity_decomposerEEE10hipError_tT1_T2_PT3_SG_jT4_jjP12ihipStream_tbEUlT_E_NS1_11comp_targetILNS1_3genE4ELNS1_11target_archE910ELNS1_3gpuE8ELNS1_3repE0EEENS1_52radix_sort_onesweep_histogram_config_static_selectorELNS0_4arch9wavefront6targetE1EEEvSE_,"axG",@progbits,_ZN7rocprim17ROCPRIM_400000_NS6detail17trampoline_kernelINS0_14default_configENS1_35radix_sort_onesweep_config_selectorIslEEZNS1_34radix_sort_onesweep_global_offsetsIS3_Lb0EPsN6thrust23THRUST_200600_302600_NS10device_ptrIlEEjNS0_19identity_decomposerEEE10hipError_tT1_T2_PT3_SG_jT4_jjP12ihipStream_tbEUlT_E_NS1_11comp_targetILNS1_3genE4ELNS1_11target_archE910ELNS1_3gpuE8ELNS1_3repE0EEENS1_52radix_sort_onesweep_histogram_config_static_selectorELNS0_4arch9wavefront6targetE1EEEvSE_,comdat
.Lfunc_end1384:
	.size	_ZN7rocprim17ROCPRIM_400000_NS6detail17trampoline_kernelINS0_14default_configENS1_35radix_sort_onesweep_config_selectorIslEEZNS1_34radix_sort_onesweep_global_offsetsIS3_Lb0EPsN6thrust23THRUST_200600_302600_NS10device_ptrIlEEjNS0_19identity_decomposerEEE10hipError_tT1_T2_PT3_SG_jT4_jjP12ihipStream_tbEUlT_E_NS1_11comp_targetILNS1_3genE4ELNS1_11target_archE910ELNS1_3gpuE8ELNS1_3repE0EEENS1_52radix_sort_onesweep_histogram_config_static_selectorELNS0_4arch9wavefront6targetE1EEEvSE_, .Lfunc_end1384-_ZN7rocprim17ROCPRIM_400000_NS6detail17trampoline_kernelINS0_14default_configENS1_35radix_sort_onesweep_config_selectorIslEEZNS1_34radix_sort_onesweep_global_offsetsIS3_Lb0EPsN6thrust23THRUST_200600_302600_NS10device_ptrIlEEjNS0_19identity_decomposerEEE10hipError_tT1_T2_PT3_SG_jT4_jjP12ihipStream_tbEUlT_E_NS1_11comp_targetILNS1_3genE4ELNS1_11target_archE910ELNS1_3gpuE8ELNS1_3repE0EEENS1_52radix_sort_onesweep_histogram_config_static_selectorELNS0_4arch9wavefront6targetE1EEEvSE_
                                        ; -- End function
	.section	.AMDGPU.csdata,"",@progbits
; Kernel info:
; codeLenInByte = 4328
; NumSgprs: 24
; NumVgprs: 21
; NumAgprs: 0
; TotalNumVgprs: 21
; ScratchSize: 0
; MemoryBound: 0
; FloatMode: 240
; IeeeMode: 1
; LDSByteSize: 8192 bytes/workgroup (compile time only)
; SGPRBlocks: 2
; VGPRBlocks: 2
; NumSGPRsForWavesPerEU: 24
; NumVGPRsForWavesPerEU: 21
; AccumOffset: 24
; Occupancy: 8
; WaveLimiterHint : 1
; COMPUTE_PGM_RSRC2:SCRATCH_EN: 0
; COMPUTE_PGM_RSRC2:USER_SGPR: 6
; COMPUTE_PGM_RSRC2:TRAP_HANDLER: 0
; COMPUTE_PGM_RSRC2:TGID_X_EN: 1
; COMPUTE_PGM_RSRC2:TGID_Y_EN: 0
; COMPUTE_PGM_RSRC2:TGID_Z_EN: 0
; COMPUTE_PGM_RSRC2:TIDIG_COMP_CNT: 0
; COMPUTE_PGM_RSRC3_GFX90A:ACCUM_OFFSET: 5
; COMPUTE_PGM_RSRC3_GFX90A:TG_SPLIT: 0
	.section	.text._ZN7rocprim17ROCPRIM_400000_NS6detail17trampoline_kernelINS0_14default_configENS1_35radix_sort_onesweep_config_selectorIslEEZNS1_34radix_sort_onesweep_global_offsetsIS3_Lb0EPsN6thrust23THRUST_200600_302600_NS10device_ptrIlEEjNS0_19identity_decomposerEEE10hipError_tT1_T2_PT3_SG_jT4_jjP12ihipStream_tbEUlT_E_NS1_11comp_targetILNS1_3genE3ELNS1_11target_archE908ELNS1_3gpuE7ELNS1_3repE0EEENS1_52radix_sort_onesweep_histogram_config_static_selectorELNS0_4arch9wavefront6targetE1EEEvSE_,"axG",@progbits,_ZN7rocprim17ROCPRIM_400000_NS6detail17trampoline_kernelINS0_14default_configENS1_35radix_sort_onesweep_config_selectorIslEEZNS1_34radix_sort_onesweep_global_offsetsIS3_Lb0EPsN6thrust23THRUST_200600_302600_NS10device_ptrIlEEjNS0_19identity_decomposerEEE10hipError_tT1_T2_PT3_SG_jT4_jjP12ihipStream_tbEUlT_E_NS1_11comp_targetILNS1_3genE3ELNS1_11target_archE908ELNS1_3gpuE7ELNS1_3repE0EEENS1_52radix_sort_onesweep_histogram_config_static_selectorELNS0_4arch9wavefront6targetE1EEEvSE_,comdat
	.protected	_ZN7rocprim17ROCPRIM_400000_NS6detail17trampoline_kernelINS0_14default_configENS1_35radix_sort_onesweep_config_selectorIslEEZNS1_34radix_sort_onesweep_global_offsetsIS3_Lb0EPsN6thrust23THRUST_200600_302600_NS10device_ptrIlEEjNS0_19identity_decomposerEEE10hipError_tT1_T2_PT3_SG_jT4_jjP12ihipStream_tbEUlT_E_NS1_11comp_targetILNS1_3genE3ELNS1_11target_archE908ELNS1_3gpuE7ELNS1_3repE0EEENS1_52radix_sort_onesweep_histogram_config_static_selectorELNS0_4arch9wavefront6targetE1EEEvSE_ ; -- Begin function _ZN7rocprim17ROCPRIM_400000_NS6detail17trampoline_kernelINS0_14default_configENS1_35radix_sort_onesweep_config_selectorIslEEZNS1_34radix_sort_onesweep_global_offsetsIS3_Lb0EPsN6thrust23THRUST_200600_302600_NS10device_ptrIlEEjNS0_19identity_decomposerEEE10hipError_tT1_T2_PT3_SG_jT4_jjP12ihipStream_tbEUlT_E_NS1_11comp_targetILNS1_3genE3ELNS1_11target_archE908ELNS1_3gpuE7ELNS1_3repE0EEENS1_52radix_sort_onesweep_histogram_config_static_selectorELNS0_4arch9wavefront6targetE1EEEvSE_
	.globl	_ZN7rocprim17ROCPRIM_400000_NS6detail17trampoline_kernelINS0_14default_configENS1_35radix_sort_onesweep_config_selectorIslEEZNS1_34radix_sort_onesweep_global_offsetsIS3_Lb0EPsN6thrust23THRUST_200600_302600_NS10device_ptrIlEEjNS0_19identity_decomposerEEE10hipError_tT1_T2_PT3_SG_jT4_jjP12ihipStream_tbEUlT_E_NS1_11comp_targetILNS1_3genE3ELNS1_11target_archE908ELNS1_3gpuE7ELNS1_3repE0EEENS1_52radix_sort_onesweep_histogram_config_static_selectorELNS0_4arch9wavefront6targetE1EEEvSE_
	.p2align	8
	.type	_ZN7rocprim17ROCPRIM_400000_NS6detail17trampoline_kernelINS0_14default_configENS1_35radix_sort_onesweep_config_selectorIslEEZNS1_34radix_sort_onesweep_global_offsetsIS3_Lb0EPsN6thrust23THRUST_200600_302600_NS10device_ptrIlEEjNS0_19identity_decomposerEEE10hipError_tT1_T2_PT3_SG_jT4_jjP12ihipStream_tbEUlT_E_NS1_11comp_targetILNS1_3genE3ELNS1_11target_archE908ELNS1_3gpuE7ELNS1_3repE0EEENS1_52radix_sort_onesweep_histogram_config_static_selectorELNS0_4arch9wavefront6targetE1EEEvSE_,@function
_ZN7rocprim17ROCPRIM_400000_NS6detail17trampoline_kernelINS0_14default_configENS1_35radix_sort_onesweep_config_selectorIslEEZNS1_34radix_sort_onesweep_global_offsetsIS3_Lb0EPsN6thrust23THRUST_200600_302600_NS10device_ptrIlEEjNS0_19identity_decomposerEEE10hipError_tT1_T2_PT3_SG_jT4_jjP12ihipStream_tbEUlT_E_NS1_11comp_targetILNS1_3genE3ELNS1_11target_archE908ELNS1_3gpuE7ELNS1_3repE0EEENS1_52radix_sort_onesweep_histogram_config_static_selectorELNS0_4arch9wavefront6targetE1EEEvSE_: ; @_ZN7rocprim17ROCPRIM_400000_NS6detail17trampoline_kernelINS0_14default_configENS1_35radix_sort_onesweep_config_selectorIslEEZNS1_34radix_sort_onesweep_global_offsetsIS3_Lb0EPsN6thrust23THRUST_200600_302600_NS10device_ptrIlEEjNS0_19identity_decomposerEEE10hipError_tT1_T2_PT3_SG_jT4_jjP12ihipStream_tbEUlT_E_NS1_11comp_targetILNS1_3genE3ELNS1_11target_archE908ELNS1_3gpuE7ELNS1_3repE0EEENS1_52radix_sort_onesweep_histogram_config_static_selectorELNS0_4arch9wavefront6targetE1EEEvSE_
; %bb.0:
	.section	.rodata,"a",@progbits
	.p2align	6, 0x0
	.amdhsa_kernel _ZN7rocprim17ROCPRIM_400000_NS6detail17trampoline_kernelINS0_14default_configENS1_35radix_sort_onesweep_config_selectorIslEEZNS1_34radix_sort_onesweep_global_offsetsIS3_Lb0EPsN6thrust23THRUST_200600_302600_NS10device_ptrIlEEjNS0_19identity_decomposerEEE10hipError_tT1_T2_PT3_SG_jT4_jjP12ihipStream_tbEUlT_E_NS1_11comp_targetILNS1_3genE3ELNS1_11target_archE908ELNS1_3gpuE7ELNS1_3repE0EEENS1_52radix_sort_onesweep_histogram_config_static_selectorELNS0_4arch9wavefront6targetE1EEEvSE_
		.amdhsa_group_segment_fixed_size 0
		.amdhsa_private_segment_fixed_size 0
		.amdhsa_kernarg_size 40
		.amdhsa_user_sgpr_count 6
		.amdhsa_user_sgpr_private_segment_buffer 1
		.amdhsa_user_sgpr_dispatch_ptr 0
		.amdhsa_user_sgpr_queue_ptr 0
		.amdhsa_user_sgpr_kernarg_segment_ptr 1
		.amdhsa_user_sgpr_dispatch_id 0
		.amdhsa_user_sgpr_flat_scratch_init 0
		.amdhsa_user_sgpr_kernarg_preload_length 0
		.amdhsa_user_sgpr_kernarg_preload_offset 0
		.amdhsa_user_sgpr_private_segment_size 0
		.amdhsa_uses_dynamic_stack 0
		.amdhsa_system_sgpr_private_segment_wavefront_offset 0
		.amdhsa_system_sgpr_workgroup_id_x 1
		.amdhsa_system_sgpr_workgroup_id_y 0
		.amdhsa_system_sgpr_workgroup_id_z 0
		.amdhsa_system_sgpr_workgroup_info 0
		.amdhsa_system_vgpr_workitem_id 0
		.amdhsa_next_free_vgpr 1
		.amdhsa_next_free_sgpr 0
		.amdhsa_accum_offset 4
		.amdhsa_reserve_vcc 0
		.amdhsa_reserve_flat_scratch 0
		.amdhsa_float_round_mode_32 0
		.amdhsa_float_round_mode_16_64 0
		.amdhsa_float_denorm_mode_32 3
		.amdhsa_float_denorm_mode_16_64 3
		.amdhsa_dx10_clamp 1
		.amdhsa_ieee_mode 1
		.amdhsa_fp16_overflow 0
		.amdhsa_tg_split 0
		.amdhsa_exception_fp_ieee_invalid_op 0
		.amdhsa_exception_fp_denorm_src 0
		.amdhsa_exception_fp_ieee_div_zero 0
		.amdhsa_exception_fp_ieee_overflow 0
		.amdhsa_exception_fp_ieee_underflow 0
		.amdhsa_exception_fp_ieee_inexact 0
		.amdhsa_exception_int_div_zero 0
	.end_amdhsa_kernel
	.section	.text._ZN7rocprim17ROCPRIM_400000_NS6detail17trampoline_kernelINS0_14default_configENS1_35radix_sort_onesweep_config_selectorIslEEZNS1_34radix_sort_onesweep_global_offsetsIS3_Lb0EPsN6thrust23THRUST_200600_302600_NS10device_ptrIlEEjNS0_19identity_decomposerEEE10hipError_tT1_T2_PT3_SG_jT4_jjP12ihipStream_tbEUlT_E_NS1_11comp_targetILNS1_3genE3ELNS1_11target_archE908ELNS1_3gpuE7ELNS1_3repE0EEENS1_52radix_sort_onesweep_histogram_config_static_selectorELNS0_4arch9wavefront6targetE1EEEvSE_,"axG",@progbits,_ZN7rocprim17ROCPRIM_400000_NS6detail17trampoline_kernelINS0_14default_configENS1_35radix_sort_onesweep_config_selectorIslEEZNS1_34radix_sort_onesweep_global_offsetsIS3_Lb0EPsN6thrust23THRUST_200600_302600_NS10device_ptrIlEEjNS0_19identity_decomposerEEE10hipError_tT1_T2_PT3_SG_jT4_jjP12ihipStream_tbEUlT_E_NS1_11comp_targetILNS1_3genE3ELNS1_11target_archE908ELNS1_3gpuE7ELNS1_3repE0EEENS1_52radix_sort_onesweep_histogram_config_static_selectorELNS0_4arch9wavefront6targetE1EEEvSE_,comdat
.Lfunc_end1385:
	.size	_ZN7rocprim17ROCPRIM_400000_NS6detail17trampoline_kernelINS0_14default_configENS1_35radix_sort_onesweep_config_selectorIslEEZNS1_34radix_sort_onesweep_global_offsetsIS3_Lb0EPsN6thrust23THRUST_200600_302600_NS10device_ptrIlEEjNS0_19identity_decomposerEEE10hipError_tT1_T2_PT3_SG_jT4_jjP12ihipStream_tbEUlT_E_NS1_11comp_targetILNS1_3genE3ELNS1_11target_archE908ELNS1_3gpuE7ELNS1_3repE0EEENS1_52radix_sort_onesweep_histogram_config_static_selectorELNS0_4arch9wavefront6targetE1EEEvSE_, .Lfunc_end1385-_ZN7rocprim17ROCPRIM_400000_NS6detail17trampoline_kernelINS0_14default_configENS1_35radix_sort_onesweep_config_selectorIslEEZNS1_34radix_sort_onesweep_global_offsetsIS3_Lb0EPsN6thrust23THRUST_200600_302600_NS10device_ptrIlEEjNS0_19identity_decomposerEEE10hipError_tT1_T2_PT3_SG_jT4_jjP12ihipStream_tbEUlT_E_NS1_11comp_targetILNS1_3genE3ELNS1_11target_archE908ELNS1_3gpuE7ELNS1_3repE0EEENS1_52radix_sort_onesweep_histogram_config_static_selectorELNS0_4arch9wavefront6targetE1EEEvSE_
                                        ; -- End function
	.section	.AMDGPU.csdata,"",@progbits
; Kernel info:
; codeLenInByte = 0
; NumSgprs: 4
; NumVgprs: 0
; NumAgprs: 0
; TotalNumVgprs: 0
; ScratchSize: 0
; MemoryBound: 0
; FloatMode: 240
; IeeeMode: 1
; LDSByteSize: 0 bytes/workgroup (compile time only)
; SGPRBlocks: 0
; VGPRBlocks: 0
; NumSGPRsForWavesPerEU: 4
; NumVGPRsForWavesPerEU: 1
; AccumOffset: 4
; Occupancy: 8
; WaveLimiterHint : 0
; COMPUTE_PGM_RSRC2:SCRATCH_EN: 0
; COMPUTE_PGM_RSRC2:USER_SGPR: 6
; COMPUTE_PGM_RSRC2:TRAP_HANDLER: 0
; COMPUTE_PGM_RSRC2:TGID_X_EN: 1
; COMPUTE_PGM_RSRC2:TGID_Y_EN: 0
; COMPUTE_PGM_RSRC2:TGID_Z_EN: 0
; COMPUTE_PGM_RSRC2:TIDIG_COMP_CNT: 0
; COMPUTE_PGM_RSRC3_GFX90A:ACCUM_OFFSET: 0
; COMPUTE_PGM_RSRC3_GFX90A:TG_SPLIT: 0
	.section	.text._ZN7rocprim17ROCPRIM_400000_NS6detail17trampoline_kernelINS0_14default_configENS1_35radix_sort_onesweep_config_selectorIslEEZNS1_34radix_sort_onesweep_global_offsetsIS3_Lb0EPsN6thrust23THRUST_200600_302600_NS10device_ptrIlEEjNS0_19identity_decomposerEEE10hipError_tT1_T2_PT3_SG_jT4_jjP12ihipStream_tbEUlT_E_NS1_11comp_targetILNS1_3genE10ELNS1_11target_archE1201ELNS1_3gpuE5ELNS1_3repE0EEENS1_52radix_sort_onesweep_histogram_config_static_selectorELNS0_4arch9wavefront6targetE1EEEvSE_,"axG",@progbits,_ZN7rocprim17ROCPRIM_400000_NS6detail17trampoline_kernelINS0_14default_configENS1_35radix_sort_onesweep_config_selectorIslEEZNS1_34radix_sort_onesweep_global_offsetsIS3_Lb0EPsN6thrust23THRUST_200600_302600_NS10device_ptrIlEEjNS0_19identity_decomposerEEE10hipError_tT1_T2_PT3_SG_jT4_jjP12ihipStream_tbEUlT_E_NS1_11comp_targetILNS1_3genE10ELNS1_11target_archE1201ELNS1_3gpuE5ELNS1_3repE0EEENS1_52radix_sort_onesweep_histogram_config_static_selectorELNS0_4arch9wavefront6targetE1EEEvSE_,comdat
	.protected	_ZN7rocprim17ROCPRIM_400000_NS6detail17trampoline_kernelINS0_14default_configENS1_35radix_sort_onesweep_config_selectorIslEEZNS1_34radix_sort_onesweep_global_offsetsIS3_Lb0EPsN6thrust23THRUST_200600_302600_NS10device_ptrIlEEjNS0_19identity_decomposerEEE10hipError_tT1_T2_PT3_SG_jT4_jjP12ihipStream_tbEUlT_E_NS1_11comp_targetILNS1_3genE10ELNS1_11target_archE1201ELNS1_3gpuE5ELNS1_3repE0EEENS1_52radix_sort_onesweep_histogram_config_static_selectorELNS0_4arch9wavefront6targetE1EEEvSE_ ; -- Begin function _ZN7rocprim17ROCPRIM_400000_NS6detail17trampoline_kernelINS0_14default_configENS1_35radix_sort_onesweep_config_selectorIslEEZNS1_34radix_sort_onesweep_global_offsetsIS3_Lb0EPsN6thrust23THRUST_200600_302600_NS10device_ptrIlEEjNS0_19identity_decomposerEEE10hipError_tT1_T2_PT3_SG_jT4_jjP12ihipStream_tbEUlT_E_NS1_11comp_targetILNS1_3genE10ELNS1_11target_archE1201ELNS1_3gpuE5ELNS1_3repE0EEENS1_52radix_sort_onesweep_histogram_config_static_selectorELNS0_4arch9wavefront6targetE1EEEvSE_
	.globl	_ZN7rocprim17ROCPRIM_400000_NS6detail17trampoline_kernelINS0_14default_configENS1_35radix_sort_onesweep_config_selectorIslEEZNS1_34radix_sort_onesweep_global_offsetsIS3_Lb0EPsN6thrust23THRUST_200600_302600_NS10device_ptrIlEEjNS0_19identity_decomposerEEE10hipError_tT1_T2_PT3_SG_jT4_jjP12ihipStream_tbEUlT_E_NS1_11comp_targetILNS1_3genE10ELNS1_11target_archE1201ELNS1_3gpuE5ELNS1_3repE0EEENS1_52radix_sort_onesweep_histogram_config_static_selectorELNS0_4arch9wavefront6targetE1EEEvSE_
	.p2align	8
	.type	_ZN7rocprim17ROCPRIM_400000_NS6detail17trampoline_kernelINS0_14default_configENS1_35radix_sort_onesweep_config_selectorIslEEZNS1_34radix_sort_onesweep_global_offsetsIS3_Lb0EPsN6thrust23THRUST_200600_302600_NS10device_ptrIlEEjNS0_19identity_decomposerEEE10hipError_tT1_T2_PT3_SG_jT4_jjP12ihipStream_tbEUlT_E_NS1_11comp_targetILNS1_3genE10ELNS1_11target_archE1201ELNS1_3gpuE5ELNS1_3repE0EEENS1_52radix_sort_onesweep_histogram_config_static_selectorELNS0_4arch9wavefront6targetE1EEEvSE_,@function
_ZN7rocprim17ROCPRIM_400000_NS6detail17trampoline_kernelINS0_14default_configENS1_35radix_sort_onesweep_config_selectorIslEEZNS1_34radix_sort_onesweep_global_offsetsIS3_Lb0EPsN6thrust23THRUST_200600_302600_NS10device_ptrIlEEjNS0_19identity_decomposerEEE10hipError_tT1_T2_PT3_SG_jT4_jjP12ihipStream_tbEUlT_E_NS1_11comp_targetILNS1_3genE10ELNS1_11target_archE1201ELNS1_3gpuE5ELNS1_3repE0EEENS1_52radix_sort_onesweep_histogram_config_static_selectorELNS0_4arch9wavefront6targetE1EEEvSE_: ; @_ZN7rocprim17ROCPRIM_400000_NS6detail17trampoline_kernelINS0_14default_configENS1_35radix_sort_onesweep_config_selectorIslEEZNS1_34radix_sort_onesweep_global_offsetsIS3_Lb0EPsN6thrust23THRUST_200600_302600_NS10device_ptrIlEEjNS0_19identity_decomposerEEE10hipError_tT1_T2_PT3_SG_jT4_jjP12ihipStream_tbEUlT_E_NS1_11comp_targetILNS1_3genE10ELNS1_11target_archE1201ELNS1_3gpuE5ELNS1_3repE0EEENS1_52radix_sort_onesweep_histogram_config_static_selectorELNS0_4arch9wavefront6targetE1EEEvSE_
; %bb.0:
	.section	.rodata,"a",@progbits
	.p2align	6, 0x0
	.amdhsa_kernel _ZN7rocprim17ROCPRIM_400000_NS6detail17trampoline_kernelINS0_14default_configENS1_35radix_sort_onesweep_config_selectorIslEEZNS1_34radix_sort_onesweep_global_offsetsIS3_Lb0EPsN6thrust23THRUST_200600_302600_NS10device_ptrIlEEjNS0_19identity_decomposerEEE10hipError_tT1_T2_PT3_SG_jT4_jjP12ihipStream_tbEUlT_E_NS1_11comp_targetILNS1_3genE10ELNS1_11target_archE1201ELNS1_3gpuE5ELNS1_3repE0EEENS1_52radix_sort_onesweep_histogram_config_static_selectorELNS0_4arch9wavefront6targetE1EEEvSE_
		.amdhsa_group_segment_fixed_size 0
		.amdhsa_private_segment_fixed_size 0
		.amdhsa_kernarg_size 40
		.amdhsa_user_sgpr_count 6
		.amdhsa_user_sgpr_private_segment_buffer 1
		.amdhsa_user_sgpr_dispatch_ptr 0
		.amdhsa_user_sgpr_queue_ptr 0
		.amdhsa_user_sgpr_kernarg_segment_ptr 1
		.amdhsa_user_sgpr_dispatch_id 0
		.amdhsa_user_sgpr_flat_scratch_init 0
		.amdhsa_user_sgpr_kernarg_preload_length 0
		.amdhsa_user_sgpr_kernarg_preload_offset 0
		.amdhsa_user_sgpr_private_segment_size 0
		.amdhsa_uses_dynamic_stack 0
		.amdhsa_system_sgpr_private_segment_wavefront_offset 0
		.amdhsa_system_sgpr_workgroup_id_x 1
		.amdhsa_system_sgpr_workgroup_id_y 0
		.amdhsa_system_sgpr_workgroup_id_z 0
		.amdhsa_system_sgpr_workgroup_info 0
		.amdhsa_system_vgpr_workitem_id 0
		.amdhsa_next_free_vgpr 1
		.amdhsa_next_free_sgpr 0
		.amdhsa_accum_offset 4
		.amdhsa_reserve_vcc 0
		.amdhsa_reserve_flat_scratch 0
		.amdhsa_float_round_mode_32 0
		.amdhsa_float_round_mode_16_64 0
		.amdhsa_float_denorm_mode_32 3
		.amdhsa_float_denorm_mode_16_64 3
		.amdhsa_dx10_clamp 1
		.amdhsa_ieee_mode 1
		.amdhsa_fp16_overflow 0
		.amdhsa_tg_split 0
		.amdhsa_exception_fp_ieee_invalid_op 0
		.amdhsa_exception_fp_denorm_src 0
		.amdhsa_exception_fp_ieee_div_zero 0
		.amdhsa_exception_fp_ieee_overflow 0
		.amdhsa_exception_fp_ieee_underflow 0
		.amdhsa_exception_fp_ieee_inexact 0
		.amdhsa_exception_int_div_zero 0
	.end_amdhsa_kernel
	.section	.text._ZN7rocprim17ROCPRIM_400000_NS6detail17trampoline_kernelINS0_14default_configENS1_35radix_sort_onesweep_config_selectorIslEEZNS1_34radix_sort_onesweep_global_offsetsIS3_Lb0EPsN6thrust23THRUST_200600_302600_NS10device_ptrIlEEjNS0_19identity_decomposerEEE10hipError_tT1_T2_PT3_SG_jT4_jjP12ihipStream_tbEUlT_E_NS1_11comp_targetILNS1_3genE10ELNS1_11target_archE1201ELNS1_3gpuE5ELNS1_3repE0EEENS1_52radix_sort_onesweep_histogram_config_static_selectorELNS0_4arch9wavefront6targetE1EEEvSE_,"axG",@progbits,_ZN7rocprim17ROCPRIM_400000_NS6detail17trampoline_kernelINS0_14default_configENS1_35radix_sort_onesweep_config_selectorIslEEZNS1_34radix_sort_onesweep_global_offsetsIS3_Lb0EPsN6thrust23THRUST_200600_302600_NS10device_ptrIlEEjNS0_19identity_decomposerEEE10hipError_tT1_T2_PT3_SG_jT4_jjP12ihipStream_tbEUlT_E_NS1_11comp_targetILNS1_3genE10ELNS1_11target_archE1201ELNS1_3gpuE5ELNS1_3repE0EEENS1_52radix_sort_onesweep_histogram_config_static_selectorELNS0_4arch9wavefront6targetE1EEEvSE_,comdat
.Lfunc_end1386:
	.size	_ZN7rocprim17ROCPRIM_400000_NS6detail17trampoline_kernelINS0_14default_configENS1_35radix_sort_onesweep_config_selectorIslEEZNS1_34radix_sort_onesweep_global_offsetsIS3_Lb0EPsN6thrust23THRUST_200600_302600_NS10device_ptrIlEEjNS0_19identity_decomposerEEE10hipError_tT1_T2_PT3_SG_jT4_jjP12ihipStream_tbEUlT_E_NS1_11comp_targetILNS1_3genE10ELNS1_11target_archE1201ELNS1_3gpuE5ELNS1_3repE0EEENS1_52radix_sort_onesweep_histogram_config_static_selectorELNS0_4arch9wavefront6targetE1EEEvSE_, .Lfunc_end1386-_ZN7rocprim17ROCPRIM_400000_NS6detail17trampoline_kernelINS0_14default_configENS1_35radix_sort_onesweep_config_selectorIslEEZNS1_34radix_sort_onesweep_global_offsetsIS3_Lb0EPsN6thrust23THRUST_200600_302600_NS10device_ptrIlEEjNS0_19identity_decomposerEEE10hipError_tT1_T2_PT3_SG_jT4_jjP12ihipStream_tbEUlT_E_NS1_11comp_targetILNS1_3genE10ELNS1_11target_archE1201ELNS1_3gpuE5ELNS1_3repE0EEENS1_52radix_sort_onesweep_histogram_config_static_selectorELNS0_4arch9wavefront6targetE1EEEvSE_
                                        ; -- End function
	.section	.AMDGPU.csdata,"",@progbits
; Kernel info:
; codeLenInByte = 0
; NumSgprs: 4
; NumVgprs: 0
; NumAgprs: 0
; TotalNumVgprs: 0
; ScratchSize: 0
; MemoryBound: 0
; FloatMode: 240
; IeeeMode: 1
; LDSByteSize: 0 bytes/workgroup (compile time only)
; SGPRBlocks: 0
; VGPRBlocks: 0
; NumSGPRsForWavesPerEU: 4
; NumVGPRsForWavesPerEU: 1
; AccumOffset: 4
; Occupancy: 8
; WaveLimiterHint : 0
; COMPUTE_PGM_RSRC2:SCRATCH_EN: 0
; COMPUTE_PGM_RSRC2:USER_SGPR: 6
; COMPUTE_PGM_RSRC2:TRAP_HANDLER: 0
; COMPUTE_PGM_RSRC2:TGID_X_EN: 1
; COMPUTE_PGM_RSRC2:TGID_Y_EN: 0
; COMPUTE_PGM_RSRC2:TGID_Z_EN: 0
; COMPUTE_PGM_RSRC2:TIDIG_COMP_CNT: 0
; COMPUTE_PGM_RSRC3_GFX90A:ACCUM_OFFSET: 0
; COMPUTE_PGM_RSRC3_GFX90A:TG_SPLIT: 0
	.section	.text._ZN7rocprim17ROCPRIM_400000_NS6detail17trampoline_kernelINS0_14default_configENS1_35radix_sort_onesweep_config_selectorIslEEZNS1_34radix_sort_onesweep_global_offsetsIS3_Lb0EPsN6thrust23THRUST_200600_302600_NS10device_ptrIlEEjNS0_19identity_decomposerEEE10hipError_tT1_T2_PT3_SG_jT4_jjP12ihipStream_tbEUlT_E_NS1_11comp_targetILNS1_3genE9ELNS1_11target_archE1100ELNS1_3gpuE3ELNS1_3repE0EEENS1_52radix_sort_onesweep_histogram_config_static_selectorELNS0_4arch9wavefront6targetE1EEEvSE_,"axG",@progbits,_ZN7rocprim17ROCPRIM_400000_NS6detail17trampoline_kernelINS0_14default_configENS1_35radix_sort_onesweep_config_selectorIslEEZNS1_34radix_sort_onesweep_global_offsetsIS3_Lb0EPsN6thrust23THRUST_200600_302600_NS10device_ptrIlEEjNS0_19identity_decomposerEEE10hipError_tT1_T2_PT3_SG_jT4_jjP12ihipStream_tbEUlT_E_NS1_11comp_targetILNS1_3genE9ELNS1_11target_archE1100ELNS1_3gpuE3ELNS1_3repE0EEENS1_52radix_sort_onesweep_histogram_config_static_selectorELNS0_4arch9wavefront6targetE1EEEvSE_,comdat
	.protected	_ZN7rocprim17ROCPRIM_400000_NS6detail17trampoline_kernelINS0_14default_configENS1_35radix_sort_onesweep_config_selectorIslEEZNS1_34radix_sort_onesweep_global_offsetsIS3_Lb0EPsN6thrust23THRUST_200600_302600_NS10device_ptrIlEEjNS0_19identity_decomposerEEE10hipError_tT1_T2_PT3_SG_jT4_jjP12ihipStream_tbEUlT_E_NS1_11comp_targetILNS1_3genE9ELNS1_11target_archE1100ELNS1_3gpuE3ELNS1_3repE0EEENS1_52radix_sort_onesweep_histogram_config_static_selectorELNS0_4arch9wavefront6targetE1EEEvSE_ ; -- Begin function _ZN7rocprim17ROCPRIM_400000_NS6detail17trampoline_kernelINS0_14default_configENS1_35radix_sort_onesweep_config_selectorIslEEZNS1_34radix_sort_onesweep_global_offsetsIS3_Lb0EPsN6thrust23THRUST_200600_302600_NS10device_ptrIlEEjNS0_19identity_decomposerEEE10hipError_tT1_T2_PT3_SG_jT4_jjP12ihipStream_tbEUlT_E_NS1_11comp_targetILNS1_3genE9ELNS1_11target_archE1100ELNS1_3gpuE3ELNS1_3repE0EEENS1_52radix_sort_onesweep_histogram_config_static_selectorELNS0_4arch9wavefront6targetE1EEEvSE_
	.globl	_ZN7rocprim17ROCPRIM_400000_NS6detail17trampoline_kernelINS0_14default_configENS1_35radix_sort_onesweep_config_selectorIslEEZNS1_34radix_sort_onesweep_global_offsetsIS3_Lb0EPsN6thrust23THRUST_200600_302600_NS10device_ptrIlEEjNS0_19identity_decomposerEEE10hipError_tT1_T2_PT3_SG_jT4_jjP12ihipStream_tbEUlT_E_NS1_11comp_targetILNS1_3genE9ELNS1_11target_archE1100ELNS1_3gpuE3ELNS1_3repE0EEENS1_52radix_sort_onesweep_histogram_config_static_selectorELNS0_4arch9wavefront6targetE1EEEvSE_
	.p2align	8
	.type	_ZN7rocprim17ROCPRIM_400000_NS6detail17trampoline_kernelINS0_14default_configENS1_35radix_sort_onesweep_config_selectorIslEEZNS1_34radix_sort_onesweep_global_offsetsIS3_Lb0EPsN6thrust23THRUST_200600_302600_NS10device_ptrIlEEjNS0_19identity_decomposerEEE10hipError_tT1_T2_PT3_SG_jT4_jjP12ihipStream_tbEUlT_E_NS1_11comp_targetILNS1_3genE9ELNS1_11target_archE1100ELNS1_3gpuE3ELNS1_3repE0EEENS1_52radix_sort_onesweep_histogram_config_static_selectorELNS0_4arch9wavefront6targetE1EEEvSE_,@function
_ZN7rocprim17ROCPRIM_400000_NS6detail17trampoline_kernelINS0_14default_configENS1_35radix_sort_onesweep_config_selectorIslEEZNS1_34radix_sort_onesweep_global_offsetsIS3_Lb0EPsN6thrust23THRUST_200600_302600_NS10device_ptrIlEEjNS0_19identity_decomposerEEE10hipError_tT1_T2_PT3_SG_jT4_jjP12ihipStream_tbEUlT_E_NS1_11comp_targetILNS1_3genE9ELNS1_11target_archE1100ELNS1_3gpuE3ELNS1_3repE0EEENS1_52radix_sort_onesweep_histogram_config_static_selectorELNS0_4arch9wavefront6targetE1EEEvSE_: ; @_ZN7rocprim17ROCPRIM_400000_NS6detail17trampoline_kernelINS0_14default_configENS1_35radix_sort_onesweep_config_selectorIslEEZNS1_34radix_sort_onesweep_global_offsetsIS3_Lb0EPsN6thrust23THRUST_200600_302600_NS10device_ptrIlEEjNS0_19identity_decomposerEEE10hipError_tT1_T2_PT3_SG_jT4_jjP12ihipStream_tbEUlT_E_NS1_11comp_targetILNS1_3genE9ELNS1_11target_archE1100ELNS1_3gpuE3ELNS1_3repE0EEENS1_52radix_sort_onesweep_histogram_config_static_selectorELNS0_4arch9wavefront6targetE1EEEvSE_
; %bb.0:
	.section	.rodata,"a",@progbits
	.p2align	6, 0x0
	.amdhsa_kernel _ZN7rocprim17ROCPRIM_400000_NS6detail17trampoline_kernelINS0_14default_configENS1_35radix_sort_onesweep_config_selectorIslEEZNS1_34radix_sort_onesweep_global_offsetsIS3_Lb0EPsN6thrust23THRUST_200600_302600_NS10device_ptrIlEEjNS0_19identity_decomposerEEE10hipError_tT1_T2_PT3_SG_jT4_jjP12ihipStream_tbEUlT_E_NS1_11comp_targetILNS1_3genE9ELNS1_11target_archE1100ELNS1_3gpuE3ELNS1_3repE0EEENS1_52radix_sort_onesweep_histogram_config_static_selectorELNS0_4arch9wavefront6targetE1EEEvSE_
		.amdhsa_group_segment_fixed_size 0
		.amdhsa_private_segment_fixed_size 0
		.amdhsa_kernarg_size 40
		.amdhsa_user_sgpr_count 6
		.amdhsa_user_sgpr_private_segment_buffer 1
		.amdhsa_user_sgpr_dispatch_ptr 0
		.amdhsa_user_sgpr_queue_ptr 0
		.amdhsa_user_sgpr_kernarg_segment_ptr 1
		.amdhsa_user_sgpr_dispatch_id 0
		.amdhsa_user_sgpr_flat_scratch_init 0
		.amdhsa_user_sgpr_kernarg_preload_length 0
		.amdhsa_user_sgpr_kernarg_preload_offset 0
		.amdhsa_user_sgpr_private_segment_size 0
		.amdhsa_uses_dynamic_stack 0
		.amdhsa_system_sgpr_private_segment_wavefront_offset 0
		.amdhsa_system_sgpr_workgroup_id_x 1
		.amdhsa_system_sgpr_workgroup_id_y 0
		.amdhsa_system_sgpr_workgroup_id_z 0
		.amdhsa_system_sgpr_workgroup_info 0
		.amdhsa_system_vgpr_workitem_id 0
		.amdhsa_next_free_vgpr 1
		.amdhsa_next_free_sgpr 0
		.amdhsa_accum_offset 4
		.amdhsa_reserve_vcc 0
		.amdhsa_reserve_flat_scratch 0
		.amdhsa_float_round_mode_32 0
		.amdhsa_float_round_mode_16_64 0
		.amdhsa_float_denorm_mode_32 3
		.amdhsa_float_denorm_mode_16_64 3
		.amdhsa_dx10_clamp 1
		.amdhsa_ieee_mode 1
		.amdhsa_fp16_overflow 0
		.amdhsa_tg_split 0
		.amdhsa_exception_fp_ieee_invalid_op 0
		.amdhsa_exception_fp_denorm_src 0
		.amdhsa_exception_fp_ieee_div_zero 0
		.amdhsa_exception_fp_ieee_overflow 0
		.amdhsa_exception_fp_ieee_underflow 0
		.amdhsa_exception_fp_ieee_inexact 0
		.amdhsa_exception_int_div_zero 0
	.end_amdhsa_kernel
	.section	.text._ZN7rocprim17ROCPRIM_400000_NS6detail17trampoline_kernelINS0_14default_configENS1_35radix_sort_onesweep_config_selectorIslEEZNS1_34radix_sort_onesweep_global_offsetsIS3_Lb0EPsN6thrust23THRUST_200600_302600_NS10device_ptrIlEEjNS0_19identity_decomposerEEE10hipError_tT1_T2_PT3_SG_jT4_jjP12ihipStream_tbEUlT_E_NS1_11comp_targetILNS1_3genE9ELNS1_11target_archE1100ELNS1_3gpuE3ELNS1_3repE0EEENS1_52radix_sort_onesweep_histogram_config_static_selectorELNS0_4arch9wavefront6targetE1EEEvSE_,"axG",@progbits,_ZN7rocprim17ROCPRIM_400000_NS6detail17trampoline_kernelINS0_14default_configENS1_35radix_sort_onesweep_config_selectorIslEEZNS1_34radix_sort_onesweep_global_offsetsIS3_Lb0EPsN6thrust23THRUST_200600_302600_NS10device_ptrIlEEjNS0_19identity_decomposerEEE10hipError_tT1_T2_PT3_SG_jT4_jjP12ihipStream_tbEUlT_E_NS1_11comp_targetILNS1_3genE9ELNS1_11target_archE1100ELNS1_3gpuE3ELNS1_3repE0EEENS1_52radix_sort_onesweep_histogram_config_static_selectorELNS0_4arch9wavefront6targetE1EEEvSE_,comdat
.Lfunc_end1387:
	.size	_ZN7rocprim17ROCPRIM_400000_NS6detail17trampoline_kernelINS0_14default_configENS1_35radix_sort_onesweep_config_selectorIslEEZNS1_34radix_sort_onesweep_global_offsetsIS3_Lb0EPsN6thrust23THRUST_200600_302600_NS10device_ptrIlEEjNS0_19identity_decomposerEEE10hipError_tT1_T2_PT3_SG_jT4_jjP12ihipStream_tbEUlT_E_NS1_11comp_targetILNS1_3genE9ELNS1_11target_archE1100ELNS1_3gpuE3ELNS1_3repE0EEENS1_52radix_sort_onesweep_histogram_config_static_selectorELNS0_4arch9wavefront6targetE1EEEvSE_, .Lfunc_end1387-_ZN7rocprim17ROCPRIM_400000_NS6detail17trampoline_kernelINS0_14default_configENS1_35radix_sort_onesweep_config_selectorIslEEZNS1_34radix_sort_onesweep_global_offsetsIS3_Lb0EPsN6thrust23THRUST_200600_302600_NS10device_ptrIlEEjNS0_19identity_decomposerEEE10hipError_tT1_T2_PT3_SG_jT4_jjP12ihipStream_tbEUlT_E_NS1_11comp_targetILNS1_3genE9ELNS1_11target_archE1100ELNS1_3gpuE3ELNS1_3repE0EEENS1_52radix_sort_onesweep_histogram_config_static_selectorELNS0_4arch9wavefront6targetE1EEEvSE_
                                        ; -- End function
	.section	.AMDGPU.csdata,"",@progbits
; Kernel info:
; codeLenInByte = 0
; NumSgprs: 4
; NumVgprs: 0
; NumAgprs: 0
; TotalNumVgprs: 0
; ScratchSize: 0
; MemoryBound: 0
; FloatMode: 240
; IeeeMode: 1
; LDSByteSize: 0 bytes/workgroup (compile time only)
; SGPRBlocks: 0
; VGPRBlocks: 0
; NumSGPRsForWavesPerEU: 4
; NumVGPRsForWavesPerEU: 1
; AccumOffset: 4
; Occupancy: 8
; WaveLimiterHint : 0
; COMPUTE_PGM_RSRC2:SCRATCH_EN: 0
; COMPUTE_PGM_RSRC2:USER_SGPR: 6
; COMPUTE_PGM_RSRC2:TRAP_HANDLER: 0
; COMPUTE_PGM_RSRC2:TGID_X_EN: 1
; COMPUTE_PGM_RSRC2:TGID_Y_EN: 0
; COMPUTE_PGM_RSRC2:TGID_Z_EN: 0
; COMPUTE_PGM_RSRC2:TIDIG_COMP_CNT: 0
; COMPUTE_PGM_RSRC3_GFX90A:ACCUM_OFFSET: 0
; COMPUTE_PGM_RSRC3_GFX90A:TG_SPLIT: 0
	.section	.text._ZN7rocprim17ROCPRIM_400000_NS6detail17trampoline_kernelINS0_14default_configENS1_35radix_sort_onesweep_config_selectorIslEEZNS1_34radix_sort_onesweep_global_offsetsIS3_Lb0EPsN6thrust23THRUST_200600_302600_NS10device_ptrIlEEjNS0_19identity_decomposerEEE10hipError_tT1_T2_PT3_SG_jT4_jjP12ihipStream_tbEUlT_E_NS1_11comp_targetILNS1_3genE8ELNS1_11target_archE1030ELNS1_3gpuE2ELNS1_3repE0EEENS1_52radix_sort_onesweep_histogram_config_static_selectorELNS0_4arch9wavefront6targetE1EEEvSE_,"axG",@progbits,_ZN7rocprim17ROCPRIM_400000_NS6detail17trampoline_kernelINS0_14default_configENS1_35radix_sort_onesweep_config_selectorIslEEZNS1_34radix_sort_onesweep_global_offsetsIS3_Lb0EPsN6thrust23THRUST_200600_302600_NS10device_ptrIlEEjNS0_19identity_decomposerEEE10hipError_tT1_T2_PT3_SG_jT4_jjP12ihipStream_tbEUlT_E_NS1_11comp_targetILNS1_3genE8ELNS1_11target_archE1030ELNS1_3gpuE2ELNS1_3repE0EEENS1_52radix_sort_onesweep_histogram_config_static_selectorELNS0_4arch9wavefront6targetE1EEEvSE_,comdat
	.protected	_ZN7rocprim17ROCPRIM_400000_NS6detail17trampoline_kernelINS0_14default_configENS1_35radix_sort_onesweep_config_selectorIslEEZNS1_34radix_sort_onesweep_global_offsetsIS3_Lb0EPsN6thrust23THRUST_200600_302600_NS10device_ptrIlEEjNS0_19identity_decomposerEEE10hipError_tT1_T2_PT3_SG_jT4_jjP12ihipStream_tbEUlT_E_NS1_11comp_targetILNS1_3genE8ELNS1_11target_archE1030ELNS1_3gpuE2ELNS1_3repE0EEENS1_52radix_sort_onesweep_histogram_config_static_selectorELNS0_4arch9wavefront6targetE1EEEvSE_ ; -- Begin function _ZN7rocprim17ROCPRIM_400000_NS6detail17trampoline_kernelINS0_14default_configENS1_35radix_sort_onesweep_config_selectorIslEEZNS1_34radix_sort_onesweep_global_offsetsIS3_Lb0EPsN6thrust23THRUST_200600_302600_NS10device_ptrIlEEjNS0_19identity_decomposerEEE10hipError_tT1_T2_PT3_SG_jT4_jjP12ihipStream_tbEUlT_E_NS1_11comp_targetILNS1_3genE8ELNS1_11target_archE1030ELNS1_3gpuE2ELNS1_3repE0EEENS1_52radix_sort_onesweep_histogram_config_static_selectorELNS0_4arch9wavefront6targetE1EEEvSE_
	.globl	_ZN7rocprim17ROCPRIM_400000_NS6detail17trampoline_kernelINS0_14default_configENS1_35radix_sort_onesweep_config_selectorIslEEZNS1_34radix_sort_onesweep_global_offsetsIS3_Lb0EPsN6thrust23THRUST_200600_302600_NS10device_ptrIlEEjNS0_19identity_decomposerEEE10hipError_tT1_T2_PT3_SG_jT4_jjP12ihipStream_tbEUlT_E_NS1_11comp_targetILNS1_3genE8ELNS1_11target_archE1030ELNS1_3gpuE2ELNS1_3repE0EEENS1_52radix_sort_onesweep_histogram_config_static_selectorELNS0_4arch9wavefront6targetE1EEEvSE_
	.p2align	8
	.type	_ZN7rocprim17ROCPRIM_400000_NS6detail17trampoline_kernelINS0_14default_configENS1_35radix_sort_onesweep_config_selectorIslEEZNS1_34radix_sort_onesweep_global_offsetsIS3_Lb0EPsN6thrust23THRUST_200600_302600_NS10device_ptrIlEEjNS0_19identity_decomposerEEE10hipError_tT1_T2_PT3_SG_jT4_jjP12ihipStream_tbEUlT_E_NS1_11comp_targetILNS1_3genE8ELNS1_11target_archE1030ELNS1_3gpuE2ELNS1_3repE0EEENS1_52radix_sort_onesweep_histogram_config_static_selectorELNS0_4arch9wavefront6targetE1EEEvSE_,@function
_ZN7rocprim17ROCPRIM_400000_NS6detail17trampoline_kernelINS0_14default_configENS1_35radix_sort_onesweep_config_selectorIslEEZNS1_34radix_sort_onesweep_global_offsetsIS3_Lb0EPsN6thrust23THRUST_200600_302600_NS10device_ptrIlEEjNS0_19identity_decomposerEEE10hipError_tT1_T2_PT3_SG_jT4_jjP12ihipStream_tbEUlT_E_NS1_11comp_targetILNS1_3genE8ELNS1_11target_archE1030ELNS1_3gpuE2ELNS1_3repE0EEENS1_52radix_sort_onesweep_histogram_config_static_selectorELNS0_4arch9wavefront6targetE1EEEvSE_: ; @_ZN7rocprim17ROCPRIM_400000_NS6detail17trampoline_kernelINS0_14default_configENS1_35radix_sort_onesweep_config_selectorIslEEZNS1_34radix_sort_onesweep_global_offsetsIS3_Lb0EPsN6thrust23THRUST_200600_302600_NS10device_ptrIlEEjNS0_19identity_decomposerEEE10hipError_tT1_T2_PT3_SG_jT4_jjP12ihipStream_tbEUlT_E_NS1_11comp_targetILNS1_3genE8ELNS1_11target_archE1030ELNS1_3gpuE2ELNS1_3repE0EEENS1_52radix_sort_onesweep_histogram_config_static_selectorELNS0_4arch9wavefront6targetE1EEEvSE_
; %bb.0:
	.section	.rodata,"a",@progbits
	.p2align	6, 0x0
	.amdhsa_kernel _ZN7rocprim17ROCPRIM_400000_NS6detail17trampoline_kernelINS0_14default_configENS1_35radix_sort_onesweep_config_selectorIslEEZNS1_34radix_sort_onesweep_global_offsetsIS3_Lb0EPsN6thrust23THRUST_200600_302600_NS10device_ptrIlEEjNS0_19identity_decomposerEEE10hipError_tT1_T2_PT3_SG_jT4_jjP12ihipStream_tbEUlT_E_NS1_11comp_targetILNS1_3genE8ELNS1_11target_archE1030ELNS1_3gpuE2ELNS1_3repE0EEENS1_52radix_sort_onesweep_histogram_config_static_selectorELNS0_4arch9wavefront6targetE1EEEvSE_
		.amdhsa_group_segment_fixed_size 0
		.amdhsa_private_segment_fixed_size 0
		.amdhsa_kernarg_size 40
		.amdhsa_user_sgpr_count 6
		.amdhsa_user_sgpr_private_segment_buffer 1
		.amdhsa_user_sgpr_dispatch_ptr 0
		.amdhsa_user_sgpr_queue_ptr 0
		.amdhsa_user_sgpr_kernarg_segment_ptr 1
		.amdhsa_user_sgpr_dispatch_id 0
		.amdhsa_user_sgpr_flat_scratch_init 0
		.amdhsa_user_sgpr_kernarg_preload_length 0
		.amdhsa_user_sgpr_kernarg_preload_offset 0
		.amdhsa_user_sgpr_private_segment_size 0
		.amdhsa_uses_dynamic_stack 0
		.amdhsa_system_sgpr_private_segment_wavefront_offset 0
		.amdhsa_system_sgpr_workgroup_id_x 1
		.amdhsa_system_sgpr_workgroup_id_y 0
		.amdhsa_system_sgpr_workgroup_id_z 0
		.amdhsa_system_sgpr_workgroup_info 0
		.amdhsa_system_vgpr_workitem_id 0
		.amdhsa_next_free_vgpr 1
		.amdhsa_next_free_sgpr 0
		.amdhsa_accum_offset 4
		.amdhsa_reserve_vcc 0
		.amdhsa_reserve_flat_scratch 0
		.amdhsa_float_round_mode_32 0
		.amdhsa_float_round_mode_16_64 0
		.amdhsa_float_denorm_mode_32 3
		.amdhsa_float_denorm_mode_16_64 3
		.amdhsa_dx10_clamp 1
		.amdhsa_ieee_mode 1
		.amdhsa_fp16_overflow 0
		.amdhsa_tg_split 0
		.amdhsa_exception_fp_ieee_invalid_op 0
		.amdhsa_exception_fp_denorm_src 0
		.amdhsa_exception_fp_ieee_div_zero 0
		.amdhsa_exception_fp_ieee_overflow 0
		.amdhsa_exception_fp_ieee_underflow 0
		.amdhsa_exception_fp_ieee_inexact 0
		.amdhsa_exception_int_div_zero 0
	.end_amdhsa_kernel
	.section	.text._ZN7rocprim17ROCPRIM_400000_NS6detail17trampoline_kernelINS0_14default_configENS1_35radix_sort_onesweep_config_selectorIslEEZNS1_34radix_sort_onesweep_global_offsetsIS3_Lb0EPsN6thrust23THRUST_200600_302600_NS10device_ptrIlEEjNS0_19identity_decomposerEEE10hipError_tT1_T2_PT3_SG_jT4_jjP12ihipStream_tbEUlT_E_NS1_11comp_targetILNS1_3genE8ELNS1_11target_archE1030ELNS1_3gpuE2ELNS1_3repE0EEENS1_52radix_sort_onesweep_histogram_config_static_selectorELNS0_4arch9wavefront6targetE1EEEvSE_,"axG",@progbits,_ZN7rocprim17ROCPRIM_400000_NS6detail17trampoline_kernelINS0_14default_configENS1_35radix_sort_onesweep_config_selectorIslEEZNS1_34radix_sort_onesweep_global_offsetsIS3_Lb0EPsN6thrust23THRUST_200600_302600_NS10device_ptrIlEEjNS0_19identity_decomposerEEE10hipError_tT1_T2_PT3_SG_jT4_jjP12ihipStream_tbEUlT_E_NS1_11comp_targetILNS1_3genE8ELNS1_11target_archE1030ELNS1_3gpuE2ELNS1_3repE0EEENS1_52radix_sort_onesweep_histogram_config_static_selectorELNS0_4arch9wavefront6targetE1EEEvSE_,comdat
.Lfunc_end1388:
	.size	_ZN7rocprim17ROCPRIM_400000_NS6detail17trampoline_kernelINS0_14default_configENS1_35radix_sort_onesweep_config_selectorIslEEZNS1_34radix_sort_onesweep_global_offsetsIS3_Lb0EPsN6thrust23THRUST_200600_302600_NS10device_ptrIlEEjNS0_19identity_decomposerEEE10hipError_tT1_T2_PT3_SG_jT4_jjP12ihipStream_tbEUlT_E_NS1_11comp_targetILNS1_3genE8ELNS1_11target_archE1030ELNS1_3gpuE2ELNS1_3repE0EEENS1_52radix_sort_onesweep_histogram_config_static_selectorELNS0_4arch9wavefront6targetE1EEEvSE_, .Lfunc_end1388-_ZN7rocprim17ROCPRIM_400000_NS6detail17trampoline_kernelINS0_14default_configENS1_35radix_sort_onesweep_config_selectorIslEEZNS1_34radix_sort_onesweep_global_offsetsIS3_Lb0EPsN6thrust23THRUST_200600_302600_NS10device_ptrIlEEjNS0_19identity_decomposerEEE10hipError_tT1_T2_PT3_SG_jT4_jjP12ihipStream_tbEUlT_E_NS1_11comp_targetILNS1_3genE8ELNS1_11target_archE1030ELNS1_3gpuE2ELNS1_3repE0EEENS1_52radix_sort_onesweep_histogram_config_static_selectorELNS0_4arch9wavefront6targetE1EEEvSE_
                                        ; -- End function
	.section	.AMDGPU.csdata,"",@progbits
; Kernel info:
; codeLenInByte = 0
; NumSgprs: 4
; NumVgprs: 0
; NumAgprs: 0
; TotalNumVgprs: 0
; ScratchSize: 0
; MemoryBound: 0
; FloatMode: 240
; IeeeMode: 1
; LDSByteSize: 0 bytes/workgroup (compile time only)
; SGPRBlocks: 0
; VGPRBlocks: 0
; NumSGPRsForWavesPerEU: 4
; NumVGPRsForWavesPerEU: 1
; AccumOffset: 4
; Occupancy: 8
; WaveLimiterHint : 0
; COMPUTE_PGM_RSRC2:SCRATCH_EN: 0
; COMPUTE_PGM_RSRC2:USER_SGPR: 6
; COMPUTE_PGM_RSRC2:TRAP_HANDLER: 0
; COMPUTE_PGM_RSRC2:TGID_X_EN: 1
; COMPUTE_PGM_RSRC2:TGID_Y_EN: 0
; COMPUTE_PGM_RSRC2:TGID_Z_EN: 0
; COMPUTE_PGM_RSRC2:TIDIG_COMP_CNT: 0
; COMPUTE_PGM_RSRC3_GFX90A:ACCUM_OFFSET: 0
; COMPUTE_PGM_RSRC3_GFX90A:TG_SPLIT: 0
	.section	.text._ZN7rocprim17ROCPRIM_400000_NS6detail17trampoline_kernelINS0_14default_configENS1_35radix_sort_onesweep_config_selectorIslEEZNS1_34radix_sort_onesweep_global_offsetsIS3_Lb0EPsN6thrust23THRUST_200600_302600_NS10device_ptrIlEEjNS0_19identity_decomposerEEE10hipError_tT1_T2_PT3_SG_jT4_jjP12ihipStream_tbEUlT_E0_NS1_11comp_targetILNS1_3genE0ELNS1_11target_archE4294967295ELNS1_3gpuE0ELNS1_3repE0EEENS1_52radix_sort_onesweep_histogram_config_static_selectorELNS0_4arch9wavefront6targetE1EEEvSE_,"axG",@progbits,_ZN7rocprim17ROCPRIM_400000_NS6detail17trampoline_kernelINS0_14default_configENS1_35radix_sort_onesweep_config_selectorIslEEZNS1_34radix_sort_onesweep_global_offsetsIS3_Lb0EPsN6thrust23THRUST_200600_302600_NS10device_ptrIlEEjNS0_19identity_decomposerEEE10hipError_tT1_T2_PT3_SG_jT4_jjP12ihipStream_tbEUlT_E0_NS1_11comp_targetILNS1_3genE0ELNS1_11target_archE4294967295ELNS1_3gpuE0ELNS1_3repE0EEENS1_52radix_sort_onesweep_histogram_config_static_selectorELNS0_4arch9wavefront6targetE1EEEvSE_,comdat
	.protected	_ZN7rocprim17ROCPRIM_400000_NS6detail17trampoline_kernelINS0_14default_configENS1_35radix_sort_onesweep_config_selectorIslEEZNS1_34radix_sort_onesweep_global_offsetsIS3_Lb0EPsN6thrust23THRUST_200600_302600_NS10device_ptrIlEEjNS0_19identity_decomposerEEE10hipError_tT1_T2_PT3_SG_jT4_jjP12ihipStream_tbEUlT_E0_NS1_11comp_targetILNS1_3genE0ELNS1_11target_archE4294967295ELNS1_3gpuE0ELNS1_3repE0EEENS1_52radix_sort_onesweep_histogram_config_static_selectorELNS0_4arch9wavefront6targetE1EEEvSE_ ; -- Begin function _ZN7rocprim17ROCPRIM_400000_NS6detail17trampoline_kernelINS0_14default_configENS1_35radix_sort_onesweep_config_selectorIslEEZNS1_34radix_sort_onesweep_global_offsetsIS3_Lb0EPsN6thrust23THRUST_200600_302600_NS10device_ptrIlEEjNS0_19identity_decomposerEEE10hipError_tT1_T2_PT3_SG_jT4_jjP12ihipStream_tbEUlT_E0_NS1_11comp_targetILNS1_3genE0ELNS1_11target_archE4294967295ELNS1_3gpuE0ELNS1_3repE0EEENS1_52radix_sort_onesweep_histogram_config_static_selectorELNS0_4arch9wavefront6targetE1EEEvSE_
	.globl	_ZN7rocprim17ROCPRIM_400000_NS6detail17trampoline_kernelINS0_14default_configENS1_35radix_sort_onesweep_config_selectorIslEEZNS1_34radix_sort_onesweep_global_offsetsIS3_Lb0EPsN6thrust23THRUST_200600_302600_NS10device_ptrIlEEjNS0_19identity_decomposerEEE10hipError_tT1_T2_PT3_SG_jT4_jjP12ihipStream_tbEUlT_E0_NS1_11comp_targetILNS1_3genE0ELNS1_11target_archE4294967295ELNS1_3gpuE0ELNS1_3repE0EEENS1_52radix_sort_onesweep_histogram_config_static_selectorELNS0_4arch9wavefront6targetE1EEEvSE_
	.p2align	8
	.type	_ZN7rocprim17ROCPRIM_400000_NS6detail17trampoline_kernelINS0_14default_configENS1_35radix_sort_onesweep_config_selectorIslEEZNS1_34radix_sort_onesweep_global_offsetsIS3_Lb0EPsN6thrust23THRUST_200600_302600_NS10device_ptrIlEEjNS0_19identity_decomposerEEE10hipError_tT1_T2_PT3_SG_jT4_jjP12ihipStream_tbEUlT_E0_NS1_11comp_targetILNS1_3genE0ELNS1_11target_archE4294967295ELNS1_3gpuE0ELNS1_3repE0EEENS1_52radix_sort_onesweep_histogram_config_static_selectorELNS0_4arch9wavefront6targetE1EEEvSE_,@function
_ZN7rocprim17ROCPRIM_400000_NS6detail17trampoline_kernelINS0_14default_configENS1_35radix_sort_onesweep_config_selectorIslEEZNS1_34radix_sort_onesweep_global_offsetsIS3_Lb0EPsN6thrust23THRUST_200600_302600_NS10device_ptrIlEEjNS0_19identity_decomposerEEE10hipError_tT1_T2_PT3_SG_jT4_jjP12ihipStream_tbEUlT_E0_NS1_11comp_targetILNS1_3genE0ELNS1_11target_archE4294967295ELNS1_3gpuE0ELNS1_3repE0EEENS1_52radix_sort_onesweep_histogram_config_static_selectorELNS0_4arch9wavefront6targetE1EEEvSE_: ; @_ZN7rocprim17ROCPRIM_400000_NS6detail17trampoline_kernelINS0_14default_configENS1_35radix_sort_onesweep_config_selectorIslEEZNS1_34radix_sort_onesweep_global_offsetsIS3_Lb0EPsN6thrust23THRUST_200600_302600_NS10device_ptrIlEEjNS0_19identity_decomposerEEE10hipError_tT1_T2_PT3_SG_jT4_jjP12ihipStream_tbEUlT_E0_NS1_11comp_targetILNS1_3genE0ELNS1_11target_archE4294967295ELNS1_3gpuE0ELNS1_3repE0EEENS1_52radix_sort_onesweep_histogram_config_static_selectorELNS0_4arch9wavefront6targetE1EEEvSE_
; %bb.0:
	.section	.rodata,"a",@progbits
	.p2align	6, 0x0
	.amdhsa_kernel _ZN7rocprim17ROCPRIM_400000_NS6detail17trampoline_kernelINS0_14default_configENS1_35radix_sort_onesweep_config_selectorIslEEZNS1_34radix_sort_onesweep_global_offsetsIS3_Lb0EPsN6thrust23THRUST_200600_302600_NS10device_ptrIlEEjNS0_19identity_decomposerEEE10hipError_tT1_T2_PT3_SG_jT4_jjP12ihipStream_tbEUlT_E0_NS1_11comp_targetILNS1_3genE0ELNS1_11target_archE4294967295ELNS1_3gpuE0ELNS1_3repE0EEENS1_52radix_sort_onesweep_histogram_config_static_selectorELNS0_4arch9wavefront6targetE1EEEvSE_
		.amdhsa_group_segment_fixed_size 0
		.amdhsa_private_segment_fixed_size 0
		.amdhsa_kernarg_size 8
		.amdhsa_user_sgpr_count 6
		.amdhsa_user_sgpr_private_segment_buffer 1
		.amdhsa_user_sgpr_dispatch_ptr 0
		.amdhsa_user_sgpr_queue_ptr 0
		.amdhsa_user_sgpr_kernarg_segment_ptr 1
		.amdhsa_user_sgpr_dispatch_id 0
		.amdhsa_user_sgpr_flat_scratch_init 0
		.amdhsa_user_sgpr_kernarg_preload_length 0
		.amdhsa_user_sgpr_kernarg_preload_offset 0
		.amdhsa_user_sgpr_private_segment_size 0
		.amdhsa_uses_dynamic_stack 0
		.amdhsa_system_sgpr_private_segment_wavefront_offset 0
		.amdhsa_system_sgpr_workgroup_id_x 1
		.amdhsa_system_sgpr_workgroup_id_y 0
		.amdhsa_system_sgpr_workgroup_id_z 0
		.amdhsa_system_sgpr_workgroup_info 0
		.amdhsa_system_vgpr_workitem_id 0
		.amdhsa_next_free_vgpr 1
		.amdhsa_next_free_sgpr 0
		.amdhsa_accum_offset 4
		.amdhsa_reserve_vcc 0
		.amdhsa_reserve_flat_scratch 0
		.amdhsa_float_round_mode_32 0
		.amdhsa_float_round_mode_16_64 0
		.amdhsa_float_denorm_mode_32 3
		.amdhsa_float_denorm_mode_16_64 3
		.amdhsa_dx10_clamp 1
		.amdhsa_ieee_mode 1
		.amdhsa_fp16_overflow 0
		.amdhsa_tg_split 0
		.amdhsa_exception_fp_ieee_invalid_op 0
		.amdhsa_exception_fp_denorm_src 0
		.amdhsa_exception_fp_ieee_div_zero 0
		.amdhsa_exception_fp_ieee_overflow 0
		.amdhsa_exception_fp_ieee_underflow 0
		.amdhsa_exception_fp_ieee_inexact 0
		.amdhsa_exception_int_div_zero 0
	.end_amdhsa_kernel
	.section	.text._ZN7rocprim17ROCPRIM_400000_NS6detail17trampoline_kernelINS0_14default_configENS1_35radix_sort_onesweep_config_selectorIslEEZNS1_34radix_sort_onesweep_global_offsetsIS3_Lb0EPsN6thrust23THRUST_200600_302600_NS10device_ptrIlEEjNS0_19identity_decomposerEEE10hipError_tT1_T2_PT3_SG_jT4_jjP12ihipStream_tbEUlT_E0_NS1_11comp_targetILNS1_3genE0ELNS1_11target_archE4294967295ELNS1_3gpuE0ELNS1_3repE0EEENS1_52radix_sort_onesweep_histogram_config_static_selectorELNS0_4arch9wavefront6targetE1EEEvSE_,"axG",@progbits,_ZN7rocprim17ROCPRIM_400000_NS6detail17trampoline_kernelINS0_14default_configENS1_35radix_sort_onesweep_config_selectorIslEEZNS1_34radix_sort_onesweep_global_offsetsIS3_Lb0EPsN6thrust23THRUST_200600_302600_NS10device_ptrIlEEjNS0_19identity_decomposerEEE10hipError_tT1_T2_PT3_SG_jT4_jjP12ihipStream_tbEUlT_E0_NS1_11comp_targetILNS1_3genE0ELNS1_11target_archE4294967295ELNS1_3gpuE0ELNS1_3repE0EEENS1_52radix_sort_onesweep_histogram_config_static_selectorELNS0_4arch9wavefront6targetE1EEEvSE_,comdat
.Lfunc_end1389:
	.size	_ZN7rocprim17ROCPRIM_400000_NS6detail17trampoline_kernelINS0_14default_configENS1_35radix_sort_onesweep_config_selectorIslEEZNS1_34radix_sort_onesweep_global_offsetsIS3_Lb0EPsN6thrust23THRUST_200600_302600_NS10device_ptrIlEEjNS0_19identity_decomposerEEE10hipError_tT1_T2_PT3_SG_jT4_jjP12ihipStream_tbEUlT_E0_NS1_11comp_targetILNS1_3genE0ELNS1_11target_archE4294967295ELNS1_3gpuE0ELNS1_3repE0EEENS1_52radix_sort_onesweep_histogram_config_static_selectorELNS0_4arch9wavefront6targetE1EEEvSE_, .Lfunc_end1389-_ZN7rocprim17ROCPRIM_400000_NS6detail17trampoline_kernelINS0_14default_configENS1_35radix_sort_onesweep_config_selectorIslEEZNS1_34radix_sort_onesweep_global_offsetsIS3_Lb0EPsN6thrust23THRUST_200600_302600_NS10device_ptrIlEEjNS0_19identity_decomposerEEE10hipError_tT1_T2_PT3_SG_jT4_jjP12ihipStream_tbEUlT_E0_NS1_11comp_targetILNS1_3genE0ELNS1_11target_archE4294967295ELNS1_3gpuE0ELNS1_3repE0EEENS1_52radix_sort_onesweep_histogram_config_static_selectorELNS0_4arch9wavefront6targetE1EEEvSE_
                                        ; -- End function
	.section	.AMDGPU.csdata,"",@progbits
; Kernel info:
; codeLenInByte = 0
; NumSgprs: 4
; NumVgprs: 0
; NumAgprs: 0
; TotalNumVgprs: 0
; ScratchSize: 0
; MemoryBound: 0
; FloatMode: 240
; IeeeMode: 1
; LDSByteSize: 0 bytes/workgroup (compile time only)
; SGPRBlocks: 0
; VGPRBlocks: 0
; NumSGPRsForWavesPerEU: 4
; NumVGPRsForWavesPerEU: 1
; AccumOffset: 4
; Occupancy: 8
; WaveLimiterHint : 0
; COMPUTE_PGM_RSRC2:SCRATCH_EN: 0
; COMPUTE_PGM_RSRC2:USER_SGPR: 6
; COMPUTE_PGM_RSRC2:TRAP_HANDLER: 0
; COMPUTE_PGM_RSRC2:TGID_X_EN: 1
; COMPUTE_PGM_RSRC2:TGID_Y_EN: 0
; COMPUTE_PGM_RSRC2:TGID_Z_EN: 0
; COMPUTE_PGM_RSRC2:TIDIG_COMP_CNT: 0
; COMPUTE_PGM_RSRC3_GFX90A:ACCUM_OFFSET: 0
; COMPUTE_PGM_RSRC3_GFX90A:TG_SPLIT: 0
	.section	.text._ZN7rocprim17ROCPRIM_400000_NS6detail17trampoline_kernelINS0_14default_configENS1_35radix_sort_onesweep_config_selectorIslEEZNS1_34radix_sort_onesweep_global_offsetsIS3_Lb0EPsN6thrust23THRUST_200600_302600_NS10device_ptrIlEEjNS0_19identity_decomposerEEE10hipError_tT1_T2_PT3_SG_jT4_jjP12ihipStream_tbEUlT_E0_NS1_11comp_targetILNS1_3genE6ELNS1_11target_archE950ELNS1_3gpuE13ELNS1_3repE0EEENS1_52radix_sort_onesweep_histogram_config_static_selectorELNS0_4arch9wavefront6targetE1EEEvSE_,"axG",@progbits,_ZN7rocprim17ROCPRIM_400000_NS6detail17trampoline_kernelINS0_14default_configENS1_35radix_sort_onesweep_config_selectorIslEEZNS1_34radix_sort_onesweep_global_offsetsIS3_Lb0EPsN6thrust23THRUST_200600_302600_NS10device_ptrIlEEjNS0_19identity_decomposerEEE10hipError_tT1_T2_PT3_SG_jT4_jjP12ihipStream_tbEUlT_E0_NS1_11comp_targetILNS1_3genE6ELNS1_11target_archE950ELNS1_3gpuE13ELNS1_3repE0EEENS1_52radix_sort_onesweep_histogram_config_static_selectorELNS0_4arch9wavefront6targetE1EEEvSE_,comdat
	.protected	_ZN7rocprim17ROCPRIM_400000_NS6detail17trampoline_kernelINS0_14default_configENS1_35radix_sort_onesweep_config_selectorIslEEZNS1_34radix_sort_onesweep_global_offsetsIS3_Lb0EPsN6thrust23THRUST_200600_302600_NS10device_ptrIlEEjNS0_19identity_decomposerEEE10hipError_tT1_T2_PT3_SG_jT4_jjP12ihipStream_tbEUlT_E0_NS1_11comp_targetILNS1_3genE6ELNS1_11target_archE950ELNS1_3gpuE13ELNS1_3repE0EEENS1_52radix_sort_onesweep_histogram_config_static_selectorELNS0_4arch9wavefront6targetE1EEEvSE_ ; -- Begin function _ZN7rocprim17ROCPRIM_400000_NS6detail17trampoline_kernelINS0_14default_configENS1_35radix_sort_onesweep_config_selectorIslEEZNS1_34radix_sort_onesweep_global_offsetsIS3_Lb0EPsN6thrust23THRUST_200600_302600_NS10device_ptrIlEEjNS0_19identity_decomposerEEE10hipError_tT1_T2_PT3_SG_jT4_jjP12ihipStream_tbEUlT_E0_NS1_11comp_targetILNS1_3genE6ELNS1_11target_archE950ELNS1_3gpuE13ELNS1_3repE0EEENS1_52radix_sort_onesweep_histogram_config_static_selectorELNS0_4arch9wavefront6targetE1EEEvSE_
	.globl	_ZN7rocprim17ROCPRIM_400000_NS6detail17trampoline_kernelINS0_14default_configENS1_35radix_sort_onesweep_config_selectorIslEEZNS1_34radix_sort_onesweep_global_offsetsIS3_Lb0EPsN6thrust23THRUST_200600_302600_NS10device_ptrIlEEjNS0_19identity_decomposerEEE10hipError_tT1_T2_PT3_SG_jT4_jjP12ihipStream_tbEUlT_E0_NS1_11comp_targetILNS1_3genE6ELNS1_11target_archE950ELNS1_3gpuE13ELNS1_3repE0EEENS1_52radix_sort_onesweep_histogram_config_static_selectorELNS0_4arch9wavefront6targetE1EEEvSE_
	.p2align	8
	.type	_ZN7rocprim17ROCPRIM_400000_NS6detail17trampoline_kernelINS0_14default_configENS1_35radix_sort_onesweep_config_selectorIslEEZNS1_34radix_sort_onesweep_global_offsetsIS3_Lb0EPsN6thrust23THRUST_200600_302600_NS10device_ptrIlEEjNS0_19identity_decomposerEEE10hipError_tT1_T2_PT3_SG_jT4_jjP12ihipStream_tbEUlT_E0_NS1_11comp_targetILNS1_3genE6ELNS1_11target_archE950ELNS1_3gpuE13ELNS1_3repE0EEENS1_52radix_sort_onesweep_histogram_config_static_selectorELNS0_4arch9wavefront6targetE1EEEvSE_,@function
_ZN7rocprim17ROCPRIM_400000_NS6detail17trampoline_kernelINS0_14default_configENS1_35radix_sort_onesweep_config_selectorIslEEZNS1_34radix_sort_onesweep_global_offsetsIS3_Lb0EPsN6thrust23THRUST_200600_302600_NS10device_ptrIlEEjNS0_19identity_decomposerEEE10hipError_tT1_T2_PT3_SG_jT4_jjP12ihipStream_tbEUlT_E0_NS1_11comp_targetILNS1_3genE6ELNS1_11target_archE950ELNS1_3gpuE13ELNS1_3repE0EEENS1_52radix_sort_onesweep_histogram_config_static_selectorELNS0_4arch9wavefront6targetE1EEEvSE_: ; @_ZN7rocprim17ROCPRIM_400000_NS6detail17trampoline_kernelINS0_14default_configENS1_35radix_sort_onesweep_config_selectorIslEEZNS1_34radix_sort_onesweep_global_offsetsIS3_Lb0EPsN6thrust23THRUST_200600_302600_NS10device_ptrIlEEjNS0_19identity_decomposerEEE10hipError_tT1_T2_PT3_SG_jT4_jjP12ihipStream_tbEUlT_E0_NS1_11comp_targetILNS1_3genE6ELNS1_11target_archE950ELNS1_3gpuE13ELNS1_3repE0EEENS1_52radix_sort_onesweep_histogram_config_static_selectorELNS0_4arch9wavefront6targetE1EEEvSE_
; %bb.0:
	.section	.rodata,"a",@progbits
	.p2align	6, 0x0
	.amdhsa_kernel _ZN7rocprim17ROCPRIM_400000_NS6detail17trampoline_kernelINS0_14default_configENS1_35radix_sort_onesweep_config_selectorIslEEZNS1_34radix_sort_onesweep_global_offsetsIS3_Lb0EPsN6thrust23THRUST_200600_302600_NS10device_ptrIlEEjNS0_19identity_decomposerEEE10hipError_tT1_T2_PT3_SG_jT4_jjP12ihipStream_tbEUlT_E0_NS1_11comp_targetILNS1_3genE6ELNS1_11target_archE950ELNS1_3gpuE13ELNS1_3repE0EEENS1_52radix_sort_onesweep_histogram_config_static_selectorELNS0_4arch9wavefront6targetE1EEEvSE_
		.amdhsa_group_segment_fixed_size 0
		.amdhsa_private_segment_fixed_size 0
		.amdhsa_kernarg_size 8
		.amdhsa_user_sgpr_count 6
		.amdhsa_user_sgpr_private_segment_buffer 1
		.amdhsa_user_sgpr_dispatch_ptr 0
		.amdhsa_user_sgpr_queue_ptr 0
		.amdhsa_user_sgpr_kernarg_segment_ptr 1
		.amdhsa_user_sgpr_dispatch_id 0
		.amdhsa_user_sgpr_flat_scratch_init 0
		.amdhsa_user_sgpr_kernarg_preload_length 0
		.amdhsa_user_sgpr_kernarg_preload_offset 0
		.amdhsa_user_sgpr_private_segment_size 0
		.amdhsa_uses_dynamic_stack 0
		.amdhsa_system_sgpr_private_segment_wavefront_offset 0
		.amdhsa_system_sgpr_workgroup_id_x 1
		.amdhsa_system_sgpr_workgroup_id_y 0
		.amdhsa_system_sgpr_workgroup_id_z 0
		.amdhsa_system_sgpr_workgroup_info 0
		.amdhsa_system_vgpr_workitem_id 0
		.amdhsa_next_free_vgpr 1
		.amdhsa_next_free_sgpr 0
		.amdhsa_accum_offset 4
		.amdhsa_reserve_vcc 0
		.amdhsa_reserve_flat_scratch 0
		.amdhsa_float_round_mode_32 0
		.amdhsa_float_round_mode_16_64 0
		.amdhsa_float_denorm_mode_32 3
		.amdhsa_float_denorm_mode_16_64 3
		.amdhsa_dx10_clamp 1
		.amdhsa_ieee_mode 1
		.amdhsa_fp16_overflow 0
		.amdhsa_tg_split 0
		.amdhsa_exception_fp_ieee_invalid_op 0
		.amdhsa_exception_fp_denorm_src 0
		.amdhsa_exception_fp_ieee_div_zero 0
		.amdhsa_exception_fp_ieee_overflow 0
		.amdhsa_exception_fp_ieee_underflow 0
		.amdhsa_exception_fp_ieee_inexact 0
		.amdhsa_exception_int_div_zero 0
	.end_amdhsa_kernel
	.section	.text._ZN7rocprim17ROCPRIM_400000_NS6detail17trampoline_kernelINS0_14default_configENS1_35radix_sort_onesweep_config_selectorIslEEZNS1_34radix_sort_onesweep_global_offsetsIS3_Lb0EPsN6thrust23THRUST_200600_302600_NS10device_ptrIlEEjNS0_19identity_decomposerEEE10hipError_tT1_T2_PT3_SG_jT4_jjP12ihipStream_tbEUlT_E0_NS1_11comp_targetILNS1_3genE6ELNS1_11target_archE950ELNS1_3gpuE13ELNS1_3repE0EEENS1_52radix_sort_onesweep_histogram_config_static_selectorELNS0_4arch9wavefront6targetE1EEEvSE_,"axG",@progbits,_ZN7rocprim17ROCPRIM_400000_NS6detail17trampoline_kernelINS0_14default_configENS1_35radix_sort_onesweep_config_selectorIslEEZNS1_34radix_sort_onesweep_global_offsetsIS3_Lb0EPsN6thrust23THRUST_200600_302600_NS10device_ptrIlEEjNS0_19identity_decomposerEEE10hipError_tT1_T2_PT3_SG_jT4_jjP12ihipStream_tbEUlT_E0_NS1_11comp_targetILNS1_3genE6ELNS1_11target_archE950ELNS1_3gpuE13ELNS1_3repE0EEENS1_52radix_sort_onesweep_histogram_config_static_selectorELNS0_4arch9wavefront6targetE1EEEvSE_,comdat
.Lfunc_end1390:
	.size	_ZN7rocprim17ROCPRIM_400000_NS6detail17trampoline_kernelINS0_14default_configENS1_35radix_sort_onesweep_config_selectorIslEEZNS1_34radix_sort_onesweep_global_offsetsIS3_Lb0EPsN6thrust23THRUST_200600_302600_NS10device_ptrIlEEjNS0_19identity_decomposerEEE10hipError_tT1_T2_PT3_SG_jT4_jjP12ihipStream_tbEUlT_E0_NS1_11comp_targetILNS1_3genE6ELNS1_11target_archE950ELNS1_3gpuE13ELNS1_3repE0EEENS1_52radix_sort_onesweep_histogram_config_static_selectorELNS0_4arch9wavefront6targetE1EEEvSE_, .Lfunc_end1390-_ZN7rocprim17ROCPRIM_400000_NS6detail17trampoline_kernelINS0_14default_configENS1_35radix_sort_onesweep_config_selectorIslEEZNS1_34radix_sort_onesweep_global_offsetsIS3_Lb0EPsN6thrust23THRUST_200600_302600_NS10device_ptrIlEEjNS0_19identity_decomposerEEE10hipError_tT1_T2_PT3_SG_jT4_jjP12ihipStream_tbEUlT_E0_NS1_11comp_targetILNS1_3genE6ELNS1_11target_archE950ELNS1_3gpuE13ELNS1_3repE0EEENS1_52radix_sort_onesweep_histogram_config_static_selectorELNS0_4arch9wavefront6targetE1EEEvSE_
                                        ; -- End function
	.section	.AMDGPU.csdata,"",@progbits
; Kernel info:
; codeLenInByte = 0
; NumSgprs: 4
; NumVgprs: 0
; NumAgprs: 0
; TotalNumVgprs: 0
; ScratchSize: 0
; MemoryBound: 0
; FloatMode: 240
; IeeeMode: 1
; LDSByteSize: 0 bytes/workgroup (compile time only)
; SGPRBlocks: 0
; VGPRBlocks: 0
; NumSGPRsForWavesPerEU: 4
; NumVGPRsForWavesPerEU: 1
; AccumOffset: 4
; Occupancy: 8
; WaveLimiterHint : 0
; COMPUTE_PGM_RSRC2:SCRATCH_EN: 0
; COMPUTE_PGM_RSRC2:USER_SGPR: 6
; COMPUTE_PGM_RSRC2:TRAP_HANDLER: 0
; COMPUTE_PGM_RSRC2:TGID_X_EN: 1
; COMPUTE_PGM_RSRC2:TGID_Y_EN: 0
; COMPUTE_PGM_RSRC2:TGID_Z_EN: 0
; COMPUTE_PGM_RSRC2:TIDIG_COMP_CNT: 0
; COMPUTE_PGM_RSRC3_GFX90A:ACCUM_OFFSET: 0
; COMPUTE_PGM_RSRC3_GFX90A:TG_SPLIT: 0
	.section	.text._ZN7rocprim17ROCPRIM_400000_NS6detail17trampoline_kernelINS0_14default_configENS1_35radix_sort_onesweep_config_selectorIslEEZNS1_34radix_sort_onesweep_global_offsetsIS3_Lb0EPsN6thrust23THRUST_200600_302600_NS10device_ptrIlEEjNS0_19identity_decomposerEEE10hipError_tT1_T2_PT3_SG_jT4_jjP12ihipStream_tbEUlT_E0_NS1_11comp_targetILNS1_3genE5ELNS1_11target_archE942ELNS1_3gpuE9ELNS1_3repE0EEENS1_52radix_sort_onesweep_histogram_config_static_selectorELNS0_4arch9wavefront6targetE1EEEvSE_,"axG",@progbits,_ZN7rocprim17ROCPRIM_400000_NS6detail17trampoline_kernelINS0_14default_configENS1_35radix_sort_onesweep_config_selectorIslEEZNS1_34radix_sort_onesweep_global_offsetsIS3_Lb0EPsN6thrust23THRUST_200600_302600_NS10device_ptrIlEEjNS0_19identity_decomposerEEE10hipError_tT1_T2_PT3_SG_jT4_jjP12ihipStream_tbEUlT_E0_NS1_11comp_targetILNS1_3genE5ELNS1_11target_archE942ELNS1_3gpuE9ELNS1_3repE0EEENS1_52radix_sort_onesweep_histogram_config_static_selectorELNS0_4arch9wavefront6targetE1EEEvSE_,comdat
	.protected	_ZN7rocprim17ROCPRIM_400000_NS6detail17trampoline_kernelINS0_14default_configENS1_35radix_sort_onesweep_config_selectorIslEEZNS1_34radix_sort_onesweep_global_offsetsIS3_Lb0EPsN6thrust23THRUST_200600_302600_NS10device_ptrIlEEjNS0_19identity_decomposerEEE10hipError_tT1_T2_PT3_SG_jT4_jjP12ihipStream_tbEUlT_E0_NS1_11comp_targetILNS1_3genE5ELNS1_11target_archE942ELNS1_3gpuE9ELNS1_3repE0EEENS1_52radix_sort_onesweep_histogram_config_static_selectorELNS0_4arch9wavefront6targetE1EEEvSE_ ; -- Begin function _ZN7rocprim17ROCPRIM_400000_NS6detail17trampoline_kernelINS0_14default_configENS1_35radix_sort_onesweep_config_selectorIslEEZNS1_34radix_sort_onesweep_global_offsetsIS3_Lb0EPsN6thrust23THRUST_200600_302600_NS10device_ptrIlEEjNS0_19identity_decomposerEEE10hipError_tT1_T2_PT3_SG_jT4_jjP12ihipStream_tbEUlT_E0_NS1_11comp_targetILNS1_3genE5ELNS1_11target_archE942ELNS1_3gpuE9ELNS1_3repE0EEENS1_52radix_sort_onesweep_histogram_config_static_selectorELNS0_4arch9wavefront6targetE1EEEvSE_
	.globl	_ZN7rocprim17ROCPRIM_400000_NS6detail17trampoline_kernelINS0_14default_configENS1_35radix_sort_onesweep_config_selectorIslEEZNS1_34radix_sort_onesweep_global_offsetsIS3_Lb0EPsN6thrust23THRUST_200600_302600_NS10device_ptrIlEEjNS0_19identity_decomposerEEE10hipError_tT1_T2_PT3_SG_jT4_jjP12ihipStream_tbEUlT_E0_NS1_11comp_targetILNS1_3genE5ELNS1_11target_archE942ELNS1_3gpuE9ELNS1_3repE0EEENS1_52radix_sort_onesweep_histogram_config_static_selectorELNS0_4arch9wavefront6targetE1EEEvSE_
	.p2align	8
	.type	_ZN7rocprim17ROCPRIM_400000_NS6detail17trampoline_kernelINS0_14default_configENS1_35radix_sort_onesweep_config_selectorIslEEZNS1_34radix_sort_onesweep_global_offsetsIS3_Lb0EPsN6thrust23THRUST_200600_302600_NS10device_ptrIlEEjNS0_19identity_decomposerEEE10hipError_tT1_T2_PT3_SG_jT4_jjP12ihipStream_tbEUlT_E0_NS1_11comp_targetILNS1_3genE5ELNS1_11target_archE942ELNS1_3gpuE9ELNS1_3repE0EEENS1_52radix_sort_onesweep_histogram_config_static_selectorELNS0_4arch9wavefront6targetE1EEEvSE_,@function
_ZN7rocprim17ROCPRIM_400000_NS6detail17trampoline_kernelINS0_14default_configENS1_35radix_sort_onesweep_config_selectorIslEEZNS1_34radix_sort_onesweep_global_offsetsIS3_Lb0EPsN6thrust23THRUST_200600_302600_NS10device_ptrIlEEjNS0_19identity_decomposerEEE10hipError_tT1_T2_PT3_SG_jT4_jjP12ihipStream_tbEUlT_E0_NS1_11comp_targetILNS1_3genE5ELNS1_11target_archE942ELNS1_3gpuE9ELNS1_3repE0EEENS1_52radix_sort_onesweep_histogram_config_static_selectorELNS0_4arch9wavefront6targetE1EEEvSE_: ; @_ZN7rocprim17ROCPRIM_400000_NS6detail17trampoline_kernelINS0_14default_configENS1_35radix_sort_onesweep_config_selectorIslEEZNS1_34radix_sort_onesweep_global_offsetsIS3_Lb0EPsN6thrust23THRUST_200600_302600_NS10device_ptrIlEEjNS0_19identity_decomposerEEE10hipError_tT1_T2_PT3_SG_jT4_jjP12ihipStream_tbEUlT_E0_NS1_11comp_targetILNS1_3genE5ELNS1_11target_archE942ELNS1_3gpuE9ELNS1_3repE0EEENS1_52radix_sort_onesweep_histogram_config_static_selectorELNS0_4arch9wavefront6targetE1EEEvSE_
; %bb.0:
	.section	.rodata,"a",@progbits
	.p2align	6, 0x0
	.amdhsa_kernel _ZN7rocprim17ROCPRIM_400000_NS6detail17trampoline_kernelINS0_14default_configENS1_35radix_sort_onesweep_config_selectorIslEEZNS1_34radix_sort_onesweep_global_offsetsIS3_Lb0EPsN6thrust23THRUST_200600_302600_NS10device_ptrIlEEjNS0_19identity_decomposerEEE10hipError_tT1_T2_PT3_SG_jT4_jjP12ihipStream_tbEUlT_E0_NS1_11comp_targetILNS1_3genE5ELNS1_11target_archE942ELNS1_3gpuE9ELNS1_3repE0EEENS1_52radix_sort_onesweep_histogram_config_static_selectorELNS0_4arch9wavefront6targetE1EEEvSE_
		.amdhsa_group_segment_fixed_size 0
		.amdhsa_private_segment_fixed_size 0
		.amdhsa_kernarg_size 8
		.amdhsa_user_sgpr_count 6
		.amdhsa_user_sgpr_private_segment_buffer 1
		.amdhsa_user_sgpr_dispatch_ptr 0
		.amdhsa_user_sgpr_queue_ptr 0
		.amdhsa_user_sgpr_kernarg_segment_ptr 1
		.amdhsa_user_sgpr_dispatch_id 0
		.amdhsa_user_sgpr_flat_scratch_init 0
		.amdhsa_user_sgpr_kernarg_preload_length 0
		.amdhsa_user_sgpr_kernarg_preload_offset 0
		.amdhsa_user_sgpr_private_segment_size 0
		.amdhsa_uses_dynamic_stack 0
		.amdhsa_system_sgpr_private_segment_wavefront_offset 0
		.amdhsa_system_sgpr_workgroup_id_x 1
		.amdhsa_system_sgpr_workgroup_id_y 0
		.amdhsa_system_sgpr_workgroup_id_z 0
		.amdhsa_system_sgpr_workgroup_info 0
		.amdhsa_system_vgpr_workitem_id 0
		.amdhsa_next_free_vgpr 1
		.amdhsa_next_free_sgpr 0
		.amdhsa_accum_offset 4
		.amdhsa_reserve_vcc 0
		.amdhsa_reserve_flat_scratch 0
		.amdhsa_float_round_mode_32 0
		.amdhsa_float_round_mode_16_64 0
		.amdhsa_float_denorm_mode_32 3
		.amdhsa_float_denorm_mode_16_64 3
		.amdhsa_dx10_clamp 1
		.amdhsa_ieee_mode 1
		.amdhsa_fp16_overflow 0
		.amdhsa_tg_split 0
		.amdhsa_exception_fp_ieee_invalid_op 0
		.amdhsa_exception_fp_denorm_src 0
		.amdhsa_exception_fp_ieee_div_zero 0
		.amdhsa_exception_fp_ieee_overflow 0
		.amdhsa_exception_fp_ieee_underflow 0
		.amdhsa_exception_fp_ieee_inexact 0
		.amdhsa_exception_int_div_zero 0
	.end_amdhsa_kernel
	.section	.text._ZN7rocprim17ROCPRIM_400000_NS6detail17trampoline_kernelINS0_14default_configENS1_35radix_sort_onesweep_config_selectorIslEEZNS1_34radix_sort_onesweep_global_offsetsIS3_Lb0EPsN6thrust23THRUST_200600_302600_NS10device_ptrIlEEjNS0_19identity_decomposerEEE10hipError_tT1_T2_PT3_SG_jT4_jjP12ihipStream_tbEUlT_E0_NS1_11comp_targetILNS1_3genE5ELNS1_11target_archE942ELNS1_3gpuE9ELNS1_3repE0EEENS1_52radix_sort_onesweep_histogram_config_static_selectorELNS0_4arch9wavefront6targetE1EEEvSE_,"axG",@progbits,_ZN7rocprim17ROCPRIM_400000_NS6detail17trampoline_kernelINS0_14default_configENS1_35radix_sort_onesweep_config_selectorIslEEZNS1_34radix_sort_onesweep_global_offsetsIS3_Lb0EPsN6thrust23THRUST_200600_302600_NS10device_ptrIlEEjNS0_19identity_decomposerEEE10hipError_tT1_T2_PT3_SG_jT4_jjP12ihipStream_tbEUlT_E0_NS1_11comp_targetILNS1_3genE5ELNS1_11target_archE942ELNS1_3gpuE9ELNS1_3repE0EEENS1_52radix_sort_onesweep_histogram_config_static_selectorELNS0_4arch9wavefront6targetE1EEEvSE_,comdat
.Lfunc_end1391:
	.size	_ZN7rocprim17ROCPRIM_400000_NS6detail17trampoline_kernelINS0_14default_configENS1_35radix_sort_onesweep_config_selectorIslEEZNS1_34radix_sort_onesweep_global_offsetsIS3_Lb0EPsN6thrust23THRUST_200600_302600_NS10device_ptrIlEEjNS0_19identity_decomposerEEE10hipError_tT1_T2_PT3_SG_jT4_jjP12ihipStream_tbEUlT_E0_NS1_11comp_targetILNS1_3genE5ELNS1_11target_archE942ELNS1_3gpuE9ELNS1_3repE0EEENS1_52radix_sort_onesweep_histogram_config_static_selectorELNS0_4arch9wavefront6targetE1EEEvSE_, .Lfunc_end1391-_ZN7rocprim17ROCPRIM_400000_NS6detail17trampoline_kernelINS0_14default_configENS1_35radix_sort_onesweep_config_selectorIslEEZNS1_34radix_sort_onesweep_global_offsetsIS3_Lb0EPsN6thrust23THRUST_200600_302600_NS10device_ptrIlEEjNS0_19identity_decomposerEEE10hipError_tT1_T2_PT3_SG_jT4_jjP12ihipStream_tbEUlT_E0_NS1_11comp_targetILNS1_3genE5ELNS1_11target_archE942ELNS1_3gpuE9ELNS1_3repE0EEENS1_52radix_sort_onesweep_histogram_config_static_selectorELNS0_4arch9wavefront6targetE1EEEvSE_
                                        ; -- End function
	.section	.AMDGPU.csdata,"",@progbits
; Kernel info:
; codeLenInByte = 0
; NumSgprs: 4
; NumVgprs: 0
; NumAgprs: 0
; TotalNumVgprs: 0
; ScratchSize: 0
; MemoryBound: 0
; FloatMode: 240
; IeeeMode: 1
; LDSByteSize: 0 bytes/workgroup (compile time only)
; SGPRBlocks: 0
; VGPRBlocks: 0
; NumSGPRsForWavesPerEU: 4
; NumVGPRsForWavesPerEU: 1
; AccumOffset: 4
; Occupancy: 8
; WaveLimiterHint : 0
; COMPUTE_PGM_RSRC2:SCRATCH_EN: 0
; COMPUTE_PGM_RSRC2:USER_SGPR: 6
; COMPUTE_PGM_RSRC2:TRAP_HANDLER: 0
; COMPUTE_PGM_RSRC2:TGID_X_EN: 1
; COMPUTE_PGM_RSRC2:TGID_Y_EN: 0
; COMPUTE_PGM_RSRC2:TGID_Z_EN: 0
; COMPUTE_PGM_RSRC2:TIDIG_COMP_CNT: 0
; COMPUTE_PGM_RSRC3_GFX90A:ACCUM_OFFSET: 0
; COMPUTE_PGM_RSRC3_GFX90A:TG_SPLIT: 0
	.section	.text._ZN7rocprim17ROCPRIM_400000_NS6detail17trampoline_kernelINS0_14default_configENS1_35radix_sort_onesweep_config_selectorIslEEZNS1_34radix_sort_onesweep_global_offsetsIS3_Lb0EPsN6thrust23THRUST_200600_302600_NS10device_ptrIlEEjNS0_19identity_decomposerEEE10hipError_tT1_T2_PT3_SG_jT4_jjP12ihipStream_tbEUlT_E0_NS1_11comp_targetILNS1_3genE2ELNS1_11target_archE906ELNS1_3gpuE6ELNS1_3repE0EEENS1_52radix_sort_onesweep_histogram_config_static_selectorELNS0_4arch9wavefront6targetE1EEEvSE_,"axG",@progbits,_ZN7rocprim17ROCPRIM_400000_NS6detail17trampoline_kernelINS0_14default_configENS1_35radix_sort_onesweep_config_selectorIslEEZNS1_34radix_sort_onesweep_global_offsetsIS3_Lb0EPsN6thrust23THRUST_200600_302600_NS10device_ptrIlEEjNS0_19identity_decomposerEEE10hipError_tT1_T2_PT3_SG_jT4_jjP12ihipStream_tbEUlT_E0_NS1_11comp_targetILNS1_3genE2ELNS1_11target_archE906ELNS1_3gpuE6ELNS1_3repE0EEENS1_52radix_sort_onesweep_histogram_config_static_selectorELNS0_4arch9wavefront6targetE1EEEvSE_,comdat
	.protected	_ZN7rocprim17ROCPRIM_400000_NS6detail17trampoline_kernelINS0_14default_configENS1_35radix_sort_onesweep_config_selectorIslEEZNS1_34radix_sort_onesweep_global_offsetsIS3_Lb0EPsN6thrust23THRUST_200600_302600_NS10device_ptrIlEEjNS0_19identity_decomposerEEE10hipError_tT1_T2_PT3_SG_jT4_jjP12ihipStream_tbEUlT_E0_NS1_11comp_targetILNS1_3genE2ELNS1_11target_archE906ELNS1_3gpuE6ELNS1_3repE0EEENS1_52radix_sort_onesweep_histogram_config_static_selectorELNS0_4arch9wavefront6targetE1EEEvSE_ ; -- Begin function _ZN7rocprim17ROCPRIM_400000_NS6detail17trampoline_kernelINS0_14default_configENS1_35radix_sort_onesweep_config_selectorIslEEZNS1_34radix_sort_onesweep_global_offsetsIS3_Lb0EPsN6thrust23THRUST_200600_302600_NS10device_ptrIlEEjNS0_19identity_decomposerEEE10hipError_tT1_T2_PT3_SG_jT4_jjP12ihipStream_tbEUlT_E0_NS1_11comp_targetILNS1_3genE2ELNS1_11target_archE906ELNS1_3gpuE6ELNS1_3repE0EEENS1_52radix_sort_onesweep_histogram_config_static_selectorELNS0_4arch9wavefront6targetE1EEEvSE_
	.globl	_ZN7rocprim17ROCPRIM_400000_NS6detail17trampoline_kernelINS0_14default_configENS1_35radix_sort_onesweep_config_selectorIslEEZNS1_34radix_sort_onesweep_global_offsetsIS3_Lb0EPsN6thrust23THRUST_200600_302600_NS10device_ptrIlEEjNS0_19identity_decomposerEEE10hipError_tT1_T2_PT3_SG_jT4_jjP12ihipStream_tbEUlT_E0_NS1_11comp_targetILNS1_3genE2ELNS1_11target_archE906ELNS1_3gpuE6ELNS1_3repE0EEENS1_52radix_sort_onesweep_histogram_config_static_selectorELNS0_4arch9wavefront6targetE1EEEvSE_
	.p2align	8
	.type	_ZN7rocprim17ROCPRIM_400000_NS6detail17trampoline_kernelINS0_14default_configENS1_35radix_sort_onesweep_config_selectorIslEEZNS1_34radix_sort_onesweep_global_offsetsIS3_Lb0EPsN6thrust23THRUST_200600_302600_NS10device_ptrIlEEjNS0_19identity_decomposerEEE10hipError_tT1_T2_PT3_SG_jT4_jjP12ihipStream_tbEUlT_E0_NS1_11comp_targetILNS1_3genE2ELNS1_11target_archE906ELNS1_3gpuE6ELNS1_3repE0EEENS1_52radix_sort_onesweep_histogram_config_static_selectorELNS0_4arch9wavefront6targetE1EEEvSE_,@function
_ZN7rocprim17ROCPRIM_400000_NS6detail17trampoline_kernelINS0_14default_configENS1_35radix_sort_onesweep_config_selectorIslEEZNS1_34radix_sort_onesweep_global_offsetsIS3_Lb0EPsN6thrust23THRUST_200600_302600_NS10device_ptrIlEEjNS0_19identity_decomposerEEE10hipError_tT1_T2_PT3_SG_jT4_jjP12ihipStream_tbEUlT_E0_NS1_11comp_targetILNS1_3genE2ELNS1_11target_archE906ELNS1_3gpuE6ELNS1_3repE0EEENS1_52radix_sort_onesweep_histogram_config_static_selectorELNS0_4arch9wavefront6targetE1EEEvSE_: ; @_ZN7rocprim17ROCPRIM_400000_NS6detail17trampoline_kernelINS0_14default_configENS1_35radix_sort_onesweep_config_selectorIslEEZNS1_34radix_sort_onesweep_global_offsetsIS3_Lb0EPsN6thrust23THRUST_200600_302600_NS10device_ptrIlEEjNS0_19identity_decomposerEEE10hipError_tT1_T2_PT3_SG_jT4_jjP12ihipStream_tbEUlT_E0_NS1_11comp_targetILNS1_3genE2ELNS1_11target_archE906ELNS1_3gpuE6ELNS1_3repE0EEENS1_52radix_sort_onesweep_histogram_config_static_selectorELNS0_4arch9wavefront6targetE1EEEvSE_
; %bb.0:
	.section	.rodata,"a",@progbits
	.p2align	6, 0x0
	.amdhsa_kernel _ZN7rocprim17ROCPRIM_400000_NS6detail17trampoline_kernelINS0_14default_configENS1_35radix_sort_onesweep_config_selectorIslEEZNS1_34radix_sort_onesweep_global_offsetsIS3_Lb0EPsN6thrust23THRUST_200600_302600_NS10device_ptrIlEEjNS0_19identity_decomposerEEE10hipError_tT1_T2_PT3_SG_jT4_jjP12ihipStream_tbEUlT_E0_NS1_11comp_targetILNS1_3genE2ELNS1_11target_archE906ELNS1_3gpuE6ELNS1_3repE0EEENS1_52radix_sort_onesweep_histogram_config_static_selectorELNS0_4arch9wavefront6targetE1EEEvSE_
		.amdhsa_group_segment_fixed_size 0
		.amdhsa_private_segment_fixed_size 0
		.amdhsa_kernarg_size 8
		.amdhsa_user_sgpr_count 6
		.amdhsa_user_sgpr_private_segment_buffer 1
		.amdhsa_user_sgpr_dispatch_ptr 0
		.amdhsa_user_sgpr_queue_ptr 0
		.amdhsa_user_sgpr_kernarg_segment_ptr 1
		.amdhsa_user_sgpr_dispatch_id 0
		.amdhsa_user_sgpr_flat_scratch_init 0
		.amdhsa_user_sgpr_kernarg_preload_length 0
		.amdhsa_user_sgpr_kernarg_preload_offset 0
		.amdhsa_user_sgpr_private_segment_size 0
		.amdhsa_uses_dynamic_stack 0
		.amdhsa_system_sgpr_private_segment_wavefront_offset 0
		.amdhsa_system_sgpr_workgroup_id_x 1
		.amdhsa_system_sgpr_workgroup_id_y 0
		.amdhsa_system_sgpr_workgroup_id_z 0
		.amdhsa_system_sgpr_workgroup_info 0
		.amdhsa_system_vgpr_workitem_id 0
		.amdhsa_next_free_vgpr 1
		.amdhsa_next_free_sgpr 0
		.amdhsa_accum_offset 4
		.amdhsa_reserve_vcc 0
		.amdhsa_reserve_flat_scratch 0
		.amdhsa_float_round_mode_32 0
		.amdhsa_float_round_mode_16_64 0
		.amdhsa_float_denorm_mode_32 3
		.amdhsa_float_denorm_mode_16_64 3
		.amdhsa_dx10_clamp 1
		.amdhsa_ieee_mode 1
		.amdhsa_fp16_overflow 0
		.amdhsa_tg_split 0
		.amdhsa_exception_fp_ieee_invalid_op 0
		.amdhsa_exception_fp_denorm_src 0
		.amdhsa_exception_fp_ieee_div_zero 0
		.amdhsa_exception_fp_ieee_overflow 0
		.amdhsa_exception_fp_ieee_underflow 0
		.amdhsa_exception_fp_ieee_inexact 0
		.amdhsa_exception_int_div_zero 0
	.end_amdhsa_kernel
	.section	.text._ZN7rocprim17ROCPRIM_400000_NS6detail17trampoline_kernelINS0_14default_configENS1_35radix_sort_onesweep_config_selectorIslEEZNS1_34radix_sort_onesweep_global_offsetsIS3_Lb0EPsN6thrust23THRUST_200600_302600_NS10device_ptrIlEEjNS0_19identity_decomposerEEE10hipError_tT1_T2_PT3_SG_jT4_jjP12ihipStream_tbEUlT_E0_NS1_11comp_targetILNS1_3genE2ELNS1_11target_archE906ELNS1_3gpuE6ELNS1_3repE0EEENS1_52radix_sort_onesweep_histogram_config_static_selectorELNS0_4arch9wavefront6targetE1EEEvSE_,"axG",@progbits,_ZN7rocprim17ROCPRIM_400000_NS6detail17trampoline_kernelINS0_14default_configENS1_35radix_sort_onesweep_config_selectorIslEEZNS1_34radix_sort_onesweep_global_offsetsIS3_Lb0EPsN6thrust23THRUST_200600_302600_NS10device_ptrIlEEjNS0_19identity_decomposerEEE10hipError_tT1_T2_PT3_SG_jT4_jjP12ihipStream_tbEUlT_E0_NS1_11comp_targetILNS1_3genE2ELNS1_11target_archE906ELNS1_3gpuE6ELNS1_3repE0EEENS1_52radix_sort_onesweep_histogram_config_static_selectorELNS0_4arch9wavefront6targetE1EEEvSE_,comdat
.Lfunc_end1392:
	.size	_ZN7rocprim17ROCPRIM_400000_NS6detail17trampoline_kernelINS0_14default_configENS1_35radix_sort_onesweep_config_selectorIslEEZNS1_34radix_sort_onesweep_global_offsetsIS3_Lb0EPsN6thrust23THRUST_200600_302600_NS10device_ptrIlEEjNS0_19identity_decomposerEEE10hipError_tT1_T2_PT3_SG_jT4_jjP12ihipStream_tbEUlT_E0_NS1_11comp_targetILNS1_3genE2ELNS1_11target_archE906ELNS1_3gpuE6ELNS1_3repE0EEENS1_52radix_sort_onesweep_histogram_config_static_selectorELNS0_4arch9wavefront6targetE1EEEvSE_, .Lfunc_end1392-_ZN7rocprim17ROCPRIM_400000_NS6detail17trampoline_kernelINS0_14default_configENS1_35radix_sort_onesweep_config_selectorIslEEZNS1_34radix_sort_onesweep_global_offsetsIS3_Lb0EPsN6thrust23THRUST_200600_302600_NS10device_ptrIlEEjNS0_19identity_decomposerEEE10hipError_tT1_T2_PT3_SG_jT4_jjP12ihipStream_tbEUlT_E0_NS1_11comp_targetILNS1_3genE2ELNS1_11target_archE906ELNS1_3gpuE6ELNS1_3repE0EEENS1_52radix_sort_onesweep_histogram_config_static_selectorELNS0_4arch9wavefront6targetE1EEEvSE_
                                        ; -- End function
	.section	.AMDGPU.csdata,"",@progbits
; Kernel info:
; codeLenInByte = 0
; NumSgprs: 4
; NumVgprs: 0
; NumAgprs: 0
; TotalNumVgprs: 0
; ScratchSize: 0
; MemoryBound: 0
; FloatMode: 240
; IeeeMode: 1
; LDSByteSize: 0 bytes/workgroup (compile time only)
; SGPRBlocks: 0
; VGPRBlocks: 0
; NumSGPRsForWavesPerEU: 4
; NumVGPRsForWavesPerEU: 1
; AccumOffset: 4
; Occupancy: 8
; WaveLimiterHint : 0
; COMPUTE_PGM_RSRC2:SCRATCH_EN: 0
; COMPUTE_PGM_RSRC2:USER_SGPR: 6
; COMPUTE_PGM_RSRC2:TRAP_HANDLER: 0
; COMPUTE_PGM_RSRC2:TGID_X_EN: 1
; COMPUTE_PGM_RSRC2:TGID_Y_EN: 0
; COMPUTE_PGM_RSRC2:TGID_Z_EN: 0
; COMPUTE_PGM_RSRC2:TIDIG_COMP_CNT: 0
; COMPUTE_PGM_RSRC3_GFX90A:ACCUM_OFFSET: 0
; COMPUTE_PGM_RSRC3_GFX90A:TG_SPLIT: 0
	.section	.text._ZN7rocprim17ROCPRIM_400000_NS6detail17trampoline_kernelINS0_14default_configENS1_35radix_sort_onesweep_config_selectorIslEEZNS1_34radix_sort_onesweep_global_offsetsIS3_Lb0EPsN6thrust23THRUST_200600_302600_NS10device_ptrIlEEjNS0_19identity_decomposerEEE10hipError_tT1_T2_PT3_SG_jT4_jjP12ihipStream_tbEUlT_E0_NS1_11comp_targetILNS1_3genE4ELNS1_11target_archE910ELNS1_3gpuE8ELNS1_3repE0EEENS1_52radix_sort_onesweep_histogram_config_static_selectorELNS0_4arch9wavefront6targetE1EEEvSE_,"axG",@progbits,_ZN7rocprim17ROCPRIM_400000_NS6detail17trampoline_kernelINS0_14default_configENS1_35radix_sort_onesweep_config_selectorIslEEZNS1_34radix_sort_onesweep_global_offsetsIS3_Lb0EPsN6thrust23THRUST_200600_302600_NS10device_ptrIlEEjNS0_19identity_decomposerEEE10hipError_tT1_T2_PT3_SG_jT4_jjP12ihipStream_tbEUlT_E0_NS1_11comp_targetILNS1_3genE4ELNS1_11target_archE910ELNS1_3gpuE8ELNS1_3repE0EEENS1_52radix_sort_onesweep_histogram_config_static_selectorELNS0_4arch9wavefront6targetE1EEEvSE_,comdat
	.protected	_ZN7rocprim17ROCPRIM_400000_NS6detail17trampoline_kernelINS0_14default_configENS1_35radix_sort_onesweep_config_selectorIslEEZNS1_34radix_sort_onesweep_global_offsetsIS3_Lb0EPsN6thrust23THRUST_200600_302600_NS10device_ptrIlEEjNS0_19identity_decomposerEEE10hipError_tT1_T2_PT3_SG_jT4_jjP12ihipStream_tbEUlT_E0_NS1_11comp_targetILNS1_3genE4ELNS1_11target_archE910ELNS1_3gpuE8ELNS1_3repE0EEENS1_52radix_sort_onesweep_histogram_config_static_selectorELNS0_4arch9wavefront6targetE1EEEvSE_ ; -- Begin function _ZN7rocprim17ROCPRIM_400000_NS6detail17trampoline_kernelINS0_14default_configENS1_35radix_sort_onesweep_config_selectorIslEEZNS1_34radix_sort_onesweep_global_offsetsIS3_Lb0EPsN6thrust23THRUST_200600_302600_NS10device_ptrIlEEjNS0_19identity_decomposerEEE10hipError_tT1_T2_PT3_SG_jT4_jjP12ihipStream_tbEUlT_E0_NS1_11comp_targetILNS1_3genE4ELNS1_11target_archE910ELNS1_3gpuE8ELNS1_3repE0EEENS1_52radix_sort_onesweep_histogram_config_static_selectorELNS0_4arch9wavefront6targetE1EEEvSE_
	.globl	_ZN7rocprim17ROCPRIM_400000_NS6detail17trampoline_kernelINS0_14default_configENS1_35radix_sort_onesweep_config_selectorIslEEZNS1_34radix_sort_onesweep_global_offsetsIS3_Lb0EPsN6thrust23THRUST_200600_302600_NS10device_ptrIlEEjNS0_19identity_decomposerEEE10hipError_tT1_T2_PT3_SG_jT4_jjP12ihipStream_tbEUlT_E0_NS1_11comp_targetILNS1_3genE4ELNS1_11target_archE910ELNS1_3gpuE8ELNS1_3repE0EEENS1_52radix_sort_onesweep_histogram_config_static_selectorELNS0_4arch9wavefront6targetE1EEEvSE_
	.p2align	8
	.type	_ZN7rocprim17ROCPRIM_400000_NS6detail17trampoline_kernelINS0_14default_configENS1_35radix_sort_onesweep_config_selectorIslEEZNS1_34radix_sort_onesweep_global_offsetsIS3_Lb0EPsN6thrust23THRUST_200600_302600_NS10device_ptrIlEEjNS0_19identity_decomposerEEE10hipError_tT1_T2_PT3_SG_jT4_jjP12ihipStream_tbEUlT_E0_NS1_11comp_targetILNS1_3genE4ELNS1_11target_archE910ELNS1_3gpuE8ELNS1_3repE0EEENS1_52radix_sort_onesweep_histogram_config_static_selectorELNS0_4arch9wavefront6targetE1EEEvSE_,@function
_ZN7rocprim17ROCPRIM_400000_NS6detail17trampoline_kernelINS0_14default_configENS1_35radix_sort_onesweep_config_selectorIslEEZNS1_34radix_sort_onesweep_global_offsetsIS3_Lb0EPsN6thrust23THRUST_200600_302600_NS10device_ptrIlEEjNS0_19identity_decomposerEEE10hipError_tT1_T2_PT3_SG_jT4_jjP12ihipStream_tbEUlT_E0_NS1_11comp_targetILNS1_3genE4ELNS1_11target_archE910ELNS1_3gpuE8ELNS1_3repE0EEENS1_52radix_sort_onesweep_histogram_config_static_selectorELNS0_4arch9wavefront6targetE1EEEvSE_: ; @_ZN7rocprim17ROCPRIM_400000_NS6detail17trampoline_kernelINS0_14default_configENS1_35radix_sort_onesweep_config_selectorIslEEZNS1_34radix_sort_onesweep_global_offsetsIS3_Lb0EPsN6thrust23THRUST_200600_302600_NS10device_ptrIlEEjNS0_19identity_decomposerEEE10hipError_tT1_T2_PT3_SG_jT4_jjP12ihipStream_tbEUlT_E0_NS1_11comp_targetILNS1_3genE4ELNS1_11target_archE910ELNS1_3gpuE8ELNS1_3repE0EEENS1_52radix_sort_onesweep_histogram_config_static_selectorELNS0_4arch9wavefront6targetE1EEEvSE_
; %bb.0:
	s_load_dwordx2 s[0:1], s[4:5], 0x0
	s_lshl_b32 s2, s6, 8
	s_mov_b32 s3, 0
	s_lshl_b64 s[2:3], s[2:3], 2
	v_lshlrev_b32_e32 v1, 2, v0
	s_waitcnt lgkmcnt(0)
	s_add_u32 s10, s0, s2
	s_movk_i32 s0, 0x100
	s_addc_u32 s11, s1, s3
	v_cmp_gt_u32_e32 vcc, s0, v0
                                        ; implicit-def: $vgpr3
	s_and_saveexec_b64 s[0:1], vcc
	s_cbranch_execz .LBB1393_2
; %bb.1:
	global_load_dword v3, v1, s[10:11]
.LBB1393_2:
	s_or_b64 exec, exec, s[0:1]
	v_mbcnt_lo_u32_b32 v2, -1, 0
	v_mbcnt_hi_u32_b32 v2, -1, v2
	v_and_b32_e32 v4, 15, v2
	s_waitcnt vmcnt(0)
	v_mov_b32_dpp v5, v3 row_shr:1 row_mask:0xf bank_mask:0xf
	v_cmp_eq_u32_e64 s[0:1], 0, v4
	v_cndmask_b32_e64 v5, v5, 0, s[0:1]
	v_add_u32_e32 v3, v5, v3
	v_cmp_lt_u32_e64 s[2:3], 1, v4
	v_cmp_lt_u32_e64 s[4:5], 3, v4
	v_mov_b32_dpp v5, v3 row_shr:2 row_mask:0xf bank_mask:0xf
	v_cndmask_b32_e64 v5, 0, v5, s[2:3]
	v_add_u32_e32 v3, v3, v5
	v_cmp_lt_u32_e64 s[6:7], 7, v4
	v_cmp_lt_u32_e64 s[8:9], 31, v2
	v_mov_b32_dpp v5, v3 row_shr:4 row_mask:0xf bank_mask:0xf
	v_cndmask_b32_e64 v5, 0, v5, s[4:5]
	v_add_u32_e32 v3, v3, v5
	s_nop 1
	v_mov_b32_dpp v5, v3 row_shr:8 row_mask:0xf bank_mask:0xf
	v_cndmask_b32_e64 v4, 0, v5, s[6:7]
	v_add_u32_e32 v3, v3, v4
	v_bfe_i32 v5, v2, 4, 1
	s_nop 0
	v_mov_b32_dpp v4, v3 row_bcast:15 row_mask:0xf bank_mask:0xf
	v_and_b32_e32 v4, v5, v4
	v_add_u32_e32 v3, v3, v4
	v_and_b32_e32 v5, 63, v0
	s_nop 0
	v_mov_b32_dpp v4, v3 row_bcast:31 row_mask:0xf bank_mask:0xf
	v_cndmask_b32_e64 v4, 0, v4, s[8:9]
	v_add_u32_e32 v3, v3, v4
	v_lshrrev_b32_e32 v4, 6, v0
	v_cmp_eq_u32_e64 s[8:9], 63, v5
	s_and_saveexec_b64 s[12:13], s[8:9]
	s_cbranch_execz .LBB1393_4
; %bb.3:
	v_lshlrev_b32_e32 v5, 2, v4
	ds_write_b32 v5, v3
.LBB1393_4:
	s_or_b64 exec, exec, s[12:13]
	v_cmp_gt_u32_e64 s[8:9], 16, v0
	s_waitcnt lgkmcnt(0)
	s_barrier
	s_and_saveexec_b64 s[12:13], s[8:9]
	s_cbranch_execz .LBB1393_6
; %bb.5:
	ds_read_b32 v5, v1
	s_waitcnt lgkmcnt(0)
	s_nop 0
	v_mov_b32_dpp v6, v5 row_shr:1 row_mask:0xf bank_mask:0xf
	v_cndmask_b32_e64 v6, v6, 0, s[0:1]
	v_add_u32_e32 v5, v6, v5
	s_nop 1
	v_mov_b32_dpp v6, v5 row_shr:2 row_mask:0xf bank_mask:0xf
	v_cndmask_b32_e64 v6, 0, v6, s[2:3]
	v_add_u32_e32 v5, v5, v6
	s_nop 1
	v_mov_b32_dpp v6, v5 row_shr:4 row_mask:0xf bank_mask:0xf
	v_cndmask_b32_e64 v6, 0, v6, s[4:5]
	v_add_u32_e32 v5, v5, v6
	s_nop 1
	v_mov_b32_dpp v6, v5 row_shr:8 row_mask:0xf bank_mask:0xf
	v_cndmask_b32_e64 v6, 0, v6, s[6:7]
	v_add_u32_e32 v5, v5, v6
	ds_write_b32 v1, v5
.LBB1393_6:
	s_or_b64 exec, exec, s[12:13]
	v_cmp_lt_u32_e64 s[0:1], 63, v0
	v_mov_b32_e32 v0, 0
	s_waitcnt lgkmcnt(0)
	s_barrier
	s_and_saveexec_b64 s[2:3], s[0:1]
	s_cbranch_execz .LBB1393_8
; %bb.7:
	v_lshl_add_u32 v0, v4, 2, -4
	ds_read_b32 v0, v0
.LBB1393_8:
	s_or_b64 exec, exec, s[2:3]
	v_add_u32_e32 v4, -1, v2
	v_and_b32_e32 v5, 64, v2
	v_cmp_lt_i32_e64 s[0:1], v4, v5
	v_cndmask_b32_e64 v4, v4, v2, s[0:1]
	s_waitcnt lgkmcnt(0)
	v_add_u32_e32 v3, v0, v3
	v_lshlrev_b32_e32 v4, 2, v4
	ds_bpermute_b32 v3, v4, v3
	s_and_saveexec_b64 s[0:1], vcc
	s_cbranch_execz .LBB1393_10
; %bb.9:
	v_cmp_eq_u32_e32 vcc, 0, v2
	s_waitcnt lgkmcnt(0)
	v_cndmask_b32_e32 v0, v3, v0, vcc
	global_store_dword v1, v0, s[10:11]
.LBB1393_10:
	s_endpgm
	.section	.rodata,"a",@progbits
	.p2align	6, 0x0
	.amdhsa_kernel _ZN7rocprim17ROCPRIM_400000_NS6detail17trampoline_kernelINS0_14default_configENS1_35radix_sort_onesweep_config_selectorIslEEZNS1_34radix_sort_onesweep_global_offsetsIS3_Lb0EPsN6thrust23THRUST_200600_302600_NS10device_ptrIlEEjNS0_19identity_decomposerEEE10hipError_tT1_T2_PT3_SG_jT4_jjP12ihipStream_tbEUlT_E0_NS1_11comp_targetILNS1_3genE4ELNS1_11target_archE910ELNS1_3gpuE8ELNS1_3repE0EEENS1_52radix_sort_onesweep_histogram_config_static_selectorELNS0_4arch9wavefront6targetE1EEEvSE_
		.amdhsa_group_segment_fixed_size 64
		.amdhsa_private_segment_fixed_size 0
		.amdhsa_kernarg_size 8
		.amdhsa_user_sgpr_count 6
		.amdhsa_user_sgpr_private_segment_buffer 1
		.amdhsa_user_sgpr_dispatch_ptr 0
		.amdhsa_user_sgpr_queue_ptr 0
		.amdhsa_user_sgpr_kernarg_segment_ptr 1
		.amdhsa_user_sgpr_dispatch_id 0
		.amdhsa_user_sgpr_flat_scratch_init 0
		.amdhsa_user_sgpr_kernarg_preload_length 0
		.amdhsa_user_sgpr_kernarg_preload_offset 0
		.amdhsa_user_sgpr_private_segment_size 0
		.amdhsa_uses_dynamic_stack 0
		.amdhsa_system_sgpr_private_segment_wavefront_offset 0
		.amdhsa_system_sgpr_workgroup_id_x 1
		.amdhsa_system_sgpr_workgroup_id_y 0
		.amdhsa_system_sgpr_workgroup_id_z 0
		.amdhsa_system_sgpr_workgroup_info 0
		.amdhsa_system_vgpr_workitem_id 0
		.amdhsa_next_free_vgpr 7
		.amdhsa_next_free_sgpr 14
		.amdhsa_accum_offset 8
		.amdhsa_reserve_vcc 1
		.amdhsa_reserve_flat_scratch 0
		.amdhsa_float_round_mode_32 0
		.amdhsa_float_round_mode_16_64 0
		.amdhsa_float_denorm_mode_32 3
		.amdhsa_float_denorm_mode_16_64 3
		.amdhsa_dx10_clamp 1
		.amdhsa_ieee_mode 1
		.amdhsa_fp16_overflow 0
		.amdhsa_tg_split 0
		.amdhsa_exception_fp_ieee_invalid_op 0
		.amdhsa_exception_fp_denorm_src 0
		.amdhsa_exception_fp_ieee_div_zero 0
		.amdhsa_exception_fp_ieee_overflow 0
		.amdhsa_exception_fp_ieee_underflow 0
		.amdhsa_exception_fp_ieee_inexact 0
		.amdhsa_exception_int_div_zero 0
	.end_amdhsa_kernel
	.section	.text._ZN7rocprim17ROCPRIM_400000_NS6detail17trampoline_kernelINS0_14default_configENS1_35radix_sort_onesweep_config_selectorIslEEZNS1_34radix_sort_onesweep_global_offsetsIS3_Lb0EPsN6thrust23THRUST_200600_302600_NS10device_ptrIlEEjNS0_19identity_decomposerEEE10hipError_tT1_T2_PT3_SG_jT4_jjP12ihipStream_tbEUlT_E0_NS1_11comp_targetILNS1_3genE4ELNS1_11target_archE910ELNS1_3gpuE8ELNS1_3repE0EEENS1_52radix_sort_onesweep_histogram_config_static_selectorELNS0_4arch9wavefront6targetE1EEEvSE_,"axG",@progbits,_ZN7rocprim17ROCPRIM_400000_NS6detail17trampoline_kernelINS0_14default_configENS1_35radix_sort_onesweep_config_selectorIslEEZNS1_34radix_sort_onesweep_global_offsetsIS3_Lb0EPsN6thrust23THRUST_200600_302600_NS10device_ptrIlEEjNS0_19identity_decomposerEEE10hipError_tT1_T2_PT3_SG_jT4_jjP12ihipStream_tbEUlT_E0_NS1_11comp_targetILNS1_3genE4ELNS1_11target_archE910ELNS1_3gpuE8ELNS1_3repE0EEENS1_52radix_sort_onesweep_histogram_config_static_selectorELNS0_4arch9wavefront6targetE1EEEvSE_,comdat
.Lfunc_end1393:
	.size	_ZN7rocprim17ROCPRIM_400000_NS6detail17trampoline_kernelINS0_14default_configENS1_35radix_sort_onesweep_config_selectorIslEEZNS1_34radix_sort_onesweep_global_offsetsIS3_Lb0EPsN6thrust23THRUST_200600_302600_NS10device_ptrIlEEjNS0_19identity_decomposerEEE10hipError_tT1_T2_PT3_SG_jT4_jjP12ihipStream_tbEUlT_E0_NS1_11comp_targetILNS1_3genE4ELNS1_11target_archE910ELNS1_3gpuE8ELNS1_3repE0EEENS1_52radix_sort_onesweep_histogram_config_static_selectorELNS0_4arch9wavefront6targetE1EEEvSE_, .Lfunc_end1393-_ZN7rocprim17ROCPRIM_400000_NS6detail17trampoline_kernelINS0_14default_configENS1_35radix_sort_onesweep_config_selectorIslEEZNS1_34radix_sort_onesweep_global_offsetsIS3_Lb0EPsN6thrust23THRUST_200600_302600_NS10device_ptrIlEEjNS0_19identity_decomposerEEE10hipError_tT1_T2_PT3_SG_jT4_jjP12ihipStream_tbEUlT_E0_NS1_11comp_targetILNS1_3genE4ELNS1_11target_archE910ELNS1_3gpuE8ELNS1_3repE0EEENS1_52radix_sort_onesweep_histogram_config_static_selectorELNS0_4arch9wavefront6targetE1EEEvSE_
                                        ; -- End function
	.section	.AMDGPU.csdata,"",@progbits
; Kernel info:
; codeLenInByte = 572
; NumSgprs: 18
; NumVgprs: 7
; NumAgprs: 0
; TotalNumVgprs: 7
; ScratchSize: 0
; MemoryBound: 0
; FloatMode: 240
; IeeeMode: 1
; LDSByteSize: 64 bytes/workgroup (compile time only)
; SGPRBlocks: 2
; VGPRBlocks: 0
; NumSGPRsForWavesPerEU: 18
; NumVGPRsForWavesPerEU: 7
; AccumOffset: 8
; Occupancy: 8
; WaveLimiterHint : 0
; COMPUTE_PGM_RSRC2:SCRATCH_EN: 0
; COMPUTE_PGM_RSRC2:USER_SGPR: 6
; COMPUTE_PGM_RSRC2:TRAP_HANDLER: 0
; COMPUTE_PGM_RSRC2:TGID_X_EN: 1
; COMPUTE_PGM_RSRC2:TGID_Y_EN: 0
; COMPUTE_PGM_RSRC2:TGID_Z_EN: 0
; COMPUTE_PGM_RSRC2:TIDIG_COMP_CNT: 0
; COMPUTE_PGM_RSRC3_GFX90A:ACCUM_OFFSET: 1
; COMPUTE_PGM_RSRC3_GFX90A:TG_SPLIT: 0
	.section	.text._ZN7rocprim17ROCPRIM_400000_NS6detail17trampoline_kernelINS0_14default_configENS1_35radix_sort_onesweep_config_selectorIslEEZNS1_34radix_sort_onesweep_global_offsetsIS3_Lb0EPsN6thrust23THRUST_200600_302600_NS10device_ptrIlEEjNS0_19identity_decomposerEEE10hipError_tT1_T2_PT3_SG_jT4_jjP12ihipStream_tbEUlT_E0_NS1_11comp_targetILNS1_3genE3ELNS1_11target_archE908ELNS1_3gpuE7ELNS1_3repE0EEENS1_52radix_sort_onesweep_histogram_config_static_selectorELNS0_4arch9wavefront6targetE1EEEvSE_,"axG",@progbits,_ZN7rocprim17ROCPRIM_400000_NS6detail17trampoline_kernelINS0_14default_configENS1_35radix_sort_onesweep_config_selectorIslEEZNS1_34radix_sort_onesweep_global_offsetsIS3_Lb0EPsN6thrust23THRUST_200600_302600_NS10device_ptrIlEEjNS0_19identity_decomposerEEE10hipError_tT1_T2_PT3_SG_jT4_jjP12ihipStream_tbEUlT_E0_NS1_11comp_targetILNS1_3genE3ELNS1_11target_archE908ELNS1_3gpuE7ELNS1_3repE0EEENS1_52radix_sort_onesweep_histogram_config_static_selectorELNS0_4arch9wavefront6targetE1EEEvSE_,comdat
	.protected	_ZN7rocprim17ROCPRIM_400000_NS6detail17trampoline_kernelINS0_14default_configENS1_35radix_sort_onesweep_config_selectorIslEEZNS1_34radix_sort_onesweep_global_offsetsIS3_Lb0EPsN6thrust23THRUST_200600_302600_NS10device_ptrIlEEjNS0_19identity_decomposerEEE10hipError_tT1_T2_PT3_SG_jT4_jjP12ihipStream_tbEUlT_E0_NS1_11comp_targetILNS1_3genE3ELNS1_11target_archE908ELNS1_3gpuE7ELNS1_3repE0EEENS1_52radix_sort_onesweep_histogram_config_static_selectorELNS0_4arch9wavefront6targetE1EEEvSE_ ; -- Begin function _ZN7rocprim17ROCPRIM_400000_NS6detail17trampoline_kernelINS0_14default_configENS1_35radix_sort_onesweep_config_selectorIslEEZNS1_34radix_sort_onesweep_global_offsetsIS3_Lb0EPsN6thrust23THRUST_200600_302600_NS10device_ptrIlEEjNS0_19identity_decomposerEEE10hipError_tT1_T2_PT3_SG_jT4_jjP12ihipStream_tbEUlT_E0_NS1_11comp_targetILNS1_3genE3ELNS1_11target_archE908ELNS1_3gpuE7ELNS1_3repE0EEENS1_52radix_sort_onesweep_histogram_config_static_selectorELNS0_4arch9wavefront6targetE1EEEvSE_
	.globl	_ZN7rocprim17ROCPRIM_400000_NS6detail17trampoline_kernelINS0_14default_configENS1_35radix_sort_onesweep_config_selectorIslEEZNS1_34radix_sort_onesweep_global_offsetsIS3_Lb0EPsN6thrust23THRUST_200600_302600_NS10device_ptrIlEEjNS0_19identity_decomposerEEE10hipError_tT1_T2_PT3_SG_jT4_jjP12ihipStream_tbEUlT_E0_NS1_11comp_targetILNS1_3genE3ELNS1_11target_archE908ELNS1_3gpuE7ELNS1_3repE0EEENS1_52radix_sort_onesweep_histogram_config_static_selectorELNS0_4arch9wavefront6targetE1EEEvSE_
	.p2align	8
	.type	_ZN7rocprim17ROCPRIM_400000_NS6detail17trampoline_kernelINS0_14default_configENS1_35radix_sort_onesweep_config_selectorIslEEZNS1_34radix_sort_onesweep_global_offsetsIS3_Lb0EPsN6thrust23THRUST_200600_302600_NS10device_ptrIlEEjNS0_19identity_decomposerEEE10hipError_tT1_T2_PT3_SG_jT4_jjP12ihipStream_tbEUlT_E0_NS1_11comp_targetILNS1_3genE3ELNS1_11target_archE908ELNS1_3gpuE7ELNS1_3repE0EEENS1_52radix_sort_onesweep_histogram_config_static_selectorELNS0_4arch9wavefront6targetE1EEEvSE_,@function
_ZN7rocprim17ROCPRIM_400000_NS6detail17trampoline_kernelINS0_14default_configENS1_35radix_sort_onesweep_config_selectorIslEEZNS1_34radix_sort_onesweep_global_offsetsIS3_Lb0EPsN6thrust23THRUST_200600_302600_NS10device_ptrIlEEjNS0_19identity_decomposerEEE10hipError_tT1_T2_PT3_SG_jT4_jjP12ihipStream_tbEUlT_E0_NS1_11comp_targetILNS1_3genE3ELNS1_11target_archE908ELNS1_3gpuE7ELNS1_3repE0EEENS1_52radix_sort_onesweep_histogram_config_static_selectorELNS0_4arch9wavefront6targetE1EEEvSE_: ; @_ZN7rocprim17ROCPRIM_400000_NS6detail17trampoline_kernelINS0_14default_configENS1_35radix_sort_onesweep_config_selectorIslEEZNS1_34radix_sort_onesweep_global_offsetsIS3_Lb0EPsN6thrust23THRUST_200600_302600_NS10device_ptrIlEEjNS0_19identity_decomposerEEE10hipError_tT1_T2_PT3_SG_jT4_jjP12ihipStream_tbEUlT_E0_NS1_11comp_targetILNS1_3genE3ELNS1_11target_archE908ELNS1_3gpuE7ELNS1_3repE0EEENS1_52radix_sort_onesweep_histogram_config_static_selectorELNS0_4arch9wavefront6targetE1EEEvSE_
; %bb.0:
	.section	.rodata,"a",@progbits
	.p2align	6, 0x0
	.amdhsa_kernel _ZN7rocprim17ROCPRIM_400000_NS6detail17trampoline_kernelINS0_14default_configENS1_35radix_sort_onesweep_config_selectorIslEEZNS1_34radix_sort_onesweep_global_offsetsIS3_Lb0EPsN6thrust23THRUST_200600_302600_NS10device_ptrIlEEjNS0_19identity_decomposerEEE10hipError_tT1_T2_PT3_SG_jT4_jjP12ihipStream_tbEUlT_E0_NS1_11comp_targetILNS1_3genE3ELNS1_11target_archE908ELNS1_3gpuE7ELNS1_3repE0EEENS1_52radix_sort_onesweep_histogram_config_static_selectorELNS0_4arch9wavefront6targetE1EEEvSE_
		.amdhsa_group_segment_fixed_size 0
		.amdhsa_private_segment_fixed_size 0
		.amdhsa_kernarg_size 8
		.amdhsa_user_sgpr_count 6
		.amdhsa_user_sgpr_private_segment_buffer 1
		.amdhsa_user_sgpr_dispatch_ptr 0
		.amdhsa_user_sgpr_queue_ptr 0
		.amdhsa_user_sgpr_kernarg_segment_ptr 1
		.amdhsa_user_sgpr_dispatch_id 0
		.amdhsa_user_sgpr_flat_scratch_init 0
		.amdhsa_user_sgpr_kernarg_preload_length 0
		.amdhsa_user_sgpr_kernarg_preload_offset 0
		.amdhsa_user_sgpr_private_segment_size 0
		.amdhsa_uses_dynamic_stack 0
		.amdhsa_system_sgpr_private_segment_wavefront_offset 0
		.amdhsa_system_sgpr_workgroup_id_x 1
		.amdhsa_system_sgpr_workgroup_id_y 0
		.amdhsa_system_sgpr_workgroup_id_z 0
		.amdhsa_system_sgpr_workgroup_info 0
		.amdhsa_system_vgpr_workitem_id 0
		.amdhsa_next_free_vgpr 1
		.amdhsa_next_free_sgpr 0
		.amdhsa_accum_offset 4
		.amdhsa_reserve_vcc 0
		.amdhsa_reserve_flat_scratch 0
		.amdhsa_float_round_mode_32 0
		.amdhsa_float_round_mode_16_64 0
		.amdhsa_float_denorm_mode_32 3
		.amdhsa_float_denorm_mode_16_64 3
		.amdhsa_dx10_clamp 1
		.amdhsa_ieee_mode 1
		.amdhsa_fp16_overflow 0
		.amdhsa_tg_split 0
		.amdhsa_exception_fp_ieee_invalid_op 0
		.amdhsa_exception_fp_denorm_src 0
		.amdhsa_exception_fp_ieee_div_zero 0
		.amdhsa_exception_fp_ieee_overflow 0
		.amdhsa_exception_fp_ieee_underflow 0
		.amdhsa_exception_fp_ieee_inexact 0
		.amdhsa_exception_int_div_zero 0
	.end_amdhsa_kernel
	.section	.text._ZN7rocprim17ROCPRIM_400000_NS6detail17trampoline_kernelINS0_14default_configENS1_35radix_sort_onesweep_config_selectorIslEEZNS1_34radix_sort_onesweep_global_offsetsIS3_Lb0EPsN6thrust23THRUST_200600_302600_NS10device_ptrIlEEjNS0_19identity_decomposerEEE10hipError_tT1_T2_PT3_SG_jT4_jjP12ihipStream_tbEUlT_E0_NS1_11comp_targetILNS1_3genE3ELNS1_11target_archE908ELNS1_3gpuE7ELNS1_3repE0EEENS1_52radix_sort_onesweep_histogram_config_static_selectorELNS0_4arch9wavefront6targetE1EEEvSE_,"axG",@progbits,_ZN7rocprim17ROCPRIM_400000_NS6detail17trampoline_kernelINS0_14default_configENS1_35radix_sort_onesweep_config_selectorIslEEZNS1_34radix_sort_onesweep_global_offsetsIS3_Lb0EPsN6thrust23THRUST_200600_302600_NS10device_ptrIlEEjNS0_19identity_decomposerEEE10hipError_tT1_T2_PT3_SG_jT4_jjP12ihipStream_tbEUlT_E0_NS1_11comp_targetILNS1_3genE3ELNS1_11target_archE908ELNS1_3gpuE7ELNS1_3repE0EEENS1_52radix_sort_onesweep_histogram_config_static_selectorELNS0_4arch9wavefront6targetE1EEEvSE_,comdat
.Lfunc_end1394:
	.size	_ZN7rocprim17ROCPRIM_400000_NS6detail17trampoline_kernelINS0_14default_configENS1_35radix_sort_onesweep_config_selectorIslEEZNS1_34radix_sort_onesweep_global_offsetsIS3_Lb0EPsN6thrust23THRUST_200600_302600_NS10device_ptrIlEEjNS0_19identity_decomposerEEE10hipError_tT1_T2_PT3_SG_jT4_jjP12ihipStream_tbEUlT_E0_NS1_11comp_targetILNS1_3genE3ELNS1_11target_archE908ELNS1_3gpuE7ELNS1_3repE0EEENS1_52radix_sort_onesweep_histogram_config_static_selectorELNS0_4arch9wavefront6targetE1EEEvSE_, .Lfunc_end1394-_ZN7rocprim17ROCPRIM_400000_NS6detail17trampoline_kernelINS0_14default_configENS1_35radix_sort_onesweep_config_selectorIslEEZNS1_34radix_sort_onesweep_global_offsetsIS3_Lb0EPsN6thrust23THRUST_200600_302600_NS10device_ptrIlEEjNS0_19identity_decomposerEEE10hipError_tT1_T2_PT3_SG_jT4_jjP12ihipStream_tbEUlT_E0_NS1_11comp_targetILNS1_3genE3ELNS1_11target_archE908ELNS1_3gpuE7ELNS1_3repE0EEENS1_52radix_sort_onesweep_histogram_config_static_selectorELNS0_4arch9wavefront6targetE1EEEvSE_
                                        ; -- End function
	.section	.AMDGPU.csdata,"",@progbits
; Kernel info:
; codeLenInByte = 0
; NumSgprs: 4
; NumVgprs: 0
; NumAgprs: 0
; TotalNumVgprs: 0
; ScratchSize: 0
; MemoryBound: 0
; FloatMode: 240
; IeeeMode: 1
; LDSByteSize: 0 bytes/workgroup (compile time only)
; SGPRBlocks: 0
; VGPRBlocks: 0
; NumSGPRsForWavesPerEU: 4
; NumVGPRsForWavesPerEU: 1
; AccumOffset: 4
; Occupancy: 8
; WaveLimiterHint : 0
; COMPUTE_PGM_RSRC2:SCRATCH_EN: 0
; COMPUTE_PGM_RSRC2:USER_SGPR: 6
; COMPUTE_PGM_RSRC2:TRAP_HANDLER: 0
; COMPUTE_PGM_RSRC2:TGID_X_EN: 1
; COMPUTE_PGM_RSRC2:TGID_Y_EN: 0
; COMPUTE_PGM_RSRC2:TGID_Z_EN: 0
; COMPUTE_PGM_RSRC2:TIDIG_COMP_CNT: 0
; COMPUTE_PGM_RSRC3_GFX90A:ACCUM_OFFSET: 0
; COMPUTE_PGM_RSRC3_GFX90A:TG_SPLIT: 0
	.section	.text._ZN7rocprim17ROCPRIM_400000_NS6detail17trampoline_kernelINS0_14default_configENS1_35radix_sort_onesweep_config_selectorIslEEZNS1_34radix_sort_onesweep_global_offsetsIS3_Lb0EPsN6thrust23THRUST_200600_302600_NS10device_ptrIlEEjNS0_19identity_decomposerEEE10hipError_tT1_T2_PT3_SG_jT4_jjP12ihipStream_tbEUlT_E0_NS1_11comp_targetILNS1_3genE10ELNS1_11target_archE1201ELNS1_3gpuE5ELNS1_3repE0EEENS1_52radix_sort_onesweep_histogram_config_static_selectorELNS0_4arch9wavefront6targetE1EEEvSE_,"axG",@progbits,_ZN7rocprim17ROCPRIM_400000_NS6detail17trampoline_kernelINS0_14default_configENS1_35radix_sort_onesweep_config_selectorIslEEZNS1_34radix_sort_onesweep_global_offsetsIS3_Lb0EPsN6thrust23THRUST_200600_302600_NS10device_ptrIlEEjNS0_19identity_decomposerEEE10hipError_tT1_T2_PT3_SG_jT4_jjP12ihipStream_tbEUlT_E0_NS1_11comp_targetILNS1_3genE10ELNS1_11target_archE1201ELNS1_3gpuE5ELNS1_3repE0EEENS1_52radix_sort_onesweep_histogram_config_static_selectorELNS0_4arch9wavefront6targetE1EEEvSE_,comdat
	.protected	_ZN7rocprim17ROCPRIM_400000_NS6detail17trampoline_kernelINS0_14default_configENS1_35radix_sort_onesweep_config_selectorIslEEZNS1_34radix_sort_onesweep_global_offsetsIS3_Lb0EPsN6thrust23THRUST_200600_302600_NS10device_ptrIlEEjNS0_19identity_decomposerEEE10hipError_tT1_T2_PT3_SG_jT4_jjP12ihipStream_tbEUlT_E0_NS1_11comp_targetILNS1_3genE10ELNS1_11target_archE1201ELNS1_3gpuE5ELNS1_3repE0EEENS1_52radix_sort_onesweep_histogram_config_static_selectorELNS0_4arch9wavefront6targetE1EEEvSE_ ; -- Begin function _ZN7rocprim17ROCPRIM_400000_NS6detail17trampoline_kernelINS0_14default_configENS1_35radix_sort_onesweep_config_selectorIslEEZNS1_34radix_sort_onesweep_global_offsetsIS3_Lb0EPsN6thrust23THRUST_200600_302600_NS10device_ptrIlEEjNS0_19identity_decomposerEEE10hipError_tT1_T2_PT3_SG_jT4_jjP12ihipStream_tbEUlT_E0_NS1_11comp_targetILNS1_3genE10ELNS1_11target_archE1201ELNS1_3gpuE5ELNS1_3repE0EEENS1_52radix_sort_onesweep_histogram_config_static_selectorELNS0_4arch9wavefront6targetE1EEEvSE_
	.globl	_ZN7rocprim17ROCPRIM_400000_NS6detail17trampoline_kernelINS0_14default_configENS1_35radix_sort_onesweep_config_selectorIslEEZNS1_34radix_sort_onesweep_global_offsetsIS3_Lb0EPsN6thrust23THRUST_200600_302600_NS10device_ptrIlEEjNS0_19identity_decomposerEEE10hipError_tT1_T2_PT3_SG_jT4_jjP12ihipStream_tbEUlT_E0_NS1_11comp_targetILNS1_3genE10ELNS1_11target_archE1201ELNS1_3gpuE5ELNS1_3repE0EEENS1_52radix_sort_onesweep_histogram_config_static_selectorELNS0_4arch9wavefront6targetE1EEEvSE_
	.p2align	8
	.type	_ZN7rocprim17ROCPRIM_400000_NS6detail17trampoline_kernelINS0_14default_configENS1_35radix_sort_onesweep_config_selectorIslEEZNS1_34radix_sort_onesweep_global_offsetsIS3_Lb0EPsN6thrust23THRUST_200600_302600_NS10device_ptrIlEEjNS0_19identity_decomposerEEE10hipError_tT1_T2_PT3_SG_jT4_jjP12ihipStream_tbEUlT_E0_NS1_11comp_targetILNS1_3genE10ELNS1_11target_archE1201ELNS1_3gpuE5ELNS1_3repE0EEENS1_52radix_sort_onesweep_histogram_config_static_selectorELNS0_4arch9wavefront6targetE1EEEvSE_,@function
_ZN7rocprim17ROCPRIM_400000_NS6detail17trampoline_kernelINS0_14default_configENS1_35radix_sort_onesweep_config_selectorIslEEZNS1_34radix_sort_onesweep_global_offsetsIS3_Lb0EPsN6thrust23THRUST_200600_302600_NS10device_ptrIlEEjNS0_19identity_decomposerEEE10hipError_tT1_T2_PT3_SG_jT4_jjP12ihipStream_tbEUlT_E0_NS1_11comp_targetILNS1_3genE10ELNS1_11target_archE1201ELNS1_3gpuE5ELNS1_3repE0EEENS1_52radix_sort_onesweep_histogram_config_static_selectorELNS0_4arch9wavefront6targetE1EEEvSE_: ; @_ZN7rocprim17ROCPRIM_400000_NS6detail17trampoline_kernelINS0_14default_configENS1_35radix_sort_onesweep_config_selectorIslEEZNS1_34radix_sort_onesweep_global_offsetsIS3_Lb0EPsN6thrust23THRUST_200600_302600_NS10device_ptrIlEEjNS0_19identity_decomposerEEE10hipError_tT1_T2_PT3_SG_jT4_jjP12ihipStream_tbEUlT_E0_NS1_11comp_targetILNS1_3genE10ELNS1_11target_archE1201ELNS1_3gpuE5ELNS1_3repE0EEENS1_52radix_sort_onesweep_histogram_config_static_selectorELNS0_4arch9wavefront6targetE1EEEvSE_
; %bb.0:
	.section	.rodata,"a",@progbits
	.p2align	6, 0x0
	.amdhsa_kernel _ZN7rocprim17ROCPRIM_400000_NS6detail17trampoline_kernelINS0_14default_configENS1_35radix_sort_onesweep_config_selectorIslEEZNS1_34radix_sort_onesweep_global_offsetsIS3_Lb0EPsN6thrust23THRUST_200600_302600_NS10device_ptrIlEEjNS0_19identity_decomposerEEE10hipError_tT1_T2_PT3_SG_jT4_jjP12ihipStream_tbEUlT_E0_NS1_11comp_targetILNS1_3genE10ELNS1_11target_archE1201ELNS1_3gpuE5ELNS1_3repE0EEENS1_52radix_sort_onesweep_histogram_config_static_selectorELNS0_4arch9wavefront6targetE1EEEvSE_
		.amdhsa_group_segment_fixed_size 0
		.amdhsa_private_segment_fixed_size 0
		.amdhsa_kernarg_size 8
		.amdhsa_user_sgpr_count 6
		.amdhsa_user_sgpr_private_segment_buffer 1
		.amdhsa_user_sgpr_dispatch_ptr 0
		.amdhsa_user_sgpr_queue_ptr 0
		.amdhsa_user_sgpr_kernarg_segment_ptr 1
		.amdhsa_user_sgpr_dispatch_id 0
		.amdhsa_user_sgpr_flat_scratch_init 0
		.amdhsa_user_sgpr_kernarg_preload_length 0
		.amdhsa_user_sgpr_kernarg_preload_offset 0
		.amdhsa_user_sgpr_private_segment_size 0
		.amdhsa_uses_dynamic_stack 0
		.amdhsa_system_sgpr_private_segment_wavefront_offset 0
		.amdhsa_system_sgpr_workgroup_id_x 1
		.amdhsa_system_sgpr_workgroup_id_y 0
		.amdhsa_system_sgpr_workgroup_id_z 0
		.amdhsa_system_sgpr_workgroup_info 0
		.amdhsa_system_vgpr_workitem_id 0
		.amdhsa_next_free_vgpr 1
		.amdhsa_next_free_sgpr 0
		.amdhsa_accum_offset 4
		.amdhsa_reserve_vcc 0
		.amdhsa_reserve_flat_scratch 0
		.amdhsa_float_round_mode_32 0
		.amdhsa_float_round_mode_16_64 0
		.amdhsa_float_denorm_mode_32 3
		.amdhsa_float_denorm_mode_16_64 3
		.amdhsa_dx10_clamp 1
		.amdhsa_ieee_mode 1
		.amdhsa_fp16_overflow 0
		.amdhsa_tg_split 0
		.amdhsa_exception_fp_ieee_invalid_op 0
		.amdhsa_exception_fp_denorm_src 0
		.amdhsa_exception_fp_ieee_div_zero 0
		.amdhsa_exception_fp_ieee_overflow 0
		.amdhsa_exception_fp_ieee_underflow 0
		.amdhsa_exception_fp_ieee_inexact 0
		.amdhsa_exception_int_div_zero 0
	.end_amdhsa_kernel
	.section	.text._ZN7rocprim17ROCPRIM_400000_NS6detail17trampoline_kernelINS0_14default_configENS1_35radix_sort_onesweep_config_selectorIslEEZNS1_34radix_sort_onesweep_global_offsetsIS3_Lb0EPsN6thrust23THRUST_200600_302600_NS10device_ptrIlEEjNS0_19identity_decomposerEEE10hipError_tT1_T2_PT3_SG_jT4_jjP12ihipStream_tbEUlT_E0_NS1_11comp_targetILNS1_3genE10ELNS1_11target_archE1201ELNS1_3gpuE5ELNS1_3repE0EEENS1_52radix_sort_onesweep_histogram_config_static_selectorELNS0_4arch9wavefront6targetE1EEEvSE_,"axG",@progbits,_ZN7rocprim17ROCPRIM_400000_NS6detail17trampoline_kernelINS0_14default_configENS1_35radix_sort_onesweep_config_selectorIslEEZNS1_34radix_sort_onesweep_global_offsetsIS3_Lb0EPsN6thrust23THRUST_200600_302600_NS10device_ptrIlEEjNS0_19identity_decomposerEEE10hipError_tT1_T2_PT3_SG_jT4_jjP12ihipStream_tbEUlT_E0_NS1_11comp_targetILNS1_3genE10ELNS1_11target_archE1201ELNS1_3gpuE5ELNS1_3repE0EEENS1_52radix_sort_onesweep_histogram_config_static_selectorELNS0_4arch9wavefront6targetE1EEEvSE_,comdat
.Lfunc_end1395:
	.size	_ZN7rocprim17ROCPRIM_400000_NS6detail17trampoline_kernelINS0_14default_configENS1_35radix_sort_onesweep_config_selectorIslEEZNS1_34radix_sort_onesweep_global_offsetsIS3_Lb0EPsN6thrust23THRUST_200600_302600_NS10device_ptrIlEEjNS0_19identity_decomposerEEE10hipError_tT1_T2_PT3_SG_jT4_jjP12ihipStream_tbEUlT_E0_NS1_11comp_targetILNS1_3genE10ELNS1_11target_archE1201ELNS1_3gpuE5ELNS1_3repE0EEENS1_52radix_sort_onesweep_histogram_config_static_selectorELNS0_4arch9wavefront6targetE1EEEvSE_, .Lfunc_end1395-_ZN7rocprim17ROCPRIM_400000_NS6detail17trampoline_kernelINS0_14default_configENS1_35radix_sort_onesweep_config_selectorIslEEZNS1_34radix_sort_onesweep_global_offsetsIS3_Lb0EPsN6thrust23THRUST_200600_302600_NS10device_ptrIlEEjNS0_19identity_decomposerEEE10hipError_tT1_T2_PT3_SG_jT4_jjP12ihipStream_tbEUlT_E0_NS1_11comp_targetILNS1_3genE10ELNS1_11target_archE1201ELNS1_3gpuE5ELNS1_3repE0EEENS1_52radix_sort_onesweep_histogram_config_static_selectorELNS0_4arch9wavefront6targetE1EEEvSE_
                                        ; -- End function
	.section	.AMDGPU.csdata,"",@progbits
; Kernel info:
; codeLenInByte = 0
; NumSgprs: 4
; NumVgprs: 0
; NumAgprs: 0
; TotalNumVgprs: 0
; ScratchSize: 0
; MemoryBound: 0
; FloatMode: 240
; IeeeMode: 1
; LDSByteSize: 0 bytes/workgroup (compile time only)
; SGPRBlocks: 0
; VGPRBlocks: 0
; NumSGPRsForWavesPerEU: 4
; NumVGPRsForWavesPerEU: 1
; AccumOffset: 4
; Occupancy: 8
; WaveLimiterHint : 0
; COMPUTE_PGM_RSRC2:SCRATCH_EN: 0
; COMPUTE_PGM_RSRC2:USER_SGPR: 6
; COMPUTE_PGM_RSRC2:TRAP_HANDLER: 0
; COMPUTE_PGM_RSRC2:TGID_X_EN: 1
; COMPUTE_PGM_RSRC2:TGID_Y_EN: 0
; COMPUTE_PGM_RSRC2:TGID_Z_EN: 0
; COMPUTE_PGM_RSRC2:TIDIG_COMP_CNT: 0
; COMPUTE_PGM_RSRC3_GFX90A:ACCUM_OFFSET: 0
; COMPUTE_PGM_RSRC3_GFX90A:TG_SPLIT: 0
	.section	.text._ZN7rocprim17ROCPRIM_400000_NS6detail17trampoline_kernelINS0_14default_configENS1_35radix_sort_onesweep_config_selectorIslEEZNS1_34radix_sort_onesweep_global_offsetsIS3_Lb0EPsN6thrust23THRUST_200600_302600_NS10device_ptrIlEEjNS0_19identity_decomposerEEE10hipError_tT1_T2_PT3_SG_jT4_jjP12ihipStream_tbEUlT_E0_NS1_11comp_targetILNS1_3genE9ELNS1_11target_archE1100ELNS1_3gpuE3ELNS1_3repE0EEENS1_52radix_sort_onesweep_histogram_config_static_selectorELNS0_4arch9wavefront6targetE1EEEvSE_,"axG",@progbits,_ZN7rocprim17ROCPRIM_400000_NS6detail17trampoline_kernelINS0_14default_configENS1_35radix_sort_onesweep_config_selectorIslEEZNS1_34radix_sort_onesweep_global_offsetsIS3_Lb0EPsN6thrust23THRUST_200600_302600_NS10device_ptrIlEEjNS0_19identity_decomposerEEE10hipError_tT1_T2_PT3_SG_jT4_jjP12ihipStream_tbEUlT_E0_NS1_11comp_targetILNS1_3genE9ELNS1_11target_archE1100ELNS1_3gpuE3ELNS1_3repE0EEENS1_52radix_sort_onesweep_histogram_config_static_selectorELNS0_4arch9wavefront6targetE1EEEvSE_,comdat
	.protected	_ZN7rocprim17ROCPRIM_400000_NS6detail17trampoline_kernelINS0_14default_configENS1_35radix_sort_onesweep_config_selectorIslEEZNS1_34radix_sort_onesweep_global_offsetsIS3_Lb0EPsN6thrust23THRUST_200600_302600_NS10device_ptrIlEEjNS0_19identity_decomposerEEE10hipError_tT1_T2_PT3_SG_jT4_jjP12ihipStream_tbEUlT_E0_NS1_11comp_targetILNS1_3genE9ELNS1_11target_archE1100ELNS1_3gpuE3ELNS1_3repE0EEENS1_52radix_sort_onesweep_histogram_config_static_selectorELNS0_4arch9wavefront6targetE1EEEvSE_ ; -- Begin function _ZN7rocprim17ROCPRIM_400000_NS6detail17trampoline_kernelINS0_14default_configENS1_35radix_sort_onesweep_config_selectorIslEEZNS1_34radix_sort_onesweep_global_offsetsIS3_Lb0EPsN6thrust23THRUST_200600_302600_NS10device_ptrIlEEjNS0_19identity_decomposerEEE10hipError_tT1_T2_PT3_SG_jT4_jjP12ihipStream_tbEUlT_E0_NS1_11comp_targetILNS1_3genE9ELNS1_11target_archE1100ELNS1_3gpuE3ELNS1_3repE0EEENS1_52radix_sort_onesweep_histogram_config_static_selectorELNS0_4arch9wavefront6targetE1EEEvSE_
	.globl	_ZN7rocprim17ROCPRIM_400000_NS6detail17trampoline_kernelINS0_14default_configENS1_35radix_sort_onesweep_config_selectorIslEEZNS1_34radix_sort_onesweep_global_offsetsIS3_Lb0EPsN6thrust23THRUST_200600_302600_NS10device_ptrIlEEjNS0_19identity_decomposerEEE10hipError_tT1_T2_PT3_SG_jT4_jjP12ihipStream_tbEUlT_E0_NS1_11comp_targetILNS1_3genE9ELNS1_11target_archE1100ELNS1_3gpuE3ELNS1_3repE0EEENS1_52radix_sort_onesweep_histogram_config_static_selectorELNS0_4arch9wavefront6targetE1EEEvSE_
	.p2align	8
	.type	_ZN7rocprim17ROCPRIM_400000_NS6detail17trampoline_kernelINS0_14default_configENS1_35radix_sort_onesweep_config_selectorIslEEZNS1_34radix_sort_onesweep_global_offsetsIS3_Lb0EPsN6thrust23THRUST_200600_302600_NS10device_ptrIlEEjNS0_19identity_decomposerEEE10hipError_tT1_T2_PT3_SG_jT4_jjP12ihipStream_tbEUlT_E0_NS1_11comp_targetILNS1_3genE9ELNS1_11target_archE1100ELNS1_3gpuE3ELNS1_3repE0EEENS1_52radix_sort_onesweep_histogram_config_static_selectorELNS0_4arch9wavefront6targetE1EEEvSE_,@function
_ZN7rocprim17ROCPRIM_400000_NS6detail17trampoline_kernelINS0_14default_configENS1_35radix_sort_onesweep_config_selectorIslEEZNS1_34radix_sort_onesweep_global_offsetsIS3_Lb0EPsN6thrust23THRUST_200600_302600_NS10device_ptrIlEEjNS0_19identity_decomposerEEE10hipError_tT1_T2_PT3_SG_jT4_jjP12ihipStream_tbEUlT_E0_NS1_11comp_targetILNS1_3genE9ELNS1_11target_archE1100ELNS1_3gpuE3ELNS1_3repE0EEENS1_52radix_sort_onesweep_histogram_config_static_selectorELNS0_4arch9wavefront6targetE1EEEvSE_: ; @_ZN7rocprim17ROCPRIM_400000_NS6detail17trampoline_kernelINS0_14default_configENS1_35radix_sort_onesweep_config_selectorIslEEZNS1_34radix_sort_onesweep_global_offsetsIS3_Lb0EPsN6thrust23THRUST_200600_302600_NS10device_ptrIlEEjNS0_19identity_decomposerEEE10hipError_tT1_T2_PT3_SG_jT4_jjP12ihipStream_tbEUlT_E0_NS1_11comp_targetILNS1_3genE9ELNS1_11target_archE1100ELNS1_3gpuE3ELNS1_3repE0EEENS1_52radix_sort_onesweep_histogram_config_static_selectorELNS0_4arch9wavefront6targetE1EEEvSE_
; %bb.0:
	.section	.rodata,"a",@progbits
	.p2align	6, 0x0
	.amdhsa_kernel _ZN7rocprim17ROCPRIM_400000_NS6detail17trampoline_kernelINS0_14default_configENS1_35radix_sort_onesweep_config_selectorIslEEZNS1_34radix_sort_onesweep_global_offsetsIS3_Lb0EPsN6thrust23THRUST_200600_302600_NS10device_ptrIlEEjNS0_19identity_decomposerEEE10hipError_tT1_T2_PT3_SG_jT4_jjP12ihipStream_tbEUlT_E0_NS1_11comp_targetILNS1_3genE9ELNS1_11target_archE1100ELNS1_3gpuE3ELNS1_3repE0EEENS1_52radix_sort_onesweep_histogram_config_static_selectorELNS0_4arch9wavefront6targetE1EEEvSE_
		.amdhsa_group_segment_fixed_size 0
		.amdhsa_private_segment_fixed_size 0
		.amdhsa_kernarg_size 8
		.amdhsa_user_sgpr_count 6
		.amdhsa_user_sgpr_private_segment_buffer 1
		.amdhsa_user_sgpr_dispatch_ptr 0
		.amdhsa_user_sgpr_queue_ptr 0
		.amdhsa_user_sgpr_kernarg_segment_ptr 1
		.amdhsa_user_sgpr_dispatch_id 0
		.amdhsa_user_sgpr_flat_scratch_init 0
		.amdhsa_user_sgpr_kernarg_preload_length 0
		.amdhsa_user_sgpr_kernarg_preload_offset 0
		.amdhsa_user_sgpr_private_segment_size 0
		.amdhsa_uses_dynamic_stack 0
		.amdhsa_system_sgpr_private_segment_wavefront_offset 0
		.amdhsa_system_sgpr_workgroup_id_x 1
		.amdhsa_system_sgpr_workgroup_id_y 0
		.amdhsa_system_sgpr_workgroup_id_z 0
		.amdhsa_system_sgpr_workgroup_info 0
		.amdhsa_system_vgpr_workitem_id 0
		.amdhsa_next_free_vgpr 1
		.amdhsa_next_free_sgpr 0
		.amdhsa_accum_offset 4
		.amdhsa_reserve_vcc 0
		.amdhsa_reserve_flat_scratch 0
		.amdhsa_float_round_mode_32 0
		.amdhsa_float_round_mode_16_64 0
		.amdhsa_float_denorm_mode_32 3
		.amdhsa_float_denorm_mode_16_64 3
		.amdhsa_dx10_clamp 1
		.amdhsa_ieee_mode 1
		.amdhsa_fp16_overflow 0
		.amdhsa_tg_split 0
		.amdhsa_exception_fp_ieee_invalid_op 0
		.amdhsa_exception_fp_denorm_src 0
		.amdhsa_exception_fp_ieee_div_zero 0
		.amdhsa_exception_fp_ieee_overflow 0
		.amdhsa_exception_fp_ieee_underflow 0
		.amdhsa_exception_fp_ieee_inexact 0
		.amdhsa_exception_int_div_zero 0
	.end_amdhsa_kernel
	.section	.text._ZN7rocprim17ROCPRIM_400000_NS6detail17trampoline_kernelINS0_14default_configENS1_35radix_sort_onesweep_config_selectorIslEEZNS1_34radix_sort_onesweep_global_offsetsIS3_Lb0EPsN6thrust23THRUST_200600_302600_NS10device_ptrIlEEjNS0_19identity_decomposerEEE10hipError_tT1_T2_PT3_SG_jT4_jjP12ihipStream_tbEUlT_E0_NS1_11comp_targetILNS1_3genE9ELNS1_11target_archE1100ELNS1_3gpuE3ELNS1_3repE0EEENS1_52radix_sort_onesweep_histogram_config_static_selectorELNS0_4arch9wavefront6targetE1EEEvSE_,"axG",@progbits,_ZN7rocprim17ROCPRIM_400000_NS6detail17trampoline_kernelINS0_14default_configENS1_35radix_sort_onesweep_config_selectorIslEEZNS1_34radix_sort_onesweep_global_offsetsIS3_Lb0EPsN6thrust23THRUST_200600_302600_NS10device_ptrIlEEjNS0_19identity_decomposerEEE10hipError_tT1_T2_PT3_SG_jT4_jjP12ihipStream_tbEUlT_E0_NS1_11comp_targetILNS1_3genE9ELNS1_11target_archE1100ELNS1_3gpuE3ELNS1_3repE0EEENS1_52radix_sort_onesweep_histogram_config_static_selectorELNS0_4arch9wavefront6targetE1EEEvSE_,comdat
.Lfunc_end1396:
	.size	_ZN7rocprim17ROCPRIM_400000_NS6detail17trampoline_kernelINS0_14default_configENS1_35radix_sort_onesweep_config_selectorIslEEZNS1_34radix_sort_onesweep_global_offsetsIS3_Lb0EPsN6thrust23THRUST_200600_302600_NS10device_ptrIlEEjNS0_19identity_decomposerEEE10hipError_tT1_T2_PT3_SG_jT4_jjP12ihipStream_tbEUlT_E0_NS1_11comp_targetILNS1_3genE9ELNS1_11target_archE1100ELNS1_3gpuE3ELNS1_3repE0EEENS1_52radix_sort_onesweep_histogram_config_static_selectorELNS0_4arch9wavefront6targetE1EEEvSE_, .Lfunc_end1396-_ZN7rocprim17ROCPRIM_400000_NS6detail17trampoline_kernelINS0_14default_configENS1_35radix_sort_onesweep_config_selectorIslEEZNS1_34radix_sort_onesweep_global_offsetsIS3_Lb0EPsN6thrust23THRUST_200600_302600_NS10device_ptrIlEEjNS0_19identity_decomposerEEE10hipError_tT1_T2_PT3_SG_jT4_jjP12ihipStream_tbEUlT_E0_NS1_11comp_targetILNS1_3genE9ELNS1_11target_archE1100ELNS1_3gpuE3ELNS1_3repE0EEENS1_52radix_sort_onesweep_histogram_config_static_selectorELNS0_4arch9wavefront6targetE1EEEvSE_
                                        ; -- End function
	.section	.AMDGPU.csdata,"",@progbits
; Kernel info:
; codeLenInByte = 0
; NumSgprs: 4
; NumVgprs: 0
; NumAgprs: 0
; TotalNumVgprs: 0
; ScratchSize: 0
; MemoryBound: 0
; FloatMode: 240
; IeeeMode: 1
; LDSByteSize: 0 bytes/workgroup (compile time only)
; SGPRBlocks: 0
; VGPRBlocks: 0
; NumSGPRsForWavesPerEU: 4
; NumVGPRsForWavesPerEU: 1
; AccumOffset: 4
; Occupancy: 8
; WaveLimiterHint : 0
; COMPUTE_PGM_RSRC2:SCRATCH_EN: 0
; COMPUTE_PGM_RSRC2:USER_SGPR: 6
; COMPUTE_PGM_RSRC2:TRAP_HANDLER: 0
; COMPUTE_PGM_RSRC2:TGID_X_EN: 1
; COMPUTE_PGM_RSRC2:TGID_Y_EN: 0
; COMPUTE_PGM_RSRC2:TGID_Z_EN: 0
; COMPUTE_PGM_RSRC2:TIDIG_COMP_CNT: 0
; COMPUTE_PGM_RSRC3_GFX90A:ACCUM_OFFSET: 0
; COMPUTE_PGM_RSRC3_GFX90A:TG_SPLIT: 0
	.section	.text._ZN7rocprim17ROCPRIM_400000_NS6detail17trampoline_kernelINS0_14default_configENS1_35radix_sort_onesweep_config_selectorIslEEZNS1_34radix_sort_onesweep_global_offsetsIS3_Lb0EPsN6thrust23THRUST_200600_302600_NS10device_ptrIlEEjNS0_19identity_decomposerEEE10hipError_tT1_T2_PT3_SG_jT4_jjP12ihipStream_tbEUlT_E0_NS1_11comp_targetILNS1_3genE8ELNS1_11target_archE1030ELNS1_3gpuE2ELNS1_3repE0EEENS1_52radix_sort_onesweep_histogram_config_static_selectorELNS0_4arch9wavefront6targetE1EEEvSE_,"axG",@progbits,_ZN7rocprim17ROCPRIM_400000_NS6detail17trampoline_kernelINS0_14default_configENS1_35radix_sort_onesweep_config_selectorIslEEZNS1_34radix_sort_onesweep_global_offsetsIS3_Lb0EPsN6thrust23THRUST_200600_302600_NS10device_ptrIlEEjNS0_19identity_decomposerEEE10hipError_tT1_T2_PT3_SG_jT4_jjP12ihipStream_tbEUlT_E0_NS1_11comp_targetILNS1_3genE8ELNS1_11target_archE1030ELNS1_3gpuE2ELNS1_3repE0EEENS1_52radix_sort_onesweep_histogram_config_static_selectorELNS0_4arch9wavefront6targetE1EEEvSE_,comdat
	.protected	_ZN7rocprim17ROCPRIM_400000_NS6detail17trampoline_kernelINS0_14default_configENS1_35radix_sort_onesweep_config_selectorIslEEZNS1_34radix_sort_onesweep_global_offsetsIS3_Lb0EPsN6thrust23THRUST_200600_302600_NS10device_ptrIlEEjNS0_19identity_decomposerEEE10hipError_tT1_T2_PT3_SG_jT4_jjP12ihipStream_tbEUlT_E0_NS1_11comp_targetILNS1_3genE8ELNS1_11target_archE1030ELNS1_3gpuE2ELNS1_3repE0EEENS1_52radix_sort_onesweep_histogram_config_static_selectorELNS0_4arch9wavefront6targetE1EEEvSE_ ; -- Begin function _ZN7rocprim17ROCPRIM_400000_NS6detail17trampoline_kernelINS0_14default_configENS1_35radix_sort_onesweep_config_selectorIslEEZNS1_34radix_sort_onesweep_global_offsetsIS3_Lb0EPsN6thrust23THRUST_200600_302600_NS10device_ptrIlEEjNS0_19identity_decomposerEEE10hipError_tT1_T2_PT3_SG_jT4_jjP12ihipStream_tbEUlT_E0_NS1_11comp_targetILNS1_3genE8ELNS1_11target_archE1030ELNS1_3gpuE2ELNS1_3repE0EEENS1_52radix_sort_onesweep_histogram_config_static_selectorELNS0_4arch9wavefront6targetE1EEEvSE_
	.globl	_ZN7rocprim17ROCPRIM_400000_NS6detail17trampoline_kernelINS0_14default_configENS1_35radix_sort_onesweep_config_selectorIslEEZNS1_34radix_sort_onesweep_global_offsetsIS3_Lb0EPsN6thrust23THRUST_200600_302600_NS10device_ptrIlEEjNS0_19identity_decomposerEEE10hipError_tT1_T2_PT3_SG_jT4_jjP12ihipStream_tbEUlT_E0_NS1_11comp_targetILNS1_3genE8ELNS1_11target_archE1030ELNS1_3gpuE2ELNS1_3repE0EEENS1_52radix_sort_onesweep_histogram_config_static_selectorELNS0_4arch9wavefront6targetE1EEEvSE_
	.p2align	8
	.type	_ZN7rocprim17ROCPRIM_400000_NS6detail17trampoline_kernelINS0_14default_configENS1_35radix_sort_onesweep_config_selectorIslEEZNS1_34radix_sort_onesweep_global_offsetsIS3_Lb0EPsN6thrust23THRUST_200600_302600_NS10device_ptrIlEEjNS0_19identity_decomposerEEE10hipError_tT1_T2_PT3_SG_jT4_jjP12ihipStream_tbEUlT_E0_NS1_11comp_targetILNS1_3genE8ELNS1_11target_archE1030ELNS1_3gpuE2ELNS1_3repE0EEENS1_52radix_sort_onesweep_histogram_config_static_selectorELNS0_4arch9wavefront6targetE1EEEvSE_,@function
_ZN7rocprim17ROCPRIM_400000_NS6detail17trampoline_kernelINS0_14default_configENS1_35radix_sort_onesweep_config_selectorIslEEZNS1_34radix_sort_onesweep_global_offsetsIS3_Lb0EPsN6thrust23THRUST_200600_302600_NS10device_ptrIlEEjNS0_19identity_decomposerEEE10hipError_tT1_T2_PT3_SG_jT4_jjP12ihipStream_tbEUlT_E0_NS1_11comp_targetILNS1_3genE8ELNS1_11target_archE1030ELNS1_3gpuE2ELNS1_3repE0EEENS1_52radix_sort_onesweep_histogram_config_static_selectorELNS0_4arch9wavefront6targetE1EEEvSE_: ; @_ZN7rocprim17ROCPRIM_400000_NS6detail17trampoline_kernelINS0_14default_configENS1_35radix_sort_onesweep_config_selectorIslEEZNS1_34radix_sort_onesweep_global_offsetsIS3_Lb0EPsN6thrust23THRUST_200600_302600_NS10device_ptrIlEEjNS0_19identity_decomposerEEE10hipError_tT1_T2_PT3_SG_jT4_jjP12ihipStream_tbEUlT_E0_NS1_11comp_targetILNS1_3genE8ELNS1_11target_archE1030ELNS1_3gpuE2ELNS1_3repE0EEENS1_52radix_sort_onesweep_histogram_config_static_selectorELNS0_4arch9wavefront6targetE1EEEvSE_
; %bb.0:
	.section	.rodata,"a",@progbits
	.p2align	6, 0x0
	.amdhsa_kernel _ZN7rocprim17ROCPRIM_400000_NS6detail17trampoline_kernelINS0_14default_configENS1_35radix_sort_onesweep_config_selectorIslEEZNS1_34radix_sort_onesweep_global_offsetsIS3_Lb0EPsN6thrust23THRUST_200600_302600_NS10device_ptrIlEEjNS0_19identity_decomposerEEE10hipError_tT1_T2_PT3_SG_jT4_jjP12ihipStream_tbEUlT_E0_NS1_11comp_targetILNS1_3genE8ELNS1_11target_archE1030ELNS1_3gpuE2ELNS1_3repE0EEENS1_52radix_sort_onesweep_histogram_config_static_selectorELNS0_4arch9wavefront6targetE1EEEvSE_
		.amdhsa_group_segment_fixed_size 0
		.amdhsa_private_segment_fixed_size 0
		.amdhsa_kernarg_size 8
		.amdhsa_user_sgpr_count 6
		.amdhsa_user_sgpr_private_segment_buffer 1
		.amdhsa_user_sgpr_dispatch_ptr 0
		.amdhsa_user_sgpr_queue_ptr 0
		.amdhsa_user_sgpr_kernarg_segment_ptr 1
		.amdhsa_user_sgpr_dispatch_id 0
		.amdhsa_user_sgpr_flat_scratch_init 0
		.amdhsa_user_sgpr_kernarg_preload_length 0
		.amdhsa_user_sgpr_kernarg_preload_offset 0
		.amdhsa_user_sgpr_private_segment_size 0
		.amdhsa_uses_dynamic_stack 0
		.amdhsa_system_sgpr_private_segment_wavefront_offset 0
		.amdhsa_system_sgpr_workgroup_id_x 1
		.amdhsa_system_sgpr_workgroup_id_y 0
		.amdhsa_system_sgpr_workgroup_id_z 0
		.amdhsa_system_sgpr_workgroup_info 0
		.amdhsa_system_vgpr_workitem_id 0
		.amdhsa_next_free_vgpr 1
		.amdhsa_next_free_sgpr 0
		.amdhsa_accum_offset 4
		.amdhsa_reserve_vcc 0
		.amdhsa_reserve_flat_scratch 0
		.amdhsa_float_round_mode_32 0
		.amdhsa_float_round_mode_16_64 0
		.amdhsa_float_denorm_mode_32 3
		.amdhsa_float_denorm_mode_16_64 3
		.amdhsa_dx10_clamp 1
		.amdhsa_ieee_mode 1
		.amdhsa_fp16_overflow 0
		.amdhsa_tg_split 0
		.amdhsa_exception_fp_ieee_invalid_op 0
		.amdhsa_exception_fp_denorm_src 0
		.amdhsa_exception_fp_ieee_div_zero 0
		.amdhsa_exception_fp_ieee_overflow 0
		.amdhsa_exception_fp_ieee_underflow 0
		.amdhsa_exception_fp_ieee_inexact 0
		.amdhsa_exception_int_div_zero 0
	.end_amdhsa_kernel
	.section	.text._ZN7rocprim17ROCPRIM_400000_NS6detail17trampoline_kernelINS0_14default_configENS1_35radix_sort_onesweep_config_selectorIslEEZNS1_34radix_sort_onesweep_global_offsetsIS3_Lb0EPsN6thrust23THRUST_200600_302600_NS10device_ptrIlEEjNS0_19identity_decomposerEEE10hipError_tT1_T2_PT3_SG_jT4_jjP12ihipStream_tbEUlT_E0_NS1_11comp_targetILNS1_3genE8ELNS1_11target_archE1030ELNS1_3gpuE2ELNS1_3repE0EEENS1_52radix_sort_onesweep_histogram_config_static_selectorELNS0_4arch9wavefront6targetE1EEEvSE_,"axG",@progbits,_ZN7rocprim17ROCPRIM_400000_NS6detail17trampoline_kernelINS0_14default_configENS1_35radix_sort_onesweep_config_selectorIslEEZNS1_34radix_sort_onesweep_global_offsetsIS3_Lb0EPsN6thrust23THRUST_200600_302600_NS10device_ptrIlEEjNS0_19identity_decomposerEEE10hipError_tT1_T2_PT3_SG_jT4_jjP12ihipStream_tbEUlT_E0_NS1_11comp_targetILNS1_3genE8ELNS1_11target_archE1030ELNS1_3gpuE2ELNS1_3repE0EEENS1_52radix_sort_onesweep_histogram_config_static_selectorELNS0_4arch9wavefront6targetE1EEEvSE_,comdat
.Lfunc_end1397:
	.size	_ZN7rocprim17ROCPRIM_400000_NS6detail17trampoline_kernelINS0_14default_configENS1_35radix_sort_onesweep_config_selectorIslEEZNS1_34radix_sort_onesweep_global_offsetsIS3_Lb0EPsN6thrust23THRUST_200600_302600_NS10device_ptrIlEEjNS0_19identity_decomposerEEE10hipError_tT1_T2_PT3_SG_jT4_jjP12ihipStream_tbEUlT_E0_NS1_11comp_targetILNS1_3genE8ELNS1_11target_archE1030ELNS1_3gpuE2ELNS1_3repE0EEENS1_52radix_sort_onesweep_histogram_config_static_selectorELNS0_4arch9wavefront6targetE1EEEvSE_, .Lfunc_end1397-_ZN7rocprim17ROCPRIM_400000_NS6detail17trampoline_kernelINS0_14default_configENS1_35radix_sort_onesweep_config_selectorIslEEZNS1_34radix_sort_onesweep_global_offsetsIS3_Lb0EPsN6thrust23THRUST_200600_302600_NS10device_ptrIlEEjNS0_19identity_decomposerEEE10hipError_tT1_T2_PT3_SG_jT4_jjP12ihipStream_tbEUlT_E0_NS1_11comp_targetILNS1_3genE8ELNS1_11target_archE1030ELNS1_3gpuE2ELNS1_3repE0EEENS1_52radix_sort_onesweep_histogram_config_static_selectorELNS0_4arch9wavefront6targetE1EEEvSE_
                                        ; -- End function
	.section	.AMDGPU.csdata,"",@progbits
; Kernel info:
; codeLenInByte = 0
; NumSgprs: 4
; NumVgprs: 0
; NumAgprs: 0
; TotalNumVgprs: 0
; ScratchSize: 0
; MemoryBound: 0
; FloatMode: 240
; IeeeMode: 1
; LDSByteSize: 0 bytes/workgroup (compile time only)
; SGPRBlocks: 0
; VGPRBlocks: 0
; NumSGPRsForWavesPerEU: 4
; NumVGPRsForWavesPerEU: 1
; AccumOffset: 4
; Occupancy: 8
; WaveLimiterHint : 0
; COMPUTE_PGM_RSRC2:SCRATCH_EN: 0
; COMPUTE_PGM_RSRC2:USER_SGPR: 6
; COMPUTE_PGM_RSRC2:TRAP_HANDLER: 0
; COMPUTE_PGM_RSRC2:TGID_X_EN: 1
; COMPUTE_PGM_RSRC2:TGID_Y_EN: 0
; COMPUTE_PGM_RSRC2:TGID_Z_EN: 0
; COMPUTE_PGM_RSRC2:TIDIG_COMP_CNT: 0
; COMPUTE_PGM_RSRC3_GFX90A:ACCUM_OFFSET: 0
; COMPUTE_PGM_RSRC3_GFX90A:TG_SPLIT: 0
	.section	.text._ZN7rocprim17ROCPRIM_400000_NS6detail17trampoline_kernelINS0_14default_configENS1_35radix_sort_onesweep_config_selectorIslEEZZNS1_29radix_sort_onesweep_iterationIS3_Lb0EPsS7_N6thrust23THRUST_200600_302600_NS10device_ptrIlEESB_jNS0_19identity_decomposerENS1_16block_id_wrapperIjLb1EEEEE10hipError_tT1_PNSt15iterator_traitsISG_E10value_typeET2_T3_PNSH_ISM_E10value_typeET4_T5_PSR_SS_PNS1_23onesweep_lookback_stateEbbT6_jjT7_P12ihipStream_tbENKUlT_T0_SG_SL_E_clIS7_S7_SB_SB_EEDaSZ_S10_SG_SL_EUlSZ_E_NS1_11comp_targetILNS1_3genE0ELNS1_11target_archE4294967295ELNS1_3gpuE0ELNS1_3repE0EEENS1_47radix_sort_onesweep_sort_config_static_selectorELNS0_4arch9wavefront6targetE1EEEvSG_,"axG",@progbits,_ZN7rocprim17ROCPRIM_400000_NS6detail17trampoline_kernelINS0_14default_configENS1_35radix_sort_onesweep_config_selectorIslEEZZNS1_29radix_sort_onesweep_iterationIS3_Lb0EPsS7_N6thrust23THRUST_200600_302600_NS10device_ptrIlEESB_jNS0_19identity_decomposerENS1_16block_id_wrapperIjLb1EEEEE10hipError_tT1_PNSt15iterator_traitsISG_E10value_typeET2_T3_PNSH_ISM_E10value_typeET4_T5_PSR_SS_PNS1_23onesweep_lookback_stateEbbT6_jjT7_P12ihipStream_tbENKUlT_T0_SG_SL_E_clIS7_S7_SB_SB_EEDaSZ_S10_SG_SL_EUlSZ_E_NS1_11comp_targetILNS1_3genE0ELNS1_11target_archE4294967295ELNS1_3gpuE0ELNS1_3repE0EEENS1_47radix_sort_onesweep_sort_config_static_selectorELNS0_4arch9wavefront6targetE1EEEvSG_,comdat
	.protected	_ZN7rocprim17ROCPRIM_400000_NS6detail17trampoline_kernelINS0_14default_configENS1_35radix_sort_onesweep_config_selectorIslEEZZNS1_29radix_sort_onesweep_iterationIS3_Lb0EPsS7_N6thrust23THRUST_200600_302600_NS10device_ptrIlEESB_jNS0_19identity_decomposerENS1_16block_id_wrapperIjLb1EEEEE10hipError_tT1_PNSt15iterator_traitsISG_E10value_typeET2_T3_PNSH_ISM_E10value_typeET4_T5_PSR_SS_PNS1_23onesweep_lookback_stateEbbT6_jjT7_P12ihipStream_tbENKUlT_T0_SG_SL_E_clIS7_S7_SB_SB_EEDaSZ_S10_SG_SL_EUlSZ_E_NS1_11comp_targetILNS1_3genE0ELNS1_11target_archE4294967295ELNS1_3gpuE0ELNS1_3repE0EEENS1_47radix_sort_onesweep_sort_config_static_selectorELNS0_4arch9wavefront6targetE1EEEvSG_ ; -- Begin function _ZN7rocprim17ROCPRIM_400000_NS6detail17trampoline_kernelINS0_14default_configENS1_35radix_sort_onesweep_config_selectorIslEEZZNS1_29radix_sort_onesweep_iterationIS3_Lb0EPsS7_N6thrust23THRUST_200600_302600_NS10device_ptrIlEESB_jNS0_19identity_decomposerENS1_16block_id_wrapperIjLb1EEEEE10hipError_tT1_PNSt15iterator_traitsISG_E10value_typeET2_T3_PNSH_ISM_E10value_typeET4_T5_PSR_SS_PNS1_23onesweep_lookback_stateEbbT6_jjT7_P12ihipStream_tbENKUlT_T0_SG_SL_E_clIS7_S7_SB_SB_EEDaSZ_S10_SG_SL_EUlSZ_E_NS1_11comp_targetILNS1_3genE0ELNS1_11target_archE4294967295ELNS1_3gpuE0ELNS1_3repE0EEENS1_47radix_sort_onesweep_sort_config_static_selectorELNS0_4arch9wavefront6targetE1EEEvSG_
	.globl	_ZN7rocprim17ROCPRIM_400000_NS6detail17trampoline_kernelINS0_14default_configENS1_35radix_sort_onesweep_config_selectorIslEEZZNS1_29radix_sort_onesweep_iterationIS3_Lb0EPsS7_N6thrust23THRUST_200600_302600_NS10device_ptrIlEESB_jNS0_19identity_decomposerENS1_16block_id_wrapperIjLb1EEEEE10hipError_tT1_PNSt15iterator_traitsISG_E10value_typeET2_T3_PNSH_ISM_E10value_typeET4_T5_PSR_SS_PNS1_23onesweep_lookback_stateEbbT6_jjT7_P12ihipStream_tbENKUlT_T0_SG_SL_E_clIS7_S7_SB_SB_EEDaSZ_S10_SG_SL_EUlSZ_E_NS1_11comp_targetILNS1_3genE0ELNS1_11target_archE4294967295ELNS1_3gpuE0ELNS1_3repE0EEENS1_47radix_sort_onesweep_sort_config_static_selectorELNS0_4arch9wavefront6targetE1EEEvSG_
	.p2align	8
	.type	_ZN7rocprim17ROCPRIM_400000_NS6detail17trampoline_kernelINS0_14default_configENS1_35radix_sort_onesweep_config_selectorIslEEZZNS1_29radix_sort_onesweep_iterationIS3_Lb0EPsS7_N6thrust23THRUST_200600_302600_NS10device_ptrIlEESB_jNS0_19identity_decomposerENS1_16block_id_wrapperIjLb1EEEEE10hipError_tT1_PNSt15iterator_traitsISG_E10value_typeET2_T3_PNSH_ISM_E10value_typeET4_T5_PSR_SS_PNS1_23onesweep_lookback_stateEbbT6_jjT7_P12ihipStream_tbENKUlT_T0_SG_SL_E_clIS7_S7_SB_SB_EEDaSZ_S10_SG_SL_EUlSZ_E_NS1_11comp_targetILNS1_3genE0ELNS1_11target_archE4294967295ELNS1_3gpuE0ELNS1_3repE0EEENS1_47radix_sort_onesweep_sort_config_static_selectorELNS0_4arch9wavefront6targetE1EEEvSG_,@function
_ZN7rocprim17ROCPRIM_400000_NS6detail17trampoline_kernelINS0_14default_configENS1_35radix_sort_onesweep_config_selectorIslEEZZNS1_29radix_sort_onesweep_iterationIS3_Lb0EPsS7_N6thrust23THRUST_200600_302600_NS10device_ptrIlEESB_jNS0_19identity_decomposerENS1_16block_id_wrapperIjLb1EEEEE10hipError_tT1_PNSt15iterator_traitsISG_E10value_typeET2_T3_PNSH_ISM_E10value_typeET4_T5_PSR_SS_PNS1_23onesweep_lookback_stateEbbT6_jjT7_P12ihipStream_tbENKUlT_T0_SG_SL_E_clIS7_S7_SB_SB_EEDaSZ_S10_SG_SL_EUlSZ_E_NS1_11comp_targetILNS1_3genE0ELNS1_11target_archE4294967295ELNS1_3gpuE0ELNS1_3repE0EEENS1_47radix_sort_onesweep_sort_config_static_selectorELNS0_4arch9wavefront6targetE1EEEvSG_: ; @_ZN7rocprim17ROCPRIM_400000_NS6detail17trampoline_kernelINS0_14default_configENS1_35radix_sort_onesweep_config_selectorIslEEZZNS1_29radix_sort_onesweep_iterationIS3_Lb0EPsS7_N6thrust23THRUST_200600_302600_NS10device_ptrIlEESB_jNS0_19identity_decomposerENS1_16block_id_wrapperIjLb1EEEEE10hipError_tT1_PNSt15iterator_traitsISG_E10value_typeET2_T3_PNSH_ISM_E10value_typeET4_T5_PSR_SS_PNS1_23onesweep_lookback_stateEbbT6_jjT7_P12ihipStream_tbENKUlT_T0_SG_SL_E_clIS7_S7_SB_SB_EEDaSZ_S10_SG_SL_EUlSZ_E_NS1_11comp_targetILNS1_3genE0ELNS1_11target_archE4294967295ELNS1_3gpuE0ELNS1_3repE0EEENS1_47radix_sort_onesweep_sort_config_static_selectorELNS0_4arch9wavefront6targetE1EEEvSG_
; %bb.0:
	.section	.rodata,"a",@progbits
	.p2align	6, 0x0
	.amdhsa_kernel _ZN7rocprim17ROCPRIM_400000_NS6detail17trampoline_kernelINS0_14default_configENS1_35radix_sort_onesweep_config_selectorIslEEZZNS1_29radix_sort_onesweep_iterationIS3_Lb0EPsS7_N6thrust23THRUST_200600_302600_NS10device_ptrIlEESB_jNS0_19identity_decomposerENS1_16block_id_wrapperIjLb1EEEEE10hipError_tT1_PNSt15iterator_traitsISG_E10value_typeET2_T3_PNSH_ISM_E10value_typeET4_T5_PSR_SS_PNS1_23onesweep_lookback_stateEbbT6_jjT7_P12ihipStream_tbENKUlT_T0_SG_SL_E_clIS7_S7_SB_SB_EEDaSZ_S10_SG_SL_EUlSZ_E_NS1_11comp_targetILNS1_3genE0ELNS1_11target_archE4294967295ELNS1_3gpuE0ELNS1_3repE0EEENS1_47radix_sort_onesweep_sort_config_static_selectorELNS0_4arch9wavefront6targetE1EEEvSG_
		.amdhsa_group_segment_fixed_size 0
		.amdhsa_private_segment_fixed_size 0
		.amdhsa_kernarg_size 88
		.amdhsa_user_sgpr_count 6
		.amdhsa_user_sgpr_private_segment_buffer 1
		.amdhsa_user_sgpr_dispatch_ptr 0
		.amdhsa_user_sgpr_queue_ptr 0
		.amdhsa_user_sgpr_kernarg_segment_ptr 1
		.amdhsa_user_sgpr_dispatch_id 0
		.amdhsa_user_sgpr_flat_scratch_init 0
		.amdhsa_user_sgpr_kernarg_preload_length 0
		.amdhsa_user_sgpr_kernarg_preload_offset 0
		.amdhsa_user_sgpr_private_segment_size 0
		.amdhsa_uses_dynamic_stack 0
		.amdhsa_system_sgpr_private_segment_wavefront_offset 0
		.amdhsa_system_sgpr_workgroup_id_x 1
		.amdhsa_system_sgpr_workgroup_id_y 0
		.amdhsa_system_sgpr_workgroup_id_z 0
		.amdhsa_system_sgpr_workgroup_info 0
		.amdhsa_system_vgpr_workitem_id 0
		.amdhsa_next_free_vgpr 1
		.amdhsa_next_free_sgpr 0
		.amdhsa_accum_offset 4
		.amdhsa_reserve_vcc 0
		.amdhsa_reserve_flat_scratch 0
		.amdhsa_float_round_mode_32 0
		.amdhsa_float_round_mode_16_64 0
		.amdhsa_float_denorm_mode_32 3
		.amdhsa_float_denorm_mode_16_64 3
		.amdhsa_dx10_clamp 1
		.amdhsa_ieee_mode 1
		.amdhsa_fp16_overflow 0
		.amdhsa_tg_split 0
		.amdhsa_exception_fp_ieee_invalid_op 0
		.amdhsa_exception_fp_denorm_src 0
		.amdhsa_exception_fp_ieee_div_zero 0
		.amdhsa_exception_fp_ieee_overflow 0
		.amdhsa_exception_fp_ieee_underflow 0
		.amdhsa_exception_fp_ieee_inexact 0
		.amdhsa_exception_int_div_zero 0
	.end_amdhsa_kernel
	.section	.text._ZN7rocprim17ROCPRIM_400000_NS6detail17trampoline_kernelINS0_14default_configENS1_35radix_sort_onesweep_config_selectorIslEEZZNS1_29radix_sort_onesweep_iterationIS3_Lb0EPsS7_N6thrust23THRUST_200600_302600_NS10device_ptrIlEESB_jNS0_19identity_decomposerENS1_16block_id_wrapperIjLb1EEEEE10hipError_tT1_PNSt15iterator_traitsISG_E10value_typeET2_T3_PNSH_ISM_E10value_typeET4_T5_PSR_SS_PNS1_23onesweep_lookback_stateEbbT6_jjT7_P12ihipStream_tbENKUlT_T0_SG_SL_E_clIS7_S7_SB_SB_EEDaSZ_S10_SG_SL_EUlSZ_E_NS1_11comp_targetILNS1_3genE0ELNS1_11target_archE4294967295ELNS1_3gpuE0ELNS1_3repE0EEENS1_47radix_sort_onesweep_sort_config_static_selectorELNS0_4arch9wavefront6targetE1EEEvSG_,"axG",@progbits,_ZN7rocprim17ROCPRIM_400000_NS6detail17trampoline_kernelINS0_14default_configENS1_35radix_sort_onesweep_config_selectorIslEEZZNS1_29radix_sort_onesweep_iterationIS3_Lb0EPsS7_N6thrust23THRUST_200600_302600_NS10device_ptrIlEESB_jNS0_19identity_decomposerENS1_16block_id_wrapperIjLb1EEEEE10hipError_tT1_PNSt15iterator_traitsISG_E10value_typeET2_T3_PNSH_ISM_E10value_typeET4_T5_PSR_SS_PNS1_23onesweep_lookback_stateEbbT6_jjT7_P12ihipStream_tbENKUlT_T0_SG_SL_E_clIS7_S7_SB_SB_EEDaSZ_S10_SG_SL_EUlSZ_E_NS1_11comp_targetILNS1_3genE0ELNS1_11target_archE4294967295ELNS1_3gpuE0ELNS1_3repE0EEENS1_47radix_sort_onesweep_sort_config_static_selectorELNS0_4arch9wavefront6targetE1EEEvSG_,comdat
.Lfunc_end1398:
	.size	_ZN7rocprim17ROCPRIM_400000_NS6detail17trampoline_kernelINS0_14default_configENS1_35radix_sort_onesweep_config_selectorIslEEZZNS1_29radix_sort_onesweep_iterationIS3_Lb0EPsS7_N6thrust23THRUST_200600_302600_NS10device_ptrIlEESB_jNS0_19identity_decomposerENS1_16block_id_wrapperIjLb1EEEEE10hipError_tT1_PNSt15iterator_traitsISG_E10value_typeET2_T3_PNSH_ISM_E10value_typeET4_T5_PSR_SS_PNS1_23onesweep_lookback_stateEbbT6_jjT7_P12ihipStream_tbENKUlT_T0_SG_SL_E_clIS7_S7_SB_SB_EEDaSZ_S10_SG_SL_EUlSZ_E_NS1_11comp_targetILNS1_3genE0ELNS1_11target_archE4294967295ELNS1_3gpuE0ELNS1_3repE0EEENS1_47radix_sort_onesweep_sort_config_static_selectorELNS0_4arch9wavefront6targetE1EEEvSG_, .Lfunc_end1398-_ZN7rocprim17ROCPRIM_400000_NS6detail17trampoline_kernelINS0_14default_configENS1_35radix_sort_onesweep_config_selectorIslEEZZNS1_29radix_sort_onesweep_iterationIS3_Lb0EPsS7_N6thrust23THRUST_200600_302600_NS10device_ptrIlEESB_jNS0_19identity_decomposerENS1_16block_id_wrapperIjLb1EEEEE10hipError_tT1_PNSt15iterator_traitsISG_E10value_typeET2_T3_PNSH_ISM_E10value_typeET4_T5_PSR_SS_PNS1_23onesweep_lookback_stateEbbT6_jjT7_P12ihipStream_tbENKUlT_T0_SG_SL_E_clIS7_S7_SB_SB_EEDaSZ_S10_SG_SL_EUlSZ_E_NS1_11comp_targetILNS1_3genE0ELNS1_11target_archE4294967295ELNS1_3gpuE0ELNS1_3repE0EEENS1_47radix_sort_onesweep_sort_config_static_selectorELNS0_4arch9wavefront6targetE1EEEvSG_
                                        ; -- End function
	.section	.AMDGPU.csdata,"",@progbits
; Kernel info:
; codeLenInByte = 0
; NumSgprs: 4
; NumVgprs: 0
; NumAgprs: 0
; TotalNumVgprs: 0
; ScratchSize: 0
; MemoryBound: 0
; FloatMode: 240
; IeeeMode: 1
; LDSByteSize: 0 bytes/workgroup (compile time only)
; SGPRBlocks: 0
; VGPRBlocks: 0
; NumSGPRsForWavesPerEU: 4
; NumVGPRsForWavesPerEU: 1
; AccumOffset: 4
; Occupancy: 8
; WaveLimiterHint : 0
; COMPUTE_PGM_RSRC2:SCRATCH_EN: 0
; COMPUTE_PGM_RSRC2:USER_SGPR: 6
; COMPUTE_PGM_RSRC2:TRAP_HANDLER: 0
; COMPUTE_PGM_RSRC2:TGID_X_EN: 1
; COMPUTE_PGM_RSRC2:TGID_Y_EN: 0
; COMPUTE_PGM_RSRC2:TGID_Z_EN: 0
; COMPUTE_PGM_RSRC2:TIDIG_COMP_CNT: 0
; COMPUTE_PGM_RSRC3_GFX90A:ACCUM_OFFSET: 0
; COMPUTE_PGM_RSRC3_GFX90A:TG_SPLIT: 0
	.section	.text._ZN7rocprim17ROCPRIM_400000_NS6detail17trampoline_kernelINS0_14default_configENS1_35radix_sort_onesweep_config_selectorIslEEZZNS1_29radix_sort_onesweep_iterationIS3_Lb0EPsS7_N6thrust23THRUST_200600_302600_NS10device_ptrIlEESB_jNS0_19identity_decomposerENS1_16block_id_wrapperIjLb1EEEEE10hipError_tT1_PNSt15iterator_traitsISG_E10value_typeET2_T3_PNSH_ISM_E10value_typeET4_T5_PSR_SS_PNS1_23onesweep_lookback_stateEbbT6_jjT7_P12ihipStream_tbENKUlT_T0_SG_SL_E_clIS7_S7_SB_SB_EEDaSZ_S10_SG_SL_EUlSZ_E_NS1_11comp_targetILNS1_3genE6ELNS1_11target_archE950ELNS1_3gpuE13ELNS1_3repE0EEENS1_47radix_sort_onesweep_sort_config_static_selectorELNS0_4arch9wavefront6targetE1EEEvSG_,"axG",@progbits,_ZN7rocprim17ROCPRIM_400000_NS6detail17trampoline_kernelINS0_14default_configENS1_35radix_sort_onesweep_config_selectorIslEEZZNS1_29radix_sort_onesweep_iterationIS3_Lb0EPsS7_N6thrust23THRUST_200600_302600_NS10device_ptrIlEESB_jNS0_19identity_decomposerENS1_16block_id_wrapperIjLb1EEEEE10hipError_tT1_PNSt15iterator_traitsISG_E10value_typeET2_T3_PNSH_ISM_E10value_typeET4_T5_PSR_SS_PNS1_23onesweep_lookback_stateEbbT6_jjT7_P12ihipStream_tbENKUlT_T0_SG_SL_E_clIS7_S7_SB_SB_EEDaSZ_S10_SG_SL_EUlSZ_E_NS1_11comp_targetILNS1_3genE6ELNS1_11target_archE950ELNS1_3gpuE13ELNS1_3repE0EEENS1_47radix_sort_onesweep_sort_config_static_selectorELNS0_4arch9wavefront6targetE1EEEvSG_,comdat
	.protected	_ZN7rocprim17ROCPRIM_400000_NS6detail17trampoline_kernelINS0_14default_configENS1_35radix_sort_onesweep_config_selectorIslEEZZNS1_29radix_sort_onesweep_iterationIS3_Lb0EPsS7_N6thrust23THRUST_200600_302600_NS10device_ptrIlEESB_jNS0_19identity_decomposerENS1_16block_id_wrapperIjLb1EEEEE10hipError_tT1_PNSt15iterator_traitsISG_E10value_typeET2_T3_PNSH_ISM_E10value_typeET4_T5_PSR_SS_PNS1_23onesweep_lookback_stateEbbT6_jjT7_P12ihipStream_tbENKUlT_T0_SG_SL_E_clIS7_S7_SB_SB_EEDaSZ_S10_SG_SL_EUlSZ_E_NS1_11comp_targetILNS1_3genE6ELNS1_11target_archE950ELNS1_3gpuE13ELNS1_3repE0EEENS1_47radix_sort_onesweep_sort_config_static_selectorELNS0_4arch9wavefront6targetE1EEEvSG_ ; -- Begin function _ZN7rocprim17ROCPRIM_400000_NS6detail17trampoline_kernelINS0_14default_configENS1_35radix_sort_onesweep_config_selectorIslEEZZNS1_29radix_sort_onesweep_iterationIS3_Lb0EPsS7_N6thrust23THRUST_200600_302600_NS10device_ptrIlEESB_jNS0_19identity_decomposerENS1_16block_id_wrapperIjLb1EEEEE10hipError_tT1_PNSt15iterator_traitsISG_E10value_typeET2_T3_PNSH_ISM_E10value_typeET4_T5_PSR_SS_PNS1_23onesweep_lookback_stateEbbT6_jjT7_P12ihipStream_tbENKUlT_T0_SG_SL_E_clIS7_S7_SB_SB_EEDaSZ_S10_SG_SL_EUlSZ_E_NS1_11comp_targetILNS1_3genE6ELNS1_11target_archE950ELNS1_3gpuE13ELNS1_3repE0EEENS1_47radix_sort_onesweep_sort_config_static_selectorELNS0_4arch9wavefront6targetE1EEEvSG_
	.globl	_ZN7rocprim17ROCPRIM_400000_NS6detail17trampoline_kernelINS0_14default_configENS1_35radix_sort_onesweep_config_selectorIslEEZZNS1_29radix_sort_onesweep_iterationIS3_Lb0EPsS7_N6thrust23THRUST_200600_302600_NS10device_ptrIlEESB_jNS0_19identity_decomposerENS1_16block_id_wrapperIjLb1EEEEE10hipError_tT1_PNSt15iterator_traitsISG_E10value_typeET2_T3_PNSH_ISM_E10value_typeET4_T5_PSR_SS_PNS1_23onesweep_lookback_stateEbbT6_jjT7_P12ihipStream_tbENKUlT_T0_SG_SL_E_clIS7_S7_SB_SB_EEDaSZ_S10_SG_SL_EUlSZ_E_NS1_11comp_targetILNS1_3genE6ELNS1_11target_archE950ELNS1_3gpuE13ELNS1_3repE0EEENS1_47radix_sort_onesweep_sort_config_static_selectorELNS0_4arch9wavefront6targetE1EEEvSG_
	.p2align	8
	.type	_ZN7rocprim17ROCPRIM_400000_NS6detail17trampoline_kernelINS0_14default_configENS1_35radix_sort_onesweep_config_selectorIslEEZZNS1_29radix_sort_onesweep_iterationIS3_Lb0EPsS7_N6thrust23THRUST_200600_302600_NS10device_ptrIlEESB_jNS0_19identity_decomposerENS1_16block_id_wrapperIjLb1EEEEE10hipError_tT1_PNSt15iterator_traitsISG_E10value_typeET2_T3_PNSH_ISM_E10value_typeET4_T5_PSR_SS_PNS1_23onesweep_lookback_stateEbbT6_jjT7_P12ihipStream_tbENKUlT_T0_SG_SL_E_clIS7_S7_SB_SB_EEDaSZ_S10_SG_SL_EUlSZ_E_NS1_11comp_targetILNS1_3genE6ELNS1_11target_archE950ELNS1_3gpuE13ELNS1_3repE0EEENS1_47radix_sort_onesweep_sort_config_static_selectorELNS0_4arch9wavefront6targetE1EEEvSG_,@function
_ZN7rocprim17ROCPRIM_400000_NS6detail17trampoline_kernelINS0_14default_configENS1_35radix_sort_onesweep_config_selectorIslEEZZNS1_29radix_sort_onesweep_iterationIS3_Lb0EPsS7_N6thrust23THRUST_200600_302600_NS10device_ptrIlEESB_jNS0_19identity_decomposerENS1_16block_id_wrapperIjLb1EEEEE10hipError_tT1_PNSt15iterator_traitsISG_E10value_typeET2_T3_PNSH_ISM_E10value_typeET4_T5_PSR_SS_PNS1_23onesweep_lookback_stateEbbT6_jjT7_P12ihipStream_tbENKUlT_T0_SG_SL_E_clIS7_S7_SB_SB_EEDaSZ_S10_SG_SL_EUlSZ_E_NS1_11comp_targetILNS1_3genE6ELNS1_11target_archE950ELNS1_3gpuE13ELNS1_3repE0EEENS1_47radix_sort_onesweep_sort_config_static_selectorELNS0_4arch9wavefront6targetE1EEEvSG_: ; @_ZN7rocprim17ROCPRIM_400000_NS6detail17trampoline_kernelINS0_14default_configENS1_35radix_sort_onesweep_config_selectorIslEEZZNS1_29radix_sort_onesweep_iterationIS3_Lb0EPsS7_N6thrust23THRUST_200600_302600_NS10device_ptrIlEESB_jNS0_19identity_decomposerENS1_16block_id_wrapperIjLb1EEEEE10hipError_tT1_PNSt15iterator_traitsISG_E10value_typeET2_T3_PNSH_ISM_E10value_typeET4_T5_PSR_SS_PNS1_23onesweep_lookback_stateEbbT6_jjT7_P12ihipStream_tbENKUlT_T0_SG_SL_E_clIS7_S7_SB_SB_EEDaSZ_S10_SG_SL_EUlSZ_E_NS1_11comp_targetILNS1_3genE6ELNS1_11target_archE950ELNS1_3gpuE13ELNS1_3repE0EEENS1_47radix_sort_onesweep_sort_config_static_selectorELNS0_4arch9wavefront6targetE1EEEvSG_
; %bb.0:
	.section	.rodata,"a",@progbits
	.p2align	6, 0x0
	.amdhsa_kernel _ZN7rocprim17ROCPRIM_400000_NS6detail17trampoline_kernelINS0_14default_configENS1_35radix_sort_onesweep_config_selectorIslEEZZNS1_29radix_sort_onesweep_iterationIS3_Lb0EPsS7_N6thrust23THRUST_200600_302600_NS10device_ptrIlEESB_jNS0_19identity_decomposerENS1_16block_id_wrapperIjLb1EEEEE10hipError_tT1_PNSt15iterator_traitsISG_E10value_typeET2_T3_PNSH_ISM_E10value_typeET4_T5_PSR_SS_PNS1_23onesweep_lookback_stateEbbT6_jjT7_P12ihipStream_tbENKUlT_T0_SG_SL_E_clIS7_S7_SB_SB_EEDaSZ_S10_SG_SL_EUlSZ_E_NS1_11comp_targetILNS1_3genE6ELNS1_11target_archE950ELNS1_3gpuE13ELNS1_3repE0EEENS1_47radix_sort_onesweep_sort_config_static_selectorELNS0_4arch9wavefront6targetE1EEEvSG_
		.amdhsa_group_segment_fixed_size 0
		.amdhsa_private_segment_fixed_size 0
		.amdhsa_kernarg_size 88
		.amdhsa_user_sgpr_count 6
		.amdhsa_user_sgpr_private_segment_buffer 1
		.amdhsa_user_sgpr_dispatch_ptr 0
		.amdhsa_user_sgpr_queue_ptr 0
		.amdhsa_user_sgpr_kernarg_segment_ptr 1
		.amdhsa_user_sgpr_dispatch_id 0
		.amdhsa_user_sgpr_flat_scratch_init 0
		.amdhsa_user_sgpr_kernarg_preload_length 0
		.amdhsa_user_sgpr_kernarg_preload_offset 0
		.amdhsa_user_sgpr_private_segment_size 0
		.amdhsa_uses_dynamic_stack 0
		.amdhsa_system_sgpr_private_segment_wavefront_offset 0
		.amdhsa_system_sgpr_workgroup_id_x 1
		.amdhsa_system_sgpr_workgroup_id_y 0
		.amdhsa_system_sgpr_workgroup_id_z 0
		.amdhsa_system_sgpr_workgroup_info 0
		.amdhsa_system_vgpr_workitem_id 0
		.amdhsa_next_free_vgpr 1
		.amdhsa_next_free_sgpr 0
		.amdhsa_accum_offset 4
		.amdhsa_reserve_vcc 0
		.amdhsa_reserve_flat_scratch 0
		.amdhsa_float_round_mode_32 0
		.amdhsa_float_round_mode_16_64 0
		.amdhsa_float_denorm_mode_32 3
		.amdhsa_float_denorm_mode_16_64 3
		.amdhsa_dx10_clamp 1
		.amdhsa_ieee_mode 1
		.amdhsa_fp16_overflow 0
		.amdhsa_tg_split 0
		.amdhsa_exception_fp_ieee_invalid_op 0
		.amdhsa_exception_fp_denorm_src 0
		.amdhsa_exception_fp_ieee_div_zero 0
		.amdhsa_exception_fp_ieee_overflow 0
		.amdhsa_exception_fp_ieee_underflow 0
		.amdhsa_exception_fp_ieee_inexact 0
		.amdhsa_exception_int_div_zero 0
	.end_amdhsa_kernel
	.section	.text._ZN7rocprim17ROCPRIM_400000_NS6detail17trampoline_kernelINS0_14default_configENS1_35radix_sort_onesweep_config_selectorIslEEZZNS1_29radix_sort_onesweep_iterationIS3_Lb0EPsS7_N6thrust23THRUST_200600_302600_NS10device_ptrIlEESB_jNS0_19identity_decomposerENS1_16block_id_wrapperIjLb1EEEEE10hipError_tT1_PNSt15iterator_traitsISG_E10value_typeET2_T3_PNSH_ISM_E10value_typeET4_T5_PSR_SS_PNS1_23onesweep_lookback_stateEbbT6_jjT7_P12ihipStream_tbENKUlT_T0_SG_SL_E_clIS7_S7_SB_SB_EEDaSZ_S10_SG_SL_EUlSZ_E_NS1_11comp_targetILNS1_3genE6ELNS1_11target_archE950ELNS1_3gpuE13ELNS1_3repE0EEENS1_47radix_sort_onesweep_sort_config_static_selectorELNS0_4arch9wavefront6targetE1EEEvSG_,"axG",@progbits,_ZN7rocprim17ROCPRIM_400000_NS6detail17trampoline_kernelINS0_14default_configENS1_35radix_sort_onesweep_config_selectorIslEEZZNS1_29radix_sort_onesweep_iterationIS3_Lb0EPsS7_N6thrust23THRUST_200600_302600_NS10device_ptrIlEESB_jNS0_19identity_decomposerENS1_16block_id_wrapperIjLb1EEEEE10hipError_tT1_PNSt15iterator_traitsISG_E10value_typeET2_T3_PNSH_ISM_E10value_typeET4_T5_PSR_SS_PNS1_23onesweep_lookback_stateEbbT6_jjT7_P12ihipStream_tbENKUlT_T0_SG_SL_E_clIS7_S7_SB_SB_EEDaSZ_S10_SG_SL_EUlSZ_E_NS1_11comp_targetILNS1_3genE6ELNS1_11target_archE950ELNS1_3gpuE13ELNS1_3repE0EEENS1_47radix_sort_onesweep_sort_config_static_selectorELNS0_4arch9wavefront6targetE1EEEvSG_,comdat
.Lfunc_end1399:
	.size	_ZN7rocprim17ROCPRIM_400000_NS6detail17trampoline_kernelINS0_14default_configENS1_35radix_sort_onesweep_config_selectorIslEEZZNS1_29radix_sort_onesweep_iterationIS3_Lb0EPsS7_N6thrust23THRUST_200600_302600_NS10device_ptrIlEESB_jNS0_19identity_decomposerENS1_16block_id_wrapperIjLb1EEEEE10hipError_tT1_PNSt15iterator_traitsISG_E10value_typeET2_T3_PNSH_ISM_E10value_typeET4_T5_PSR_SS_PNS1_23onesweep_lookback_stateEbbT6_jjT7_P12ihipStream_tbENKUlT_T0_SG_SL_E_clIS7_S7_SB_SB_EEDaSZ_S10_SG_SL_EUlSZ_E_NS1_11comp_targetILNS1_3genE6ELNS1_11target_archE950ELNS1_3gpuE13ELNS1_3repE0EEENS1_47radix_sort_onesweep_sort_config_static_selectorELNS0_4arch9wavefront6targetE1EEEvSG_, .Lfunc_end1399-_ZN7rocprim17ROCPRIM_400000_NS6detail17trampoline_kernelINS0_14default_configENS1_35radix_sort_onesweep_config_selectorIslEEZZNS1_29radix_sort_onesweep_iterationIS3_Lb0EPsS7_N6thrust23THRUST_200600_302600_NS10device_ptrIlEESB_jNS0_19identity_decomposerENS1_16block_id_wrapperIjLb1EEEEE10hipError_tT1_PNSt15iterator_traitsISG_E10value_typeET2_T3_PNSH_ISM_E10value_typeET4_T5_PSR_SS_PNS1_23onesweep_lookback_stateEbbT6_jjT7_P12ihipStream_tbENKUlT_T0_SG_SL_E_clIS7_S7_SB_SB_EEDaSZ_S10_SG_SL_EUlSZ_E_NS1_11comp_targetILNS1_3genE6ELNS1_11target_archE950ELNS1_3gpuE13ELNS1_3repE0EEENS1_47radix_sort_onesweep_sort_config_static_selectorELNS0_4arch9wavefront6targetE1EEEvSG_
                                        ; -- End function
	.section	.AMDGPU.csdata,"",@progbits
; Kernel info:
; codeLenInByte = 0
; NumSgprs: 4
; NumVgprs: 0
; NumAgprs: 0
; TotalNumVgprs: 0
; ScratchSize: 0
; MemoryBound: 0
; FloatMode: 240
; IeeeMode: 1
; LDSByteSize: 0 bytes/workgroup (compile time only)
; SGPRBlocks: 0
; VGPRBlocks: 0
; NumSGPRsForWavesPerEU: 4
; NumVGPRsForWavesPerEU: 1
; AccumOffset: 4
; Occupancy: 8
; WaveLimiterHint : 0
; COMPUTE_PGM_RSRC2:SCRATCH_EN: 0
; COMPUTE_PGM_RSRC2:USER_SGPR: 6
; COMPUTE_PGM_RSRC2:TRAP_HANDLER: 0
; COMPUTE_PGM_RSRC2:TGID_X_EN: 1
; COMPUTE_PGM_RSRC2:TGID_Y_EN: 0
; COMPUTE_PGM_RSRC2:TGID_Z_EN: 0
; COMPUTE_PGM_RSRC2:TIDIG_COMP_CNT: 0
; COMPUTE_PGM_RSRC3_GFX90A:ACCUM_OFFSET: 0
; COMPUTE_PGM_RSRC3_GFX90A:TG_SPLIT: 0
	.section	.text._ZN7rocprim17ROCPRIM_400000_NS6detail17trampoline_kernelINS0_14default_configENS1_35radix_sort_onesweep_config_selectorIslEEZZNS1_29radix_sort_onesweep_iterationIS3_Lb0EPsS7_N6thrust23THRUST_200600_302600_NS10device_ptrIlEESB_jNS0_19identity_decomposerENS1_16block_id_wrapperIjLb1EEEEE10hipError_tT1_PNSt15iterator_traitsISG_E10value_typeET2_T3_PNSH_ISM_E10value_typeET4_T5_PSR_SS_PNS1_23onesweep_lookback_stateEbbT6_jjT7_P12ihipStream_tbENKUlT_T0_SG_SL_E_clIS7_S7_SB_SB_EEDaSZ_S10_SG_SL_EUlSZ_E_NS1_11comp_targetILNS1_3genE5ELNS1_11target_archE942ELNS1_3gpuE9ELNS1_3repE0EEENS1_47radix_sort_onesweep_sort_config_static_selectorELNS0_4arch9wavefront6targetE1EEEvSG_,"axG",@progbits,_ZN7rocprim17ROCPRIM_400000_NS6detail17trampoline_kernelINS0_14default_configENS1_35radix_sort_onesweep_config_selectorIslEEZZNS1_29radix_sort_onesweep_iterationIS3_Lb0EPsS7_N6thrust23THRUST_200600_302600_NS10device_ptrIlEESB_jNS0_19identity_decomposerENS1_16block_id_wrapperIjLb1EEEEE10hipError_tT1_PNSt15iterator_traitsISG_E10value_typeET2_T3_PNSH_ISM_E10value_typeET4_T5_PSR_SS_PNS1_23onesweep_lookback_stateEbbT6_jjT7_P12ihipStream_tbENKUlT_T0_SG_SL_E_clIS7_S7_SB_SB_EEDaSZ_S10_SG_SL_EUlSZ_E_NS1_11comp_targetILNS1_3genE5ELNS1_11target_archE942ELNS1_3gpuE9ELNS1_3repE0EEENS1_47radix_sort_onesweep_sort_config_static_selectorELNS0_4arch9wavefront6targetE1EEEvSG_,comdat
	.protected	_ZN7rocprim17ROCPRIM_400000_NS6detail17trampoline_kernelINS0_14default_configENS1_35radix_sort_onesweep_config_selectorIslEEZZNS1_29radix_sort_onesweep_iterationIS3_Lb0EPsS7_N6thrust23THRUST_200600_302600_NS10device_ptrIlEESB_jNS0_19identity_decomposerENS1_16block_id_wrapperIjLb1EEEEE10hipError_tT1_PNSt15iterator_traitsISG_E10value_typeET2_T3_PNSH_ISM_E10value_typeET4_T5_PSR_SS_PNS1_23onesweep_lookback_stateEbbT6_jjT7_P12ihipStream_tbENKUlT_T0_SG_SL_E_clIS7_S7_SB_SB_EEDaSZ_S10_SG_SL_EUlSZ_E_NS1_11comp_targetILNS1_3genE5ELNS1_11target_archE942ELNS1_3gpuE9ELNS1_3repE0EEENS1_47radix_sort_onesweep_sort_config_static_selectorELNS0_4arch9wavefront6targetE1EEEvSG_ ; -- Begin function _ZN7rocprim17ROCPRIM_400000_NS6detail17trampoline_kernelINS0_14default_configENS1_35radix_sort_onesweep_config_selectorIslEEZZNS1_29radix_sort_onesweep_iterationIS3_Lb0EPsS7_N6thrust23THRUST_200600_302600_NS10device_ptrIlEESB_jNS0_19identity_decomposerENS1_16block_id_wrapperIjLb1EEEEE10hipError_tT1_PNSt15iterator_traitsISG_E10value_typeET2_T3_PNSH_ISM_E10value_typeET4_T5_PSR_SS_PNS1_23onesweep_lookback_stateEbbT6_jjT7_P12ihipStream_tbENKUlT_T0_SG_SL_E_clIS7_S7_SB_SB_EEDaSZ_S10_SG_SL_EUlSZ_E_NS1_11comp_targetILNS1_3genE5ELNS1_11target_archE942ELNS1_3gpuE9ELNS1_3repE0EEENS1_47radix_sort_onesweep_sort_config_static_selectorELNS0_4arch9wavefront6targetE1EEEvSG_
	.globl	_ZN7rocprim17ROCPRIM_400000_NS6detail17trampoline_kernelINS0_14default_configENS1_35radix_sort_onesweep_config_selectorIslEEZZNS1_29radix_sort_onesweep_iterationIS3_Lb0EPsS7_N6thrust23THRUST_200600_302600_NS10device_ptrIlEESB_jNS0_19identity_decomposerENS1_16block_id_wrapperIjLb1EEEEE10hipError_tT1_PNSt15iterator_traitsISG_E10value_typeET2_T3_PNSH_ISM_E10value_typeET4_T5_PSR_SS_PNS1_23onesweep_lookback_stateEbbT6_jjT7_P12ihipStream_tbENKUlT_T0_SG_SL_E_clIS7_S7_SB_SB_EEDaSZ_S10_SG_SL_EUlSZ_E_NS1_11comp_targetILNS1_3genE5ELNS1_11target_archE942ELNS1_3gpuE9ELNS1_3repE0EEENS1_47radix_sort_onesweep_sort_config_static_selectorELNS0_4arch9wavefront6targetE1EEEvSG_
	.p2align	8
	.type	_ZN7rocprim17ROCPRIM_400000_NS6detail17trampoline_kernelINS0_14default_configENS1_35radix_sort_onesweep_config_selectorIslEEZZNS1_29radix_sort_onesweep_iterationIS3_Lb0EPsS7_N6thrust23THRUST_200600_302600_NS10device_ptrIlEESB_jNS0_19identity_decomposerENS1_16block_id_wrapperIjLb1EEEEE10hipError_tT1_PNSt15iterator_traitsISG_E10value_typeET2_T3_PNSH_ISM_E10value_typeET4_T5_PSR_SS_PNS1_23onesweep_lookback_stateEbbT6_jjT7_P12ihipStream_tbENKUlT_T0_SG_SL_E_clIS7_S7_SB_SB_EEDaSZ_S10_SG_SL_EUlSZ_E_NS1_11comp_targetILNS1_3genE5ELNS1_11target_archE942ELNS1_3gpuE9ELNS1_3repE0EEENS1_47radix_sort_onesweep_sort_config_static_selectorELNS0_4arch9wavefront6targetE1EEEvSG_,@function
_ZN7rocprim17ROCPRIM_400000_NS6detail17trampoline_kernelINS0_14default_configENS1_35radix_sort_onesweep_config_selectorIslEEZZNS1_29radix_sort_onesweep_iterationIS3_Lb0EPsS7_N6thrust23THRUST_200600_302600_NS10device_ptrIlEESB_jNS0_19identity_decomposerENS1_16block_id_wrapperIjLb1EEEEE10hipError_tT1_PNSt15iterator_traitsISG_E10value_typeET2_T3_PNSH_ISM_E10value_typeET4_T5_PSR_SS_PNS1_23onesweep_lookback_stateEbbT6_jjT7_P12ihipStream_tbENKUlT_T0_SG_SL_E_clIS7_S7_SB_SB_EEDaSZ_S10_SG_SL_EUlSZ_E_NS1_11comp_targetILNS1_3genE5ELNS1_11target_archE942ELNS1_3gpuE9ELNS1_3repE0EEENS1_47radix_sort_onesweep_sort_config_static_selectorELNS0_4arch9wavefront6targetE1EEEvSG_: ; @_ZN7rocprim17ROCPRIM_400000_NS6detail17trampoline_kernelINS0_14default_configENS1_35radix_sort_onesweep_config_selectorIslEEZZNS1_29radix_sort_onesweep_iterationIS3_Lb0EPsS7_N6thrust23THRUST_200600_302600_NS10device_ptrIlEESB_jNS0_19identity_decomposerENS1_16block_id_wrapperIjLb1EEEEE10hipError_tT1_PNSt15iterator_traitsISG_E10value_typeET2_T3_PNSH_ISM_E10value_typeET4_T5_PSR_SS_PNS1_23onesweep_lookback_stateEbbT6_jjT7_P12ihipStream_tbENKUlT_T0_SG_SL_E_clIS7_S7_SB_SB_EEDaSZ_S10_SG_SL_EUlSZ_E_NS1_11comp_targetILNS1_3genE5ELNS1_11target_archE942ELNS1_3gpuE9ELNS1_3repE0EEENS1_47radix_sort_onesweep_sort_config_static_selectorELNS0_4arch9wavefront6targetE1EEEvSG_
; %bb.0:
	.section	.rodata,"a",@progbits
	.p2align	6, 0x0
	.amdhsa_kernel _ZN7rocprim17ROCPRIM_400000_NS6detail17trampoline_kernelINS0_14default_configENS1_35radix_sort_onesweep_config_selectorIslEEZZNS1_29radix_sort_onesweep_iterationIS3_Lb0EPsS7_N6thrust23THRUST_200600_302600_NS10device_ptrIlEESB_jNS0_19identity_decomposerENS1_16block_id_wrapperIjLb1EEEEE10hipError_tT1_PNSt15iterator_traitsISG_E10value_typeET2_T3_PNSH_ISM_E10value_typeET4_T5_PSR_SS_PNS1_23onesweep_lookback_stateEbbT6_jjT7_P12ihipStream_tbENKUlT_T0_SG_SL_E_clIS7_S7_SB_SB_EEDaSZ_S10_SG_SL_EUlSZ_E_NS1_11comp_targetILNS1_3genE5ELNS1_11target_archE942ELNS1_3gpuE9ELNS1_3repE0EEENS1_47radix_sort_onesweep_sort_config_static_selectorELNS0_4arch9wavefront6targetE1EEEvSG_
		.amdhsa_group_segment_fixed_size 0
		.amdhsa_private_segment_fixed_size 0
		.amdhsa_kernarg_size 88
		.amdhsa_user_sgpr_count 6
		.amdhsa_user_sgpr_private_segment_buffer 1
		.amdhsa_user_sgpr_dispatch_ptr 0
		.amdhsa_user_sgpr_queue_ptr 0
		.amdhsa_user_sgpr_kernarg_segment_ptr 1
		.amdhsa_user_sgpr_dispatch_id 0
		.amdhsa_user_sgpr_flat_scratch_init 0
		.amdhsa_user_sgpr_kernarg_preload_length 0
		.amdhsa_user_sgpr_kernarg_preload_offset 0
		.amdhsa_user_sgpr_private_segment_size 0
		.amdhsa_uses_dynamic_stack 0
		.amdhsa_system_sgpr_private_segment_wavefront_offset 0
		.amdhsa_system_sgpr_workgroup_id_x 1
		.amdhsa_system_sgpr_workgroup_id_y 0
		.amdhsa_system_sgpr_workgroup_id_z 0
		.amdhsa_system_sgpr_workgroup_info 0
		.amdhsa_system_vgpr_workitem_id 0
		.amdhsa_next_free_vgpr 1
		.amdhsa_next_free_sgpr 0
		.amdhsa_accum_offset 4
		.amdhsa_reserve_vcc 0
		.amdhsa_reserve_flat_scratch 0
		.amdhsa_float_round_mode_32 0
		.amdhsa_float_round_mode_16_64 0
		.amdhsa_float_denorm_mode_32 3
		.amdhsa_float_denorm_mode_16_64 3
		.amdhsa_dx10_clamp 1
		.amdhsa_ieee_mode 1
		.amdhsa_fp16_overflow 0
		.amdhsa_tg_split 0
		.amdhsa_exception_fp_ieee_invalid_op 0
		.amdhsa_exception_fp_denorm_src 0
		.amdhsa_exception_fp_ieee_div_zero 0
		.amdhsa_exception_fp_ieee_overflow 0
		.amdhsa_exception_fp_ieee_underflow 0
		.amdhsa_exception_fp_ieee_inexact 0
		.amdhsa_exception_int_div_zero 0
	.end_amdhsa_kernel
	.section	.text._ZN7rocprim17ROCPRIM_400000_NS6detail17trampoline_kernelINS0_14default_configENS1_35radix_sort_onesweep_config_selectorIslEEZZNS1_29radix_sort_onesweep_iterationIS3_Lb0EPsS7_N6thrust23THRUST_200600_302600_NS10device_ptrIlEESB_jNS0_19identity_decomposerENS1_16block_id_wrapperIjLb1EEEEE10hipError_tT1_PNSt15iterator_traitsISG_E10value_typeET2_T3_PNSH_ISM_E10value_typeET4_T5_PSR_SS_PNS1_23onesweep_lookback_stateEbbT6_jjT7_P12ihipStream_tbENKUlT_T0_SG_SL_E_clIS7_S7_SB_SB_EEDaSZ_S10_SG_SL_EUlSZ_E_NS1_11comp_targetILNS1_3genE5ELNS1_11target_archE942ELNS1_3gpuE9ELNS1_3repE0EEENS1_47radix_sort_onesweep_sort_config_static_selectorELNS0_4arch9wavefront6targetE1EEEvSG_,"axG",@progbits,_ZN7rocprim17ROCPRIM_400000_NS6detail17trampoline_kernelINS0_14default_configENS1_35radix_sort_onesweep_config_selectorIslEEZZNS1_29radix_sort_onesweep_iterationIS3_Lb0EPsS7_N6thrust23THRUST_200600_302600_NS10device_ptrIlEESB_jNS0_19identity_decomposerENS1_16block_id_wrapperIjLb1EEEEE10hipError_tT1_PNSt15iterator_traitsISG_E10value_typeET2_T3_PNSH_ISM_E10value_typeET4_T5_PSR_SS_PNS1_23onesweep_lookback_stateEbbT6_jjT7_P12ihipStream_tbENKUlT_T0_SG_SL_E_clIS7_S7_SB_SB_EEDaSZ_S10_SG_SL_EUlSZ_E_NS1_11comp_targetILNS1_3genE5ELNS1_11target_archE942ELNS1_3gpuE9ELNS1_3repE0EEENS1_47radix_sort_onesweep_sort_config_static_selectorELNS0_4arch9wavefront6targetE1EEEvSG_,comdat
.Lfunc_end1400:
	.size	_ZN7rocprim17ROCPRIM_400000_NS6detail17trampoline_kernelINS0_14default_configENS1_35radix_sort_onesweep_config_selectorIslEEZZNS1_29radix_sort_onesweep_iterationIS3_Lb0EPsS7_N6thrust23THRUST_200600_302600_NS10device_ptrIlEESB_jNS0_19identity_decomposerENS1_16block_id_wrapperIjLb1EEEEE10hipError_tT1_PNSt15iterator_traitsISG_E10value_typeET2_T3_PNSH_ISM_E10value_typeET4_T5_PSR_SS_PNS1_23onesweep_lookback_stateEbbT6_jjT7_P12ihipStream_tbENKUlT_T0_SG_SL_E_clIS7_S7_SB_SB_EEDaSZ_S10_SG_SL_EUlSZ_E_NS1_11comp_targetILNS1_3genE5ELNS1_11target_archE942ELNS1_3gpuE9ELNS1_3repE0EEENS1_47radix_sort_onesweep_sort_config_static_selectorELNS0_4arch9wavefront6targetE1EEEvSG_, .Lfunc_end1400-_ZN7rocprim17ROCPRIM_400000_NS6detail17trampoline_kernelINS0_14default_configENS1_35radix_sort_onesweep_config_selectorIslEEZZNS1_29radix_sort_onesweep_iterationIS3_Lb0EPsS7_N6thrust23THRUST_200600_302600_NS10device_ptrIlEESB_jNS0_19identity_decomposerENS1_16block_id_wrapperIjLb1EEEEE10hipError_tT1_PNSt15iterator_traitsISG_E10value_typeET2_T3_PNSH_ISM_E10value_typeET4_T5_PSR_SS_PNS1_23onesweep_lookback_stateEbbT6_jjT7_P12ihipStream_tbENKUlT_T0_SG_SL_E_clIS7_S7_SB_SB_EEDaSZ_S10_SG_SL_EUlSZ_E_NS1_11comp_targetILNS1_3genE5ELNS1_11target_archE942ELNS1_3gpuE9ELNS1_3repE0EEENS1_47radix_sort_onesweep_sort_config_static_selectorELNS0_4arch9wavefront6targetE1EEEvSG_
                                        ; -- End function
	.section	.AMDGPU.csdata,"",@progbits
; Kernel info:
; codeLenInByte = 0
; NumSgprs: 4
; NumVgprs: 0
; NumAgprs: 0
; TotalNumVgprs: 0
; ScratchSize: 0
; MemoryBound: 0
; FloatMode: 240
; IeeeMode: 1
; LDSByteSize: 0 bytes/workgroup (compile time only)
; SGPRBlocks: 0
; VGPRBlocks: 0
; NumSGPRsForWavesPerEU: 4
; NumVGPRsForWavesPerEU: 1
; AccumOffset: 4
; Occupancy: 8
; WaveLimiterHint : 0
; COMPUTE_PGM_RSRC2:SCRATCH_EN: 0
; COMPUTE_PGM_RSRC2:USER_SGPR: 6
; COMPUTE_PGM_RSRC2:TRAP_HANDLER: 0
; COMPUTE_PGM_RSRC2:TGID_X_EN: 1
; COMPUTE_PGM_RSRC2:TGID_Y_EN: 0
; COMPUTE_PGM_RSRC2:TGID_Z_EN: 0
; COMPUTE_PGM_RSRC2:TIDIG_COMP_CNT: 0
; COMPUTE_PGM_RSRC3_GFX90A:ACCUM_OFFSET: 0
; COMPUTE_PGM_RSRC3_GFX90A:TG_SPLIT: 0
	.section	.text._ZN7rocprim17ROCPRIM_400000_NS6detail17trampoline_kernelINS0_14default_configENS1_35radix_sort_onesweep_config_selectorIslEEZZNS1_29radix_sort_onesweep_iterationIS3_Lb0EPsS7_N6thrust23THRUST_200600_302600_NS10device_ptrIlEESB_jNS0_19identity_decomposerENS1_16block_id_wrapperIjLb1EEEEE10hipError_tT1_PNSt15iterator_traitsISG_E10value_typeET2_T3_PNSH_ISM_E10value_typeET4_T5_PSR_SS_PNS1_23onesweep_lookback_stateEbbT6_jjT7_P12ihipStream_tbENKUlT_T0_SG_SL_E_clIS7_S7_SB_SB_EEDaSZ_S10_SG_SL_EUlSZ_E_NS1_11comp_targetILNS1_3genE2ELNS1_11target_archE906ELNS1_3gpuE6ELNS1_3repE0EEENS1_47radix_sort_onesweep_sort_config_static_selectorELNS0_4arch9wavefront6targetE1EEEvSG_,"axG",@progbits,_ZN7rocprim17ROCPRIM_400000_NS6detail17trampoline_kernelINS0_14default_configENS1_35radix_sort_onesweep_config_selectorIslEEZZNS1_29radix_sort_onesweep_iterationIS3_Lb0EPsS7_N6thrust23THRUST_200600_302600_NS10device_ptrIlEESB_jNS0_19identity_decomposerENS1_16block_id_wrapperIjLb1EEEEE10hipError_tT1_PNSt15iterator_traitsISG_E10value_typeET2_T3_PNSH_ISM_E10value_typeET4_T5_PSR_SS_PNS1_23onesweep_lookback_stateEbbT6_jjT7_P12ihipStream_tbENKUlT_T0_SG_SL_E_clIS7_S7_SB_SB_EEDaSZ_S10_SG_SL_EUlSZ_E_NS1_11comp_targetILNS1_3genE2ELNS1_11target_archE906ELNS1_3gpuE6ELNS1_3repE0EEENS1_47radix_sort_onesweep_sort_config_static_selectorELNS0_4arch9wavefront6targetE1EEEvSG_,comdat
	.protected	_ZN7rocprim17ROCPRIM_400000_NS6detail17trampoline_kernelINS0_14default_configENS1_35radix_sort_onesweep_config_selectorIslEEZZNS1_29radix_sort_onesweep_iterationIS3_Lb0EPsS7_N6thrust23THRUST_200600_302600_NS10device_ptrIlEESB_jNS0_19identity_decomposerENS1_16block_id_wrapperIjLb1EEEEE10hipError_tT1_PNSt15iterator_traitsISG_E10value_typeET2_T3_PNSH_ISM_E10value_typeET4_T5_PSR_SS_PNS1_23onesweep_lookback_stateEbbT6_jjT7_P12ihipStream_tbENKUlT_T0_SG_SL_E_clIS7_S7_SB_SB_EEDaSZ_S10_SG_SL_EUlSZ_E_NS1_11comp_targetILNS1_3genE2ELNS1_11target_archE906ELNS1_3gpuE6ELNS1_3repE0EEENS1_47radix_sort_onesweep_sort_config_static_selectorELNS0_4arch9wavefront6targetE1EEEvSG_ ; -- Begin function _ZN7rocprim17ROCPRIM_400000_NS6detail17trampoline_kernelINS0_14default_configENS1_35radix_sort_onesweep_config_selectorIslEEZZNS1_29radix_sort_onesweep_iterationIS3_Lb0EPsS7_N6thrust23THRUST_200600_302600_NS10device_ptrIlEESB_jNS0_19identity_decomposerENS1_16block_id_wrapperIjLb1EEEEE10hipError_tT1_PNSt15iterator_traitsISG_E10value_typeET2_T3_PNSH_ISM_E10value_typeET4_T5_PSR_SS_PNS1_23onesweep_lookback_stateEbbT6_jjT7_P12ihipStream_tbENKUlT_T0_SG_SL_E_clIS7_S7_SB_SB_EEDaSZ_S10_SG_SL_EUlSZ_E_NS1_11comp_targetILNS1_3genE2ELNS1_11target_archE906ELNS1_3gpuE6ELNS1_3repE0EEENS1_47radix_sort_onesweep_sort_config_static_selectorELNS0_4arch9wavefront6targetE1EEEvSG_
	.globl	_ZN7rocprim17ROCPRIM_400000_NS6detail17trampoline_kernelINS0_14default_configENS1_35radix_sort_onesweep_config_selectorIslEEZZNS1_29radix_sort_onesweep_iterationIS3_Lb0EPsS7_N6thrust23THRUST_200600_302600_NS10device_ptrIlEESB_jNS0_19identity_decomposerENS1_16block_id_wrapperIjLb1EEEEE10hipError_tT1_PNSt15iterator_traitsISG_E10value_typeET2_T3_PNSH_ISM_E10value_typeET4_T5_PSR_SS_PNS1_23onesweep_lookback_stateEbbT6_jjT7_P12ihipStream_tbENKUlT_T0_SG_SL_E_clIS7_S7_SB_SB_EEDaSZ_S10_SG_SL_EUlSZ_E_NS1_11comp_targetILNS1_3genE2ELNS1_11target_archE906ELNS1_3gpuE6ELNS1_3repE0EEENS1_47radix_sort_onesweep_sort_config_static_selectorELNS0_4arch9wavefront6targetE1EEEvSG_
	.p2align	8
	.type	_ZN7rocprim17ROCPRIM_400000_NS6detail17trampoline_kernelINS0_14default_configENS1_35radix_sort_onesweep_config_selectorIslEEZZNS1_29radix_sort_onesweep_iterationIS3_Lb0EPsS7_N6thrust23THRUST_200600_302600_NS10device_ptrIlEESB_jNS0_19identity_decomposerENS1_16block_id_wrapperIjLb1EEEEE10hipError_tT1_PNSt15iterator_traitsISG_E10value_typeET2_T3_PNSH_ISM_E10value_typeET4_T5_PSR_SS_PNS1_23onesweep_lookback_stateEbbT6_jjT7_P12ihipStream_tbENKUlT_T0_SG_SL_E_clIS7_S7_SB_SB_EEDaSZ_S10_SG_SL_EUlSZ_E_NS1_11comp_targetILNS1_3genE2ELNS1_11target_archE906ELNS1_3gpuE6ELNS1_3repE0EEENS1_47radix_sort_onesweep_sort_config_static_selectorELNS0_4arch9wavefront6targetE1EEEvSG_,@function
_ZN7rocprim17ROCPRIM_400000_NS6detail17trampoline_kernelINS0_14default_configENS1_35radix_sort_onesweep_config_selectorIslEEZZNS1_29radix_sort_onesweep_iterationIS3_Lb0EPsS7_N6thrust23THRUST_200600_302600_NS10device_ptrIlEESB_jNS0_19identity_decomposerENS1_16block_id_wrapperIjLb1EEEEE10hipError_tT1_PNSt15iterator_traitsISG_E10value_typeET2_T3_PNSH_ISM_E10value_typeET4_T5_PSR_SS_PNS1_23onesweep_lookback_stateEbbT6_jjT7_P12ihipStream_tbENKUlT_T0_SG_SL_E_clIS7_S7_SB_SB_EEDaSZ_S10_SG_SL_EUlSZ_E_NS1_11comp_targetILNS1_3genE2ELNS1_11target_archE906ELNS1_3gpuE6ELNS1_3repE0EEENS1_47radix_sort_onesweep_sort_config_static_selectorELNS0_4arch9wavefront6targetE1EEEvSG_: ; @_ZN7rocprim17ROCPRIM_400000_NS6detail17trampoline_kernelINS0_14default_configENS1_35radix_sort_onesweep_config_selectorIslEEZZNS1_29radix_sort_onesweep_iterationIS3_Lb0EPsS7_N6thrust23THRUST_200600_302600_NS10device_ptrIlEESB_jNS0_19identity_decomposerENS1_16block_id_wrapperIjLb1EEEEE10hipError_tT1_PNSt15iterator_traitsISG_E10value_typeET2_T3_PNSH_ISM_E10value_typeET4_T5_PSR_SS_PNS1_23onesweep_lookback_stateEbbT6_jjT7_P12ihipStream_tbENKUlT_T0_SG_SL_E_clIS7_S7_SB_SB_EEDaSZ_S10_SG_SL_EUlSZ_E_NS1_11comp_targetILNS1_3genE2ELNS1_11target_archE906ELNS1_3gpuE6ELNS1_3repE0EEENS1_47radix_sort_onesweep_sort_config_static_selectorELNS0_4arch9wavefront6targetE1EEEvSG_
; %bb.0:
	.section	.rodata,"a",@progbits
	.p2align	6, 0x0
	.amdhsa_kernel _ZN7rocprim17ROCPRIM_400000_NS6detail17trampoline_kernelINS0_14default_configENS1_35radix_sort_onesweep_config_selectorIslEEZZNS1_29radix_sort_onesweep_iterationIS3_Lb0EPsS7_N6thrust23THRUST_200600_302600_NS10device_ptrIlEESB_jNS0_19identity_decomposerENS1_16block_id_wrapperIjLb1EEEEE10hipError_tT1_PNSt15iterator_traitsISG_E10value_typeET2_T3_PNSH_ISM_E10value_typeET4_T5_PSR_SS_PNS1_23onesweep_lookback_stateEbbT6_jjT7_P12ihipStream_tbENKUlT_T0_SG_SL_E_clIS7_S7_SB_SB_EEDaSZ_S10_SG_SL_EUlSZ_E_NS1_11comp_targetILNS1_3genE2ELNS1_11target_archE906ELNS1_3gpuE6ELNS1_3repE0EEENS1_47radix_sort_onesweep_sort_config_static_selectorELNS0_4arch9wavefront6targetE1EEEvSG_
		.amdhsa_group_segment_fixed_size 0
		.amdhsa_private_segment_fixed_size 0
		.amdhsa_kernarg_size 88
		.amdhsa_user_sgpr_count 6
		.amdhsa_user_sgpr_private_segment_buffer 1
		.amdhsa_user_sgpr_dispatch_ptr 0
		.amdhsa_user_sgpr_queue_ptr 0
		.amdhsa_user_sgpr_kernarg_segment_ptr 1
		.amdhsa_user_sgpr_dispatch_id 0
		.amdhsa_user_sgpr_flat_scratch_init 0
		.amdhsa_user_sgpr_kernarg_preload_length 0
		.amdhsa_user_sgpr_kernarg_preload_offset 0
		.amdhsa_user_sgpr_private_segment_size 0
		.amdhsa_uses_dynamic_stack 0
		.amdhsa_system_sgpr_private_segment_wavefront_offset 0
		.amdhsa_system_sgpr_workgroup_id_x 1
		.amdhsa_system_sgpr_workgroup_id_y 0
		.amdhsa_system_sgpr_workgroup_id_z 0
		.amdhsa_system_sgpr_workgroup_info 0
		.amdhsa_system_vgpr_workitem_id 0
		.amdhsa_next_free_vgpr 1
		.amdhsa_next_free_sgpr 0
		.amdhsa_accum_offset 4
		.amdhsa_reserve_vcc 0
		.amdhsa_reserve_flat_scratch 0
		.amdhsa_float_round_mode_32 0
		.amdhsa_float_round_mode_16_64 0
		.amdhsa_float_denorm_mode_32 3
		.amdhsa_float_denorm_mode_16_64 3
		.amdhsa_dx10_clamp 1
		.amdhsa_ieee_mode 1
		.amdhsa_fp16_overflow 0
		.amdhsa_tg_split 0
		.amdhsa_exception_fp_ieee_invalid_op 0
		.amdhsa_exception_fp_denorm_src 0
		.amdhsa_exception_fp_ieee_div_zero 0
		.amdhsa_exception_fp_ieee_overflow 0
		.amdhsa_exception_fp_ieee_underflow 0
		.amdhsa_exception_fp_ieee_inexact 0
		.amdhsa_exception_int_div_zero 0
	.end_amdhsa_kernel
	.section	.text._ZN7rocprim17ROCPRIM_400000_NS6detail17trampoline_kernelINS0_14default_configENS1_35radix_sort_onesweep_config_selectorIslEEZZNS1_29radix_sort_onesweep_iterationIS3_Lb0EPsS7_N6thrust23THRUST_200600_302600_NS10device_ptrIlEESB_jNS0_19identity_decomposerENS1_16block_id_wrapperIjLb1EEEEE10hipError_tT1_PNSt15iterator_traitsISG_E10value_typeET2_T3_PNSH_ISM_E10value_typeET4_T5_PSR_SS_PNS1_23onesweep_lookback_stateEbbT6_jjT7_P12ihipStream_tbENKUlT_T0_SG_SL_E_clIS7_S7_SB_SB_EEDaSZ_S10_SG_SL_EUlSZ_E_NS1_11comp_targetILNS1_3genE2ELNS1_11target_archE906ELNS1_3gpuE6ELNS1_3repE0EEENS1_47radix_sort_onesweep_sort_config_static_selectorELNS0_4arch9wavefront6targetE1EEEvSG_,"axG",@progbits,_ZN7rocprim17ROCPRIM_400000_NS6detail17trampoline_kernelINS0_14default_configENS1_35radix_sort_onesweep_config_selectorIslEEZZNS1_29radix_sort_onesweep_iterationIS3_Lb0EPsS7_N6thrust23THRUST_200600_302600_NS10device_ptrIlEESB_jNS0_19identity_decomposerENS1_16block_id_wrapperIjLb1EEEEE10hipError_tT1_PNSt15iterator_traitsISG_E10value_typeET2_T3_PNSH_ISM_E10value_typeET4_T5_PSR_SS_PNS1_23onesweep_lookback_stateEbbT6_jjT7_P12ihipStream_tbENKUlT_T0_SG_SL_E_clIS7_S7_SB_SB_EEDaSZ_S10_SG_SL_EUlSZ_E_NS1_11comp_targetILNS1_3genE2ELNS1_11target_archE906ELNS1_3gpuE6ELNS1_3repE0EEENS1_47radix_sort_onesweep_sort_config_static_selectorELNS0_4arch9wavefront6targetE1EEEvSG_,comdat
.Lfunc_end1401:
	.size	_ZN7rocprim17ROCPRIM_400000_NS6detail17trampoline_kernelINS0_14default_configENS1_35radix_sort_onesweep_config_selectorIslEEZZNS1_29radix_sort_onesweep_iterationIS3_Lb0EPsS7_N6thrust23THRUST_200600_302600_NS10device_ptrIlEESB_jNS0_19identity_decomposerENS1_16block_id_wrapperIjLb1EEEEE10hipError_tT1_PNSt15iterator_traitsISG_E10value_typeET2_T3_PNSH_ISM_E10value_typeET4_T5_PSR_SS_PNS1_23onesweep_lookback_stateEbbT6_jjT7_P12ihipStream_tbENKUlT_T0_SG_SL_E_clIS7_S7_SB_SB_EEDaSZ_S10_SG_SL_EUlSZ_E_NS1_11comp_targetILNS1_3genE2ELNS1_11target_archE906ELNS1_3gpuE6ELNS1_3repE0EEENS1_47radix_sort_onesweep_sort_config_static_selectorELNS0_4arch9wavefront6targetE1EEEvSG_, .Lfunc_end1401-_ZN7rocprim17ROCPRIM_400000_NS6detail17trampoline_kernelINS0_14default_configENS1_35radix_sort_onesweep_config_selectorIslEEZZNS1_29radix_sort_onesweep_iterationIS3_Lb0EPsS7_N6thrust23THRUST_200600_302600_NS10device_ptrIlEESB_jNS0_19identity_decomposerENS1_16block_id_wrapperIjLb1EEEEE10hipError_tT1_PNSt15iterator_traitsISG_E10value_typeET2_T3_PNSH_ISM_E10value_typeET4_T5_PSR_SS_PNS1_23onesweep_lookback_stateEbbT6_jjT7_P12ihipStream_tbENKUlT_T0_SG_SL_E_clIS7_S7_SB_SB_EEDaSZ_S10_SG_SL_EUlSZ_E_NS1_11comp_targetILNS1_3genE2ELNS1_11target_archE906ELNS1_3gpuE6ELNS1_3repE0EEENS1_47radix_sort_onesweep_sort_config_static_selectorELNS0_4arch9wavefront6targetE1EEEvSG_
                                        ; -- End function
	.section	.AMDGPU.csdata,"",@progbits
; Kernel info:
; codeLenInByte = 0
; NumSgprs: 4
; NumVgprs: 0
; NumAgprs: 0
; TotalNumVgprs: 0
; ScratchSize: 0
; MemoryBound: 0
; FloatMode: 240
; IeeeMode: 1
; LDSByteSize: 0 bytes/workgroup (compile time only)
; SGPRBlocks: 0
; VGPRBlocks: 0
; NumSGPRsForWavesPerEU: 4
; NumVGPRsForWavesPerEU: 1
; AccumOffset: 4
; Occupancy: 8
; WaveLimiterHint : 0
; COMPUTE_PGM_RSRC2:SCRATCH_EN: 0
; COMPUTE_PGM_RSRC2:USER_SGPR: 6
; COMPUTE_PGM_RSRC2:TRAP_HANDLER: 0
; COMPUTE_PGM_RSRC2:TGID_X_EN: 1
; COMPUTE_PGM_RSRC2:TGID_Y_EN: 0
; COMPUTE_PGM_RSRC2:TGID_Z_EN: 0
; COMPUTE_PGM_RSRC2:TIDIG_COMP_CNT: 0
; COMPUTE_PGM_RSRC3_GFX90A:ACCUM_OFFSET: 0
; COMPUTE_PGM_RSRC3_GFX90A:TG_SPLIT: 0
	.section	.text._ZN7rocprim17ROCPRIM_400000_NS6detail17trampoline_kernelINS0_14default_configENS1_35radix_sort_onesweep_config_selectorIslEEZZNS1_29radix_sort_onesweep_iterationIS3_Lb0EPsS7_N6thrust23THRUST_200600_302600_NS10device_ptrIlEESB_jNS0_19identity_decomposerENS1_16block_id_wrapperIjLb1EEEEE10hipError_tT1_PNSt15iterator_traitsISG_E10value_typeET2_T3_PNSH_ISM_E10value_typeET4_T5_PSR_SS_PNS1_23onesweep_lookback_stateEbbT6_jjT7_P12ihipStream_tbENKUlT_T0_SG_SL_E_clIS7_S7_SB_SB_EEDaSZ_S10_SG_SL_EUlSZ_E_NS1_11comp_targetILNS1_3genE4ELNS1_11target_archE910ELNS1_3gpuE8ELNS1_3repE0EEENS1_47radix_sort_onesweep_sort_config_static_selectorELNS0_4arch9wavefront6targetE1EEEvSG_,"axG",@progbits,_ZN7rocprim17ROCPRIM_400000_NS6detail17trampoline_kernelINS0_14default_configENS1_35radix_sort_onesweep_config_selectorIslEEZZNS1_29radix_sort_onesweep_iterationIS3_Lb0EPsS7_N6thrust23THRUST_200600_302600_NS10device_ptrIlEESB_jNS0_19identity_decomposerENS1_16block_id_wrapperIjLb1EEEEE10hipError_tT1_PNSt15iterator_traitsISG_E10value_typeET2_T3_PNSH_ISM_E10value_typeET4_T5_PSR_SS_PNS1_23onesweep_lookback_stateEbbT6_jjT7_P12ihipStream_tbENKUlT_T0_SG_SL_E_clIS7_S7_SB_SB_EEDaSZ_S10_SG_SL_EUlSZ_E_NS1_11comp_targetILNS1_3genE4ELNS1_11target_archE910ELNS1_3gpuE8ELNS1_3repE0EEENS1_47radix_sort_onesweep_sort_config_static_selectorELNS0_4arch9wavefront6targetE1EEEvSG_,comdat
	.protected	_ZN7rocprim17ROCPRIM_400000_NS6detail17trampoline_kernelINS0_14default_configENS1_35radix_sort_onesweep_config_selectorIslEEZZNS1_29radix_sort_onesweep_iterationIS3_Lb0EPsS7_N6thrust23THRUST_200600_302600_NS10device_ptrIlEESB_jNS0_19identity_decomposerENS1_16block_id_wrapperIjLb1EEEEE10hipError_tT1_PNSt15iterator_traitsISG_E10value_typeET2_T3_PNSH_ISM_E10value_typeET4_T5_PSR_SS_PNS1_23onesweep_lookback_stateEbbT6_jjT7_P12ihipStream_tbENKUlT_T0_SG_SL_E_clIS7_S7_SB_SB_EEDaSZ_S10_SG_SL_EUlSZ_E_NS1_11comp_targetILNS1_3genE4ELNS1_11target_archE910ELNS1_3gpuE8ELNS1_3repE0EEENS1_47radix_sort_onesweep_sort_config_static_selectorELNS0_4arch9wavefront6targetE1EEEvSG_ ; -- Begin function _ZN7rocprim17ROCPRIM_400000_NS6detail17trampoline_kernelINS0_14default_configENS1_35radix_sort_onesweep_config_selectorIslEEZZNS1_29radix_sort_onesweep_iterationIS3_Lb0EPsS7_N6thrust23THRUST_200600_302600_NS10device_ptrIlEESB_jNS0_19identity_decomposerENS1_16block_id_wrapperIjLb1EEEEE10hipError_tT1_PNSt15iterator_traitsISG_E10value_typeET2_T3_PNSH_ISM_E10value_typeET4_T5_PSR_SS_PNS1_23onesweep_lookback_stateEbbT6_jjT7_P12ihipStream_tbENKUlT_T0_SG_SL_E_clIS7_S7_SB_SB_EEDaSZ_S10_SG_SL_EUlSZ_E_NS1_11comp_targetILNS1_3genE4ELNS1_11target_archE910ELNS1_3gpuE8ELNS1_3repE0EEENS1_47radix_sort_onesweep_sort_config_static_selectorELNS0_4arch9wavefront6targetE1EEEvSG_
	.globl	_ZN7rocprim17ROCPRIM_400000_NS6detail17trampoline_kernelINS0_14default_configENS1_35radix_sort_onesweep_config_selectorIslEEZZNS1_29radix_sort_onesweep_iterationIS3_Lb0EPsS7_N6thrust23THRUST_200600_302600_NS10device_ptrIlEESB_jNS0_19identity_decomposerENS1_16block_id_wrapperIjLb1EEEEE10hipError_tT1_PNSt15iterator_traitsISG_E10value_typeET2_T3_PNSH_ISM_E10value_typeET4_T5_PSR_SS_PNS1_23onesweep_lookback_stateEbbT6_jjT7_P12ihipStream_tbENKUlT_T0_SG_SL_E_clIS7_S7_SB_SB_EEDaSZ_S10_SG_SL_EUlSZ_E_NS1_11comp_targetILNS1_3genE4ELNS1_11target_archE910ELNS1_3gpuE8ELNS1_3repE0EEENS1_47radix_sort_onesweep_sort_config_static_selectorELNS0_4arch9wavefront6targetE1EEEvSG_
	.p2align	8
	.type	_ZN7rocprim17ROCPRIM_400000_NS6detail17trampoline_kernelINS0_14default_configENS1_35radix_sort_onesweep_config_selectorIslEEZZNS1_29radix_sort_onesweep_iterationIS3_Lb0EPsS7_N6thrust23THRUST_200600_302600_NS10device_ptrIlEESB_jNS0_19identity_decomposerENS1_16block_id_wrapperIjLb1EEEEE10hipError_tT1_PNSt15iterator_traitsISG_E10value_typeET2_T3_PNSH_ISM_E10value_typeET4_T5_PSR_SS_PNS1_23onesweep_lookback_stateEbbT6_jjT7_P12ihipStream_tbENKUlT_T0_SG_SL_E_clIS7_S7_SB_SB_EEDaSZ_S10_SG_SL_EUlSZ_E_NS1_11comp_targetILNS1_3genE4ELNS1_11target_archE910ELNS1_3gpuE8ELNS1_3repE0EEENS1_47radix_sort_onesweep_sort_config_static_selectorELNS0_4arch9wavefront6targetE1EEEvSG_,@function
_ZN7rocprim17ROCPRIM_400000_NS6detail17trampoline_kernelINS0_14default_configENS1_35radix_sort_onesweep_config_selectorIslEEZZNS1_29radix_sort_onesweep_iterationIS3_Lb0EPsS7_N6thrust23THRUST_200600_302600_NS10device_ptrIlEESB_jNS0_19identity_decomposerENS1_16block_id_wrapperIjLb1EEEEE10hipError_tT1_PNSt15iterator_traitsISG_E10value_typeET2_T3_PNSH_ISM_E10value_typeET4_T5_PSR_SS_PNS1_23onesweep_lookback_stateEbbT6_jjT7_P12ihipStream_tbENKUlT_T0_SG_SL_E_clIS7_S7_SB_SB_EEDaSZ_S10_SG_SL_EUlSZ_E_NS1_11comp_targetILNS1_3genE4ELNS1_11target_archE910ELNS1_3gpuE8ELNS1_3repE0EEENS1_47radix_sort_onesweep_sort_config_static_selectorELNS0_4arch9wavefront6targetE1EEEvSG_: ; @_ZN7rocprim17ROCPRIM_400000_NS6detail17trampoline_kernelINS0_14default_configENS1_35radix_sort_onesweep_config_selectorIslEEZZNS1_29radix_sort_onesweep_iterationIS3_Lb0EPsS7_N6thrust23THRUST_200600_302600_NS10device_ptrIlEESB_jNS0_19identity_decomposerENS1_16block_id_wrapperIjLb1EEEEE10hipError_tT1_PNSt15iterator_traitsISG_E10value_typeET2_T3_PNSH_ISM_E10value_typeET4_T5_PSR_SS_PNS1_23onesweep_lookback_stateEbbT6_jjT7_P12ihipStream_tbENKUlT_T0_SG_SL_E_clIS7_S7_SB_SB_EEDaSZ_S10_SG_SL_EUlSZ_E_NS1_11comp_targetILNS1_3genE4ELNS1_11target_archE910ELNS1_3gpuE8ELNS1_3repE0EEENS1_47radix_sort_onesweep_sort_config_static_selectorELNS0_4arch9wavefront6targetE1EEEvSG_
; %bb.0:
	s_load_dwordx4 s[44:47], s[4:5], 0x28
	s_load_dwordx2 s[30:31], s[4:5], 0x38
	s_load_dwordx4 s[48:51], s[4:5], 0x44
	v_and_b32_e32 v10, 0x3ff, v0
	v_cmp_eq_u32_e64 s[0:1], 0, v10
	s_and_saveexec_b64 s[2:3], s[0:1]
	s_cbranch_execz .LBB1402_4
; %bb.1:
	s_mov_b64 s[10:11], exec
	v_mbcnt_lo_u32_b32 v1, s10, 0
	v_mbcnt_hi_u32_b32 v1, s11, v1
	v_cmp_eq_u32_e32 vcc, 0, v1
                                        ; implicit-def: $vgpr2
	s_and_saveexec_b64 s[8:9], vcc
	s_cbranch_execz .LBB1402_3
; %bb.2:
	s_load_dwordx2 s[12:13], s[4:5], 0x50
	s_bcnt1_i32_b64 s7, s[10:11]
	v_mov_b32_e32 v2, 0
	v_mov_b32_e32 v3, s7
	s_waitcnt lgkmcnt(0)
	global_atomic_add v2, v2, v3, s[12:13] glc
.LBB1402_3:
	s_or_b64 exec, exec, s[8:9]
	s_waitcnt vmcnt(0)
	v_readfirstlane_b32 s7, v2
	v_add_u32_e32 v1, s7, v1
	v_mov_b32_e32 v2, 0
	ds_write_b32 v2, v1 offset:20544
.LBB1402_4:
	s_or_b64 exec, exec, s[2:3]
	v_mov_b32_e32 v1, 0
	s_load_dwordx8 s[36:43], s[4:5], 0x0
	s_load_dword s2, s[4:5], 0x20
	s_waitcnt lgkmcnt(0)
	s_barrier
	ds_read_b32 v1, v1 offset:20544
	v_mbcnt_lo_u32_b32 v30, -1, 0
	s_waitcnt lgkmcnt(0)
	s_barrier
	v_cmp_le_u32_e32 vcc, s50, v1
	v_readfirstlane_b32 s33, v1
	v_lshlrev_b32_e32 v1, 3, v10
	s_cbranch_vccz .LBB1402_88
; %bb.5:
	s_lshl_b32 s3, s50, 13
	s_lshl_b32 s34, s33, 13
	s_mov_b32 s35, 0
	s_sub_i32 s7, s2, s3
	s_lshl_b64 s[2:3], s[34:35], 1
	v_mbcnt_hi_u32_b32 v13, -1, v30
	s_add_u32 s2, s36, s2
	v_and_b32_e32 v12, 63, v13
	s_addc_u32 s3, s37, s3
	v_lshlrev_b32_e32 v2, 1, v12
	v_and_b32_e32 v11, 0x1e00, v1
	v_mov_b32_e32 v3, s3
	v_add_co_u32_e32 v2, vcc, s2, v2
	v_addc_co_u32_e32 v3, vcc, 0, v3, vcc
	v_lshlrev_b32_e32 v4, 1, v11
	s_mov_b32 s8, 0x7fff7fff
	v_add_co_u32_e32 v6, vcc, v2, v4
	s_mov_b32 s9, s8
	v_addc_co_u32_e32 v7, vcc, 0, v3, vcc
	v_or_b32_e32 v8, v12, v11
	s_mov_b32 s10, s8
	s_mov_b32 s11, s8
	v_pk_mov_b32 v[2:3], s[8:9], s[8:9] op_sel:[0,1]
	v_cmp_gt_u32_e32 vcc, s7, v8
	v_pk_mov_b32 v[4:5], s[10:11], s[10:11] op_sel:[0,1]
	s_and_saveexec_b64 s[2:3], vcc
	s_cbranch_execz .LBB1402_7
; %bb.6:
	global_load_ushort v2, v[6:7], off
	s_movk_i32 s8, 0x7fff
	v_mov_b32_e32 v5, 0x5040100
	v_mov_b32_e32 v3, 0x7fff7fff
	;; [unrolled: 1-line block ×3, first 2 shown]
	s_waitcnt vmcnt(0)
	v_perm_b32 v2, s8, v2, v5
	v_mov_b32_e32 v5, v3
.LBB1402_7:
	s_or_b64 exec, exec, s[2:3]
	v_or_b32_e32 v9, 64, v8
	v_cmp_gt_u32_e64 s[2:3], s7, v9
	s_and_saveexec_b64 s[8:9], s[2:3]
	s_cbranch_execz .LBB1402_9
; %bb.8:
	global_load_ushort v9, v[6:7], off offset:128
	s_mov_b32 s10, 0x5040100
	s_waitcnt vmcnt(0)
	v_perm_b32 v2, v9, v2, s10
.LBB1402_9:
	s_or_b64 exec, exec, s[8:9]
	v_or_b32_e32 v9, 0x80, v8
	v_cmp_gt_u32_e64 s[26:27], s7, v9
	s_and_saveexec_b64 s[8:9], s[26:27]
	s_cbranch_execz .LBB1402_11
; %bb.10:
	global_load_ushort v9, v[6:7], off offset:256
	s_mov_b32 s10, 0xffff
	s_waitcnt vmcnt(0)
	v_bfi_b32 v3, s10, v9, v3
.LBB1402_11:
	s_or_b64 exec, exec, s[8:9]
	v_or_b32_e32 v9, 0xc0, v8
	v_cmp_gt_u32_e64 s[8:9], s7, v9
	s_and_saveexec_b64 s[10:11], s[8:9]
	s_cbranch_execz .LBB1402_13
; %bb.12:
	global_load_ushort v9, v[6:7], off offset:384
	s_mov_b32 s12, 0x5040100
	s_waitcnt vmcnt(0)
	v_perm_b32 v3, v9, v3, s12
.LBB1402_13:
	s_or_b64 exec, exec, s[10:11]
	v_or_b32_e32 v9, 0x100, v8
	v_cmp_gt_u32_e64 s[10:11], s7, v9
	s_and_saveexec_b64 s[12:13], s[10:11]
	s_cbranch_execz .LBB1402_15
; %bb.14:
	global_load_ushort v9, v[6:7], off offset:512
	s_mov_b32 s14, 0xffff
	s_waitcnt vmcnt(0)
	v_bfi_b32 v4, s14, v9, v4
.LBB1402_15:
	;; [unrolled: 22-line block ×3, first 2 shown]
	s_or_b64 exec, exec, s[16:17]
	v_or_b32_e32 v8, 0x1c0, v8
	v_cmp_gt_u32_e64 s[16:17], s7, v8
	s_and_saveexec_b64 s[18:19], s[16:17]
	s_cbranch_execz .LBB1402_21
; %bb.20:
	global_load_ushort v6, v[6:7], off offset:896
	s_mov_b32 s20, 0x5040100
	s_waitcnt vmcnt(0)
	v_perm_b32 v5, v6, v5, s20
.LBB1402_21:
	s_or_b64 exec, exec, s[18:19]
	s_load_dword s18, s[4:5], 0x64
	s_load_dword s52, s[4:5], 0x58
	s_add_u32 s19, s4, 0x58
	s_addc_u32 s20, s5, 0
	v_mov_b32_e32 v6, 0
	s_waitcnt lgkmcnt(0)
	s_lshr_b32 s21, s18, 16
	s_cmp_lt_u32 s6, s52
	s_cselect_b32 s18, 12, 18
	s_add_u32 s18, s19, s18
	s_addc_u32 s19, s20, 0
	global_load_ushort v8, v6, s[18:19]
	v_xor_b32_e32 v14, 0xffff8000, v2
	s_lshl_b32 s18, -1, s49
	v_lshrrev_b32_sdwa v16, s48, v14 dst_sel:DWORD dst_unused:UNUSED_PAD src0_sel:DWORD src1_sel:WORD_0
	s_not_b32 s53, s18
	v_and_b32_e32 v16, s53, v16
	v_and_b32_e32 v18, 1, v16
	v_bfe_u32 v7, v0, 10, 10
	v_bfe_u32 v9, v0, 20, 10
	v_add_co_u32_e64 v19, s[18:19], -1, v18
	v_mad_u32_u24 v9, v9, s21, v7
	v_lshlrev_b32_e32 v7, 30, v16
	v_addc_co_u32_e64 v20, s[18:19], 0, -1, s[18:19]
	v_cmp_ne_u32_e64 s[18:19], 0, v18
	v_cmp_gt_i64_e64 s[20:21], 0, v[6:7]
	v_not_b32_e32 v18, v7
	v_lshlrev_b32_e32 v7, 29, v16
	v_xor_b32_e32 v20, s19, v20
	v_xor_b32_e32 v19, s18, v19
	v_ashrrev_i32_e32 v18, 31, v18
	v_cmp_gt_i64_e64 s[18:19], 0, v[6:7]
	v_not_b32_e32 v21, v7
	v_lshlrev_b32_e32 v7, 28, v16
	v_and_b32_e32 v20, exec_hi, v20
	v_and_b32_e32 v19, exec_lo, v19
	v_xor_b32_e32 v22, s21, v18
	v_xor_b32_e32 v18, s20, v18
	v_ashrrev_i32_e32 v21, 31, v21
	v_cmp_gt_i64_e64 s[20:21], 0, v[6:7]
	v_not_b32_e32 v23, v7
	v_lshlrev_b32_e32 v7, 27, v16
	v_and_b32_e32 v20, v20, v22
	v_and_b32_e32 v18, v19, v18
	v_xor_b32_e32 v19, s19, v21
	v_xor_b32_e32 v21, s18, v21
	v_ashrrev_i32_e32 v22, 31, v23
	v_cmp_gt_i64_e64 s[18:19], 0, v[6:7]
	v_not_b32_e32 v23, v7
	v_lshlrev_b32_e32 v7, 26, v16
	v_and_b32_e32 v19, v20, v19
	v_and_b32_e32 v18, v18, v21
	;; [unrolled: 8-line block ×3, first 2 shown]
	v_xor_b32_e32 v20, s19, v22
	v_xor_b32_e32 v21, s18, v22
	v_ashrrev_i32_e32 v22, 31, v23
	v_cmp_gt_i64_e64 s[18:19], 0, v[6:7]
	v_not_b32_e32 v23, v7
	v_lshlrev_b32_e32 v7, 24, v16
	v_mul_u32_u24_e32 v17, 17, v16
	v_and_b32_e32 v16, v19, v20
	v_and_b32_e32 v18, v18, v21
	v_xor_b32_e32 v19, s21, v22
	v_xor_b32_e32 v20, s20, v22
	v_ashrrev_i32_e32 v21, 31, v23
	v_cmp_gt_i64_e64 s[20:21], 0, v[6:7]
	v_not_b32_e32 v7, v7
	v_and_b32_e32 v16, v16, v19
	v_and_b32_e32 v18, v18, v20
	v_xor_b32_e32 v19, s19, v21
	v_xor_b32_e32 v20, s18, v21
	v_ashrrev_i32_e32 v7, 31, v7
	v_and_b32_e32 v16, v16, v19
	v_and_b32_e32 v19, v18, v20
	v_mul_u32_u24_e32 v15, 5, v10
	s_movk_i32 s22, 0x8000
	v_lshlrev_b32_e32 v15, 2, v15
	ds_write2_b32 v15, v6, v6 offset0:16 offset1:17
	ds_write2_b32 v15, v6, v6 offset0:18 offset1:19
	ds_write_b32 v15, v6 offset:80
	s_waitcnt lgkmcnt(0)
	s_barrier
	s_waitcnt vmcnt(0)
	v_mad_u64_u32 v[8:9], s[18:19], v9, v8, v[10:11]
	v_lshrrev_b32_e32 v22, 6, v8
	v_xor_b32_e32 v8, s21, v7
	v_xor_b32_e32 v7, s20, v7
	v_and_b32_e32 v9, v16, v8
	v_and_b32_e32 v8, v19, v7
	v_mbcnt_lo_u32_b32 v7, v8, 0
	v_mbcnt_hi_u32_b32 v16, v9, v7
	v_cmp_eq_u32_e64 s[18:19], 0, v16
	v_cmp_ne_u64_e64 s[20:21], 0, v[8:9]
	v_add_lshl_u32 v18, v22, v17, 2
	s_and_b64 s[20:21], s[20:21], s[18:19]
	; wave barrier
	s_and_saveexec_b64 s[18:19], s[20:21]
	s_cbranch_execz .LBB1402_23
; %bb.22:
	v_bcnt_u32_b32 v7, v8, 0
	v_bcnt_u32_b32 v7, v9, v7
	ds_write_b32 v18, v7 offset:64
.LBB1402_23:
	s_or_b64 exec, exec, s[18:19]
	v_xor_b32_sdwa v17, v2, s22 dst_sel:DWORD dst_unused:UNUSED_PAD src0_sel:WORD_1 src1_sel:DWORD
	v_lshrrev_b32_sdwa v2, s48, v17 dst_sel:DWORD dst_unused:UNUSED_PAD src0_sel:DWORD src1_sel:WORD_0
	v_and_b32_e32 v2, s53, v2
	v_mul_u32_u24_e32 v7, 17, v2
	v_add_lshl_u32 v19, v22, v7, 2
	v_and_b32_e32 v7, 1, v2
	v_add_co_u32_e64 v8, s[18:19], -1, v7
	v_addc_co_u32_e64 v9, s[18:19], 0, -1, s[18:19]
	v_cmp_ne_u32_e64 s[18:19], 0, v7
	v_xor_b32_e32 v7, s19, v9
	v_and_b32_e32 v9, exec_hi, v7
	v_lshlrev_b32_e32 v7, 30, v2
	v_xor_b32_e32 v8, s18, v8
	v_cmp_gt_i64_e64 s[18:19], 0, v[6:7]
	v_not_b32_e32 v7, v7
	v_ashrrev_i32_e32 v7, 31, v7
	v_and_b32_e32 v8, exec_lo, v8
	v_xor_b32_e32 v20, s19, v7
	v_xor_b32_e32 v7, s18, v7
	v_and_b32_e32 v8, v8, v7
	v_lshlrev_b32_e32 v7, 29, v2
	v_cmp_gt_i64_e64 s[18:19], 0, v[6:7]
	v_not_b32_e32 v7, v7
	v_ashrrev_i32_e32 v7, 31, v7
	v_and_b32_e32 v9, v9, v20
	v_xor_b32_e32 v20, s19, v7
	v_xor_b32_e32 v7, s18, v7
	v_and_b32_e32 v8, v8, v7
	v_lshlrev_b32_e32 v7, 28, v2
	v_cmp_gt_i64_e64 s[18:19], 0, v[6:7]
	v_not_b32_e32 v7, v7
	v_ashrrev_i32_e32 v7, 31, v7
	v_and_b32_e32 v9, v9, v20
	;; [unrolled: 8-line block ×5, first 2 shown]
	v_xor_b32_e32 v20, s19, v7
	v_xor_b32_e32 v7, s18, v7
	v_and_b32_e32 v8, v8, v7
	v_lshlrev_b32_e32 v7, 24, v2
	v_not_b32_e32 v2, v7
	v_cmp_gt_i64_e64 s[18:19], 0, v[6:7]
	v_ashrrev_i32_e32 v2, 31, v2
	v_and_b32_e32 v9, v9, v20
	v_xor_b32_e32 v6, s19, v2
	v_xor_b32_e32 v2, s18, v2
	; wave barrier
	ds_read_b32 v31, v19 offset:64
	v_and_b32_e32 v7, v9, v6
	v_and_b32_e32 v6, v8, v2
	v_mbcnt_lo_u32_b32 v2, v6, 0
	v_mbcnt_hi_u32_b32 v32, v7, v2
	v_cmp_eq_u32_e64 s[18:19], 0, v32
	v_cmp_ne_u64_e64 s[20:21], 0, v[6:7]
	s_and_b64 s[20:21], s[20:21], s[18:19]
	; wave barrier
	s_and_saveexec_b64 s[18:19], s[20:21]
	s_cbranch_execz .LBB1402_25
; %bb.24:
	v_bcnt_u32_b32 v2, v6, 0
	v_bcnt_u32_b32 v2, v7, v2
	s_waitcnt lgkmcnt(0)
	v_add_u32_e32 v2, v31, v2
	ds_write_b32 v19, v2 offset:64
.LBB1402_25:
	s_or_b64 exec, exec, s[18:19]
	v_xor_b32_e32 v20, 0xffff8000, v3
	v_lshrrev_b32_sdwa v2, s48, v20 dst_sel:DWORD dst_unused:UNUSED_PAD src0_sel:DWORD src1_sel:WORD_0
	v_and_b32_e32 v2, s53, v2
	v_and_b32_e32 v7, 1, v2
	v_add_co_u32_e64 v8, s[18:19], -1, v7
	v_addc_co_u32_e64 v9, s[18:19], 0, -1, s[18:19]
	v_cmp_ne_u32_e64 s[18:19], 0, v7
	v_mul_u32_u24_e32 v6, 17, v2
	v_xor_b32_e32 v7, s19, v9
	v_add_lshl_u32 v21, v22, v6, 2
	v_mov_b32_e32 v6, 0
	v_and_b32_e32 v9, exec_hi, v7
	v_lshlrev_b32_e32 v7, 30, v2
	v_xor_b32_e32 v8, s18, v8
	v_cmp_gt_i64_e64 s[18:19], 0, v[6:7]
	v_not_b32_e32 v7, v7
	v_ashrrev_i32_e32 v7, 31, v7
	v_and_b32_e32 v8, exec_lo, v8
	v_xor_b32_e32 v23, s19, v7
	v_xor_b32_e32 v7, s18, v7
	v_and_b32_e32 v8, v8, v7
	v_lshlrev_b32_e32 v7, 29, v2
	v_cmp_gt_i64_e64 s[18:19], 0, v[6:7]
	v_not_b32_e32 v7, v7
	v_ashrrev_i32_e32 v7, 31, v7
	v_and_b32_e32 v9, v9, v23
	v_xor_b32_e32 v23, s19, v7
	v_xor_b32_e32 v7, s18, v7
	v_and_b32_e32 v8, v8, v7
	v_lshlrev_b32_e32 v7, 28, v2
	v_cmp_gt_i64_e64 s[18:19], 0, v[6:7]
	v_not_b32_e32 v7, v7
	v_ashrrev_i32_e32 v7, 31, v7
	v_and_b32_e32 v9, v9, v23
	;; [unrolled: 8-line block ×5, first 2 shown]
	v_xor_b32_e32 v23, s19, v7
	v_xor_b32_e32 v7, s18, v7
	v_and_b32_e32 v8, v8, v7
	v_lshlrev_b32_e32 v7, 24, v2
	v_not_b32_e32 v2, v7
	v_cmp_gt_i64_e64 s[18:19], 0, v[6:7]
	v_ashrrev_i32_e32 v2, 31, v2
	v_xor_b32_e32 v7, s19, v2
	v_xor_b32_e32 v2, s18, v2
	; wave barrier
	ds_read_b32 v33, v21 offset:64
	v_and_b32_e32 v9, v9, v23
	v_and_b32_e32 v8, v8, v2
	;; [unrolled: 1-line block ×3, first 2 shown]
	v_mbcnt_lo_u32_b32 v2, v8, 0
	v_mbcnt_hi_u32_b32 v34, v9, v2
	v_cmp_eq_u32_e64 s[18:19], 0, v34
	v_cmp_ne_u64_e64 s[20:21], 0, v[8:9]
	s_and_b64 s[20:21], s[20:21], s[18:19]
	; wave barrier
	s_and_saveexec_b64 s[18:19], s[20:21]
	s_cbranch_execz .LBB1402_27
; %bb.26:
	v_bcnt_u32_b32 v2, v8, 0
	v_bcnt_u32_b32 v2, v9, v2
	s_waitcnt lgkmcnt(0)
	v_add_u32_e32 v2, v33, v2
	ds_write_b32 v21, v2 offset:64
.LBB1402_27:
	s_or_b64 exec, exec, s[18:19]
	v_xor_b32_sdwa v8, v3, s22 dst_sel:DWORD dst_unused:UNUSED_PAD src0_sel:WORD_1 src1_sel:DWORD
	v_lshrrev_b32_sdwa v2, s48, v8 dst_sel:DWORD dst_unused:UNUSED_PAD src0_sel:DWORD src1_sel:WORD_0
	v_and_b32_e32 v2, s53, v2
	v_mul_u32_u24_e32 v3, 17, v2
	v_add_lshl_u32 v9, v22, v3, 2
	v_and_b32_e32 v3, 1, v2
	v_add_co_u32_e64 v7, s[18:19], -1, v3
	v_addc_co_u32_e64 v23, s[18:19], 0, -1, s[18:19]
	v_cmp_ne_u32_e64 s[18:19], 0, v3
	v_xor_b32_e32 v7, s18, v7
	v_xor_b32_e32 v3, s19, v23
	v_and_b32_e32 v23, exec_lo, v7
	v_lshlrev_b32_e32 v7, 30, v2
	v_cmp_gt_i64_e64 s[18:19], 0, v[6:7]
	v_not_b32_e32 v7, v7
	v_ashrrev_i32_e32 v7, 31, v7
	v_xor_b32_e32 v24, s19, v7
	v_xor_b32_e32 v7, s18, v7
	v_and_b32_e32 v23, v23, v7
	v_lshlrev_b32_e32 v7, 29, v2
	v_cmp_gt_i64_e64 s[18:19], 0, v[6:7]
	v_not_b32_e32 v7, v7
	v_and_b32_e32 v3, exec_hi, v3
	v_ashrrev_i32_e32 v7, 31, v7
	v_and_b32_e32 v3, v3, v24
	v_xor_b32_e32 v24, s19, v7
	v_xor_b32_e32 v7, s18, v7
	v_and_b32_e32 v23, v23, v7
	v_lshlrev_b32_e32 v7, 28, v2
	v_cmp_gt_i64_e64 s[18:19], 0, v[6:7]
	v_not_b32_e32 v7, v7
	v_ashrrev_i32_e32 v7, 31, v7
	v_and_b32_e32 v3, v3, v24
	v_xor_b32_e32 v24, s19, v7
	v_xor_b32_e32 v7, s18, v7
	v_and_b32_e32 v23, v23, v7
	v_lshlrev_b32_e32 v7, 27, v2
	v_cmp_gt_i64_e64 s[18:19], 0, v[6:7]
	v_not_b32_e32 v7, v7
	;; [unrolled: 8-line block ×4, first 2 shown]
	v_ashrrev_i32_e32 v7, 31, v7
	v_and_b32_e32 v3, v3, v24
	v_xor_b32_e32 v24, s19, v7
	v_xor_b32_e32 v7, s18, v7
	v_and_b32_e32 v23, v23, v7
	v_lshlrev_b32_e32 v7, 24, v2
	v_not_b32_e32 v2, v7
	v_cmp_gt_i64_e64 s[18:19], 0, v[6:7]
	v_ashrrev_i32_e32 v2, 31, v2
	v_xor_b32_e32 v6, s19, v2
	v_xor_b32_e32 v2, s18, v2
	; wave barrier
	ds_read_b32 v35, v9 offset:64
	v_and_b32_e32 v3, v3, v24
	v_and_b32_e32 v2, v23, v2
	;; [unrolled: 1-line block ×3, first 2 shown]
	v_mbcnt_lo_u32_b32 v6, v2, 0
	v_mbcnt_hi_u32_b32 v36, v3, v6
	v_cmp_eq_u32_e64 s[18:19], 0, v36
	v_cmp_ne_u64_e64 s[20:21], 0, v[2:3]
	s_and_b64 s[20:21], s[20:21], s[18:19]
	; wave barrier
	s_and_saveexec_b64 s[18:19], s[20:21]
	s_cbranch_execz .LBB1402_29
; %bb.28:
	v_bcnt_u32_b32 v2, v2, 0
	v_bcnt_u32_b32 v2, v3, v2
	s_waitcnt lgkmcnt(0)
	v_add_u32_e32 v2, v35, v2
	ds_write_b32 v9, v2 offset:64
.LBB1402_29:
	s_or_b64 exec, exec, s[18:19]
	v_xor_b32_e32 v23, 0xffff8000, v4
	v_lshrrev_b32_sdwa v2, s48, v23 dst_sel:DWORD dst_unused:UNUSED_PAD src0_sel:DWORD src1_sel:WORD_0
	v_and_b32_e32 v6, s53, v2
	v_and_b32_e32 v3, 1, v6
	v_add_co_u32_e64 v7, s[18:19], -1, v3
	v_addc_co_u32_e64 v25, s[18:19], 0, -1, s[18:19]
	v_cmp_ne_u32_e64 s[18:19], 0, v3
	v_mul_u32_u24_e32 v2, 17, v6
	v_xor_b32_e32 v3, s19, v25
	v_add_lshl_u32 v24, v22, v2, 2
	v_mov_b32_e32 v2, 0
	v_and_b32_e32 v25, exec_hi, v3
	v_lshlrev_b32_e32 v3, 30, v6
	v_xor_b32_e32 v7, s18, v7
	v_cmp_gt_i64_e64 s[18:19], 0, v[2:3]
	v_not_b32_e32 v3, v3
	v_ashrrev_i32_e32 v3, 31, v3
	v_and_b32_e32 v7, exec_lo, v7
	v_xor_b32_e32 v26, s19, v3
	v_xor_b32_e32 v3, s18, v3
	v_and_b32_e32 v7, v7, v3
	v_lshlrev_b32_e32 v3, 29, v6
	v_cmp_gt_i64_e64 s[18:19], 0, v[2:3]
	v_not_b32_e32 v3, v3
	v_ashrrev_i32_e32 v3, 31, v3
	v_and_b32_e32 v25, v25, v26
	v_xor_b32_e32 v26, s19, v3
	v_xor_b32_e32 v3, s18, v3
	v_and_b32_e32 v7, v7, v3
	v_lshlrev_b32_e32 v3, 28, v6
	v_cmp_gt_i64_e64 s[18:19], 0, v[2:3]
	v_not_b32_e32 v3, v3
	v_ashrrev_i32_e32 v3, 31, v3
	v_and_b32_e32 v25, v25, v26
	;; [unrolled: 8-line block ×5, first 2 shown]
	v_xor_b32_e32 v26, s19, v3
	v_xor_b32_e32 v3, s18, v3
	v_and_b32_e32 v25, v25, v26
	v_and_b32_e32 v26, v7, v3
	v_lshlrev_b32_e32 v3, 24, v6
	v_cmp_gt_i64_e64 s[18:19], 0, v[2:3]
	v_not_b32_e32 v3, v3
	v_ashrrev_i32_e32 v3, 31, v3
	v_xor_b32_e32 v6, s19, v3
	v_xor_b32_e32 v3, s18, v3
	; wave barrier
	ds_read_b32 v37, v24 offset:64
	v_and_b32_e32 v7, v25, v6
	v_and_b32_e32 v6, v26, v3
	v_mbcnt_lo_u32_b32 v3, v6, 0
	v_mbcnt_hi_u32_b32 v38, v7, v3
	v_cmp_eq_u32_e64 s[18:19], 0, v38
	v_cmp_ne_u64_e64 s[20:21], 0, v[6:7]
	s_and_b64 s[20:21], s[20:21], s[18:19]
	; wave barrier
	s_and_saveexec_b64 s[18:19], s[20:21]
	s_cbranch_execz .LBB1402_31
; %bb.30:
	v_bcnt_u32_b32 v3, v6, 0
	v_bcnt_u32_b32 v3, v7, v3
	s_waitcnt lgkmcnt(0)
	v_add_u32_e32 v3, v37, v3
	ds_write_b32 v24, v3 offset:64
.LBB1402_31:
	s_or_b64 exec, exec, s[18:19]
	v_xor_b32_sdwa v25, v4, s22 dst_sel:DWORD dst_unused:UNUSED_PAD src0_sel:WORD_1 src1_sel:DWORD
	v_lshrrev_b32_sdwa v3, s48, v25 dst_sel:DWORD dst_unused:UNUSED_PAD src0_sel:DWORD src1_sel:WORD_0
	v_and_b32_e32 v4, s53, v3
	v_mul_u32_u24_e32 v3, 17, v4
	v_add_lshl_u32 v26, v22, v3, 2
	v_and_b32_e32 v3, 1, v4
	v_add_co_u32_e64 v6, s[18:19], -1, v3
	v_addc_co_u32_e64 v7, s[18:19], 0, -1, s[18:19]
	v_cmp_ne_u32_e64 s[18:19], 0, v3
	v_xor_b32_e32 v3, s19, v7
	v_and_b32_e32 v7, exec_hi, v3
	v_lshlrev_b32_e32 v3, 30, v4
	v_xor_b32_e32 v6, s18, v6
	v_cmp_gt_i64_e64 s[18:19], 0, v[2:3]
	v_not_b32_e32 v3, v3
	v_ashrrev_i32_e32 v3, 31, v3
	v_and_b32_e32 v6, exec_lo, v6
	v_xor_b32_e32 v27, s19, v3
	v_xor_b32_e32 v3, s18, v3
	v_and_b32_e32 v6, v6, v3
	v_lshlrev_b32_e32 v3, 29, v4
	v_cmp_gt_i64_e64 s[18:19], 0, v[2:3]
	v_not_b32_e32 v3, v3
	v_ashrrev_i32_e32 v3, 31, v3
	v_and_b32_e32 v7, v7, v27
	v_xor_b32_e32 v27, s19, v3
	v_xor_b32_e32 v3, s18, v3
	v_and_b32_e32 v6, v6, v3
	v_lshlrev_b32_e32 v3, 28, v4
	v_cmp_gt_i64_e64 s[18:19], 0, v[2:3]
	v_not_b32_e32 v3, v3
	v_ashrrev_i32_e32 v3, 31, v3
	v_and_b32_e32 v7, v7, v27
	;; [unrolled: 8-line block ×5, first 2 shown]
	v_xor_b32_e32 v27, s19, v3
	v_xor_b32_e32 v3, s18, v3
	v_and_b32_e32 v6, v6, v3
	v_lshlrev_b32_e32 v3, 24, v4
	v_cmp_gt_i64_e64 s[18:19], 0, v[2:3]
	v_not_b32_e32 v2, v3
	v_ashrrev_i32_e32 v2, 31, v2
	v_xor_b32_e32 v3, s19, v2
	v_xor_b32_e32 v2, s18, v2
	; wave barrier
	ds_read_b32 v39, v26 offset:64
	v_and_b32_e32 v7, v7, v27
	v_and_b32_e32 v2, v6, v2
	v_and_b32_e32 v3, v7, v3
	v_mbcnt_lo_u32_b32 v4, v2, 0
	v_mbcnt_hi_u32_b32 v40, v3, v4
	v_cmp_eq_u32_e64 s[18:19], 0, v40
	v_cmp_ne_u64_e64 s[20:21], 0, v[2:3]
	s_and_b64 s[20:21], s[20:21], s[18:19]
	; wave barrier
	s_and_saveexec_b64 s[18:19], s[20:21]
	s_cbranch_execz .LBB1402_33
; %bb.32:
	v_bcnt_u32_b32 v2, v2, 0
	v_bcnt_u32_b32 v2, v3, v2
	s_waitcnt lgkmcnt(0)
	v_add_u32_e32 v2, v39, v2
	ds_write_b32 v26, v2 offset:64
.LBB1402_33:
	s_or_b64 exec, exec, s[18:19]
	v_xor_b32_e32 v27, 0xffff8000, v5
	v_lshrrev_b32_sdwa v2, s48, v27 dst_sel:DWORD dst_unused:UNUSED_PAD src0_sel:DWORD src1_sel:WORD_0
	v_and_b32_e32 v4, s53, v2
	v_and_b32_e32 v3, 1, v4
	v_add_co_u32_e64 v6, s[18:19], -1, v3
	v_addc_co_u32_e64 v7, s[18:19], 0, -1, s[18:19]
	v_cmp_ne_u32_e64 s[18:19], 0, v3
	v_mul_u32_u24_e32 v2, 17, v4
	v_xor_b32_e32 v3, s19, v7
	v_add_lshl_u32 v28, v22, v2, 2
	v_mov_b32_e32 v2, 0
	v_and_b32_e32 v7, exec_hi, v3
	v_lshlrev_b32_e32 v3, 30, v4
	v_xor_b32_e32 v6, s18, v6
	v_cmp_gt_i64_e64 s[18:19], 0, v[2:3]
	v_not_b32_e32 v3, v3
	v_ashrrev_i32_e32 v3, 31, v3
	v_and_b32_e32 v6, exec_lo, v6
	v_xor_b32_e32 v29, s19, v3
	v_xor_b32_e32 v3, s18, v3
	v_and_b32_e32 v6, v6, v3
	v_lshlrev_b32_e32 v3, 29, v4
	v_cmp_gt_i64_e64 s[18:19], 0, v[2:3]
	v_not_b32_e32 v3, v3
	v_ashrrev_i32_e32 v3, 31, v3
	v_and_b32_e32 v7, v7, v29
	v_xor_b32_e32 v29, s19, v3
	v_xor_b32_e32 v3, s18, v3
	v_and_b32_e32 v6, v6, v3
	v_lshlrev_b32_e32 v3, 28, v4
	v_cmp_gt_i64_e64 s[18:19], 0, v[2:3]
	v_not_b32_e32 v3, v3
	v_ashrrev_i32_e32 v3, 31, v3
	v_and_b32_e32 v7, v7, v29
	;; [unrolled: 8-line block ×5, first 2 shown]
	v_xor_b32_e32 v29, s19, v3
	v_xor_b32_e32 v3, s18, v3
	v_and_b32_e32 v6, v6, v3
	v_lshlrev_b32_e32 v3, 24, v4
	v_cmp_gt_i64_e64 s[18:19], 0, v[2:3]
	v_not_b32_e32 v3, v3
	v_ashrrev_i32_e32 v3, 31, v3
	v_xor_b32_e32 v4, s19, v3
	v_xor_b32_e32 v3, s18, v3
	; wave barrier
	ds_read_b32 v41, v28 offset:64
	v_and_b32_e32 v7, v7, v29
	v_and_b32_e32 v6, v6, v3
	;; [unrolled: 1-line block ×3, first 2 shown]
	v_mbcnt_lo_u32_b32 v3, v6, 0
	v_mbcnt_hi_u32_b32 v42, v7, v3
	v_cmp_eq_u32_e64 s[18:19], 0, v42
	v_cmp_ne_u64_e64 s[20:21], 0, v[6:7]
	s_and_b64 s[20:21], s[20:21], s[18:19]
	; wave barrier
	s_and_saveexec_b64 s[18:19], s[20:21]
	s_cbranch_execz .LBB1402_35
; %bb.34:
	v_bcnt_u32_b32 v3, v6, 0
	v_bcnt_u32_b32 v3, v7, v3
	s_waitcnt lgkmcnt(0)
	v_add_u32_e32 v3, v41, v3
	ds_write_b32 v28, v3 offset:64
.LBB1402_35:
	s_or_b64 exec, exec, s[18:19]
	v_xor_b32_sdwa v6, v5, s22 dst_sel:DWORD dst_unused:UNUSED_PAD src0_sel:WORD_1 src1_sel:DWORD
	v_lshrrev_b32_sdwa v3, s48, v6 dst_sel:DWORD dst_unused:UNUSED_PAD src0_sel:DWORD src1_sel:WORD_0
	v_and_b32_e32 v4, s53, v3
	v_mul_u32_u24_e32 v3, 17, v4
	v_add_lshl_u32 v7, v22, v3, 2
	v_and_b32_e32 v3, 1, v4
	v_add_co_u32_e64 v5, s[18:19], -1, v3
	v_addc_co_u32_e64 v22, s[18:19], 0, -1, s[18:19]
	v_cmp_ne_u32_e64 s[18:19], 0, v3
	v_xor_b32_e32 v3, s19, v22
	v_and_b32_e32 v22, exec_hi, v3
	v_lshlrev_b32_e32 v3, 30, v4
	v_xor_b32_e32 v5, s18, v5
	v_cmp_gt_i64_e64 s[18:19], 0, v[2:3]
	v_not_b32_e32 v3, v3
	v_ashrrev_i32_e32 v3, 31, v3
	v_and_b32_e32 v5, exec_lo, v5
	v_xor_b32_e32 v44, s19, v3
	v_xor_b32_e32 v3, s18, v3
	v_and_b32_e32 v5, v5, v3
	v_lshlrev_b32_e32 v3, 29, v4
	v_cmp_gt_i64_e64 s[18:19], 0, v[2:3]
	v_not_b32_e32 v3, v3
	v_ashrrev_i32_e32 v3, 31, v3
	v_and_b32_e32 v22, v22, v44
	v_xor_b32_e32 v44, s19, v3
	v_xor_b32_e32 v3, s18, v3
	v_and_b32_e32 v5, v5, v3
	v_lshlrev_b32_e32 v3, 28, v4
	v_cmp_gt_i64_e64 s[18:19], 0, v[2:3]
	v_not_b32_e32 v3, v3
	v_ashrrev_i32_e32 v3, 31, v3
	v_and_b32_e32 v22, v22, v44
	;; [unrolled: 8-line block ×5, first 2 shown]
	v_xor_b32_e32 v44, s19, v3
	v_xor_b32_e32 v3, s18, v3
	v_and_b32_e32 v5, v5, v3
	v_lshlrev_b32_e32 v3, 24, v4
	v_cmp_gt_i64_e64 s[18:19], 0, v[2:3]
	v_not_b32_e32 v2, v3
	v_ashrrev_i32_e32 v2, 31, v2
	v_xor_b32_e32 v3, s19, v2
	v_xor_b32_e32 v2, s18, v2
	; wave barrier
	ds_read_b32 v43, v7 offset:64
	v_and_b32_e32 v22, v22, v44
	v_and_b32_e32 v2, v5, v2
	v_and_b32_e32 v3, v22, v3
	v_mbcnt_lo_u32_b32 v4, v2, 0
	v_mbcnt_hi_u32_b32 v46, v3, v4
	v_cmp_eq_u32_e64 s[18:19], 0, v46
	v_cmp_ne_u64_e64 s[20:21], 0, v[2:3]
	v_add_u32_e32 v29, 64, v15
	s_and_b64 s[20:21], s[20:21], s[18:19]
	; wave barrier
	s_and_saveexec_b64 s[18:19], s[20:21]
	s_cbranch_execz .LBB1402_37
; %bb.36:
	v_bcnt_u32_b32 v2, v2, 0
	v_bcnt_u32_b32 v2, v3, v2
	s_waitcnt lgkmcnt(0)
	v_add_u32_e32 v2, v43, v2
	ds_write_b32 v7, v2 offset:64
.LBB1402_37:
	s_or_b64 exec, exec, s[18:19]
	; wave barrier
	s_waitcnt lgkmcnt(0)
	s_barrier
	ds_read2_b32 v[4:5], v15 offset0:16 offset1:17
	ds_read2_b32 v[2:3], v29 offset0:2 offset1:3
	ds_read_b32 v22, v29 offset:16
	v_cmp_lt_u32_e64 s[28:29], 31, v13
	s_waitcnt lgkmcnt(1)
	v_add3_u32 v44, v5, v4, v2
	s_waitcnt lgkmcnt(0)
	v_add3_u32 v22, v44, v3, v22
	v_and_b32_e32 v44, 15, v13
	v_cmp_eq_u32_e64 s[18:19], 0, v44
	v_mov_b32_dpp v45, v22 row_shr:1 row_mask:0xf bank_mask:0xf
	v_cndmask_b32_e64 v45, v45, 0, s[18:19]
	v_add_u32_e32 v22, v45, v22
	v_cmp_lt_u32_e64 s[20:21], 1, v44
	v_cmp_lt_u32_e64 s[22:23], 3, v44
	v_mov_b32_dpp v45, v22 row_shr:2 row_mask:0xf bank_mask:0xf
	v_cndmask_b32_e64 v45, 0, v45, s[20:21]
	v_add_u32_e32 v22, v22, v45
	v_cmp_lt_u32_e64 s[24:25], 7, v44
	s_nop 0
	v_mov_b32_dpp v45, v22 row_shr:4 row_mask:0xf bank_mask:0xf
	v_cndmask_b32_e64 v45, 0, v45, s[22:23]
	v_add_u32_e32 v22, v22, v45
	s_nop 1
	v_mov_b32_dpp v45, v22 row_shr:8 row_mask:0xf bank_mask:0xf
	v_cndmask_b32_e64 v44, 0, v45, s[24:25]
	v_add_u32_e32 v22, v22, v44
	v_bfe_i32 v45, v13, 4, 1
	s_nop 0
	v_mov_b32_dpp v44, v22 row_bcast:15 row_mask:0xf bank_mask:0xf
	v_and_b32_e32 v44, v45, v44
	v_add_u32_e32 v22, v22, v44
	v_and_b32_e32 v45, 63, v10
	s_nop 0
	v_mov_b32_dpp v44, v22 row_bcast:31 row_mask:0xf bank_mask:0xf
	v_cndmask_b32_e64 v44, 0, v44, s[28:29]
	v_add_u32_e32 v22, v22, v44
	v_lshrrev_b32_e32 v44, 6, v10
	v_cmp_eq_u32_e64 s[28:29], 63, v45
	s_and_saveexec_b64 s[50:51], s[28:29]
	s_cbranch_execz .LBB1402_39
; %bb.38:
	v_lshlrev_b32_e32 v45, 2, v44
	ds_write_b32 v45, v22
.LBB1402_39:
	s_or_b64 exec, exec, s[50:51]
	v_cmp_gt_u32_e64 s[28:29], 16, v10
	s_waitcnt lgkmcnt(0)
	s_barrier
	s_and_saveexec_b64 s[50:51], s[28:29]
	s_cbranch_execz .LBB1402_41
; %bb.40:
	v_lshlrev_b32_e32 v45, 2, v10
	ds_read_b32 v47, v45
	s_waitcnt lgkmcnt(0)
	s_nop 0
	v_mov_b32_dpp v48, v47 row_shr:1 row_mask:0xf bank_mask:0xf
	v_cndmask_b32_e64 v48, v48, 0, s[18:19]
	v_add_u32_e32 v47, v48, v47
	s_nop 1
	v_mov_b32_dpp v48, v47 row_shr:2 row_mask:0xf bank_mask:0xf
	v_cndmask_b32_e64 v48, 0, v48, s[20:21]
	v_add_u32_e32 v47, v47, v48
	;; [unrolled: 4-line block ×4, first 2 shown]
	ds_write_b32 v45, v47
.LBB1402_41:
	s_or_b64 exec, exec, s[50:51]
	v_cmp_lt_u32_e64 s[18:19], 63, v10
	v_mov_b32_e32 v45, 0
	s_waitcnt lgkmcnt(0)
	s_barrier
	s_and_saveexec_b64 s[20:21], s[18:19]
	s_cbranch_execz .LBB1402_43
; %bb.42:
	v_lshl_add_u32 v44, v44, 2, -4
	ds_read_b32 v45, v44
.LBB1402_43:
	s_or_b64 exec, exec, s[20:21]
	v_add_u32_e32 v44, -1, v13
	v_and_b32_e32 v47, 64, v13
	v_cmp_lt_i32_e64 s[18:19], v44, v47
	v_cndmask_b32_e64 v44, v44, v13, s[18:19]
	s_waitcnt lgkmcnt(0)
	v_add_u32_e32 v22, v45, v22
	v_lshlrev_b32_e32 v44, 2, v44
	ds_bpermute_b32 v22, v44, v22
	v_cmp_eq_u32_e64 s[18:19], 0, v13
                                        ; implicit-def: $vgpr44
	s_waitcnt lgkmcnt(0)
	v_cndmask_b32_e64 v13, v22, v45, s[18:19]
	v_cndmask_b32_e64 v13, v13, 0, s[0:1]
	v_add_u32_e32 v4, v13, v4
	v_add_u32_e32 v5, v4, v5
	;; [unrolled: 1-line block ×4, first 2 shown]
	ds_write2_b32 v15, v13, v4 offset0:16 offset1:17
	ds_write2_b32 v29, v5, v2 offset0:2 offset1:3
	ds_write_b32 v29, v3 offset:16
	s_waitcnt lgkmcnt(0)
	s_barrier
	ds_read_b32 v2, v18 offset:64
	ds_read_b32 v48, v19 offset:64
	;; [unrolled: 1-line block ×8, first 2 shown]
	s_movk_i32 s18, 0x100
	v_cmp_gt_u32_e64 s[18:19], s18, v10
                                        ; implicit-def: $vgpr45
	s_and_saveexec_b64 s[22:23], s[18:19]
	s_cbranch_execz .LBB1402_47
; %bb.44:
	v_mul_u32_u24_e32 v3, 17, v10
	v_lshlrev_b32_e32 v4, 2, v3
	ds_read_b32 v44, v4 offset:64
	s_movk_i32 s20, 0xff
	v_cmp_ne_u32_e64 s[20:21], s20, v10
	v_mov_b32_e32 v3, 0x2000
	s_and_saveexec_b64 s[24:25], s[20:21]
	s_cbranch_execz .LBB1402_46
; %bb.45:
	ds_read_b32 v3, v4 offset:132
.LBB1402_46:
	s_or_b64 exec, exec, s[24:25]
	s_waitcnt lgkmcnt(0)
	v_sub_u32_e32 v45, v3, v44
.LBB1402_47:
	s_or_b64 exec, exec, s[22:23]
	s_waitcnt lgkmcnt(7)
	v_add_u32_e32 v47, v2, v16
	v_add_u32_e32 v15, v32, v31
	v_lshlrev_b32_e32 v2, 1, v47
	v_add_u32_e32 v13, v34, v33
	s_waitcnt lgkmcnt(0)
	s_barrier
	ds_write_b16 v2, v14 offset:1024
	v_add_lshl_u32 v2, v15, v48, 1
	v_add_u32_e32 v9, v36, v35
	ds_write_b16 v2, v17 offset:1024
	v_add_lshl_u32 v2, v13, v49, 1
	v_add_u32_e32 v7, v38, v37
	ds_write_b16 v2, v20 offset:1024
	v_add_lshl_u32 v2, v9, v50, 1
	v_add_u32_e32 v5, v40, v39
	ds_write_b16 v2, v8 offset:1024
	v_add_lshl_u32 v2, v7, v51, 1
	v_add_u32_e32 v4, v42, v41
	ds_write_b16 v2, v23 offset:1024
	v_add_lshl_u32 v2, v5, v52, 1
	v_add_u32_e32 v3, v46, v43
	ds_write_b16 v2, v25 offset:1024
	v_add_lshl_u32 v2, v4, v53, 1
	ds_write_b16 v2, v27 offset:1024
	v_add_lshl_u32 v2, v3, v54, 1
	ds_write_b16 v2, v6 offset:1024
	s_and_saveexec_b64 s[22:23], s[18:19]
	s_cbranch_execz .LBB1402_57
; %bb.48:
	v_lshl_or_b32 v2, s33, 8, v10
	v_mov_b32_e32 v3, 0
	v_lshlrev_b64 v[4:5], 2, v[2:3]
	v_mov_b32_e32 v8, s31
	v_add_co_u32_e64 v4, s[20:21], s30, v4
	v_addc_co_u32_e64 v5, s[20:21], v8, v5, s[20:21]
	v_or_b32_e32 v2, 2.0, v45
	s_mov_b64 s[24:25], 0
	s_brev_b32 s54, 1
	s_mov_b32 s55, s33
	v_mov_b32_e32 v9, 0
	global_store_dword v[4:5], v2, off
                                        ; implicit-def: $sgpr20_sgpr21
	s_branch .LBB1402_50
.LBB1402_49:                            ;   in Loop: Header=BB1402_50 Depth=1
	s_or_b64 exec, exec, s[28:29]
	v_and_b32_e32 v6, 0x3fffffff, v13
	v_add_u32_e32 v9, v6, v9
	v_cmp_eq_u32_e64 s[20:21], s54, v2
	s_and_b64 s[28:29], exec, s[20:21]
	s_or_b64 s[24:25], s[28:29], s[24:25]
	s_andn2_b64 exec, exec, s[24:25]
	s_cbranch_execz .LBB1402_56
.LBB1402_50:                            ; =>This Loop Header: Depth=1
                                        ;     Child Loop BB1402_53 Depth 2
	s_or_b64 s[20:21], s[20:21], exec
	s_cmp_eq_u32 s55, 0
	s_cbranch_scc1 .LBB1402_55
; %bb.51:                               ;   in Loop: Header=BB1402_50 Depth=1
	s_add_i32 s55, s55, -1
	v_lshl_or_b32 v2, s55, 8, v10
	v_lshlrev_b64 v[6:7], 2, v[2:3]
	v_add_co_u32_e64 v6, s[20:21], s30, v6
	v_addc_co_u32_e64 v7, s[20:21], v8, v7, s[20:21]
	global_load_dword v13, v[6:7], off glc
	s_waitcnt vmcnt(0)
	v_and_b32_e32 v2, -2.0, v13
	v_cmp_eq_u32_e64 s[20:21], 0, v2
	s_and_saveexec_b64 s[28:29], s[20:21]
	s_cbranch_execz .LBB1402_49
; %bb.52:                               ;   in Loop: Header=BB1402_50 Depth=1
	s_mov_b64 s[50:51], 0
.LBB1402_53:                            ;   Parent Loop BB1402_50 Depth=1
                                        ; =>  This Inner Loop Header: Depth=2
	global_load_dword v13, v[6:7], off glc
	s_waitcnt vmcnt(0)
	v_and_b32_e32 v2, -2.0, v13
	v_cmp_ne_u32_e64 s[20:21], 0, v2
	s_or_b64 s[50:51], s[20:21], s[50:51]
	s_andn2_b64 exec, exec, s[50:51]
	s_cbranch_execnz .LBB1402_53
; %bb.54:                               ;   in Loop: Header=BB1402_50 Depth=1
	s_or_b64 exec, exec, s[50:51]
	s_branch .LBB1402_49
.LBB1402_55:                            ;   in Loop: Header=BB1402_50 Depth=1
                                        ; implicit-def: $sgpr55
	s_and_b64 s[28:29], exec, s[20:21]
	s_or_b64 s[24:25], s[28:29], s[24:25]
	s_andn2_b64 exec, exec, s[24:25]
	s_cbranch_execnz .LBB1402_50
.LBB1402_56:
	s_or_b64 exec, exec, s[24:25]
	v_add_u32_e32 v2, v9, v45
	v_or_b32_e32 v2, 0x80000000, v2
	global_store_dword v[4:5], v2, off
	v_lshlrev_b32_e32 v2, 2, v10
	global_load_dword v3, v2, s[44:45]
	v_sub_u32_e32 v4, v9, v44
	s_waitcnt vmcnt(0)
	v_add_u32_e32 v3, v4, v3
	ds_write_b32 v2, v3
.LBB1402_57:
	s_or_b64 exec, exec, s[22:23]
	v_cmp_gt_u32_e64 s[20:21], s7, v10
	s_waitcnt lgkmcnt(0)
	s_barrier
	s_waitcnt lgkmcnt(0)
                                        ; implicit-def: $vgpr2_vgpr3_vgpr4_vgpr5_vgpr6_vgpr7_vgpr8_vgpr9
	s_and_saveexec_b64 s[22:23], s[20:21]
	s_cbranch_execz .LBB1402_59
; %bb.58:
	v_lshlrev_b32_e32 v2, 1, v10
	ds_read_u16 v3, v2 offset:1024
	v_mov_b32_e32 v5, 0
	v_mov_b32_e32 v6, s39
	s_waitcnt lgkmcnt(0)
	v_lshrrev_b32_sdwa v2, s48, v3 dst_sel:DWORD dst_unused:UNUSED_PAD src0_sel:DWORD src1_sel:WORD_0
	v_and_b32_e32 v2, s53, v2
	v_lshlrev_b32_e32 v4, 2, v2
	ds_read_b32 v4, v4
	v_xor_b32_e32 v3, 0xffff8000, v3
	s_waitcnt lgkmcnt(0)
	v_add_u32_e32 v4, v4, v10
	v_lshlrev_b64 v[4:5], 1, v[4:5]
	v_add_co_u32_e64 v4, s[20:21], s38, v4
	v_addc_co_u32_e64 v5, s[20:21], v6, v5, s[20:21]
	global_store_short v[4:5], v3, off
.LBB1402_59:
	s_or_b64 exec, exec, s[22:23]
	v_or_b32_e32 v13, 0x400, v10
	v_cmp_gt_u32_e64 s[20:21], s7, v13
	s_and_saveexec_b64 s[22:23], s[20:21]
	s_cbranch_execz .LBB1402_61
; %bb.60:
	v_lshlrev_b32_e32 v3, 1, v10
	ds_read_u16 v14, v3 offset:3072
	v_mov_b32_e32 v17, s39
	s_waitcnt lgkmcnt(0)
	v_lshrrev_b32_sdwa v3, s48, v14 dst_sel:DWORD dst_unused:UNUSED_PAD src0_sel:DWORD src1_sel:WORD_0
	v_and_b32_e32 v3, s53, v3
	v_lshlrev_b32_e32 v15, 2, v3
	ds_read_b32 v16, v15
	v_mov_b32_e32 v15, 0
	v_xor_b32_e32 v18, 0xffff8000, v14
	s_waitcnt lgkmcnt(0)
	v_add_u32_e32 v14, v16, v13
	v_lshlrev_b64 v[14:15], 1, v[14:15]
	v_add_co_u32_e64 v14, s[20:21], s38, v14
	v_addc_co_u32_e64 v15, s[20:21], v17, v15, s[20:21]
	global_store_short v[14:15], v18, off
.LBB1402_61:
	s_or_b64 exec, exec, s[22:23]
	v_or_b32_e32 v13, 0x800, v10
	v_cmp_gt_u32_e64 s[20:21], s7, v13
	s_and_saveexec_b64 s[22:23], s[20:21]
	s_cbranch_execz .LBB1402_63
; %bb.62:
	v_lshlrev_b32_e32 v4, 1, v10
	ds_read_u16 v14, v4 offset:5120
	v_mov_b32_e32 v17, s39
	s_waitcnt lgkmcnt(0)
	v_lshrrev_b32_sdwa v4, s48, v14 dst_sel:DWORD dst_unused:UNUSED_PAD src0_sel:DWORD src1_sel:WORD_0
	v_and_b32_e32 v4, s53, v4
	v_lshlrev_b32_e32 v15, 2, v4
	ds_read_b32 v16, v15
	v_mov_b32_e32 v15, 0
	v_xor_b32_e32 v18, 0xffff8000, v14
	s_waitcnt lgkmcnt(0)
	v_add_u32_e32 v14, v16, v13
	v_lshlrev_b64 v[14:15], 1, v[14:15]
	v_add_co_u32_e64 v14, s[20:21], s38, v14
	v_addc_co_u32_e64 v15, s[20:21], v17, v15, s[20:21]
	global_store_short v[14:15], v18, off
.LBB1402_63:
	;; [unrolled: 23-line block ×7, first 2 shown]
	s_or_b64 exec, exec, s[22:23]
	s_lshl_b64 s[20:21], s[34:35], 3
	s_add_u32 s20, s40, s20
	s_addc_u32 s21, s41, s21
	v_lshlrev_b32_e32 v12, 3, v12
	v_mov_b32_e32 v13, s21
	v_add_co_u32_e64 v12, s[20:21], s20, v12
	v_addc_co_u32_e64 v13, s[20:21], 0, v13, s[20:21]
	v_lshlrev_b32_e32 v11, 3, v11
	v_add_co_u32_e64 v28, s[20:21], v12, v11
	v_addc_co_u32_e64 v29, s[20:21], 0, v13, s[20:21]
                                        ; implicit-def: $vgpr12_vgpr13
	s_and_saveexec_b64 s[20:21], vcc
	s_xor_b64 s[20:21], exec, s[20:21]
	s_cbranch_execnz .LBB1402_138
; %bb.74:
	s_or_b64 exec, exec, s[20:21]
                                        ; implicit-def: $vgpr14_vgpr15
	s_and_saveexec_b64 s[20:21], s[2:3]
	s_cbranch_execnz .LBB1402_139
.LBB1402_75:
	s_or_b64 exec, exec, s[20:21]
                                        ; implicit-def: $vgpr16_vgpr17
	s_and_saveexec_b64 s[2:3], s[26:27]
	s_cbranch_execnz .LBB1402_140
.LBB1402_76:
	s_or_b64 exec, exec, s[2:3]
                                        ; implicit-def: $vgpr18_vgpr19
	s_and_saveexec_b64 s[2:3], s[8:9]
	s_cbranch_execnz .LBB1402_141
.LBB1402_77:
	s_or_b64 exec, exec, s[2:3]
                                        ; implicit-def: $vgpr20_vgpr21
	s_and_saveexec_b64 s[2:3], s[10:11]
	s_cbranch_execnz .LBB1402_142
.LBB1402_78:
	s_or_b64 exec, exec, s[2:3]
                                        ; implicit-def: $vgpr22_vgpr23
	s_and_saveexec_b64 s[2:3], s[12:13]
	s_cbranch_execnz .LBB1402_143
.LBB1402_79:
	s_or_b64 exec, exec, s[2:3]
                                        ; implicit-def: $vgpr24_vgpr25
	s_and_saveexec_b64 s[2:3], s[14:15]
	s_cbranch_execnz .LBB1402_144
.LBB1402_80:
	s_or_b64 exec, exec, s[2:3]
                                        ; implicit-def: $vgpr26_vgpr27
	s_and_saveexec_b64 s[2:3], s[16:17]
	s_cbranch_execz .LBB1402_82
.LBB1402_81:
	global_load_dwordx2 v[26:27], v[28:29], off offset:3584
.LBB1402_82:
	s_or_b64 exec, exec, s[2:3]
	s_movk_i32 s8, 0x400
	v_add_u32_e32 v11, 0x400, v1
	v_add3_u32 v43, v46, v54, v43
	v_add3_u32 v41, v42, v53, v41
	;; [unrolled: 1-line block ×7, first 2 shown]
	s_mov_b32 s9, 0
	v_mov_b32_e32 v29, 0
	s_mov_b32 s10, 0
	v_mov_b32_e32 v32, v10
	s_barrier
	s_waitcnt vmcnt(0)
	s_branch .LBB1402_84
.LBB1402_83:                            ;   in Loop: Header=BB1402_84 Depth=1
	s_or_b64 exec, exec, s[2:3]
	s_addk_i32 s10, 0xf800
	s_add_i32 s9, s9, 2
	s_cmpk_eq_i32 s10, 0xe000
	v_add_u32_e32 v32, 0x800, v32
	s_barrier
	s_cbranch_scc1 .LBB1402_89
.LBB1402_84:                            ; =>This Inner Loop Header: Depth=1
	v_add_u32_e32 v28, s10, v47
	v_min_u32_e32 v28, 0x800, v28
	v_lshlrev_b32_e32 v28, 3, v28
	ds_write_b64 v28, v[12:13] offset:1024
	v_add_u32_e32 v28, s10, v31
	v_min_u32_e32 v28, 0x800, v28
	v_lshlrev_b32_e32 v28, 3, v28
	ds_write_b64 v28, v[14:15] offset:1024
	;; [unrolled: 4-line block ×7, first 2 shown]
	v_add_u32_e32 v28, s10, v43
	v_min_u32_e32 v28, 0x800, v28
	v_lshlrev_b32_e32 v28, 3, v28
	v_cmp_gt_u32_e32 vcc, s7, v32
	ds_write_b64 v28, v[26:27] offset:1024
	s_waitcnt lgkmcnt(0)
	s_barrier
	s_and_saveexec_b64 s[2:3], vcc
	s_cbranch_execz .LBB1402_86
; %bb.85:                               ;   in Loop: Header=BB1402_84 Depth=1
	s_cmp_eq_u32 s9, 1
	s_cselect_b64 vcc, -1, 0
	s_cmp_eq_u32 s9, 2
	v_cndmask_b32_e32 v28, v2, v3, vcc
	s_cselect_b64 vcc, -1, 0
	s_cmp_eq_u32 s9, 3
	v_cndmask_b32_e32 v28, v28, v4, vcc
	;; [unrolled: 3-line block ×6, first 2 shown]
	s_cselect_b64 vcc, -1, 0
	v_cndmask_b32_e32 v28, v28, v9, vcc
	v_lshlrev_b32_e32 v28, 2, v28
	ds_read_b32 v28, v28
	ds_read_b64 v[48:49], v1 offset:1024
	s_waitcnt lgkmcnt(1)
	v_add_u32_e32 v28, v32, v28
	v_lshlrev_b64 v[50:51], 3, v[28:29]
	v_mov_b32_e32 v28, s43
	v_add_co_u32_e32 v50, vcc, s42, v50
	v_addc_co_u32_e32 v51, vcc, v28, v51, vcc
	s_waitcnt lgkmcnt(0)
	global_store_dwordx2 v[50:51], v[48:49], off
.LBB1402_86:                            ;   in Loop: Header=BB1402_84 Depth=1
	s_or_b64 exec, exec, s[2:3]
	v_add_u32_e32 v28, 0x400, v32
	v_cmp_gt_u32_e32 vcc, s7, v28
	s_and_saveexec_b64 s[2:3], vcc
	s_cbranch_execz .LBB1402_83
; %bb.87:                               ;   in Loop: Header=BB1402_84 Depth=1
	s_add_i32 s11, s9, 1
	s_cmp_eq_u32 s11, 1
	s_cselect_b64 vcc, -1, 0
	s_cmp_eq_u32 s11, 2
	v_cndmask_b32_e32 v28, v2, v3, vcc
	s_cselect_b64 vcc, -1, 0
	s_cmp_eq_u32 s11, 3
	v_cndmask_b32_e32 v28, v28, v4, vcc
	;; [unrolled: 3-line block ×6, first 2 shown]
	s_cselect_b64 vcc, -1, 0
	v_cndmask_b32_e32 v28, v28, v9, vcc
	v_lshlrev_b32_e32 v28, 2, v28
	ds_read_b32 v28, v28
	ds_read_b64 v[48:49], v11 offset:8192
	s_waitcnt lgkmcnt(1)
	v_add3_u32 v28, v32, v28, s8
	v_lshlrev_b64 v[50:51], 3, v[28:29]
	v_mov_b32_e32 v28, s43
	v_add_co_u32_e32 v50, vcc, s42, v50
	v_addc_co_u32_e32 v51, vcc, v28, v51, vcc
	s_waitcnt lgkmcnt(0)
	global_store_dwordx2 v[50:51], v[48:49], off
	s_branch .LBB1402_83
.LBB1402_88:
	s_mov_b64 s[10:11], 0
                                        ; implicit-def: $vgpr2
                                        ; implicit-def: $vgpr8_vgpr9
	s_cbranch_execnz .LBB1402_92
	s_branch .LBB1402_135
.LBB1402_89:
	s_add_i32 s52, s52, -1
	s_cmp_eq_u32 s52, s33
	s_cselect_b64 s[2:3], -1, 0
	s_and_b64 s[8:9], s[18:19], s[2:3]
	s_mov_b64 s[2:3], 0
	s_mov_b64 s[10:11], 0
                                        ; implicit-def: $vgpr2
                                        ; implicit-def: $vgpr8_vgpr9
	s_and_saveexec_b64 s[12:13], s[8:9]
	s_xor_b64 s[8:9], exec, s[12:13]
; %bb.90:
	v_mov_b32_e32 v11, 0
	s_mov_b64 s[10:11], exec
	v_add_u32_e32 v2, v44, v45
	v_pk_mov_b32 v[8:9], v[10:11], v[10:11] op_sel:[0,1]
; %bb.91:
	s_or_b64 exec, exec, s[8:9]
	s_and_b64 vcc, exec, s[2:3]
	s_cbranch_vccz .LBB1402_135
.LBB1402_92:
	s_lshl_b32 s12, s33, 13
	s_mov_b32 s13, 0
	v_mbcnt_hi_u32_b32 v5, -1, v30
	s_lshl_b64 s[2:3], s[12:13], 1
	v_and_b32_e32 v15, 63, v5
	s_add_u32 s2, s36, s2
	v_and_b32_e32 v14, 0x1e00, v1
	v_lshlrev_b32_e32 v1, 1, v15
	v_add_co_u32_e32 v1, vcc, s2, v1
	s_load_dword s16, s[4:5], 0x58
	s_load_dword s2, s[4:5], 0x64
	s_addc_u32 s3, s37, s3
	v_mov_b32_e32 v3, s3
	v_addc_co_u32_e32 v3, vcc, 0, v3, vcc
	v_lshlrev_b32_e32 v4, 1, v14
	s_add_u32 s3, s4, 0x58
	v_add_co_u32_e32 v16, vcc, v1, v4
	s_addc_u32 s4, s5, 0
	s_waitcnt lgkmcnt(0)
	s_lshr_b32 s5, s2, 16
	v_addc_co_u32_e32 v17, vcc, 0, v3, vcc
	s_cmp_lt_u32 s6, s16
	global_load_ushort v1, v[16:17], off
	s_cselect_b32 s2, 12, 18
	s_add_u32 s2, s3, s2
	v_mov_b32_e32 v2, 0
	s_addc_u32 s3, s4, 0
	global_load_ushort v3, v2, s[2:3]
	v_mul_u32_u24_e32 v6, 5, v10
	v_lshlrev_b32_e32 v6, 2, v6
	ds_write2_b32 v6, v2, v2 offset0:16 offset1:17
	ds_write2_b32 v6, v2, v2 offset0:18 offset1:19
	ds_write_b32 v6, v2 offset:80
	global_load_ushort v9, v[16:17], off offset:128
	global_load_ushort v12, v[16:17], off offset:256
	;; [unrolled: 1-line block ×7, first 2 shown]
	v_bfe_u32 v4, v0, 10, 10
	v_bfe_u32 v0, v0, 20, 10
	v_mad_u32_u24 v0, v0, s5, v4
	s_lshl_b32 s2, -1, s49
	s_not_b32 s17, s2
	s_waitcnt lgkmcnt(0)
	s_barrier
	s_waitcnt lgkmcnt(0)
	; wave barrier
	s_waitcnt vmcnt(8)
	v_xor_b32_e32 v4, 0xffff8000, v1
	v_lshrrev_b32_sdwa v1, s48, v4 dst_sel:DWORD dst_unused:UNUSED_PAD src0_sel:DWORD src1_sel:WORD_0
	v_and_b32_e32 v8, s17, v1
	v_and_b32_e32 v7, 1, v8
	s_waitcnt vmcnt(7)
	v_mad_u64_u32 v[0:1], s[2:3], v0, v3, v[10:11]
	v_lshrrev_b32_e32 v27, 6, v0
	v_add_co_u32_e32 v0, vcc, -1, v7
	v_lshlrev_b32_e32 v3, 30, v8
	v_addc_co_u32_e64 v11, s[2:3], 0, -1, vcc
	v_mul_u32_u24_e32 v1, 17, v8
	v_cmp_ne_u32_e32 vcc, 0, v7
	v_cmp_gt_i64_e64 s[2:3], 0, v[2:3]
	v_not_b32_e32 v16, v3
	v_lshlrev_b32_e32 v3, 29, v8
	v_add_lshl_u32 v7, v27, v1, 2
	v_xor_b32_e32 v1, vcc_hi, v11
	v_xor_b32_e32 v0, vcc_lo, v0
	v_ashrrev_i32_e32 v11, 31, v16
	v_cmp_gt_i64_e32 vcc, 0, v[2:3]
	v_not_b32_e32 v16, v3
	v_lshlrev_b32_e32 v3, 28, v8
	v_and_b32_e32 v1, exec_hi, v1
	v_and_b32_e32 v0, exec_lo, v0
	v_xor_b32_e32 v17, s3, v11
	v_xor_b32_e32 v11, s2, v11
	v_ashrrev_i32_e32 v16, 31, v16
	v_cmp_gt_i64_e64 s[2:3], 0, v[2:3]
	v_not_b32_e32 v18, v3
	v_lshlrev_b32_e32 v3, 27, v8
	v_and_b32_e32 v1, v1, v17
	v_and_b32_e32 v0, v0, v11
	v_xor_b32_e32 v11, vcc_hi, v16
	v_xor_b32_e32 v16, vcc_lo, v16
	v_ashrrev_i32_e32 v17, 31, v18
	v_cmp_gt_i64_e32 vcc, 0, v[2:3]
	v_not_b32_e32 v3, v3
	v_and_b32_e32 v1, v1, v11
	v_and_b32_e32 v0, v0, v16
	v_xor_b32_e32 v11, s3, v17
	v_xor_b32_e32 v16, s2, v17
	v_ashrrev_i32_e32 v3, 31, v3
	v_and_b32_e32 v1, v1, v11
	v_and_b32_e32 v0, v0, v16
	v_xor_b32_e32 v11, vcc_hi, v3
	v_xor_b32_e32 v3, vcc_lo, v3
	v_and_b32_e32 v0, v0, v3
	v_lshlrev_b32_e32 v3, 26, v8
	v_cmp_gt_i64_e32 vcc, 0, v[2:3]
	v_not_b32_e32 v3, v3
	v_ashrrev_i32_e32 v3, 31, v3
	v_and_b32_e32 v1, v1, v11
	v_xor_b32_e32 v11, vcc_hi, v3
	v_xor_b32_e32 v3, vcc_lo, v3
	v_and_b32_e32 v0, v0, v3
	v_lshlrev_b32_e32 v3, 25, v8
	v_cmp_gt_i64_e32 vcc, 0, v[2:3]
	v_not_b32_e32 v3, v3
	v_ashrrev_i32_e32 v3, 31, v3
	;; [unrolled: 8-line block ×3, first 2 shown]
	v_xor_b32_e32 v8, vcc_hi, v3
	v_xor_b32_e32 v3, vcc_lo, v3
	v_and_b32_e32 v1, v1, v11
	v_and_b32_e32 v0, v0, v3
	v_and_b32_e32 v1, v1, v8
	v_mbcnt_lo_u32_b32 v3, v0, 0
	v_mbcnt_hi_u32_b32 v8, v1, v3
	v_cmp_eq_u32_e32 vcc, 0, v8
	v_cmp_ne_u64_e64 s[2:3], 0, v[0:1]
	s_and_b64 s[4:5], s[2:3], vcc
	s_and_saveexec_b64 s[2:3], s[4:5]
	s_cbranch_execz .LBB1402_94
; %bb.93:
	v_bcnt_u32_b32 v0, v0, 0
	v_bcnt_u32_b32 v0, v1, v0
	ds_write_b32 v7, v0 offset:64
.LBB1402_94:
	s_or_b64 exec, exec, s[2:3]
	s_waitcnt vmcnt(6)
	v_xor_b32_e32 v9, 0xffff8000, v9
	v_lshrrev_b32_sdwa v0, s48, v9 dst_sel:DWORD dst_unused:UNUSED_PAD src0_sel:DWORD src1_sel:WORD_0
	v_and_b32_e32 v0, s17, v0
	v_mul_u32_u24_e32 v1, 17, v0
	v_add_lshl_u32 v11, v27, v1, 2
	v_and_b32_e32 v1, 1, v0
	v_add_co_u32_e32 v3, vcc, -1, v1
	v_addc_co_u32_e64 v17, s[2:3], 0, -1, vcc
	v_cmp_ne_u32_e32 vcc, 0, v1
	v_xor_b32_e32 v3, vcc_lo, v3
	v_xor_b32_e32 v1, vcc_hi, v17
	v_and_b32_e32 v17, exec_lo, v3
	v_lshlrev_b32_e32 v3, 30, v0
	v_cmp_gt_i64_e32 vcc, 0, v[2:3]
	v_not_b32_e32 v3, v3
	v_ashrrev_i32_e32 v3, 31, v3
	v_xor_b32_e32 v18, vcc_hi, v3
	v_xor_b32_e32 v3, vcc_lo, v3
	v_and_b32_e32 v17, v17, v3
	v_lshlrev_b32_e32 v3, 29, v0
	v_cmp_gt_i64_e32 vcc, 0, v[2:3]
	v_not_b32_e32 v3, v3
	v_and_b32_e32 v1, exec_hi, v1
	v_ashrrev_i32_e32 v3, 31, v3
	v_and_b32_e32 v1, v1, v18
	v_xor_b32_e32 v18, vcc_hi, v3
	v_xor_b32_e32 v3, vcc_lo, v3
	v_and_b32_e32 v17, v17, v3
	v_lshlrev_b32_e32 v3, 28, v0
	v_cmp_gt_i64_e32 vcc, 0, v[2:3]
	v_not_b32_e32 v3, v3
	v_ashrrev_i32_e32 v3, 31, v3
	v_and_b32_e32 v1, v1, v18
	v_xor_b32_e32 v18, vcc_hi, v3
	v_xor_b32_e32 v3, vcc_lo, v3
	v_and_b32_e32 v17, v17, v3
	v_lshlrev_b32_e32 v3, 27, v0
	v_cmp_gt_i64_e32 vcc, 0, v[2:3]
	v_not_b32_e32 v3, v3
	;; [unrolled: 8-line block ×4, first 2 shown]
	v_ashrrev_i32_e32 v3, 31, v3
	v_and_b32_e32 v1, v1, v18
	v_xor_b32_e32 v18, vcc_hi, v3
	v_xor_b32_e32 v3, vcc_lo, v3
	v_and_b32_e32 v17, v17, v3
	v_lshlrev_b32_e32 v3, 24, v0
	v_not_b32_e32 v0, v3
	v_cmp_gt_i64_e32 vcc, 0, v[2:3]
	v_ashrrev_i32_e32 v0, 31, v0
	v_xor_b32_e32 v2, vcc_hi, v0
	v_xor_b32_e32 v0, vcc_lo, v0
	; wave barrier
	ds_read_b32 v16, v11 offset:64
	v_and_b32_e32 v1, v1, v18
	v_and_b32_e32 v0, v17, v0
	;; [unrolled: 1-line block ×3, first 2 shown]
	v_mbcnt_lo_u32_b32 v2, v0, 0
	v_mbcnt_hi_u32_b32 v17, v1, v2
	v_cmp_eq_u32_e32 vcc, 0, v17
	v_cmp_ne_u64_e64 s[2:3], 0, v[0:1]
	s_and_b64 s[4:5], s[2:3], vcc
	; wave barrier
	s_and_saveexec_b64 s[2:3], s[4:5]
	s_cbranch_execz .LBB1402_96
; %bb.95:
	v_bcnt_u32_b32 v0, v0, 0
	v_bcnt_u32_b32 v0, v1, v0
	s_waitcnt lgkmcnt(0)
	v_add_u32_e32 v0, v16, v0
	ds_write_b32 v11, v0 offset:64
.LBB1402_96:
	s_or_b64 exec, exec, s[2:3]
	s_waitcnt vmcnt(5)
	v_xor_b32_e32 v12, 0xffff8000, v12
	v_lshrrev_b32_sdwa v0, s48, v12 dst_sel:DWORD dst_unused:UNUSED_PAD src0_sel:DWORD src1_sel:WORD_0
	v_and_b32_e32 v2, s17, v0
	v_and_b32_e32 v1, 1, v2
	v_add_co_u32_e32 v3, vcc, -1, v1
	v_addc_co_u32_e64 v19, s[2:3], 0, -1, vcc
	v_cmp_ne_u32_e32 vcc, 0, v1
	v_mul_u32_u24_e32 v0, 17, v2
	v_xor_b32_e32 v1, vcc_hi, v19
	v_add_lshl_u32 v28, v27, v0, 2
	v_mov_b32_e32 v0, 0
	v_and_b32_e32 v19, exec_hi, v1
	v_lshlrev_b32_e32 v1, 30, v2
	v_xor_b32_e32 v3, vcc_lo, v3
	v_cmp_gt_i64_e32 vcc, 0, v[0:1]
	v_not_b32_e32 v1, v1
	v_ashrrev_i32_e32 v1, 31, v1
	v_and_b32_e32 v3, exec_lo, v3
	v_xor_b32_e32 v21, vcc_hi, v1
	v_xor_b32_e32 v1, vcc_lo, v1
	v_and_b32_e32 v3, v3, v1
	v_lshlrev_b32_e32 v1, 29, v2
	v_cmp_gt_i64_e32 vcc, 0, v[0:1]
	v_not_b32_e32 v1, v1
	v_ashrrev_i32_e32 v1, 31, v1
	v_and_b32_e32 v19, v19, v21
	v_xor_b32_e32 v21, vcc_hi, v1
	v_xor_b32_e32 v1, vcc_lo, v1
	v_and_b32_e32 v3, v3, v1
	v_lshlrev_b32_e32 v1, 28, v2
	v_cmp_gt_i64_e32 vcc, 0, v[0:1]
	v_not_b32_e32 v1, v1
	v_ashrrev_i32_e32 v1, 31, v1
	v_and_b32_e32 v19, v19, v21
	;; [unrolled: 8-line block ×5, first 2 shown]
	v_xor_b32_e32 v21, vcc_hi, v1
	v_xor_b32_e32 v1, vcc_lo, v1
	v_and_b32_e32 v19, v19, v21
	v_and_b32_e32 v21, v3, v1
	v_lshlrev_b32_e32 v1, 24, v2
	v_cmp_gt_i64_e32 vcc, 0, v[0:1]
	v_not_b32_e32 v1, v1
	v_ashrrev_i32_e32 v1, 31, v1
	v_xor_b32_e32 v2, vcc_hi, v1
	v_xor_b32_e32 v1, vcc_lo, v1
	; wave barrier
	ds_read_b32 v18, v28 offset:64
	v_and_b32_e32 v3, v19, v2
	v_and_b32_e32 v2, v21, v1
	v_mbcnt_lo_u32_b32 v1, v2, 0
	v_mbcnt_hi_u32_b32 v19, v3, v1
	v_cmp_eq_u32_e32 vcc, 0, v19
	v_cmp_ne_u64_e64 s[2:3], 0, v[2:3]
	s_and_b64 s[4:5], s[2:3], vcc
	; wave barrier
	s_and_saveexec_b64 s[2:3], s[4:5]
	s_cbranch_execz .LBB1402_98
; %bb.97:
	v_bcnt_u32_b32 v1, v2, 0
	v_bcnt_u32_b32 v1, v3, v1
	s_waitcnt lgkmcnt(0)
	v_add_u32_e32 v1, v18, v1
	ds_write_b32 v28, v1 offset:64
.LBB1402_98:
	s_or_b64 exec, exec, s[2:3]
	s_waitcnt vmcnt(4)
	v_xor_b32_e32 v29, 0xffff8000, v20
	v_lshrrev_b32_sdwa v1, s48, v29 dst_sel:DWORD dst_unused:UNUSED_PAD src0_sel:DWORD src1_sel:WORD_0
	v_and_b32_e32 v2, s17, v1
	v_mul_u32_u24_e32 v1, 17, v2
	v_add_lshl_u32 v31, v27, v1, 2
	v_and_b32_e32 v1, 1, v2
	v_add_co_u32_e32 v3, vcc, -1, v1
	v_addc_co_u32_e64 v21, s[2:3], 0, -1, vcc
	v_cmp_ne_u32_e32 vcc, 0, v1
	v_xor_b32_e32 v1, vcc_hi, v21
	v_and_b32_e32 v21, exec_hi, v1
	v_lshlrev_b32_e32 v1, 30, v2
	v_xor_b32_e32 v3, vcc_lo, v3
	v_cmp_gt_i64_e32 vcc, 0, v[0:1]
	v_not_b32_e32 v1, v1
	v_ashrrev_i32_e32 v1, 31, v1
	v_and_b32_e32 v3, exec_lo, v3
	v_xor_b32_e32 v23, vcc_hi, v1
	v_xor_b32_e32 v1, vcc_lo, v1
	v_and_b32_e32 v3, v3, v1
	v_lshlrev_b32_e32 v1, 29, v2
	v_cmp_gt_i64_e32 vcc, 0, v[0:1]
	v_not_b32_e32 v1, v1
	v_ashrrev_i32_e32 v1, 31, v1
	v_and_b32_e32 v21, v21, v23
	v_xor_b32_e32 v23, vcc_hi, v1
	v_xor_b32_e32 v1, vcc_lo, v1
	v_and_b32_e32 v3, v3, v1
	v_lshlrev_b32_e32 v1, 28, v2
	v_cmp_gt_i64_e32 vcc, 0, v[0:1]
	v_not_b32_e32 v1, v1
	v_ashrrev_i32_e32 v1, 31, v1
	v_and_b32_e32 v21, v21, v23
	;; [unrolled: 8-line block ×5, first 2 shown]
	v_xor_b32_e32 v23, vcc_hi, v1
	v_xor_b32_e32 v1, vcc_lo, v1
	v_and_b32_e32 v3, v3, v1
	v_lshlrev_b32_e32 v1, 24, v2
	v_cmp_gt_i64_e32 vcc, 0, v[0:1]
	v_not_b32_e32 v0, v1
	v_ashrrev_i32_e32 v0, 31, v0
	v_xor_b32_e32 v1, vcc_hi, v0
	v_xor_b32_e32 v0, vcc_lo, v0
	; wave barrier
	ds_read_b32 v20, v31 offset:64
	v_and_b32_e32 v21, v21, v23
	v_and_b32_e32 v0, v3, v0
	;; [unrolled: 1-line block ×3, first 2 shown]
	v_mbcnt_lo_u32_b32 v2, v0, 0
	v_mbcnt_hi_u32_b32 v21, v1, v2
	v_cmp_eq_u32_e32 vcc, 0, v21
	v_cmp_ne_u64_e64 s[2:3], 0, v[0:1]
	s_and_b64 s[4:5], s[2:3], vcc
	; wave barrier
	s_and_saveexec_b64 s[2:3], s[4:5]
	s_cbranch_execz .LBB1402_100
; %bb.99:
	v_bcnt_u32_b32 v0, v0, 0
	v_bcnt_u32_b32 v0, v1, v0
	s_waitcnt lgkmcnt(0)
	v_add_u32_e32 v0, v20, v0
	ds_write_b32 v31, v0 offset:64
.LBB1402_100:
	s_or_b64 exec, exec, s[2:3]
	s_waitcnt vmcnt(3)
	v_xor_b32_e32 v33, 0xffff8000, v22
	v_lshrrev_b32_sdwa v0, s48, v33 dst_sel:DWORD dst_unused:UNUSED_PAD src0_sel:DWORD src1_sel:WORD_0
	v_and_b32_e32 v2, s17, v0
	v_and_b32_e32 v1, 1, v2
	v_add_co_u32_e32 v3, vcc, -1, v1
	v_addc_co_u32_e64 v23, s[2:3], 0, -1, vcc
	v_cmp_ne_u32_e32 vcc, 0, v1
	v_mul_u32_u24_e32 v0, 17, v2
	v_xor_b32_e32 v1, vcc_hi, v23
	v_add_lshl_u32 v32, v27, v0, 2
	v_mov_b32_e32 v0, 0
	v_and_b32_e32 v23, exec_hi, v1
	v_lshlrev_b32_e32 v1, 30, v2
	v_xor_b32_e32 v3, vcc_lo, v3
	v_cmp_gt_i64_e32 vcc, 0, v[0:1]
	v_not_b32_e32 v1, v1
	v_ashrrev_i32_e32 v1, 31, v1
	v_and_b32_e32 v3, exec_lo, v3
	v_xor_b32_e32 v25, vcc_hi, v1
	v_xor_b32_e32 v1, vcc_lo, v1
	v_and_b32_e32 v3, v3, v1
	v_lshlrev_b32_e32 v1, 29, v2
	v_cmp_gt_i64_e32 vcc, 0, v[0:1]
	v_not_b32_e32 v1, v1
	v_ashrrev_i32_e32 v1, 31, v1
	v_and_b32_e32 v23, v23, v25
	v_xor_b32_e32 v25, vcc_hi, v1
	v_xor_b32_e32 v1, vcc_lo, v1
	v_and_b32_e32 v3, v3, v1
	v_lshlrev_b32_e32 v1, 28, v2
	v_cmp_gt_i64_e32 vcc, 0, v[0:1]
	v_not_b32_e32 v1, v1
	v_ashrrev_i32_e32 v1, 31, v1
	v_and_b32_e32 v23, v23, v25
	;; [unrolled: 8-line block ×5, first 2 shown]
	v_xor_b32_e32 v25, vcc_hi, v1
	v_xor_b32_e32 v1, vcc_lo, v1
	v_and_b32_e32 v23, v23, v25
	v_and_b32_e32 v25, v3, v1
	v_lshlrev_b32_e32 v1, 24, v2
	v_cmp_gt_i64_e32 vcc, 0, v[0:1]
	v_not_b32_e32 v1, v1
	v_ashrrev_i32_e32 v1, 31, v1
	v_xor_b32_e32 v2, vcc_hi, v1
	v_xor_b32_e32 v1, vcc_lo, v1
	; wave barrier
	ds_read_b32 v22, v32 offset:64
	v_and_b32_e32 v3, v23, v2
	v_and_b32_e32 v2, v25, v1
	v_mbcnt_lo_u32_b32 v1, v2, 0
	v_mbcnt_hi_u32_b32 v23, v3, v1
	v_cmp_eq_u32_e32 vcc, 0, v23
	v_cmp_ne_u64_e64 s[2:3], 0, v[2:3]
	s_and_b64 s[4:5], s[2:3], vcc
	; wave barrier
	s_and_saveexec_b64 s[2:3], s[4:5]
	s_cbranch_execz .LBB1402_102
; %bb.101:
	v_bcnt_u32_b32 v1, v2, 0
	v_bcnt_u32_b32 v1, v3, v1
	s_waitcnt lgkmcnt(0)
	v_add_u32_e32 v1, v22, v1
	ds_write_b32 v32, v1 offset:64
.LBB1402_102:
	s_or_b64 exec, exec, s[2:3]
	s_waitcnt vmcnt(2)
	v_xor_b32_e32 v36, 0xffff8000, v24
	v_lshrrev_b32_sdwa v1, s48, v36 dst_sel:DWORD dst_unused:UNUSED_PAD src0_sel:DWORD src1_sel:WORD_0
	v_and_b32_e32 v2, s17, v1
	v_mul_u32_u24_e32 v1, 17, v2
	v_add_lshl_u32 v35, v27, v1, 2
	v_and_b32_e32 v1, 1, v2
	v_add_co_u32_e32 v3, vcc, -1, v1
	v_addc_co_u32_e64 v25, s[2:3], 0, -1, vcc
	v_cmp_ne_u32_e32 vcc, 0, v1
	v_xor_b32_e32 v1, vcc_hi, v25
	v_and_b32_e32 v25, exec_hi, v1
	v_lshlrev_b32_e32 v1, 30, v2
	v_xor_b32_e32 v3, vcc_lo, v3
	v_cmp_gt_i64_e32 vcc, 0, v[0:1]
	v_not_b32_e32 v1, v1
	v_ashrrev_i32_e32 v1, 31, v1
	v_and_b32_e32 v3, exec_lo, v3
	v_xor_b32_e32 v30, vcc_hi, v1
	v_xor_b32_e32 v1, vcc_lo, v1
	v_and_b32_e32 v3, v3, v1
	v_lshlrev_b32_e32 v1, 29, v2
	v_cmp_gt_i64_e32 vcc, 0, v[0:1]
	v_not_b32_e32 v1, v1
	v_ashrrev_i32_e32 v1, 31, v1
	v_and_b32_e32 v25, v25, v30
	v_xor_b32_e32 v30, vcc_hi, v1
	v_xor_b32_e32 v1, vcc_lo, v1
	v_and_b32_e32 v3, v3, v1
	v_lshlrev_b32_e32 v1, 28, v2
	v_cmp_gt_i64_e32 vcc, 0, v[0:1]
	v_not_b32_e32 v1, v1
	v_ashrrev_i32_e32 v1, 31, v1
	v_and_b32_e32 v25, v25, v30
	;; [unrolled: 8-line block ×5, first 2 shown]
	v_xor_b32_e32 v30, vcc_hi, v1
	v_xor_b32_e32 v1, vcc_lo, v1
	v_and_b32_e32 v3, v3, v1
	v_lshlrev_b32_e32 v1, 24, v2
	v_cmp_gt_i64_e32 vcc, 0, v[0:1]
	v_not_b32_e32 v0, v1
	v_ashrrev_i32_e32 v0, 31, v0
	v_xor_b32_e32 v1, vcc_hi, v0
	v_xor_b32_e32 v0, vcc_lo, v0
	; wave barrier
	ds_read_b32 v24, v35 offset:64
	v_and_b32_e32 v25, v25, v30
	v_and_b32_e32 v0, v3, v0
	;; [unrolled: 1-line block ×3, first 2 shown]
	v_mbcnt_lo_u32_b32 v2, v0, 0
	v_mbcnt_hi_u32_b32 v25, v1, v2
	v_cmp_eq_u32_e32 vcc, 0, v25
	v_cmp_ne_u64_e64 s[2:3], 0, v[0:1]
	s_and_b64 s[4:5], s[2:3], vcc
	; wave barrier
	s_and_saveexec_b64 s[2:3], s[4:5]
	s_cbranch_execz .LBB1402_104
; %bb.103:
	v_bcnt_u32_b32 v0, v0, 0
	v_bcnt_u32_b32 v0, v1, v0
	s_waitcnt lgkmcnt(0)
	v_add_u32_e32 v0, v24, v0
	ds_write_b32 v35, v0 offset:64
.LBB1402_104:
	s_or_b64 exec, exec, s[2:3]
	s_waitcnt vmcnt(1)
	v_xor_b32_e32 v43, 0xffff8000, v26
	v_lshrrev_b32_sdwa v0, s48, v43 dst_sel:DWORD dst_unused:UNUSED_PAD src0_sel:DWORD src1_sel:WORD_0
	v_and_b32_e32 v2, s17, v0
	v_and_b32_e32 v1, 1, v2
	v_add_co_u32_e32 v3, vcc, -1, v1
	v_addc_co_u32_e64 v30, s[2:3], 0, -1, vcc
	v_cmp_ne_u32_e32 vcc, 0, v1
	v_mul_u32_u24_e32 v0, 17, v2
	v_xor_b32_e32 v1, vcc_hi, v30
	v_add_lshl_u32 v41, v27, v0, 2
	v_mov_b32_e32 v0, 0
	v_and_b32_e32 v30, exec_hi, v1
	v_lshlrev_b32_e32 v1, 30, v2
	v_xor_b32_e32 v3, vcc_lo, v3
	v_cmp_gt_i64_e32 vcc, 0, v[0:1]
	v_not_b32_e32 v1, v1
	v_ashrrev_i32_e32 v1, 31, v1
	v_and_b32_e32 v3, exec_lo, v3
	v_xor_b32_e32 v34, vcc_hi, v1
	v_xor_b32_e32 v1, vcc_lo, v1
	v_and_b32_e32 v3, v3, v1
	v_lshlrev_b32_e32 v1, 29, v2
	v_cmp_gt_i64_e32 vcc, 0, v[0:1]
	v_not_b32_e32 v1, v1
	v_ashrrev_i32_e32 v1, 31, v1
	v_and_b32_e32 v30, v30, v34
	v_xor_b32_e32 v34, vcc_hi, v1
	v_xor_b32_e32 v1, vcc_lo, v1
	v_and_b32_e32 v3, v3, v1
	v_lshlrev_b32_e32 v1, 28, v2
	v_cmp_gt_i64_e32 vcc, 0, v[0:1]
	v_not_b32_e32 v1, v1
	v_ashrrev_i32_e32 v1, 31, v1
	v_and_b32_e32 v30, v30, v34
	;; [unrolled: 8-line block ×5, first 2 shown]
	v_xor_b32_e32 v34, vcc_hi, v1
	v_xor_b32_e32 v1, vcc_lo, v1
	v_and_b32_e32 v30, v30, v34
	v_and_b32_e32 v34, v3, v1
	v_lshlrev_b32_e32 v1, 24, v2
	v_cmp_gt_i64_e32 vcc, 0, v[0:1]
	v_not_b32_e32 v1, v1
	v_ashrrev_i32_e32 v1, 31, v1
	v_xor_b32_e32 v2, vcc_hi, v1
	v_xor_b32_e32 v1, vcc_lo, v1
	; wave barrier
	ds_read_b32 v26, v41 offset:64
	v_and_b32_e32 v3, v30, v2
	v_and_b32_e32 v2, v34, v1
	v_mbcnt_lo_u32_b32 v1, v2, 0
	v_mbcnt_hi_u32_b32 v30, v3, v1
	v_cmp_eq_u32_e32 vcc, 0, v30
	v_cmp_ne_u64_e64 s[2:3], 0, v[2:3]
	s_and_b64 s[4:5], s[2:3], vcc
	; wave barrier
	s_and_saveexec_b64 s[2:3], s[4:5]
	s_cbranch_execz .LBB1402_106
; %bb.105:
	v_bcnt_u32_b32 v1, v2, 0
	v_bcnt_u32_b32 v1, v3, v1
	s_waitcnt lgkmcnt(0)
	v_add_u32_e32 v1, v26, v1
	ds_write_b32 v41, v1 offset:64
.LBB1402_106:
	s_or_b64 exec, exec, s[2:3]
	s_waitcnt vmcnt(0)
	v_xor_b32_e32 v13, 0xffff8000, v13
	v_lshrrev_b32_sdwa v1, s48, v13 dst_sel:DWORD dst_unused:UNUSED_PAD src0_sel:DWORD src1_sel:WORD_0
	v_and_b32_e32 v2, s17, v1
	v_mul_u32_u24_e32 v1, 17, v2
	v_add_lshl_u32 v42, v27, v1, 2
	v_and_b32_e32 v1, 1, v2
	v_add_co_u32_e32 v3, vcc, -1, v1
	v_addc_co_u32_e64 v34, s[2:3], 0, -1, vcc
	v_cmp_ne_u32_e32 vcc, 0, v1
	v_xor_b32_e32 v1, vcc_hi, v34
	v_and_b32_e32 v34, exec_hi, v1
	v_lshlrev_b32_e32 v1, 30, v2
	v_xor_b32_e32 v3, vcc_lo, v3
	v_cmp_gt_i64_e32 vcc, 0, v[0:1]
	v_not_b32_e32 v1, v1
	v_ashrrev_i32_e32 v1, 31, v1
	v_and_b32_e32 v3, exec_lo, v3
	v_xor_b32_e32 v38, vcc_hi, v1
	v_xor_b32_e32 v1, vcc_lo, v1
	v_and_b32_e32 v3, v3, v1
	v_lshlrev_b32_e32 v1, 29, v2
	v_cmp_gt_i64_e32 vcc, 0, v[0:1]
	v_not_b32_e32 v1, v1
	v_ashrrev_i32_e32 v1, 31, v1
	v_and_b32_e32 v34, v34, v38
	v_xor_b32_e32 v38, vcc_hi, v1
	v_xor_b32_e32 v1, vcc_lo, v1
	v_and_b32_e32 v3, v3, v1
	v_lshlrev_b32_e32 v1, 28, v2
	v_cmp_gt_i64_e32 vcc, 0, v[0:1]
	v_not_b32_e32 v1, v1
	v_ashrrev_i32_e32 v1, 31, v1
	v_and_b32_e32 v34, v34, v38
	;; [unrolled: 8-line block ×5, first 2 shown]
	v_xor_b32_e32 v38, vcc_hi, v1
	v_xor_b32_e32 v1, vcc_lo, v1
	v_and_b32_e32 v3, v3, v1
	v_lshlrev_b32_e32 v1, 24, v2
	v_cmp_gt_i64_e32 vcc, 0, v[0:1]
	v_not_b32_e32 v0, v1
	v_ashrrev_i32_e32 v0, 31, v0
	v_xor_b32_e32 v1, vcc_hi, v0
	v_xor_b32_e32 v0, vcc_lo, v0
	; wave barrier
	ds_read_b32 v27, v42 offset:64
	v_and_b32_e32 v34, v34, v38
	v_and_b32_e32 v0, v3, v0
	v_and_b32_e32 v1, v34, v1
	v_mbcnt_lo_u32_b32 v2, v0, 0
	v_mbcnt_hi_u32_b32 v34, v1, v2
	v_cmp_eq_u32_e32 vcc, 0, v34
	v_cmp_ne_u64_e64 s[2:3], 0, v[0:1]
	v_add_u32_e32 v37, 64, v6
	s_and_b64 s[4:5], s[2:3], vcc
	; wave barrier
	s_and_saveexec_b64 s[2:3], s[4:5]
	s_cbranch_execz .LBB1402_108
; %bb.107:
	v_bcnt_u32_b32 v0, v0, 0
	v_bcnt_u32_b32 v0, v1, v0
	s_waitcnt lgkmcnt(0)
	v_add_u32_e32 v0, v27, v0
	ds_write_b32 v42, v0 offset:64
.LBB1402_108:
	s_or_b64 exec, exec, s[2:3]
	; wave barrier
	s_waitcnt lgkmcnt(0)
	s_barrier
	ds_read2_b32 v[2:3], v6 offset0:16 offset1:17
	ds_read2_b32 v[0:1], v37 offset0:2 offset1:3
	ds_read_b32 v38, v37 offset:16
	v_cmp_lt_u32_e64 s[8:9], 31, v5
	s_waitcnt lgkmcnt(1)
	v_add3_u32 v39, v3, v2, v0
	s_waitcnt lgkmcnt(0)
	v_add3_u32 v38, v39, v1, v38
	v_and_b32_e32 v39, 15, v5
	v_cmp_eq_u32_e32 vcc, 0, v39
	v_mov_b32_dpp v40, v38 row_shr:1 row_mask:0xf bank_mask:0xf
	v_cndmask_b32_e64 v40, v40, 0, vcc
	v_add_u32_e32 v38, v40, v38
	v_cmp_lt_u32_e64 s[2:3], 1, v39
	v_cmp_lt_u32_e64 s[4:5], 3, v39
	v_mov_b32_dpp v40, v38 row_shr:2 row_mask:0xf bank_mask:0xf
	v_cndmask_b32_e64 v40, 0, v40, s[2:3]
	v_add_u32_e32 v38, v38, v40
	v_cmp_lt_u32_e64 s[6:7], 7, v39
	s_nop 0
	v_mov_b32_dpp v40, v38 row_shr:4 row_mask:0xf bank_mask:0xf
	v_cndmask_b32_e64 v40, 0, v40, s[4:5]
	v_add_u32_e32 v38, v38, v40
	s_nop 1
	v_mov_b32_dpp v40, v38 row_shr:8 row_mask:0xf bank_mask:0xf
	v_cndmask_b32_e64 v39, 0, v40, s[6:7]
	v_add_u32_e32 v38, v38, v39
	v_bfe_i32 v40, v5, 4, 1
	s_nop 0
	v_mov_b32_dpp v39, v38 row_bcast:15 row_mask:0xf bank_mask:0xf
	v_and_b32_e32 v39, v40, v39
	v_add_u32_e32 v38, v38, v39
	v_and_b32_e32 v40, 63, v10
	s_nop 0
	v_mov_b32_dpp v39, v38 row_bcast:31 row_mask:0xf bank_mask:0xf
	v_cndmask_b32_e64 v39, 0, v39, s[8:9]
	v_add_u32_e32 v38, v38, v39
	v_lshrrev_b32_e32 v39, 6, v10
	v_cmp_eq_u32_e64 s[8:9], 63, v40
	s_and_saveexec_b64 s[14:15], s[8:9]
	s_cbranch_execz .LBB1402_110
; %bb.109:
	v_lshlrev_b32_e32 v40, 2, v39
	ds_write_b32 v40, v38
.LBB1402_110:
	s_or_b64 exec, exec, s[14:15]
	v_cmp_gt_u32_e64 s[8:9], 16, v10
	v_lshlrev_b32_e32 v44, 2, v10
	s_waitcnt lgkmcnt(0)
	s_barrier
	s_and_saveexec_b64 s[14:15], s[8:9]
	s_cbranch_execz .LBB1402_112
; %bb.111:
	ds_read_b32 v40, v44
	s_waitcnt lgkmcnt(0)
	s_nop 0
	v_mov_b32_dpp v45, v40 row_shr:1 row_mask:0xf bank_mask:0xf
	v_cndmask_b32_e64 v45, v45, 0, vcc
	v_add_u32_e32 v40, v45, v40
	s_nop 1
	v_mov_b32_dpp v45, v40 row_shr:2 row_mask:0xf bank_mask:0xf
	v_cndmask_b32_e64 v45, 0, v45, s[2:3]
	v_add_u32_e32 v40, v40, v45
	s_nop 1
	v_mov_b32_dpp v45, v40 row_shr:4 row_mask:0xf bank_mask:0xf
	v_cndmask_b32_e64 v45, 0, v45, s[4:5]
	;; [unrolled: 4-line block ×3, first 2 shown]
	v_add_u32_e32 v40, v40, v45
	ds_write_b32 v44, v40
.LBB1402_112:
	s_or_b64 exec, exec, s[14:15]
	v_cmp_lt_u32_e32 vcc, 63, v10
	v_mov_b32_e32 v40, 0
	s_waitcnt lgkmcnt(0)
	s_barrier
	s_and_saveexec_b64 s[2:3], vcc
	s_cbranch_execz .LBB1402_114
; %bb.113:
	v_lshl_add_u32 v39, v39, 2, -4
	ds_read_b32 v40, v39
.LBB1402_114:
	s_or_b64 exec, exec, s[2:3]
	v_add_u32_e32 v39, -1, v5
	v_and_b32_e32 v45, 64, v5
	v_cmp_lt_i32_e32 vcc, v39, v45
	v_cndmask_b32_e32 v39, v39, v5, vcc
	s_waitcnt lgkmcnt(0)
	v_add_u32_e32 v38, v40, v38
	v_lshlrev_b32_e32 v39, 2, v39
	ds_bpermute_b32 v38, v39, v38
	v_cmp_eq_u32_e32 vcc, 0, v5
	s_movk_i32 s2, 0xff
	s_movk_i32 s3, 0x100
	s_waitcnt lgkmcnt(0)
	v_cndmask_b32_e32 v5, v38, v40, vcc
	v_cndmask_b32_e64 v5, v5, 0, s[0:1]
	v_add_u32_e32 v2, v5, v2
	v_add_u32_e32 v3, v2, v3
	;; [unrolled: 1-line block ×4, first 2 shown]
	ds_write2_b32 v6, v5, v2 offset0:16 offset1:17
	ds_write2_b32 v37, v3, v0 offset0:2 offset1:3
	ds_write_b32 v37, v1 offset:16
	s_waitcnt lgkmcnt(0)
	s_barrier
	ds_read_b32 v0, v7 offset:64
	ds_read_b32 v37, v11 offset:64
	;; [unrolled: 1-line block ×8, first 2 shown]
	v_cmp_lt_u32_e64 s[0:1], s2, v10
	v_cmp_gt_u32_e32 vcc, s3, v10
                                        ; implicit-def: $vgpr31
                                        ; implicit-def: $vgpr32
	s_and_saveexec_b64 s[4:5], vcc
	s_cbranch_execz .LBB1402_118
; %bb.115:
	v_mul_u32_u24_e32 v1, 17, v10
	v_lshlrev_b32_e32 v2, 2, v1
	ds_read_b32 v31, v2 offset:64
	v_cmp_ne_u32_e64 s[2:3], s2, v10
	v_mov_b32_e32 v1, 0x2000
	s_and_saveexec_b64 s[6:7], s[2:3]
	s_cbranch_execz .LBB1402_117
; %bb.116:
	ds_read_b32 v1, v2 offset:132
.LBB1402_117:
	s_or_b64 exec, exec, s[6:7]
	s_waitcnt lgkmcnt(0)
	v_sub_u32_e32 v32, v1, v31
.LBB1402_118:
	s_or_b64 exec, exec, s[4:5]
	s_waitcnt lgkmcnt(7)
	v_add_u32_e32 v35, v0, v8
	v_add_u32_e32 v11, v17, v16
	v_lshlrev_b32_e32 v0, 1, v35
	v_add_u32_e32 v7, v19, v18
	s_waitcnt lgkmcnt(0)
	s_barrier
	ds_write_b16 v0, v4 offset:1024
	v_add_lshl_u32 v0, v11, v37, 1
	v_add_u32_e32 v6, v21, v20
	ds_write_b16 v0, v9 offset:1024
	v_add_lshl_u32 v0, v7, v28, 1
	v_add_u32_e32 v5, v23, v22
	;; [unrolled: 3-line block ×5, first 2 shown]
	ds_write_b16 v0, v36 offset:1024
	v_add_lshl_u32 v0, v2, v41, 1
	ds_write_b16 v0, v43 offset:1024
	v_add_lshl_u32 v0, v1, v42, 1
	ds_write_b16 v0, v13 offset:1024
                                        ; implicit-def: $vgpr8_vgpr9
	s_and_saveexec_b64 s[2:3], s[0:1]
	s_xor_b64 s[0:1], exec, s[2:3]
; %bb.119:
	v_mov_b32_e32 v11, 0
	v_pk_mov_b32 v[8:9], v[10:11], v[10:11] op_sel:[0,1]
                                        ; implicit-def: $vgpr44
; %bb.120:
	s_andn2_saveexec_b64 s[2:3], s[0:1]
	s_cbranch_execz .LBB1402_130
; %bb.121:
	v_lshl_or_b32 v0, s33, 8, v10
	v_mov_b32_e32 v1, 0
	v_lshlrev_b64 v[2:3], 2, v[0:1]
	v_mov_b32_e32 v6, s31
	v_add_co_u32_e64 v2, s[0:1], s30, v2
	v_addc_co_u32_e64 v3, s[0:1], v6, v3, s[0:1]
	v_or_b32_e32 v0, 2.0, v32
	s_mov_b64 s[4:5], 0
	s_brev_b32 s14, 1
	s_mov_b32 s15, s33
	v_mov_b32_e32 v7, 0
	global_store_dword v[2:3], v0, off
                                        ; implicit-def: $sgpr0_sgpr1
	s_branch .LBB1402_124
.LBB1402_122:                           ;   in Loop: Header=BB1402_124 Depth=1
	s_or_b64 exec, exec, s[8:9]
.LBB1402_123:                           ;   in Loop: Header=BB1402_124 Depth=1
	s_or_b64 exec, exec, s[6:7]
	v_and_b32_e32 v4, 0x3fffffff, v8
	v_add_u32_e32 v7, v4, v7
	v_cmp_eq_u32_e64 s[0:1], s14, v0
	s_and_b64 s[6:7], exec, s[0:1]
	s_or_b64 s[4:5], s[6:7], s[4:5]
	s_andn2_b64 exec, exec, s[4:5]
	s_cbranch_execz .LBB1402_129
.LBB1402_124:                           ; =>This Loop Header: Depth=1
                                        ;     Child Loop BB1402_127 Depth 2
	s_or_b64 s[0:1], s[0:1], exec
	s_cmp_eq_u32 s15, 0
	s_cbranch_scc1 .LBB1402_128
; %bb.125:                              ;   in Loop: Header=BB1402_124 Depth=1
	s_add_i32 s15, s15, -1
	v_lshl_or_b32 v0, s15, 8, v10
	v_lshlrev_b64 v[4:5], 2, v[0:1]
	v_add_co_u32_e64 v4, s[0:1], s30, v4
	v_addc_co_u32_e64 v5, s[0:1], v6, v5, s[0:1]
	global_load_dword v8, v[4:5], off glc
	s_waitcnt vmcnt(0)
	v_and_b32_e32 v0, -2.0, v8
	v_cmp_eq_u32_e64 s[0:1], 0, v0
	s_and_saveexec_b64 s[6:7], s[0:1]
	s_cbranch_execz .LBB1402_123
; %bb.126:                              ;   in Loop: Header=BB1402_124 Depth=1
	s_mov_b64 s[8:9], 0
.LBB1402_127:                           ;   Parent Loop BB1402_124 Depth=1
                                        ; =>  This Inner Loop Header: Depth=2
	global_load_dword v8, v[4:5], off glc
	s_waitcnt vmcnt(0)
	v_and_b32_e32 v0, -2.0, v8
	v_cmp_ne_u32_e64 s[0:1], 0, v0
	s_or_b64 s[8:9], s[0:1], s[8:9]
	s_andn2_b64 exec, exec, s[8:9]
	s_cbranch_execnz .LBB1402_127
	s_branch .LBB1402_122
.LBB1402_128:                           ;   in Loop: Header=BB1402_124 Depth=1
                                        ; implicit-def: $sgpr15
	s_and_b64 s[6:7], exec, s[0:1]
	s_or_b64 s[4:5], s[6:7], s[4:5]
	s_andn2_b64 exec, exec, s[4:5]
	s_cbranch_execnz .LBB1402_124
.LBB1402_129:
	s_or_b64 exec, exec, s[4:5]
	v_add_u32_e32 v0, v7, v32
	v_or_b32_e32 v0, 0x80000000, v0
	global_store_dword v[2:3], v0, off
	global_load_dword v0, v44, s[44:45]
	v_mov_b32_e32 v11, 0
	v_sub_u32_e32 v1, v7, v31
	v_pk_mov_b32 v[8:9], v[10:11], v[10:11] op_sel:[0,1]
	s_waitcnt vmcnt(0)
	v_add_u32_e32 v0, v1, v0
	ds_write_b32 v44, v0
.LBB1402_130:
	s_or_b64 exec, exec, s[2:3]
	v_lshlrev_b32_e32 v0, 1, v8
	s_waitcnt lgkmcnt(0)
	s_barrier
	v_lshlrev_b32_e32 v11, 1, v10
	ds_read_u16 v1, v0 offset:1024
	ds_read_u16 v2, v11 offset:3072
	;; [unrolled: 1-line block ×5, first 2 shown]
	s_waitcnt lgkmcnt(4)
	v_lshrrev_b32_sdwa v0, s48, v1 dst_sel:DWORD dst_unused:UNUSED_PAD src0_sel:DWORD src1_sel:WORD_0
	v_and_b32_e32 v0, s17, v0
	v_lshlrev_b32_e32 v3, 2, v0
	ds_read_b32 v4, v3
	s_waitcnt lgkmcnt(3)
	v_lshrrev_b32_sdwa v3, s48, v29 dst_sel:DWORD dst_unused:UNUSED_PAD src0_sel:DWORD src1_sel:WORD_0
	v_and_b32_e32 v3, s17, v3
	s_waitcnt lgkmcnt(2)
	v_lshrrev_b32_sdwa v5, s48, v33 dst_sel:DWORD dst_unused:UNUSED_PAD src0_sel:DWORD src1_sel:WORD_0
	v_lshlrev_b32_e32 v6, 2, v3
	v_and_b32_e32 v5, s17, v5
	s_waitcnt lgkmcnt(0)
	v_add_u32_e32 v12, v4, v10
	v_mov_b32_e32 v13, 0
	v_lshlrev_b32_e32 v7, 2, v5
	ds_read_b32 v43, v6
	ds_read_b32 v46, v7
	v_lshrrev_b32_sdwa v6, s48, v36 dst_sel:DWORD dst_unused:UNUSED_PAD src0_sel:DWORD src1_sel:WORD_0
	v_lshlrev_b64 v[44:45], 1, v[12:13]
	v_and_b32_e32 v7, s17, v6
	v_mov_b32_e32 v4, s39
	v_add_co_u32_e64 v44, s[0:1], s38, v44
	v_lshlrev_b32_e32 v6, 2, v7
	v_addc_co_u32_e64 v45, s[0:1], v4, v45, s[0:1]
	v_xor_b32_e32 v1, 0xffff8000, v1
	ds_read_b32 v47, v6
	ds_read_u16 v48, v11 offset:5120
	ds_read_u16 v49, v11 offset:9216
	;; [unrolled: 1-line block ×3, first 2 shown]
	global_store_short v[44:45], v1, off
	v_lshrrev_b32_sdwa v1, s48, v2 dst_sel:DWORD dst_unused:UNUSED_PAD src0_sel:DWORD src1_sel:WORD_0
	v_and_b32_e32 v1, s17, v1
	v_lshlrev_b32_e32 v4, 2, v1
	ds_read_b32 v4, v4
	s_movk_i32 s2, 0x400
	v_xor_b32_e32 v2, 0xffff8000, v2
	v_mov_b32_e32 v53, s39
	v_lshlrev_b32_e32 v14, 3, v14
	s_waitcnt lgkmcnt(0)
	v_add3_u32 v12, v4, v10, s2
	v_lshlrev_b64 v[44:45], 1, v[12:13]
	v_mov_b32_e32 v4, s39
	v_add_co_u32_e64 v44, s[0:1], s38, v44
	v_addc_co_u32_e64 v45, s[0:1], v4, v45, s[0:1]
	global_store_short v[44:45], v2, off
	v_lshrrev_b32_sdwa v2, s48, v48 dst_sel:DWORD dst_unused:UNUSED_PAD src0_sel:DWORD src1_sel:WORD_0
	v_and_b32_e32 v2, s17, v2
	v_lshlrev_b32_e32 v4, 2, v2
	ds_read_b32 v12, v4
	v_lshrrev_b32_sdwa v4, s48, v49 dst_sel:DWORD dst_unused:UNUSED_PAD src0_sel:DWORD src1_sel:WORD_0
	v_and_b32_e32 v4, s17, v4
	v_lshlrev_b32_e32 v6, 2, v4
	ds_read_b32 v51, v6
	v_lshrrev_b32_sdwa v6, s48, v50 dst_sel:DWORD dst_unused:UNUSED_PAD src0_sel:DWORD src1_sel:WORD_0
	s_movk_i32 s0, 0x800
	v_and_b32_e32 v6, s17, v6
	v_lshlrev_b32_e32 v44, 2, v6
	s_waitcnt lgkmcnt(1)
	v_add3_u32 v12, v12, v10, s0
	ds_read_b32 v52, v44
	v_lshlrev_b64 v[44:45], 1, v[12:13]
	v_add_co_u32_e64 v44, s[0:1], s38, v44
	v_addc_co_u32_e64 v45, s[0:1], v53, v45, s[0:1]
	v_xor_b32_e32 v12, 0xffff8000, v48
	s_movk_i32 s0, 0xc00
	global_store_short v[44:45], v12, off
	v_add3_u32 v12, v43, v10, s0
	v_lshlrev_b64 v[44:45], 1, v[12:13]
	v_mov_b32_e32 v43, s39
	v_add_co_u32_e64 v44, s[0:1], s38, v44
	v_addc_co_u32_e64 v45, s[0:1], v43, v45, s[0:1]
	v_xor_b32_e32 v12, 0xffff8000, v29
	s_movk_i32 s0, 0x1000
	global_store_short v[44:45], v12, off
	s_waitcnt lgkmcnt(1)
	v_add3_u32 v12, v51, v10, s0
	v_lshlrev_b64 v[44:45], 1, v[12:13]
	v_mov_b32_e32 v29, s39
	v_add_co_u32_e64 v44, s[0:1], s38, v44
	v_addc_co_u32_e64 v45, s[0:1], v29, v45, s[0:1]
	v_xor_b32_e32 v12, 0xffff8000, v49
	s_movk_i32 s0, 0x1400
	global_store_short v[44:45], v12, off
	v_add3_u32 v12, v46, v10, s0
	v_lshlrev_b64 v[44:45], 1, v[12:13]
	v_add_co_u32_e64 v44, s[0:1], s38, v44
	v_addc_co_u32_e64 v45, s[0:1], v29, v45, s[0:1]
	v_xor_b32_e32 v12, 0xffff8000, v33
	s_movk_i32 s0, 0x1800
	global_store_short v[44:45], v12, off
	s_waitcnt lgkmcnt(0)
	v_add3_u32 v12, v52, v10, s0
	v_lshlrev_b64 v[44:45], 1, v[12:13]
	v_add_co_u32_e64 v44, s[0:1], s38, v44
	v_addc_co_u32_e64 v45, s[0:1], v29, v45, s[0:1]
	v_xor_b32_e32 v12, 0xffff8000, v50
	s_movk_i32 s0, 0x1c00
	global_store_short v[44:45], v12, off
	v_add3_u32 v12, v47, v10, s0
	v_lshlrev_b64 v[44:45], 1, v[12:13]
	v_add_co_u32_e64 v44, s[0:1], s38, v44
	v_addc_co_u32_e64 v45, s[0:1], v29, v45, s[0:1]
	s_lshl_b64 s[0:1], s[12:13], 3
	v_xor_b32_e32 v12, 0xffff8000, v36
	s_add_u32 s0, s40, s0
	global_store_short v[44:45], v12, off
	s_addc_u32 s1, s41, s1
	v_lshlrev_b32_e32 v12, 3, v15
	v_mov_b32_e32 v15, s1
	v_add_co_u32_e64 v12, s[0:1], s0, v12
	v_addc_co_u32_e64 v15, s[0:1], 0, v15, s[0:1]
	v_add3_u32 v33, v34, v42, v27
	v_add3_u32 v34, v25, v40, v24
	v_add_co_u32_e64 v40, s[0:1], v12, v14
	v_add3_u32 v30, v30, v41, v26
	v_addc_co_u32_e64 v41, s[0:1], 0, v15, s[0:1]
	v_add3_u32 v36, v23, v39, v22
	v_add3_u32 v38, v21, v38, v20
	;; [unrolled: 1-line block ×4, first 2 shown]
	global_load_dwordx2 v[14:15], v[40:41], off
	global_load_dwordx2 v[16:17], v[40:41], off offset:512
	global_load_dwordx2 v[18:19], v[40:41], off offset:1024
	;; [unrolled: 1-line block ×7, first 2 shown]
	v_add_u32_e32 v11, 0x400, v11
	v_mul_u32_u24_e32 v12, 6, v10
	v_add_u32_e32 v11, v11, v12
	s_mov_b32 s3, 1
	s_mov_b32 s4, 0
	v_lshlrev_b32_e32 v40, 3, v8
	s_barrier
	s_waitcnt vmcnt(0)
.LBB1402_131:                           ; =>This Inner Loop Header: Depth=1
	v_add_u32_e32 v12, s4, v35
	v_min_u32_e32 v12, 0x800, v12
	v_lshlrev_b32_e32 v12, 3, v12
	ds_write_b64 v12, v[14:15] offset:1024
	v_add_u32_e32 v12, s4, v37
	v_min_u32_e32 v12, 0x800, v12
	v_lshlrev_b32_e32 v12, 3, v12
	ds_write_b64 v12, v[16:17] offset:1024
	;; [unrolled: 4-line block ×7, first 2 shown]
	v_add_u32_e32 v12, s4, v33
	s_add_i32 s5, s3, -1
	v_min_u32_e32 v12, 0x800, v12
	s_cmp_eq_u32 s5, 1
	v_lshlrev_b32_e32 v12, 3, v12
	s_cselect_b64 s[0:1], -1, 0
	s_cmp_eq_u32 s5, 2
	ds_write_b64 v12, v[28:29] offset:1024
	v_cndmask_b32_e64 v12, v0, v1, s[0:1]
	s_cselect_b64 s[0:1], -1, 0
	s_cmp_eq_u32 s5, 3
	v_cndmask_b32_e64 v12, v12, v2, s[0:1]
	s_cselect_b64 s[0:1], -1, 0
	s_cmp_eq_u32 s5, 4
	;; [unrolled: 3-line block ×10, first 2 shown]
	v_lshlrev_b32_e32 v12, 2, v12
	v_cndmask_b32_e64 v41, v41, v4, s[0:1]
	s_cselect_b64 s[0:1], -1, 0
	s_cmp_eq_u32 s3, 6
	s_waitcnt lgkmcnt(0)
	s_barrier
	ds_read_b32 v12, v12
	v_cndmask_b32_e64 v41, v41, v5, s[0:1]
	s_cselect_b64 s[0:1], -1, 0
	s_cmp_eq_u32 s3, 7
	v_cndmask_b32_e64 v41, v41, v6, s[0:1]
	s_cselect_b64 s[0:1], -1, 0
	v_cndmask_b32_e64 v41, v41, v7, s[0:1]
	v_lshlrev_b32_e32 v41, 2, v41
	ds_read_b32 v41, v41
	ds_read_b64 v[42:43], v11 offset:8192
	ds_read_b64 v[46:47], v40 offset:1024
	s_waitcnt lgkmcnt(3)
	v_add_u32_e32 v12, v10, v12
	v_lshlrev_b64 v[44:45], 3, v[12:13]
	v_mov_b32_e32 v48, s43
	v_add_co_u32_e64 v44, s[0:1], s42, v44
	v_addc_co_u32_e64 v45, s[0:1], v48, v45, s[0:1]
	s_waitcnt lgkmcnt(2)
	v_add3_u32 v12, v10, v41, s2
	s_waitcnt lgkmcnt(0)
	global_store_dwordx2 v[44:45], v[46:47], off
	v_lshlrev_b64 v[44:45], 3, v[12:13]
	v_add_co_u32_e64 v44, s[0:1], s42, v44
	s_addk_i32 s4, 0xf800
	s_add_i32 s3, s3, 2
	v_addc_co_u32_e64 v45, s[0:1], v48, v45, s[0:1]
	s_cmpk_lg_i32 s4, 0xe000
	v_add_u32_e32 v10, 0x800, v10
	global_store_dwordx2 v[44:45], v[42:43], off
	s_barrier
	s_cbranch_scc1 .LBB1402_131
; %bb.132:
	s_add_i32 s16, s16, -1
	s_cmp_eq_u32 s16, s33
	s_cselect_b64 s[0:1], -1, 0
	s_and_b64 s[2:3], vcc, s[0:1]
                                        ; implicit-def: $vgpr2
	s_and_saveexec_b64 s[0:1], s[2:3]
; %bb.133:
	v_add_u32_e32 v2, v31, v32
	s_or_b64 s[10:11], s[10:11], exec
; %bb.134:
	s_or_b64 exec, exec, s[0:1]
	v_mov_b32_e32 v10, v8
.LBB1402_135:
	s_and_saveexec_b64 s[0:1], s[10:11]
	s_cbranch_execnz .LBB1402_137
; %bb.136:
	s_endpgm
.LBB1402_137:
	v_lshlrev_b32_e32 v3, 2, v10
	ds_read_b32 v3, v3
	v_lshlrev_b64 v[0:1], 2, v[8:9]
	v_mov_b32_e32 v4, s47
	v_add_co_u32_e32 v0, vcc, s46, v0
	v_addc_co_u32_e32 v1, vcc, v4, v1, vcc
	s_waitcnt lgkmcnt(0)
	v_add_u32_e32 v2, v3, v2
	global_store_dword v[0:1], v2, off
	s_endpgm
.LBB1402_138:
	global_load_dwordx2 v[12:13], v[28:29], off
	s_or_b64 exec, exec, s[20:21]
                                        ; implicit-def: $vgpr14_vgpr15
	s_and_saveexec_b64 s[20:21], s[2:3]
	s_cbranch_execz .LBB1402_75
.LBB1402_139:
	global_load_dwordx2 v[14:15], v[28:29], off offset:512
	s_or_b64 exec, exec, s[20:21]
                                        ; implicit-def: $vgpr16_vgpr17
	s_and_saveexec_b64 s[2:3], s[26:27]
	s_cbranch_execz .LBB1402_76
.LBB1402_140:
	global_load_dwordx2 v[16:17], v[28:29], off offset:1024
	s_or_b64 exec, exec, s[2:3]
                                        ; implicit-def: $vgpr18_vgpr19
	s_and_saveexec_b64 s[2:3], s[8:9]
	s_cbranch_execz .LBB1402_77
.LBB1402_141:
	global_load_dwordx2 v[18:19], v[28:29], off offset:1536
	s_or_b64 exec, exec, s[2:3]
                                        ; implicit-def: $vgpr20_vgpr21
	s_and_saveexec_b64 s[2:3], s[10:11]
	s_cbranch_execz .LBB1402_78
.LBB1402_142:
	global_load_dwordx2 v[20:21], v[28:29], off offset:2048
	s_or_b64 exec, exec, s[2:3]
                                        ; implicit-def: $vgpr22_vgpr23
	s_and_saveexec_b64 s[2:3], s[12:13]
	s_cbranch_execz .LBB1402_79
.LBB1402_143:
	global_load_dwordx2 v[22:23], v[28:29], off offset:2560
	s_or_b64 exec, exec, s[2:3]
                                        ; implicit-def: $vgpr24_vgpr25
	s_and_saveexec_b64 s[2:3], s[14:15]
	s_cbranch_execz .LBB1402_80
.LBB1402_144:
	global_load_dwordx2 v[24:25], v[28:29], off offset:3072
	s_or_b64 exec, exec, s[2:3]
                                        ; implicit-def: $vgpr26_vgpr27
	s_and_saveexec_b64 s[2:3], s[16:17]
	s_cbranch_execnz .LBB1402_81
	s_branch .LBB1402_82
	.section	.rodata,"a",@progbits
	.p2align	6, 0x0
	.amdhsa_kernel _ZN7rocprim17ROCPRIM_400000_NS6detail17trampoline_kernelINS0_14default_configENS1_35radix_sort_onesweep_config_selectorIslEEZZNS1_29radix_sort_onesweep_iterationIS3_Lb0EPsS7_N6thrust23THRUST_200600_302600_NS10device_ptrIlEESB_jNS0_19identity_decomposerENS1_16block_id_wrapperIjLb1EEEEE10hipError_tT1_PNSt15iterator_traitsISG_E10value_typeET2_T3_PNSH_ISM_E10value_typeET4_T5_PSR_SS_PNS1_23onesweep_lookback_stateEbbT6_jjT7_P12ihipStream_tbENKUlT_T0_SG_SL_E_clIS7_S7_SB_SB_EEDaSZ_S10_SG_SL_EUlSZ_E_NS1_11comp_targetILNS1_3genE4ELNS1_11target_archE910ELNS1_3gpuE8ELNS1_3repE0EEENS1_47radix_sort_onesweep_sort_config_static_selectorELNS0_4arch9wavefront6targetE1EEEvSG_
		.amdhsa_group_segment_fixed_size 20552
		.amdhsa_private_segment_fixed_size 0
		.amdhsa_kernarg_size 344
		.amdhsa_user_sgpr_count 6
		.amdhsa_user_sgpr_private_segment_buffer 1
		.amdhsa_user_sgpr_dispatch_ptr 0
		.amdhsa_user_sgpr_queue_ptr 0
		.amdhsa_user_sgpr_kernarg_segment_ptr 1
		.amdhsa_user_sgpr_dispatch_id 0
		.amdhsa_user_sgpr_flat_scratch_init 0
		.amdhsa_user_sgpr_kernarg_preload_length 0
		.amdhsa_user_sgpr_kernarg_preload_offset 0
		.amdhsa_user_sgpr_private_segment_size 0
		.amdhsa_uses_dynamic_stack 0
		.amdhsa_system_sgpr_private_segment_wavefront_offset 0
		.amdhsa_system_sgpr_workgroup_id_x 1
		.amdhsa_system_sgpr_workgroup_id_y 0
		.amdhsa_system_sgpr_workgroup_id_z 0
		.amdhsa_system_sgpr_workgroup_info 0
		.amdhsa_system_vgpr_workitem_id 2
		.amdhsa_next_free_vgpr 55
		.amdhsa_next_free_sgpr 56
		.amdhsa_accum_offset 56
		.amdhsa_reserve_vcc 1
		.amdhsa_reserve_flat_scratch 0
		.amdhsa_float_round_mode_32 0
		.amdhsa_float_round_mode_16_64 0
		.amdhsa_float_denorm_mode_32 3
		.amdhsa_float_denorm_mode_16_64 3
		.amdhsa_dx10_clamp 1
		.amdhsa_ieee_mode 1
		.amdhsa_fp16_overflow 0
		.amdhsa_tg_split 0
		.amdhsa_exception_fp_ieee_invalid_op 0
		.amdhsa_exception_fp_denorm_src 0
		.amdhsa_exception_fp_ieee_div_zero 0
		.amdhsa_exception_fp_ieee_overflow 0
		.amdhsa_exception_fp_ieee_underflow 0
		.amdhsa_exception_fp_ieee_inexact 0
		.amdhsa_exception_int_div_zero 0
	.end_amdhsa_kernel
	.section	.text._ZN7rocprim17ROCPRIM_400000_NS6detail17trampoline_kernelINS0_14default_configENS1_35radix_sort_onesweep_config_selectorIslEEZZNS1_29radix_sort_onesweep_iterationIS3_Lb0EPsS7_N6thrust23THRUST_200600_302600_NS10device_ptrIlEESB_jNS0_19identity_decomposerENS1_16block_id_wrapperIjLb1EEEEE10hipError_tT1_PNSt15iterator_traitsISG_E10value_typeET2_T3_PNSH_ISM_E10value_typeET4_T5_PSR_SS_PNS1_23onesweep_lookback_stateEbbT6_jjT7_P12ihipStream_tbENKUlT_T0_SG_SL_E_clIS7_S7_SB_SB_EEDaSZ_S10_SG_SL_EUlSZ_E_NS1_11comp_targetILNS1_3genE4ELNS1_11target_archE910ELNS1_3gpuE8ELNS1_3repE0EEENS1_47radix_sort_onesweep_sort_config_static_selectorELNS0_4arch9wavefront6targetE1EEEvSG_,"axG",@progbits,_ZN7rocprim17ROCPRIM_400000_NS6detail17trampoline_kernelINS0_14default_configENS1_35radix_sort_onesweep_config_selectorIslEEZZNS1_29radix_sort_onesweep_iterationIS3_Lb0EPsS7_N6thrust23THRUST_200600_302600_NS10device_ptrIlEESB_jNS0_19identity_decomposerENS1_16block_id_wrapperIjLb1EEEEE10hipError_tT1_PNSt15iterator_traitsISG_E10value_typeET2_T3_PNSH_ISM_E10value_typeET4_T5_PSR_SS_PNS1_23onesweep_lookback_stateEbbT6_jjT7_P12ihipStream_tbENKUlT_T0_SG_SL_E_clIS7_S7_SB_SB_EEDaSZ_S10_SG_SL_EUlSZ_E_NS1_11comp_targetILNS1_3genE4ELNS1_11target_archE910ELNS1_3gpuE8ELNS1_3repE0EEENS1_47radix_sort_onesweep_sort_config_static_selectorELNS0_4arch9wavefront6targetE1EEEvSG_,comdat
.Lfunc_end1402:
	.size	_ZN7rocprim17ROCPRIM_400000_NS6detail17trampoline_kernelINS0_14default_configENS1_35radix_sort_onesweep_config_selectorIslEEZZNS1_29radix_sort_onesweep_iterationIS3_Lb0EPsS7_N6thrust23THRUST_200600_302600_NS10device_ptrIlEESB_jNS0_19identity_decomposerENS1_16block_id_wrapperIjLb1EEEEE10hipError_tT1_PNSt15iterator_traitsISG_E10value_typeET2_T3_PNSH_ISM_E10value_typeET4_T5_PSR_SS_PNS1_23onesweep_lookback_stateEbbT6_jjT7_P12ihipStream_tbENKUlT_T0_SG_SL_E_clIS7_S7_SB_SB_EEDaSZ_S10_SG_SL_EUlSZ_E_NS1_11comp_targetILNS1_3genE4ELNS1_11target_archE910ELNS1_3gpuE8ELNS1_3repE0EEENS1_47radix_sort_onesweep_sort_config_static_selectorELNS0_4arch9wavefront6targetE1EEEvSG_, .Lfunc_end1402-_ZN7rocprim17ROCPRIM_400000_NS6detail17trampoline_kernelINS0_14default_configENS1_35radix_sort_onesweep_config_selectorIslEEZZNS1_29radix_sort_onesweep_iterationIS3_Lb0EPsS7_N6thrust23THRUST_200600_302600_NS10device_ptrIlEESB_jNS0_19identity_decomposerENS1_16block_id_wrapperIjLb1EEEEE10hipError_tT1_PNSt15iterator_traitsISG_E10value_typeET2_T3_PNSH_ISM_E10value_typeET4_T5_PSR_SS_PNS1_23onesweep_lookback_stateEbbT6_jjT7_P12ihipStream_tbENKUlT_T0_SG_SL_E_clIS7_S7_SB_SB_EEDaSZ_S10_SG_SL_EUlSZ_E_NS1_11comp_targetILNS1_3genE4ELNS1_11target_archE910ELNS1_3gpuE8ELNS1_3repE0EEENS1_47radix_sort_onesweep_sort_config_static_selectorELNS0_4arch9wavefront6targetE1EEEvSG_
                                        ; -- End function
	.section	.AMDGPU.csdata,"",@progbits
; Kernel info:
; codeLenInByte = 13768
; NumSgprs: 60
; NumVgprs: 55
; NumAgprs: 0
; TotalNumVgprs: 55
; ScratchSize: 0
; MemoryBound: 0
; FloatMode: 240
; IeeeMode: 1
; LDSByteSize: 20552 bytes/workgroup (compile time only)
; SGPRBlocks: 7
; VGPRBlocks: 6
; NumSGPRsForWavesPerEU: 60
; NumVGPRsForWavesPerEU: 55
; AccumOffset: 56
; Occupancy: 8
; WaveLimiterHint : 1
; COMPUTE_PGM_RSRC2:SCRATCH_EN: 0
; COMPUTE_PGM_RSRC2:USER_SGPR: 6
; COMPUTE_PGM_RSRC2:TRAP_HANDLER: 0
; COMPUTE_PGM_RSRC2:TGID_X_EN: 1
; COMPUTE_PGM_RSRC2:TGID_Y_EN: 0
; COMPUTE_PGM_RSRC2:TGID_Z_EN: 0
; COMPUTE_PGM_RSRC2:TIDIG_COMP_CNT: 2
; COMPUTE_PGM_RSRC3_GFX90A:ACCUM_OFFSET: 13
; COMPUTE_PGM_RSRC3_GFX90A:TG_SPLIT: 0
	.section	.text._ZN7rocprim17ROCPRIM_400000_NS6detail17trampoline_kernelINS0_14default_configENS1_35radix_sort_onesweep_config_selectorIslEEZZNS1_29radix_sort_onesweep_iterationIS3_Lb0EPsS7_N6thrust23THRUST_200600_302600_NS10device_ptrIlEESB_jNS0_19identity_decomposerENS1_16block_id_wrapperIjLb1EEEEE10hipError_tT1_PNSt15iterator_traitsISG_E10value_typeET2_T3_PNSH_ISM_E10value_typeET4_T5_PSR_SS_PNS1_23onesweep_lookback_stateEbbT6_jjT7_P12ihipStream_tbENKUlT_T0_SG_SL_E_clIS7_S7_SB_SB_EEDaSZ_S10_SG_SL_EUlSZ_E_NS1_11comp_targetILNS1_3genE3ELNS1_11target_archE908ELNS1_3gpuE7ELNS1_3repE0EEENS1_47radix_sort_onesweep_sort_config_static_selectorELNS0_4arch9wavefront6targetE1EEEvSG_,"axG",@progbits,_ZN7rocprim17ROCPRIM_400000_NS6detail17trampoline_kernelINS0_14default_configENS1_35radix_sort_onesweep_config_selectorIslEEZZNS1_29radix_sort_onesweep_iterationIS3_Lb0EPsS7_N6thrust23THRUST_200600_302600_NS10device_ptrIlEESB_jNS0_19identity_decomposerENS1_16block_id_wrapperIjLb1EEEEE10hipError_tT1_PNSt15iterator_traitsISG_E10value_typeET2_T3_PNSH_ISM_E10value_typeET4_T5_PSR_SS_PNS1_23onesweep_lookback_stateEbbT6_jjT7_P12ihipStream_tbENKUlT_T0_SG_SL_E_clIS7_S7_SB_SB_EEDaSZ_S10_SG_SL_EUlSZ_E_NS1_11comp_targetILNS1_3genE3ELNS1_11target_archE908ELNS1_3gpuE7ELNS1_3repE0EEENS1_47radix_sort_onesweep_sort_config_static_selectorELNS0_4arch9wavefront6targetE1EEEvSG_,comdat
	.protected	_ZN7rocprim17ROCPRIM_400000_NS6detail17trampoline_kernelINS0_14default_configENS1_35radix_sort_onesweep_config_selectorIslEEZZNS1_29radix_sort_onesweep_iterationIS3_Lb0EPsS7_N6thrust23THRUST_200600_302600_NS10device_ptrIlEESB_jNS0_19identity_decomposerENS1_16block_id_wrapperIjLb1EEEEE10hipError_tT1_PNSt15iterator_traitsISG_E10value_typeET2_T3_PNSH_ISM_E10value_typeET4_T5_PSR_SS_PNS1_23onesweep_lookback_stateEbbT6_jjT7_P12ihipStream_tbENKUlT_T0_SG_SL_E_clIS7_S7_SB_SB_EEDaSZ_S10_SG_SL_EUlSZ_E_NS1_11comp_targetILNS1_3genE3ELNS1_11target_archE908ELNS1_3gpuE7ELNS1_3repE0EEENS1_47radix_sort_onesweep_sort_config_static_selectorELNS0_4arch9wavefront6targetE1EEEvSG_ ; -- Begin function _ZN7rocprim17ROCPRIM_400000_NS6detail17trampoline_kernelINS0_14default_configENS1_35radix_sort_onesweep_config_selectorIslEEZZNS1_29radix_sort_onesweep_iterationIS3_Lb0EPsS7_N6thrust23THRUST_200600_302600_NS10device_ptrIlEESB_jNS0_19identity_decomposerENS1_16block_id_wrapperIjLb1EEEEE10hipError_tT1_PNSt15iterator_traitsISG_E10value_typeET2_T3_PNSH_ISM_E10value_typeET4_T5_PSR_SS_PNS1_23onesweep_lookback_stateEbbT6_jjT7_P12ihipStream_tbENKUlT_T0_SG_SL_E_clIS7_S7_SB_SB_EEDaSZ_S10_SG_SL_EUlSZ_E_NS1_11comp_targetILNS1_3genE3ELNS1_11target_archE908ELNS1_3gpuE7ELNS1_3repE0EEENS1_47radix_sort_onesweep_sort_config_static_selectorELNS0_4arch9wavefront6targetE1EEEvSG_
	.globl	_ZN7rocprim17ROCPRIM_400000_NS6detail17trampoline_kernelINS0_14default_configENS1_35radix_sort_onesweep_config_selectorIslEEZZNS1_29radix_sort_onesweep_iterationIS3_Lb0EPsS7_N6thrust23THRUST_200600_302600_NS10device_ptrIlEESB_jNS0_19identity_decomposerENS1_16block_id_wrapperIjLb1EEEEE10hipError_tT1_PNSt15iterator_traitsISG_E10value_typeET2_T3_PNSH_ISM_E10value_typeET4_T5_PSR_SS_PNS1_23onesweep_lookback_stateEbbT6_jjT7_P12ihipStream_tbENKUlT_T0_SG_SL_E_clIS7_S7_SB_SB_EEDaSZ_S10_SG_SL_EUlSZ_E_NS1_11comp_targetILNS1_3genE3ELNS1_11target_archE908ELNS1_3gpuE7ELNS1_3repE0EEENS1_47radix_sort_onesweep_sort_config_static_selectorELNS0_4arch9wavefront6targetE1EEEvSG_
	.p2align	8
	.type	_ZN7rocprim17ROCPRIM_400000_NS6detail17trampoline_kernelINS0_14default_configENS1_35radix_sort_onesweep_config_selectorIslEEZZNS1_29radix_sort_onesweep_iterationIS3_Lb0EPsS7_N6thrust23THRUST_200600_302600_NS10device_ptrIlEESB_jNS0_19identity_decomposerENS1_16block_id_wrapperIjLb1EEEEE10hipError_tT1_PNSt15iterator_traitsISG_E10value_typeET2_T3_PNSH_ISM_E10value_typeET4_T5_PSR_SS_PNS1_23onesweep_lookback_stateEbbT6_jjT7_P12ihipStream_tbENKUlT_T0_SG_SL_E_clIS7_S7_SB_SB_EEDaSZ_S10_SG_SL_EUlSZ_E_NS1_11comp_targetILNS1_3genE3ELNS1_11target_archE908ELNS1_3gpuE7ELNS1_3repE0EEENS1_47radix_sort_onesweep_sort_config_static_selectorELNS0_4arch9wavefront6targetE1EEEvSG_,@function
_ZN7rocprim17ROCPRIM_400000_NS6detail17trampoline_kernelINS0_14default_configENS1_35radix_sort_onesweep_config_selectorIslEEZZNS1_29radix_sort_onesweep_iterationIS3_Lb0EPsS7_N6thrust23THRUST_200600_302600_NS10device_ptrIlEESB_jNS0_19identity_decomposerENS1_16block_id_wrapperIjLb1EEEEE10hipError_tT1_PNSt15iterator_traitsISG_E10value_typeET2_T3_PNSH_ISM_E10value_typeET4_T5_PSR_SS_PNS1_23onesweep_lookback_stateEbbT6_jjT7_P12ihipStream_tbENKUlT_T0_SG_SL_E_clIS7_S7_SB_SB_EEDaSZ_S10_SG_SL_EUlSZ_E_NS1_11comp_targetILNS1_3genE3ELNS1_11target_archE908ELNS1_3gpuE7ELNS1_3repE0EEENS1_47radix_sort_onesweep_sort_config_static_selectorELNS0_4arch9wavefront6targetE1EEEvSG_: ; @_ZN7rocprim17ROCPRIM_400000_NS6detail17trampoline_kernelINS0_14default_configENS1_35radix_sort_onesweep_config_selectorIslEEZZNS1_29radix_sort_onesweep_iterationIS3_Lb0EPsS7_N6thrust23THRUST_200600_302600_NS10device_ptrIlEESB_jNS0_19identity_decomposerENS1_16block_id_wrapperIjLb1EEEEE10hipError_tT1_PNSt15iterator_traitsISG_E10value_typeET2_T3_PNSH_ISM_E10value_typeET4_T5_PSR_SS_PNS1_23onesweep_lookback_stateEbbT6_jjT7_P12ihipStream_tbENKUlT_T0_SG_SL_E_clIS7_S7_SB_SB_EEDaSZ_S10_SG_SL_EUlSZ_E_NS1_11comp_targetILNS1_3genE3ELNS1_11target_archE908ELNS1_3gpuE7ELNS1_3repE0EEENS1_47radix_sort_onesweep_sort_config_static_selectorELNS0_4arch9wavefront6targetE1EEEvSG_
; %bb.0:
	.section	.rodata,"a",@progbits
	.p2align	6, 0x0
	.amdhsa_kernel _ZN7rocprim17ROCPRIM_400000_NS6detail17trampoline_kernelINS0_14default_configENS1_35radix_sort_onesweep_config_selectorIslEEZZNS1_29radix_sort_onesweep_iterationIS3_Lb0EPsS7_N6thrust23THRUST_200600_302600_NS10device_ptrIlEESB_jNS0_19identity_decomposerENS1_16block_id_wrapperIjLb1EEEEE10hipError_tT1_PNSt15iterator_traitsISG_E10value_typeET2_T3_PNSH_ISM_E10value_typeET4_T5_PSR_SS_PNS1_23onesweep_lookback_stateEbbT6_jjT7_P12ihipStream_tbENKUlT_T0_SG_SL_E_clIS7_S7_SB_SB_EEDaSZ_S10_SG_SL_EUlSZ_E_NS1_11comp_targetILNS1_3genE3ELNS1_11target_archE908ELNS1_3gpuE7ELNS1_3repE0EEENS1_47radix_sort_onesweep_sort_config_static_selectorELNS0_4arch9wavefront6targetE1EEEvSG_
		.amdhsa_group_segment_fixed_size 0
		.amdhsa_private_segment_fixed_size 0
		.amdhsa_kernarg_size 88
		.amdhsa_user_sgpr_count 6
		.amdhsa_user_sgpr_private_segment_buffer 1
		.amdhsa_user_sgpr_dispatch_ptr 0
		.amdhsa_user_sgpr_queue_ptr 0
		.amdhsa_user_sgpr_kernarg_segment_ptr 1
		.amdhsa_user_sgpr_dispatch_id 0
		.amdhsa_user_sgpr_flat_scratch_init 0
		.amdhsa_user_sgpr_kernarg_preload_length 0
		.amdhsa_user_sgpr_kernarg_preload_offset 0
		.amdhsa_user_sgpr_private_segment_size 0
		.amdhsa_uses_dynamic_stack 0
		.amdhsa_system_sgpr_private_segment_wavefront_offset 0
		.amdhsa_system_sgpr_workgroup_id_x 1
		.amdhsa_system_sgpr_workgroup_id_y 0
		.amdhsa_system_sgpr_workgroup_id_z 0
		.amdhsa_system_sgpr_workgroup_info 0
		.amdhsa_system_vgpr_workitem_id 0
		.amdhsa_next_free_vgpr 1
		.amdhsa_next_free_sgpr 0
		.amdhsa_accum_offset 4
		.amdhsa_reserve_vcc 0
		.amdhsa_reserve_flat_scratch 0
		.amdhsa_float_round_mode_32 0
		.amdhsa_float_round_mode_16_64 0
		.amdhsa_float_denorm_mode_32 3
		.amdhsa_float_denorm_mode_16_64 3
		.amdhsa_dx10_clamp 1
		.amdhsa_ieee_mode 1
		.amdhsa_fp16_overflow 0
		.amdhsa_tg_split 0
		.amdhsa_exception_fp_ieee_invalid_op 0
		.amdhsa_exception_fp_denorm_src 0
		.amdhsa_exception_fp_ieee_div_zero 0
		.amdhsa_exception_fp_ieee_overflow 0
		.amdhsa_exception_fp_ieee_underflow 0
		.amdhsa_exception_fp_ieee_inexact 0
		.amdhsa_exception_int_div_zero 0
	.end_amdhsa_kernel
	.section	.text._ZN7rocprim17ROCPRIM_400000_NS6detail17trampoline_kernelINS0_14default_configENS1_35radix_sort_onesweep_config_selectorIslEEZZNS1_29radix_sort_onesweep_iterationIS3_Lb0EPsS7_N6thrust23THRUST_200600_302600_NS10device_ptrIlEESB_jNS0_19identity_decomposerENS1_16block_id_wrapperIjLb1EEEEE10hipError_tT1_PNSt15iterator_traitsISG_E10value_typeET2_T3_PNSH_ISM_E10value_typeET4_T5_PSR_SS_PNS1_23onesweep_lookback_stateEbbT6_jjT7_P12ihipStream_tbENKUlT_T0_SG_SL_E_clIS7_S7_SB_SB_EEDaSZ_S10_SG_SL_EUlSZ_E_NS1_11comp_targetILNS1_3genE3ELNS1_11target_archE908ELNS1_3gpuE7ELNS1_3repE0EEENS1_47radix_sort_onesweep_sort_config_static_selectorELNS0_4arch9wavefront6targetE1EEEvSG_,"axG",@progbits,_ZN7rocprim17ROCPRIM_400000_NS6detail17trampoline_kernelINS0_14default_configENS1_35radix_sort_onesweep_config_selectorIslEEZZNS1_29radix_sort_onesweep_iterationIS3_Lb0EPsS7_N6thrust23THRUST_200600_302600_NS10device_ptrIlEESB_jNS0_19identity_decomposerENS1_16block_id_wrapperIjLb1EEEEE10hipError_tT1_PNSt15iterator_traitsISG_E10value_typeET2_T3_PNSH_ISM_E10value_typeET4_T5_PSR_SS_PNS1_23onesweep_lookback_stateEbbT6_jjT7_P12ihipStream_tbENKUlT_T0_SG_SL_E_clIS7_S7_SB_SB_EEDaSZ_S10_SG_SL_EUlSZ_E_NS1_11comp_targetILNS1_3genE3ELNS1_11target_archE908ELNS1_3gpuE7ELNS1_3repE0EEENS1_47radix_sort_onesweep_sort_config_static_selectorELNS0_4arch9wavefront6targetE1EEEvSG_,comdat
.Lfunc_end1403:
	.size	_ZN7rocprim17ROCPRIM_400000_NS6detail17trampoline_kernelINS0_14default_configENS1_35radix_sort_onesweep_config_selectorIslEEZZNS1_29radix_sort_onesweep_iterationIS3_Lb0EPsS7_N6thrust23THRUST_200600_302600_NS10device_ptrIlEESB_jNS0_19identity_decomposerENS1_16block_id_wrapperIjLb1EEEEE10hipError_tT1_PNSt15iterator_traitsISG_E10value_typeET2_T3_PNSH_ISM_E10value_typeET4_T5_PSR_SS_PNS1_23onesweep_lookback_stateEbbT6_jjT7_P12ihipStream_tbENKUlT_T0_SG_SL_E_clIS7_S7_SB_SB_EEDaSZ_S10_SG_SL_EUlSZ_E_NS1_11comp_targetILNS1_3genE3ELNS1_11target_archE908ELNS1_3gpuE7ELNS1_3repE0EEENS1_47radix_sort_onesweep_sort_config_static_selectorELNS0_4arch9wavefront6targetE1EEEvSG_, .Lfunc_end1403-_ZN7rocprim17ROCPRIM_400000_NS6detail17trampoline_kernelINS0_14default_configENS1_35radix_sort_onesweep_config_selectorIslEEZZNS1_29radix_sort_onesweep_iterationIS3_Lb0EPsS7_N6thrust23THRUST_200600_302600_NS10device_ptrIlEESB_jNS0_19identity_decomposerENS1_16block_id_wrapperIjLb1EEEEE10hipError_tT1_PNSt15iterator_traitsISG_E10value_typeET2_T3_PNSH_ISM_E10value_typeET4_T5_PSR_SS_PNS1_23onesweep_lookback_stateEbbT6_jjT7_P12ihipStream_tbENKUlT_T0_SG_SL_E_clIS7_S7_SB_SB_EEDaSZ_S10_SG_SL_EUlSZ_E_NS1_11comp_targetILNS1_3genE3ELNS1_11target_archE908ELNS1_3gpuE7ELNS1_3repE0EEENS1_47radix_sort_onesweep_sort_config_static_selectorELNS0_4arch9wavefront6targetE1EEEvSG_
                                        ; -- End function
	.section	.AMDGPU.csdata,"",@progbits
; Kernel info:
; codeLenInByte = 0
; NumSgprs: 4
; NumVgprs: 0
; NumAgprs: 0
; TotalNumVgprs: 0
; ScratchSize: 0
; MemoryBound: 0
; FloatMode: 240
; IeeeMode: 1
; LDSByteSize: 0 bytes/workgroup (compile time only)
; SGPRBlocks: 0
; VGPRBlocks: 0
; NumSGPRsForWavesPerEU: 4
; NumVGPRsForWavesPerEU: 1
; AccumOffset: 4
; Occupancy: 8
; WaveLimiterHint : 0
; COMPUTE_PGM_RSRC2:SCRATCH_EN: 0
; COMPUTE_PGM_RSRC2:USER_SGPR: 6
; COMPUTE_PGM_RSRC2:TRAP_HANDLER: 0
; COMPUTE_PGM_RSRC2:TGID_X_EN: 1
; COMPUTE_PGM_RSRC2:TGID_Y_EN: 0
; COMPUTE_PGM_RSRC2:TGID_Z_EN: 0
; COMPUTE_PGM_RSRC2:TIDIG_COMP_CNT: 0
; COMPUTE_PGM_RSRC3_GFX90A:ACCUM_OFFSET: 0
; COMPUTE_PGM_RSRC3_GFX90A:TG_SPLIT: 0
	.section	.text._ZN7rocprim17ROCPRIM_400000_NS6detail17trampoline_kernelINS0_14default_configENS1_35radix_sort_onesweep_config_selectorIslEEZZNS1_29radix_sort_onesweep_iterationIS3_Lb0EPsS7_N6thrust23THRUST_200600_302600_NS10device_ptrIlEESB_jNS0_19identity_decomposerENS1_16block_id_wrapperIjLb1EEEEE10hipError_tT1_PNSt15iterator_traitsISG_E10value_typeET2_T3_PNSH_ISM_E10value_typeET4_T5_PSR_SS_PNS1_23onesweep_lookback_stateEbbT6_jjT7_P12ihipStream_tbENKUlT_T0_SG_SL_E_clIS7_S7_SB_SB_EEDaSZ_S10_SG_SL_EUlSZ_E_NS1_11comp_targetILNS1_3genE10ELNS1_11target_archE1201ELNS1_3gpuE5ELNS1_3repE0EEENS1_47radix_sort_onesweep_sort_config_static_selectorELNS0_4arch9wavefront6targetE1EEEvSG_,"axG",@progbits,_ZN7rocprim17ROCPRIM_400000_NS6detail17trampoline_kernelINS0_14default_configENS1_35radix_sort_onesweep_config_selectorIslEEZZNS1_29radix_sort_onesweep_iterationIS3_Lb0EPsS7_N6thrust23THRUST_200600_302600_NS10device_ptrIlEESB_jNS0_19identity_decomposerENS1_16block_id_wrapperIjLb1EEEEE10hipError_tT1_PNSt15iterator_traitsISG_E10value_typeET2_T3_PNSH_ISM_E10value_typeET4_T5_PSR_SS_PNS1_23onesweep_lookback_stateEbbT6_jjT7_P12ihipStream_tbENKUlT_T0_SG_SL_E_clIS7_S7_SB_SB_EEDaSZ_S10_SG_SL_EUlSZ_E_NS1_11comp_targetILNS1_3genE10ELNS1_11target_archE1201ELNS1_3gpuE5ELNS1_3repE0EEENS1_47radix_sort_onesweep_sort_config_static_selectorELNS0_4arch9wavefront6targetE1EEEvSG_,comdat
	.protected	_ZN7rocprim17ROCPRIM_400000_NS6detail17trampoline_kernelINS0_14default_configENS1_35radix_sort_onesweep_config_selectorIslEEZZNS1_29radix_sort_onesweep_iterationIS3_Lb0EPsS7_N6thrust23THRUST_200600_302600_NS10device_ptrIlEESB_jNS0_19identity_decomposerENS1_16block_id_wrapperIjLb1EEEEE10hipError_tT1_PNSt15iterator_traitsISG_E10value_typeET2_T3_PNSH_ISM_E10value_typeET4_T5_PSR_SS_PNS1_23onesweep_lookback_stateEbbT6_jjT7_P12ihipStream_tbENKUlT_T0_SG_SL_E_clIS7_S7_SB_SB_EEDaSZ_S10_SG_SL_EUlSZ_E_NS1_11comp_targetILNS1_3genE10ELNS1_11target_archE1201ELNS1_3gpuE5ELNS1_3repE0EEENS1_47radix_sort_onesweep_sort_config_static_selectorELNS0_4arch9wavefront6targetE1EEEvSG_ ; -- Begin function _ZN7rocprim17ROCPRIM_400000_NS6detail17trampoline_kernelINS0_14default_configENS1_35radix_sort_onesweep_config_selectorIslEEZZNS1_29radix_sort_onesweep_iterationIS3_Lb0EPsS7_N6thrust23THRUST_200600_302600_NS10device_ptrIlEESB_jNS0_19identity_decomposerENS1_16block_id_wrapperIjLb1EEEEE10hipError_tT1_PNSt15iterator_traitsISG_E10value_typeET2_T3_PNSH_ISM_E10value_typeET4_T5_PSR_SS_PNS1_23onesweep_lookback_stateEbbT6_jjT7_P12ihipStream_tbENKUlT_T0_SG_SL_E_clIS7_S7_SB_SB_EEDaSZ_S10_SG_SL_EUlSZ_E_NS1_11comp_targetILNS1_3genE10ELNS1_11target_archE1201ELNS1_3gpuE5ELNS1_3repE0EEENS1_47radix_sort_onesweep_sort_config_static_selectorELNS0_4arch9wavefront6targetE1EEEvSG_
	.globl	_ZN7rocprim17ROCPRIM_400000_NS6detail17trampoline_kernelINS0_14default_configENS1_35radix_sort_onesweep_config_selectorIslEEZZNS1_29radix_sort_onesweep_iterationIS3_Lb0EPsS7_N6thrust23THRUST_200600_302600_NS10device_ptrIlEESB_jNS0_19identity_decomposerENS1_16block_id_wrapperIjLb1EEEEE10hipError_tT1_PNSt15iterator_traitsISG_E10value_typeET2_T3_PNSH_ISM_E10value_typeET4_T5_PSR_SS_PNS1_23onesweep_lookback_stateEbbT6_jjT7_P12ihipStream_tbENKUlT_T0_SG_SL_E_clIS7_S7_SB_SB_EEDaSZ_S10_SG_SL_EUlSZ_E_NS1_11comp_targetILNS1_3genE10ELNS1_11target_archE1201ELNS1_3gpuE5ELNS1_3repE0EEENS1_47radix_sort_onesweep_sort_config_static_selectorELNS0_4arch9wavefront6targetE1EEEvSG_
	.p2align	8
	.type	_ZN7rocprim17ROCPRIM_400000_NS6detail17trampoline_kernelINS0_14default_configENS1_35radix_sort_onesweep_config_selectorIslEEZZNS1_29radix_sort_onesweep_iterationIS3_Lb0EPsS7_N6thrust23THRUST_200600_302600_NS10device_ptrIlEESB_jNS0_19identity_decomposerENS1_16block_id_wrapperIjLb1EEEEE10hipError_tT1_PNSt15iterator_traitsISG_E10value_typeET2_T3_PNSH_ISM_E10value_typeET4_T5_PSR_SS_PNS1_23onesweep_lookback_stateEbbT6_jjT7_P12ihipStream_tbENKUlT_T0_SG_SL_E_clIS7_S7_SB_SB_EEDaSZ_S10_SG_SL_EUlSZ_E_NS1_11comp_targetILNS1_3genE10ELNS1_11target_archE1201ELNS1_3gpuE5ELNS1_3repE0EEENS1_47radix_sort_onesweep_sort_config_static_selectorELNS0_4arch9wavefront6targetE1EEEvSG_,@function
_ZN7rocprim17ROCPRIM_400000_NS6detail17trampoline_kernelINS0_14default_configENS1_35radix_sort_onesweep_config_selectorIslEEZZNS1_29radix_sort_onesweep_iterationIS3_Lb0EPsS7_N6thrust23THRUST_200600_302600_NS10device_ptrIlEESB_jNS0_19identity_decomposerENS1_16block_id_wrapperIjLb1EEEEE10hipError_tT1_PNSt15iterator_traitsISG_E10value_typeET2_T3_PNSH_ISM_E10value_typeET4_T5_PSR_SS_PNS1_23onesweep_lookback_stateEbbT6_jjT7_P12ihipStream_tbENKUlT_T0_SG_SL_E_clIS7_S7_SB_SB_EEDaSZ_S10_SG_SL_EUlSZ_E_NS1_11comp_targetILNS1_3genE10ELNS1_11target_archE1201ELNS1_3gpuE5ELNS1_3repE0EEENS1_47radix_sort_onesweep_sort_config_static_selectorELNS0_4arch9wavefront6targetE1EEEvSG_: ; @_ZN7rocprim17ROCPRIM_400000_NS6detail17trampoline_kernelINS0_14default_configENS1_35radix_sort_onesweep_config_selectorIslEEZZNS1_29radix_sort_onesweep_iterationIS3_Lb0EPsS7_N6thrust23THRUST_200600_302600_NS10device_ptrIlEESB_jNS0_19identity_decomposerENS1_16block_id_wrapperIjLb1EEEEE10hipError_tT1_PNSt15iterator_traitsISG_E10value_typeET2_T3_PNSH_ISM_E10value_typeET4_T5_PSR_SS_PNS1_23onesweep_lookback_stateEbbT6_jjT7_P12ihipStream_tbENKUlT_T0_SG_SL_E_clIS7_S7_SB_SB_EEDaSZ_S10_SG_SL_EUlSZ_E_NS1_11comp_targetILNS1_3genE10ELNS1_11target_archE1201ELNS1_3gpuE5ELNS1_3repE0EEENS1_47radix_sort_onesweep_sort_config_static_selectorELNS0_4arch9wavefront6targetE1EEEvSG_
; %bb.0:
	.section	.rodata,"a",@progbits
	.p2align	6, 0x0
	.amdhsa_kernel _ZN7rocprim17ROCPRIM_400000_NS6detail17trampoline_kernelINS0_14default_configENS1_35radix_sort_onesweep_config_selectorIslEEZZNS1_29radix_sort_onesweep_iterationIS3_Lb0EPsS7_N6thrust23THRUST_200600_302600_NS10device_ptrIlEESB_jNS0_19identity_decomposerENS1_16block_id_wrapperIjLb1EEEEE10hipError_tT1_PNSt15iterator_traitsISG_E10value_typeET2_T3_PNSH_ISM_E10value_typeET4_T5_PSR_SS_PNS1_23onesweep_lookback_stateEbbT6_jjT7_P12ihipStream_tbENKUlT_T0_SG_SL_E_clIS7_S7_SB_SB_EEDaSZ_S10_SG_SL_EUlSZ_E_NS1_11comp_targetILNS1_3genE10ELNS1_11target_archE1201ELNS1_3gpuE5ELNS1_3repE0EEENS1_47radix_sort_onesweep_sort_config_static_selectorELNS0_4arch9wavefront6targetE1EEEvSG_
		.amdhsa_group_segment_fixed_size 0
		.amdhsa_private_segment_fixed_size 0
		.amdhsa_kernarg_size 88
		.amdhsa_user_sgpr_count 6
		.amdhsa_user_sgpr_private_segment_buffer 1
		.amdhsa_user_sgpr_dispatch_ptr 0
		.amdhsa_user_sgpr_queue_ptr 0
		.amdhsa_user_sgpr_kernarg_segment_ptr 1
		.amdhsa_user_sgpr_dispatch_id 0
		.amdhsa_user_sgpr_flat_scratch_init 0
		.amdhsa_user_sgpr_kernarg_preload_length 0
		.amdhsa_user_sgpr_kernarg_preload_offset 0
		.amdhsa_user_sgpr_private_segment_size 0
		.amdhsa_uses_dynamic_stack 0
		.amdhsa_system_sgpr_private_segment_wavefront_offset 0
		.amdhsa_system_sgpr_workgroup_id_x 1
		.amdhsa_system_sgpr_workgroup_id_y 0
		.amdhsa_system_sgpr_workgroup_id_z 0
		.amdhsa_system_sgpr_workgroup_info 0
		.amdhsa_system_vgpr_workitem_id 0
		.amdhsa_next_free_vgpr 1
		.amdhsa_next_free_sgpr 0
		.amdhsa_accum_offset 4
		.amdhsa_reserve_vcc 0
		.amdhsa_reserve_flat_scratch 0
		.amdhsa_float_round_mode_32 0
		.amdhsa_float_round_mode_16_64 0
		.amdhsa_float_denorm_mode_32 3
		.amdhsa_float_denorm_mode_16_64 3
		.amdhsa_dx10_clamp 1
		.amdhsa_ieee_mode 1
		.amdhsa_fp16_overflow 0
		.amdhsa_tg_split 0
		.amdhsa_exception_fp_ieee_invalid_op 0
		.amdhsa_exception_fp_denorm_src 0
		.amdhsa_exception_fp_ieee_div_zero 0
		.amdhsa_exception_fp_ieee_overflow 0
		.amdhsa_exception_fp_ieee_underflow 0
		.amdhsa_exception_fp_ieee_inexact 0
		.amdhsa_exception_int_div_zero 0
	.end_amdhsa_kernel
	.section	.text._ZN7rocprim17ROCPRIM_400000_NS6detail17trampoline_kernelINS0_14default_configENS1_35radix_sort_onesweep_config_selectorIslEEZZNS1_29radix_sort_onesweep_iterationIS3_Lb0EPsS7_N6thrust23THRUST_200600_302600_NS10device_ptrIlEESB_jNS0_19identity_decomposerENS1_16block_id_wrapperIjLb1EEEEE10hipError_tT1_PNSt15iterator_traitsISG_E10value_typeET2_T3_PNSH_ISM_E10value_typeET4_T5_PSR_SS_PNS1_23onesweep_lookback_stateEbbT6_jjT7_P12ihipStream_tbENKUlT_T0_SG_SL_E_clIS7_S7_SB_SB_EEDaSZ_S10_SG_SL_EUlSZ_E_NS1_11comp_targetILNS1_3genE10ELNS1_11target_archE1201ELNS1_3gpuE5ELNS1_3repE0EEENS1_47radix_sort_onesweep_sort_config_static_selectorELNS0_4arch9wavefront6targetE1EEEvSG_,"axG",@progbits,_ZN7rocprim17ROCPRIM_400000_NS6detail17trampoline_kernelINS0_14default_configENS1_35radix_sort_onesweep_config_selectorIslEEZZNS1_29radix_sort_onesweep_iterationIS3_Lb0EPsS7_N6thrust23THRUST_200600_302600_NS10device_ptrIlEESB_jNS0_19identity_decomposerENS1_16block_id_wrapperIjLb1EEEEE10hipError_tT1_PNSt15iterator_traitsISG_E10value_typeET2_T3_PNSH_ISM_E10value_typeET4_T5_PSR_SS_PNS1_23onesweep_lookback_stateEbbT6_jjT7_P12ihipStream_tbENKUlT_T0_SG_SL_E_clIS7_S7_SB_SB_EEDaSZ_S10_SG_SL_EUlSZ_E_NS1_11comp_targetILNS1_3genE10ELNS1_11target_archE1201ELNS1_3gpuE5ELNS1_3repE0EEENS1_47radix_sort_onesweep_sort_config_static_selectorELNS0_4arch9wavefront6targetE1EEEvSG_,comdat
.Lfunc_end1404:
	.size	_ZN7rocprim17ROCPRIM_400000_NS6detail17trampoline_kernelINS0_14default_configENS1_35radix_sort_onesweep_config_selectorIslEEZZNS1_29radix_sort_onesweep_iterationIS3_Lb0EPsS7_N6thrust23THRUST_200600_302600_NS10device_ptrIlEESB_jNS0_19identity_decomposerENS1_16block_id_wrapperIjLb1EEEEE10hipError_tT1_PNSt15iterator_traitsISG_E10value_typeET2_T3_PNSH_ISM_E10value_typeET4_T5_PSR_SS_PNS1_23onesweep_lookback_stateEbbT6_jjT7_P12ihipStream_tbENKUlT_T0_SG_SL_E_clIS7_S7_SB_SB_EEDaSZ_S10_SG_SL_EUlSZ_E_NS1_11comp_targetILNS1_3genE10ELNS1_11target_archE1201ELNS1_3gpuE5ELNS1_3repE0EEENS1_47radix_sort_onesweep_sort_config_static_selectorELNS0_4arch9wavefront6targetE1EEEvSG_, .Lfunc_end1404-_ZN7rocprim17ROCPRIM_400000_NS6detail17trampoline_kernelINS0_14default_configENS1_35radix_sort_onesweep_config_selectorIslEEZZNS1_29radix_sort_onesweep_iterationIS3_Lb0EPsS7_N6thrust23THRUST_200600_302600_NS10device_ptrIlEESB_jNS0_19identity_decomposerENS1_16block_id_wrapperIjLb1EEEEE10hipError_tT1_PNSt15iterator_traitsISG_E10value_typeET2_T3_PNSH_ISM_E10value_typeET4_T5_PSR_SS_PNS1_23onesweep_lookback_stateEbbT6_jjT7_P12ihipStream_tbENKUlT_T0_SG_SL_E_clIS7_S7_SB_SB_EEDaSZ_S10_SG_SL_EUlSZ_E_NS1_11comp_targetILNS1_3genE10ELNS1_11target_archE1201ELNS1_3gpuE5ELNS1_3repE0EEENS1_47radix_sort_onesweep_sort_config_static_selectorELNS0_4arch9wavefront6targetE1EEEvSG_
                                        ; -- End function
	.section	.AMDGPU.csdata,"",@progbits
; Kernel info:
; codeLenInByte = 0
; NumSgprs: 4
; NumVgprs: 0
; NumAgprs: 0
; TotalNumVgprs: 0
; ScratchSize: 0
; MemoryBound: 0
; FloatMode: 240
; IeeeMode: 1
; LDSByteSize: 0 bytes/workgroup (compile time only)
; SGPRBlocks: 0
; VGPRBlocks: 0
; NumSGPRsForWavesPerEU: 4
; NumVGPRsForWavesPerEU: 1
; AccumOffset: 4
; Occupancy: 8
; WaveLimiterHint : 0
; COMPUTE_PGM_RSRC2:SCRATCH_EN: 0
; COMPUTE_PGM_RSRC2:USER_SGPR: 6
; COMPUTE_PGM_RSRC2:TRAP_HANDLER: 0
; COMPUTE_PGM_RSRC2:TGID_X_EN: 1
; COMPUTE_PGM_RSRC2:TGID_Y_EN: 0
; COMPUTE_PGM_RSRC2:TGID_Z_EN: 0
; COMPUTE_PGM_RSRC2:TIDIG_COMP_CNT: 0
; COMPUTE_PGM_RSRC3_GFX90A:ACCUM_OFFSET: 0
; COMPUTE_PGM_RSRC3_GFX90A:TG_SPLIT: 0
	.section	.text._ZN7rocprim17ROCPRIM_400000_NS6detail17trampoline_kernelINS0_14default_configENS1_35radix_sort_onesweep_config_selectorIslEEZZNS1_29radix_sort_onesweep_iterationIS3_Lb0EPsS7_N6thrust23THRUST_200600_302600_NS10device_ptrIlEESB_jNS0_19identity_decomposerENS1_16block_id_wrapperIjLb1EEEEE10hipError_tT1_PNSt15iterator_traitsISG_E10value_typeET2_T3_PNSH_ISM_E10value_typeET4_T5_PSR_SS_PNS1_23onesweep_lookback_stateEbbT6_jjT7_P12ihipStream_tbENKUlT_T0_SG_SL_E_clIS7_S7_SB_SB_EEDaSZ_S10_SG_SL_EUlSZ_E_NS1_11comp_targetILNS1_3genE9ELNS1_11target_archE1100ELNS1_3gpuE3ELNS1_3repE0EEENS1_47radix_sort_onesweep_sort_config_static_selectorELNS0_4arch9wavefront6targetE1EEEvSG_,"axG",@progbits,_ZN7rocprim17ROCPRIM_400000_NS6detail17trampoline_kernelINS0_14default_configENS1_35radix_sort_onesweep_config_selectorIslEEZZNS1_29radix_sort_onesweep_iterationIS3_Lb0EPsS7_N6thrust23THRUST_200600_302600_NS10device_ptrIlEESB_jNS0_19identity_decomposerENS1_16block_id_wrapperIjLb1EEEEE10hipError_tT1_PNSt15iterator_traitsISG_E10value_typeET2_T3_PNSH_ISM_E10value_typeET4_T5_PSR_SS_PNS1_23onesweep_lookback_stateEbbT6_jjT7_P12ihipStream_tbENKUlT_T0_SG_SL_E_clIS7_S7_SB_SB_EEDaSZ_S10_SG_SL_EUlSZ_E_NS1_11comp_targetILNS1_3genE9ELNS1_11target_archE1100ELNS1_3gpuE3ELNS1_3repE0EEENS1_47radix_sort_onesweep_sort_config_static_selectorELNS0_4arch9wavefront6targetE1EEEvSG_,comdat
	.protected	_ZN7rocprim17ROCPRIM_400000_NS6detail17trampoline_kernelINS0_14default_configENS1_35radix_sort_onesweep_config_selectorIslEEZZNS1_29radix_sort_onesweep_iterationIS3_Lb0EPsS7_N6thrust23THRUST_200600_302600_NS10device_ptrIlEESB_jNS0_19identity_decomposerENS1_16block_id_wrapperIjLb1EEEEE10hipError_tT1_PNSt15iterator_traitsISG_E10value_typeET2_T3_PNSH_ISM_E10value_typeET4_T5_PSR_SS_PNS1_23onesweep_lookback_stateEbbT6_jjT7_P12ihipStream_tbENKUlT_T0_SG_SL_E_clIS7_S7_SB_SB_EEDaSZ_S10_SG_SL_EUlSZ_E_NS1_11comp_targetILNS1_3genE9ELNS1_11target_archE1100ELNS1_3gpuE3ELNS1_3repE0EEENS1_47radix_sort_onesweep_sort_config_static_selectorELNS0_4arch9wavefront6targetE1EEEvSG_ ; -- Begin function _ZN7rocprim17ROCPRIM_400000_NS6detail17trampoline_kernelINS0_14default_configENS1_35radix_sort_onesweep_config_selectorIslEEZZNS1_29radix_sort_onesweep_iterationIS3_Lb0EPsS7_N6thrust23THRUST_200600_302600_NS10device_ptrIlEESB_jNS0_19identity_decomposerENS1_16block_id_wrapperIjLb1EEEEE10hipError_tT1_PNSt15iterator_traitsISG_E10value_typeET2_T3_PNSH_ISM_E10value_typeET4_T5_PSR_SS_PNS1_23onesweep_lookback_stateEbbT6_jjT7_P12ihipStream_tbENKUlT_T0_SG_SL_E_clIS7_S7_SB_SB_EEDaSZ_S10_SG_SL_EUlSZ_E_NS1_11comp_targetILNS1_3genE9ELNS1_11target_archE1100ELNS1_3gpuE3ELNS1_3repE0EEENS1_47radix_sort_onesweep_sort_config_static_selectorELNS0_4arch9wavefront6targetE1EEEvSG_
	.globl	_ZN7rocprim17ROCPRIM_400000_NS6detail17trampoline_kernelINS0_14default_configENS1_35radix_sort_onesweep_config_selectorIslEEZZNS1_29radix_sort_onesweep_iterationIS3_Lb0EPsS7_N6thrust23THRUST_200600_302600_NS10device_ptrIlEESB_jNS0_19identity_decomposerENS1_16block_id_wrapperIjLb1EEEEE10hipError_tT1_PNSt15iterator_traitsISG_E10value_typeET2_T3_PNSH_ISM_E10value_typeET4_T5_PSR_SS_PNS1_23onesweep_lookback_stateEbbT6_jjT7_P12ihipStream_tbENKUlT_T0_SG_SL_E_clIS7_S7_SB_SB_EEDaSZ_S10_SG_SL_EUlSZ_E_NS1_11comp_targetILNS1_3genE9ELNS1_11target_archE1100ELNS1_3gpuE3ELNS1_3repE0EEENS1_47radix_sort_onesweep_sort_config_static_selectorELNS0_4arch9wavefront6targetE1EEEvSG_
	.p2align	8
	.type	_ZN7rocprim17ROCPRIM_400000_NS6detail17trampoline_kernelINS0_14default_configENS1_35radix_sort_onesweep_config_selectorIslEEZZNS1_29radix_sort_onesweep_iterationIS3_Lb0EPsS7_N6thrust23THRUST_200600_302600_NS10device_ptrIlEESB_jNS0_19identity_decomposerENS1_16block_id_wrapperIjLb1EEEEE10hipError_tT1_PNSt15iterator_traitsISG_E10value_typeET2_T3_PNSH_ISM_E10value_typeET4_T5_PSR_SS_PNS1_23onesweep_lookback_stateEbbT6_jjT7_P12ihipStream_tbENKUlT_T0_SG_SL_E_clIS7_S7_SB_SB_EEDaSZ_S10_SG_SL_EUlSZ_E_NS1_11comp_targetILNS1_3genE9ELNS1_11target_archE1100ELNS1_3gpuE3ELNS1_3repE0EEENS1_47radix_sort_onesweep_sort_config_static_selectorELNS0_4arch9wavefront6targetE1EEEvSG_,@function
_ZN7rocprim17ROCPRIM_400000_NS6detail17trampoline_kernelINS0_14default_configENS1_35radix_sort_onesweep_config_selectorIslEEZZNS1_29radix_sort_onesweep_iterationIS3_Lb0EPsS7_N6thrust23THRUST_200600_302600_NS10device_ptrIlEESB_jNS0_19identity_decomposerENS1_16block_id_wrapperIjLb1EEEEE10hipError_tT1_PNSt15iterator_traitsISG_E10value_typeET2_T3_PNSH_ISM_E10value_typeET4_T5_PSR_SS_PNS1_23onesweep_lookback_stateEbbT6_jjT7_P12ihipStream_tbENKUlT_T0_SG_SL_E_clIS7_S7_SB_SB_EEDaSZ_S10_SG_SL_EUlSZ_E_NS1_11comp_targetILNS1_3genE9ELNS1_11target_archE1100ELNS1_3gpuE3ELNS1_3repE0EEENS1_47radix_sort_onesweep_sort_config_static_selectorELNS0_4arch9wavefront6targetE1EEEvSG_: ; @_ZN7rocprim17ROCPRIM_400000_NS6detail17trampoline_kernelINS0_14default_configENS1_35radix_sort_onesweep_config_selectorIslEEZZNS1_29radix_sort_onesweep_iterationIS3_Lb0EPsS7_N6thrust23THRUST_200600_302600_NS10device_ptrIlEESB_jNS0_19identity_decomposerENS1_16block_id_wrapperIjLb1EEEEE10hipError_tT1_PNSt15iterator_traitsISG_E10value_typeET2_T3_PNSH_ISM_E10value_typeET4_T5_PSR_SS_PNS1_23onesweep_lookback_stateEbbT6_jjT7_P12ihipStream_tbENKUlT_T0_SG_SL_E_clIS7_S7_SB_SB_EEDaSZ_S10_SG_SL_EUlSZ_E_NS1_11comp_targetILNS1_3genE9ELNS1_11target_archE1100ELNS1_3gpuE3ELNS1_3repE0EEENS1_47radix_sort_onesweep_sort_config_static_selectorELNS0_4arch9wavefront6targetE1EEEvSG_
; %bb.0:
	.section	.rodata,"a",@progbits
	.p2align	6, 0x0
	.amdhsa_kernel _ZN7rocprim17ROCPRIM_400000_NS6detail17trampoline_kernelINS0_14default_configENS1_35radix_sort_onesweep_config_selectorIslEEZZNS1_29radix_sort_onesweep_iterationIS3_Lb0EPsS7_N6thrust23THRUST_200600_302600_NS10device_ptrIlEESB_jNS0_19identity_decomposerENS1_16block_id_wrapperIjLb1EEEEE10hipError_tT1_PNSt15iterator_traitsISG_E10value_typeET2_T3_PNSH_ISM_E10value_typeET4_T5_PSR_SS_PNS1_23onesweep_lookback_stateEbbT6_jjT7_P12ihipStream_tbENKUlT_T0_SG_SL_E_clIS7_S7_SB_SB_EEDaSZ_S10_SG_SL_EUlSZ_E_NS1_11comp_targetILNS1_3genE9ELNS1_11target_archE1100ELNS1_3gpuE3ELNS1_3repE0EEENS1_47radix_sort_onesweep_sort_config_static_selectorELNS0_4arch9wavefront6targetE1EEEvSG_
		.amdhsa_group_segment_fixed_size 0
		.amdhsa_private_segment_fixed_size 0
		.amdhsa_kernarg_size 88
		.amdhsa_user_sgpr_count 6
		.amdhsa_user_sgpr_private_segment_buffer 1
		.amdhsa_user_sgpr_dispatch_ptr 0
		.amdhsa_user_sgpr_queue_ptr 0
		.amdhsa_user_sgpr_kernarg_segment_ptr 1
		.amdhsa_user_sgpr_dispatch_id 0
		.amdhsa_user_sgpr_flat_scratch_init 0
		.amdhsa_user_sgpr_kernarg_preload_length 0
		.amdhsa_user_sgpr_kernarg_preload_offset 0
		.amdhsa_user_sgpr_private_segment_size 0
		.amdhsa_uses_dynamic_stack 0
		.amdhsa_system_sgpr_private_segment_wavefront_offset 0
		.amdhsa_system_sgpr_workgroup_id_x 1
		.amdhsa_system_sgpr_workgroup_id_y 0
		.amdhsa_system_sgpr_workgroup_id_z 0
		.amdhsa_system_sgpr_workgroup_info 0
		.amdhsa_system_vgpr_workitem_id 0
		.amdhsa_next_free_vgpr 1
		.amdhsa_next_free_sgpr 0
		.amdhsa_accum_offset 4
		.amdhsa_reserve_vcc 0
		.amdhsa_reserve_flat_scratch 0
		.amdhsa_float_round_mode_32 0
		.amdhsa_float_round_mode_16_64 0
		.amdhsa_float_denorm_mode_32 3
		.amdhsa_float_denorm_mode_16_64 3
		.amdhsa_dx10_clamp 1
		.amdhsa_ieee_mode 1
		.amdhsa_fp16_overflow 0
		.amdhsa_tg_split 0
		.amdhsa_exception_fp_ieee_invalid_op 0
		.amdhsa_exception_fp_denorm_src 0
		.amdhsa_exception_fp_ieee_div_zero 0
		.amdhsa_exception_fp_ieee_overflow 0
		.amdhsa_exception_fp_ieee_underflow 0
		.amdhsa_exception_fp_ieee_inexact 0
		.amdhsa_exception_int_div_zero 0
	.end_amdhsa_kernel
	.section	.text._ZN7rocprim17ROCPRIM_400000_NS6detail17trampoline_kernelINS0_14default_configENS1_35radix_sort_onesweep_config_selectorIslEEZZNS1_29radix_sort_onesweep_iterationIS3_Lb0EPsS7_N6thrust23THRUST_200600_302600_NS10device_ptrIlEESB_jNS0_19identity_decomposerENS1_16block_id_wrapperIjLb1EEEEE10hipError_tT1_PNSt15iterator_traitsISG_E10value_typeET2_T3_PNSH_ISM_E10value_typeET4_T5_PSR_SS_PNS1_23onesweep_lookback_stateEbbT6_jjT7_P12ihipStream_tbENKUlT_T0_SG_SL_E_clIS7_S7_SB_SB_EEDaSZ_S10_SG_SL_EUlSZ_E_NS1_11comp_targetILNS1_3genE9ELNS1_11target_archE1100ELNS1_3gpuE3ELNS1_3repE0EEENS1_47radix_sort_onesweep_sort_config_static_selectorELNS0_4arch9wavefront6targetE1EEEvSG_,"axG",@progbits,_ZN7rocprim17ROCPRIM_400000_NS6detail17trampoline_kernelINS0_14default_configENS1_35radix_sort_onesweep_config_selectorIslEEZZNS1_29radix_sort_onesweep_iterationIS3_Lb0EPsS7_N6thrust23THRUST_200600_302600_NS10device_ptrIlEESB_jNS0_19identity_decomposerENS1_16block_id_wrapperIjLb1EEEEE10hipError_tT1_PNSt15iterator_traitsISG_E10value_typeET2_T3_PNSH_ISM_E10value_typeET4_T5_PSR_SS_PNS1_23onesweep_lookback_stateEbbT6_jjT7_P12ihipStream_tbENKUlT_T0_SG_SL_E_clIS7_S7_SB_SB_EEDaSZ_S10_SG_SL_EUlSZ_E_NS1_11comp_targetILNS1_3genE9ELNS1_11target_archE1100ELNS1_3gpuE3ELNS1_3repE0EEENS1_47radix_sort_onesweep_sort_config_static_selectorELNS0_4arch9wavefront6targetE1EEEvSG_,comdat
.Lfunc_end1405:
	.size	_ZN7rocprim17ROCPRIM_400000_NS6detail17trampoline_kernelINS0_14default_configENS1_35radix_sort_onesweep_config_selectorIslEEZZNS1_29radix_sort_onesweep_iterationIS3_Lb0EPsS7_N6thrust23THRUST_200600_302600_NS10device_ptrIlEESB_jNS0_19identity_decomposerENS1_16block_id_wrapperIjLb1EEEEE10hipError_tT1_PNSt15iterator_traitsISG_E10value_typeET2_T3_PNSH_ISM_E10value_typeET4_T5_PSR_SS_PNS1_23onesweep_lookback_stateEbbT6_jjT7_P12ihipStream_tbENKUlT_T0_SG_SL_E_clIS7_S7_SB_SB_EEDaSZ_S10_SG_SL_EUlSZ_E_NS1_11comp_targetILNS1_3genE9ELNS1_11target_archE1100ELNS1_3gpuE3ELNS1_3repE0EEENS1_47radix_sort_onesweep_sort_config_static_selectorELNS0_4arch9wavefront6targetE1EEEvSG_, .Lfunc_end1405-_ZN7rocprim17ROCPRIM_400000_NS6detail17trampoline_kernelINS0_14default_configENS1_35radix_sort_onesweep_config_selectorIslEEZZNS1_29radix_sort_onesweep_iterationIS3_Lb0EPsS7_N6thrust23THRUST_200600_302600_NS10device_ptrIlEESB_jNS0_19identity_decomposerENS1_16block_id_wrapperIjLb1EEEEE10hipError_tT1_PNSt15iterator_traitsISG_E10value_typeET2_T3_PNSH_ISM_E10value_typeET4_T5_PSR_SS_PNS1_23onesweep_lookback_stateEbbT6_jjT7_P12ihipStream_tbENKUlT_T0_SG_SL_E_clIS7_S7_SB_SB_EEDaSZ_S10_SG_SL_EUlSZ_E_NS1_11comp_targetILNS1_3genE9ELNS1_11target_archE1100ELNS1_3gpuE3ELNS1_3repE0EEENS1_47radix_sort_onesweep_sort_config_static_selectorELNS0_4arch9wavefront6targetE1EEEvSG_
                                        ; -- End function
	.section	.AMDGPU.csdata,"",@progbits
; Kernel info:
; codeLenInByte = 0
; NumSgprs: 4
; NumVgprs: 0
; NumAgprs: 0
; TotalNumVgprs: 0
; ScratchSize: 0
; MemoryBound: 0
; FloatMode: 240
; IeeeMode: 1
; LDSByteSize: 0 bytes/workgroup (compile time only)
; SGPRBlocks: 0
; VGPRBlocks: 0
; NumSGPRsForWavesPerEU: 4
; NumVGPRsForWavesPerEU: 1
; AccumOffset: 4
; Occupancy: 8
; WaveLimiterHint : 0
; COMPUTE_PGM_RSRC2:SCRATCH_EN: 0
; COMPUTE_PGM_RSRC2:USER_SGPR: 6
; COMPUTE_PGM_RSRC2:TRAP_HANDLER: 0
; COMPUTE_PGM_RSRC2:TGID_X_EN: 1
; COMPUTE_PGM_RSRC2:TGID_Y_EN: 0
; COMPUTE_PGM_RSRC2:TGID_Z_EN: 0
; COMPUTE_PGM_RSRC2:TIDIG_COMP_CNT: 0
; COMPUTE_PGM_RSRC3_GFX90A:ACCUM_OFFSET: 0
; COMPUTE_PGM_RSRC3_GFX90A:TG_SPLIT: 0
	.section	.text._ZN7rocprim17ROCPRIM_400000_NS6detail17trampoline_kernelINS0_14default_configENS1_35radix_sort_onesweep_config_selectorIslEEZZNS1_29radix_sort_onesweep_iterationIS3_Lb0EPsS7_N6thrust23THRUST_200600_302600_NS10device_ptrIlEESB_jNS0_19identity_decomposerENS1_16block_id_wrapperIjLb1EEEEE10hipError_tT1_PNSt15iterator_traitsISG_E10value_typeET2_T3_PNSH_ISM_E10value_typeET4_T5_PSR_SS_PNS1_23onesweep_lookback_stateEbbT6_jjT7_P12ihipStream_tbENKUlT_T0_SG_SL_E_clIS7_S7_SB_SB_EEDaSZ_S10_SG_SL_EUlSZ_E_NS1_11comp_targetILNS1_3genE8ELNS1_11target_archE1030ELNS1_3gpuE2ELNS1_3repE0EEENS1_47radix_sort_onesweep_sort_config_static_selectorELNS0_4arch9wavefront6targetE1EEEvSG_,"axG",@progbits,_ZN7rocprim17ROCPRIM_400000_NS6detail17trampoline_kernelINS0_14default_configENS1_35radix_sort_onesweep_config_selectorIslEEZZNS1_29radix_sort_onesweep_iterationIS3_Lb0EPsS7_N6thrust23THRUST_200600_302600_NS10device_ptrIlEESB_jNS0_19identity_decomposerENS1_16block_id_wrapperIjLb1EEEEE10hipError_tT1_PNSt15iterator_traitsISG_E10value_typeET2_T3_PNSH_ISM_E10value_typeET4_T5_PSR_SS_PNS1_23onesweep_lookback_stateEbbT6_jjT7_P12ihipStream_tbENKUlT_T0_SG_SL_E_clIS7_S7_SB_SB_EEDaSZ_S10_SG_SL_EUlSZ_E_NS1_11comp_targetILNS1_3genE8ELNS1_11target_archE1030ELNS1_3gpuE2ELNS1_3repE0EEENS1_47radix_sort_onesweep_sort_config_static_selectorELNS0_4arch9wavefront6targetE1EEEvSG_,comdat
	.protected	_ZN7rocprim17ROCPRIM_400000_NS6detail17trampoline_kernelINS0_14default_configENS1_35radix_sort_onesweep_config_selectorIslEEZZNS1_29radix_sort_onesweep_iterationIS3_Lb0EPsS7_N6thrust23THRUST_200600_302600_NS10device_ptrIlEESB_jNS0_19identity_decomposerENS1_16block_id_wrapperIjLb1EEEEE10hipError_tT1_PNSt15iterator_traitsISG_E10value_typeET2_T3_PNSH_ISM_E10value_typeET4_T5_PSR_SS_PNS1_23onesweep_lookback_stateEbbT6_jjT7_P12ihipStream_tbENKUlT_T0_SG_SL_E_clIS7_S7_SB_SB_EEDaSZ_S10_SG_SL_EUlSZ_E_NS1_11comp_targetILNS1_3genE8ELNS1_11target_archE1030ELNS1_3gpuE2ELNS1_3repE0EEENS1_47radix_sort_onesweep_sort_config_static_selectorELNS0_4arch9wavefront6targetE1EEEvSG_ ; -- Begin function _ZN7rocprim17ROCPRIM_400000_NS6detail17trampoline_kernelINS0_14default_configENS1_35radix_sort_onesweep_config_selectorIslEEZZNS1_29radix_sort_onesweep_iterationIS3_Lb0EPsS7_N6thrust23THRUST_200600_302600_NS10device_ptrIlEESB_jNS0_19identity_decomposerENS1_16block_id_wrapperIjLb1EEEEE10hipError_tT1_PNSt15iterator_traitsISG_E10value_typeET2_T3_PNSH_ISM_E10value_typeET4_T5_PSR_SS_PNS1_23onesweep_lookback_stateEbbT6_jjT7_P12ihipStream_tbENKUlT_T0_SG_SL_E_clIS7_S7_SB_SB_EEDaSZ_S10_SG_SL_EUlSZ_E_NS1_11comp_targetILNS1_3genE8ELNS1_11target_archE1030ELNS1_3gpuE2ELNS1_3repE0EEENS1_47radix_sort_onesweep_sort_config_static_selectorELNS0_4arch9wavefront6targetE1EEEvSG_
	.globl	_ZN7rocprim17ROCPRIM_400000_NS6detail17trampoline_kernelINS0_14default_configENS1_35radix_sort_onesweep_config_selectorIslEEZZNS1_29radix_sort_onesweep_iterationIS3_Lb0EPsS7_N6thrust23THRUST_200600_302600_NS10device_ptrIlEESB_jNS0_19identity_decomposerENS1_16block_id_wrapperIjLb1EEEEE10hipError_tT1_PNSt15iterator_traitsISG_E10value_typeET2_T3_PNSH_ISM_E10value_typeET4_T5_PSR_SS_PNS1_23onesweep_lookback_stateEbbT6_jjT7_P12ihipStream_tbENKUlT_T0_SG_SL_E_clIS7_S7_SB_SB_EEDaSZ_S10_SG_SL_EUlSZ_E_NS1_11comp_targetILNS1_3genE8ELNS1_11target_archE1030ELNS1_3gpuE2ELNS1_3repE0EEENS1_47radix_sort_onesweep_sort_config_static_selectorELNS0_4arch9wavefront6targetE1EEEvSG_
	.p2align	8
	.type	_ZN7rocprim17ROCPRIM_400000_NS6detail17trampoline_kernelINS0_14default_configENS1_35radix_sort_onesweep_config_selectorIslEEZZNS1_29radix_sort_onesweep_iterationIS3_Lb0EPsS7_N6thrust23THRUST_200600_302600_NS10device_ptrIlEESB_jNS0_19identity_decomposerENS1_16block_id_wrapperIjLb1EEEEE10hipError_tT1_PNSt15iterator_traitsISG_E10value_typeET2_T3_PNSH_ISM_E10value_typeET4_T5_PSR_SS_PNS1_23onesweep_lookback_stateEbbT6_jjT7_P12ihipStream_tbENKUlT_T0_SG_SL_E_clIS7_S7_SB_SB_EEDaSZ_S10_SG_SL_EUlSZ_E_NS1_11comp_targetILNS1_3genE8ELNS1_11target_archE1030ELNS1_3gpuE2ELNS1_3repE0EEENS1_47radix_sort_onesweep_sort_config_static_selectorELNS0_4arch9wavefront6targetE1EEEvSG_,@function
_ZN7rocprim17ROCPRIM_400000_NS6detail17trampoline_kernelINS0_14default_configENS1_35radix_sort_onesweep_config_selectorIslEEZZNS1_29radix_sort_onesweep_iterationIS3_Lb0EPsS7_N6thrust23THRUST_200600_302600_NS10device_ptrIlEESB_jNS0_19identity_decomposerENS1_16block_id_wrapperIjLb1EEEEE10hipError_tT1_PNSt15iterator_traitsISG_E10value_typeET2_T3_PNSH_ISM_E10value_typeET4_T5_PSR_SS_PNS1_23onesweep_lookback_stateEbbT6_jjT7_P12ihipStream_tbENKUlT_T0_SG_SL_E_clIS7_S7_SB_SB_EEDaSZ_S10_SG_SL_EUlSZ_E_NS1_11comp_targetILNS1_3genE8ELNS1_11target_archE1030ELNS1_3gpuE2ELNS1_3repE0EEENS1_47radix_sort_onesweep_sort_config_static_selectorELNS0_4arch9wavefront6targetE1EEEvSG_: ; @_ZN7rocprim17ROCPRIM_400000_NS6detail17trampoline_kernelINS0_14default_configENS1_35radix_sort_onesweep_config_selectorIslEEZZNS1_29radix_sort_onesweep_iterationIS3_Lb0EPsS7_N6thrust23THRUST_200600_302600_NS10device_ptrIlEESB_jNS0_19identity_decomposerENS1_16block_id_wrapperIjLb1EEEEE10hipError_tT1_PNSt15iterator_traitsISG_E10value_typeET2_T3_PNSH_ISM_E10value_typeET4_T5_PSR_SS_PNS1_23onesweep_lookback_stateEbbT6_jjT7_P12ihipStream_tbENKUlT_T0_SG_SL_E_clIS7_S7_SB_SB_EEDaSZ_S10_SG_SL_EUlSZ_E_NS1_11comp_targetILNS1_3genE8ELNS1_11target_archE1030ELNS1_3gpuE2ELNS1_3repE0EEENS1_47radix_sort_onesweep_sort_config_static_selectorELNS0_4arch9wavefront6targetE1EEEvSG_
; %bb.0:
	.section	.rodata,"a",@progbits
	.p2align	6, 0x0
	.amdhsa_kernel _ZN7rocprim17ROCPRIM_400000_NS6detail17trampoline_kernelINS0_14default_configENS1_35radix_sort_onesweep_config_selectorIslEEZZNS1_29radix_sort_onesweep_iterationIS3_Lb0EPsS7_N6thrust23THRUST_200600_302600_NS10device_ptrIlEESB_jNS0_19identity_decomposerENS1_16block_id_wrapperIjLb1EEEEE10hipError_tT1_PNSt15iterator_traitsISG_E10value_typeET2_T3_PNSH_ISM_E10value_typeET4_T5_PSR_SS_PNS1_23onesweep_lookback_stateEbbT6_jjT7_P12ihipStream_tbENKUlT_T0_SG_SL_E_clIS7_S7_SB_SB_EEDaSZ_S10_SG_SL_EUlSZ_E_NS1_11comp_targetILNS1_3genE8ELNS1_11target_archE1030ELNS1_3gpuE2ELNS1_3repE0EEENS1_47radix_sort_onesweep_sort_config_static_selectorELNS0_4arch9wavefront6targetE1EEEvSG_
		.amdhsa_group_segment_fixed_size 0
		.amdhsa_private_segment_fixed_size 0
		.amdhsa_kernarg_size 88
		.amdhsa_user_sgpr_count 6
		.amdhsa_user_sgpr_private_segment_buffer 1
		.amdhsa_user_sgpr_dispatch_ptr 0
		.amdhsa_user_sgpr_queue_ptr 0
		.amdhsa_user_sgpr_kernarg_segment_ptr 1
		.amdhsa_user_sgpr_dispatch_id 0
		.amdhsa_user_sgpr_flat_scratch_init 0
		.amdhsa_user_sgpr_kernarg_preload_length 0
		.amdhsa_user_sgpr_kernarg_preload_offset 0
		.amdhsa_user_sgpr_private_segment_size 0
		.amdhsa_uses_dynamic_stack 0
		.amdhsa_system_sgpr_private_segment_wavefront_offset 0
		.amdhsa_system_sgpr_workgroup_id_x 1
		.amdhsa_system_sgpr_workgroup_id_y 0
		.amdhsa_system_sgpr_workgroup_id_z 0
		.amdhsa_system_sgpr_workgroup_info 0
		.amdhsa_system_vgpr_workitem_id 0
		.amdhsa_next_free_vgpr 1
		.amdhsa_next_free_sgpr 0
		.amdhsa_accum_offset 4
		.amdhsa_reserve_vcc 0
		.amdhsa_reserve_flat_scratch 0
		.amdhsa_float_round_mode_32 0
		.amdhsa_float_round_mode_16_64 0
		.amdhsa_float_denorm_mode_32 3
		.amdhsa_float_denorm_mode_16_64 3
		.amdhsa_dx10_clamp 1
		.amdhsa_ieee_mode 1
		.amdhsa_fp16_overflow 0
		.amdhsa_tg_split 0
		.amdhsa_exception_fp_ieee_invalid_op 0
		.amdhsa_exception_fp_denorm_src 0
		.amdhsa_exception_fp_ieee_div_zero 0
		.amdhsa_exception_fp_ieee_overflow 0
		.amdhsa_exception_fp_ieee_underflow 0
		.amdhsa_exception_fp_ieee_inexact 0
		.amdhsa_exception_int_div_zero 0
	.end_amdhsa_kernel
	.section	.text._ZN7rocprim17ROCPRIM_400000_NS6detail17trampoline_kernelINS0_14default_configENS1_35radix_sort_onesweep_config_selectorIslEEZZNS1_29radix_sort_onesweep_iterationIS3_Lb0EPsS7_N6thrust23THRUST_200600_302600_NS10device_ptrIlEESB_jNS0_19identity_decomposerENS1_16block_id_wrapperIjLb1EEEEE10hipError_tT1_PNSt15iterator_traitsISG_E10value_typeET2_T3_PNSH_ISM_E10value_typeET4_T5_PSR_SS_PNS1_23onesweep_lookback_stateEbbT6_jjT7_P12ihipStream_tbENKUlT_T0_SG_SL_E_clIS7_S7_SB_SB_EEDaSZ_S10_SG_SL_EUlSZ_E_NS1_11comp_targetILNS1_3genE8ELNS1_11target_archE1030ELNS1_3gpuE2ELNS1_3repE0EEENS1_47radix_sort_onesweep_sort_config_static_selectorELNS0_4arch9wavefront6targetE1EEEvSG_,"axG",@progbits,_ZN7rocprim17ROCPRIM_400000_NS6detail17trampoline_kernelINS0_14default_configENS1_35radix_sort_onesweep_config_selectorIslEEZZNS1_29radix_sort_onesweep_iterationIS3_Lb0EPsS7_N6thrust23THRUST_200600_302600_NS10device_ptrIlEESB_jNS0_19identity_decomposerENS1_16block_id_wrapperIjLb1EEEEE10hipError_tT1_PNSt15iterator_traitsISG_E10value_typeET2_T3_PNSH_ISM_E10value_typeET4_T5_PSR_SS_PNS1_23onesweep_lookback_stateEbbT6_jjT7_P12ihipStream_tbENKUlT_T0_SG_SL_E_clIS7_S7_SB_SB_EEDaSZ_S10_SG_SL_EUlSZ_E_NS1_11comp_targetILNS1_3genE8ELNS1_11target_archE1030ELNS1_3gpuE2ELNS1_3repE0EEENS1_47radix_sort_onesweep_sort_config_static_selectorELNS0_4arch9wavefront6targetE1EEEvSG_,comdat
.Lfunc_end1406:
	.size	_ZN7rocprim17ROCPRIM_400000_NS6detail17trampoline_kernelINS0_14default_configENS1_35radix_sort_onesweep_config_selectorIslEEZZNS1_29radix_sort_onesweep_iterationIS3_Lb0EPsS7_N6thrust23THRUST_200600_302600_NS10device_ptrIlEESB_jNS0_19identity_decomposerENS1_16block_id_wrapperIjLb1EEEEE10hipError_tT1_PNSt15iterator_traitsISG_E10value_typeET2_T3_PNSH_ISM_E10value_typeET4_T5_PSR_SS_PNS1_23onesweep_lookback_stateEbbT6_jjT7_P12ihipStream_tbENKUlT_T0_SG_SL_E_clIS7_S7_SB_SB_EEDaSZ_S10_SG_SL_EUlSZ_E_NS1_11comp_targetILNS1_3genE8ELNS1_11target_archE1030ELNS1_3gpuE2ELNS1_3repE0EEENS1_47radix_sort_onesweep_sort_config_static_selectorELNS0_4arch9wavefront6targetE1EEEvSG_, .Lfunc_end1406-_ZN7rocprim17ROCPRIM_400000_NS6detail17trampoline_kernelINS0_14default_configENS1_35radix_sort_onesweep_config_selectorIslEEZZNS1_29radix_sort_onesweep_iterationIS3_Lb0EPsS7_N6thrust23THRUST_200600_302600_NS10device_ptrIlEESB_jNS0_19identity_decomposerENS1_16block_id_wrapperIjLb1EEEEE10hipError_tT1_PNSt15iterator_traitsISG_E10value_typeET2_T3_PNSH_ISM_E10value_typeET4_T5_PSR_SS_PNS1_23onesweep_lookback_stateEbbT6_jjT7_P12ihipStream_tbENKUlT_T0_SG_SL_E_clIS7_S7_SB_SB_EEDaSZ_S10_SG_SL_EUlSZ_E_NS1_11comp_targetILNS1_3genE8ELNS1_11target_archE1030ELNS1_3gpuE2ELNS1_3repE0EEENS1_47radix_sort_onesweep_sort_config_static_selectorELNS0_4arch9wavefront6targetE1EEEvSG_
                                        ; -- End function
	.section	.AMDGPU.csdata,"",@progbits
; Kernel info:
; codeLenInByte = 0
; NumSgprs: 4
; NumVgprs: 0
; NumAgprs: 0
; TotalNumVgprs: 0
; ScratchSize: 0
; MemoryBound: 0
; FloatMode: 240
; IeeeMode: 1
; LDSByteSize: 0 bytes/workgroup (compile time only)
; SGPRBlocks: 0
; VGPRBlocks: 0
; NumSGPRsForWavesPerEU: 4
; NumVGPRsForWavesPerEU: 1
; AccumOffset: 4
; Occupancy: 8
; WaveLimiterHint : 0
; COMPUTE_PGM_RSRC2:SCRATCH_EN: 0
; COMPUTE_PGM_RSRC2:USER_SGPR: 6
; COMPUTE_PGM_RSRC2:TRAP_HANDLER: 0
; COMPUTE_PGM_RSRC2:TGID_X_EN: 1
; COMPUTE_PGM_RSRC2:TGID_Y_EN: 0
; COMPUTE_PGM_RSRC2:TGID_Z_EN: 0
; COMPUTE_PGM_RSRC2:TIDIG_COMP_CNT: 0
; COMPUTE_PGM_RSRC3_GFX90A:ACCUM_OFFSET: 0
; COMPUTE_PGM_RSRC3_GFX90A:TG_SPLIT: 0
	.section	.text._ZN7rocprim17ROCPRIM_400000_NS6detail17trampoline_kernelINS0_14default_configENS1_35radix_sort_onesweep_config_selectorIslEEZZNS1_29radix_sort_onesweep_iterationIS3_Lb0EPsS7_N6thrust23THRUST_200600_302600_NS10device_ptrIlEESB_jNS0_19identity_decomposerENS1_16block_id_wrapperIjLb1EEEEE10hipError_tT1_PNSt15iterator_traitsISG_E10value_typeET2_T3_PNSH_ISM_E10value_typeET4_T5_PSR_SS_PNS1_23onesweep_lookback_stateEbbT6_jjT7_P12ihipStream_tbENKUlT_T0_SG_SL_E_clIS7_S7_SB_PlEEDaSZ_S10_SG_SL_EUlSZ_E_NS1_11comp_targetILNS1_3genE0ELNS1_11target_archE4294967295ELNS1_3gpuE0ELNS1_3repE0EEENS1_47radix_sort_onesweep_sort_config_static_selectorELNS0_4arch9wavefront6targetE1EEEvSG_,"axG",@progbits,_ZN7rocprim17ROCPRIM_400000_NS6detail17trampoline_kernelINS0_14default_configENS1_35radix_sort_onesweep_config_selectorIslEEZZNS1_29radix_sort_onesweep_iterationIS3_Lb0EPsS7_N6thrust23THRUST_200600_302600_NS10device_ptrIlEESB_jNS0_19identity_decomposerENS1_16block_id_wrapperIjLb1EEEEE10hipError_tT1_PNSt15iterator_traitsISG_E10value_typeET2_T3_PNSH_ISM_E10value_typeET4_T5_PSR_SS_PNS1_23onesweep_lookback_stateEbbT6_jjT7_P12ihipStream_tbENKUlT_T0_SG_SL_E_clIS7_S7_SB_PlEEDaSZ_S10_SG_SL_EUlSZ_E_NS1_11comp_targetILNS1_3genE0ELNS1_11target_archE4294967295ELNS1_3gpuE0ELNS1_3repE0EEENS1_47radix_sort_onesweep_sort_config_static_selectorELNS0_4arch9wavefront6targetE1EEEvSG_,comdat
	.protected	_ZN7rocprim17ROCPRIM_400000_NS6detail17trampoline_kernelINS0_14default_configENS1_35radix_sort_onesweep_config_selectorIslEEZZNS1_29radix_sort_onesweep_iterationIS3_Lb0EPsS7_N6thrust23THRUST_200600_302600_NS10device_ptrIlEESB_jNS0_19identity_decomposerENS1_16block_id_wrapperIjLb1EEEEE10hipError_tT1_PNSt15iterator_traitsISG_E10value_typeET2_T3_PNSH_ISM_E10value_typeET4_T5_PSR_SS_PNS1_23onesweep_lookback_stateEbbT6_jjT7_P12ihipStream_tbENKUlT_T0_SG_SL_E_clIS7_S7_SB_PlEEDaSZ_S10_SG_SL_EUlSZ_E_NS1_11comp_targetILNS1_3genE0ELNS1_11target_archE4294967295ELNS1_3gpuE0ELNS1_3repE0EEENS1_47radix_sort_onesweep_sort_config_static_selectorELNS0_4arch9wavefront6targetE1EEEvSG_ ; -- Begin function _ZN7rocprim17ROCPRIM_400000_NS6detail17trampoline_kernelINS0_14default_configENS1_35radix_sort_onesweep_config_selectorIslEEZZNS1_29radix_sort_onesweep_iterationIS3_Lb0EPsS7_N6thrust23THRUST_200600_302600_NS10device_ptrIlEESB_jNS0_19identity_decomposerENS1_16block_id_wrapperIjLb1EEEEE10hipError_tT1_PNSt15iterator_traitsISG_E10value_typeET2_T3_PNSH_ISM_E10value_typeET4_T5_PSR_SS_PNS1_23onesweep_lookback_stateEbbT6_jjT7_P12ihipStream_tbENKUlT_T0_SG_SL_E_clIS7_S7_SB_PlEEDaSZ_S10_SG_SL_EUlSZ_E_NS1_11comp_targetILNS1_3genE0ELNS1_11target_archE4294967295ELNS1_3gpuE0ELNS1_3repE0EEENS1_47radix_sort_onesweep_sort_config_static_selectorELNS0_4arch9wavefront6targetE1EEEvSG_
	.globl	_ZN7rocprim17ROCPRIM_400000_NS6detail17trampoline_kernelINS0_14default_configENS1_35radix_sort_onesweep_config_selectorIslEEZZNS1_29radix_sort_onesweep_iterationIS3_Lb0EPsS7_N6thrust23THRUST_200600_302600_NS10device_ptrIlEESB_jNS0_19identity_decomposerENS1_16block_id_wrapperIjLb1EEEEE10hipError_tT1_PNSt15iterator_traitsISG_E10value_typeET2_T3_PNSH_ISM_E10value_typeET4_T5_PSR_SS_PNS1_23onesweep_lookback_stateEbbT6_jjT7_P12ihipStream_tbENKUlT_T0_SG_SL_E_clIS7_S7_SB_PlEEDaSZ_S10_SG_SL_EUlSZ_E_NS1_11comp_targetILNS1_3genE0ELNS1_11target_archE4294967295ELNS1_3gpuE0ELNS1_3repE0EEENS1_47radix_sort_onesweep_sort_config_static_selectorELNS0_4arch9wavefront6targetE1EEEvSG_
	.p2align	8
	.type	_ZN7rocprim17ROCPRIM_400000_NS6detail17trampoline_kernelINS0_14default_configENS1_35radix_sort_onesweep_config_selectorIslEEZZNS1_29radix_sort_onesweep_iterationIS3_Lb0EPsS7_N6thrust23THRUST_200600_302600_NS10device_ptrIlEESB_jNS0_19identity_decomposerENS1_16block_id_wrapperIjLb1EEEEE10hipError_tT1_PNSt15iterator_traitsISG_E10value_typeET2_T3_PNSH_ISM_E10value_typeET4_T5_PSR_SS_PNS1_23onesweep_lookback_stateEbbT6_jjT7_P12ihipStream_tbENKUlT_T0_SG_SL_E_clIS7_S7_SB_PlEEDaSZ_S10_SG_SL_EUlSZ_E_NS1_11comp_targetILNS1_3genE0ELNS1_11target_archE4294967295ELNS1_3gpuE0ELNS1_3repE0EEENS1_47radix_sort_onesweep_sort_config_static_selectorELNS0_4arch9wavefront6targetE1EEEvSG_,@function
_ZN7rocprim17ROCPRIM_400000_NS6detail17trampoline_kernelINS0_14default_configENS1_35radix_sort_onesweep_config_selectorIslEEZZNS1_29radix_sort_onesweep_iterationIS3_Lb0EPsS7_N6thrust23THRUST_200600_302600_NS10device_ptrIlEESB_jNS0_19identity_decomposerENS1_16block_id_wrapperIjLb1EEEEE10hipError_tT1_PNSt15iterator_traitsISG_E10value_typeET2_T3_PNSH_ISM_E10value_typeET4_T5_PSR_SS_PNS1_23onesweep_lookback_stateEbbT6_jjT7_P12ihipStream_tbENKUlT_T0_SG_SL_E_clIS7_S7_SB_PlEEDaSZ_S10_SG_SL_EUlSZ_E_NS1_11comp_targetILNS1_3genE0ELNS1_11target_archE4294967295ELNS1_3gpuE0ELNS1_3repE0EEENS1_47radix_sort_onesweep_sort_config_static_selectorELNS0_4arch9wavefront6targetE1EEEvSG_: ; @_ZN7rocprim17ROCPRIM_400000_NS6detail17trampoline_kernelINS0_14default_configENS1_35radix_sort_onesweep_config_selectorIslEEZZNS1_29radix_sort_onesweep_iterationIS3_Lb0EPsS7_N6thrust23THRUST_200600_302600_NS10device_ptrIlEESB_jNS0_19identity_decomposerENS1_16block_id_wrapperIjLb1EEEEE10hipError_tT1_PNSt15iterator_traitsISG_E10value_typeET2_T3_PNSH_ISM_E10value_typeET4_T5_PSR_SS_PNS1_23onesweep_lookback_stateEbbT6_jjT7_P12ihipStream_tbENKUlT_T0_SG_SL_E_clIS7_S7_SB_PlEEDaSZ_S10_SG_SL_EUlSZ_E_NS1_11comp_targetILNS1_3genE0ELNS1_11target_archE4294967295ELNS1_3gpuE0ELNS1_3repE0EEENS1_47radix_sort_onesweep_sort_config_static_selectorELNS0_4arch9wavefront6targetE1EEEvSG_
; %bb.0:
	.section	.rodata,"a",@progbits
	.p2align	6, 0x0
	.amdhsa_kernel _ZN7rocprim17ROCPRIM_400000_NS6detail17trampoline_kernelINS0_14default_configENS1_35radix_sort_onesweep_config_selectorIslEEZZNS1_29radix_sort_onesweep_iterationIS3_Lb0EPsS7_N6thrust23THRUST_200600_302600_NS10device_ptrIlEESB_jNS0_19identity_decomposerENS1_16block_id_wrapperIjLb1EEEEE10hipError_tT1_PNSt15iterator_traitsISG_E10value_typeET2_T3_PNSH_ISM_E10value_typeET4_T5_PSR_SS_PNS1_23onesweep_lookback_stateEbbT6_jjT7_P12ihipStream_tbENKUlT_T0_SG_SL_E_clIS7_S7_SB_PlEEDaSZ_S10_SG_SL_EUlSZ_E_NS1_11comp_targetILNS1_3genE0ELNS1_11target_archE4294967295ELNS1_3gpuE0ELNS1_3repE0EEENS1_47radix_sort_onesweep_sort_config_static_selectorELNS0_4arch9wavefront6targetE1EEEvSG_
		.amdhsa_group_segment_fixed_size 0
		.amdhsa_private_segment_fixed_size 0
		.amdhsa_kernarg_size 88
		.amdhsa_user_sgpr_count 6
		.amdhsa_user_sgpr_private_segment_buffer 1
		.amdhsa_user_sgpr_dispatch_ptr 0
		.amdhsa_user_sgpr_queue_ptr 0
		.amdhsa_user_sgpr_kernarg_segment_ptr 1
		.amdhsa_user_sgpr_dispatch_id 0
		.amdhsa_user_sgpr_flat_scratch_init 0
		.amdhsa_user_sgpr_kernarg_preload_length 0
		.amdhsa_user_sgpr_kernarg_preload_offset 0
		.amdhsa_user_sgpr_private_segment_size 0
		.amdhsa_uses_dynamic_stack 0
		.amdhsa_system_sgpr_private_segment_wavefront_offset 0
		.amdhsa_system_sgpr_workgroup_id_x 1
		.amdhsa_system_sgpr_workgroup_id_y 0
		.amdhsa_system_sgpr_workgroup_id_z 0
		.amdhsa_system_sgpr_workgroup_info 0
		.amdhsa_system_vgpr_workitem_id 0
		.amdhsa_next_free_vgpr 1
		.amdhsa_next_free_sgpr 0
		.amdhsa_accum_offset 4
		.amdhsa_reserve_vcc 0
		.amdhsa_reserve_flat_scratch 0
		.amdhsa_float_round_mode_32 0
		.amdhsa_float_round_mode_16_64 0
		.amdhsa_float_denorm_mode_32 3
		.amdhsa_float_denorm_mode_16_64 3
		.amdhsa_dx10_clamp 1
		.amdhsa_ieee_mode 1
		.amdhsa_fp16_overflow 0
		.amdhsa_tg_split 0
		.amdhsa_exception_fp_ieee_invalid_op 0
		.amdhsa_exception_fp_denorm_src 0
		.amdhsa_exception_fp_ieee_div_zero 0
		.amdhsa_exception_fp_ieee_overflow 0
		.amdhsa_exception_fp_ieee_underflow 0
		.amdhsa_exception_fp_ieee_inexact 0
		.amdhsa_exception_int_div_zero 0
	.end_amdhsa_kernel
	.section	.text._ZN7rocprim17ROCPRIM_400000_NS6detail17trampoline_kernelINS0_14default_configENS1_35radix_sort_onesweep_config_selectorIslEEZZNS1_29radix_sort_onesweep_iterationIS3_Lb0EPsS7_N6thrust23THRUST_200600_302600_NS10device_ptrIlEESB_jNS0_19identity_decomposerENS1_16block_id_wrapperIjLb1EEEEE10hipError_tT1_PNSt15iterator_traitsISG_E10value_typeET2_T3_PNSH_ISM_E10value_typeET4_T5_PSR_SS_PNS1_23onesweep_lookback_stateEbbT6_jjT7_P12ihipStream_tbENKUlT_T0_SG_SL_E_clIS7_S7_SB_PlEEDaSZ_S10_SG_SL_EUlSZ_E_NS1_11comp_targetILNS1_3genE0ELNS1_11target_archE4294967295ELNS1_3gpuE0ELNS1_3repE0EEENS1_47radix_sort_onesweep_sort_config_static_selectorELNS0_4arch9wavefront6targetE1EEEvSG_,"axG",@progbits,_ZN7rocprim17ROCPRIM_400000_NS6detail17trampoline_kernelINS0_14default_configENS1_35radix_sort_onesweep_config_selectorIslEEZZNS1_29radix_sort_onesweep_iterationIS3_Lb0EPsS7_N6thrust23THRUST_200600_302600_NS10device_ptrIlEESB_jNS0_19identity_decomposerENS1_16block_id_wrapperIjLb1EEEEE10hipError_tT1_PNSt15iterator_traitsISG_E10value_typeET2_T3_PNSH_ISM_E10value_typeET4_T5_PSR_SS_PNS1_23onesweep_lookback_stateEbbT6_jjT7_P12ihipStream_tbENKUlT_T0_SG_SL_E_clIS7_S7_SB_PlEEDaSZ_S10_SG_SL_EUlSZ_E_NS1_11comp_targetILNS1_3genE0ELNS1_11target_archE4294967295ELNS1_3gpuE0ELNS1_3repE0EEENS1_47radix_sort_onesweep_sort_config_static_selectorELNS0_4arch9wavefront6targetE1EEEvSG_,comdat
.Lfunc_end1407:
	.size	_ZN7rocprim17ROCPRIM_400000_NS6detail17trampoline_kernelINS0_14default_configENS1_35radix_sort_onesweep_config_selectorIslEEZZNS1_29radix_sort_onesweep_iterationIS3_Lb0EPsS7_N6thrust23THRUST_200600_302600_NS10device_ptrIlEESB_jNS0_19identity_decomposerENS1_16block_id_wrapperIjLb1EEEEE10hipError_tT1_PNSt15iterator_traitsISG_E10value_typeET2_T3_PNSH_ISM_E10value_typeET4_T5_PSR_SS_PNS1_23onesweep_lookback_stateEbbT6_jjT7_P12ihipStream_tbENKUlT_T0_SG_SL_E_clIS7_S7_SB_PlEEDaSZ_S10_SG_SL_EUlSZ_E_NS1_11comp_targetILNS1_3genE0ELNS1_11target_archE4294967295ELNS1_3gpuE0ELNS1_3repE0EEENS1_47radix_sort_onesweep_sort_config_static_selectorELNS0_4arch9wavefront6targetE1EEEvSG_, .Lfunc_end1407-_ZN7rocprim17ROCPRIM_400000_NS6detail17trampoline_kernelINS0_14default_configENS1_35radix_sort_onesweep_config_selectorIslEEZZNS1_29radix_sort_onesweep_iterationIS3_Lb0EPsS7_N6thrust23THRUST_200600_302600_NS10device_ptrIlEESB_jNS0_19identity_decomposerENS1_16block_id_wrapperIjLb1EEEEE10hipError_tT1_PNSt15iterator_traitsISG_E10value_typeET2_T3_PNSH_ISM_E10value_typeET4_T5_PSR_SS_PNS1_23onesweep_lookback_stateEbbT6_jjT7_P12ihipStream_tbENKUlT_T0_SG_SL_E_clIS7_S7_SB_PlEEDaSZ_S10_SG_SL_EUlSZ_E_NS1_11comp_targetILNS1_3genE0ELNS1_11target_archE4294967295ELNS1_3gpuE0ELNS1_3repE0EEENS1_47radix_sort_onesweep_sort_config_static_selectorELNS0_4arch9wavefront6targetE1EEEvSG_
                                        ; -- End function
	.section	.AMDGPU.csdata,"",@progbits
; Kernel info:
; codeLenInByte = 0
; NumSgprs: 4
; NumVgprs: 0
; NumAgprs: 0
; TotalNumVgprs: 0
; ScratchSize: 0
; MemoryBound: 0
; FloatMode: 240
; IeeeMode: 1
; LDSByteSize: 0 bytes/workgroup (compile time only)
; SGPRBlocks: 0
; VGPRBlocks: 0
; NumSGPRsForWavesPerEU: 4
; NumVGPRsForWavesPerEU: 1
; AccumOffset: 4
; Occupancy: 8
; WaveLimiterHint : 0
; COMPUTE_PGM_RSRC2:SCRATCH_EN: 0
; COMPUTE_PGM_RSRC2:USER_SGPR: 6
; COMPUTE_PGM_RSRC2:TRAP_HANDLER: 0
; COMPUTE_PGM_RSRC2:TGID_X_EN: 1
; COMPUTE_PGM_RSRC2:TGID_Y_EN: 0
; COMPUTE_PGM_RSRC2:TGID_Z_EN: 0
; COMPUTE_PGM_RSRC2:TIDIG_COMP_CNT: 0
; COMPUTE_PGM_RSRC3_GFX90A:ACCUM_OFFSET: 0
; COMPUTE_PGM_RSRC3_GFX90A:TG_SPLIT: 0
	.section	.text._ZN7rocprim17ROCPRIM_400000_NS6detail17trampoline_kernelINS0_14default_configENS1_35radix_sort_onesweep_config_selectorIslEEZZNS1_29radix_sort_onesweep_iterationIS3_Lb0EPsS7_N6thrust23THRUST_200600_302600_NS10device_ptrIlEESB_jNS0_19identity_decomposerENS1_16block_id_wrapperIjLb1EEEEE10hipError_tT1_PNSt15iterator_traitsISG_E10value_typeET2_T3_PNSH_ISM_E10value_typeET4_T5_PSR_SS_PNS1_23onesweep_lookback_stateEbbT6_jjT7_P12ihipStream_tbENKUlT_T0_SG_SL_E_clIS7_S7_SB_PlEEDaSZ_S10_SG_SL_EUlSZ_E_NS1_11comp_targetILNS1_3genE6ELNS1_11target_archE950ELNS1_3gpuE13ELNS1_3repE0EEENS1_47radix_sort_onesweep_sort_config_static_selectorELNS0_4arch9wavefront6targetE1EEEvSG_,"axG",@progbits,_ZN7rocprim17ROCPRIM_400000_NS6detail17trampoline_kernelINS0_14default_configENS1_35radix_sort_onesweep_config_selectorIslEEZZNS1_29radix_sort_onesweep_iterationIS3_Lb0EPsS7_N6thrust23THRUST_200600_302600_NS10device_ptrIlEESB_jNS0_19identity_decomposerENS1_16block_id_wrapperIjLb1EEEEE10hipError_tT1_PNSt15iterator_traitsISG_E10value_typeET2_T3_PNSH_ISM_E10value_typeET4_T5_PSR_SS_PNS1_23onesweep_lookback_stateEbbT6_jjT7_P12ihipStream_tbENKUlT_T0_SG_SL_E_clIS7_S7_SB_PlEEDaSZ_S10_SG_SL_EUlSZ_E_NS1_11comp_targetILNS1_3genE6ELNS1_11target_archE950ELNS1_3gpuE13ELNS1_3repE0EEENS1_47radix_sort_onesweep_sort_config_static_selectorELNS0_4arch9wavefront6targetE1EEEvSG_,comdat
	.protected	_ZN7rocprim17ROCPRIM_400000_NS6detail17trampoline_kernelINS0_14default_configENS1_35radix_sort_onesweep_config_selectorIslEEZZNS1_29radix_sort_onesweep_iterationIS3_Lb0EPsS7_N6thrust23THRUST_200600_302600_NS10device_ptrIlEESB_jNS0_19identity_decomposerENS1_16block_id_wrapperIjLb1EEEEE10hipError_tT1_PNSt15iterator_traitsISG_E10value_typeET2_T3_PNSH_ISM_E10value_typeET4_T5_PSR_SS_PNS1_23onesweep_lookback_stateEbbT6_jjT7_P12ihipStream_tbENKUlT_T0_SG_SL_E_clIS7_S7_SB_PlEEDaSZ_S10_SG_SL_EUlSZ_E_NS1_11comp_targetILNS1_3genE6ELNS1_11target_archE950ELNS1_3gpuE13ELNS1_3repE0EEENS1_47radix_sort_onesweep_sort_config_static_selectorELNS0_4arch9wavefront6targetE1EEEvSG_ ; -- Begin function _ZN7rocprim17ROCPRIM_400000_NS6detail17trampoline_kernelINS0_14default_configENS1_35radix_sort_onesweep_config_selectorIslEEZZNS1_29radix_sort_onesweep_iterationIS3_Lb0EPsS7_N6thrust23THRUST_200600_302600_NS10device_ptrIlEESB_jNS0_19identity_decomposerENS1_16block_id_wrapperIjLb1EEEEE10hipError_tT1_PNSt15iterator_traitsISG_E10value_typeET2_T3_PNSH_ISM_E10value_typeET4_T5_PSR_SS_PNS1_23onesweep_lookback_stateEbbT6_jjT7_P12ihipStream_tbENKUlT_T0_SG_SL_E_clIS7_S7_SB_PlEEDaSZ_S10_SG_SL_EUlSZ_E_NS1_11comp_targetILNS1_3genE6ELNS1_11target_archE950ELNS1_3gpuE13ELNS1_3repE0EEENS1_47radix_sort_onesweep_sort_config_static_selectorELNS0_4arch9wavefront6targetE1EEEvSG_
	.globl	_ZN7rocprim17ROCPRIM_400000_NS6detail17trampoline_kernelINS0_14default_configENS1_35radix_sort_onesweep_config_selectorIslEEZZNS1_29radix_sort_onesweep_iterationIS3_Lb0EPsS7_N6thrust23THRUST_200600_302600_NS10device_ptrIlEESB_jNS0_19identity_decomposerENS1_16block_id_wrapperIjLb1EEEEE10hipError_tT1_PNSt15iterator_traitsISG_E10value_typeET2_T3_PNSH_ISM_E10value_typeET4_T5_PSR_SS_PNS1_23onesweep_lookback_stateEbbT6_jjT7_P12ihipStream_tbENKUlT_T0_SG_SL_E_clIS7_S7_SB_PlEEDaSZ_S10_SG_SL_EUlSZ_E_NS1_11comp_targetILNS1_3genE6ELNS1_11target_archE950ELNS1_3gpuE13ELNS1_3repE0EEENS1_47radix_sort_onesweep_sort_config_static_selectorELNS0_4arch9wavefront6targetE1EEEvSG_
	.p2align	8
	.type	_ZN7rocprim17ROCPRIM_400000_NS6detail17trampoline_kernelINS0_14default_configENS1_35radix_sort_onesweep_config_selectorIslEEZZNS1_29radix_sort_onesweep_iterationIS3_Lb0EPsS7_N6thrust23THRUST_200600_302600_NS10device_ptrIlEESB_jNS0_19identity_decomposerENS1_16block_id_wrapperIjLb1EEEEE10hipError_tT1_PNSt15iterator_traitsISG_E10value_typeET2_T3_PNSH_ISM_E10value_typeET4_T5_PSR_SS_PNS1_23onesweep_lookback_stateEbbT6_jjT7_P12ihipStream_tbENKUlT_T0_SG_SL_E_clIS7_S7_SB_PlEEDaSZ_S10_SG_SL_EUlSZ_E_NS1_11comp_targetILNS1_3genE6ELNS1_11target_archE950ELNS1_3gpuE13ELNS1_3repE0EEENS1_47radix_sort_onesweep_sort_config_static_selectorELNS0_4arch9wavefront6targetE1EEEvSG_,@function
_ZN7rocprim17ROCPRIM_400000_NS6detail17trampoline_kernelINS0_14default_configENS1_35radix_sort_onesweep_config_selectorIslEEZZNS1_29radix_sort_onesweep_iterationIS3_Lb0EPsS7_N6thrust23THRUST_200600_302600_NS10device_ptrIlEESB_jNS0_19identity_decomposerENS1_16block_id_wrapperIjLb1EEEEE10hipError_tT1_PNSt15iterator_traitsISG_E10value_typeET2_T3_PNSH_ISM_E10value_typeET4_T5_PSR_SS_PNS1_23onesweep_lookback_stateEbbT6_jjT7_P12ihipStream_tbENKUlT_T0_SG_SL_E_clIS7_S7_SB_PlEEDaSZ_S10_SG_SL_EUlSZ_E_NS1_11comp_targetILNS1_3genE6ELNS1_11target_archE950ELNS1_3gpuE13ELNS1_3repE0EEENS1_47radix_sort_onesweep_sort_config_static_selectorELNS0_4arch9wavefront6targetE1EEEvSG_: ; @_ZN7rocprim17ROCPRIM_400000_NS6detail17trampoline_kernelINS0_14default_configENS1_35radix_sort_onesweep_config_selectorIslEEZZNS1_29radix_sort_onesweep_iterationIS3_Lb0EPsS7_N6thrust23THRUST_200600_302600_NS10device_ptrIlEESB_jNS0_19identity_decomposerENS1_16block_id_wrapperIjLb1EEEEE10hipError_tT1_PNSt15iterator_traitsISG_E10value_typeET2_T3_PNSH_ISM_E10value_typeET4_T5_PSR_SS_PNS1_23onesweep_lookback_stateEbbT6_jjT7_P12ihipStream_tbENKUlT_T0_SG_SL_E_clIS7_S7_SB_PlEEDaSZ_S10_SG_SL_EUlSZ_E_NS1_11comp_targetILNS1_3genE6ELNS1_11target_archE950ELNS1_3gpuE13ELNS1_3repE0EEENS1_47radix_sort_onesweep_sort_config_static_selectorELNS0_4arch9wavefront6targetE1EEEvSG_
; %bb.0:
	.section	.rodata,"a",@progbits
	.p2align	6, 0x0
	.amdhsa_kernel _ZN7rocprim17ROCPRIM_400000_NS6detail17trampoline_kernelINS0_14default_configENS1_35radix_sort_onesweep_config_selectorIslEEZZNS1_29radix_sort_onesweep_iterationIS3_Lb0EPsS7_N6thrust23THRUST_200600_302600_NS10device_ptrIlEESB_jNS0_19identity_decomposerENS1_16block_id_wrapperIjLb1EEEEE10hipError_tT1_PNSt15iterator_traitsISG_E10value_typeET2_T3_PNSH_ISM_E10value_typeET4_T5_PSR_SS_PNS1_23onesweep_lookback_stateEbbT6_jjT7_P12ihipStream_tbENKUlT_T0_SG_SL_E_clIS7_S7_SB_PlEEDaSZ_S10_SG_SL_EUlSZ_E_NS1_11comp_targetILNS1_3genE6ELNS1_11target_archE950ELNS1_3gpuE13ELNS1_3repE0EEENS1_47radix_sort_onesweep_sort_config_static_selectorELNS0_4arch9wavefront6targetE1EEEvSG_
		.amdhsa_group_segment_fixed_size 0
		.amdhsa_private_segment_fixed_size 0
		.amdhsa_kernarg_size 88
		.amdhsa_user_sgpr_count 6
		.amdhsa_user_sgpr_private_segment_buffer 1
		.amdhsa_user_sgpr_dispatch_ptr 0
		.amdhsa_user_sgpr_queue_ptr 0
		.amdhsa_user_sgpr_kernarg_segment_ptr 1
		.amdhsa_user_sgpr_dispatch_id 0
		.amdhsa_user_sgpr_flat_scratch_init 0
		.amdhsa_user_sgpr_kernarg_preload_length 0
		.amdhsa_user_sgpr_kernarg_preload_offset 0
		.amdhsa_user_sgpr_private_segment_size 0
		.amdhsa_uses_dynamic_stack 0
		.amdhsa_system_sgpr_private_segment_wavefront_offset 0
		.amdhsa_system_sgpr_workgroup_id_x 1
		.amdhsa_system_sgpr_workgroup_id_y 0
		.amdhsa_system_sgpr_workgroup_id_z 0
		.amdhsa_system_sgpr_workgroup_info 0
		.amdhsa_system_vgpr_workitem_id 0
		.amdhsa_next_free_vgpr 1
		.amdhsa_next_free_sgpr 0
		.amdhsa_accum_offset 4
		.amdhsa_reserve_vcc 0
		.amdhsa_reserve_flat_scratch 0
		.amdhsa_float_round_mode_32 0
		.amdhsa_float_round_mode_16_64 0
		.amdhsa_float_denorm_mode_32 3
		.amdhsa_float_denorm_mode_16_64 3
		.amdhsa_dx10_clamp 1
		.amdhsa_ieee_mode 1
		.amdhsa_fp16_overflow 0
		.amdhsa_tg_split 0
		.amdhsa_exception_fp_ieee_invalid_op 0
		.amdhsa_exception_fp_denorm_src 0
		.amdhsa_exception_fp_ieee_div_zero 0
		.amdhsa_exception_fp_ieee_overflow 0
		.amdhsa_exception_fp_ieee_underflow 0
		.amdhsa_exception_fp_ieee_inexact 0
		.amdhsa_exception_int_div_zero 0
	.end_amdhsa_kernel
	.section	.text._ZN7rocprim17ROCPRIM_400000_NS6detail17trampoline_kernelINS0_14default_configENS1_35radix_sort_onesweep_config_selectorIslEEZZNS1_29radix_sort_onesweep_iterationIS3_Lb0EPsS7_N6thrust23THRUST_200600_302600_NS10device_ptrIlEESB_jNS0_19identity_decomposerENS1_16block_id_wrapperIjLb1EEEEE10hipError_tT1_PNSt15iterator_traitsISG_E10value_typeET2_T3_PNSH_ISM_E10value_typeET4_T5_PSR_SS_PNS1_23onesweep_lookback_stateEbbT6_jjT7_P12ihipStream_tbENKUlT_T0_SG_SL_E_clIS7_S7_SB_PlEEDaSZ_S10_SG_SL_EUlSZ_E_NS1_11comp_targetILNS1_3genE6ELNS1_11target_archE950ELNS1_3gpuE13ELNS1_3repE0EEENS1_47radix_sort_onesweep_sort_config_static_selectorELNS0_4arch9wavefront6targetE1EEEvSG_,"axG",@progbits,_ZN7rocprim17ROCPRIM_400000_NS6detail17trampoline_kernelINS0_14default_configENS1_35radix_sort_onesweep_config_selectorIslEEZZNS1_29radix_sort_onesweep_iterationIS3_Lb0EPsS7_N6thrust23THRUST_200600_302600_NS10device_ptrIlEESB_jNS0_19identity_decomposerENS1_16block_id_wrapperIjLb1EEEEE10hipError_tT1_PNSt15iterator_traitsISG_E10value_typeET2_T3_PNSH_ISM_E10value_typeET4_T5_PSR_SS_PNS1_23onesweep_lookback_stateEbbT6_jjT7_P12ihipStream_tbENKUlT_T0_SG_SL_E_clIS7_S7_SB_PlEEDaSZ_S10_SG_SL_EUlSZ_E_NS1_11comp_targetILNS1_3genE6ELNS1_11target_archE950ELNS1_3gpuE13ELNS1_3repE0EEENS1_47radix_sort_onesweep_sort_config_static_selectorELNS0_4arch9wavefront6targetE1EEEvSG_,comdat
.Lfunc_end1408:
	.size	_ZN7rocprim17ROCPRIM_400000_NS6detail17trampoline_kernelINS0_14default_configENS1_35radix_sort_onesweep_config_selectorIslEEZZNS1_29radix_sort_onesweep_iterationIS3_Lb0EPsS7_N6thrust23THRUST_200600_302600_NS10device_ptrIlEESB_jNS0_19identity_decomposerENS1_16block_id_wrapperIjLb1EEEEE10hipError_tT1_PNSt15iterator_traitsISG_E10value_typeET2_T3_PNSH_ISM_E10value_typeET4_T5_PSR_SS_PNS1_23onesweep_lookback_stateEbbT6_jjT7_P12ihipStream_tbENKUlT_T0_SG_SL_E_clIS7_S7_SB_PlEEDaSZ_S10_SG_SL_EUlSZ_E_NS1_11comp_targetILNS1_3genE6ELNS1_11target_archE950ELNS1_3gpuE13ELNS1_3repE0EEENS1_47radix_sort_onesweep_sort_config_static_selectorELNS0_4arch9wavefront6targetE1EEEvSG_, .Lfunc_end1408-_ZN7rocprim17ROCPRIM_400000_NS6detail17trampoline_kernelINS0_14default_configENS1_35radix_sort_onesweep_config_selectorIslEEZZNS1_29radix_sort_onesweep_iterationIS3_Lb0EPsS7_N6thrust23THRUST_200600_302600_NS10device_ptrIlEESB_jNS0_19identity_decomposerENS1_16block_id_wrapperIjLb1EEEEE10hipError_tT1_PNSt15iterator_traitsISG_E10value_typeET2_T3_PNSH_ISM_E10value_typeET4_T5_PSR_SS_PNS1_23onesweep_lookback_stateEbbT6_jjT7_P12ihipStream_tbENKUlT_T0_SG_SL_E_clIS7_S7_SB_PlEEDaSZ_S10_SG_SL_EUlSZ_E_NS1_11comp_targetILNS1_3genE6ELNS1_11target_archE950ELNS1_3gpuE13ELNS1_3repE0EEENS1_47radix_sort_onesweep_sort_config_static_selectorELNS0_4arch9wavefront6targetE1EEEvSG_
                                        ; -- End function
	.section	.AMDGPU.csdata,"",@progbits
; Kernel info:
; codeLenInByte = 0
; NumSgprs: 4
; NumVgprs: 0
; NumAgprs: 0
; TotalNumVgprs: 0
; ScratchSize: 0
; MemoryBound: 0
; FloatMode: 240
; IeeeMode: 1
; LDSByteSize: 0 bytes/workgroup (compile time only)
; SGPRBlocks: 0
; VGPRBlocks: 0
; NumSGPRsForWavesPerEU: 4
; NumVGPRsForWavesPerEU: 1
; AccumOffset: 4
; Occupancy: 8
; WaveLimiterHint : 0
; COMPUTE_PGM_RSRC2:SCRATCH_EN: 0
; COMPUTE_PGM_RSRC2:USER_SGPR: 6
; COMPUTE_PGM_RSRC2:TRAP_HANDLER: 0
; COMPUTE_PGM_RSRC2:TGID_X_EN: 1
; COMPUTE_PGM_RSRC2:TGID_Y_EN: 0
; COMPUTE_PGM_RSRC2:TGID_Z_EN: 0
; COMPUTE_PGM_RSRC2:TIDIG_COMP_CNT: 0
; COMPUTE_PGM_RSRC3_GFX90A:ACCUM_OFFSET: 0
; COMPUTE_PGM_RSRC3_GFX90A:TG_SPLIT: 0
	.section	.text._ZN7rocprim17ROCPRIM_400000_NS6detail17trampoline_kernelINS0_14default_configENS1_35radix_sort_onesweep_config_selectorIslEEZZNS1_29radix_sort_onesweep_iterationIS3_Lb0EPsS7_N6thrust23THRUST_200600_302600_NS10device_ptrIlEESB_jNS0_19identity_decomposerENS1_16block_id_wrapperIjLb1EEEEE10hipError_tT1_PNSt15iterator_traitsISG_E10value_typeET2_T3_PNSH_ISM_E10value_typeET4_T5_PSR_SS_PNS1_23onesweep_lookback_stateEbbT6_jjT7_P12ihipStream_tbENKUlT_T0_SG_SL_E_clIS7_S7_SB_PlEEDaSZ_S10_SG_SL_EUlSZ_E_NS1_11comp_targetILNS1_3genE5ELNS1_11target_archE942ELNS1_3gpuE9ELNS1_3repE0EEENS1_47radix_sort_onesweep_sort_config_static_selectorELNS0_4arch9wavefront6targetE1EEEvSG_,"axG",@progbits,_ZN7rocprim17ROCPRIM_400000_NS6detail17trampoline_kernelINS0_14default_configENS1_35radix_sort_onesweep_config_selectorIslEEZZNS1_29radix_sort_onesweep_iterationIS3_Lb0EPsS7_N6thrust23THRUST_200600_302600_NS10device_ptrIlEESB_jNS0_19identity_decomposerENS1_16block_id_wrapperIjLb1EEEEE10hipError_tT1_PNSt15iterator_traitsISG_E10value_typeET2_T3_PNSH_ISM_E10value_typeET4_T5_PSR_SS_PNS1_23onesweep_lookback_stateEbbT6_jjT7_P12ihipStream_tbENKUlT_T0_SG_SL_E_clIS7_S7_SB_PlEEDaSZ_S10_SG_SL_EUlSZ_E_NS1_11comp_targetILNS1_3genE5ELNS1_11target_archE942ELNS1_3gpuE9ELNS1_3repE0EEENS1_47radix_sort_onesweep_sort_config_static_selectorELNS0_4arch9wavefront6targetE1EEEvSG_,comdat
	.protected	_ZN7rocprim17ROCPRIM_400000_NS6detail17trampoline_kernelINS0_14default_configENS1_35radix_sort_onesweep_config_selectorIslEEZZNS1_29radix_sort_onesweep_iterationIS3_Lb0EPsS7_N6thrust23THRUST_200600_302600_NS10device_ptrIlEESB_jNS0_19identity_decomposerENS1_16block_id_wrapperIjLb1EEEEE10hipError_tT1_PNSt15iterator_traitsISG_E10value_typeET2_T3_PNSH_ISM_E10value_typeET4_T5_PSR_SS_PNS1_23onesweep_lookback_stateEbbT6_jjT7_P12ihipStream_tbENKUlT_T0_SG_SL_E_clIS7_S7_SB_PlEEDaSZ_S10_SG_SL_EUlSZ_E_NS1_11comp_targetILNS1_3genE5ELNS1_11target_archE942ELNS1_3gpuE9ELNS1_3repE0EEENS1_47radix_sort_onesweep_sort_config_static_selectorELNS0_4arch9wavefront6targetE1EEEvSG_ ; -- Begin function _ZN7rocprim17ROCPRIM_400000_NS6detail17trampoline_kernelINS0_14default_configENS1_35radix_sort_onesweep_config_selectorIslEEZZNS1_29radix_sort_onesweep_iterationIS3_Lb0EPsS7_N6thrust23THRUST_200600_302600_NS10device_ptrIlEESB_jNS0_19identity_decomposerENS1_16block_id_wrapperIjLb1EEEEE10hipError_tT1_PNSt15iterator_traitsISG_E10value_typeET2_T3_PNSH_ISM_E10value_typeET4_T5_PSR_SS_PNS1_23onesweep_lookback_stateEbbT6_jjT7_P12ihipStream_tbENKUlT_T0_SG_SL_E_clIS7_S7_SB_PlEEDaSZ_S10_SG_SL_EUlSZ_E_NS1_11comp_targetILNS1_3genE5ELNS1_11target_archE942ELNS1_3gpuE9ELNS1_3repE0EEENS1_47radix_sort_onesweep_sort_config_static_selectorELNS0_4arch9wavefront6targetE1EEEvSG_
	.globl	_ZN7rocprim17ROCPRIM_400000_NS6detail17trampoline_kernelINS0_14default_configENS1_35radix_sort_onesweep_config_selectorIslEEZZNS1_29radix_sort_onesweep_iterationIS3_Lb0EPsS7_N6thrust23THRUST_200600_302600_NS10device_ptrIlEESB_jNS0_19identity_decomposerENS1_16block_id_wrapperIjLb1EEEEE10hipError_tT1_PNSt15iterator_traitsISG_E10value_typeET2_T3_PNSH_ISM_E10value_typeET4_T5_PSR_SS_PNS1_23onesweep_lookback_stateEbbT6_jjT7_P12ihipStream_tbENKUlT_T0_SG_SL_E_clIS7_S7_SB_PlEEDaSZ_S10_SG_SL_EUlSZ_E_NS1_11comp_targetILNS1_3genE5ELNS1_11target_archE942ELNS1_3gpuE9ELNS1_3repE0EEENS1_47radix_sort_onesweep_sort_config_static_selectorELNS0_4arch9wavefront6targetE1EEEvSG_
	.p2align	8
	.type	_ZN7rocprim17ROCPRIM_400000_NS6detail17trampoline_kernelINS0_14default_configENS1_35radix_sort_onesweep_config_selectorIslEEZZNS1_29radix_sort_onesweep_iterationIS3_Lb0EPsS7_N6thrust23THRUST_200600_302600_NS10device_ptrIlEESB_jNS0_19identity_decomposerENS1_16block_id_wrapperIjLb1EEEEE10hipError_tT1_PNSt15iterator_traitsISG_E10value_typeET2_T3_PNSH_ISM_E10value_typeET4_T5_PSR_SS_PNS1_23onesweep_lookback_stateEbbT6_jjT7_P12ihipStream_tbENKUlT_T0_SG_SL_E_clIS7_S7_SB_PlEEDaSZ_S10_SG_SL_EUlSZ_E_NS1_11comp_targetILNS1_3genE5ELNS1_11target_archE942ELNS1_3gpuE9ELNS1_3repE0EEENS1_47radix_sort_onesweep_sort_config_static_selectorELNS0_4arch9wavefront6targetE1EEEvSG_,@function
_ZN7rocprim17ROCPRIM_400000_NS6detail17trampoline_kernelINS0_14default_configENS1_35radix_sort_onesweep_config_selectorIslEEZZNS1_29radix_sort_onesweep_iterationIS3_Lb0EPsS7_N6thrust23THRUST_200600_302600_NS10device_ptrIlEESB_jNS0_19identity_decomposerENS1_16block_id_wrapperIjLb1EEEEE10hipError_tT1_PNSt15iterator_traitsISG_E10value_typeET2_T3_PNSH_ISM_E10value_typeET4_T5_PSR_SS_PNS1_23onesweep_lookback_stateEbbT6_jjT7_P12ihipStream_tbENKUlT_T0_SG_SL_E_clIS7_S7_SB_PlEEDaSZ_S10_SG_SL_EUlSZ_E_NS1_11comp_targetILNS1_3genE5ELNS1_11target_archE942ELNS1_3gpuE9ELNS1_3repE0EEENS1_47radix_sort_onesweep_sort_config_static_selectorELNS0_4arch9wavefront6targetE1EEEvSG_: ; @_ZN7rocprim17ROCPRIM_400000_NS6detail17trampoline_kernelINS0_14default_configENS1_35radix_sort_onesweep_config_selectorIslEEZZNS1_29radix_sort_onesweep_iterationIS3_Lb0EPsS7_N6thrust23THRUST_200600_302600_NS10device_ptrIlEESB_jNS0_19identity_decomposerENS1_16block_id_wrapperIjLb1EEEEE10hipError_tT1_PNSt15iterator_traitsISG_E10value_typeET2_T3_PNSH_ISM_E10value_typeET4_T5_PSR_SS_PNS1_23onesweep_lookback_stateEbbT6_jjT7_P12ihipStream_tbENKUlT_T0_SG_SL_E_clIS7_S7_SB_PlEEDaSZ_S10_SG_SL_EUlSZ_E_NS1_11comp_targetILNS1_3genE5ELNS1_11target_archE942ELNS1_3gpuE9ELNS1_3repE0EEENS1_47radix_sort_onesweep_sort_config_static_selectorELNS0_4arch9wavefront6targetE1EEEvSG_
; %bb.0:
	.section	.rodata,"a",@progbits
	.p2align	6, 0x0
	.amdhsa_kernel _ZN7rocprim17ROCPRIM_400000_NS6detail17trampoline_kernelINS0_14default_configENS1_35radix_sort_onesweep_config_selectorIslEEZZNS1_29radix_sort_onesweep_iterationIS3_Lb0EPsS7_N6thrust23THRUST_200600_302600_NS10device_ptrIlEESB_jNS0_19identity_decomposerENS1_16block_id_wrapperIjLb1EEEEE10hipError_tT1_PNSt15iterator_traitsISG_E10value_typeET2_T3_PNSH_ISM_E10value_typeET4_T5_PSR_SS_PNS1_23onesweep_lookback_stateEbbT6_jjT7_P12ihipStream_tbENKUlT_T0_SG_SL_E_clIS7_S7_SB_PlEEDaSZ_S10_SG_SL_EUlSZ_E_NS1_11comp_targetILNS1_3genE5ELNS1_11target_archE942ELNS1_3gpuE9ELNS1_3repE0EEENS1_47radix_sort_onesweep_sort_config_static_selectorELNS0_4arch9wavefront6targetE1EEEvSG_
		.amdhsa_group_segment_fixed_size 0
		.amdhsa_private_segment_fixed_size 0
		.amdhsa_kernarg_size 88
		.amdhsa_user_sgpr_count 6
		.amdhsa_user_sgpr_private_segment_buffer 1
		.amdhsa_user_sgpr_dispatch_ptr 0
		.amdhsa_user_sgpr_queue_ptr 0
		.amdhsa_user_sgpr_kernarg_segment_ptr 1
		.amdhsa_user_sgpr_dispatch_id 0
		.amdhsa_user_sgpr_flat_scratch_init 0
		.amdhsa_user_sgpr_kernarg_preload_length 0
		.amdhsa_user_sgpr_kernarg_preload_offset 0
		.amdhsa_user_sgpr_private_segment_size 0
		.amdhsa_uses_dynamic_stack 0
		.amdhsa_system_sgpr_private_segment_wavefront_offset 0
		.amdhsa_system_sgpr_workgroup_id_x 1
		.amdhsa_system_sgpr_workgroup_id_y 0
		.amdhsa_system_sgpr_workgroup_id_z 0
		.amdhsa_system_sgpr_workgroup_info 0
		.amdhsa_system_vgpr_workitem_id 0
		.amdhsa_next_free_vgpr 1
		.amdhsa_next_free_sgpr 0
		.amdhsa_accum_offset 4
		.amdhsa_reserve_vcc 0
		.amdhsa_reserve_flat_scratch 0
		.amdhsa_float_round_mode_32 0
		.amdhsa_float_round_mode_16_64 0
		.amdhsa_float_denorm_mode_32 3
		.amdhsa_float_denorm_mode_16_64 3
		.amdhsa_dx10_clamp 1
		.amdhsa_ieee_mode 1
		.amdhsa_fp16_overflow 0
		.amdhsa_tg_split 0
		.amdhsa_exception_fp_ieee_invalid_op 0
		.amdhsa_exception_fp_denorm_src 0
		.amdhsa_exception_fp_ieee_div_zero 0
		.amdhsa_exception_fp_ieee_overflow 0
		.amdhsa_exception_fp_ieee_underflow 0
		.amdhsa_exception_fp_ieee_inexact 0
		.amdhsa_exception_int_div_zero 0
	.end_amdhsa_kernel
	.section	.text._ZN7rocprim17ROCPRIM_400000_NS6detail17trampoline_kernelINS0_14default_configENS1_35radix_sort_onesweep_config_selectorIslEEZZNS1_29radix_sort_onesweep_iterationIS3_Lb0EPsS7_N6thrust23THRUST_200600_302600_NS10device_ptrIlEESB_jNS0_19identity_decomposerENS1_16block_id_wrapperIjLb1EEEEE10hipError_tT1_PNSt15iterator_traitsISG_E10value_typeET2_T3_PNSH_ISM_E10value_typeET4_T5_PSR_SS_PNS1_23onesweep_lookback_stateEbbT6_jjT7_P12ihipStream_tbENKUlT_T0_SG_SL_E_clIS7_S7_SB_PlEEDaSZ_S10_SG_SL_EUlSZ_E_NS1_11comp_targetILNS1_3genE5ELNS1_11target_archE942ELNS1_3gpuE9ELNS1_3repE0EEENS1_47radix_sort_onesweep_sort_config_static_selectorELNS0_4arch9wavefront6targetE1EEEvSG_,"axG",@progbits,_ZN7rocprim17ROCPRIM_400000_NS6detail17trampoline_kernelINS0_14default_configENS1_35radix_sort_onesweep_config_selectorIslEEZZNS1_29radix_sort_onesweep_iterationIS3_Lb0EPsS7_N6thrust23THRUST_200600_302600_NS10device_ptrIlEESB_jNS0_19identity_decomposerENS1_16block_id_wrapperIjLb1EEEEE10hipError_tT1_PNSt15iterator_traitsISG_E10value_typeET2_T3_PNSH_ISM_E10value_typeET4_T5_PSR_SS_PNS1_23onesweep_lookback_stateEbbT6_jjT7_P12ihipStream_tbENKUlT_T0_SG_SL_E_clIS7_S7_SB_PlEEDaSZ_S10_SG_SL_EUlSZ_E_NS1_11comp_targetILNS1_3genE5ELNS1_11target_archE942ELNS1_3gpuE9ELNS1_3repE0EEENS1_47radix_sort_onesweep_sort_config_static_selectorELNS0_4arch9wavefront6targetE1EEEvSG_,comdat
.Lfunc_end1409:
	.size	_ZN7rocprim17ROCPRIM_400000_NS6detail17trampoline_kernelINS0_14default_configENS1_35radix_sort_onesweep_config_selectorIslEEZZNS1_29radix_sort_onesweep_iterationIS3_Lb0EPsS7_N6thrust23THRUST_200600_302600_NS10device_ptrIlEESB_jNS0_19identity_decomposerENS1_16block_id_wrapperIjLb1EEEEE10hipError_tT1_PNSt15iterator_traitsISG_E10value_typeET2_T3_PNSH_ISM_E10value_typeET4_T5_PSR_SS_PNS1_23onesweep_lookback_stateEbbT6_jjT7_P12ihipStream_tbENKUlT_T0_SG_SL_E_clIS7_S7_SB_PlEEDaSZ_S10_SG_SL_EUlSZ_E_NS1_11comp_targetILNS1_3genE5ELNS1_11target_archE942ELNS1_3gpuE9ELNS1_3repE0EEENS1_47radix_sort_onesweep_sort_config_static_selectorELNS0_4arch9wavefront6targetE1EEEvSG_, .Lfunc_end1409-_ZN7rocprim17ROCPRIM_400000_NS6detail17trampoline_kernelINS0_14default_configENS1_35radix_sort_onesweep_config_selectorIslEEZZNS1_29radix_sort_onesweep_iterationIS3_Lb0EPsS7_N6thrust23THRUST_200600_302600_NS10device_ptrIlEESB_jNS0_19identity_decomposerENS1_16block_id_wrapperIjLb1EEEEE10hipError_tT1_PNSt15iterator_traitsISG_E10value_typeET2_T3_PNSH_ISM_E10value_typeET4_T5_PSR_SS_PNS1_23onesweep_lookback_stateEbbT6_jjT7_P12ihipStream_tbENKUlT_T0_SG_SL_E_clIS7_S7_SB_PlEEDaSZ_S10_SG_SL_EUlSZ_E_NS1_11comp_targetILNS1_3genE5ELNS1_11target_archE942ELNS1_3gpuE9ELNS1_3repE0EEENS1_47radix_sort_onesweep_sort_config_static_selectorELNS0_4arch9wavefront6targetE1EEEvSG_
                                        ; -- End function
	.section	.AMDGPU.csdata,"",@progbits
; Kernel info:
; codeLenInByte = 0
; NumSgprs: 4
; NumVgprs: 0
; NumAgprs: 0
; TotalNumVgprs: 0
; ScratchSize: 0
; MemoryBound: 0
; FloatMode: 240
; IeeeMode: 1
; LDSByteSize: 0 bytes/workgroup (compile time only)
; SGPRBlocks: 0
; VGPRBlocks: 0
; NumSGPRsForWavesPerEU: 4
; NumVGPRsForWavesPerEU: 1
; AccumOffset: 4
; Occupancy: 8
; WaveLimiterHint : 0
; COMPUTE_PGM_RSRC2:SCRATCH_EN: 0
; COMPUTE_PGM_RSRC2:USER_SGPR: 6
; COMPUTE_PGM_RSRC2:TRAP_HANDLER: 0
; COMPUTE_PGM_RSRC2:TGID_X_EN: 1
; COMPUTE_PGM_RSRC2:TGID_Y_EN: 0
; COMPUTE_PGM_RSRC2:TGID_Z_EN: 0
; COMPUTE_PGM_RSRC2:TIDIG_COMP_CNT: 0
; COMPUTE_PGM_RSRC3_GFX90A:ACCUM_OFFSET: 0
; COMPUTE_PGM_RSRC3_GFX90A:TG_SPLIT: 0
	.section	.text._ZN7rocprim17ROCPRIM_400000_NS6detail17trampoline_kernelINS0_14default_configENS1_35radix_sort_onesweep_config_selectorIslEEZZNS1_29radix_sort_onesweep_iterationIS3_Lb0EPsS7_N6thrust23THRUST_200600_302600_NS10device_ptrIlEESB_jNS0_19identity_decomposerENS1_16block_id_wrapperIjLb1EEEEE10hipError_tT1_PNSt15iterator_traitsISG_E10value_typeET2_T3_PNSH_ISM_E10value_typeET4_T5_PSR_SS_PNS1_23onesweep_lookback_stateEbbT6_jjT7_P12ihipStream_tbENKUlT_T0_SG_SL_E_clIS7_S7_SB_PlEEDaSZ_S10_SG_SL_EUlSZ_E_NS1_11comp_targetILNS1_3genE2ELNS1_11target_archE906ELNS1_3gpuE6ELNS1_3repE0EEENS1_47radix_sort_onesweep_sort_config_static_selectorELNS0_4arch9wavefront6targetE1EEEvSG_,"axG",@progbits,_ZN7rocprim17ROCPRIM_400000_NS6detail17trampoline_kernelINS0_14default_configENS1_35radix_sort_onesweep_config_selectorIslEEZZNS1_29radix_sort_onesweep_iterationIS3_Lb0EPsS7_N6thrust23THRUST_200600_302600_NS10device_ptrIlEESB_jNS0_19identity_decomposerENS1_16block_id_wrapperIjLb1EEEEE10hipError_tT1_PNSt15iterator_traitsISG_E10value_typeET2_T3_PNSH_ISM_E10value_typeET4_T5_PSR_SS_PNS1_23onesweep_lookback_stateEbbT6_jjT7_P12ihipStream_tbENKUlT_T0_SG_SL_E_clIS7_S7_SB_PlEEDaSZ_S10_SG_SL_EUlSZ_E_NS1_11comp_targetILNS1_3genE2ELNS1_11target_archE906ELNS1_3gpuE6ELNS1_3repE0EEENS1_47radix_sort_onesweep_sort_config_static_selectorELNS0_4arch9wavefront6targetE1EEEvSG_,comdat
	.protected	_ZN7rocprim17ROCPRIM_400000_NS6detail17trampoline_kernelINS0_14default_configENS1_35radix_sort_onesweep_config_selectorIslEEZZNS1_29radix_sort_onesweep_iterationIS3_Lb0EPsS7_N6thrust23THRUST_200600_302600_NS10device_ptrIlEESB_jNS0_19identity_decomposerENS1_16block_id_wrapperIjLb1EEEEE10hipError_tT1_PNSt15iterator_traitsISG_E10value_typeET2_T3_PNSH_ISM_E10value_typeET4_T5_PSR_SS_PNS1_23onesweep_lookback_stateEbbT6_jjT7_P12ihipStream_tbENKUlT_T0_SG_SL_E_clIS7_S7_SB_PlEEDaSZ_S10_SG_SL_EUlSZ_E_NS1_11comp_targetILNS1_3genE2ELNS1_11target_archE906ELNS1_3gpuE6ELNS1_3repE0EEENS1_47radix_sort_onesweep_sort_config_static_selectorELNS0_4arch9wavefront6targetE1EEEvSG_ ; -- Begin function _ZN7rocprim17ROCPRIM_400000_NS6detail17trampoline_kernelINS0_14default_configENS1_35radix_sort_onesweep_config_selectorIslEEZZNS1_29radix_sort_onesweep_iterationIS3_Lb0EPsS7_N6thrust23THRUST_200600_302600_NS10device_ptrIlEESB_jNS0_19identity_decomposerENS1_16block_id_wrapperIjLb1EEEEE10hipError_tT1_PNSt15iterator_traitsISG_E10value_typeET2_T3_PNSH_ISM_E10value_typeET4_T5_PSR_SS_PNS1_23onesweep_lookback_stateEbbT6_jjT7_P12ihipStream_tbENKUlT_T0_SG_SL_E_clIS7_S7_SB_PlEEDaSZ_S10_SG_SL_EUlSZ_E_NS1_11comp_targetILNS1_3genE2ELNS1_11target_archE906ELNS1_3gpuE6ELNS1_3repE0EEENS1_47radix_sort_onesweep_sort_config_static_selectorELNS0_4arch9wavefront6targetE1EEEvSG_
	.globl	_ZN7rocprim17ROCPRIM_400000_NS6detail17trampoline_kernelINS0_14default_configENS1_35radix_sort_onesweep_config_selectorIslEEZZNS1_29radix_sort_onesweep_iterationIS3_Lb0EPsS7_N6thrust23THRUST_200600_302600_NS10device_ptrIlEESB_jNS0_19identity_decomposerENS1_16block_id_wrapperIjLb1EEEEE10hipError_tT1_PNSt15iterator_traitsISG_E10value_typeET2_T3_PNSH_ISM_E10value_typeET4_T5_PSR_SS_PNS1_23onesweep_lookback_stateEbbT6_jjT7_P12ihipStream_tbENKUlT_T0_SG_SL_E_clIS7_S7_SB_PlEEDaSZ_S10_SG_SL_EUlSZ_E_NS1_11comp_targetILNS1_3genE2ELNS1_11target_archE906ELNS1_3gpuE6ELNS1_3repE0EEENS1_47radix_sort_onesweep_sort_config_static_selectorELNS0_4arch9wavefront6targetE1EEEvSG_
	.p2align	8
	.type	_ZN7rocprim17ROCPRIM_400000_NS6detail17trampoline_kernelINS0_14default_configENS1_35radix_sort_onesweep_config_selectorIslEEZZNS1_29radix_sort_onesweep_iterationIS3_Lb0EPsS7_N6thrust23THRUST_200600_302600_NS10device_ptrIlEESB_jNS0_19identity_decomposerENS1_16block_id_wrapperIjLb1EEEEE10hipError_tT1_PNSt15iterator_traitsISG_E10value_typeET2_T3_PNSH_ISM_E10value_typeET4_T5_PSR_SS_PNS1_23onesweep_lookback_stateEbbT6_jjT7_P12ihipStream_tbENKUlT_T0_SG_SL_E_clIS7_S7_SB_PlEEDaSZ_S10_SG_SL_EUlSZ_E_NS1_11comp_targetILNS1_3genE2ELNS1_11target_archE906ELNS1_3gpuE6ELNS1_3repE0EEENS1_47radix_sort_onesweep_sort_config_static_selectorELNS0_4arch9wavefront6targetE1EEEvSG_,@function
_ZN7rocprim17ROCPRIM_400000_NS6detail17trampoline_kernelINS0_14default_configENS1_35radix_sort_onesweep_config_selectorIslEEZZNS1_29radix_sort_onesweep_iterationIS3_Lb0EPsS7_N6thrust23THRUST_200600_302600_NS10device_ptrIlEESB_jNS0_19identity_decomposerENS1_16block_id_wrapperIjLb1EEEEE10hipError_tT1_PNSt15iterator_traitsISG_E10value_typeET2_T3_PNSH_ISM_E10value_typeET4_T5_PSR_SS_PNS1_23onesweep_lookback_stateEbbT6_jjT7_P12ihipStream_tbENKUlT_T0_SG_SL_E_clIS7_S7_SB_PlEEDaSZ_S10_SG_SL_EUlSZ_E_NS1_11comp_targetILNS1_3genE2ELNS1_11target_archE906ELNS1_3gpuE6ELNS1_3repE0EEENS1_47radix_sort_onesweep_sort_config_static_selectorELNS0_4arch9wavefront6targetE1EEEvSG_: ; @_ZN7rocprim17ROCPRIM_400000_NS6detail17trampoline_kernelINS0_14default_configENS1_35radix_sort_onesweep_config_selectorIslEEZZNS1_29radix_sort_onesweep_iterationIS3_Lb0EPsS7_N6thrust23THRUST_200600_302600_NS10device_ptrIlEESB_jNS0_19identity_decomposerENS1_16block_id_wrapperIjLb1EEEEE10hipError_tT1_PNSt15iterator_traitsISG_E10value_typeET2_T3_PNSH_ISM_E10value_typeET4_T5_PSR_SS_PNS1_23onesweep_lookback_stateEbbT6_jjT7_P12ihipStream_tbENKUlT_T0_SG_SL_E_clIS7_S7_SB_PlEEDaSZ_S10_SG_SL_EUlSZ_E_NS1_11comp_targetILNS1_3genE2ELNS1_11target_archE906ELNS1_3gpuE6ELNS1_3repE0EEENS1_47radix_sort_onesweep_sort_config_static_selectorELNS0_4arch9wavefront6targetE1EEEvSG_
; %bb.0:
	.section	.rodata,"a",@progbits
	.p2align	6, 0x0
	.amdhsa_kernel _ZN7rocprim17ROCPRIM_400000_NS6detail17trampoline_kernelINS0_14default_configENS1_35radix_sort_onesweep_config_selectorIslEEZZNS1_29radix_sort_onesweep_iterationIS3_Lb0EPsS7_N6thrust23THRUST_200600_302600_NS10device_ptrIlEESB_jNS0_19identity_decomposerENS1_16block_id_wrapperIjLb1EEEEE10hipError_tT1_PNSt15iterator_traitsISG_E10value_typeET2_T3_PNSH_ISM_E10value_typeET4_T5_PSR_SS_PNS1_23onesweep_lookback_stateEbbT6_jjT7_P12ihipStream_tbENKUlT_T0_SG_SL_E_clIS7_S7_SB_PlEEDaSZ_S10_SG_SL_EUlSZ_E_NS1_11comp_targetILNS1_3genE2ELNS1_11target_archE906ELNS1_3gpuE6ELNS1_3repE0EEENS1_47radix_sort_onesweep_sort_config_static_selectorELNS0_4arch9wavefront6targetE1EEEvSG_
		.amdhsa_group_segment_fixed_size 0
		.amdhsa_private_segment_fixed_size 0
		.amdhsa_kernarg_size 88
		.amdhsa_user_sgpr_count 6
		.amdhsa_user_sgpr_private_segment_buffer 1
		.amdhsa_user_sgpr_dispatch_ptr 0
		.amdhsa_user_sgpr_queue_ptr 0
		.amdhsa_user_sgpr_kernarg_segment_ptr 1
		.amdhsa_user_sgpr_dispatch_id 0
		.amdhsa_user_sgpr_flat_scratch_init 0
		.amdhsa_user_sgpr_kernarg_preload_length 0
		.amdhsa_user_sgpr_kernarg_preload_offset 0
		.amdhsa_user_sgpr_private_segment_size 0
		.amdhsa_uses_dynamic_stack 0
		.amdhsa_system_sgpr_private_segment_wavefront_offset 0
		.amdhsa_system_sgpr_workgroup_id_x 1
		.amdhsa_system_sgpr_workgroup_id_y 0
		.amdhsa_system_sgpr_workgroup_id_z 0
		.amdhsa_system_sgpr_workgroup_info 0
		.amdhsa_system_vgpr_workitem_id 0
		.amdhsa_next_free_vgpr 1
		.amdhsa_next_free_sgpr 0
		.amdhsa_accum_offset 4
		.amdhsa_reserve_vcc 0
		.amdhsa_reserve_flat_scratch 0
		.amdhsa_float_round_mode_32 0
		.amdhsa_float_round_mode_16_64 0
		.amdhsa_float_denorm_mode_32 3
		.amdhsa_float_denorm_mode_16_64 3
		.amdhsa_dx10_clamp 1
		.amdhsa_ieee_mode 1
		.amdhsa_fp16_overflow 0
		.amdhsa_tg_split 0
		.amdhsa_exception_fp_ieee_invalid_op 0
		.amdhsa_exception_fp_denorm_src 0
		.amdhsa_exception_fp_ieee_div_zero 0
		.amdhsa_exception_fp_ieee_overflow 0
		.amdhsa_exception_fp_ieee_underflow 0
		.amdhsa_exception_fp_ieee_inexact 0
		.amdhsa_exception_int_div_zero 0
	.end_amdhsa_kernel
	.section	.text._ZN7rocprim17ROCPRIM_400000_NS6detail17trampoline_kernelINS0_14default_configENS1_35radix_sort_onesweep_config_selectorIslEEZZNS1_29radix_sort_onesweep_iterationIS3_Lb0EPsS7_N6thrust23THRUST_200600_302600_NS10device_ptrIlEESB_jNS0_19identity_decomposerENS1_16block_id_wrapperIjLb1EEEEE10hipError_tT1_PNSt15iterator_traitsISG_E10value_typeET2_T3_PNSH_ISM_E10value_typeET4_T5_PSR_SS_PNS1_23onesweep_lookback_stateEbbT6_jjT7_P12ihipStream_tbENKUlT_T0_SG_SL_E_clIS7_S7_SB_PlEEDaSZ_S10_SG_SL_EUlSZ_E_NS1_11comp_targetILNS1_3genE2ELNS1_11target_archE906ELNS1_3gpuE6ELNS1_3repE0EEENS1_47radix_sort_onesweep_sort_config_static_selectorELNS0_4arch9wavefront6targetE1EEEvSG_,"axG",@progbits,_ZN7rocprim17ROCPRIM_400000_NS6detail17trampoline_kernelINS0_14default_configENS1_35radix_sort_onesweep_config_selectorIslEEZZNS1_29radix_sort_onesweep_iterationIS3_Lb0EPsS7_N6thrust23THRUST_200600_302600_NS10device_ptrIlEESB_jNS0_19identity_decomposerENS1_16block_id_wrapperIjLb1EEEEE10hipError_tT1_PNSt15iterator_traitsISG_E10value_typeET2_T3_PNSH_ISM_E10value_typeET4_T5_PSR_SS_PNS1_23onesweep_lookback_stateEbbT6_jjT7_P12ihipStream_tbENKUlT_T0_SG_SL_E_clIS7_S7_SB_PlEEDaSZ_S10_SG_SL_EUlSZ_E_NS1_11comp_targetILNS1_3genE2ELNS1_11target_archE906ELNS1_3gpuE6ELNS1_3repE0EEENS1_47radix_sort_onesweep_sort_config_static_selectorELNS0_4arch9wavefront6targetE1EEEvSG_,comdat
.Lfunc_end1410:
	.size	_ZN7rocprim17ROCPRIM_400000_NS6detail17trampoline_kernelINS0_14default_configENS1_35radix_sort_onesweep_config_selectorIslEEZZNS1_29radix_sort_onesweep_iterationIS3_Lb0EPsS7_N6thrust23THRUST_200600_302600_NS10device_ptrIlEESB_jNS0_19identity_decomposerENS1_16block_id_wrapperIjLb1EEEEE10hipError_tT1_PNSt15iterator_traitsISG_E10value_typeET2_T3_PNSH_ISM_E10value_typeET4_T5_PSR_SS_PNS1_23onesweep_lookback_stateEbbT6_jjT7_P12ihipStream_tbENKUlT_T0_SG_SL_E_clIS7_S7_SB_PlEEDaSZ_S10_SG_SL_EUlSZ_E_NS1_11comp_targetILNS1_3genE2ELNS1_11target_archE906ELNS1_3gpuE6ELNS1_3repE0EEENS1_47radix_sort_onesweep_sort_config_static_selectorELNS0_4arch9wavefront6targetE1EEEvSG_, .Lfunc_end1410-_ZN7rocprim17ROCPRIM_400000_NS6detail17trampoline_kernelINS0_14default_configENS1_35radix_sort_onesweep_config_selectorIslEEZZNS1_29radix_sort_onesweep_iterationIS3_Lb0EPsS7_N6thrust23THRUST_200600_302600_NS10device_ptrIlEESB_jNS0_19identity_decomposerENS1_16block_id_wrapperIjLb1EEEEE10hipError_tT1_PNSt15iterator_traitsISG_E10value_typeET2_T3_PNSH_ISM_E10value_typeET4_T5_PSR_SS_PNS1_23onesweep_lookback_stateEbbT6_jjT7_P12ihipStream_tbENKUlT_T0_SG_SL_E_clIS7_S7_SB_PlEEDaSZ_S10_SG_SL_EUlSZ_E_NS1_11comp_targetILNS1_3genE2ELNS1_11target_archE906ELNS1_3gpuE6ELNS1_3repE0EEENS1_47radix_sort_onesweep_sort_config_static_selectorELNS0_4arch9wavefront6targetE1EEEvSG_
                                        ; -- End function
	.section	.AMDGPU.csdata,"",@progbits
; Kernel info:
; codeLenInByte = 0
; NumSgprs: 4
; NumVgprs: 0
; NumAgprs: 0
; TotalNumVgprs: 0
; ScratchSize: 0
; MemoryBound: 0
; FloatMode: 240
; IeeeMode: 1
; LDSByteSize: 0 bytes/workgroup (compile time only)
; SGPRBlocks: 0
; VGPRBlocks: 0
; NumSGPRsForWavesPerEU: 4
; NumVGPRsForWavesPerEU: 1
; AccumOffset: 4
; Occupancy: 8
; WaveLimiterHint : 0
; COMPUTE_PGM_RSRC2:SCRATCH_EN: 0
; COMPUTE_PGM_RSRC2:USER_SGPR: 6
; COMPUTE_PGM_RSRC2:TRAP_HANDLER: 0
; COMPUTE_PGM_RSRC2:TGID_X_EN: 1
; COMPUTE_PGM_RSRC2:TGID_Y_EN: 0
; COMPUTE_PGM_RSRC2:TGID_Z_EN: 0
; COMPUTE_PGM_RSRC2:TIDIG_COMP_CNT: 0
; COMPUTE_PGM_RSRC3_GFX90A:ACCUM_OFFSET: 0
; COMPUTE_PGM_RSRC3_GFX90A:TG_SPLIT: 0
	.section	.text._ZN7rocprim17ROCPRIM_400000_NS6detail17trampoline_kernelINS0_14default_configENS1_35radix_sort_onesweep_config_selectorIslEEZZNS1_29radix_sort_onesweep_iterationIS3_Lb0EPsS7_N6thrust23THRUST_200600_302600_NS10device_ptrIlEESB_jNS0_19identity_decomposerENS1_16block_id_wrapperIjLb1EEEEE10hipError_tT1_PNSt15iterator_traitsISG_E10value_typeET2_T3_PNSH_ISM_E10value_typeET4_T5_PSR_SS_PNS1_23onesweep_lookback_stateEbbT6_jjT7_P12ihipStream_tbENKUlT_T0_SG_SL_E_clIS7_S7_SB_PlEEDaSZ_S10_SG_SL_EUlSZ_E_NS1_11comp_targetILNS1_3genE4ELNS1_11target_archE910ELNS1_3gpuE8ELNS1_3repE0EEENS1_47radix_sort_onesweep_sort_config_static_selectorELNS0_4arch9wavefront6targetE1EEEvSG_,"axG",@progbits,_ZN7rocprim17ROCPRIM_400000_NS6detail17trampoline_kernelINS0_14default_configENS1_35radix_sort_onesweep_config_selectorIslEEZZNS1_29radix_sort_onesweep_iterationIS3_Lb0EPsS7_N6thrust23THRUST_200600_302600_NS10device_ptrIlEESB_jNS0_19identity_decomposerENS1_16block_id_wrapperIjLb1EEEEE10hipError_tT1_PNSt15iterator_traitsISG_E10value_typeET2_T3_PNSH_ISM_E10value_typeET4_T5_PSR_SS_PNS1_23onesweep_lookback_stateEbbT6_jjT7_P12ihipStream_tbENKUlT_T0_SG_SL_E_clIS7_S7_SB_PlEEDaSZ_S10_SG_SL_EUlSZ_E_NS1_11comp_targetILNS1_3genE4ELNS1_11target_archE910ELNS1_3gpuE8ELNS1_3repE0EEENS1_47radix_sort_onesweep_sort_config_static_selectorELNS0_4arch9wavefront6targetE1EEEvSG_,comdat
	.protected	_ZN7rocprim17ROCPRIM_400000_NS6detail17trampoline_kernelINS0_14default_configENS1_35radix_sort_onesweep_config_selectorIslEEZZNS1_29radix_sort_onesweep_iterationIS3_Lb0EPsS7_N6thrust23THRUST_200600_302600_NS10device_ptrIlEESB_jNS0_19identity_decomposerENS1_16block_id_wrapperIjLb1EEEEE10hipError_tT1_PNSt15iterator_traitsISG_E10value_typeET2_T3_PNSH_ISM_E10value_typeET4_T5_PSR_SS_PNS1_23onesweep_lookback_stateEbbT6_jjT7_P12ihipStream_tbENKUlT_T0_SG_SL_E_clIS7_S7_SB_PlEEDaSZ_S10_SG_SL_EUlSZ_E_NS1_11comp_targetILNS1_3genE4ELNS1_11target_archE910ELNS1_3gpuE8ELNS1_3repE0EEENS1_47radix_sort_onesweep_sort_config_static_selectorELNS0_4arch9wavefront6targetE1EEEvSG_ ; -- Begin function _ZN7rocprim17ROCPRIM_400000_NS6detail17trampoline_kernelINS0_14default_configENS1_35radix_sort_onesweep_config_selectorIslEEZZNS1_29radix_sort_onesweep_iterationIS3_Lb0EPsS7_N6thrust23THRUST_200600_302600_NS10device_ptrIlEESB_jNS0_19identity_decomposerENS1_16block_id_wrapperIjLb1EEEEE10hipError_tT1_PNSt15iterator_traitsISG_E10value_typeET2_T3_PNSH_ISM_E10value_typeET4_T5_PSR_SS_PNS1_23onesweep_lookback_stateEbbT6_jjT7_P12ihipStream_tbENKUlT_T0_SG_SL_E_clIS7_S7_SB_PlEEDaSZ_S10_SG_SL_EUlSZ_E_NS1_11comp_targetILNS1_3genE4ELNS1_11target_archE910ELNS1_3gpuE8ELNS1_3repE0EEENS1_47radix_sort_onesweep_sort_config_static_selectorELNS0_4arch9wavefront6targetE1EEEvSG_
	.globl	_ZN7rocprim17ROCPRIM_400000_NS6detail17trampoline_kernelINS0_14default_configENS1_35radix_sort_onesweep_config_selectorIslEEZZNS1_29radix_sort_onesweep_iterationIS3_Lb0EPsS7_N6thrust23THRUST_200600_302600_NS10device_ptrIlEESB_jNS0_19identity_decomposerENS1_16block_id_wrapperIjLb1EEEEE10hipError_tT1_PNSt15iterator_traitsISG_E10value_typeET2_T3_PNSH_ISM_E10value_typeET4_T5_PSR_SS_PNS1_23onesweep_lookback_stateEbbT6_jjT7_P12ihipStream_tbENKUlT_T0_SG_SL_E_clIS7_S7_SB_PlEEDaSZ_S10_SG_SL_EUlSZ_E_NS1_11comp_targetILNS1_3genE4ELNS1_11target_archE910ELNS1_3gpuE8ELNS1_3repE0EEENS1_47radix_sort_onesweep_sort_config_static_selectorELNS0_4arch9wavefront6targetE1EEEvSG_
	.p2align	8
	.type	_ZN7rocprim17ROCPRIM_400000_NS6detail17trampoline_kernelINS0_14default_configENS1_35radix_sort_onesweep_config_selectorIslEEZZNS1_29radix_sort_onesweep_iterationIS3_Lb0EPsS7_N6thrust23THRUST_200600_302600_NS10device_ptrIlEESB_jNS0_19identity_decomposerENS1_16block_id_wrapperIjLb1EEEEE10hipError_tT1_PNSt15iterator_traitsISG_E10value_typeET2_T3_PNSH_ISM_E10value_typeET4_T5_PSR_SS_PNS1_23onesweep_lookback_stateEbbT6_jjT7_P12ihipStream_tbENKUlT_T0_SG_SL_E_clIS7_S7_SB_PlEEDaSZ_S10_SG_SL_EUlSZ_E_NS1_11comp_targetILNS1_3genE4ELNS1_11target_archE910ELNS1_3gpuE8ELNS1_3repE0EEENS1_47radix_sort_onesweep_sort_config_static_selectorELNS0_4arch9wavefront6targetE1EEEvSG_,@function
_ZN7rocprim17ROCPRIM_400000_NS6detail17trampoline_kernelINS0_14default_configENS1_35radix_sort_onesweep_config_selectorIslEEZZNS1_29radix_sort_onesweep_iterationIS3_Lb0EPsS7_N6thrust23THRUST_200600_302600_NS10device_ptrIlEESB_jNS0_19identity_decomposerENS1_16block_id_wrapperIjLb1EEEEE10hipError_tT1_PNSt15iterator_traitsISG_E10value_typeET2_T3_PNSH_ISM_E10value_typeET4_T5_PSR_SS_PNS1_23onesweep_lookback_stateEbbT6_jjT7_P12ihipStream_tbENKUlT_T0_SG_SL_E_clIS7_S7_SB_PlEEDaSZ_S10_SG_SL_EUlSZ_E_NS1_11comp_targetILNS1_3genE4ELNS1_11target_archE910ELNS1_3gpuE8ELNS1_3repE0EEENS1_47radix_sort_onesweep_sort_config_static_selectorELNS0_4arch9wavefront6targetE1EEEvSG_: ; @_ZN7rocprim17ROCPRIM_400000_NS6detail17trampoline_kernelINS0_14default_configENS1_35radix_sort_onesweep_config_selectorIslEEZZNS1_29radix_sort_onesweep_iterationIS3_Lb0EPsS7_N6thrust23THRUST_200600_302600_NS10device_ptrIlEESB_jNS0_19identity_decomposerENS1_16block_id_wrapperIjLb1EEEEE10hipError_tT1_PNSt15iterator_traitsISG_E10value_typeET2_T3_PNSH_ISM_E10value_typeET4_T5_PSR_SS_PNS1_23onesweep_lookback_stateEbbT6_jjT7_P12ihipStream_tbENKUlT_T0_SG_SL_E_clIS7_S7_SB_PlEEDaSZ_S10_SG_SL_EUlSZ_E_NS1_11comp_targetILNS1_3genE4ELNS1_11target_archE910ELNS1_3gpuE8ELNS1_3repE0EEENS1_47radix_sort_onesweep_sort_config_static_selectorELNS0_4arch9wavefront6targetE1EEEvSG_
; %bb.0:
	s_load_dwordx4 s[44:47], s[4:5], 0x28
	s_load_dwordx2 s[30:31], s[4:5], 0x38
	s_load_dwordx4 s[48:51], s[4:5], 0x44
	v_and_b32_e32 v10, 0x3ff, v0
	v_cmp_eq_u32_e64 s[0:1], 0, v10
	s_and_saveexec_b64 s[2:3], s[0:1]
	s_cbranch_execz .LBB1411_4
; %bb.1:
	s_mov_b64 s[10:11], exec
	v_mbcnt_lo_u32_b32 v1, s10, 0
	v_mbcnt_hi_u32_b32 v1, s11, v1
	v_cmp_eq_u32_e32 vcc, 0, v1
                                        ; implicit-def: $vgpr2
	s_and_saveexec_b64 s[8:9], vcc
	s_cbranch_execz .LBB1411_3
; %bb.2:
	s_load_dwordx2 s[12:13], s[4:5], 0x50
	s_bcnt1_i32_b64 s7, s[10:11]
	v_mov_b32_e32 v2, 0
	v_mov_b32_e32 v3, s7
	s_waitcnt lgkmcnt(0)
	global_atomic_add v2, v2, v3, s[12:13] glc
.LBB1411_3:
	s_or_b64 exec, exec, s[8:9]
	s_waitcnt vmcnt(0)
	v_readfirstlane_b32 s7, v2
	v_add_u32_e32 v1, s7, v1
	v_mov_b32_e32 v2, 0
	ds_write_b32 v2, v1 offset:20544
.LBB1411_4:
	s_or_b64 exec, exec, s[2:3]
	v_mov_b32_e32 v1, 0
	s_load_dwordx8 s[36:43], s[4:5], 0x0
	s_load_dword s2, s[4:5], 0x20
	s_waitcnt lgkmcnt(0)
	s_barrier
	ds_read_b32 v1, v1 offset:20544
	v_mbcnt_lo_u32_b32 v30, -1, 0
	s_waitcnt lgkmcnt(0)
	s_barrier
	v_cmp_le_u32_e32 vcc, s50, v1
	v_readfirstlane_b32 s33, v1
	v_lshlrev_b32_e32 v1, 3, v10
	s_cbranch_vccz .LBB1411_88
; %bb.5:
	s_lshl_b32 s3, s50, 13
	s_lshl_b32 s34, s33, 13
	s_mov_b32 s35, 0
	s_sub_i32 s7, s2, s3
	s_lshl_b64 s[2:3], s[34:35], 1
	v_mbcnt_hi_u32_b32 v13, -1, v30
	s_add_u32 s2, s36, s2
	v_and_b32_e32 v12, 63, v13
	s_addc_u32 s3, s37, s3
	v_lshlrev_b32_e32 v2, 1, v12
	v_and_b32_e32 v11, 0x1e00, v1
	v_mov_b32_e32 v3, s3
	v_add_co_u32_e32 v2, vcc, s2, v2
	v_addc_co_u32_e32 v3, vcc, 0, v3, vcc
	v_lshlrev_b32_e32 v4, 1, v11
	s_mov_b32 s8, 0x7fff7fff
	v_add_co_u32_e32 v6, vcc, v2, v4
	s_mov_b32 s9, s8
	v_addc_co_u32_e32 v7, vcc, 0, v3, vcc
	v_or_b32_e32 v8, v12, v11
	s_mov_b32 s10, s8
	s_mov_b32 s11, s8
	v_pk_mov_b32 v[2:3], s[8:9], s[8:9] op_sel:[0,1]
	v_cmp_gt_u32_e32 vcc, s7, v8
	v_pk_mov_b32 v[4:5], s[10:11], s[10:11] op_sel:[0,1]
	s_and_saveexec_b64 s[2:3], vcc
	s_cbranch_execz .LBB1411_7
; %bb.6:
	global_load_ushort v2, v[6:7], off
	s_movk_i32 s8, 0x7fff
	v_mov_b32_e32 v5, 0x5040100
	v_mov_b32_e32 v3, 0x7fff7fff
	;; [unrolled: 1-line block ×3, first 2 shown]
	s_waitcnt vmcnt(0)
	v_perm_b32 v2, s8, v2, v5
	v_mov_b32_e32 v5, v3
.LBB1411_7:
	s_or_b64 exec, exec, s[2:3]
	v_or_b32_e32 v9, 64, v8
	v_cmp_gt_u32_e64 s[2:3], s7, v9
	s_and_saveexec_b64 s[8:9], s[2:3]
	s_cbranch_execz .LBB1411_9
; %bb.8:
	global_load_ushort v9, v[6:7], off offset:128
	s_mov_b32 s10, 0x5040100
	s_waitcnt vmcnt(0)
	v_perm_b32 v2, v9, v2, s10
.LBB1411_9:
	s_or_b64 exec, exec, s[8:9]
	v_or_b32_e32 v9, 0x80, v8
	v_cmp_gt_u32_e64 s[26:27], s7, v9
	s_and_saveexec_b64 s[8:9], s[26:27]
	s_cbranch_execz .LBB1411_11
; %bb.10:
	global_load_ushort v9, v[6:7], off offset:256
	s_mov_b32 s10, 0xffff
	s_waitcnt vmcnt(0)
	v_bfi_b32 v3, s10, v9, v3
.LBB1411_11:
	s_or_b64 exec, exec, s[8:9]
	v_or_b32_e32 v9, 0xc0, v8
	v_cmp_gt_u32_e64 s[8:9], s7, v9
	s_and_saveexec_b64 s[10:11], s[8:9]
	s_cbranch_execz .LBB1411_13
; %bb.12:
	global_load_ushort v9, v[6:7], off offset:384
	s_mov_b32 s12, 0x5040100
	s_waitcnt vmcnt(0)
	v_perm_b32 v3, v9, v3, s12
.LBB1411_13:
	s_or_b64 exec, exec, s[10:11]
	v_or_b32_e32 v9, 0x100, v8
	v_cmp_gt_u32_e64 s[10:11], s7, v9
	s_and_saveexec_b64 s[12:13], s[10:11]
	s_cbranch_execz .LBB1411_15
; %bb.14:
	global_load_ushort v9, v[6:7], off offset:512
	s_mov_b32 s14, 0xffff
	s_waitcnt vmcnt(0)
	v_bfi_b32 v4, s14, v9, v4
.LBB1411_15:
	;; [unrolled: 22-line block ×3, first 2 shown]
	s_or_b64 exec, exec, s[16:17]
	v_or_b32_e32 v8, 0x1c0, v8
	v_cmp_gt_u32_e64 s[16:17], s7, v8
	s_and_saveexec_b64 s[18:19], s[16:17]
	s_cbranch_execz .LBB1411_21
; %bb.20:
	global_load_ushort v6, v[6:7], off offset:896
	s_mov_b32 s20, 0x5040100
	s_waitcnt vmcnt(0)
	v_perm_b32 v5, v6, v5, s20
.LBB1411_21:
	s_or_b64 exec, exec, s[18:19]
	s_load_dword s18, s[4:5], 0x64
	s_load_dword s52, s[4:5], 0x58
	s_add_u32 s19, s4, 0x58
	s_addc_u32 s20, s5, 0
	v_mov_b32_e32 v6, 0
	s_waitcnt lgkmcnt(0)
	s_lshr_b32 s21, s18, 16
	s_cmp_lt_u32 s6, s52
	s_cselect_b32 s18, 12, 18
	s_add_u32 s18, s19, s18
	s_addc_u32 s19, s20, 0
	global_load_ushort v8, v6, s[18:19]
	v_xor_b32_e32 v14, 0xffff8000, v2
	s_lshl_b32 s18, -1, s49
	v_lshrrev_b32_sdwa v16, s48, v14 dst_sel:DWORD dst_unused:UNUSED_PAD src0_sel:DWORD src1_sel:WORD_0
	s_not_b32 s53, s18
	v_and_b32_e32 v16, s53, v16
	v_and_b32_e32 v18, 1, v16
	v_bfe_u32 v7, v0, 10, 10
	v_bfe_u32 v9, v0, 20, 10
	v_add_co_u32_e64 v19, s[18:19], -1, v18
	v_mad_u32_u24 v9, v9, s21, v7
	v_lshlrev_b32_e32 v7, 30, v16
	v_addc_co_u32_e64 v20, s[18:19], 0, -1, s[18:19]
	v_cmp_ne_u32_e64 s[18:19], 0, v18
	v_cmp_gt_i64_e64 s[20:21], 0, v[6:7]
	v_not_b32_e32 v18, v7
	v_lshlrev_b32_e32 v7, 29, v16
	v_xor_b32_e32 v20, s19, v20
	v_xor_b32_e32 v19, s18, v19
	v_ashrrev_i32_e32 v18, 31, v18
	v_cmp_gt_i64_e64 s[18:19], 0, v[6:7]
	v_not_b32_e32 v21, v7
	v_lshlrev_b32_e32 v7, 28, v16
	v_and_b32_e32 v20, exec_hi, v20
	v_and_b32_e32 v19, exec_lo, v19
	v_xor_b32_e32 v22, s21, v18
	v_xor_b32_e32 v18, s20, v18
	v_ashrrev_i32_e32 v21, 31, v21
	v_cmp_gt_i64_e64 s[20:21], 0, v[6:7]
	v_not_b32_e32 v23, v7
	v_lshlrev_b32_e32 v7, 27, v16
	v_and_b32_e32 v20, v20, v22
	v_and_b32_e32 v18, v19, v18
	v_xor_b32_e32 v19, s19, v21
	v_xor_b32_e32 v21, s18, v21
	v_ashrrev_i32_e32 v22, 31, v23
	v_cmp_gt_i64_e64 s[18:19], 0, v[6:7]
	v_not_b32_e32 v23, v7
	v_lshlrev_b32_e32 v7, 26, v16
	v_and_b32_e32 v19, v20, v19
	v_and_b32_e32 v18, v18, v21
	;; [unrolled: 8-line block ×3, first 2 shown]
	v_xor_b32_e32 v20, s19, v22
	v_xor_b32_e32 v21, s18, v22
	v_ashrrev_i32_e32 v22, 31, v23
	v_cmp_gt_i64_e64 s[18:19], 0, v[6:7]
	v_not_b32_e32 v23, v7
	v_lshlrev_b32_e32 v7, 24, v16
	v_mul_u32_u24_e32 v17, 17, v16
	v_and_b32_e32 v16, v19, v20
	v_and_b32_e32 v18, v18, v21
	v_xor_b32_e32 v19, s21, v22
	v_xor_b32_e32 v20, s20, v22
	v_ashrrev_i32_e32 v21, 31, v23
	v_cmp_gt_i64_e64 s[20:21], 0, v[6:7]
	v_not_b32_e32 v7, v7
	v_and_b32_e32 v16, v16, v19
	v_and_b32_e32 v18, v18, v20
	v_xor_b32_e32 v19, s19, v21
	v_xor_b32_e32 v20, s18, v21
	v_ashrrev_i32_e32 v7, 31, v7
	v_and_b32_e32 v16, v16, v19
	v_and_b32_e32 v19, v18, v20
	v_mul_u32_u24_e32 v15, 5, v10
	s_movk_i32 s22, 0x8000
	v_lshlrev_b32_e32 v15, 2, v15
	ds_write2_b32 v15, v6, v6 offset0:16 offset1:17
	ds_write2_b32 v15, v6, v6 offset0:18 offset1:19
	ds_write_b32 v15, v6 offset:80
	s_waitcnt lgkmcnt(0)
	s_barrier
	s_waitcnt vmcnt(0)
	v_mad_u64_u32 v[8:9], s[18:19], v9, v8, v[10:11]
	v_lshrrev_b32_e32 v22, 6, v8
	v_xor_b32_e32 v8, s21, v7
	v_xor_b32_e32 v7, s20, v7
	v_and_b32_e32 v9, v16, v8
	v_and_b32_e32 v8, v19, v7
	v_mbcnt_lo_u32_b32 v7, v8, 0
	v_mbcnt_hi_u32_b32 v16, v9, v7
	v_cmp_eq_u32_e64 s[18:19], 0, v16
	v_cmp_ne_u64_e64 s[20:21], 0, v[8:9]
	v_add_lshl_u32 v18, v22, v17, 2
	s_and_b64 s[20:21], s[20:21], s[18:19]
	; wave barrier
	s_and_saveexec_b64 s[18:19], s[20:21]
	s_cbranch_execz .LBB1411_23
; %bb.22:
	v_bcnt_u32_b32 v7, v8, 0
	v_bcnt_u32_b32 v7, v9, v7
	ds_write_b32 v18, v7 offset:64
.LBB1411_23:
	s_or_b64 exec, exec, s[18:19]
	v_xor_b32_sdwa v17, v2, s22 dst_sel:DWORD dst_unused:UNUSED_PAD src0_sel:WORD_1 src1_sel:DWORD
	v_lshrrev_b32_sdwa v2, s48, v17 dst_sel:DWORD dst_unused:UNUSED_PAD src0_sel:DWORD src1_sel:WORD_0
	v_and_b32_e32 v2, s53, v2
	v_mul_u32_u24_e32 v7, 17, v2
	v_add_lshl_u32 v19, v22, v7, 2
	v_and_b32_e32 v7, 1, v2
	v_add_co_u32_e64 v8, s[18:19], -1, v7
	v_addc_co_u32_e64 v9, s[18:19], 0, -1, s[18:19]
	v_cmp_ne_u32_e64 s[18:19], 0, v7
	v_xor_b32_e32 v7, s19, v9
	v_and_b32_e32 v9, exec_hi, v7
	v_lshlrev_b32_e32 v7, 30, v2
	v_xor_b32_e32 v8, s18, v8
	v_cmp_gt_i64_e64 s[18:19], 0, v[6:7]
	v_not_b32_e32 v7, v7
	v_ashrrev_i32_e32 v7, 31, v7
	v_and_b32_e32 v8, exec_lo, v8
	v_xor_b32_e32 v20, s19, v7
	v_xor_b32_e32 v7, s18, v7
	v_and_b32_e32 v8, v8, v7
	v_lshlrev_b32_e32 v7, 29, v2
	v_cmp_gt_i64_e64 s[18:19], 0, v[6:7]
	v_not_b32_e32 v7, v7
	v_ashrrev_i32_e32 v7, 31, v7
	v_and_b32_e32 v9, v9, v20
	v_xor_b32_e32 v20, s19, v7
	v_xor_b32_e32 v7, s18, v7
	v_and_b32_e32 v8, v8, v7
	v_lshlrev_b32_e32 v7, 28, v2
	v_cmp_gt_i64_e64 s[18:19], 0, v[6:7]
	v_not_b32_e32 v7, v7
	v_ashrrev_i32_e32 v7, 31, v7
	v_and_b32_e32 v9, v9, v20
	;; [unrolled: 8-line block ×5, first 2 shown]
	v_xor_b32_e32 v20, s19, v7
	v_xor_b32_e32 v7, s18, v7
	v_and_b32_e32 v8, v8, v7
	v_lshlrev_b32_e32 v7, 24, v2
	v_not_b32_e32 v2, v7
	v_cmp_gt_i64_e64 s[18:19], 0, v[6:7]
	v_ashrrev_i32_e32 v2, 31, v2
	v_and_b32_e32 v9, v9, v20
	v_xor_b32_e32 v6, s19, v2
	v_xor_b32_e32 v2, s18, v2
	; wave barrier
	ds_read_b32 v31, v19 offset:64
	v_and_b32_e32 v7, v9, v6
	v_and_b32_e32 v6, v8, v2
	v_mbcnt_lo_u32_b32 v2, v6, 0
	v_mbcnt_hi_u32_b32 v32, v7, v2
	v_cmp_eq_u32_e64 s[18:19], 0, v32
	v_cmp_ne_u64_e64 s[20:21], 0, v[6:7]
	s_and_b64 s[20:21], s[20:21], s[18:19]
	; wave barrier
	s_and_saveexec_b64 s[18:19], s[20:21]
	s_cbranch_execz .LBB1411_25
; %bb.24:
	v_bcnt_u32_b32 v2, v6, 0
	v_bcnt_u32_b32 v2, v7, v2
	s_waitcnt lgkmcnt(0)
	v_add_u32_e32 v2, v31, v2
	ds_write_b32 v19, v2 offset:64
.LBB1411_25:
	s_or_b64 exec, exec, s[18:19]
	v_xor_b32_e32 v20, 0xffff8000, v3
	v_lshrrev_b32_sdwa v2, s48, v20 dst_sel:DWORD dst_unused:UNUSED_PAD src0_sel:DWORD src1_sel:WORD_0
	v_and_b32_e32 v2, s53, v2
	v_and_b32_e32 v7, 1, v2
	v_add_co_u32_e64 v8, s[18:19], -1, v7
	v_addc_co_u32_e64 v9, s[18:19], 0, -1, s[18:19]
	v_cmp_ne_u32_e64 s[18:19], 0, v7
	v_mul_u32_u24_e32 v6, 17, v2
	v_xor_b32_e32 v7, s19, v9
	v_add_lshl_u32 v21, v22, v6, 2
	v_mov_b32_e32 v6, 0
	v_and_b32_e32 v9, exec_hi, v7
	v_lshlrev_b32_e32 v7, 30, v2
	v_xor_b32_e32 v8, s18, v8
	v_cmp_gt_i64_e64 s[18:19], 0, v[6:7]
	v_not_b32_e32 v7, v7
	v_ashrrev_i32_e32 v7, 31, v7
	v_and_b32_e32 v8, exec_lo, v8
	v_xor_b32_e32 v23, s19, v7
	v_xor_b32_e32 v7, s18, v7
	v_and_b32_e32 v8, v8, v7
	v_lshlrev_b32_e32 v7, 29, v2
	v_cmp_gt_i64_e64 s[18:19], 0, v[6:7]
	v_not_b32_e32 v7, v7
	v_ashrrev_i32_e32 v7, 31, v7
	v_and_b32_e32 v9, v9, v23
	v_xor_b32_e32 v23, s19, v7
	v_xor_b32_e32 v7, s18, v7
	v_and_b32_e32 v8, v8, v7
	v_lshlrev_b32_e32 v7, 28, v2
	v_cmp_gt_i64_e64 s[18:19], 0, v[6:7]
	v_not_b32_e32 v7, v7
	v_ashrrev_i32_e32 v7, 31, v7
	v_and_b32_e32 v9, v9, v23
	;; [unrolled: 8-line block ×5, first 2 shown]
	v_xor_b32_e32 v23, s19, v7
	v_xor_b32_e32 v7, s18, v7
	v_and_b32_e32 v8, v8, v7
	v_lshlrev_b32_e32 v7, 24, v2
	v_not_b32_e32 v2, v7
	v_cmp_gt_i64_e64 s[18:19], 0, v[6:7]
	v_ashrrev_i32_e32 v2, 31, v2
	v_xor_b32_e32 v7, s19, v2
	v_xor_b32_e32 v2, s18, v2
	; wave barrier
	ds_read_b32 v33, v21 offset:64
	v_and_b32_e32 v9, v9, v23
	v_and_b32_e32 v8, v8, v2
	;; [unrolled: 1-line block ×3, first 2 shown]
	v_mbcnt_lo_u32_b32 v2, v8, 0
	v_mbcnt_hi_u32_b32 v34, v9, v2
	v_cmp_eq_u32_e64 s[18:19], 0, v34
	v_cmp_ne_u64_e64 s[20:21], 0, v[8:9]
	s_and_b64 s[20:21], s[20:21], s[18:19]
	; wave barrier
	s_and_saveexec_b64 s[18:19], s[20:21]
	s_cbranch_execz .LBB1411_27
; %bb.26:
	v_bcnt_u32_b32 v2, v8, 0
	v_bcnt_u32_b32 v2, v9, v2
	s_waitcnt lgkmcnt(0)
	v_add_u32_e32 v2, v33, v2
	ds_write_b32 v21, v2 offset:64
.LBB1411_27:
	s_or_b64 exec, exec, s[18:19]
	v_xor_b32_sdwa v8, v3, s22 dst_sel:DWORD dst_unused:UNUSED_PAD src0_sel:WORD_1 src1_sel:DWORD
	v_lshrrev_b32_sdwa v2, s48, v8 dst_sel:DWORD dst_unused:UNUSED_PAD src0_sel:DWORD src1_sel:WORD_0
	v_and_b32_e32 v2, s53, v2
	v_mul_u32_u24_e32 v3, 17, v2
	v_add_lshl_u32 v9, v22, v3, 2
	v_and_b32_e32 v3, 1, v2
	v_add_co_u32_e64 v7, s[18:19], -1, v3
	v_addc_co_u32_e64 v23, s[18:19], 0, -1, s[18:19]
	v_cmp_ne_u32_e64 s[18:19], 0, v3
	v_xor_b32_e32 v7, s18, v7
	v_xor_b32_e32 v3, s19, v23
	v_and_b32_e32 v23, exec_lo, v7
	v_lshlrev_b32_e32 v7, 30, v2
	v_cmp_gt_i64_e64 s[18:19], 0, v[6:7]
	v_not_b32_e32 v7, v7
	v_ashrrev_i32_e32 v7, 31, v7
	v_xor_b32_e32 v24, s19, v7
	v_xor_b32_e32 v7, s18, v7
	v_and_b32_e32 v23, v23, v7
	v_lshlrev_b32_e32 v7, 29, v2
	v_cmp_gt_i64_e64 s[18:19], 0, v[6:7]
	v_not_b32_e32 v7, v7
	v_and_b32_e32 v3, exec_hi, v3
	v_ashrrev_i32_e32 v7, 31, v7
	v_and_b32_e32 v3, v3, v24
	v_xor_b32_e32 v24, s19, v7
	v_xor_b32_e32 v7, s18, v7
	v_and_b32_e32 v23, v23, v7
	v_lshlrev_b32_e32 v7, 28, v2
	v_cmp_gt_i64_e64 s[18:19], 0, v[6:7]
	v_not_b32_e32 v7, v7
	v_ashrrev_i32_e32 v7, 31, v7
	v_and_b32_e32 v3, v3, v24
	v_xor_b32_e32 v24, s19, v7
	v_xor_b32_e32 v7, s18, v7
	v_and_b32_e32 v23, v23, v7
	v_lshlrev_b32_e32 v7, 27, v2
	v_cmp_gt_i64_e64 s[18:19], 0, v[6:7]
	v_not_b32_e32 v7, v7
	v_ashrrev_i32_e32 v7, 31, v7
	v_and_b32_e32 v3, v3, v24
	v_xor_b32_e32 v24, s19, v7
	v_xor_b32_e32 v7, s18, v7
	v_and_b32_e32 v23, v23, v7
	v_lshlrev_b32_e32 v7, 26, v2
	v_cmp_gt_i64_e64 s[18:19], 0, v[6:7]
	v_not_b32_e32 v7, v7
	v_ashrrev_i32_e32 v7, 31, v7
	v_and_b32_e32 v3, v3, v24
	v_xor_b32_e32 v24, s19, v7
	v_xor_b32_e32 v7, s18, v7
	v_and_b32_e32 v23, v23, v7
	v_lshlrev_b32_e32 v7, 25, v2
	v_cmp_gt_i64_e64 s[18:19], 0, v[6:7]
	v_not_b32_e32 v7, v7
	v_ashrrev_i32_e32 v7, 31, v7
	v_and_b32_e32 v3, v3, v24
	v_xor_b32_e32 v24, s19, v7
	v_xor_b32_e32 v7, s18, v7
	v_and_b32_e32 v23, v23, v7
	v_lshlrev_b32_e32 v7, 24, v2
	v_not_b32_e32 v2, v7
	v_cmp_gt_i64_e64 s[18:19], 0, v[6:7]
	v_ashrrev_i32_e32 v2, 31, v2
	v_xor_b32_e32 v6, s19, v2
	v_xor_b32_e32 v2, s18, v2
	; wave barrier
	ds_read_b32 v35, v9 offset:64
	v_and_b32_e32 v3, v3, v24
	v_and_b32_e32 v2, v23, v2
	v_and_b32_e32 v3, v3, v6
	v_mbcnt_lo_u32_b32 v6, v2, 0
	v_mbcnt_hi_u32_b32 v36, v3, v6
	v_cmp_eq_u32_e64 s[18:19], 0, v36
	v_cmp_ne_u64_e64 s[20:21], 0, v[2:3]
	s_and_b64 s[20:21], s[20:21], s[18:19]
	; wave barrier
	s_and_saveexec_b64 s[18:19], s[20:21]
	s_cbranch_execz .LBB1411_29
; %bb.28:
	v_bcnt_u32_b32 v2, v2, 0
	v_bcnt_u32_b32 v2, v3, v2
	s_waitcnt lgkmcnt(0)
	v_add_u32_e32 v2, v35, v2
	ds_write_b32 v9, v2 offset:64
.LBB1411_29:
	s_or_b64 exec, exec, s[18:19]
	v_xor_b32_e32 v23, 0xffff8000, v4
	v_lshrrev_b32_sdwa v2, s48, v23 dst_sel:DWORD dst_unused:UNUSED_PAD src0_sel:DWORD src1_sel:WORD_0
	v_and_b32_e32 v6, s53, v2
	v_and_b32_e32 v3, 1, v6
	v_add_co_u32_e64 v7, s[18:19], -1, v3
	v_addc_co_u32_e64 v25, s[18:19], 0, -1, s[18:19]
	v_cmp_ne_u32_e64 s[18:19], 0, v3
	v_mul_u32_u24_e32 v2, 17, v6
	v_xor_b32_e32 v3, s19, v25
	v_add_lshl_u32 v24, v22, v2, 2
	v_mov_b32_e32 v2, 0
	v_and_b32_e32 v25, exec_hi, v3
	v_lshlrev_b32_e32 v3, 30, v6
	v_xor_b32_e32 v7, s18, v7
	v_cmp_gt_i64_e64 s[18:19], 0, v[2:3]
	v_not_b32_e32 v3, v3
	v_ashrrev_i32_e32 v3, 31, v3
	v_and_b32_e32 v7, exec_lo, v7
	v_xor_b32_e32 v26, s19, v3
	v_xor_b32_e32 v3, s18, v3
	v_and_b32_e32 v7, v7, v3
	v_lshlrev_b32_e32 v3, 29, v6
	v_cmp_gt_i64_e64 s[18:19], 0, v[2:3]
	v_not_b32_e32 v3, v3
	v_ashrrev_i32_e32 v3, 31, v3
	v_and_b32_e32 v25, v25, v26
	v_xor_b32_e32 v26, s19, v3
	v_xor_b32_e32 v3, s18, v3
	v_and_b32_e32 v7, v7, v3
	v_lshlrev_b32_e32 v3, 28, v6
	v_cmp_gt_i64_e64 s[18:19], 0, v[2:3]
	v_not_b32_e32 v3, v3
	v_ashrrev_i32_e32 v3, 31, v3
	v_and_b32_e32 v25, v25, v26
	;; [unrolled: 8-line block ×5, first 2 shown]
	v_xor_b32_e32 v26, s19, v3
	v_xor_b32_e32 v3, s18, v3
	v_and_b32_e32 v25, v25, v26
	v_and_b32_e32 v26, v7, v3
	v_lshlrev_b32_e32 v3, 24, v6
	v_cmp_gt_i64_e64 s[18:19], 0, v[2:3]
	v_not_b32_e32 v3, v3
	v_ashrrev_i32_e32 v3, 31, v3
	v_xor_b32_e32 v6, s19, v3
	v_xor_b32_e32 v3, s18, v3
	; wave barrier
	ds_read_b32 v37, v24 offset:64
	v_and_b32_e32 v7, v25, v6
	v_and_b32_e32 v6, v26, v3
	v_mbcnt_lo_u32_b32 v3, v6, 0
	v_mbcnt_hi_u32_b32 v38, v7, v3
	v_cmp_eq_u32_e64 s[18:19], 0, v38
	v_cmp_ne_u64_e64 s[20:21], 0, v[6:7]
	s_and_b64 s[20:21], s[20:21], s[18:19]
	; wave barrier
	s_and_saveexec_b64 s[18:19], s[20:21]
	s_cbranch_execz .LBB1411_31
; %bb.30:
	v_bcnt_u32_b32 v3, v6, 0
	v_bcnt_u32_b32 v3, v7, v3
	s_waitcnt lgkmcnt(0)
	v_add_u32_e32 v3, v37, v3
	ds_write_b32 v24, v3 offset:64
.LBB1411_31:
	s_or_b64 exec, exec, s[18:19]
	v_xor_b32_sdwa v25, v4, s22 dst_sel:DWORD dst_unused:UNUSED_PAD src0_sel:WORD_1 src1_sel:DWORD
	v_lshrrev_b32_sdwa v3, s48, v25 dst_sel:DWORD dst_unused:UNUSED_PAD src0_sel:DWORD src1_sel:WORD_0
	v_and_b32_e32 v4, s53, v3
	v_mul_u32_u24_e32 v3, 17, v4
	v_add_lshl_u32 v26, v22, v3, 2
	v_and_b32_e32 v3, 1, v4
	v_add_co_u32_e64 v6, s[18:19], -1, v3
	v_addc_co_u32_e64 v7, s[18:19], 0, -1, s[18:19]
	v_cmp_ne_u32_e64 s[18:19], 0, v3
	v_xor_b32_e32 v3, s19, v7
	v_and_b32_e32 v7, exec_hi, v3
	v_lshlrev_b32_e32 v3, 30, v4
	v_xor_b32_e32 v6, s18, v6
	v_cmp_gt_i64_e64 s[18:19], 0, v[2:3]
	v_not_b32_e32 v3, v3
	v_ashrrev_i32_e32 v3, 31, v3
	v_and_b32_e32 v6, exec_lo, v6
	v_xor_b32_e32 v27, s19, v3
	v_xor_b32_e32 v3, s18, v3
	v_and_b32_e32 v6, v6, v3
	v_lshlrev_b32_e32 v3, 29, v4
	v_cmp_gt_i64_e64 s[18:19], 0, v[2:3]
	v_not_b32_e32 v3, v3
	v_ashrrev_i32_e32 v3, 31, v3
	v_and_b32_e32 v7, v7, v27
	v_xor_b32_e32 v27, s19, v3
	v_xor_b32_e32 v3, s18, v3
	v_and_b32_e32 v6, v6, v3
	v_lshlrev_b32_e32 v3, 28, v4
	v_cmp_gt_i64_e64 s[18:19], 0, v[2:3]
	v_not_b32_e32 v3, v3
	v_ashrrev_i32_e32 v3, 31, v3
	v_and_b32_e32 v7, v7, v27
	;; [unrolled: 8-line block ×5, first 2 shown]
	v_xor_b32_e32 v27, s19, v3
	v_xor_b32_e32 v3, s18, v3
	v_and_b32_e32 v6, v6, v3
	v_lshlrev_b32_e32 v3, 24, v4
	v_cmp_gt_i64_e64 s[18:19], 0, v[2:3]
	v_not_b32_e32 v2, v3
	v_ashrrev_i32_e32 v2, 31, v2
	v_xor_b32_e32 v3, s19, v2
	v_xor_b32_e32 v2, s18, v2
	; wave barrier
	ds_read_b32 v39, v26 offset:64
	v_and_b32_e32 v7, v7, v27
	v_and_b32_e32 v2, v6, v2
	;; [unrolled: 1-line block ×3, first 2 shown]
	v_mbcnt_lo_u32_b32 v4, v2, 0
	v_mbcnt_hi_u32_b32 v40, v3, v4
	v_cmp_eq_u32_e64 s[18:19], 0, v40
	v_cmp_ne_u64_e64 s[20:21], 0, v[2:3]
	s_and_b64 s[20:21], s[20:21], s[18:19]
	; wave barrier
	s_and_saveexec_b64 s[18:19], s[20:21]
	s_cbranch_execz .LBB1411_33
; %bb.32:
	v_bcnt_u32_b32 v2, v2, 0
	v_bcnt_u32_b32 v2, v3, v2
	s_waitcnt lgkmcnt(0)
	v_add_u32_e32 v2, v39, v2
	ds_write_b32 v26, v2 offset:64
.LBB1411_33:
	s_or_b64 exec, exec, s[18:19]
	v_xor_b32_e32 v27, 0xffff8000, v5
	v_lshrrev_b32_sdwa v2, s48, v27 dst_sel:DWORD dst_unused:UNUSED_PAD src0_sel:DWORD src1_sel:WORD_0
	v_and_b32_e32 v4, s53, v2
	v_and_b32_e32 v3, 1, v4
	v_add_co_u32_e64 v6, s[18:19], -1, v3
	v_addc_co_u32_e64 v7, s[18:19], 0, -1, s[18:19]
	v_cmp_ne_u32_e64 s[18:19], 0, v3
	v_mul_u32_u24_e32 v2, 17, v4
	v_xor_b32_e32 v3, s19, v7
	v_add_lshl_u32 v28, v22, v2, 2
	v_mov_b32_e32 v2, 0
	v_and_b32_e32 v7, exec_hi, v3
	v_lshlrev_b32_e32 v3, 30, v4
	v_xor_b32_e32 v6, s18, v6
	v_cmp_gt_i64_e64 s[18:19], 0, v[2:3]
	v_not_b32_e32 v3, v3
	v_ashrrev_i32_e32 v3, 31, v3
	v_and_b32_e32 v6, exec_lo, v6
	v_xor_b32_e32 v29, s19, v3
	v_xor_b32_e32 v3, s18, v3
	v_and_b32_e32 v6, v6, v3
	v_lshlrev_b32_e32 v3, 29, v4
	v_cmp_gt_i64_e64 s[18:19], 0, v[2:3]
	v_not_b32_e32 v3, v3
	v_ashrrev_i32_e32 v3, 31, v3
	v_and_b32_e32 v7, v7, v29
	v_xor_b32_e32 v29, s19, v3
	v_xor_b32_e32 v3, s18, v3
	v_and_b32_e32 v6, v6, v3
	v_lshlrev_b32_e32 v3, 28, v4
	v_cmp_gt_i64_e64 s[18:19], 0, v[2:3]
	v_not_b32_e32 v3, v3
	v_ashrrev_i32_e32 v3, 31, v3
	v_and_b32_e32 v7, v7, v29
	;; [unrolled: 8-line block ×5, first 2 shown]
	v_xor_b32_e32 v29, s19, v3
	v_xor_b32_e32 v3, s18, v3
	v_and_b32_e32 v6, v6, v3
	v_lshlrev_b32_e32 v3, 24, v4
	v_cmp_gt_i64_e64 s[18:19], 0, v[2:3]
	v_not_b32_e32 v3, v3
	v_ashrrev_i32_e32 v3, 31, v3
	v_xor_b32_e32 v4, s19, v3
	v_xor_b32_e32 v3, s18, v3
	; wave barrier
	ds_read_b32 v41, v28 offset:64
	v_and_b32_e32 v7, v7, v29
	v_and_b32_e32 v6, v6, v3
	;; [unrolled: 1-line block ×3, first 2 shown]
	v_mbcnt_lo_u32_b32 v3, v6, 0
	v_mbcnt_hi_u32_b32 v42, v7, v3
	v_cmp_eq_u32_e64 s[18:19], 0, v42
	v_cmp_ne_u64_e64 s[20:21], 0, v[6:7]
	s_and_b64 s[20:21], s[20:21], s[18:19]
	; wave barrier
	s_and_saveexec_b64 s[18:19], s[20:21]
	s_cbranch_execz .LBB1411_35
; %bb.34:
	v_bcnt_u32_b32 v3, v6, 0
	v_bcnt_u32_b32 v3, v7, v3
	s_waitcnt lgkmcnt(0)
	v_add_u32_e32 v3, v41, v3
	ds_write_b32 v28, v3 offset:64
.LBB1411_35:
	s_or_b64 exec, exec, s[18:19]
	v_xor_b32_sdwa v6, v5, s22 dst_sel:DWORD dst_unused:UNUSED_PAD src0_sel:WORD_1 src1_sel:DWORD
	v_lshrrev_b32_sdwa v3, s48, v6 dst_sel:DWORD dst_unused:UNUSED_PAD src0_sel:DWORD src1_sel:WORD_0
	v_and_b32_e32 v4, s53, v3
	v_mul_u32_u24_e32 v3, 17, v4
	v_add_lshl_u32 v7, v22, v3, 2
	v_and_b32_e32 v3, 1, v4
	v_add_co_u32_e64 v5, s[18:19], -1, v3
	v_addc_co_u32_e64 v22, s[18:19], 0, -1, s[18:19]
	v_cmp_ne_u32_e64 s[18:19], 0, v3
	v_xor_b32_e32 v3, s19, v22
	v_and_b32_e32 v22, exec_hi, v3
	v_lshlrev_b32_e32 v3, 30, v4
	v_xor_b32_e32 v5, s18, v5
	v_cmp_gt_i64_e64 s[18:19], 0, v[2:3]
	v_not_b32_e32 v3, v3
	v_ashrrev_i32_e32 v3, 31, v3
	v_and_b32_e32 v5, exec_lo, v5
	v_xor_b32_e32 v44, s19, v3
	v_xor_b32_e32 v3, s18, v3
	v_and_b32_e32 v5, v5, v3
	v_lshlrev_b32_e32 v3, 29, v4
	v_cmp_gt_i64_e64 s[18:19], 0, v[2:3]
	v_not_b32_e32 v3, v3
	v_ashrrev_i32_e32 v3, 31, v3
	v_and_b32_e32 v22, v22, v44
	v_xor_b32_e32 v44, s19, v3
	v_xor_b32_e32 v3, s18, v3
	v_and_b32_e32 v5, v5, v3
	v_lshlrev_b32_e32 v3, 28, v4
	v_cmp_gt_i64_e64 s[18:19], 0, v[2:3]
	v_not_b32_e32 v3, v3
	v_ashrrev_i32_e32 v3, 31, v3
	v_and_b32_e32 v22, v22, v44
	;; [unrolled: 8-line block ×5, first 2 shown]
	v_xor_b32_e32 v44, s19, v3
	v_xor_b32_e32 v3, s18, v3
	v_and_b32_e32 v5, v5, v3
	v_lshlrev_b32_e32 v3, 24, v4
	v_cmp_gt_i64_e64 s[18:19], 0, v[2:3]
	v_not_b32_e32 v2, v3
	v_ashrrev_i32_e32 v2, 31, v2
	v_xor_b32_e32 v3, s19, v2
	v_xor_b32_e32 v2, s18, v2
	; wave barrier
	ds_read_b32 v43, v7 offset:64
	v_and_b32_e32 v22, v22, v44
	v_and_b32_e32 v2, v5, v2
	;; [unrolled: 1-line block ×3, first 2 shown]
	v_mbcnt_lo_u32_b32 v4, v2, 0
	v_mbcnt_hi_u32_b32 v46, v3, v4
	v_cmp_eq_u32_e64 s[18:19], 0, v46
	v_cmp_ne_u64_e64 s[20:21], 0, v[2:3]
	v_add_u32_e32 v29, 64, v15
	s_and_b64 s[20:21], s[20:21], s[18:19]
	; wave barrier
	s_and_saveexec_b64 s[18:19], s[20:21]
	s_cbranch_execz .LBB1411_37
; %bb.36:
	v_bcnt_u32_b32 v2, v2, 0
	v_bcnt_u32_b32 v2, v3, v2
	s_waitcnt lgkmcnt(0)
	v_add_u32_e32 v2, v43, v2
	ds_write_b32 v7, v2 offset:64
.LBB1411_37:
	s_or_b64 exec, exec, s[18:19]
	; wave barrier
	s_waitcnt lgkmcnt(0)
	s_barrier
	ds_read2_b32 v[4:5], v15 offset0:16 offset1:17
	ds_read2_b32 v[2:3], v29 offset0:2 offset1:3
	ds_read_b32 v22, v29 offset:16
	v_cmp_lt_u32_e64 s[28:29], 31, v13
	s_waitcnt lgkmcnt(1)
	v_add3_u32 v44, v5, v4, v2
	s_waitcnt lgkmcnt(0)
	v_add3_u32 v22, v44, v3, v22
	v_and_b32_e32 v44, 15, v13
	v_cmp_eq_u32_e64 s[18:19], 0, v44
	v_mov_b32_dpp v45, v22 row_shr:1 row_mask:0xf bank_mask:0xf
	v_cndmask_b32_e64 v45, v45, 0, s[18:19]
	v_add_u32_e32 v22, v45, v22
	v_cmp_lt_u32_e64 s[20:21], 1, v44
	v_cmp_lt_u32_e64 s[22:23], 3, v44
	v_mov_b32_dpp v45, v22 row_shr:2 row_mask:0xf bank_mask:0xf
	v_cndmask_b32_e64 v45, 0, v45, s[20:21]
	v_add_u32_e32 v22, v22, v45
	v_cmp_lt_u32_e64 s[24:25], 7, v44
	s_nop 0
	v_mov_b32_dpp v45, v22 row_shr:4 row_mask:0xf bank_mask:0xf
	v_cndmask_b32_e64 v45, 0, v45, s[22:23]
	v_add_u32_e32 v22, v22, v45
	s_nop 1
	v_mov_b32_dpp v45, v22 row_shr:8 row_mask:0xf bank_mask:0xf
	v_cndmask_b32_e64 v44, 0, v45, s[24:25]
	v_add_u32_e32 v22, v22, v44
	v_bfe_i32 v45, v13, 4, 1
	s_nop 0
	v_mov_b32_dpp v44, v22 row_bcast:15 row_mask:0xf bank_mask:0xf
	v_and_b32_e32 v44, v45, v44
	v_add_u32_e32 v22, v22, v44
	v_and_b32_e32 v45, 63, v10
	s_nop 0
	v_mov_b32_dpp v44, v22 row_bcast:31 row_mask:0xf bank_mask:0xf
	v_cndmask_b32_e64 v44, 0, v44, s[28:29]
	v_add_u32_e32 v22, v22, v44
	v_lshrrev_b32_e32 v44, 6, v10
	v_cmp_eq_u32_e64 s[28:29], 63, v45
	s_and_saveexec_b64 s[50:51], s[28:29]
	s_cbranch_execz .LBB1411_39
; %bb.38:
	v_lshlrev_b32_e32 v45, 2, v44
	ds_write_b32 v45, v22
.LBB1411_39:
	s_or_b64 exec, exec, s[50:51]
	v_cmp_gt_u32_e64 s[28:29], 16, v10
	s_waitcnt lgkmcnt(0)
	s_barrier
	s_and_saveexec_b64 s[50:51], s[28:29]
	s_cbranch_execz .LBB1411_41
; %bb.40:
	v_lshlrev_b32_e32 v45, 2, v10
	ds_read_b32 v47, v45
	s_waitcnt lgkmcnt(0)
	s_nop 0
	v_mov_b32_dpp v48, v47 row_shr:1 row_mask:0xf bank_mask:0xf
	v_cndmask_b32_e64 v48, v48, 0, s[18:19]
	v_add_u32_e32 v47, v48, v47
	s_nop 1
	v_mov_b32_dpp v48, v47 row_shr:2 row_mask:0xf bank_mask:0xf
	v_cndmask_b32_e64 v48, 0, v48, s[20:21]
	v_add_u32_e32 v47, v47, v48
	;; [unrolled: 4-line block ×4, first 2 shown]
	ds_write_b32 v45, v47
.LBB1411_41:
	s_or_b64 exec, exec, s[50:51]
	v_cmp_lt_u32_e64 s[18:19], 63, v10
	v_mov_b32_e32 v45, 0
	s_waitcnt lgkmcnt(0)
	s_barrier
	s_and_saveexec_b64 s[20:21], s[18:19]
	s_cbranch_execz .LBB1411_43
; %bb.42:
	v_lshl_add_u32 v44, v44, 2, -4
	ds_read_b32 v45, v44
.LBB1411_43:
	s_or_b64 exec, exec, s[20:21]
	v_add_u32_e32 v44, -1, v13
	v_and_b32_e32 v47, 64, v13
	v_cmp_lt_i32_e64 s[18:19], v44, v47
	v_cndmask_b32_e64 v44, v44, v13, s[18:19]
	s_waitcnt lgkmcnt(0)
	v_add_u32_e32 v22, v45, v22
	v_lshlrev_b32_e32 v44, 2, v44
	ds_bpermute_b32 v22, v44, v22
	v_cmp_eq_u32_e64 s[18:19], 0, v13
                                        ; implicit-def: $vgpr44
	s_waitcnt lgkmcnt(0)
	v_cndmask_b32_e64 v13, v22, v45, s[18:19]
	v_cndmask_b32_e64 v13, v13, 0, s[0:1]
	v_add_u32_e32 v4, v13, v4
	v_add_u32_e32 v5, v4, v5
	;; [unrolled: 1-line block ×4, first 2 shown]
	ds_write2_b32 v15, v13, v4 offset0:16 offset1:17
	ds_write2_b32 v29, v5, v2 offset0:2 offset1:3
	ds_write_b32 v29, v3 offset:16
	s_waitcnt lgkmcnt(0)
	s_barrier
	ds_read_b32 v2, v18 offset:64
	ds_read_b32 v48, v19 offset:64
	;; [unrolled: 1-line block ×8, first 2 shown]
	s_movk_i32 s18, 0x100
	v_cmp_gt_u32_e64 s[18:19], s18, v10
                                        ; implicit-def: $vgpr45
	s_and_saveexec_b64 s[22:23], s[18:19]
	s_cbranch_execz .LBB1411_47
; %bb.44:
	v_mul_u32_u24_e32 v3, 17, v10
	v_lshlrev_b32_e32 v4, 2, v3
	ds_read_b32 v44, v4 offset:64
	s_movk_i32 s20, 0xff
	v_cmp_ne_u32_e64 s[20:21], s20, v10
	v_mov_b32_e32 v3, 0x2000
	s_and_saveexec_b64 s[24:25], s[20:21]
	s_cbranch_execz .LBB1411_46
; %bb.45:
	ds_read_b32 v3, v4 offset:132
.LBB1411_46:
	s_or_b64 exec, exec, s[24:25]
	s_waitcnt lgkmcnt(0)
	v_sub_u32_e32 v45, v3, v44
.LBB1411_47:
	s_or_b64 exec, exec, s[22:23]
	s_waitcnt lgkmcnt(7)
	v_add_u32_e32 v47, v2, v16
	v_add_u32_e32 v15, v32, v31
	v_lshlrev_b32_e32 v2, 1, v47
	v_add_u32_e32 v13, v34, v33
	s_waitcnt lgkmcnt(0)
	s_barrier
	ds_write_b16 v2, v14 offset:1024
	v_add_lshl_u32 v2, v15, v48, 1
	v_add_u32_e32 v9, v36, v35
	ds_write_b16 v2, v17 offset:1024
	v_add_lshl_u32 v2, v13, v49, 1
	v_add_u32_e32 v7, v38, v37
	;; [unrolled: 3-line block ×5, first 2 shown]
	ds_write_b16 v2, v25 offset:1024
	v_add_lshl_u32 v2, v4, v53, 1
	ds_write_b16 v2, v27 offset:1024
	v_add_lshl_u32 v2, v3, v54, 1
	ds_write_b16 v2, v6 offset:1024
	s_and_saveexec_b64 s[22:23], s[18:19]
	s_cbranch_execz .LBB1411_57
; %bb.48:
	v_lshl_or_b32 v2, s33, 8, v10
	v_mov_b32_e32 v3, 0
	v_lshlrev_b64 v[4:5], 2, v[2:3]
	v_mov_b32_e32 v8, s31
	v_add_co_u32_e64 v4, s[20:21], s30, v4
	v_addc_co_u32_e64 v5, s[20:21], v8, v5, s[20:21]
	v_or_b32_e32 v2, 2.0, v45
	s_mov_b64 s[24:25], 0
	s_brev_b32 s54, 1
	s_mov_b32 s55, s33
	v_mov_b32_e32 v9, 0
	global_store_dword v[4:5], v2, off
                                        ; implicit-def: $sgpr20_sgpr21
	s_branch .LBB1411_50
.LBB1411_49:                            ;   in Loop: Header=BB1411_50 Depth=1
	s_or_b64 exec, exec, s[28:29]
	v_and_b32_e32 v6, 0x3fffffff, v13
	v_add_u32_e32 v9, v6, v9
	v_cmp_eq_u32_e64 s[20:21], s54, v2
	s_and_b64 s[28:29], exec, s[20:21]
	s_or_b64 s[24:25], s[28:29], s[24:25]
	s_andn2_b64 exec, exec, s[24:25]
	s_cbranch_execz .LBB1411_56
.LBB1411_50:                            ; =>This Loop Header: Depth=1
                                        ;     Child Loop BB1411_53 Depth 2
	s_or_b64 s[20:21], s[20:21], exec
	s_cmp_eq_u32 s55, 0
	s_cbranch_scc1 .LBB1411_55
; %bb.51:                               ;   in Loop: Header=BB1411_50 Depth=1
	s_add_i32 s55, s55, -1
	v_lshl_or_b32 v2, s55, 8, v10
	v_lshlrev_b64 v[6:7], 2, v[2:3]
	v_add_co_u32_e64 v6, s[20:21], s30, v6
	v_addc_co_u32_e64 v7, s[20:21], v8, v7, s[20:21]
	global_load_dword v13, v[6:7], off glc
	s_waitcnt vmcnt(0)
	v_and_b32_e32 v2, -2.0, v13
	v_cmp_eq_u32_e64 s[20:21], 0, v2
	s_and_saveexec_b64 s[28:29], s[20:21]
	s_cbranch_execz .LBB1411_49
; %bb.52:                               ;   in Loop: Header=BB1411_50 Depth=1
	s_mov_b64 s[50:51], 0
.LBB1411_53:                            ;   Parent Loop BB1411_50 Depth=1
                                        ; =>  This Inner Loop Header: Depth=2
	global_load_dword v13, v[6:7], off glc
	s_waitcnt vmcnt(0)
	v_and_b32_e32 v2, -2.0, v13
	v_cmp_ne_u32_e64 s[20:21], 0, v2
	s_or_b64 s[50:51], s[20:21], s[50:51]
	s_andn2_b64 exec, exec, s[50:51]
	s_cbranch_execnz .LBB1411_53
; %bb.54:                               ;   in Loop: Header=BB1411_50 Depth=1
	s_or_b64 exec, exec, s[50:51]
	s_branch .LBB1411_49
.LBB1411_55:                            ;   in Loop: Header=BB1411_50 Depth=1
                                        ; implicit-def: $sgpr55
	s_and_b64 s[28:29], exec, s[20:21]
	s_or_b64 s[24:25], s[28:29], s[24:25]
	s_andn2_b64 exec, exec, s[24:25]
	s_cbranch_execnz .LBB1411_50
.LBB1411_56:
	s_or_b64 exec, exec, s[24:25]
	v_add_u32_e32 v2, v9, v45
	v_or_b32_e32 v2, 0x80000000, v2
	global_store_dword v[4:5], v2, off
	v_lshlrev_b32_e32 v2, 2, v10
	global_load_dword v3, v2, s[44:45]
	v_sub_u32_e32 v4, v9, v44
	s_waitcnt vmcnt(0)
	v_add_u32_e32 v3, v4, v3
	ds_write_b32 v2, v3
.LBB1411_57:
	s_or_b64 exec, exec, s[22:23]
	v_cmp_gt_u32_e64 s[20:21], s7, v10
	s_waitcnt lgkmcnt(0)
	s_barrier
	s_waitcnt lgkmcnt(0)
                                        ; implicit-def: $vgpr2_vgpr3_vgpr4_vgpr5_vgpr6_vgpr7_vgpr8_vgpr9
	s_and_saveexec_b64 s[22:23], s[20:21]
	s_cbranch_execz .LBB1411_59
; %bb.58:
	v_lshlrev_b32_e32 v2, 1, v10
	ds_read_u16 v3, v2 offset:1024
	v_mov_b32_e32 v5, 0
	v_mov_b32_e32 v6, s39
	s_waitcnt lgkmcnt(0)
	v_lshrrev_b32_sdwa v2, s48, v3 dst_sel:DWORD dst_unused:UNUSED_PAD src0_sel:DWORD src1_sel:WORD_0
	v_and_b32_e32 v2, s53, v2
	v_lshlrev_b32_e32 v4, 2, v2
	ds_read_b32 v4, v4
	v_xor_b32_e32 v3, 0xffff8000, v3
	s_waitcnt lgkmcnt(0)
	v_add_u32_e32 v4, v4, v10
	v_lshlrev_b64 v[4:5], 1, v[4:5]
	v_add_co_u32_e64 v4, s[20:21], s38, v4
	v_addc_co_u32_e64 v5, s[20:21], v6, v5, s[20:21]
	global_store_short v[4:5], v3, off
.LBB1411_59:
	s_or_b64 exec, exec, s[22:23]
	v_or_b32_e32 v13, 0x400, v10
	v_cmp_gt_u32_e64 s[20:21], s7, v13
	s_and_saveexec_b64 s[22:23], s[20:21]
	s_cbranch_execz .LBB1411_61
; %bb.60:
	v_lshlrev_b32_e32 v3, 1, v10
	ds_read_u16 v14, v3 offset:3072
	v_mov_b32_e32 v17, s39
	s_waitcnt lgkmcnt(0)
	v_lshrrev_b32_sdwa v3, s48, v14 dst_sel:DWORD dst_unused:UNUSED_PAD src0_sel:DWORD src1_sel:WORD_0
	v_and_b32_e32 v3, s53, v3
	v_lshlrev_b32_e32 v15, 2, v3
	ds_read_b32 v16, v15
	v_mov_b32_e32 v15, 0
	v_xor_b32_e32 v18, 0xffff8000, v14
	s_waitcnt lgkmcnt(0)
	v_add_u32_e32 v14, v16, v13
	v_lshlrev_b64 v[14:15], 1, v[14:15]
	v_add_co_u32_e64 v14, s[20:21], s38, v14
	v_addc_co_u32_e64 v15, s[20:21], v17, v15, s[20:21]
	global_store_short v[14:15], v18, off
.LBB1411_61:
	s_or_b64 exec, exec, s[22:23]
	v_or_b32_e32 v13, 0x800, v10
	v_cmp_gt_u32_e64 s[20:21], s7, v13
	s_and_saveexec_b64 s[22:23], s[20:21]
	s_cbranch_execz .LBB1411_63
; %bb.62:
	v_lshlrev_b32_e32 v4, 1, v10
	ds_read_u16 v14, v4 offset:5120
	v_mov_b32_e32 v17, s39
	s_waitcnt lgkmcnt(0)
	v_lshrrev_b32_sdwa v4, s48, v14 dst_sel:DWORD dst_unused:UNUSED_PAD src0_sel:DWORD src1_sel:WORD_0
	v_and_b32_e32 v4, s53, v4
	v_lshlrev_b32_e32 v15, 2, v4
	ds_read_b32 v16, v15
	v_mov_b32_e32 v15, 0
	v_xor_b32_e32 v18, 0xffff8000, v14
	s_waitcnt lgkmcnt(0)
	v_add_u32_e32 v14, v16, v13
	v_lshlrev_b64 v[14:15], 1, v[14:15]
	v_add_co_u32_e64 v14, s[20:21], s38, v14
	v_addc_co_u32_e64 v15, s[20:21], v17, v15, s[20:21]
	global_store_short v[14:15], v18, off
.LBB1411_63:
	;; [unrolled: 23-line block ×7, first 2 shown]
	s_or_b64 exec, exec, s[22:23]
	s_lshl_b64 s[20:21], s[34:35], 3
	s_add_u32 s20, s40, s20
	s_addc_u32 s21, s41, s21
	v_lshlrev_b32_e32 v12, 3, v12
	v_mov_b32_e32 v13, s21
	v_add_co_u32_e64 v12, s[20:21], s20, v12
	v_addc_co_u32_e64 v13, s[20:21], 0, v13, s[20:21]
	v_lshlrev_b32_e32 v11, 3, v11
	v_add_co_u32_e64 v28, s[20:21], v12, v11
	v_addc_co_u32_e64 v29, s[20:21], 0, v13, s[20:21]
                                        ; implicit-def: $vgpr12_vgpr13
	s_and_saveexec_b64 s[20:21], vcc
	s_xor_b64 s[20:21], exec, s[20:21]
	s_cbranch_execnz .LBB1411_138
; %bb.74:
	s_or_b64 exec, exec, s[20:21]
                                        ; implicit-def: $vgpr14_vgpr15
	s_and_saveexec_b64 s[20:21], s[2:3]
	s_cbranch_execnz .LBB1411_139
.LBB1411_75:
	s_or_b64 exec, exec, s[20:21]
                                        ; implicit-def: $vgpr16_vgpr17
	s_and_saveexec_b64 s[2:3], s[26:27]
	s_cbranch_execnz .LBB1411_140
.LBB1411_76:
	s_or_b64 exec, exec, s[2:3]
                                        ; implicit-def: $vgpr18_vgpr19
	s_and_saveexec_b64 s[2:3], s[8:9]
	s_cbranch_execnz .LBB1411_141
.LBB1411_77:
	s_or_b64 exec, exec, s[2:3]
                                        ; implicit-def: $vgpr20_vgpr21
	s_and_saveexec_b64 s[2:3], s[10:11]
	s_cbranch_execnz .LBB1411_142
.LBB1411_78:
	s_or_b64 exec, exec, s[2:3]
                                        ; implicit-def: $vgpr22_vgpr23
	s_and_saveexec_b64 s[2:3], s[12:13]
	s_cbranch_execnz .LBB1411_143
.LBB1411_79:
	s_or_b64 exec, exec, s[2:3]
                                        ; implicit-def: $vgpr24_vgpr25
	s_and_saveexec_b64 s[2:3], s[14:15]
	s_cbranch_execnz .LBB1411_144
.LBB1411_80:
	s_or_b64 exec, exec, s[2:3]
                                        ; implicit-def: $vgpr26_vgpr27
	s_and_saveexec_b64 s[2:3], s[16:17]
	s_cbranch_execz .LBB1411_82
.LBB1411_81:
	global_load_dwordx2 v[26:27], v[28:29], off offset:3584
.LBB1411_82:
	s_or_b64 exec, exec, s[2:3]
	s_movk_i32 s8, 0x400
	v_add_u32_e32 v11, 0x400, v1
	v_add3_u32 v43, v46, v54, v43
	v_add3_u32 v41, v42, v53, v41
	;; [unrolled: 1-line block ×7, first 2 shown]
	s_mov_b32 s9, 0
	v_mov_b32_e32 v29, 0
	s_mov_b32 s10, 0
	v_mov_b32_e32 v32, v10
	s_barrier
	s_waitcnt vmcnt(0)
	s_branch .LBB1411_84
.LBB1411_83:                            ;   in Loop: Header=BB1411_84 Depth=1
	s_or_b64 exec, exec, s[2:3]
	s_addk_i32 s10, 0xf800
	s_add_i32 s9, s9, 2
	s_cmpk_eq_i32 s10, 0xe000
	v_add_u32_e32 v32, 0x800, v32
	s_barrier
	s_cbranch_scc1 .LBB1411_89
.LBB1411_84:                            ; =>This Inner Loop Header: Depth=1
	v_add_u32_e32 v28, s10, v47
	v_min_u32_e32 v28, 0x800, v28
	v_lshlrev_b32_e32 v28, 3, v28
	ds_write_b64 v28, v[12:13] offset:1024
	v_add_u32_e32 v28, s10, v31
	v_min_u32_e32 v28, 0x800, v28
	v_lshlrev_b32_e32 v28, 3, v28
	ds_write_b64 v28, v[14:15] offset:1024
	;; [unrolled: 4-line block ×7, first 2 shown]
	v_add_u32_e32 v28, s10, v43
	v_min_u32_e32 v28, 0x800, v28
	v_lshlrev_b32_e32 v28, 3, v28
	v_cmp_gt_u32_e32 vcc, s7, v32
	ds_write_b64 v28, v[26:27] offset:1024
	s_waitcnt lgkmcnt(0)
	s_barrier
	s_and_saveexec_b64 s[2:3], vcc
	s_cbranch_execz .LBB1411_86
; %bb.85:                               ;   in Loop: Header=BB1411_84 Depth=1
	s_cmp_eq_u32 s9, 1
	s_cselect_b64 vcc, -1, 0
	s_cmp_eq_u32 s9, 2
	v_cndmask_b32_e32 v28, v2, v3, vcc
	s_cselect_b64 vcc, -1, 0
	s_cmp_eq_u32 s9, 3
	v_cndmask_b32_e32 v28, v28, v4, vcc
	;; [unrolled: 3-line block ×6, first 2 shown]
	s_cselect_b64 vcc, -1, 0
	v_cndmask_b32_e32 v28, v28, v9, vcc
	v_lshlrev_b32_e32 v28, 2, v28
	ds_read_b32 v28, v28
	ds_read_b64 v[48:49], v1 offset:1024
	s_waitcnt lgkmcnt(1)
	v_add_u32_e32 v28, v32, v28
	v_lshlrev_b64 v[50:51], 3, v[28:29]
	v_mov_b32_e32 v28, s43
	v_add_co_u32_e32 v50, vcc, s42, v50
	v_addc_co_u32_e32 v51, vcc, v28, v51, vcc
	s_waitcnt lgkmcnt(0)
	global_store_dwordx2 v[50:51], v[48:49], off
.LBB1411_86:                            ;   in Loop: Header=BB1411_84 Depth=1
	s_or_b64 exec, exec, s[2:3]
	v_add_u32_e32 v28, 0x400, v32
	v_cmp_gt_u32_e32 vcc, s7, v28
	s_and_saveexec_b64 s[2:3], vcc
	s_cbranch_execz .LBB1411_83
; %bb.87:                               ;   in Loop: Header=BB1411_84 Depth=1
	s_add_i32 s11, s9, 1
	s_cmp_eq_u32 s11, 1
	s_cselect_b64 vcc, -1, 0
	s_cmp_eq_u32 s11, 2
	v_cndmask_b32_e32 v28, v2, v3, vcc
	s_cselect_b64 vcc, -1, 0
	s_cmp_eq_u32 s11, 3
	v_cndmask_b32_e32 v28, v28, v4, vcc
	;; [unrolled: 3-line block ×6, first 2 shown]
	s_cselect_b64 vcc, -1, 0
	v_cndmask_b32_e32 v28, v28, v9, vcc
	v_lshlrev_b32_e32 v28, 2, v28
	ds_read_b32 v28, v28
	ds_read_b64 v[48:49], v11 offset:8192
	s_waitcnt lgkmcnt(1)
	v_add3_u32 v28, v32, v28, s8
	v_lshlrev_b64 v[50:51], 3, v[28:29]
	v_mov_b32_e32 v28, s43
	v_add_co_u32_e32 v50, vcc, s42, v50
	v_addc_co_u32_e32 v51, vcc, v28, v51, vcc
	s_waitcnt lgkmcnt(0)
	global_store_dwordx2 v[50:51], v[48:49], off
	s_branch .LBB1411_83
.LBB1411_88:
	s_mov_b64 s[10:11], 0
                                        ; implicit-def: $vgpr2
                                        ; implicit-def: $vgpr8_vgpr9
	s_cbranch_execnz .LBB1411_92
	s_branch .LBB1411_135
.LBB1411_89:
	s_add_i32 s52, s52, -1
	s_cmp_eq_u32 s52, s33
	s_cselect_b64 s[2:3], -1, 0
	s_and_b64 s[8:9], s[18:19], s[2:3]
	s_mov_b64 s[2:3], 0
	s_mov_b64 s[10:11], 0
                                        ; implicit-def: $vgpr2
                                        ; implicit-def: $vgpr8_vgpr9
	s_and_saveexec_b64 s[12:13], s[8:9]
	s_xor_b64 s[8:9], exec, s[12:13]
; %bb.90:
	v_mov_b32_e32 v11, 0
	s_mov_b64 s[10:11], exec
	v_add_u32_e32 v2, v44, v45
	v_pk_mov_b32 v[8:9], v[10:11], v[10:11] op_sel:[0,1]
; %bb.91:
	s_or_b64 exec, exec, s[8:9]
	s_and_b64 vcc, exec, s[2:3]
	s_cbranch_vccz .LBB1411_135
.LBB1411_92:
	s_lshl_b32 s12, s33, 13
	s_mov_b32 s13, 0
	v_mbcnt_hi_u32_b32 v5, -1, v30
	s_lshl_b64 s[2:3], s[12:13], 1
	v_and_b32_e32 v15, 63, v5
	s_add_u32 s2, s36, s2
	v_and_b32_e32 v14, 0x1e00, v1
	v_lshlrev_b32_e32 v1, 1, v15
	v_add_co_u32_e32 v1, vcc, s2, v1
	s_load_dword s16, s[4:5], 0x58
	s_load_dword s2, s[4:5], 0x64
	s_addc_u32 s3, s37, s3
	v_mov_b32_e32 v3, s3
	v_addc_co_u32_e32 v3, vcc, 0, v3, vcc
	v_lshlrev_b32_e32 v4, 1, v14
	s_add_u32 s3, s4, 0x58
	v_add_co_u32_e32 v16, vcc, v1, v4
	s_addc_u32 s4, s5, 0
	s_waitcnt lgkmcnt(0)
	s_lshr_b32 s5, s2, 16
	v_addc_co_u32_e32 v17, vcc, 0, v3, vcc
	s_cmp_lt_u32 s6, s16
	global_load_ushort v1, v[16:17], off
	s_cselect_b32 s2, 12, 18
	s_add_u32 s2, s3, s2
	v_mov_b32_e32 v2, 0
	s_addc_u32 s3, s4, 0
	global_load_ushort v3, v2, s[2:3]
	v_mul_u32_u24_e32 v6, 5, v10
	v_lshlrev_b32_e32 v6, 2, v6
	ds_write2_b32 v6, v2, v2 offset0:16 offset1:17
	ds_write2_b32 v6, v2, v2 offset0:18 offset1:19
	ds_write_b32 v6, v2 offset:80
	global_load_ushort v9, v[16:17], off offset:128
	global_load_ushort v12, v[16:17], off offset:256
	global_load_ushort v20, v[16:17], off offset:384
	global_load_ushort v22, v[16:17], off offset:512
	global_load_ushort v24, v[16:17], off offset:640
	global_load_ushort v26, v[16:17], off offset:768
	global_load_ushort v13, v[16:17], off offset:896
	v_bfe_u32 v4, v0, 10, 10
	v_bfe_u32 v0, v0, 20, 10
	v_mad_u32_u24 v0, v0, s5, v4
	s_lshl_b32 s2, -1, s49
	s_not_b32 s17, s2
	s_waitcnt lgkmcnt(0)
	s_barrier
	s_waitcnt lgkmcnt(0)
	; wave barrier
	s_waitcnt vmcnt(8)
	v_xor_b32_e32 v4, 0xffff8000, v1
	v_lshrrev_b32_sdwa v1, s48, v4 dst_sel:DWORD dst_unused:UNUSED_PAD src0_sel:DWORD src1_sel:WORD_0
	v_and_b32_e32 v8, s17, v1
	v_and_b32_e32 v7, 1, v8
	s_waitcnt vmcnt(7)
	v_mad_u64_u32 v[0:1], s[2:3], v0, v3, v[10:11]
	v_lshrrev_b32_e32 v27, 6, v0
	v_add_co_u32_e32 v0, vcc, -1, v7
	v_lshlrev_b32_e32 v3, 30, v8
	v_addc_co_u32_e64 v11, s[2:3], 0, -1, vcc
	v_mul_u32_u24_e32 v1, 17, v8
	v_cmp_ne_u32_e32 vcc, 0, v7
	v_cmp_gt_i64_e64 s[2:3], 0, v[2:3]
	v_not_b32_e32 v16, v3
	v_lshlrev_b32_e32 v3, 29, v8
	v_add_lshl_u32 v7, v27, v1, 2
	v_xor_b32_e32 v1, vcc_hi, v11
	v_xor_b32_e32 v0, vcc_lo, v0
	v_ashrrev_i32_e32 v11, 31, v16
	v_cmp_gt_i64_e32 vcc, 0, v[2:3]
	v_not_b32_e32 v16, v3
	v_lshlrev_b32_e32 v3, 28, v8
	v_and_b32_e32 v1, exec_hi, v1
	v_and_b32_e32 v0, exec_lo, v0
	v_xor_b32_e32 v17, s3, v11
	v_xor_b32_e32 v11, s2, v11
	v_ashrrev_i32_e32 v16, 31, v16
	v_cmp_gt_i64_e64 s[2:3], 0, v[2:3]
	v_not_b32_e32 v18, v3
	v_lshlrev_b32_e32 v3, 27, v8
	v_and_b32_e32 v1, v1, v17
	v_and_b32_e32 v0, v0, v11
	v_xor_b32_e32 v11, vcc_hi, v16
	v_xor_b32_e32 v16, vcc_lo, v16
	v_ashrrev_i32_e32 v17, 31, v18
	v_cmp_gt_i64_e32 vcc, 0, v[2:3]
	v_not_b32_e32 v3, v3
	v_and_b32_e32 v1, v1, v11
	v_and_b32_e32 v0, v0, v16
	v_xor_b32_e32 v11, s3, v17
	v_xor_b32_e32 v16, s2, v17
	v_ashrrev_i32_e32 v3, 31, v3
	v_and_b32_e32 v1, v1, v11
	v_and_b32_e32 v0, v0, v16
	v_xor_b32_e32 v11, vcc_hi, v3
	v_xor_b32_e32 v3, vcc_lo, v3
	v_and_b32_e32 v0, v0, v3
	v_lshlrev_b32_e32 v3, 26, v8
	v_cmp_gt_i64_e32 vcc, 0, v[2:3]
	v_not_b32_e32 v3, v3
	v_ashrrev_i32_e32 v3, 31, v3
	v_and_b32_e32 v1, v1, v11
	v_xor_b32_e32 v11, vcc_hi, v3
	v_xor_b32_e32 v3, vcc_lo, v3
	v_and_b32_e32 v0, v0, v3
	v_lshlrev_b32_e32 v3, 25, v8
	v_cmp_gt_i64_e32 vcc, 0, v[2:3]
	v_not_b32_e32 v3, v3
	v_ashrrev_i32_e32 v3, 31, v3
	;; [unrolled: 8-line block ×3, first 2 shown]
	v_xor_b32_e32 v8, vcc_hi, v3
	v_xor_b32_e32 v3, vcc_lo, v3
	v_and_b32_e32 v1, v1, v11
	v_and_b32_e32 v0, v0, v3
	;; [unrolled: 1-line block ×3, first 2 shown]
	v_mbcnt_lo_u32_b32 v3, v0, 0
	v_mbcnt_hi_u32_b32 v8, v1, v3
	v_cmp_eq_u32_e32 vcc, 0, v8
	v_cmp_ne_u64_e64 s[2:3], 0, v[0:1]
	s_and_b64 s[4:5], s[2:3], vcc
	s_and_saveexec_b64 s[2:3], s[4:5]
	s_cbranch_execz .LBB1411_94
; %bb.93:
	v_bcnt_u32_b32 v0, v0, 0
	v_bcnt_u32_b32 v0, v1, v0
	ds_write_b32 v7, v0 offset:64
.LBB1411_94:
	s_or_b64 exec, exec, s[2:3]
	s_waitcnt vmcnt(6)
	v_xor_b32_e32 v9, 0xffff8000, v9
	v_lshrrev_b32_sdwa v0, s48, v9 dst_sel:DWORD dst_unused:UNUSED_PAD src0_sel:DWORD src1_sel:WORD_0
	v_and_b32_e32 v0, s17, v0
	v_mul_u32_u24_e32 v1, 17, v0
	v_add_lshl_u32 v11, v27, v1, 2
	v_and_b32_e32 v1, 1, v0
	v_add_co_u32_e32 v3, vcc, -1, v1
	v_addc_co_u32_e64 v17, s[2:3], 0, -1, vcc
	v_cmp_ne_u32_e32 vcc, 0, v1
	v_xor_b32_e32 v3, vcc_lo, v3
	v_xor_b32_e32 v1, vcc_hi, v17
	v_and_b32_e32 v17, exec_lo, v3
	v_lshlrev_b32_e32 v3, 30, v0
	v_cmp_gt_i64_e32 vcc, 0, v[2:3]
	v_not_b32_e32 v3, v3
	v_ashrrev_i32_e32 v3, 31, v3
	v_xor_b32_e32 v18, vcc_hi, v3
	v_xor_b32_e32 v3, vcc_lo, v3
	v_and_b32_e32 v17, v17, v3
	v_lshlrev_b32_e32 v3, 29, v0
	v_cmp_gt_i64_e32 vcc, 0, v[2:3]
	v_not_b32_e32 v3, v3
	v_and_b32_e32 v1, exec_hi, v1
	v_ashrrev_i32_e32 v3, 31, v3
	v_and_b32_e32 v1, v1, v18
	v_xor_b32_e32 v18, vcc_hi, v3
	v_xor_b32_e32 v3, vcc_lo, v3
	v_and_b32_e32 v17, v17, v3
	v_lshlrev_b32_e32 v3, 28, v0
	v_cmp_gt_i64_e32 vcc, 0, v[2:3]
	v_not_b32_e32 v3, v3
	v_ashrrev_i32_e32 v3, 31, v3
	v_and_b32_e32 v1, v1, v18
	v_xor_b32_e32 v18, vcc_hi, v3
	v_xor_b32_e32 v3, vcc_lo, v3
	v_and_b32_e32 v17, v17, v3
	v_lshlrev_b32_e32 v3, 27, v0
	v_cmp_gt_i64_e32 vcc, 0, v[2:3]
	v_not_b32_e32 v3, v3
	;; [unrolled: 8-line block ×4, first 2 shown]
	v_ashrrev_i32_e32 v3, 31, v3
	v_and_b32_e32 v1, v1, v18
	v_xor_b32_e32 v18, vcc_hi, v3
	v_xor_b32_e32 v3, vcc_lo, v3
	v_and_b32_e32 v17, v17, v3
	v_lshlrev_b32_e32 v3, 24, v0
	v_not_b32_e32 v0, v3
	v_cmp_gt_i64_e32 vcc, 0, v[2:3]
	v_ashrrev_i32_e32 v0, 31, v0
	v_xor_b32_e32 v2, vcc_hi, v0
	v_xor_b32_e32 v0, vcc_lo, v0
	; wave barrier
	ds_read_b32 v16, v11 offset:64
	v_and_b32_e32 v1, v1, v18
	v_and_b32_e32 v0, v17, v0
	;; [unrolled: 1-line block ×3, first 2 shown]
	v_mbcnt_lo_u32_b32 v2, v0, 0
	v_mbcnt_hi_u32_b32 v17, v1, v2
	v_cmp_eq_u32_e32 vcc, 0, v17
	v_cmp_ne_u64_e64 s[2:3], 0, v[0:1]
	s_and_b64 s[4:5], s[2:3], vcc
	; wave barrier
	s_and_saveexec_b64 s[2:3], s[4:5]
	s_cbranch_execz .LBB1411_96
; %bb.95:
	v_bcnt_u32_b32 v0, v0, 0
	v_bcnt_u32_b32 v0, v1, v0
	s_waitcnt lgkmcnt(0)
	v_add_u32_e32 v0, v16, v0
	ds_write_b32 v11, v0 offset:64
.LBB1411_96:
	s_or_b64 exec, exec, s[2:3]
	s_waitcnt vmcnt(5)
	v_xor_b32_e32 v12, 0xffff8000, v12
	v_lshrrev_b32_sdwa v0, s48, v12 dst_sel:DWORD dst_unused:UNUSED_PAD src0_sel:DWORD src1_sel:WORD_0
	v_and_b32_e32 v2, s17, v0
	v_and_b32_e32 v1, 1, v2
	v_add_co_u32_e32 v3, vcc, -1, v1
	v_addc_co_u32_e64 v19, s[2:3], 0, -1, vcc
	v_cmp_ne_u32_e32 vcc, 0, v1
	v_mul_u32_u24_e32 v0, 17, v2
	v_xor_b32_e32 v1, vcc_hi, v19
	v_add_lshl_u32 v28, v27, v0, 2
	v_mov_b32_e32 v0, 0
	v_and_b32_e32 v19, exec_hi, v1
	v_lshlrev_b32_e32 v1, 30, v2
	v_xor_b32_e32 v3, vcc_lo, v3
	v_cmp_gt_i64_e32 vcc, 0, v[0:1]
	v_not_b32_e32 v1, v1
	v_ashrrev_i32_e32 v1, 31, v1
	v_and_b32_e32 v3, exec_lo, v3
	v_xor_b32_e32 v21, vcc_hi, v1
	v_xor_b32_e32 v1, vcc_lo, v1
	v_and_b32_e32 v3, v3, v1
	v_lshlrev_b32_e32 v1, 29, v2
	v_cmp_gt_i64_e32 vcc, 0, v[0:1]
	v_not_b32_e32 v1, v1
	v_ashrrev_i32_e32 v1, 31, v1
	v_and_b32_e32 v19, v19, v21
	v_xor_b32_e32 v21, vcc_hi, v1
	v_xor_b32_e32 v1, vcc_lo, v1
	v_and_b32_e32 v3, v3, v1
	v_lshlrev_b32_e32 v1, 28, v2
	v_cmp_gt_i64_e32 vcc, 0, v[0:1]
	v_not_b32_e32 v1, v1
	v_ashrrev_i32_e32 v1, 31, v1
	v_and_b32_e32 v19, v19, v21
	;; [unrolled: 8-line block ×5, first 2 shown]
	v_xor_b32_e32 v21, vcc_hi, v1
	v_xor_b32_e32 v1, vcc_lo, v1
	v_and_b32_e32 v19, v19, v21
	v_and_b32_e32 v21, v3, v1
	v_lshlrev_b32_e32 v1, 24, v2
	v_cmp_gt_i64_e32 vcc, 0, v[0:1]
	v_not_b32_e32 v1, v1
	v_ashrrev_i32_e32 v1, 31, v1
	v_xor_b32_e32 v2, vcc_hi, v1
	v_xor_b32_e32 v1, vcc_lo, v1
	; wave barrier
	ds_read_b32 v18, v28 offset:64
	v_and_b32_e32 v3, v19, v2
	v_and_b32_e32 v2, v21, v1
	v_mbcnt_lo_u32_b32 v1, v2, 0
	v_mbcnt_hi_u32_b32 v19, v3, v1
	v_cmp_eq_u32_e32 vcc, 0, v19
	v_cmp_ne_u64_e64 s[2:3], 0, v[2:3]
	s_and_b64 s[4:5], s[2:3], vcc
	; wave barrier
	s_and_saveexec_b64 s[2:3], s[4:5]
	s_cbranch_execz .LBB1411_98
; %bb.97:
	v_bcnt_u32_b32 v1, v2, 0
	v_bcnt_u32_b32 v1, v3, v1
	s_waitcnt lgkmcnt(0)
	v_add_u32_e32 v1, v18, v1
	ds_write_b32 v28, v1 offset:64
.LBB1411_98:
	s_or_b64 exec, exec, s[2:3]
	s_waitcnt vmcnt(4)
	v_xor_b32_e32 v29, 0xffff8000, v20
	v_lshrrev_b32_sdwa v1, s48, v29 dst_sel:DWORD dst_unused:UNUSED_PAD src0_sel:DWORD src1_sel:WORD_0
	v_and_b32_e32 v2, s17, v1
	v_mul_u32_u24_e32 v1, 17, v2
	v_add_lshl_u32 v31, v27, v1, 2
	v_and_b32_e32 v1, 1, v2
	v_add_co_u32_e32 v3, vcc, -1, v1
	v_addc_co_u32_e64 v21, s[2:3], 0, -1, vcc
	v_cmp_ne_u32_e32 vcc, 0, v1
	v_xor_b32_e32 v1, vcc_hi, v21
	v_and_b32_e32 v21, exec_hi, v1
	v_lshlrev_b32_e32 v1, 30, v2
	v_xor_b32_e32 v3, vcc_lo, v3
	v_cmp_gt_i64_e32 vcc, 0, v[0:1]
	v_not_b32_e32 v1, v1
	v_ashrrev_i32_e32 v1, 31, v1
	v_and_b32_e32 v3, exec_lo, v3
	v_xor_b32_e32 v23, vcc_hi, v1
	v_xor_b32_e32 v1, vcc_lo, v1
	v_and_b32_e32 v3, v3, v1
	v_lshlrev_b32_e32 v1, 29, v2
	v_cmp_gt_i64_e32 vcc, 0, v[0:1]
	v_not_b32_e32 v1, v1
	v_ashrrev_i32_e32 v1, 31, v1
	v_and_b32_e32 v21, v21, v23
	v_xor_b32_e32 v23, vcc_hi, v1
	v_xor_b32_e32 v1, vcc_lo, v1
	v_and_b32_e32 v3, v3, v1
	v_lshlrev_b32_e32 v1, 28, v2
	v_cmp_gt_i64_e32 vcc, 0, v[0:1]
	v_not_b32_e32 v1, v1
	v_ashrrev_i32_e32 v1, 31, v1
	v_and_b32_e32 v21, v21, v23
	;; [unrolled: 8-line block ×5, first 2 shown]
	v_xor_b32_e32 v23, vcc_hi, v1
	v_xor_b32_e32 v1, vcc_lo, v1
	v_and_b32_e32 v3, v3, v1
	v_lshlrev_b32_e32 v1, 24, v2
	v_cmp_gt_i64_e32 vcc, 0, v[0:1]
	v_not_b32_e32 v0, v1
	v_ashrrev_i32_e32 v0, 31, v0
	v_xor_b32_e32 v1, vcc_hi, v0
	v_xor_b32_e32 v0, vcc_lo, v0
	; wave barrier
	ds_read_b32 v20, v31 offset:64
	v_and_b32_e32 v21, v21, v23
	v_and_b32_e32 v0, v3, v0
	;; [unrolled: 1-line block ×3, first 2 shown]
	v_mbcnt_lo_u32_b32 v2, v0, 0
	v_mbcnt_hi_u32_b32 v21, v1, v2
	v_cmp_eq_u32_e32 vcc, 0, v21
	v_cmp_ne_u64_e64 s[2:3], 0, v[0:1]
	s_and_b64 s[4:5], s[2:3], vcc
	; wave barrier
	s_and_saveexec_b64 s[2:3], s[4:5]
	s_cbranch_execz .LBB1411_100
; %bb.99:
	v_bcnt_u32_b32 v0, v0, 0
	v_bcnt_u32_b32 v0, v1, v0
	s_waitcnt lgkmcnt(0)
	v_add_u32_e32 v0, v20, v0
	ds_write_b32 v31, v0 offset:64
.LBB1411_100:
	s_or_b64 exec, exec, s[2:3]
	s_waitcnt vmcnt(3)
	v_xor_b32_e32 v33, 0xffff8000, v22
	v_lshrrev_b32_sdwa v0, s48, v33 dst_sel:DWORD dst_unused:UNUSED_PAD src0_sel:DWORD src1_sel:WORD_0
	v_and_b32_e32 v2, s17, v0
	v_and_b32_e32 v1, 1, v2
	v_add_co_u32_e32 v3, vcc, -1, v1
	v_addc_co_u32_e64 v23, s[2:3], 0, -1, vcc
	v_cmp_ne_u32_e32 vcc, 0, v1
	v_mul_u32_u24_e32 v0, 17, v2
	v_xor_b32_e32 v1, vcc_hi, v23
	v_add_lshl_u32 v32, v27, v0, 2
	v_mov_b32_e32 v0, 0
	v_and_b32_e32 v23, exec_hi, v1
	v_lshlrev_b32_e32 v1, 30, v2
	v_xor_b32_e32 v3, vcc_lo, v3
	v_cmp_gt_i64_e32 vcc, 0, v[0:1]
	v_not_b32_e32 v1, v1
	v_ashrrev_i32_e32 v1, 31, v1
	v_and_b32_e32 v3, exec_lo, v3
	v_xor_b32_e32 v25, vcc_hi, v1
	v_xor_b32_e32 v1, vcc_lo, v1
	v_and_b32_e32 v3, v3, v1
	v_lshlrev_b32_e32 v1, 29, v2
	v_cmp_gt_i64_e32 vcc, 0, v[0:1]
	v_not_b32_e32 v1, v1
	v_ashrrev_i32_e32 v1, 31, v1
	v_and_b32_e32 v23, v23, v25
	v_xor_b32_e32 v25, vcc_hi, v1
	v_xor_b32_e32 v1, vcc_lo, v1
	v_and_b32_e32 v3, v3, v1
	v_lshlrev_b32_e32 v1, 28, v2
	v_cmp_gt_i64_e32 vcc, 0, v[0:1]
	v_not_b32_e32 v1, v1
	v_ashrrev_i32_e32 v1, 31, v1
	v_and_b32_e32 v23, v23, v25
	;; [unrolled: 8-line block ×5, first 2 shown]
	v_xor_b32_e32 v25, vcc_hi, v1
	v_xor_b32_e32 v1, vcc_lo, v1
	v_and_b32_e32 v23, v23, v25
	v_and_b32_e32 v25, v3, v1
	v_lshlrev_b32_e32 v1, 24, v2
	v_cmp_gt_i64_e32 vcc, 0, v[0:1]
	v_not_b32_e32 v1, v1
	v_ashrrev_i32_e32 v1, 31, v1
	v_xor_b32_e32 v2, vcc_hi, v1
	v_xor_b32_e32 v1, vcc_lo, v1
	; wave barrier
	ds_read_b32 v22, v32 offset:64
	v_and_b32_e32 v3, v23, v2
	v_and_b32_e32 v2, v25, v1
	v_mbcnt_lo_u32_b32 v1, v2, 0
	v_mbcnt_hi_u32_b32 v23, v3, v1
	v_cmp_eq_u32_e32 vcc, 0, v23
	v_cmp_ne_u64_e64 s[2:3], 0, v[2:3]
	s_and_b64 s[4:5], s[2:3], vcc
	; wave barrier
	s_and_saveexec_b64 s[2:3], s[4:5]
	s_cbranch_execz .LBB1411_102
; %bb.101:
	v_bcnt_u32_b32 v1, v2, 0
	v_bcnt_u32_b32 v1, v3, v1
	s_waitcnt lgkmcnt(0)
	v_add_u32_e32 v1, v22, v1
	ds_write_b32 v32, v1 offset:64
.LBB1411_102:
	s_or_b64 exec, exec, s[2:3]
	s_waitcnt vmcnt(2)
	v_xor_b32_e32 v36, 0xffff8000, v24
	v_lshrrev_b32_sdwa v1, s48, v36 dst_sel:DWORD dst_unused:UNUSED_PAD src0_sel:DWORD src1_sel:WORD_0
	v_and_b32_e32 v2, s17, v1
	v_mul_u32_u24_e32 v1, 17, v2
	v_add_lshl_u32 v35, v27, v1, 2
	v_and_b32_e32 v1, 1, v2
	v_add_co_u32_e32 v3, vcc, -1, v1
	v_addc_co_u32_e64 v25, s[2:3], 0, -1, vcc
	v_cmp_ne_u32_e32 vcc, 0, v1
	v_xor_b32_e32 v1, vcc_hi, v25
	v_and_b32_e32 v25, exec_hi, v1
	v_lshlrev_b32_e32 v1, 30, v2
	v_xor_b32_e32 v3, vcc_lo, v3
	v_cmp_gt_i64_e32 vcc, 0, v[0:1]
	v_not_b32_e32 v1, v1
	v_ashrrev_i32_e32 v1, 31, v1
	v_and_b32_e32 v3, exec_lo, v3
	v_xor_b32_e32 v30, vcc_hi, v1
	v_xor_b32_e32 v1, vcc_lo, v1
	v_and_b32_e32 v3, v3, v1
	v_lshlrev_b32_e32 v1, 29, v2
	v_cmp_gt_i64_e32 vcc, 0, v[0:1]
	v_not_b32_e32 v1, v1
	v_ashrrev_i32_e32 v1, 31, v1
	v_and_b32_e32 v25, v25, v30
	v_xor_b32_e32 v30, vcc_hi, v1
	v_xor_b32_e32 v1, vcc_lo, v1
	v_and_b32_e32 v3, v3, v1
	v_lshlrev_b32_e32 v1, 28, v2
	v_cmp_gt_i64_e32 vcc, 0, v[0:1]
	v_not_b32_e32 v1, v1
	v_ashrrev_i32_e32 v1, 31, v1
	v_and_b32_e32 v25, v25, v30
	;; [unrolled: 8-line block ×5, first 2 shown]
	v_xor_b32_e32 v30, vcc_hi, v1
	v_xor_b32_e32 v1, vcc_lo, v1
	v_and_b32_e32 v3, v3, v1
	v_lshlrev_b32_e32 v1, 24, v2
	v_cmp_gt_i64_e32 vcc, 0, v[0:1]
	v_not_b32_e32 v0, v1
	v_ashrrev_i32_e32 v0, 31, v0
	v_xor_b32_e32 v1, vcc_hi, v0
	v_xor_b32_e32 v0, vcc_lo, v0
	; wave barrier
	ds_read_b32 v24, v35 offset:64
	v_and_b32_e32 v25, v25, v30
	v_and_b32_e32 v0, v3, v0
	;; [unrolled: 1-line block ×3, first 2 shown]
	v_mbcnt_lo_u32_b32 v2, v0, 0
	v_mbcnt_hi_u32_b32 v25, v1, v2
	v_cmp_eq_u32_e32 vcc, 0, v25
	v_cmp_ne_u64_e64 s[2:3], 0, v[0:1]
	s_and_b64 s[4:5], s[2:3], vcc
	; wave barrier
	s_and_saveexec_b64 s[2:3], s[4:5]
	s_cbranch_execz .LBB1411_104
; %bb.103:
	v_bcnt_u32_b32 v0, v0, 0
	v_bcnt_u32_b32 v0, v1, v0
	s_waitcnt lgkmcnt(0)
	v_add_u32_e32 v0, v24, v0
	ds_write_b32 v35, v0 offset:64
.LBB1411_104:
	s_or_b64 exec, exec, s[2:3]
	s_waitcnt vmcnt(1)
	v_xor_b32_e32 v43, 0xffff8000, v26
	v_lshrrev_b32_sdwa v0, s48, v43 dst_sel:DWORD dst_unused:UNUSED_PAD src0_sel:DWORD src1_sel:WORD_0
	v_and_b32_e32 v2, s17, v0
	v_and_b32_e32 v1, 1, v2
	v_add_co_u32_e32 v3, vcc, -1, v1
	v_addc_co_u32_e64 v30, s[2:3], 0, -1, vcc
	v_cmp_ne_u32_e32 vcc, 0, v1
	v_mul_u32_u24_e32 v0, 17, v2
	v_xor_b32_e32 v1, vcc_hi, v30
	v_add_lshl_u32 v41, v27, v0, 2
	v_mov_b32_e32 v0, 0
	v_and_b32_e32 v30, exec_hi, v1
	v_lshlrev_b32_e32 v1, 30, v2
	v_xor_b32_e32 v3, vcc_lo, v3
	v_cmp_gt_i64_e32 vcc, 0, v[0:1]
	v_not_b32_e32 v1, v1
	v_ashrrev_i32_e32 v1, 31, v1
	v_and_b32_e32 v3, exec_lo, v3
	v_xor_b32_e32 v34, vcc_hi, v1
	v_xor_b32_e32 v1, vcc_lo, v1
	v_and_b32_e32 v3, v3, v1
	v_lshlrev_b32_e32 v1, 29, v2
	v_cmp_gt_i64_e32 vcc, 0, v[0:1]
	v_not_b32_e32 v1, v1
	v_ashrrev_i32_e32 v1, 31, v1
	v_and_b32_e32 v30, v30, v34
	v_xor_b32_e32 v34, vcc_hi, v1
	v_xor_b32_e32 v1, vcc_lo, v1
	v_and_b32_e32 v3, v3, v1
	v_lshlrev_b32_e32 v1, 28, v2
	v_cmp_gt_i64_e32 vcc, 0, v[0:1]
	v_not_b32_e32 v1, v1
	v_ashrrev_i32_e32 v1, 31, v1
	v_and_b32_e32 v30, v30, v34
	;; [unrolled: 8-line block ×5, first 2 shown]
	v_xor_b32_e32 v34, vcc_hi, v1
	v_xor_b32_e32 v1, vcc_lo, v1
	v_and_b32_e32 v30, v30, v34
	v_and_b32_e32 v34, v3, v1
	v_lshlrev_b32_e32 v1, 24, v2
	v_cmp_gt_i64_e32 vcc, 0, v[0:1]
	v_not_b32_e32 v1, v1
	v_ashrrev_i32_e32 v1, 31, v1
	v_xor_b32_e32 v2, vcc_hi, v1
	v_xor_b32_e32 v1, vcc_lo, v1
	; wave barrier
	ds_read_b32 v26, v41 offset:64
	v_and_b32_e32 v3, v30, v2
	v_and_b32_e32 v2, v34, v1
	v_mbcnt_lo_u32_b32 v1, v2, 0
	v_mbcnt_hi_u32_b32 v30, v3, v1
	v_cmp_eq_u32_e32 vcc, 0, v30
	v_cmp_ne_u64_e64 s[2:3], 0, v[2:3]
	s_and_b64 s[4:5], s[2:3], vcc
	; wave barrier
	s_and_saveexec_b64 s[2:3], s[4:5]
	s_cbranch_execz .LBB1411_106
; %bb.105:
	v_bcnt_u32_b32 v1, v2, 0
	v_bcnt_u32_b32 v1, v3, v1
	s_waitcnt lgkmcnt(0)
	v_add_u32_e32 v1, v26, v1
	ds_write_b32 v41, v1 offset:64
.LBB1411_106:
	s_or_b64 exec, exec, s[2:3]
	s_waitcnt vmcnt(0)
	v_xor_b32_e32 v13, 0xffff8000, v13
	v_lshrrev_b32_sdwa v1, s48, v13 dst_sel:DWORD dst_unused:UNUSED_PAD src0_sel:DWORD src1_sel:WORD_0
	v_and_b32_e32 v2, s17, v1
	v_mul_u32_u24_e32 v1, 17, v2
	v_add_lshl_u32 v42, v27, v1, 2
	v_and_b32_e32 v1, 1, v2
	v_add_co_u32_e32 v3, vcc, -1, v1
	v_addc_co_u32_e64 v34, s[2:3], 0, -1, vcc
	v_cmp_ne_u32_e32 vcc, 0, v1
	v_xor_b32_e32 v1, vcc_hi, v34
	v_and_b32_e32 v34, exec_hi, v1
	v_lshlrev_b32_e32 v1, 30, v2
	v_xor_b32_e32 v3, vcc_lo, v3
	v_cmp_gt_i64_e32 vcc, 0, v[0:1]
	v_not_b32_e32 v1, v1
	v_ashrrev_i32_e32 v1, 31, v1
	v_and_b32_e32 v3, exec_lo, v3
	v_xor_b32_e32 v38, vcc_hi, v1
	v_xor_b32_e32 v1, vcc_lo, v1
	v_and_b32_e32 v3, v3, v1
	v_lshlrev_b32_e32 v1, 29, v2
	v_cmp_gt_i64_e32 vcc, 0, v[0:1]
	v_not_b32_e32 v1, v1
	v_ashrrev_i32_e32 v1, 31, v1
	v_and_b32_e32 v34, v34, v38
	v_xor_b32_e32 v38, vcc_hi, v1
	v_xor_b32_e32 v1, vcc_lo, v1
	v_and_b32_e32 v3, v3, v1
	v_lshlrev_b32_e32 v1, 28, v2
	v_cmp_gt_i64_e32 vcc, 0, v[0:1]
	v_not_b32_e32 v1, v1
	v_ashrrev_i32_e32 v1, 31, v1
	v_and_b32_e32 v34, v34, v38
	v_xor_b32_e32 v38, vcc_hi, v1
	v_xor_b32_e32 v1, vcc_lo, v1
	v_and_b32_e32 v3, v3, v1
	v_lshlrev_b32_e32 v1, 27, v2
	v_cmp_gt_i64_e32 vcc, 0, v[0:1]
	v_not_b32_e32 v1, v1
	v_ashrrev_i32_e32 v1, 31, v1
	v_and_b32_e32 v34, v34, v38
	v_xor_b32_e32 v38, vcc_hi, v1
	v_xor_b32_e32 v1, vcc_lo, v1
	v_and_b32_e32 v3, v3, v1
	v_lshlrev_b32_e32 v1, 26, v2
	v_cmp_gt_i64_e32 vcc, 0, v[0:1]
	v_not_b32_e32 v1, v1
	v_ashrrev_i32_e32 v1, 31, v1
	v_and_b32_e32 v34, v34, v38
	v_xor_b32_e32 v38, vcc_hi, v1
	v_xor_b32_e32 v1, vcc_lo, v1
	v_and_b32_e32 v3, v3, v1
	v_lshlrev_b32_e32 v1, 25, v2
	v_cmp_gt_i64_e32 vcc, 0, v[0:1]
	v_not_b32_e32 v1, v1
	v_ashrrev_i32_e32 v1, 31, v1
	v_and_b32_e32 v34, v34, v38
	v_xor_b32_e32 v38, vcc_hi, v1
	v_xor_b32_e32 v1, vcc_lo, v1
	v_and_b32_e32 v3, v3, v1
	v_lshlrev_b32_e32 v1, 24, v2
	v_cmp_gt_i64_e32 vcc, 0, v[0:1]
	v_not_b32_e32 v0, v1
	v_ashrrev_i32_e32 v0, 31, v0
	v_xor_b32_e32 v1, vcc_hi, v0
	v_xor_b32_e32 v0, vcc_lo, v0
	; wave barrier
	ds_read_b32 v27, v42 offset:64
	v_and_b32_e32 v34, v34, v38
	v_and_b32_e32 v0, v3, v0
	;; [unrolled: 1-line block ×3, first 2 shown]
	v_mbcnt_lo_u32_b32 v2, v0, 0
	v_mbcnt_hi_u32_b32 v34, v1, v2
	v_cmp_eq_u32_e32 vcc, 0, v34
	v_cmp_ne_u64_e64 s[2:3], 0, v[0:1]
	v_add_u32_e32 v37, 64, v6
	s_and_b64 s[4:5], s[2:3], vcc
	; wave barrier
	s_and_saveexec_b64 s[2:3], s[4:5]
	s_cbranch_execz .LBB1411_108
; %bb.107:
	v_bcnt_u32_b32 v0, v0, 0
	v_bcnt_u32_b32 v0, v1, v0
	s_waitcnt lgkmcnt(0)
	v_add_u32_e32 v0, v27, v0
	ds_write_b32 v42, v0 offset:64
.LBB1411_108:
	s_or_b64 exec, exec, s[2:3]
	; wave barrier
	s_waitcnt lgkmcnt(0)
	s_barrier
	ds_read2_b32 v[2:3], v6 offset0:16 offset1:17
	ds_read2_b32 v[0:1], v37 offset0:2 offset1:3
	ds_read_b32 v38, v37 offset:16
	v_cmp_lt_u32_e64 s[8:9], 31, v5
	s_waitcnt lgkmcnt(1)
	v_add3_u32 v39, v3, v2, v0
	s_waitcnt lgkmcnt(0)
	v_add3_u32 v38, v39, v1, v38
	v_and_b32_e32 v39, 15, v5
	v_cmp_eq_u32_e32 vcc, 0, v39
	v_mov_b32_dpp v40, v38 row_shr:1 row_mask:0xf bank_mask:0xf
	v_cndmask_b32_e64 v40, v40, 0, vcc
	v_add_u32_e32 v38, v40, v38
	v_cmp_lt_u32_e64 s[2:3], 1, v39
	v_cmp_lt_u32_e64 s[4:5], 3, v39
	v_mov_b32_dpp v40, v38 row_shr:2 row_mask:0xf bank_mask:0xf
	v_cndmask_b32_e64 v40, 0, v40, s[2:3]
	v_add_u32_e32 v38, v38, v40
	v_cmp_lt_u32_e64 s[6:7], 7, v39
	s_nop 0
	v_mov_b32_dpp v40, v38 row_shr:4 row_mask:0xf bank_mask:0xf
	v_cndmask_b32_e64 v40, 0, v40, s[4:5]
	v_add_u32_e32 v38, v38, v40
	s_nop 1
	v_mov_b32_dpp v40, v38 row_shr:8 row_mask:0xf bank_mask:0xf
	v_cndmask_b32_e64 v39, 0, v40, s[6:7]
	v_add_u32_e32 v38, v38, v39
	v_bfe_i32 v40, v5, 4, 1
	s_nop 0
	v_mov_b32_dpp v39, v38 row_bcast:15 row_mask:0xf bank_mask:0xf
	v_and_b32_e32 v39, v40, v39
	v_add_u32_e32 v38, v38, v39
	v_and_b32_e32 v40, 63, v10
	s_nop 0
	v_mov_b32_dpp v39, v38 row_bcast:31 row_mask:0xf bank_mask:0xf
	v_cndmask_b32_e64 v39, 0, v39, s[8:9]
	v_add_u32_e32 v38, v38, v39
	v_lshrrev_b32_e32 v39, 6, v10
	v_cmp_eq_u32_e64 s[8:9], 63, v40
	s_and_saveexec_b64 s[14:15], s[8:9]
	s_cbranch_execz .LBB1411_110
; %bb.109:
	v_lshlrev_b32_e32 v40, 2, v39
	ds_write_b32 v40, v38
.LBB1411_110:
	s_or_b64 exec, exec, s[14:15]
	v_cmp_gt_u32_e64 s[8:9], 16, v10
	v_lshlrev_b32_e32 v44, 2, v10
	s_waitcnt lgkmcnt(0)
	s_barrier
	s_and_saveexec_b64 s[14:15], s[8:9]
	s_cbranch_execz .LBB1411_112
; %bb.111:
	ds_read_b32 v40, v44
	s_waitcnt lgkmcnt(0)
	s_nop 0
	v_mov_b32_dpp v45, v40 row_shr:1 row_mask:0xf bank_mask:0xf
	v_cndmask_b32_e64 v45, v45, 0, vcc
	v_add_u32_e32 v40, v45, v40
	s_nop 1
	v_mov_b32_dpp v45, v40 row_shr:2 row_mask:0xf bank_mask:0xf
	v_cndmask_b32_e64 v45, 0, v45, s[2:3]
	v_add_u32_e32 v40, v40, v45
	s_nop 1
	v_mov_b32_dpp v45, v40 row_shr:4 row_mask:0xf bank_mask:0xf
	v_cndmask_b32_e64 v45, 0, v45, s[4:5]
	;; [unrolled: 4-line block ×3, first 2 shown]
	v_add_u32_e32 v40, v40, v45
	ds_write_b32 v44, v40
.LBB1411_112:
	s_or_b64 exec, exec, s[14:15]
	v_cmp_lt_u32_e32 vcc, 63, v10
	v_mov_b32_e32 v40, 0
	s_waitcnt lgkmcnt(0)
	s_barrier
	s_and_saveexec_b64 s[2:3], vcc
	s_cbranch_execz .LBB1411_114
; %bb.113:
	v_lshl_add_u32 v39, v39, 2, -4
	ds_read_b32 v40, v39
.LBB1411_114:
	s_or_b64 exec, exec, s[2:3]
	v_add_u32_e32 v39, -1, v5
	v_and_b32_e32 v45, 64, v5
	v_cmp_lt_i32_e32 vcc, v39, v45
	v_cndmask_b32_e32 v39, v39, v5, vcc
	s_waitcnt lgkmcnt(0)
	v_add_u32_e32 v38, v40, v38
	v_lshlrev_b32_e32 v39, 2, v39
	ds_bpermute_b32 v38, v39, v38
	v_cmp_eq_u32_e32 vcc, 0, v5
	s_movk_i32 s2, 0xff
	s_movk_i32 s3, 0x100
	s_waitcnt lgkmcnt(0)
	v_cndmask_b32_e32 v5, v38, v40, vcc
	v_cndmask_b32_e64 v5, v5, 0, s[0:1]
	v_add_u32_e32 v2, v5, v2
	v_add_u32_e32 v3, v2, v3
	;; [unrolled: 1-line block ×4, first 2 shown]
	ds_write2_b32 v6, v5, v2 offset0:16 offset1:17
	ds_write2_b32 v37, v3, v0 offset0:2 offset1:3
	ds_write_b32 v37, v1 offset:16
	s_waitcnt lgkmcnt(0)
	s_barrier
	ds_read_b32 v0, v7 offset:64
	ds_read_b32 v37, v11 offset:64
	;; [unrolled: 1-line block ×8, first 2 shown]
	v_cmp_lt_u32_e64 s[0:1], s2, v10
	v_cmp_gt_u32_e32 vcc, s3, v10
                                        ; implicit-def: $vgpr31
                                        ; implicit-def: $vgpr32
	s_and_saveexec_b64 s[4:5], vcc
	s_cbranch_execz .LBB1411_118
; %bb.115:
	v_mul_u32_u24_e32 v1, 17, v10
	v_lshlrev_b32_e32 v2, 2, v1
	ds_read_b32 v31, v2 offset:64
	v_cmp_ne_u32_e64 s[2:3], s2, v10
	v_mov_b32_e32 v1, 0x2000
	s_and_saveexec_b64 s[6:7], s[2:3]
	s_cbranch_execz .LBB1411_117
; %bb.116:
	ds_read_b32 v1, v2 offset:132
.LBB1411_117:
	s_or_b64 exec, exec, s[6:7]
	s_waitcnt lgkmcnt(0)
	v_sub_u32_e32 v32, v1, v31
.LBB1411_118:
	s_or_b64 exec, exec, s[4:5]
	s_waitcnt lgkmcnt(7)
	v_add_u32_e32 v35, v0, v8
	v_add_u32_e32 v11, v17, v16
	v_lshlrev_b32_e32 v0, 1, v35
	v_add_u32_e32 v7, v19, v18
	s_waitcnt lgkmcnt(0)
	s_barrier
	ds_write_b16 v0, v4 offset:1024
	v_add_lshl_u32 v0, v11, v37, 1
	v_add_u32_e32 v6, v21, v20
	ds_write_b16 v0, v9 offset:1024
	v_add_lshl_u32 v0, v7, v28, 1
	v_add_u32_e32 v5, v23, v22
	;; [unrolled: 3-line block ×5, first 2 shown]
	ds_write_b16 v0, v36 offset:1024
	v_add_lshl_u32 v0, v2, v41, 1
	ds_write_b16 v0, v43 offset:1024
	v_add_lshl_u32 v0, v1, v42, 1
	ds_write_b16 v0, v13 offset:1024
                                        ; implicit-def: $vgpr8_vgpr9
	s_and_saveexec_b64 s[2:3], s[0:1]
	s_xor_b64 s[0:1], exec, s[2:3]
; %bb.119:
	v_mov_b32_e32 v11, 0
	v_pk_mov_b32 v[8:9], v[10:11], v[10:11] op_sel:[0,1]
                                        ; implicit-def: $vgpr44
; %bb.120:
	s_andn2_saveexec_b64 s[2:3], s[0:1]
	s_cbranch_execz .LBB1411_130
; %bb.121:
	v_lshl_or_b32 v0, s33, 8, v10
	v_mov_b32_e32 v1, 0
	v_lshlrev_b64 v[2:3], 2, v[0:1]
	v_mov_b32_e32 v6, s31
	v_add_co_u32_e64 v2, s[0:1], s30, v2
	v_addc_co_u32_e64 v3, s[0:1], v6, v3, s[0:1]
	v_or_b32_e32 v0, 2.0, v32
	s_mov_b64 s[4:5], 0
	s_brev_b32 s14, 1
	s_mov_b32 s15, s33
	v_mov_b32_e32 v7, 0
	global_store_dword v[2:3], v0, off
                                        ; implicit-def: $sgpr0_sgpr1
	s_branch .LBB1411_124
.LBB1411_122:                           ;   in Loop: Header=BB1411_124 Depth=1
	s_or_b64 exec, exec, s[8:9]
.LBB1411_123:                           ;   in Loop: Header=BB1411_124 Depth=1
	s_or_b64 exec, exec, s[6:7]
	v_and_b32_e32 v4, 0x3fffffff, v8
	v_add_u32_e32 v7, v4, v7
	v_cmp_eq_u32_e64 s[0:1], s14, v0
	s_and_b64 s[6:7], exec, s[0:1]
	s_or_b64 s[4:5], s[6:7], s[4:5]
	s_andn2_b64 exec, exec, s[4:5]
	s_cbranch_execz .LBB1411_129
.LBB1411_124:                           ; =>This Loop Header: Depth=1
                                        ;     Child Loop BB1411_127 Depth 2
	s_or_b64 s[0:1], s[0:1], exec
	s_cmp_eq_u32 s15, 0
	s_cbranch_scc1 .LBB1411_128
; %bb.125:                              ;   in Loop: Header=BB1411_124 Depth=1
	s_add_i32 s15, s15, -1
	v_lshl_or_b32 v0, s15, 8, v10
	v_lshlrev_b64 v[4:5], 2, v[0:1]
	v_add_co_u32_e64 v4, s[0:1], s30, v4
	v_addc_co_u32_e64 v5, s[0:1], v6, v5, s[0:1]
	global_load_dword v8, v[4:5], off glc
	s_waitcnt vmcnt(0)
	v_and_b32_e32 v0, -2.0, v8
	v_cmp_eq_u32_e64 s[0:1], 0, v0
	s_and_saveexec_b64 s[6:7], s[0:1]
	s_cbranch_execz .LBB1411_123
; %bb.126:                              ;   in Loop: Header=BB1411_124 Depth=1
	s_mov_b64 s[8:9], 0
.LBB1411_127:                           ;   Parent Loop BB1411_124 Depth=1
                                        ; =>  This Inner Loop Header: Depth=2
	global_load_dword v8, v[4:5], off glc
	s_waitcnt vmcnt(0)
	v_and_b32_e32 v0, -2.0, v8
	v_cmp_ne_u32_e64 s[0:1], 0, v0
	s_or_b64 s[8:9], s[0:1], s[8:9]
	s_andn2_b64 exec, exec, s[8:9]
	s_cbranch_execnz .LBB1411_127
	s_branch .LBB1411_122
.LBB1411_128:                           ;   in Loop: Header=BB1411_124 Depth=1
                                        ; implicit-def: $sgpr15
	s_and_b64 s[6:7], exec, s[0:1]
	s_or_b64 s[4:5], s[6:7], s[4:5]
	s_andn2_b64 exec, exec, s[4:5]
	s_cbranch_execnz .LBB1411_124
.LBB1411_129:
	s_or_b64 exec, exec, s[4:5]
	v_add_u32_e32 v0, v7, v32
	v_or_b32_e32 v0, 0x80000000, v0
	global_store_dword v[2:3], v0, off
	global_load_dword v0, v44, s[44:45]
	v_mov_b32_e32 v11, 0
	v_sub_u32_e32 v1, v7, v31
	v_pk_mov_b32 v[8:9], v[10:11], v[10:11] op_sel:[0,1]
	s_waitcnt vmcnt(0)
	v_add_u32_e32 v0, v1, v0
	ds_write_b32 v44, v0
.LBB1411_130:
	s_or_b64 exec, exec, s[2:3]
	v_lshlrev_b32_e32 v0, 1, v8
	s_waitcnt lgkmcnt(0)
	s_barrier
	v_lshlrev_b32_e32 v11, 1, v10
	ds_read_u16 v1, v0 offset:1024
	ds_read_u16 v2, v11 offset:3072
	;; [unrolled: 1-line block ×5, first 2 shown]
	s_waitcnt lgkmcnt(4)
	v_lshrrev_b32_sdwa v0, s48, v1 dst_sel:DWORD dst_unused:UNUSED_PAD src0_sel:DWORD src1_sel:WORD_0
	v_and_b32_e32 v0, s17, v0
	v_lshlrev_b32_e32 v3, 2, v0
	ds_read_b32 v4, v3
	s_waitcnt lgkmcnt(3)
	v_lshrrev_b32_sdwa v3, s48, v29 dst_sel:DWORD dst_unused:UNUSED_PAD src0_sel:DWORD src1_sel:WORD_0
	v_and_b32_e32 v3, s17, v3
	s_waitcnt lgkmcnt(2)
	v_lshrrev_b32_sdwa v5, s48, v33 dst_sel:DWORD dst_unused:UNUSED_PAD src0_sel:DWORD src1_sel:WORD_0
	v_lshlrev_b32_e32 v6, 2, v3
	v_and_b32_e32 v5, s17, v5
	s_waitcnt lgkmcnt(0)
	v_add_u32_e32 v12, v4, v10
	v_mov_b32_e32 v13, 0
	v_lshlrev_b32_e32 v7, 2, v5
	ds_read_b32 v43, v6
	ds_read_b32 v46, v7
	v_lshrrev_b32_sdwa v6, s48, v36 dst_sel:DWORD dst_unused:UNUSED_PAD src0_sel:DWORD src1_sel:WORD_0
	v_lshlrev_b64 v[44:45], 1, v[12:13]
	v_and_b32_e32 v7, s17, v6
	v_mov_b32_e32 v4, s39
	v_add_co_u32_e64 v44, s[0:1], s38, v44
	v_lshlrev_b32_e32 v6, 2, v7
	v_addc_co_u32_e64 v45, s[0:1], v4, v45, s[0:1]
	v_xor_b32_e32 v1, 0xffff8000, v1
	ds_read_b32 v47, v6
	ds_read_u16 v48, v11 offset:5120
	ds_read_u16 v49, v11 offset:9216
	;; [unrolled: 1-line block ×3, first 2 shown]
	global_store_short v[44:45], v1, off
	v_lshrrev_b32_sdwa v1, s48, v2 dst_sel:DWORD dst_unused:UNUSED_PAD src0_sel:DWORD src1_sel:WORD_0
	v_and_b32_e32 v1, s17, v1
	v_lshlrev_b32_e32 v4, 2, v1
	ds_read_b32 v4, v4
	s_movk_i32 s2, 0x400
	v_xor_b32_e32 v2, 0xffff8000, v2
	v_mov_b32_e32 v53, s39
	v_lshlrev_b32_e32 v14, 3, v14
	s_waitcnt lgkmcnt(0)
	v_add3_u32 v12, v4, v10, s2
	v_lshlrev_b64 v[44:45], 1, v[12:13]
	v_mov_b32_e32 v4, s39
	v_add_co_u32_e64 v44, s[0:1], s38, v44
	v_addc_co_u32_e64 v45, s[0:1], v4, v45, s[0:1]
	global_store_short v[44:45], v2, off
	v_lshrrev_b32_sdwa v2, s48, v48 dst_sel:DWORD dst_unused:UNUSED_PAD src0_sel:DWORD src1_sel:WORD_0
	v_and_b32_e32 v2, s17, v2
	v_lshlrev_b32_e32 v4, 2, v2
	ds_read_b32 v12, v4
	v_lshrrev_b32_sdwa v4, s48, v49 dst_sel:DWORD dst_unused:UNUSED_PAD src0_sel:DWORD src1_sel:WORD_0
	v_and_b32_e32 v4, s17, v4
	v_lshlrev_b32_e32 v6, 2, v4
	ds_read_b32 v51, v6
	v_lshrrev_b32_sdwa v6, s48, v50 dst_sel:DWORD dst_unused:UNUSED_PAD src0_sel:DWORD src1_sel:WORD_0
	s_movk_i32 s0, 0x800
	v_and_b32_e32 v6, s17, v6
	v_lshlrev_b32_e32 v44, 2, v6
	s_waitcnt lgkmcnt(1)
	v_add3_u32 v12, v12, v10, s0
	ds_read_b32 v52, v44
	v_lshlrev_b64 v[44:45], 1, v[12:13]
	v_add_co_u32_e64 v44, s[0:1], s38, v44
	v_addc_co_u32_e64 v45, s[0:1], v53, v45, s[0:1]
	v_xor_b32_e32 v12, 0xffff8000, v48
	s_movk_i32 s0, 0xc00
	global_store_short v[44:45], v12, off
	v_add3_u32 v12, v43, v10, s0
	v_lshlrev_b64 v[44:45], 1, v[12:13]
	v_mov_b32_e32 v43, s39
	v_add_co_u32_e64 v44, s[0:1], s38, v44
	v_addc_co_u32_e64 v45, s[0:1], v43, v45, s[0:1]
	v_xor_b32_e32 v12, 0xffff8000, v29
	s_movk_i32 s0, 0x1000
	global_store_short v[44:45], v12, off
	s_waitcnt lgkmcnt(1)
	v_add3_u32 v12, v51, v10, s0
	v_lshlrev_b64 v[44:45], 1, v[12:13]
	v_mov_b32_e32 v29, s39
	v_add_co_u32_e64 v44, s[0:1], s38, v44
	v_addc_co_u32_e64 v45, s[0:1], v29, v45, s[0:1]
	v_xor_b32_e32 v12, 0xffff8000, v49
	s_movk_i32 s0, 0x1400
	global_store_short v[44:45], v12, off
	v_add3_u32 v12, v46, v10, s0
	v_lshlrev_b64 v[44:45], 1, v[12:13]
	v_add_co_u32_e64 v44, s[0:1], s38, v44
	v_addc_co_u32_e64 v45, s[0:1], v29, v45, s[0:1]
	v_xor_b32_e32 v12, 0xffff8000, v33
	s_movk_i32 s0, 0x1800
	global_store_short v[44:45], v12, off
	s_waitcnt lgkmcnt(0)
	v_add3_u32 v12, v52, v10, s0
	v_lshlrev_b64 v[44:45], 1, v[12:13]
	v_add_co_u32_e64 v44, s[0:1], s38, v44
	v_addc_co_u32_e64 v45, s[0:1], v29, v45, s[0:1]
	v_xor_b32_e32 v12, 0xffff8000, v50
	s_movk_i32 s0, 0x1c00
	global_store_short v[44:45], v12, off
	v_add3_u32 v12, v47, v10, s0
	v_lshlrev_b64 v[44:45], 1, v[12:13]
	v_add_co_u32_e64 v44, s[0:1], s38, v44
	v_addc_co_u32_e64 v45, s[0:1], v29, v45, s[0:1]
	s_lshl_b64 s[0:1], s[12:13], 3
	v_xor_b32_e32 v12, 0xffff8000, v36
	s_add_u32 s0, s40, s0
	global_store_short v[44:45], v12, off
	s_addc_u32 s1, s41, s1
	v_lshlrev_b32_e32 v12, 3, v15
	v_mov_b32_e32 v15, s1
	v_add_co_u32_e64 v12, s[0:1], s0, v12
	v_addc_co_u32_e64 v15, s[0:1], 0, v15, s[0:1]
	v_add3_u32 v33, v34, v42, v27
	v_add3_u32 v34, v25, v40, v24
	v_add_co_u32_e64 v40, s[0:1], v12, v14
	v_add3_u32 v30, v30, v41, v26
	v_addc_co_u32_e64 v41, s[0:1], 0, v15, s[0:1]
	v_add3_u32 v36, v23, v39, v22
	v_add3_u32 v38, v21, v38, v20
	;; [unrolled: 1-line block ×4, first 2 shown]
	global_load_dwordx2 v[14:15], v[40:41], off
	global_load_dwordx2 v[16:17], v[40:41], off offset:512
	global_load_dwordx2 v[18:19], v[40:41], off offset:1024
	;; [unrolled: 1-line block ×7, first 2 shown]
	v_add_u32_e32 v11, 0x400, v11
	v_mul_u32_u24_e32 v12, 6, v10
	v_add_u32_e32 v11, v11, v12
	s_mov_b32 s3, 1
	s_mov_b32 s4, 0
	v_lshlrev_b32_e32 v40, 3, v8
	s_barrier
	s_waitcnt vmcnt(0)
.LBB1411_131:                           ; =>This Inner Loop Header: Depth=1
	v_add_u32_e32 v12, s4, v35
	v_min_u32_e32 v12, 0x800, v12
	v_lshlrev_b32_e32 v12, 3, v12
	ds_write_b64 v12, v[14:15] offset:1024
	v_add_u32_e32 v12, s4, v37
	v_min_u32_e32 v12, 0x800, v12
	v_lshlrev_b32_e32 v12, 3, v12
	ds_write_b64 v12, v[16:17] offset:1024
	;; [unrolled: 4-line block ×7, first 2 shown]
	v_add_u32_e32 v12, s4, v33
	s_add_i32 s5, s3, -1
	v_min_u32_e32 v12, 0x800, v12
	s_cmp_eq_u32 s5, 1
	v_lshlrev_b32_e32 v12, 3, v12
	s_cselect_b64 s[0:1], -1, 0
	s_cmp_eq_u32 s5, 2
	ds_write_b64 v12, v[28:29] offset:1024
	v_cndmask_b32_e64 v12, v0, v1, s[0:1]
	s_cselect_b64 s[0:1], -1, 0
	s_cmp_eq_u32 s5, 3
	v_cndmask_b32_e64 v12, v12, v2, s[0:1]
	s_cselect_b64 s[0:1], -1, 0
	s_cmp_eq_u32 s5, 4
	;; [unrolled: 3-line block ×10, first 2 shown]
	v_lshlrev_b32_e32 v12, 2, v12
	v_cndmask_b32_e64 v41, v41, v4, s[0:1]
	s_cselect_b64 s[0:1], -1, 0
	s_cmp_eq_u32 s3, 6
	s_waitcnt lgkmcnt(0)
	s_barrier
	ds_read_b32 v12, v12
	v_cndmask_b32_e64 v41, v41, v5, s[0:1]
	s_cselect_b64 s[0:1], -1, 0
	s_cmp_eq_u32 s3, 7
	v_cndmask_b32_e64 v41, v41, v6, s[0:1]
	s_cselect_b64 s[0:1], -1, 0
	v_cndmask_b32_e64 v41, v41, v7, s[0:1]
	v_lshlrev_b32_e32 v41, 2, v41
	ds_read_b32 v41, v41
	ds_read_b64 v[42:43], v11 offset:8192
	ds_read_b64 v[46:47], v40 offset:1024
	s_waitcnt lgkmcnt(3)
	v_add_u32_e32 v12, v10, v12
	v_lshlrev_b64 v[44:45], 3, v[12:13]
	v_mov_b32_e32 v48, s43
	v_add_co_u32_e64 v44, s[0:1], s42, v44
	v_addc_co_u32_e64 v45, s[0:1], v48, v45, s[0:1]
	s_waitcnt lgkmcnt(2)
	v_add3_u32 v12, v10, v41, s2
	s_waitcnt lgkmcnt(0)
	global_store_dwordx2 v[44:45], v[46:47], off
	v_lshlrev_b64 v[44:45], 3, v[12:13]
	v_add_co_u32_e64 v44, s[0:1], s42, v44
	s_addk_i32 s4, 0xf800
	s_add_i32 s3, s3, 2
	v_addc_co_u32_e64 v45, s[0:1], v48, v45, s[0:1]
	s_cmpk_lg_i32 s4, 0xe000
	v_add_u32_e32 v10, 0x800, v10
	global_store_dwordx2 v[44:45], v[42:43], off
	s_barrier
	s_cbranch_scc1 .LBB1411_131
; %bb.132:
	s_add_i32 s16, s16, -1
	s_cmp_eq_u32 s16, s33
	s_cselect_b64 s[0:1], -1, 0
	s_and_b64 s[2:3], vcc, s[0:1]
                                        ; implicit-def: $vgpr2
	s_and_saveexec_b64 s[0:1], s[2:3]
; %bb.133:
	v_add_u32_e32 v2, v31, v32
	s_or_b64 s[10:11], s[10:11], exec
; %bb.134:
	s_or_b64 exec, exec, s[0:1]
	v_mov_b32_e32 v10, v8
.LBB1411_135:
	s_and_saveexec_b64 s[0:1], s[10:11]
	s_cbranch_execnz .LBB1411_137
; %bb.136:
	s_endpgm
.LBB1411_137:
	v_lshlrev_b32_e32 v3, 2, v10
	ds_read_b32 v3, v3
	v_lshlrev_b64 v[0:1], 2, v[8:9]
	v_mov_b32_e32 v4, s47
	v_add_co_u32_e32 v0, vcc, s46, v0
	v_addc_co_u32_e32 v1, vcc, v4, v1, vcc
	s_waitcnt lgkmcnt(0)
	v_add_u32_e32 v2, v3, v2
	global_store_dword v[0:1], v2, off
	s_endpgm
.LBB1411_138:
	global_load_dwordx2 v[12:13], v[28:29], off
	s_or_b64 exec, exec, s[20:21]
                                        ; implicit-def: $vgpr14_vgpr15
	s_and_saveexec_b64 s[20:21], s[2:3]
	s_cbranch_execz .LBB1411_75
.LBB1411_139:
	global_load_dwordx2 v[14:15], v[28:29], off offset:512
	s_or_b64 exec, exec, s[20:21]
                                        ; implicit-def: $vgpr16_vgpr17
	s_and_saveexec_b64 s[2:3], s[26:27]
	s_cbranch_execz .LBB1411_76
.LBB1411_140:
	global_load_dwordx2 v[16:17], v[28:29], off offset:1024
	s_or_b64 exec, exec, s[2:3]
                                        ; implicit-def: $vgpr18_vgpr19
	s_and_saveexec_b64 s[2:3], s[8:9]
	s_cbranch_execz .LBB1411_77
.LBB1411_141:
	global_load_dwordx2 v[18:19], v[28:29], off offset:1536
	s_or_b64 exec, exec, s[2:3]
                                        ; implicit-def: $vgpr20_vgpr21
	s_and_saveexec_b64 s[2:3], s[10:11]
	s_cbranch_execz .LBB1411_78
.LBB1411_142:
	global_load_dwordx2 v[20:21], v[28:29], off offset:2048
	s_or_b64 exec, exec, s[2:3]
                                        ; implicit-def: $vgpr22_vgpr23
	s_and_saveexec_b64 s[2:3], s[12:13]
	s_cbranch_execz .LBB1411_79
.LBB1411_143:
	global_load_dwordx2 v[22:23], v[28:29], off offset:2560
	s_or_b64 exec, exec, s[2:3]
                                        ; implicit-def: $vgpr24_vgpr25
	s_and_saveexec_b64 s[2:3], s[14:15]
	s_cbranch_execz .LBB1411_80
.LBB1411_144:
	global_load_dwordx2 v[24:25], v[28:29], off offset:3072
	s_or_b64 exec, exec, s[2:3]
                                        ; implicit-def: $vgpr26_vgpr27
	s_and_saveexec_b64 s[2:3], s[16:17]
	s_cbranch_execnz .LBB1411_81
	s_branch .LBB1411_82
	.section	.rodata,"a",@progbits
	.p2align	6, 0x0
	.amdhsa_kernel _ZN7rocprim17ROCPRIM_400000_NS6detail17trampoline_kernelINS0_14default_configENS1_35radix_sort_onesweep_config_selectorIslEEZZNS1_29radix_sort_onesweep_iterationIS3_Lb0EPsS7_N6thrust23THRUST_200600_302600_NS10device_ptrIlEESB_jNS0_19identity_decomposerENS1_16block_id_wrapperIjLb1EEEEE10hipError_tT1_PNSt15iterator_traitsISG_E10value_typeET2_T3_PNSH_ISM_E10value_typeET4_T5_PSR_SS_PNS1_23onesweep_lookback_stateEbbT6_jjT7_P12ihipStream_tbENKUlT_T0_SG_SL_E_clIS7_S7_SB_PlEEDaSZ_S10_SG_SL_EUlSZ_E_NS1_11comp_targetILNS1_3genE4ELNS1_11target_archE910ELNS1_3gpuE8ELNS1_3repE0EEENS1_47radix_sort_onesweep_sort_config_static_selectorELNS0_4arch9wavefront6targetE1EEEvSG_
		.amdhsa_group_segment_fixed_size 20552
		.amdhsa_private_segment_fixed_size 0
		.amdhsa_kernarg_size 344
		.amdhsa_user_sgpr_count 6
		.amdhsa_user_sgpr_private_segment_buffer 1
		.amdhsa_user_sgpr_dispatch_ptr 0
		.amdhsa_user_sgpr_queue_ptr 0
		.amdhsa_user_sgpr_kernarg_segment_ptr 1
		.amdhsa_user_sgpr_dispatch_id 0
		.amdhsa_user_sgpr_flat_scratch_init 0
		.amdhsa_user_sgpr_kernarg_preload_length 0
		.amdhsa_user_sgpr_kernarg_preload_offset 0
		.amdhsa_user_sgpr_private_segment_size 0
		.amdhsa_uses_dynamic_stack 0
		.amdhsa_system_sgpr_private_segment_wavefront_offset 0
		.amdhsa_system_sgpr_workgroup_id_x 1
		.amdhsa_system_sgpr_workgroup_id_y 0
		.amdhsa_system_sgpr_workgroup_id_z 0
		.amdhsa_system_sgpr_workgroup_info 0
		.amdhsa_system_vgpr_workitem_id 2
		.amdhsa_next_free_vgpr 55
		.amdhsa_next_free_sgpr 56
		.amdhsa_accum_offset 56
		.amdhsa_reserve_vcc 1
		.amdhsa_reserve_flat_scratch 0
		.amdhsa_float_round_mode_32 0
		.amdhsa_float_round_mode_16_64 0
		.amdhsa_float_denorm_mode_32 3
		.amdhsa_float_denorm_mode_16_64 3
		.amdhsa_dx10_clamp 1
		.amdhsa_ieee_mode 1
		.amdhsa_fp16_overflow 0
		.amdhsa_tg_split 0
		.amdhsa_exception_fp_ieee_invalid_op 0
		.amdhsa_exception_fp_denorm_src 0
		.amdhsa_exception_fp_ieee_div_zero 0
		.amdhsa_exception_fp_ieee_overflow 0
		.amdhsa_exception_fp_ieee_underflow 0
		.amdhsa_exception_fp_ieee_inexact 0
		.amdhsa_exception_int_div_zero 0
	.end_amdhsa_kernel
	.section	.text._ZN7rocprim17ROCPRIM_400000_NS6detail17trampoline_kernelINS0_14default_configENS1_35radix_sort_onesweep_config_selectorIslEEZZNS1_29radix_sort_onesweep_iterationIS3_Lb0EPsS7_N6thrust23THRUST_200600_302600_NS10device_ptrIlEESB_jNS0_19identity_decomposerENS1_16block_id_wrapperIjLb1EEEEE10hipError_tT1_PNSt15iterator_traitsISG_E10value_typeET2_T3_PNSH_ISM_E10value_typeET4_T5_PSR_SS_PNS1_23onesweep_lookback_stateEbbT6_jjT7_P12ihipStream_tbENKUlT_T0_SG_SL_E_clIS7_S7_SB_PlEEDaSZ_S10_SG_SL_EUlSZ_E_NS1_11comp_targetILNS1_3genE4ELNS1_11target_archE910ELNS1_3gpuE8ELNS1_3repE0EEENS1_47radix_sort_onesweep_sort_config_static_selectorELNS0_4arch9wavefront6targetE1EEEvSG_,"axG",@progbits,_ZN7rocprim17ROCPRIM_400000_NS6detail17trampoline_kernelINS0_14default_configENS1_35radix_sort_onesweep_config_selectorIslEEZZNS1_29radix_sort_onesweep_iterationIS3_Lb0EPsS7_N6thrust23THRUST_200600_302600_NS10device_ptrIlEESB_jNS0_19identity_decomposerENS1_16block_id_wrapperIjLb1EEEEE10hipError_tT1_PNSt15iterator_traitsISG_E10value_typeET2_T3_PNSH_ISM_E10value_typeET4_T5_PSR_SS_PNS1_23onesweep_lookback_stateEbbT6_jjT7_P12ihipStream_tbENKUlT_T0_SG_SL_E_clIS7_S7_SB_PlEEDaSZ_S10_SG_SL_EUlSZ_E_NS1_11comp_targetILNS1_3genE4ELNS1_11target_archE910ELNS1_3gpuE8ELNS1_3repE0EEENS1_47radix_sort_onesweep_sort_config_static_selectorELNS0_4arch9wavefront6targetE1EEEvSG_,comdat
.Lfunc_end1411:
	.size	_ZN7rocprim17ROCPRIM_400000_NS6detail17trampoline_kernelINS0_14default_configENS1_35radix_sort_onesweep_config_selectorIslEEZZNS1_29radix_sort_onesweep_iterationIS3_Lb0EPsS7_N6thrust23THRUST_200600_302600_NS10device_ptrIlEESB_jNS0_19identity_decomposerENS1_16block_id_wrapperIjLb1EEEEE10hipError_tT1_PNSt15iterator_traitsISG_E10value_typeET2_T3_PNSH_ISM_E10value_typeET4_T5_PSR_SS_PNS1_23onesweep_lookback_stateEbbT6_jjT7_P12ihipStream_tbENKUlT_T0_SG_SL_E_clIS7_S7_SB_PlEEDaSZ_S10_SG_SL_EUlSZ_E_NS1_11comp_targetILNS1_3genE4ELNS1_11target_archE910ELNS1_3gpuE8ELNS1_3repE0EEENS1_47radix_sort_onesweep_sort_config_static_selectorELNS0_4arch9wavefront6targetE1EEEvSG_, .Lfunc_end1411-_ZN7rocprim17ROCPRIM_400000_NS6detail17trampoline_kernelINS0_14default_configENS1_35radix_sort_onesweep_config_selectorIslEEZZNS1_29radix_sort_onesweep_iterationIS3_Lb0EPsS7_N6thrust23THRUST_200600_302600_NS10device_ptrIlEESB_jNS0_19identity_decomposerENS1_16block_id_wrapperIjLb1EEEEE10hipError_tT1_PNSt15iterator_traitsISG_E10value_typeET2_T3_PNSH_ISM_E10value_typeET4_T5_PSR_SS_PNS1_23onesweep_lookback_stateEbbT6_jjT7_P12ihipStream_tbENKUlT_T0_SG_SL_E_clIS7_S7_SB_PlEEDaSZ_S10_SG_SL_EUlSZ_E_NS1_11comp_targetILNS1_3genE4ELNS1_11target_archE910ELNS1_3gpuE8ELNS1_3repE0EEENS1_47radix_sort_onesweep_sort_config_static_selectorELNS0_4arch9wavefront6targetE1EEEvSG_
                                        ; -- End function
	.section	.AMDGPU.csdata,"",@progbits
; Kernel info:
; codeLenInByte = 13768
; NumSgprs: 60
; NumVgprs: 55
; NumAgprs: 0
; TotalNumVgprs: 55
; ScratchSize: 0
; MemoryBound: 0
; FloatMode: 240
; IeeeMode: 1
; LDSByteSize: 20552 bytes/workgroup (compile time only)
; SGPRBlocks: 7
; VGPRBlocks: 6
; NumSGPRsForWavesPerEU: 60
; NumVGPRsForWavesPerEU: 55
; AccumOffset: 56
; Occupancy: 8
; WaveLimiterHint : 1
; COMPUTE_PGM_RSRC2:SCRATCH_EN: 0
; COMPUTE_PGM_RSRC2:USER_SGPR: 6
; COMPUTE_PGM_RSRC2:TRAP_HANDLER: 0
; COMPUTE_PGM_RSRC2:TGID_X_EN: 1
; COMPUTE_PGM_RSRC2:TGID_Y_EN: 0
; COMPUTE_PGM_RSRC2:TGID_Z_EN: 0
; COMPUTE_PGM_RSRC2:TIDIG_COMP_CNT: 2
; COMPUTE_PGM_RSRC3_GFX90A:ACCUM_OFFSET: 13
; COMPUTE_PGM_RSRC3_GFX90A:TG_SPLIT: 0
	.section	.text._ZN7rocprim17ROCPRIM_400000_NS6detail17trampoline_kernelINS0_14default_configENS1_35radix_sort_onesweep_config_selectorIslEEZZNS1_29radix_sort_onesweep_iterationIS3_Lb0EPsS7_N6thrust23THRUST_200600_302600_NS10device_ptrIlEESB_jNS0_19identity_decomposerENS1_16block_id_wrapperIjLb1EEEEE10hipError_tT1_PNSt15iterator_traitsISG_E10value_typeET2_T3_PNSH_ISM_E10value_typeET4_T5_PSR_SS_PNS1_23onesweep_lookback_stateEbbT6_jjT7_P12ihipStream_tbENKUlT_T0_SG_SL_E_clIS7_S7_SB_PlEEDaSZ_S10_SG_SL_EUlSZ_E_NS1_11comp_targetILNS1_3genE3ELNS1_11target_archE908ELNS1_3gpuE7ELNS1_3repE0EEENS1_47radix_sort_onesweep_sort_config_static_selectorELNS0_4arch9wavefront6targetE1EEEvSG_,"axG",@progbits,_ZN7rocprim17ROCPRIM_400000_NS6detail17trampoline_kernelINS0_14default_configENS1_35radix_sort_onesweep_config_selectorIslEEZZNS1_29radix_sort_onesweep_iterationIS3_Lb0EPsS7_N6thrust23THRUST_200600_302600_NS10device_ptrIlEESB_jNS0_19identity_decomposerENS1_16block_id_wrapperIjLb1EEEEE10hipError_tT1_PNSt15iterator_traitsISG_E10value_typeET2_T3_PNSH_ISM_E10value_typeET4_T5_PSR_SS_PNS1_23onesweep_lookback_stateEbbT6_jjT7_P12ihipStream_tbENKUlT_T0_SG_SL_E_clIS7_S7_SB_PlEEDaSZ_S10_SG_SL_EUlSZ_E_NS1_11comp_targetILNS1_3genE3ELNS1_11target_archE908ELNS1_3gpuE7ELNS1_3repE0EEENS1_47radix_sort_onesweep_sort_config_static_selectorELNS0_4arch9wavefront6targetE1EEEvSG_,comdat
	.protected	_ZN7rocprim17ROCPRIM_400000_NS6detail17trampoline_kernelINS0_14default_configENS1_35radix_sort_onesweep_config_selectorIslEEZZNS1_29radix_sort_onesweep_iterationIS3_Lb0EPsS7_N6thrust23THRUST_200600_302600_NS10device_ptrIlEESB_jNS0_19identity_decomposerENS1_16block_id_wrapperIjLb1EEEEE10hipError_tT1_PNSt15iterator_traitsISG_E10value_typeET2_T3_PNSH_ISM_E10value_typeET4_T5_PSR_SS_PNS1_23onesweep_lookback_stateEbbT6_jjT7_P12ihipStream_tbENKUlT_T0_SG_SL_E_clIS7_S7_SB_PlEEDaSZ_S10_SG_SL_EUlSZ_E_NS1_11comp_targetILNS1_3genE3ELNS1_11target_archE908ELNS1_3gpuE7ELNS1_3repE0EEENS1_47radix_sort_onesweep_sort_config_static_selectorELNS0_4arch9wavefront6targetE1EEEvSG_ ; -- Begin function _ZN7rocprim17ROCPRIM_400000_NS6detail17trampoline_kernelINS0_14default_configENS1_35radix_sort_onesweep_config_selectorIslEEZZNS1_29radix_sort_onesweep_iterationIS3_Lb0EPsS7_N6thrust23THRUST_200600_302600_NS10device_ptrIlEESB_jNS0_19identity_decomposerENS1_16block_id_wrapperIjLb1EEEEE10hipError_tT1_PNSt15iterator_traitsISG_E10value_typeET2_T3_PNSH_ISM_E10value_typeET4_T5_PSR_SS_PNS1_23onesweep_lookback_stateEbbT6_jjT7_P12ihipStream_tbENKUlT_T0_SG_SL_E_clIS7_S7_SB_PlEEDaSZ_S10_SG_SL_EUlSZ_E_NS1_11comp_targetILNS1_3genE3ELNS1_11target_archE908ELNS1_3gpuE7ELNS1_3repE0EEENS1_47radix_sort_onesweep_sort_config_static_selectorELNS0_4arch9wavefront6targetE1EEEvSG_
	.globl	_ZN7rocprim17ROCPRIM_400000_NS6detail17trampoline_kernelINS0_14default_configENS1_35radix_sort_onesweep_config_selectorIslEEZZNS1_29radix_sort_onesweep_iterationIS3_Lb0EPsS7_N6thrust23THRUST_200600_302600_NS10device_ptrIlEESB_jNS0_19identity_decomposerENS1_16block_id_wrapperIjLb1EEEEE10hipError_tT1_PNSt15iterator_traitsISG_E10value_typeET2_T3_PNSH_ISM_E10value_typeET4_T5_PSR_SS_PNS1_23onesweep_lookback_stateEbbT6_jjT7_P12ihipStream_tbENKUlT_T0_SG_SL_E_clIS7_S7_SB_PlEEDaSZ_S10_SG_SL_EUlSZ_E_NS1_11comp_targetILNS1_3genE3ELNS1_11target_archE908ELNS1_3gpuE7ELNS1_3repE0EEENS1_47radix_sort_onesweep_sort_config_static_selectorELNS0_4arch9wavefront6targetE1EEEvSG_
	.p2align	8
	.type	_ZN7rocprim17ROCPRIM_400000_NS6detail17trampoline_kernelINS0_14default_configENS1_35radix_sort_onesweep_config_selectorIslEEZZNS1_29radix_sort_onesweep_iterationIS3_Lb0EPsS7_N6thrust23THRUST_200600_302600_NS10device_ptrIlEESB_jNS0_19identity_decomposerENS1_16block_id_wrapperIjLb1EEEEE10hipError_tT1_PNSt15iterator_traitsISG_E10value_typeET2_T3_PNSH_ISM_E10value_typeET4_T5_PSR_SS_PNS1_23onesweep_lookback_stateEbbT6_jjT7_P12ihipStream_tbENKUlT_T0_SG_SL_E_clIS7_S7_SB_PlEEDaSZ_S10_SG_SL_EUlSZ_E_NS1_11comp_targetILNS1_3genE3ELNS1_11target_archE908ELNS1_3gpuE7ELNS1_3repE0EEENS1_47radix_sort_onesweep_sort_config_static_selectorELNS0_4arch9wavefront6targetE1EEEvSG_,@function
_ZN7rocprim17ROCPRIM_400000_NS6detail17trampoline_kernelINS0_14default_configENS1_35radix_sort_onesweep_config_selectorIslEEZZNS1_29radix_sort_onesweep_iterationIS3_Lb0EPsS7_N6thrust23THRUST_200600_302600_NS10device_ptrIlEESB_jNS0_19identity_decomposerENS1_16block_id_wrapperIjLb1EEEEE10hipError_tT1_PNSt15iterator_traitsISG_E10value_typeET2_T3_PNSH_ISM_E10value_typeET4_T5_PSR_SS_PNS1_23onesweep_lookback_stateEbbT6_jjT7_P12ihipStream_tbENKUlT_T0_SG_SL_E_clIS7_S7_SB_PlEEDaSZ_S10_SG_SL_EUlSZ_E_NS1_11comp_targetILNS1_3genE3ELNS1_11target_archE908ELNS1_3gpuE7ELNS1_3repE0EEENS1_47radix_sort_onesweep_sort_config_static_selectorELNS0_4arch9wavefront6targetE1EEEvSG_: ; @_ZN7rocprim17ROCPRIM_400000_NS6detail17trampoline_kernelINS0_14default_configENS1_35radix_sort_onesweep_config_selectorIslEEZZNS1_29radix_sort_onesweep_iterationIS3_Lb0EPsS7_N6thrust23THRUST_200600_302600_NS10device_ptrIlEESB_jNS0_19identity_decomposerENS1_16block_id_wrapperIjLb1EEEEE10hipError_tT1_PNSt15iterator_traitsISG_E10value_typeET2_T3_PNSH_ISM_E10value_typeET4_T5_PSR_SS_PNS1_23onesweep_lookback_stateEbbT6_jjT7_P12ihipStream_tbENKUlT_T0_SG_SL_E_clIS7_S7_SB_PlEEDaSZ_S10_SG_SL_EUlSZ_E_NS1_11comp_targetILNS1_3genE3ELNS1_11target_archE908ELNS1_3gpuE7ELNS1_3repE0EEENS1_47radix_sort_onesweep_sort_config_static_selectorELNS0_4arch9wavefront6targetE1EEEvSG_
; %bb.0:
	.section	.rodata,"a",@progbits
	.p2align	6, 0x0
	.amdhsa_kernel _ZN7rocprim17ROCPRIM_400000_NS6detail17trampoline_kernelINS0_14default_configENS1_35radix_sort_onesweep_config_selectorIslEEZZNS1_29radix_sort_onesweep_iterationIS3_Lb0EPsS7_N6thrust23THRUST_200600_302600_NS10device_ptrIlEESB_jNS0_19identity_decomposerENS1_16block_id_wrapperIjLb1EEEEE10hipError_tT1_PNSt15iterator_traitsISG_E10value_typeET2_T3_PNSH_ISM_E10value_typeET4_T5_PSR_SS_PNS1_23onesweep_lookback_stateEbbT6_jjT7_P12ihipStream_tbENKUlT_T0_SG_SL_E_clIS7_S7_SB_PlEEDaSZ_S10_SG_SL_EUlSZ_E_NS1_11comp_targetILNS1_3genE3ELNS1_11target_archE908ELNS1_3gpuE7ELNS1_3repE0EEENS1_47radix_sort_onesweep_sort_config_static_selectorELNS0_4arch9wavefront6targetE1EEEvSG_
		.amdhsa_group_segment_fixed_size 0
		.amdhsa_private_segment_fixed_size 0
		.amdhsa_kernarg_size 88
		.amdhsa_user_sgpr_count 6
		.amdhsa_user_sgpr_private_segment_buffer 1
		.amdhsa_user_sgpr_dispatch_ptr 0
		.amdhsa_user_sgpr_queue_ptr 0
		.amdhsa_user_sgpr_kernarg_segment_ptr 1
		.amdhsa_user_sgpr_dispatch_id 0
		.amdhsa_user_sgpr_flat_scratch_init 0
		.amdhsa_user_sgpr_kernarg_preload_length 0
		.amdhsa_user_sgpr_kernarg_preload_offset 0
		.amdhsa_user_sgpr_private_segment_size 0
		.amdhsa_uses_dynamic_stack 0
		.amdhsa_system_sgpr_private_segment_wavefront_offset 0
		.amdhsa_system_sgpr_workgroup_id_x 1
		.amdhsa_system_sgpr_workgroup_id_y 0
		.amdhsa_system_sgpr_workgroup_id_z 0
		.amdhsa_system_sgpr_workgroup_info 0
		.amdhsa_system_vgpr_workitem_id 0
		.amdhsa_next_free_vgpr 1
		.amdhsa_next_free_sgpr 0
		.amdhsa_accum_offset 4
		.amdhsa_reserve_vcc 0
		.amdhsa_reserve_flat_scratch 0
		.amdhsa_float_round_mode_32 0
		.amdhsa_float_round_mode_16_64 0
		.amdhsa_float_denorm_mode_32 3
		.amdhsa_float_denorm_mode_16_64 3
		.amdhsa_dx10_clamp 1
		.amdhsa_ieee_mode 1
		.amdhsa_fp16_overflow 0
		.amdhsa_tg_split 0
		.amdhsa_exception_fp_ieee_invalid_op 0
		.amdhsa_exception_fp_denorm_src 0
		.amdhsa_exception_fp_ieee_div_zero 0
		.amdhsa_exception_fp_ieee_overflow 0
		.amdhsa_exception_fp_ieee_underflow 0
		.amdhsa_exception_fp_ieee_inexact 0
		.amdhsa_exception_int_div_zero 0
	.end_amdhsa_kernel
	.section	.text._ZN7rocprim17ROCPRIM_400000_NS6detail17trampoline_kernelINS0_14default_configENS1_35radix_sort_onesweep_config_selectorIslEEZZNS1_29radix_sort_onesweep_iterationIS3_Lb0EPsS7_N6thrust23THRUST_200600_302600_NS10device_ptrIlEESB_jNS0_19identity_decomposerENS1_16block_id_wrapperIjLb1EEEEE10hipError_tT1_PNSt15iterator_traitsISG_E10value_typeET2_T3_PNSH_ISM_E10value_typeET4_T5_PSR_SS_PNS1_23onesweep_lookback_stateEbbT6_jjT7_P12ihipStream_tbENKUlT_T0_SG_SL_E_clIS7_S7_SB_PlEEDaSZ_S10_SG_SL_EUlSZ_E_NS1_11comp_targetILNS1_3genE3ELNS1_11target_archE908ELNS1_3gpuE7ELNS1_3repE0EEENS1_47radix_sort_onesweep_sort_config_static_selectorELNS0_4arch9wavefront6targetE1EEEvSG_,"axG",@progbits,_ZN7rocprim17ROCPRIM_400000_NS6detail17trampoline_kernelINS0_14default_configENS1_35radix_sort_onesweep_config_selectorIslEEZZNS1_29radix_sort_onesweep_iterationIS3_Lb0EPsS7_N6thrust23THRUST_200600_302600_NS10device_ptrIlEESB_jNS0_19identity_decomposerENS1_16block_id_wrapperIjLb1EEEEE10hipError_tT1_PNSt15iterator_traitsISG_E10value_typeET2_T3_PNSH_ISM_E10value_typeET4_T5_PSR_SS_PNS1_23onesweep_lookback_stateEbbT6_jjT7_P12ihipStream_tbENKUlT_T0_SG_SL_E_clIS7_S7_SB_PlEEDaSZ_S10_SG_SL_EUlSZ_E_NS1_11comp_targetILNS1_3genE3ELNS1_11target_archE908ELNS1_3gpuE7ELNS1_3repE0EEENS1_47radix_sort_onesweep_sort_config_static_selectorELNS0_4arch9wavefront6targetE1EEEvSG_,comdat
.Lfunc_end1412:
	.size	_ZN7rocprim17ROCPRIM_400000_NS6detail17trampoline_kernelINS0_14default_configENS1_35radix_sort_onesweep_config_selectorIslEEZZNS1_29radix_sort_onesweep_iterationIS3_Lb0EPsS7_N6thrust23THRUST_200600_302600_NS10device_ptrIlEESB_jNS0_19identity_decomposerENS1_16block_id_wrapperIjLb1EEEEE10hipError_tT1_PNSt15iterator_traitsISG_E10value_typeET2_T3_PNSH_ISM_E10value_typeET4_T5_PSR_SS_PNS1_23onesweep_lookback_stateEbbT6_jjT7_P12ihipStream_tbENKUlT_T0_SG_SL_E_clIS7_S7_SB_PlEEDaSZ_S10_SG_SL_EUlSZ_E_NS1_11comp_targetILNS1_3genE3ELNS1_11target_archE908ELNS1_3gpuE7ELNS1_3repE0EEENS1_47radix_sort_onesweep_sort_config_static_selectorELNS0_4arch9wavefront6targetE1EEEvSG_, .Lfunc_end1412-_ZN7rocprim17ROCPRIM_400000_NS6detail17trampoline_kernelINS0_14default_configENS1_35radix_sort_onesweep_config_selectorIslEEZZNS1_29radix_sort_onesweep_iterationIS3_Lb0EPsS7_N6thrust23THRUST_200600_302600_NS10device_ptrIlEESB_jNS0_19identity_decomposerENS1_16block_id_wrapperIjLb1EEEEE10hipError_tT1_PNSt15iterator_traitsISG_E10value_typeET2_T3_PNSH_ISM_E10value_typeET4_T5_PSR_SS_PNS1_23onesweep_lookback_stateEbbT6_jjT7_P12ihipStream_tbENKUlT_T0_SG_SL_E_clIS7_S7_SB_PlEEDaSZ_S10_SG_SL_EUlSZ_E_NS1_11comp_targetILNS1_3genE3ELNS1_11target_archE908ELNS1_3gpuE7ELNS1_3repE0EEENS1_47radix_sort_onesweep_sort_config_static_selectorELNS0_4arch9wavefront6targetE1EEEvSG_
                                        ; -- End function
	.section	.AMDGPU.csdata,"",@progbits
; Kernel info:
; codeLenInByte = 0
; NumSgprs: 4
; NumVgprs: 0
; NumAgprs: 0
; TotalNumVgprs: 0
; ScratchSize: 0
; MemoryBound: 0
; FloatMode: 240
; IeeeMode: 1
; LDSByteSize: 0 bytes/workgroup (compile time only)
; SGPRBlocks: 0
; VGPRBlocks: 0
; NumSGPRsForWavesPerEU: 4
; NumVGPRsForWavesPerEU: 1
; AccumOffset: 4
; Occupancy: 8
; WaveLimiterHint : 0
; COMPUTE_PGM_RSRC2:SCRATCH_EN: 0
; COMPUTE_PGM_RSRC2:USER_SGPR: 6
; COMPUTE_PGM_RSRC2:TRAP_HANDLER: 0
; COMPUTE_PGM_RSRC2:TGID_X_EN: 1
; COMPUTE_PGM_RSRC2:TGID_Y_EN: 0
; COMPUTE_PGM_RSRC2:TGID_Z_EN: 0
; COMPUTE_PGM_RSRC2:TIDIG_COMP_CNT: 0
; COMPUTE_PGM_RSRC3_GFX90A:ACCUM_OFFSET: 0
; COMPUTE_PGM_RSRC3_GFX90A:TG_SPLIT: 0
	.section	.text._ZN7rocprim17ROCPRIM_400000_NS6detail17trampoline_kernelINS0_14default_configENS1_35radix_sort_onesweep_config_selectorIslEEZZNS1_29radix_sort_onesweep_iterationIS3_Lb0EPsS7_N6thrust23THRUST_200600_302600_NS10device_ptrIlEESB_jNS0_19identity_decomposerENS1_16block_id_wrapperIjLb1EEEEE10hipError_tT1_PNSt15iterator_traitsISG_E10value_typeET2_T3_PNSH_ISM_E10value_typeET4_T5_PSR_SS_PNS1_23onesweep_lookback_stateEbbT6_jjT7_P12ihipStream_tbENKUlT_T0_SG_SL_E_clIS7_S7_SB_PlEEDaSZ_S10_SG_SL_EUlSZ_E_NS1_11comp_targetILNS1_3genE10ELNS1_11target_archE1201ELNS1_3gpuE5ELNS1_3repE0EEENS1_47radix_sort_onesweep_sort_config_static_selectorELNS0_4arch9wavefront6targetE1EEEvSG_,"axG",@progbits,_ZN7rocprim17ROCPRIM_400000_NS6detail17trampoline_kernelINS0_14default_configENS1_35radix_sort_onesweep_config_selectorIslEEZZNS1_29radix_sort_onesweep_iterationIS3_Lb0EPsS7_N6thrust23THRUST_200600_302600_NS10device_ptrIlEESB_jNS0_19identity_decomposerENS1_16block_id_wrapperIjLb1EEEEE10hipError_tT1_PNSt15iterator_traitsISG_E10value_typeET2_T3_PNSH_ISM_E10value_typeET4_T5_PSR_SS_PNS1_23onesweep_lookback_stateEbbT6_jjT7_P12ihipStream_tbENKUlT_T0_SG_SL_E_clIS7_S7_SB_PlEEDaSZ_S10_SG_SL_EUlSZ_E_NS1_11comp_targetILNS1_3genE10ELNS1_11target_archE1201ELNS1_3gpuE5ELNS1_3repE0EEENS1_47radix_sort_onesweep_sort_config_static_selectorELNS0_4arch9wavefront6targetE1EEEvSG_,comdat
	.protected	_ZN7rocprim17ROCPRIM_400000_NS6detail17trampoline_kernelINS0_14default_configENS1_35radix_sort_onesweep_config_selectorIslEEZZNS1_29radix_sort_onesweep_iterationIS3_Lb0EPsS7_N6thrust23THRUST_200600_302600_NS10device_ptrIlEESB_jNS0_19identity_decomposerENS1_16block_id_wrapperIjLb1EEEEE10hipError_tT1_PNSt15iterator_traitsISG_E10value_typeET2_T3_PNSH_ISM_E10value_typeET4_T5_PSR_SS_PNS1_23onesweep_lookback_stateEbbT6_jjT7_P12ihipStream_tbENKUlT_T0_SG_SL_E_clIS7_S7_SB_PlEEDaSZ_S10_SG_SL_EUlSZ_E_NS1_11comp_targetILNS1_3genE10ELNS1_11target_archE1201ELNS1_3gpuE5ELNS1_3repE0EEENS1_47radix_sort_onesweep_sort_config_static_selectorELNS0_4arch9wavefront6targetE1EEEvSG_ ; -- Begin function _ZN7rocprim17ROCPRIM_400000_NS6detail17trampoline_kernelINS0_14default_configENS1_35radix_sort_onesweep_config_selectorIslEEZZNS1_29radix_sort_onesweep_iterationIS3_Lb0EPsS7_N6thrust23THRUST_200600_302600_NS10device_ptrIlEESB_jNS0_19identity_decomposerENS1_16block_id_wrapperIjLb1EEEEE10hipError_tT1_PNSt15iterator_traitsISG_E10value_typeET2_T3_PNSH_ISM_E10value_typeET4_T5_PSR_SS_PNS1_23onesweep_lookback_stateEbbT6_jjT7_P12ihipStream_tbENKUlT_T0_SG_SL_E_clIS7_S7_SB_PlEEDaSZ_S10_SG_SL_EUlSZ_E_NS1_11comp_targetILNS1_3genE10ELNS1_11target_archE1201ELNS1_3gpuE5ELNS1_3repE0EEENS1_47radix_sort_onesweep_sort_config_static_selectorELNS0_4arch9wavefront6targetE1EEEvSG_
	.globl	_ZN7rocprim17ROCPRIM_400000_NS6detail17trampoline_kernelINS0_14default_configENS1_35radix_sort_onesweep_config_selectorIslEEZZNS1_29radix_sort_onesweep_iterationIS3_Lb0EPsS7_N6thrust23THRUST_200600_302600_NS10device_ptrIlEESB_jNS0_19identity_decomposerENS1_16block_id_wrapperIjLb1EEEEE10hipError_tT1_PNSt15iterator_traitsISG_E10value_typeET2_T3_PNSH_ISM_E10value_typeET4_T5_PSR_SS_PNS1_23onesweep_lookback_stateEbbT6_jjT7_P12ihipStream_tbENKUlT_T0_SG_SL_E_clIS7_S7_SB_PlEEDaSZ_S10_SG_SL_EUlSZ_E_NS1_11comp_targetILNS1_3genE10ELNS1_11target_archE1201ELNS1_3gpuE5ELNS1_3repE0EEENS1_47radix_sort_onesweep_sort_config_static_selectorELNS0_4arch9wavefront6targetE1EEEvSG_
	.p2align	8
	.type	_ZN7rocprim17ROCPRIM_400000_NS6detail17trampoline_kernelINS0_14default_configENS1_35radix_sort_onesweep_config_selectorIslEEZZNS1_29radix_sort_onesweep_iterationIS3_Lb0EPsS7_N6thrust23THRUST_200600_302600_NS10device_ptrIlEESB_jNS0_19identity_decomposerENS1_16block_id_wrapperIjLb1EEEEE10hipError_tT1_PNSt15iterator_traitsISG_E10value_typeET2_T3_PNSH_ISM_E10value_typeET4_T5_PSR_SS_PNS1_23onesweep_lookback_stateEbbT6_jjT7_P12ihipStream_tbENKUlT_T0_SG_SL_E_clIS7_S7_SB_PlEEDaSZ_S10_SG_SL_EUlSZ_E_NS1_11comp_targetILNS1_3genE10ELNS1_11target_archE1201ELNS1_3gpuE5ELNS1_3repE0EEENS1_47radix_sort_onesweep_sort_config_static_selectorELNS0_4arch9wavefront6targetE1EEEvSG_,@function
_ZN7rocprim17ROCPRIM_400000_NS6detail17trampoline_kernelINS0_14default_configENS1_35radix_sort_onesweep_config_selectorIslEEZZNS1_29radix_sort_onesweep_iterationIS3_Lb0EPsS7_N6thrust23THRUST_200600_302600_NS10device_ptrIlEESB_jNS0_19identity_decomposerENS1_16block_id_wrapperIjLb1EEEEE10hipError_tT1_PNSt15iterator_traitsISG_E10value_typeET2_T3_PNSH_ISM_E10value_typeET4_T5_PSR_SS_PNS1_23onesweep_lookback_stateEbbT6_jjT7_P12ihipStream_tbENKUlT_T0_SG_SL_E_clIS7_S7_SB_PlEEDaSZ_S10_SG_SL_EUlSZ_E_NS1_11comp_targetILNS1_3genE10ELNS1_11target_archE1201ELNS1_3gpuE5ELNS1_3repE0EEENS1_47radix_sort_onesweep_sort_config_static_selectorELNS0_4arch9wavefront6targetE1EEEvSG_: ; @_ZN7rocprim17ROCPRIM_400000_NS6detail17trampoline_kernelINS0_14default_configENS1_35radix_sort_onesweep_config_selectorIslEEZZNS1_29radix_sort_onesweep_iterationIS3_Lb0EPsS7_N6thrust23THRUST_200600_302600_NS10device_ptrIlEESB_jNS0_19identity_decomposerENS1_16block_id_wrapperIjLb1EEEEE10hipError_tT1_PNSt15iterator_traitsISG_E10value_typeET2_T3_PNSH_ISM_E10value_typeET4_T5_PSR_SS_PNS1_23onesweep_lookback_stateEbbT6_jjT7_P12ihipStream_tbENKUlT_T0_SG_SL_E_clIS7_S7_SB_PlEEDaSZ_S10_SG_SL_EUlSZ_E_NS1_11comp_targetILNS1_3genE10ELNS1_11target_archE1201ELNS1_3gpuE5ELNS1_3repE0EEENS1_47radix_sort_onesweep_sort_config_static_selectorELNS0_4arch9wavefront6targetE1EEEvSG_
; %bb.0:
	.section	.rodata,"a",@progbits
	.p2align	6, 0x0
	.amdhsa_kernel _ZN7rocprim17ROCPRIM_400000_NS6detail17trampoline_kernelINS0_14default_configENS1_35radix_sort_onesweep_config_selectorIslEEZZNS1_29radix_sort_onesweep_iterationIS3_Lb0EPsS7_N6thrust23THRUST_200600_302600_NS10device_ptrIlEESB_jNS0_19identity_decomposerENS1_16block_id_wrapperIjLb1EEEEE10hipError_tT1_PNSt15iterator_traitsISG_E10value_typeET2_T3_PNSH_ISM_E10value_typeET4_T5_PSR_SS_PNS1_23onesweep_lookback_stateEbbT6_jjT7_P12ihipStream_tbENKUlT_T0_SG_SL_E_clIS7_S7_SB_PlEEDaSZ_S10_SG_SL_EUlSZ_E_NS1_11comp_targetILNS1_3genE10ELNS1_11target_archE1201ELNS1_3gpuE5ELNS1_3repE0EEENS1_47radix_sort_onesweep_sort_config_static_selectorELNS0_4arch9wavefront6targetE1EEEvSG_
		.amdhsa_group_segment_fixed_size 0
		.amdhsa_private_segment_fixed_size 0
		.amdhsa_kernarg_size 88
		.amdhsa_user_sgpr_count 6
		.amdhsa_user_sgpr_private_segment_buffer 1
		.amdhsa_user_sgpr_dispatch_ptr 0
		.amdhsa_user_sgpr_queue_ptr 0
		.amdhsa_user_sgpr_kernarg_segment_ptr 1
		.amdhsa_user_sgpr_dispatch_id 0
		.amdhsa_user_sgpr_flat_scratch_init 0
		.amdhsa_user_sgpr_kernarg_preload_length 0
		.amdhsa_user_sgpr_kernarg_preload_offset 0
		.amdhsa_user_sgpr_private_segment_size 0
		.amdhsa_uses_dynamic_stack 0
		.amdhsa_system_sgpr_private_segment_wavefront_offset 0
		.amdhsa_system_sgpr_workgroup_id_x 1
		.amdhsa_system_sgpr_workgroup_id_y 0
		.amdhsa_system_sgpr_workgroup_id_z 0
		.amdhsa_system_sgpr_workgroup_info 0
		.amdhsa_system_vgpr_workitem_id 0
		.amdhsa_next_free_vgpr 1
		.amdhsa_next_free_sgpr 0
		.amdhsa_accum_offset 4
		.amdhsa_reserve_vcc 0
		.amdhsa_reserve_flat_scratch 0
		.amdhsa_float_round_mode_32 0
		.amdhsa_float_round_mode_16_64 0
		.amdhsa_float_denorm_mode_32 3
		.amdhsa_float_denorm_mode_16_64 3
		.amdhsa_dx10_clamp 1
		.amdhsa_ieee_mode 1
		.amdhsa_fp16_overflow 0
		.amdhsa_tg_split 0
		.amdhsa_exception_fp_ieee_invalid_op 0
		.amdhsa_exception_fp_denorm_src 0
		.amdhsa_exception_fp_ieee_div_zero 0
		.amdhsa_exception_fp_ieee_overflow 0
		.amdhsa_exception_fp_ieee_underflow 0
		.amdhsa_exception_fp_ieee_inexact 0
		.amdhsa_exception_int_div_zero 0
	.end_amdhsa_kernel
	.section	.text._ZN7rocprim17ROCPRIM_400000_NS6detail17trampoline_kernelINS0_14default_configENS1_35radix_sort_onesweep_config_selectorIslEEZZNS1_29radix_sort_onesweep_iterationIS3_Lb0EPsS7_N6thrust23THRUST_200600_302600_NS10device_ptrIlEESB_jNS0_19identity_decomposerENS1_16block_id_wrapperIjLb1EEEEE10hipError_tT1_PNSt15iterator_traitsISG_E10value_typeET2_T3_PNSH_ISM_E10value_typeET4_T5_PSR_SS_PNS1_23onesweep_lookback_stateEbbT6_jjT7_P12ihipStream_tbENKUlT_T0_SG_SL_E_clIS7_S7_SB_PlEEDaSZ_S10_SG_SL_EUlSZ_E_NS1_11comp_targetILNS1_3genE10ELNS1_11target_archE1201ELNS1_3gpuE5ELNS1_3repE0EEENS1_47radix_sort_onesweep_sort_config_static_selectorELNS0_4arch9wavefront6targetE1EEEvSG_,"axG",@progbits,_ZN7rocprim17ROCPRIM_400000_NS6detail17trampoline_kernelINS0_14default_configENS1_35radix_sort_onesweep_config_selectorIslEEZZNS1_29radix_sort_onesweep_iterationIS3_Lb0EPsS7_N6thrust23THRUST_200600_302600_NS10device_ptrIlEESB_jNS0_19identity_decomposerENS1_16block_id_wrapperIjLb1EEEEE10hipError_tT1_PNSt15iterator_traitsISG_E10value_typeET2_T3_PNSH_ISM_E10value_typeET4_T5_PSR_SS_PNS1_23onesweep_lookback_stateEbbT6_jjT7_P12ihipStream_tbENKUlT_T0_SG_SL_E_clIS7_S7_SB_PlEEDaSZ_S10_SG_SL_EUlSZ_E_NS1_11comp_targetILNS1_3genE10ELNS1_11target_archE1201ELNS1_3gpuE5ELNS1_3repE0EEENS1_47radix_sort_onesweep_sort_config_static_selectorELNS0_4arch9wavefront6targetE1EEEvSG_,comdat
.Lfunc_end1413:
	.size	_ZN7rocprim17ROCPRIM_400000_NS6detail17trampoline_kernelINS0_14default_configENS1_35radix_sort_onesweep_config_selectorIslEEZZNS1_29radix_sort_onesweep_iterationIS3_Lb0EPsS7_N6thrust23THRUST_200600_302600_NS10device_ptrIlEESB_jNS0_19identity_decomposerENS1_16block_id_wrapperIjLb1EEEEE10hipError_tT1_PNSt15iterator_traitsISG_E10value_typeET2_T3_PNSH_ISM_E10value_typeET4_T5_PSR_SS_PNS1_23onesweep_lookback_stateEbbT6_jjT7_P12ihipStream_tbENKUlT_T0_SG_SL_E_clIS7_S7_SB_PlEEDaSZ_S10_SG_SL_EUlSZ_E_NS1_11comp_targetILNS1_3genE10ELNS1_11target_archE1201ELNS1_3gpuE5ELNS1_3repE0EEENS1_47radix_sort_onesweep_sort_config_static_selectorELNS0_4arch9wavefront6targetE1EEEvSG_, .Lfunc_end1413-_ZN7rocprim17ROCPRIM_400000_NS6detail17trampoline_kernelINS0_14default_configENS1_35radix_sort_onesweep_config_selectorIslEEZZNS1_29radix_sort_onesweep_iterationIS3_Lb0EPsS7_N6thrust23THRUST_200600_302600_NS10device_ptrIlEESB_jNS0_19identity_decomposerENS1_16block_id_wrapperIjLb1EEEEE10hipError_tT1_PNSt15iterator_traitsISG_E10value_typeET2_T3_PNSH_ISM_E10value_typeET4_T5_PSR_SS_PNS1_23onesweep_lookback_stateEbbT6_jjT7_P12ihipStream_tbENKUlT_T0_SG_SL_E_clIS7_S7_SB_PlEEDaSZ_S10_SG_SL_EUlSZ_E_NS1_11comp_targetILNS1_3genE10ELNS1_11target_archE1201ELNS1_3gpuE5ELNS1_3repE0EEENS1_47radix_sort_onesweep_sort_config_static_selectorELNS0_4arch9wavefront6targetE1EEEvSG_
                                        ; -- End function
	.section	.AMDGPU.csdata,"",@progbits
; Kernel info:
; codeLenInByte = 0
; NumSgprs: 4
; NumVgprs: 0
; NumAgprs: 0
; TotalNumVgprs: 0
; ScratchSize: 0
; MemoryBound: 0
; FloatMode: 240
; IeeeMode: 1
; LDSByteSize: 0 bytes/workgroup (compile time only)
; SGPRBlocks: 0
; VGPRBlocks: 0
; NumSGPRsForWavesPerEU: 4
; NumVGPRsForWavesPerEU: 1
; AccumOffset: 4
; Occupancy: 8
; WaveLimiterHint : 0
; COMPUTE_PGM_RSRC2:SCRATCH_EN: 0
; COMPUTE_PGM_RSRC2:USER_SGPR: 6
; COMPUTE_PGM_RSRC2:TRAP_HANDLER: 0
; COMPUTE_PGM_RSRC2:TGID_X_EN: 1
; COMPUTE_PGM_RSRC2:TGID_Y_EN: 0
; COMPUTE_PGM_RSRC2:TGID_Z_EN: 0
; COMPUTE_PGM_RSRC2:TIDIG_COMP_CNT: 0
; COMPUTE_PGM_RSRC3_GFX90A:ACCUM_OFFSET: 0
; COMPUTE_PGM_RSRC3_GFX90A:TG_SPLIT: 0
	.section	.text._ZN7rocprim17ROCPRIM_400000_NS6detail17trampoline_kernelINS0_14default_configENS1_35radix_sort_onesweep_config_selectorIslEEZZNS1_29radix_sort_onesweep_iterationIS3_Lb0EPsS7_N6thrust23THRUST_200600_302600_NS10device_ptrIlEESB_jNS0_19identity_decomposerENS1_16block_id_wrapperIjLb1EEEEE10hipError_tT1_PNSt15iterator_traitsISG_E10value_typeET2_T3_PNSH_ISM_E10value_typeET4_T5_PSR_SS_PNS1_23onesweep_lookback_stateEbbT6_jjT7_P12ihipStream_tbENKUlT_T0_SG_SL_E_clIS7_S7_SB_PlEEDaSZ_S10_SG_SL_EUlSZ_E_NS1_11comp_targetILNS1_3genE9ELNS1_11target_archE1100ELNS1_3gpuE3ELNS1_3repE0EEENS1_47radix_sort_onesweep_sort_config_static_selectorELNS0_4arch9wavefront6targetE1EEEvSG_,"axG",@progbits,_ZN7rocprim17ROCPRIM_400000_NS6detail17trampoline_kernelINS0_14default_configENS1_35radix_sort_onesweep_config_selectorIslEEZZNS1_29radix_sort_onesweep_iterationIS3_Lb0EPsS7_N6thrust23THRUST_200600_302600_NS10device_ptrIlEESB_jNS0_19identity_decomposerENS1_16block_id_wrapperIjLb1EEEEE10hipError_tT1_PNSt15iterator_traitsISG_E10value_typeET2_T3_PNSH_ISM_E10value_typeET4_T5_PSR_SS_PNS1_23onesweep_lookback_stateEbbT6_jjT7_P12ihipStream_tbENKUlT_T0_SG_SL_E_clIS7_S7_SB_PlEEDaSZ_S10_SG_SL_EUlSZ_E_NS1_11comp_targetILNS1_3genE9ELNS1_11target_archE1100ELNS1_3gpuE3ELNS1_3repE0EEENS1_47radix_sort_onesweep_sort_config_static_selectorELNS0_4arch9wavefront6targetE1EEEvSG_,comdat
	.protected	_ZN7rocprim17ROCPRIM_400000_NS6detail17trampoline_kernelINS0_14default_configENS1_35radix_sort_onesweep_config_selectorIslEEZZNS1_29radix_sort_onesweep_iterationIS3_Lb0EPsS7_N6thrust23THRUST_200600_302600_NS10device_ptrIlEESB_jNS0_19identity_decomposerENS1_16block_id_wrapperIjLb1EEEEE10hipError_tT1_PNSt15iterator_traitsISG_E10value_typeET2_T3_PNSH_ISM_E10value_typeET4_T5_PSR_SS_PNS1_23onesweep_lookback_stateEbbT6_jjT7_P12ihipStream_tbENKUlT_T0_SG_SL_E_clIS7_S7_SB_PlEEDaSZ_S10_SG_SL_EUlSZ_E_NS1_11comp_targetILNS1_3genE9ELNS1_11target_archE1100ELNS1_3gpuE3ELNS1_3repE0EEENS1_47radix_sort_onesweep_sort_config_static_selectorELNS0_4arch9wavefront6targetE1EEEvSG_ ; -- Begin function _ZN7rocprim17ROCPRIM_400000_NS6detail17trampoline_kernelINS0_14default_configENS1_35radix_sort_onesweep_config_selectorIslEEZZNS1_29radix_sort_onesweep_iterationIS3_Lb0EPsS7_N6thrust23THRUST_200600_302600_NS10device_ptrIlEESB_jNS0_19identity_decomposerENS1_16block_id_wrapperIjLb1EEEEE10hipError_tT1_PNSt15iterator_traitsISG_E10value_typeET2_T3_PNSH_ISM_E10value_typeET4_T5_PSR_SS_PNS1_23onesweep_lookback_stateEbbT6_jjT7_P12ihipStream_tbENKUlT_T0_SG_SL_E_clIS7_S7_SB_PlEEDaSZ_S10_SG_SL_EUlSZ_E_NS1_11comp_targetILNS1_3genE9ELNS1_11target_archE1100ELNS1_3gpuE3ELNS1_3repE0EEENS1_47radix_sort_onesweep_sort_config_static_selectorELNS0_4arch9wavefront6targetE1EEEvSG_
	.globl	_ZN7rocprim17ROCPRIM_400000_NS6detail17trampoline_kernelINS0_14default_configENS1_35radix_sort_onesweep_config_selectorIslEEZZNS1_29radix_sort_onesweep_iterationIS3_Lb0EPsS7_N6thrust23THRUST_200600_302600_NS10device_ptrIlEESB_jNS0_19identity_decomposerENS1_16block_id_wrapperIjLb1EEEEE10hipError_tT1_PNSt15iterator_traitsISG_E10value_typeET2_T3_PNSH_ISM_E10value_typeET4_T5_PSR_SS_PNS1_23onesweep_lookback_stateEbbT6_jjT7_P12ihipStream_tbENKUlT_T0_SG_SL_E_clIS7_S7_SB_PlEEDaSZ_S10_SG_SL_EUlSZ_E_NS1_11comp_targetILNS1_3genE9ELNS1_11target_archE1100ELNS1_3gpuE3ELNS1_3repE0EEENS1_47radix_sort_onesweep_sort_config_static_selectorELNS0_4arch9wavefront6targetE1EEEvSG_
	.p2align	8
	.type	_ZN7rocprim17ROCPRIM_400000_NS6detail17trampoline_kernelINS0_14default_configENS1_35radix_sort_onesweep_config_selectorIslEEZZNS1_29radix_sort_onesweep_iterationIS3_Lb0EPsS7_N6thrust23THRUST_200600_302600_NS10device_ptrIlEESB_jNS0_19identity_decomposerENS1_16block_id_wrapperIjLb1EEEEE10hipError_tT1_PNSt15iterator_traitsISG_E10value_typeET2_T3_PNSH_ISM_E10value_typeET4_T5_PSR_SS_PNS1_23onesweep_lookback_stateEbbT6_jjT7_P12ihipStream_tbENKUlT_T0_SG_SL_E_clIS7_S7_SB_PlEEDaSZ_S10_SG_SL_EUlSZ_E_NS1_11comp_targetILNS1_3genE9ELNS1_11target_archE1100ELNS1_3gpuE3ELNS1_3repE0EEENS1_47radix_sort_onesweep_sort_config_static_selectorELNS0_4arch9wavefront6targetE1EEEvSG_,@function
_ZN7rocprim17ROCPRIM_400000_NS6detail17trampoline_kernelINS0_14default_configENS1_35radix_sort_onesweep_config_selectorIslEEZZNS1_29radix_sort_onesweep_iterationIS3_Lb0EPsS7_N6thrust23THRUST_200600_302600_NS10device_ptrIlEESB_jNS0_19identity_decomposerENS1_16block_id_wrapperIjLb1EEEEE10hipError_tT1_PNSt15iterator_traitsISG_E10value_typeET2_T3_PNSH_ISM_E10value_typeET4_T5_PSR_SS_PNS1_23onesweep_lookback_stateEbbT6_jjT7_P12ihipStream_tbENKUlT_T0_SG_SL_E_clIS7_S7_SB_PlEEDaSZ_S10_SG_SL_EUlSZ_E_NS1_11comp_targetILNS1_3genE9ELNS1_11target_archE1100ELNS1_3gpuE3ELNS1_3repE0EEENS1_47radix_sort_onesweep_sort_config_static_selectorELNS0_4arch9wavefront6targetE1EEEvSG_: ; @_ZN7rocprim17ROCPRIM_400000_NS6detail17trampoline_kernelINS0_14default_configENS1_35radix_sort_onesweep_config_selectorIslEEZZNS1_29radix_sort_onesweep_iterationIS3_Lb0EPsS7_N6thrust23THRUST_200600_302600_NS10device_ptrIlEESB_jNS0_19identity_decomposerENS1_16block_id_wrapperIjLb1EEEEE10hipError_tT1_PNSt15iterator_traitsISG_E10value_typeET2_T3_PNSH_ISM_E10value_typeET4_T5_PSR_SS_PNS1_23onesweep_lookback_stateEbbT6_jjT7_P12ihipStream_tbENKUlT_T0_SG_SL_E_clIS7_S7_SB_PlEEDaSZ_S10_SG_SL_EUlSZ_E_NS1_11comp_targetILNS1_3genE9ELNS1_11target_archE1100ELNS1_3gpuE3ELNS1_3repE0EEENS1_47radix_sort_onesweep_sort_config_static_selectorELNS0_4arch9wavefront6targetE1EEEvSG_
; %bb.0:
	.section	.rodata,"a",@progbits
	.p2align	6, 0x0
	.amdhsa_kernel _ZN7rocprim17ROCPRIM_400000_NS6detail17trampoline_kernelINS0_14default_configENS1_35radix_sort_onesweep_config_selectorIslEEZZNS1_29radix_sort_onesweep_iterationIS3_Lb0EPsS7_N6thrust23THRUST_200600_302600_NS10device_ptrIlEESB_jNS0_19identity_decomposerENS1_16block_id_wrapperIjLb1EEEEE10hipError_tT1_PNSt15iterator_traitsISG_E10value_typeET2_T3_PNSH_ISM_E10value_typeET4_T5_PSR_SS_PNS1_23onesweep_lookback_stateEbbT6_jjT7_P12ihipStream_tbENKUlT_T0_SG_SL_E_clIS7_S7_SB_PlEEDaSZ_S10_SG_SL_EUlSZ_E_NS1_11comp_targetILNS1_3genE9ELNS1_11target_archE1100ELNS1_3gpuE3ELNS1_3repE0EEENS1_47radix_sort_onesweep_sort_config_static_selectorELNS0_4arch9wavefront6targetE1EEEvSG_
		.amdhsa_group_segment_fixed_size 0
		.amdhsa_private_segment_fixed_size 0
		.amdhsa_kernarg_size 88
		.amdhsa_user_sgpr_count 6
		.amdhsa_user_sgpr_private_segment_buffer 1
		.amdhsa_user_sgpr_dispatch_ptr 0
		.amdhsa_user_sgpr_queue_ptr 0
		.amdhsa_user_sgpr_kernarg_segment_ptr 1
		.amdhsa_user_sgpr_dispatch_id 0
		.amdhsa_user_sgpr_flat_scratch_init 0
		.amdhsa_user_sgpr_kernarg_preload_length 0
		.amdhsa_user_sgpr_kernarg_preload_offset 0
		.amdhsa_user_sgpr_private_segment_size 0
		.amdhsa_uses_dynamic_stack 0
		.amdhsa_system_sgpr_private_segment_wavefront_offset 0
		.amdhsa_system_sgpr_workgroup_id_x 1
		.amdhsa_system_sgpr_workgroup_id_y 0
		.amdhsa_system_sgpr_workgroup_id_z 0
		.amdhsa_system_sgpr_workgroup_info 0
		.amdhsa_system_vgpr_workitem_id 0
		.amdhsa_next_free_vgpr 1
		.amdhsa_next_free_sgpr 0
		.amdhsa_accum_offset 4
		.amdhsa_reserve_vcc 0
		.amdhsa_reserve_flat_scratch 0
		.amdhsa_float_round_mode_32 0
		.amdhsa_float_round_mode_16_64 0
		.amdhsa_float_denorm_mode_32 3
		.amdhsa_float_denorm_mode_16_64 3
		.amdhsa_dx10_clamp 1
		.amdhsa_ieee_mode 1
		.amdhsa_fp16_overflow 0
		.amdhsa_tg_split 0
		.amdhsa_exception_fp_ieee_invalid_op 0
		.amdhsa_exception_fp_denorm_src 0
		.amdhsa_exception_fp_ieee_div_zero 0
		.amdhsa_exception_fp_ieee_overflow 0
		.amdhsa_exception_fp_ieee_underflow 0
		.amdhsa_exception_fp_ieee_inexact 0
		.amdhsa_exception_int_div_zero 0
	.end_amdhsa_kernel
	.section	.text._ZN7rocprim17ROCPRIM_400000_NS6detail17trampoline_kernelINS0_14default_configENS1_35radix_sort_onesweep_config_selectorIslEEZZNS1_29radix_sort_onesweep_iterationIS3_Lb0EPsS7_N6thrust23THRUST_200600_302600_NS10device_ptrIlEESB_jNS0_19identity_decomposerENS1_16block_id_wrapperIjLb1EEEEE10hipError_tT1_PNSt15iterator_traitsISG_E10value_typeET2_T3_PNSH_ISM_E10value_typeET4_T5_PSR_SS_PNS1_23onesweep_lookback_stateEbbT6_jjT7_P12ihipStream_tbENKUlT_T0_SG_SL_E_clIS7_S7_SB_PlEEDaSZ_S10_SG_SL_EUlSZ_E_NS1_11comp_targetILNS1_3genE9ELNS1_11target_archE1100ELNS1_3gpuE3ELNS1_3repE0EEENS1_47radix_sort_onesweep_sort_config_static_selectorELNS0_4arch9wavefront6targetE1EEEvSG_,"axG",@progbits,_ZN7rocprim17ROCPRIM_400000_NS6detail17trampoline_kernelINS0_14default_configENS1_35radix_sort_onesweep_config_selectorIslEEZZNS1_29radix_sort_onesweep_iterationIS3_Lb0EPsS7_N6thrust23THRUST_200600_302600_NS10device_ptrIlEESB_jNS0_19identity_decomposerENS1_16block_id_wrapperIjLb1EEEEE10hipError_tT1_PNSt15iterator_traitsISG_E10value_typeET2_T3_PNSH_ISM_E10value_typeET4_T5_PSR_SS_PNS1_23onesweep_lookback_stateEbbT6_jjT7_P12ihipStream_tbENKUlT_T0_SG_SL_E_clIS7_S7_SB_PlEEDaSZ_S10_SG_SL_EUlSZ_E_NS1_11comp_targetILNS1_3genE9ELNS1_11target_archE1100ELNS1_3gpuE3ELNS1_3repE0EEENS1_47radix_sort_onesweep_sort_config_static_selectorELNS0_4arch9wavefront6targetE1EEEvSG_,comdat
.Lfunc_end1414:
	.size	_ZN7rocprim17ROCPRIM_400000_NS6detail17trampoline_kernelINS0_14default_configENS1_35radix_sort_onesweep_config_selectorIslEEZZNS1_29radix_sort_onesweep_iterationIS3_Lb0EPsS7_N6thrust23THRUST_200600_302600_NS10device_ptrIlEESB_jNS0_19identity_decomposerENS1_16block_id_wrapperIjLb1EEEEE10hipError_tT1_PNSt15iterator_traitsISG_E10value_typeET2_T3_PNSH_ISM_E10value_typeET4_T5_PSR_SS_PNS1_23onesweep_lookback_stateEbbT6_jjT7_P12ihipStream_tbENKUlT_T0_SG_SL_E_clIS7_S7_SB_PlEEDaSZ_S10_SG_SL_EUlSZ_E_NS1_11comp_targetILNS1_3genE9ELNS1_11target_archE1100ELNS1_3gpuE3ELNS1_3repE0EEENS1_47radix_sort_onesweep_sort_config_static_selectorELNS0_4arch9wavefront6targetE1EEEvSG_, .Lfunc_end1414-_ZN7rocprim17ROCPRIM_400000_NS6detail17trampoline_kernelINS0_14default_configENS1_35radix_sort_onesweep_config_selectorIslEEZZNS1_29radix_sort_onesweep_iterationIS3_Lb0EPsS7_N6thrust23THRUST_200600_302600_NS10device_ptrIlEESB_jNS0_19identity_decomposerENS1_16block_id_wrapperIjLb1EEEEE10hipError_tT1_PNSt15iterator_traitsISG_E10value_typeET2_T3_PNSH_ISM_E10value_typeET4_T5_PSR_SS_PNS1_23onesweep_lookback_stateEbbT6_jjT7_P12ihipStream_tbENKUlT_T0_SG_SL_E_clIS7_S7_SB_PlEEDaSZ_S10_SG_SL_EUlSZ_E_NS1_11comp_targetILNS1_3genE9ELNS1_11target_archE1100ELNS1_3gpuE3ELNS1_3repE0EEENS1_47radix_sort_onesweep_sort_config_static_selectorELNS0_4arch9wavefront6targetE1EEEvSG_
                                        ; -- End function
	.section	.AMDGPU.csdata,"",@progbits
; Kernel info:
; codeLenInByte = 0
; NumSgprs: 4
; NumVgprs: 0
; NumAgprs: 0
; TotalNumVgprs: 0
; ScratchSize: 0
; MemoryBound: 0
; FloatMode: 240
; IeeeMode: 1
; LDSByteSize: 0 bytes/workgroup (compile time only)
; SGPRBlocks: 0
; VGPRBlocks: 0
; NumSGPRsForWavesPerEU: 4
; NumVGPRsForWavesPerEU: 1
; AccumOffset: 4
; Occupancy: 8
; WaveLimiterHint : 0
; COMPUTE_PGM_RSRC2:SCRATCH_EN: 0
; COMPUTE_PGM_RSRC2:USER_SGPR: 6
; COMPUTE_PGM_RSRC2:TRAP_HANDLER: 0
; COMPUTE_PGM_RSRC2:TGID_X_EN: 1
; COMPUTE_PGM_RSRC2:TGID_Y_EN: 0
; COMPUTE_PGM_RSRC2:TGID_Z_EN: 0
; COMPUTE_PGM_RSRC2:TIDIG_COMP_CNT: 0
; COMPUTE_PGM_RSRC3_GFX90A:ACCUM_OFFSET: 0
; COMPUTE_PGM_RSRC3_GFX90A:TG_SPLIT: 0
	.section	.text._ZN7rocprim17ROCPRIM_400000_NS6detail17trampoline_kernelINS0_14default_configENS1_35radix_sort_onesweep_config_selectorIslEEZZNS1_29radix_sort_onesweep_iterationIS3_Lb0EPsS7_N6thrust23THRUST_200600_302600_NS10device_ptrIlEESB_jNS0_19identity_decomposerENS1_16block_id_wrapperIjLb1EEEEE10hipError_tT1_PNSt15iterator_traitsISG_E10value_typeET2_T3_PNSH_ISM_E10value_typeET4_T5_PSR_SS_PNS1_23onesweep_lookback_stateEbbT6_jjT7_P12ihipStream_tbENKUlT_T0_SG_SL_E_clIS7_S7_SB_PlEEDaSZ_S10_SG_SL_EUlSZ_E_NS1_11comp_targetILNS1_3genE8ELNS1_11target_archE1030ELNS1_3gpuE2ELNS1_3repE0EEENS1_47radix_sort_onesweep_sort_config_static_selectorELNS0_4arch9wavefront6targetE1EEEvSG_,"axG",@progbits,_ZN7rocprim17ROCPRIM_400000_NS6detail17trampoline_kernelINS0_14default_configENS1_35radix_sort_onesweep_config_selectorIslEEZZNS1_29radix_sort_onesweep_iterationIS3_Lb0EPsS7_N6thrust23THRUST_200600_302600_NS10device_ptrIlEESB_jNS0_19identity_decomposerENS1_16block_id_wrapperIjLb1EEEEE10hipError_tT1_PNSt15iterator_traitsISG_E10value_typeET2_T3_PNSH_ISM_E10value_typeET4_T5_PSR_SS_PNS1_23onesweep_lookback_stateEbbT6_jjT7_P12ihipStream_tbENKUlT_T0_SG_SL_E_clIS7_S7_SB_PlEEDaSZ_S10_SG_SL_EUlSZ_E_NS1_11comp_targetILNS1_3genE8ELNS1_11target_archE1030ELNS1_3gpuE2ELNS1_3repE0EEENS1_47radix_sort_onesweep_sort_config_static_selectorELNS0_4arch9wavefront6targetE1EEEvSG_,comdat
	.protected	_ZN7rocprim17ROCPRIM_400000_NS6detail17trampoline_kernelINS0_14default_configENS1_35radix_sort_onesweep_config_selectorIslEEZZNS1_29radix_sort_onesweep_iterationIS3_Lb0EPsS7_N6thrust23THRUST_200600_302600_NS10device_ptrIlEESB_jNS0_19identity_decomposerENS1_16block_id_wrapperIjLb1EEEEE10hipError_tT1_PNSt15iterator_traitsISG_E10value_typeET2_T3_PNSH_ISM_E10value_typeET4_T5_PSR_SS_PNS1_23onesweep_lookback_stateEbbT6_jjT7_P12ihipStream_tbENKUlT_T0_SG_SL_E_clIS7_S7_SB_PlEEDaSZ_S10_SG_SL_EUlSZ_E_NS1_11comp_targetILNS1_3genE8ELNS1_11target_archE1030ELNS1_3gpuE2ELNS1_3repE0EEENS1_47radix_sort_onesweep_sort_config_static_selectorELNS0_4arch9wavefront6targetE1EEEvSG_ ; -- Begin function _ZN7rocprim17ROCPRIM_400000_NS6detail17trampoline_kernelINS0_14default_configENS1_35radix_sort_onesweep_config_selectorIslEEZZNS1_29radix_sort_onesweep_iterationIS3_Lb0EPsS7_N6thrust23THRUST_200600_302600_NS10device_ptrIlEESB_jNS0_19identity_decomposerENS1_16block_id_wrapperIjLb1EEEEE10hipError_tT1_PNSt15iterator_traitsISG_E10value_typeET2_T3_PNSH_ISM_E10value_typeET4_T5_PSR_SS_PNS1_23onesweep_lookback_stateEbbT6_jjT7_P12ihipStream_tbENKUlT_T0_SG_SL_E_clIS7_S7_SB_PlEEDaSZ_S10_SG_SL_EUlSZ_E_NS1_11comp_targetILNS1_3genE8ELNS1_11target_archE1030ELNS1_3gpuE2ELNS1_3repE0EEENS1_47radix_sort_onesweep_sort_config_static_selectorELNS0_4arch9wavefront6targetE1EEEvSG_
	.globl	_ZN7rocprim17ROCPRIM_400000_NS6detail17trampoline_kernelINS0_14default_configENS1_35radix_sort_onesweep_config_selectorIslEEZZNS1_29radix_sort_onesweep_iterationIS3_Lb0EPsS7_N6thrust23THRUST_200600_302600_NS10device_ptrIlEESB_jNS0_19identity_decomposerENS1_16block_id_wrapperIjLb1EEEEE10hipError_tT1_PNSt15iterator_traitsISG_E10value_typeET2_T3_PNSH_ISM_E10value_typeET4_T5_PSR_SS_PNS1_23onesweep_lookback_stateEbbT6_jjT7_P12ihipStream_tbENKUlT_T0_SG_SL_E_clIS7_S7_SB_PlEEDaSZ_S10_SG_SL_EUlSZ_E_NS1_11comp_targetILNS1_3genE8ELNS1_11target_archE1030ELNS1_3gpuE2ELNS1_3repE0EEENS1_47radix_sort_onesweep_sort_config_static_selectorELNS0_4arch9wavefront6targetE1EEEvSG_
	.p2align	8
	.type	_ZN7rocprim17ROCPRIM_400000_NS6detail17trampoline_kernelINS0_14default_configENS1_35radix_sort_onesweep_config_selectorIslEEZZNS1_29radix_sort_onesweep_iterationIS3_Lb0EPsS7_N6thrust23THRUST_200600_302600_NS10device_ptrIlEESB_jNS0_19identity_decomposerENS1_16block_id_wrapperIjLb1EEEEE10hipError_tT1_PNSt15iterator_traitsISG_E10value_typeET2_T3_PNSH_ISM_E10value_typeET4_T5_PSR_SS_PNS1_23onesweep_lookback_stateEbbT6_jjT7_P12ihipStream_tbENKUlT_T0_SG_SL_E_clIS7_S7_SB_PlEEDaSZ_S10_SG_SL_EUlSZ_E_NS1_11comp_targetILNS1_3genE8ELNS1_11target_archE1030ELNS1_3gpuE2ELNS1_3repE0EEENS1_47radix_sort_onesweep_sort_config_static_selectorELNS0_4arch9wavefront6targetE1EEEvSG_,@function
_ZN7rocprim17ROCPRIM_400000_NS6detail17trampoline_kernelINS0_14default_configENS1_35radix_sort_onesweep_config_selectorIslEEZZNS1_29radix_sort_onesweep_iterationIS3_Lb0EPsS7_N6thrust23THRUST_200600_302600_NS10device_ptrIlEESB_jNS0_19identity_decomposerENS1_16block_id_wrapperIjLb1EEEEE10hipError_tT1_PNSt15iterator_traitsISG_E10value_typeET2_T3_PNSH_ISM_E10value_typeET4_T5_PSR_SS_PNS1_23onesweep_lookback_stateEbbT6_jjT7_P12ihipStream_tbENKUlT_T0_SG_SL_E_clIS7_S7_SB_PlEEDaSZ_S10_SG_SL_EUlSZ_E_NS1_11comp_targetILNS1_3genE8ELNS1_11target_archE1030ELNS1_3gpuE2ELNS1_3repE0EEENS1_47radix_sort_onesweep_sort_config_static_selectorELNS0_4arch9wavefront6targetE1EEEvSG_: ; @_ZN7rocprim17ROCPRIM_400000_NS6detail17trampoline_kernelINS0_14default_configENS1_35radix_sort_onesweep_config_selectorIslEEZZNS1_29radix_sort_onesweep_iterationIS3_Lb0EPsS7_N6thrust23THRUST_200600_302600_NS10device_ptrIlEESB_jNS0_19identity_decomposerENS1_16block_id_wrapperIjLb1EEEEE10hipError_tT1_PNSt15iterator_traitsISG_E10value_typeET2_T3_PNSH_ISM_E10value_typeET4_T5_PSR_SS_PNS1_23onesweep_lookback_stateEbbT6_jjT7_P12ihipStream_tbENKUlT_T0_SG_SL_E_clIS7_S7_SB_PlEEDaSZ_S10_SG_SL_EUlSZ_E_NS1_11comp_targetILNS1_3genE8ELNS1_11target_archE1030ELNS1_3gpuE2ELNS1_3repE0EEENS1_47radix_sort_onesweep_sort_config_static_selectorELNS0_4arch9wavefront6targetE1EEEvSG_
; %bb.0:
	.section	.rodata,"a",@progbits
	.p2align	6, 0x0
	.amdhsa_kernel _ZN7rocprim17ROCPRIM_400000_NS6detail17trampoline_kernelINS0_14default_configENS1_35radix_sort_onesweep_config_selectorIslEEZZNS1_29radix_sort_onesweep_iterationIS3_Lb0EPsS7_N6thrust23THRUST_200600_302600_NS10device_ptrIlEESB_jNS0_19identity_decomposerENS1_16block_id_wrapperIjLb1EEEEE10hipError_tT1_PNSt15iterator_traitsISG_E10value_typeET2_T3_PNSH_ISM_E10value_typeET4_T5_PSR_SS_PNS1_23onesweep_lookback_stateEbbT6_jjT7_P12ihipStream_tbENKUlT_T0_SG_SL_E_clIS7_S7_SB_PlEEDaSZ_S10_SG_SL_EUlSZ_E_NS1_11comp_targetILNS1_3genE8ELNS1_11target_archE1030ELNS1_3gpuE2ELNS1_3repE0EEENS1_47radix_sort_onesweep_sort_config_static_selectorELNS0_4arch9wavefront6targetE1EEEvSG_
		.amdhsa_group_segment_fixed_size 0
		.amdhsa_private_segment_fixed_size 0
		.amdhsa_kernarg_size 88
		.amdhsa_user_sgpr_count 6
		.amdhsa_user_sgpr_private_segment_buffer 1
		.amdhsa_user_sgpr_dispatch_ptr 0
		.amdhsa_user_sgpr_queue_ptr 0
		.amdhsa_user_sgpr_kernarg_segment_ptr 1
		.amdhsa_user_sgpr_dispatch_id 0
		.amdhsa_user_sgpr_flat_scratch_init 0
		.amdhsa_user_sgpr_kernarg_preload_length 0
		.amdhsa_user_sgpr_kernarg_preload_offset 0
		.amdhsa_user_sgpr_private_segment_size 0
		.amdhsa_uses_dynamic_stack 0
		.amdhsa_system_sgpr_private_segment_wavefront_offset 0
		.amdhsa_system_sgpr_workgroup_id_x 1
		.amdhsa_system_sgpr_workgroup_id_y 0
		.amdhsa_system_sgpr_workgroup_id_z 0
		.amdhsa_system_sgpr_workgroup_info 0
		.amdhsa_system_vgpr_workitem_id 0
		.amdhsa_next_free_vgpr 1
		.amdhsa_next_free_sgpr 0
		.amdhsa_accum_offset 4
		.amdhsa_reserve_vcc 0
		.amdhsa_reserve_flat_scratch 0
		.amdhsa_float_round_mode_32 0
		.amdhsa_float_round_mode_16_64 0
		.amdhsa_float_denorm_mode_32 3
		.amdhsa_float_denorm_mode_16_64 3
		.amdhsa_dx10_clamp 1
		.amdhsa_ieee_mode 1
		.amdhsa_fp16_overflow 0
		.amdhsa_tg_split 0
		.amdhsa_exception_fp_ieee_invalid_op 0
		.amdhsa_exception_fp_denorm_src 0
		.amdhsa_exception_fp_ieee_div_zero 0
		.amdhsa_exception_fp_ieee_overflow 0
		.amdhsa_exception_fp_ieee_underflow 0
		.amdhsa_exception_fp_ieee_inexact 0
		.amdhsa_exception_int_div_zero 0
	.end_amdhsa_kernel
	.section	.text._ZN7rocprim17ROCPRIM_400000_NS6detail17trampoline_kernelINS0_14default_configENS1_35radix_sort_onesweep_config_selectorIslEEZZNS1_29radix_sort_onesweep_iterationIS3_Lb0EPsS7_N6thrust23THRUST_200600_302600_NS10device_ptrIlEESB_jNS0_19identity_decomposerENS1_16block_id_wrapperIjLb1EEEEE10hipError_tT1_PNSt15iterator_traitsISG_E10value_typeET2_T3_PNSH_ISM_E10value_typeET4_T5_PSR_SS_PNS1_23onesweep_lookback_stateEbbT6_jjT7_P12ihipStream_tbENKUlT_T0_SG_SL_E_clIS7_S7_SB_PlEEDaSZ_S10_SG_SL_EUlSZ_E_NS1_11comp_targetILNS1_3genE8ELNS1_11target_archE1030ELNS1_3gpuE2ELNS1_3repE0EEENS1_47radix_sort_onesweep_sort_config_static_selectorELNS0_4arch9wavefront6targetE1EEEvSG_,"axG",@progbits,_ZN7rocprim17ROCPRIM_400000_NS6detail17trampoline_kernelINS0_14default_configENS1_35radix_sort_onesweep_config_selectorIslEEZZNS1_29radix_sort_onesweep_iterationIS3_Lb0EPsS7_N6thrust23THRUST_200600_302600_NS10device_ptrIlEESB_jNS0_19identity_decomposerENS1_16block_id_wrapperIjLb1EEEEE10hipError_tT1_PNSt15iterator_traitsISG_E10value_typeET2_T3_PNSH_ISM_E10value_typeET4_T5_PSR_SS_PNS1_23onesweep_lookback_stateEbbT6_jjT7_P12ihipStream_tbENKUlT_T0_SG_SL_E_clIS7_S7_SB_PlEEDaSZ_S10_SG_SL_EUlSZ_E_NS1_11comp_targetILNS1_3genE8ELNS1_11target_archE1030ELNS1_3gpuE2ELNS1_3repE0EEENS1_47radix_sort_onesweep_sort_config_static_selectorELNS0_4arch9wavefront6targetE1EEEvSG_,comdat
.Lfunc_end1415:
	.size	_ZN7rocprim17ROCPRIM_400000_NS6detail17trampoline_kernelINS0_14default_configENS1_35radix_sort_onesweep_config_selectorIslEEZZNS1_29radix_sort_onesweep_iterationIS3_Lb0EPsS7_N6thrust23THRUST_200600_302600_NS10device_ptrIlEESB_jNS0_19identity_decomposerENS1_16block_id_wrapperIjLb1EEEEE10hipError_tT1_PNSt15iterator_traitsISG_E10value_typeET2_T3_PNSH_ISM_E10value_typeET4_T5_PSR_SS_PNS1_23onesweep_lookback_stateEbbT6_jjT7_P12ihipStream_tbENKUlT_T0_SG_SL_E_clIS7_S7_SB_PlEEDaSZ_S10_SG_SL_EUlSZ_E_NS1_11comp_targetILNS1_3genE8ELNS1_11target_archE1030ELNS1_3gpuE2ELNS1_3repE0EEENS1_47radix_sort_onesweep_sort_config_static_selectorELNS0_4arch9wavefront6targetE1EEEvSG_, .Lfunc_end1415-_ZN7rocprim17ROCPRIM_400000_NS6detail17trampoline_kernelINS0_14default_configENS1_35radix_sort_onesweep_config_selectorIslEEZZNS1_29radix_sort_onesweep_iterationIS3_Lb0EPsS7_N6thrust23THRUST_200600_302600_NS10device_ptrIlEESB_jNS0_19identity_decomposerENS1_16block_id_wrapperIjLb1EEEEE10hipError_tT1_PNSt15iterator_traitsISG_E10value_typeET2_T3_PNSH_ISM_E10value_typeET4_T5_PSR_SS_PNS1_23onesweep_lookback_stateEbbT6_jjT7_P12ihipStream_tbENKUlT_T0_SG_SL_E_clIS7_S7_SB_PlEEDaSZ_S10_SG_SL_EUlSZ_E_NS1_11comp_targetILNS1_3genE8ELNS1_11target_archE1030ELNS1_3gpuE2ELNS1_3repE0EEENS1_47radix_sort_onesweep_sort_config_static_selectorELNS0_4arch9wavefront6targetE1EEEvSG_
                                        ; -- End function
	.section	.AMDGPU.csdata,"",@progbits
; Kernel info:
; codeLenInByte = 0
; NumSgprs: 4
; NumVgprs: 0
; NumAgprs: 0
; TotalNumVgprs: 0
; ScratchSize: 0
; MemoryBound: 0
; FloatMode: 240
; IeeeMode: 1
; LDSByteSize: 0 bytes/workgroup (compile time only)
; SGPRBlocks: 0
; VGPRBlocks: 0
; NumSGPRsForWavesPerEU: 4
; NumVGPRsForWavesPerEU: 1
; AccumOffset: 4
; Occupancy: 8
; WaveLimiterHint : 0
; COMPUTE_PGM_RSRC2:SCRATCH_EN: 0
; COMPUTE_PGM_RSRC2:USER_SGPR: 6
; COMPUTE_PGM_RSRC2:TRAP_HANDLER: 0
; COMPUTE_PGM_RSRC2:TGID_X_EN: 1
; COMPUTE_PGM_RSRC2:TGID_Y_EN: 0
; COMPUTE_PGM_RSRC2:TGID_Z_EN: 0
; COMPUTE_PGM_RSRC2:TIDIG_COMP_CNT: 0
; COMPUTE_PGM_RSRC3_GFX90A:ACCUM_OFFSET: 0
; COMPUTE_PGM_RSRC3_GFX90A:TG_SPLIT: 0
	.section	.text._ZN7rocprim17ROCPRIM_400000_NS6detail17trampoline_kernelINS0_14default_configENS1_35radix_sort_onesweep_config_selectorIslEEZZNS1_29radix_sort_onesweep_iterationIS3_Lb0EPsS7_N6thrust23THRUST_200600_302600_NS10device_ptrIlEESB_jNS0_19identity_decomposerENS1_16block_id_wrapperIjLb1EEEEE10hipError_tT1_PNSt15iterator_traitsISG_E10value_typeET2_T3_PNSH_ISM_E10value_typeET4_T5_PSR_SS_PNS1_23onesweep_lookback_stateEbbT6_jjT7_P12ihipStream_tbENKUlT_T0_SG_SL_E_clIS7_S7_PlSB_EEDaSZ_S10_SG_SL_EUlSZ_E_NS1_11comp_targetILNS1_3genE0ELNS1_11target_archE4294967295ELNS1_3gpuE0ELNS1_3repE0EEENS1_47radix_sort_onesweep_sort_config_static_selectorELNS0_4arch9wavefront6targetE1EEEvSG_,"axG",@progbits,_ZN7rocprim17ROCPRIM_400000_NS6detail17trampoline_kernelINS0_14default_configENS1_35radix_sort_onesweep_config_selectorIslEEZZNS1_29radix_sort_onesweep_iterationIS3_Lb0EPsS7_N6thrust23THRUST_200600_302600_NS10device_ptrIlEESB_jNS0_19identity_decomposerENS1_16block_id_wrapperIjLb1EEEEE10hipError_tT1_PNSt15iterator_traitsISG_E10value_typeET2_T3_PNSH_ISM_E10value_typeET4_T5_PSR_SS_PNS1_23onesweep_lookback_stateEbbT6_jjT7_P12ihipStream_tbENKUlT_T0_SG_SL_E_clIS7_S7_PlSB_EEDaSZ_S10_SG_SL_EUlSZ_E_NS1_11comp_targetILNS1_3genE0ELNS1_11target_archE4294967295ELNS1_3gpuE0ELNS1_3repE0EEENS1_47radix_sort_onesweep_sort_config_static_selectorELNS0_4arch9wavefront6targetE1EEEvSG_,comdat
	.protected	_ZN7rocprim17ROCPRIM_400000_NS6detail17trampoline_kernelINS0_14default_configENS1_35radix_sort_onesweep_config_selectorIslEEZZNS1_29radix_sort_onesweep_iterationIS3_Lb0EPsS7_N6thrust23THRUST_200600_302600_NS10device_ptrIlEESB_jNS0_19identity_decomposerENS1_16block_id_wrapperIjLb1EEEEE10hipError_tT1_PNSt15iterator_traitsISG_E10value_typeET2_T3_PNSH_ISM_E10value_typeET4_T5_PSR_SS_PNS1_23onesweep_lookback_stateEbbT6_jjT7_P12ihipStream_tbENKUlT_T0_SG_SL_E_clIS7_S7_PlSB_EEDaSZ_S10_SG_SL_EUlSZ_E_NS1_11comp_targetILNS1_3genE0ELNS1_11target_archE4294967295ELNS1_3gpuE0ELNS1_3repE0EEENS1_47radix_sort_onesweep_sort_config_static_selectorELNS0_4arch9wavefront6targetE1EEEvSG_ ; -- Begin function _ZN7rocprim17ROCPRIM_400000_NS6detail17trampoline_kernelINS0_14default_configENS1_35radix_sort_onesweep_config_selectorIslEEZZNS1_29radix_sort_onesweep_iterationIS3_Lb0EPsS7_N6thrust23THRUST_200600_302600_NS10device_ptrIlEESB_jNS0_19identity_decomposerENS1_16block_id_wrapperIjLb1EEEEE10hipError_tT1_PNSt15iterator_traitsISG_E10value_typeET2_T3_PNSH_ISM_E10value_typeET4_T5_PSR_SS_PNS1_23onesweep_lookback_stateEbbT6_jjT7_P12ihipStream_tbENKUlT_T0_SG_SL_E_clIS7_S7_PlSB_EEDaSZ_S10_SG_SL_EUlSZ_E_NS1_11comp_targetILNS1_3genE0ELNS1_11target_archE4294967295ELNS1_3gpuE0ELNS1_3repE0EEENS1_47radix_sort_onesweep_sort_config_static_selectorELNS0_4arch9wavefront6targetE1EEEvSG_
	.globl	_ZN7rocprim17ROCPRIM_400000_NS6detail17trampoline_kernelINS0_14default_configENS1_35radix_sort_onesweep_config_selectorIslEEZZNS1_29radix_sort_onesweep_iterationIS3_Lb0EPsS7_N6thrust23THRUST_200600_302600_NS10device_ptrIlEESB_jNS0_19identity_decomposerENS1_16block_id_wrapperIjLb1EEEEE10hipError_tT1_PNSt15iterator_traitsISG_E10value_typeET2_T3_PNSH_ISM_E10value_typeET4_T5_PSR_SS_PNS1_23onesweep_lookback_stateEbbT6_jjT7_P12ihipStream_tbENKUlT_T0_SG_SL_E_clIS7_S7_PlSB_EEDaSZ_S10_SG_SL_EUlSZ_E_NS1_11comp_targetILNS1_3genE0ELNS1_11target_archE4294967295ELNS1_3gpuE0ELNS1_3repE0EEENS1_47radix_sort_onesweep_sort_config_static_selectorELNS0_4arch9wavefront6targetE1EEEvSG_
	.p2align	8
	.type	_ZN7rocprim17ROCPRIM_400000_NS6detail17trampoline_kernelINS0_14default_configENS1_35radix_sort_onesweep_config_selectorIslEEZZNS1_29radix_sort_onesweep_iterationIS3_Lb0EPsS7_N6thrust23THRUST_200600_302600_NS10device_ptrIlEESB_jNS0_19identity_decomposerENS1_16block_id_wrapperIjLb1EEEEE10hipError_tT1_PNSt15iterator_traitsISG_E10value_typeET2_T3_PNSH_ISM_E10value_typeET4_T5_PSR_SS_PNS1_23onesweep_lookback_stateEbbT6_jjT7_P12ihipStream_tbENKUlT_T0_SG_SL_E_clIS7_S7_PlSB_EEDaSZ_S10_SG_SL_EUlSZ_E_NS1_11comp_targetILNS1_3genE0ELNS1_11target_archE4294967295ELNS1_3gpuE0ELNS1_3repE0EEENS1_47radix_sort_onesweep_sort_config_static_selectorELNS0_4arch9wavefront6targetE1EEEvSG_,@function
_ZN7rocprim17ROCPRIM_400000_NS6detail17trampoline_kernelINS0_14default_configENS1_35radix_sort_onesweep_config_selectorIslEEZZNS1_29radix_sort_onesweep_iterationIS3_Lb0EPsS7_N6thrust23THRUST_200600_302600_NS10device_ptrIlEESB_jNS0_19identity_decomposerENS1_16block_id_wrapperIjLb1EEEEE10hipError_tT1_PNSt15iterator_traitsISG_E10value_typeET2_T3_PNSH_ISM_E10value_typeET4_T5_PSR_SS_PNS1_23onesweep_lookback_stateEbbT6_jjT7_P12ihipStream_tbENKUlT_T0_SG_SL_E_clIS7_S7_PlSB_EEDaSZ_S10_SG_SL_EUlSZ_E_NS1_11comp_targetILNS1_3genE0ELNS1_11target_archE4294967295ELNS1_3gpuE0ELNS1_3repE0EEENS1_47radix_sort_onesweep_sort_config_static_selectorELNS0_4arch9wavefront6targetE1EEEvSG_: ; @_ZN7rocprim17ROCPRIM_400000_NS6detail17trampoline_kernelINS0_14default_configENS1_35radix_sort_onesweep_config_selectorIslEEZZNS1_29radix_sort_onesweep_iterationIS3_Lb0EPsS7_N6thrust23THRUST_200600_302600_NS10device_ptrIlEESB_jNS0_19identity_decomposerENS1_16block_id_wrapperIjLb1EEEEE10hipError_tT1_PNSt15iterator_traitsISG_E10value_typeET2_T3_PNSH_ISM_E10value_typeET4_T5_PSR_SS_PNS1_23onesweep_lookback_stateEbbT6_jjT7_P12ihipStream_tbENKUlT_T0_SG_SL_E_clIS7_S7_PlSB_EEDaSZ_S10_SG_SL_EUlSZ_E_NS1_11comp_targetILNS1_3genE0ELNS1_11target_archE4294967295ELNS1_3gpuE0ELNS1_3repE0EEENS1_47radix_sort_onesweep_sort_config_static_selectorELNS0_4arch9wavefront6targetE1EEEvSG_
; %bb.0:
	.section	.rodata,"a",@progbits
	.p2align	6, 0x0
	.amdhsa_kernel _ZN7rocprim17ROCPRIM_400000_NS6detail17trampoline_kernelINS0_14default_configENS1_35radix_sort_onesweep_config_selectorIslEEZZNS1_29radix_sort_onesweep_iterationIS3_Lb0EPsS7_N6thrust23THRUST_200600_302600_NS10device_ptrIlEESB_jNS0_19identity_decomposerENS1_16block_id_wrapperIjLb1EEEEE10hipError_tT1_PNSt15iterator_traitsISG_E10value_typeET2_T3_PNSH_ISM_E10value_typeET4_T5_PSR_SS_PNS1_23onesweep_lookback_stateEbbT6_jjT7_P12ihipStream_tbENKUlT_T0_SG_SL_E_clIS7_S7_PlSB_EEDaSZ_S10_SG_SL_EUlSZ_E_NS1_11comp_targetILNS1_3genE0ELNS1_11target_archE4294967295ELNS1_3gpuE0ELNS1_3repE0EEENS1_47radix_sort_onesweep_sort_config_static_selectorELNS0_4arch9wavefront6targetE1EEEvSG_
		.amdhsa_group_segment_fixed_size 0
		.amdhsa_private_segment_fixed_size 0
		.amdhsa_kernarg_size 88
		.amdhsa_user_sgpr_count 6
		.amdhsa_user_sgpr_private_segment_buffer 1
		.amdhsa_user_sgpr_dispatch_ptr 0
		.amdhsa_user_sgpr_queue_ptr 0
		.amdhsa_user_sgpr_kernarg_segment_ptr 1
		.amdhsa_user_sgpr_dispatch_id 0
		.amdhsa_user_sgpr_flat_scratch_init 0
		.amdhsa_user_sgpr_kernarg_preload_length 0
		.amdhsa_user_sgpr_kernarg_preload_offset 0
		.amdhsa_user_sgpr_private_segment_size 0
		.amdhsa_uses_dynamic_stack 0
		.amdhsa_system_sgpr_private_segment_wavefront_offset 0
		.amdhsa_system_sgpr_workgroup_id_x 1
		.amdhsa_system_sgpr_workgroup_id_y 0
		.amdhsa_system_sgpr_workgroup_id_z 0
		.amdhsa_system_sgpr_workgroup_info 0
		.amdhsa_system_vgpr_workitem_id 0
		.amdhsa_next_free_vgpr 1
		.amdhsa_next_free_sgpr 0
		.amdhsa_accum_offset 4
		.amdhsa_reserve_vcc 0
		.amdhsa_reserve_flat_scratch 0
		.amdhsa_float_round_mode_32 0
		.amdhsa_float_round_mode_16_64 0
		.amdhsa_float_denorm_mode_32 3
		.amdhsa_float_denorm_mode_16_64 3
		.amdhsa_dx10_clamp 1
		.amdhsa_ieee_mode 1
		.amdhsa_fp16_overflow 0
		.amdhsa_tg_split 0
		.amdhsa_exception_fp_ieee_invalid_op 0
		.amdhsa_exception_fp_denorm_src 0
		.amdhsa_exception_fp_ieee_div_zero 0
		.amdhsa_exception_fp_ieee_overflow 0
		.amdhsa_exception_fp_ieee_underflow 0
		.amdhsa_exception_fp_ieee_inexact 0
		.amdhsa_exception_int_div_zero 0
	.end_amdhsa_kernel
	.section	.text._ZN7rocprim17ROCPRIM_400000_NS6detail17trampoline_kernelINS0_14default_configENS1_35radix_sort_onesweep_config_selectorIslEEZZNS1_29radix_sort_onesweep_iterationIS3_Lb0EPsS7_N6thrust23THRUST_200600_302600_NS10device_ptrIlEESB_jNS0_19identity_decomposerENS1_16block_id_wrapperIjLb1EEEEE10hipError_tT1_PNSt15iterator_traitsISG_E10value_typeET2_T3_PNSH_ISM_E10value_typeET4_T5_PSR_SS_PNS1_23onesweep_lookback_stateEbbT6_jjT7_P12ihipStream_tbENKUlT_T0_SG_SL_E_clIS7_S7_PlSB_EEDaSZ_S10_SG_SL_EUlSZ_E_NS1_11comp_targetILNS1_3genE0ELNS1_11target_archE4294967295ELNS1_3gpuE0ELNS1_3repE0EEENS1_47radix_sort_onesweep_sort_config_static_selectorELNS0_4arch9wavefront6targetE1EEEvSG_,"axG",@progbits,_ZN7rocprim17ROCPRIM_400000_NS6detail17trampoline_kernelINS0_14default_configENS1_35radix_sort_onesweep_config_selectorIslEEZZNS1_29radix_sort_onesweep_iterationIS3_Lb0EPsS7_N6thrust23THRUST_200600_302600_NS10device_ptrIlEESB_jNS0_19identity_decomposerENS1_16block_id_wrapperIjLb1EEEEE10hipError_tT1_PNSt15iterator_traitsISG_E10value_typeET2_T3_PNSH_ISM_E10value_typeET4_T5_PSR_SS_PNS1_23onesweep_lookback_stateEbbT6_jjT7_P12ihipStream_tbENKUlT_T0_SG_SL_E_clIS7_S7_PlSB_EEDaSZ_S10_SG_SL_EUlSZ_E_NS1_11comp_targetILNS1_3genE0ELNS1_11target_archE4294967295ELNS1_3gpuE0ELNS1_3repE0EEENS1_47radix_sort_onesweep_sort_config_static_selectorELNS0_4arch9wavefront6targetE1EEEvSG_,comdat
.Lfunc_end1416:
	.size	_ZN7rocprim17ROCPRIM_400000_NS6detail17trampoline_kernelINS0_14default_configENS1_35radix_sort_onesweep_config_selectorIslEEZZNS1_29radix_sort_onesweep_iterationIS3_Lb0EPsS7_N6thrust23THRUST_200600_302600_NS10device_ptrIlEESB_jNS0_19identity_decomposerENS1_16block_id_wrapperIjLb1EEEEE10hipError_tT1_PNSt15iterator_traitsISG_E10value_typeET2_T3_PNSH_ISM_E10value_typeET4_T5_PSR_SS_PNS1_23onesweep_lookback_stateEbbT6_jjT7_P12ihipStream_tbENKUlT_T0_SG_SL_E_clIS7_S7_PlSB_EEDaSZ_S10_SG_SL_EUlSZ_E_NS1_11comp_targetILNS1_3genE0ELNS1_11target_archE4294967295ELNS1_3gpuE0ELNS1_3repE0EEENS1_47radix_sort_onesweep_sort_config_static_selectorELNS0_4arch9wavefront6targetE1EEEvSG_, .Lfunc_end1416-_ZN7rocprim17ROCPRIM_400000_NS6detail17trampoline_kernelINS0_14default_configENS1_35radix_sort_onesweep_config_selectorIslEEZZNS1_29radix_sort_onesweep_iterationIS3_Lb0EPsS7_N6thrust23THRUST_200600_302600_NS10device_ptrIlEESB_jNS0_19identity_decomposerENS1_16block_id_wrapperIjLb1EEEEE10hipError_tT1_PNSt15iterator_traitsISG_E10value_typeET2_T3_PNSH_ISM_E10value_typeET4_T5_PSR_SS_PNS1_23onesweep_lookback_stateEbbT6_jjT7_P12ihipStream_tbENKUlT_T0_SG_SL_E_clIS7_S7_PlSB_EEDaSZ_S10_SG_SL_EUlSZ_E_NS1_11comp_targetILNS1_3genE0ELNS1_11target_archE4294967295ELNS1_3gpuE0ELNS1_3repE0EEENS1_47radix_sort_onesweep_sort_config_static_selectorELNS0_4arch9wavefront6targetE1EEEvSG_
                                        ; -- End function
	.section	.AMDGPU.csdata,"",@progbits
; Kernel info:
; codeLenInByte = 0
; NumSgprs: 4
; NumVgprs: 0
; NumAgprs: 0
; TotalNumVgprs: 0
; ScratchSize: 0
; MemoryBound: 0
; FloatMode: 240
; IeeeMode: 1
; LDSByteSize: 0 bytes/workgroup (compile time only)
; SGPRBlocks: 0
; VGPRBlocks: 0
; NumSGPRsForWavesPerEU: 4
; NumVGPRsForWavesPerEU: 1
; AccumOffset: 4
; Occupancy: 8
; WaveLimiterHint : 0
; COMPUTE_PGM_RSRC2:SCRATCH_EN: 0
; COMPUTE_PGM_RSRC2:USER_SGPR: 6
; COMPUTE_PGM_RSRC2:TRAP_HANDLER: 0
; COMPUTE_PGM_RSRC2:TGID_X_EN: 1
; COMPUTE_PGM_RSRC2:TGID_Y_EN: 0
; COMPUTE_PGM_RSRC2:TGID_Z_EN: 0
; COMPUTE_PGM_RSRC2:TIDIG_COMP_CNT: 0
; COMPUTE_PGM_RSRC3_GFX90A:ACCUM_OFFSET: 0
; COMPUTE_PGM_RSRC3_GFX90A:TG_SPLIT: 0
	.section	.text._ZN7rocprim17ROCPRIM_400000_NS6detail17trampoline_kernelINS0_14default_configENS1_35radix_sort_onesweep_config_selectorIslEEZZNS1_29radix_sort_onesweep_iterationIS3_Lb0EPsS7_N6thrust23THRUST_200600_302600_NS10device_ptrIlEESB_jNS0_19identity_decomposerENS1_16block_id_wrapperIjLb1EEEEE10hipError_tT1_PNSt15iterator_traitsISG_E10value_typeET2_T3_PNSH_ISM_E10value_typeET4_T5_PSR_SS_PNS1_23onesweep_lookback_stateEbbT6_jjT7_P12ihipStream_tbENKUlT_T0_SG_SL_E_clIS7_S7_PlSB_EEDaSZ_S10_SG_SL_EUlSZ_E_NS1_11comp_targetILNS1_3genE6ELNS1_11target_archE950ELNS1_3gpuE13ELNS1_3repE0EEENS1_47radix_sort_onesweep_sort_config_static_selectorELNS0_4arch9wavefront6targetE1EEEvSG_,"axG",@progbits,_ZN7rocprim17ROCPRIM_400000_NS6detail17trampoline_kernelINS0_14default_configENS1_35radix_sort_onesweep_config_selectorIslEEZZNS1_29radix_sort_onesweep_iterationIS3_Lb0EPsS7_N6thrust23THRUST_200600_302600_NS10device_ptrIlEESB_jNS0_19identity_decomposerENS1_16block_id_wrapperIjLb1EEEEE10hipError_tT1_PNSt15iterator_traitsISG_E10value_typeET2_T3_PNSH_ISM_E10value_typeET4_T5_PSR_SS_PNS1_23onesweep_lookback_stateEbbT6_jjT7_P12ihipStream_tbENKUlT_T0_SG_SL_E_clIS7_S7_PlSB_EEDaSZ_S10_SG_SL_EUlSZ_E_NS1_11comp_targetILNS1_3genE6ELNS1_11target_archE950ELNS1_3gpuE13ELNS1_3repE0EEENS1_47radix_sort_onesweep_sort_config_static_selectorELNS0_4arch9wavefront6targetE1EEEvSG_,comdat
	.protected	_ZN7rocprim17ROCPRIM_400000_NS6detail17trampoline_kernelINS0_14default_configENS1_35radix_sort_onesweep_config_selectorIslEEZZNS1_29radix_sort_onesweep_iterationIS3_Lb0EPsS7_N6thrust23THRUST_200600_302600_NS10device_ptrIlEESB_jNS0_19identity_decomposerENS1_16block_id_wrapperIjLb1EEEEE10hipError_tT1_PNSt15iterator_traitsISG_E10value_typeET2_T3_PNSH_ISM_E10value_typeET4_T5_PSR_SS_PNS1_23onesweep_lookback_stateEbbT6_jjT7_P12ihipStream_tbENKUlT_T0_SG_SL_E_clIS7_S7_PlSB_EEDaSZ_S10_SG_SL_EUlSZ_E_NS1_11comp_targetILNS1_3genE6ELNS1_11target_archE950ELNS1_3gpuE13ELNS1_3repE0EEENS1_47radix_sort_onesweep_sort_config_static_selectorELNS0_4arch9wavefront6targetE1EEEvSG_ ; -- Begin function _ZN7rocprim17ROCPRIM_400000_NS6detail17trampoline_kernelINS0_14default_configENS1_35radix_sort_onesweep_config_selectorIslEEZZNS1_29radix_sort_onesweep_iterationIS3_Lb0EPsS7_N6thrust23THRUST_200600_302600_NS10device_ptrIlEESB_jNS0_19identity_decomposerENS1_16block_id_wrapperIjLb1EEEEE10hipError_tT1_PNSt15iterator_traitsISG_E10value_typeET2_T3_PNSH_ISM_E10value_typeET4_T5_PSR_SS_PNS1_23onesweep_lookback_stateEbbT6_jjT7_P12ihipStream_tbENKUlT_T0_SG_SL_E_clIS7_S7_PlSB_EEDaSZ_S10_SG_SL_EUlSZ_E_NS1_11comp_targetILNS1_3genE6ELNS1_11target_archE950ELNS1_3gpuE13ELNS1_3repE0EEENS1_47radix_sort_onesweep_sort_config_static_selectorELNS0_4arch9wavefront6targetE1EEEvSG_
	.globl	_ZN7rocprim17ROCPRIM_400000_NS6detail17trampoline_kernelINS0_14default_configENS1_35radix_sort_onesweep_config_selectorIslEEZZNS1_29radix_sort_onesweep_iterationIS3_Lb0EPsS7_N6thrust23THRUST_200600_302600_NS10device_ptrIlEESB_jNS0_19identity_decomposerENS1_16block_id_wrapperIjLb1EEEEE10hipError_tT1_PNSt15iterator_traitsISG_E10value_typeET2_T3_PNSH_ISM_E10value_typeET4_T5_PSR_SS_PNS1_23onesweep_lookback_stateEbbT6_jjT7_P12ihipStream_tbENKUlT_T0_SG_SL_E_clIS7_S7_PlSB_EEDaSZ_S10_SG_SL_EUlSZ_E_NS1_11comp_targetILNS1_3genE6ELNS1_11target_archE950ELNS1_3gpuE13ELNS1_3repE0EEENS1_47radix_sort_onesweep_sort_config_static_selectorELNS0_4arch9wavefront6targetE1EEEvSG_
	.p2align	8
	.type	_ZN7rocprim17ROCPRIM_400000_NS6detail17trampoline_kernelINS0_14default_configENS1_35radix_sort_onesweep_config_selectorIslEEZZNS1_29radix_sort_onesweep_iterationIS3_Lb0EPsS7_N6thrust23THRUST_200600_302600_NS10device_ptrIlEESB_jNS0_19identity_decomposerENS1_16block_id_wrapperIjLb1EEEEE10hipError_tT1_PNSt15iterator_traitsISG_E10value_typeET2_T3_PNSH_ISM_E10value_typeET4_T5_PSR_SS_PNS1_23onesweep_lookback_stateEbbT6_jjT7_P12ihipStream_tbENKUlT_T0_SG_SL_E_clIS7_S7_PlSB_EEDaSZ_S10_SG_SL_EUlSZ_E_NS1_11comp_targetILNS1_3genE6ELNS1_11target_archE950ELNS1_3gpuE13ELNS1_3repE0EEENS1_47radix_sort_onesweep_sort_config_static_selectorELNS0_4arch9wavefront6targetE1EEEvSG_,@function
_ZN7rocprim17ROCPRIM_400000_NS6detail17trampoline_kernelINS0_14default_configENS1_35radix_sort_onesweep_config_selectorIslEEZZNS1_29radix_sort_onesweep_iterationIS3_Lb0EPsS7_N6thrust23THRUST_200600_302600_NS10device_ptrIlEESB_jNS0_19identity_decomposerENS1_16block_id_wrapperIjLb1EEEEE10hipError_tT1_PNSt15iterator_traitsISG_E10value_typeET2_T3_PNSH_ISM_E10value_typeET4_T5_PSR_SS_PNS1_23onesweep_lookback_stateEbbT6_jjT7_P12ihipStream_tbENKUlT_T0_SG_SL_E_clIS7_S7_PlSB_EEDaSZ_S10_SG_SL_EUlSZ_E_NS1_11comp_targetILNS1_3genE6ELNS1_11target_archE950ELNS1_3gpuE13ELNS1_3repE0EEENS1_47radix_sort_onesweep_sort_config_static_selectorELNS0_4arch9wavefront6targetE1EEEvSG_: ; @_ZN7rocprim17ROCPRIM_400000_NS6detail17trampoline_kernelINS0_14default_configENS1_35radix_sort_onesweep_config_selectorIslEEZZNS1_29radix_sort_onesweep_iterationIS3_Lb0EPsS7_N6thrust23THRUST_200600_302600_NS10device_ptrIlEESB_jNS0_19identity_decomposerENS1_16block_id_wrapperIjLb1EEEEE10hipError_tT1_PNSt15iterator_traitsISG_E10value_typeET2_T3_PNSH_ISM_E10value_typeET4_T5_PSR_SS_PNS1_23onesweep_lookback_stateEbbT6_jjT7_P12ihipStream_tbENKUlT_T0_SG_SL_E_clIS7_S7_PlSB_EEDaSZ_S10_SG_SL_EUlSZ_E_NS1_11comp_targetILNS1_3genE6ELNS1_11target_archE950ELNS1_3gpuE13ELNS1_3repE0EEENS1_47radix_sort_onesweep_sort_config_static_selectorELNS0_4arch9wavefront6targetE1EEEvSG_
; %bb.0:
	.section	.rodata,"a",@progbits
	.p2align	6, 0x0
	.amdhsa_kernel _ZN7rocprim17ROCPRIM_400000_NS6detail17trampoline_kernelINS0_14default_configENS1_35radix_sort_onesweep_config_selectorIslEEZZNS1_29radix_sort_onesweep_iterationIS3_Lb0EPsS7_N6thrust23THRUST_200600_302600_NS10device_ptrIlEESB_jNS0_19identity_decomposerENS1_16block_id_wrapperIjLb1EEEEE10hipError_tT1_PNSt15iterator_traitsISG_E10value_typeET2_T3_PNSH_ISM_E10value_typeET4_T5_PSR_SS_PNS1_23onesweep_lookback_stateEbbT6_jjT7_P12ihipStream_tbENKUlT_T0_SG_SL_E_clIS7_S7_PlSB_EEDaSZ_S10_SG_SL_EUlSZ_E_NS1_11comp_targetILNS1_3genE6ELNS1_11target_archE950ELNS1_3gpuE13ELNS1_3repE0EEENS1_47radix_sort_onesweep_sort_config_static_selectorELNS0_4arch9wavefront6targetE1EEEvSG_
		.amdhsa_group_segment_fixed_size 0
		.amdhsa_private_segment_fixed_size 0
		.amdhsa_kernarg_size 88
		.amdhsa_user_sgpr_count 6
		.amdhsa_user_sgpr_private_segment_buffer 1
		.amdhsa_user_sgpr_dispatch_ptr 0
		.amdhsa_user_sgpr_queue_ptr 0
		.amdhsa_user_sgpr_kernarg_segment_ptr 1
		.amdhsa_user_sgpr_dispatch_id 0
		.amdhsa_user_sgpr_flat_scratch_init 0
		.amdhsa_user_sgpr_kernarg_preload_length 0
		.amdhsa_user_sgpr_kernarg_preload_offset 0
		.amdhsa_user_sgpr_private_segment_size 0
		.amdhsa_uses_dynamic_stack 0
		.amdhsa_system_sgpr_private_segment_wavefront_offset 0
		.amdhsa_system_sgpr_workgroup_id_x 1
		.amdhsa_system_sgpr_workgroup_id_y 0
		.amdhsa_system_sgpr_workgroup_id_z 0
		.amdhsa_system_sgpr_workgroup_info 0
		.amdhsa_system_vgpr_workitem_id 0
		.amdhsa_next_free_vgpr 1
		.amdhsa_next_free_sgpr 0
		.amdhsa_accum_offset 4
		.amdhsa_reserve_vcc 0
		.amdhsa_reserve_flat_scratch 0
		.amdhsa_float_round_mode_32 0
		.amdhsa_float_round_mode_16_64 0
		.amdhsa_float_denorm_mode_32 3
		.amdhsa_float_denorm_mode_16_64 3
		.amdhsa_dx10_clamp 1
		.amdhsa_ieee_mode 1
		.amdhsa_fp16_overflow 0
		.amdhsa_tg_split 0
		.amdhsa_exception_fp_ieee_invalid_op 0
		.amdhsa_exception_fp_denorm_src 0
		.amdhsa_exception_fp_ieee_div_zero 0
		.amdhsa_exception_fp_ieee_overflow 0
		.amdhsa_exception_fp_ieee_underflow 0
		.amdhsa_exception_fp_ieee_inexact 0
		.amdhsa_exception_int_div_zero 0
	.end_amdhsa_kernel
	.section	.text._ZN7rocprim17ROCPRIM_400000_NS6detail17trampoline_kernelINS0_14default_configENS1_35radix_sort_onesweep_config_selectorIslEEZZNS1_29radix_sort_onesweep_iterationIS3_Lb0EPsS7_N6thrust23THRUST_200600_302600_NS10device_ptrIlEESB_jNS0_19identity_decomposerENS1_16block_id_wrapperIjLb1EEEEE10hipError_tT1_PNSt15iterator_traitsISG_E10value_typeET2_T3_PNSH_ISM_E10value_typeET4_T5_PSR_SS_PNS1_23onesweep_lookback_stateEbbT6_jjT7_P12ihipStream_tbENKUlT_T0_SG_SL_E_clIS7_S7_PlSB_EEDaSZ_S10_SG_SL_EUlSZ_E_NS1_11comp_targetILNS1_3genE6ELNS1_11target_archE950ELNS1_3gpuE13ELNS1_3repE0EEENS1_47radix_sort_onesweep_sort_config_static_selectorELNS0_4arch9wavefront6targetE1EEEvSG_,"axG",@progbits,_ZN7rocprim17ROCPRIM_400000_NS6detail17trampoline_kernelINS0_14default_configENS1_35radix_sort_onesweep_config_selectorIslEEZZNS1_29radix_sort_onesweep_iterationIS3_Lb0EPsS7_N6thrust23THRUST_200600_302600_NS10device_ptrIlEESB_jNS0_19identity_decomposerENS1_16block_id_wrapperIjLb1EEEEE10hipError_tT1_PNSt15iterator_traitsISG_E10value_typeET2_T3_PNSH_ISM_E10value_typeET4_T5_PSR_SS_PNS1_23onesweep_lookback_stateEbbT6_jjT7_P12ihipStream_tbENKUlT_T0_SG_SL_E_clIS7_S7_PlSB_EEDaSZ_S10_SG_SL_EUlSZ_E_NS1_11comp_targetILNS1_3genE6ELNS1_11target_archE950ELNS1_3gpuE13ELNS1_3repE0EEENS1_47radix_sort_onesweep_sort_config_static_selectorELNS0_4arch9wavefront6targetE1EEEvSG_,comdat
.Lfunc_end1417:
	.size	_ZN7rocprim17ROCPRIM_400000_NS6detail17trampoline_kernelINS0_14default_configENS1_35radix_sort_onesweep_config_selectorIslEEZZNS1_29radix_sort_onesweep_iterationIS3_Lb0EPsS7_N6thrust23THRUST_200600_302600_NS10device_ptrIlEESB_jNS0_19identity_decomposerENS1_16block_id_wrapperIjLb1EEEEE10hipError_tT1_PNSt15iterator_traitsISG_E10value_typeET2_T3_PNSH_ISM_E10value_typeET4_T5_PSR_SS_PNS1_23onesweep_lookback_stateEbbT6_jjT7_P12ihipStream_tbENKUlT_T0_SG_SL_E_clIS7_S7_PlSB_EEDaSZ_S10_SG_SL_EUlSZ_E_NS1_11comp_targetILNS1_3genE6ELNS1_11target_archE950ELNS1_3gpuE13ELNS1_3repE0EEENS1_47radix_sort_onesweep_sort_config_static_selectorELNS0_4arch9wavefront6targetE1EEEvSG_, .Lfunc_end1417-_ZN7rocprim17ROCPRIM_400000_NS6detail17trampoline_kernelINS0_14default_configENS1_35radix_sort_onesweep_config_selectorIslEEZZNS1_29radix_sort_onesweep_iterationIS3_Lb0EPsS7_N6thrust23THRUST_200600_302600_NS10device_ptrIlEESB_jNS0_19identity_decomposerENS1_16block_id_wrapperIjLb1EEEEE10hipError_tT1_PNSt15iterator_traitsISG_E10value_typeET2_T3_PNSH_ISM_E10value_typeET4_T5_PSR_SS_PNS1_23onesweep_lookback_stateEbbT6_jjT7_P12ihipStream_tbENKUlT_T0_SG_SL_E_clIS7_S7_PlSB_EEDaSZ_S10_SG_SL_EUlSZ_E_NS1_11comp_targetILNS1_3genE6ELNS1_11target_archE950ELNS1_3gpuE13ELNS1_3repE0EEENS1_47radix_sort_onesweep_sort_config_static_selectorELNS0_4arch9wavefront6targetE1EEEvSG_
                                        ; -- End function
	.section	.AMDGPU.csdata,"",@progbits
; Kernel info:
; codeLenInByte = 0
; NumSgprs: 4
; NumVgprs: 0
; NumAgprs: 0
; TotalNumVgprs: 0
; ScratchSize: 0
; MemoryBound: 0
; FloatMode: 240
; IeeeMode: 1
; LDSByteSize: 0 bytes/workgroup (compile time only)
; SGPRBlocks: 0
; VGPRBlocks: 0
; NumSGPRsForWavesPerEU: 4
; NumVGPRsForWavesPerEU: 1
; AccumOffset: 4
; Occupancy: 8
; WaveLimiterHint : 0
; COMPUTE_PGM_RSRC2:SCRATCH_EN: 0
; COMPUTE_PGM_RSRC2:USER_SGPR: 6
; COMPUTE_PGM_RSRC2:TRAP_HANDLER: 0
; COMPUTE_PGM_RSRC2:TGID_X_EN: 1
; COMPUTE_PGM_RSRC2:TGID_Y_EN: 0
; COMPUTE_PGM_RSRC2:TGID_Z_EN: 0
; COMPUTE_PGM_RSRC2:TIDIG_COMP_CNT: 0
; COMPUTE_PGM_RSRC3_GFX90A:ACCUM_OFFSET: 0
; COMPUTE_PGM_RSRC3_GFX90A:TG_SPLIT: 0
	.section	.text._ZN7rocprim17ROCPRIM_400000_NS6detail17trampoline_kernelINS0_14default_configENS1_35radix_sort_onesweep_config_selectorIslEEZZNS1_29radix_sort_onesweep_iterationIS3_Lb0EPsS7_N6thrust23THRUST_200600_302600_NS10device_ptrIlEESB_jNS0_19identity_decomposerENS1_16block_id_wrapperIjLb1EEEEE10hipError_tT1_PNSt15iterator_traitsISG_E10value_typeET2_T3_PNSH_ISM_E10value_typeET4_T5_PSR_SS_PNS1_23onesweep_lookback_stateEbbT6_jjT7_P12ihipStream_tbENKUlT_T0_SG_SL_E_clIS7_S7_PlSB_EEDaSZ_S10_SG_SL_EUlSZ_E_NS1_11comp_targetILNS1_3genE5ELNS1_11target_archE942ELNS1_3gpuE9ELNS1_3repE0EEENS1_47radix_sort_onesweep_sort_config_static_selectorELNS0_4arch9wavefront6targetE1EEEvSG_,"axG",@progbits,_ZN7rocprim17ROCPRIM_400000_NS6detail17trampoline_kernelINS0_14default_configENS1_35radix_sort_onesweep_config_selectorIslEEZZNS1_29radix_sort_onesweep_iterationIS3_Lb0EPsS7_N6thrust23THRUST_200600_302600_NS10device_ptrIlEESB_jNS0_19identity_decomposerENS1_16block_id_wrapperIjLb1EEEEE10hipError_tT1_PNSt15iterator_traitsISG_E10value_typeET2_T3_PNSH_ISM_E10value_typeET4_T5_PSR_SS_PNS1_23onesweep_lookback_stateEbbT6_jjT7_P12ihipStream_tbENKUlT_T0_SG_SL_E_clIS7_S7_PlSB_EEDaSZ_S10_SG_SL_EUlSZ_E_NS1_11comp_targetILNS1_3genE5ELNS1_11target_archE942ELNS1_3gpuE9ELNS1_3repE0EEENS1_47radix_sort_onesweep_sort_config_static_selectorELNS0_4arch9wavefront6targetE1EEEvSG_,comdat
	.protected	_ZN7rocprim17ROCPRIM_400000_NS6detail17trampoline_kernelINS0_14default_configENS1_35radix_sort_onesweep_config_selectorIslEEZZNS1_29radix_sort_onesweep_iterationIS3_Lb0EPsS7_N6thrust23THRUST_200600_302600_NS10device_ptrIlEESB_jNS0_19identity_decomposerENS1_16block_id_wrapperIjLb1EEEEE10hipError_tT1_PNSt15iterator_traitsISG_E10value_typeET2_T3_PNSH_ISM_E10value_typeET4_T5_PSR_SS_PNS1_23onesweep_lookback_stateEbbT6_jjT7_P12ihipStream_tbENKUlT_T0_SG_SL_E_clIS7_S7_PlSB_EEDaSZ_S10_SG_SL_EUlSZ_E_NS1_11comp_targetILNS1_3genE5ELNS1_11target_archE942ELNS1_3gpuE9ELNS1_3repE0EEENS1_47radix_sort_onesweep_sort_config_static_selectorELNS0_4arch9wavefront6targetE1EEEvSG_ ; -- Begin function _ZN7rocprim17ROCPRIM_400000_NS6detail17trampoline_kernelINS0_14default_configENS1_35radix_sort_onesweep_config_selectorIslEEZZNS1_29radix_sort_onesweep_iterationIS3_Lb0EPsS7_N6thrust23THRUST_200600_302600_NS10device_ptrIlEESB_jNS0_19identity_decomposerENS1_16block_id_wrapperIjLb1EEEEE10hipError_tT1_PNSt15iterator_traitsISG_E10value_typeET2_T3_PNSH_ISM_E10value_typeET4_T5_PSR_SS_PNS1_23onesweep_lookback_stateEbbT6_jjT7_P12ihipStream_tbENKUlT_T0_SG_SL_E_clIS7_S7_PlSB_EEDaSZ_S10_SG_SL_EUlSZ_E_NS1_11comp_targetILNS1_3genE5ELNS1_11target_archE942ELNS1_3gpuE9ELNS1_3repE0EEENS1_47radix_sort_onesweep_sort_config_static_selectorELNS0_4arch9wavefront6targetE1EEEvSG_
	.globl	_ZN7rocprim17ROCPRIM_400000_NS6detail17trampoline_kernelINS0_14default_configENS1_35radix_sort_onesweep_config_selectorIslEEZZNS1_29radix_sort_onesweep_iterationIS3_Lb0EPsS7_N6thrust23THRUST_200600_302600_NS10device_ptrIlEESB_jNS0_19identity_decomposerENS1_16block_id_wrapperIjLb1EEEEE10hipError_tT1_PNSt15iterator_traitsISG_E10value_typeET2_T3_PNSH_ISM_E10value_typeET4_T5_PSR_SS_PNS1_23onesweep_lookback_stateEbbT6_jjT7_P12ihipStream_tbENKUlT_T0_SG_SL_E_clIS7_S7_PlSB_EEDaSZ_S10_SG_SL_EUlSZ_E_NS1_11comp_targetILNS1_3genE5ELNS1_11target_archE942ELNS1_3gpuE9ELNS1_3repE0EEENS1_47radix_sort_onesweep_sort_config_static_selectorELNS0_4arch9wavefront6targetE1EEEvSG_
	.p2align	8
	.type	_ZN7rocprim17ROCPRIM_400000_NS6detail17trampoline_kernelINS0_14default_configENS1_35radix_sort_onesweep_config_selectorIslEEZZNS1_29radix_sort_onesweep_iterationIS3_Lb0EPsS7_N6thrust23THRUST_200600_302600_NS10device_ptrIlEESB_jNS0_19identity_decomposerENS1_16block_id_wrapperIjLb1EEEEE10hipError_tT1_PNSt15iterator_traitsISG_E10value_typeET2_T3_PNSH_ISM_E10value_typeET4_T5_PSR_SS_PNS1_23onesweep_lookback_stateEbbT6_jjT7_P12ihipStream_tbENKUlT_T0_SG_SL_E_clIS7_S7_PlSB_EEDaSZ_S10_SG_SL_EUlSZ_E_NS1_11comp_targetILNS1_3genE5ELNS1_11target_archE942ELNS1_3gpuE9ELNS1_3repE0EEENS1_47radix_sort_onesweep_sort_config_static_selectorELNS0_4arch9wavefront6targetE1EEEvSG_,@function
_ZN7rocprim17ROCPRIM_400000_NS6detail17trampoline_kernelINS0_14default_configENS1_35radix_sort_onesweep_config_selectorIslEEZZNS1_29radix_sort_onesweep_iterationIS3_Lb0EPsS7_N6thrust23THRUST_200600_302600_NS10device_ptrIlEESB_jNS0_19identity_decomposerENS1_16block_id_wrapperIjLb1EEEEE10hipError_tT1_PNSt15iterator_traitsISG_E10value_typeET2_T3_PNSH_ISM_E10value_typeET4_T5_PSR_SS_PNS1_23onesweep_lookback_stateEbbT6_jjT7_P12ihipStream_tbENKUlT_T0_SG_SL_E_clIS7_S7_PlSB_EEDaSZ_S10_SG_SL_EUlSZ_E_NS1_11comp_targetILNS1_3genE5ELNS1_11target_archE942ELNS1_3gpuE9ELNS1_3repE0EEENS1_47radix_sort_onesweep_sort_config_static_selectorELNS0_4arch9wavefront6targetE1EEEvSG_: ; @_ZN7rocprim17ROCPRIM_400000_NS6detail17trampoline_kernelINS0_14default_configENS1_35radix_sort_onesweep_config_selectorIslEEZZNS1_29radix_sort_onesweep_iterationIS3_Lb0EPsS7_N6thrust23THRUST_200600_302600_NS10device_ptrIlEESB_jNS0_19identity_decomposerENS1_16block_id_wrapperIjLb1EEEEE10hipError_tT1_PNSt15iterator_traitsISG_E10value_typeET2_T3_PNSH_ISM_E10value_typeET4_T5_PSR_SS_PNS1_23onesweep_lookback_stateEbbT6_jjT7_P12ihipStream_tbENKUlT_T0_SG_SL_E_clIS7_S7_PlSB_EEDaSZ_S10_SG_SL_EUlSZ_E_NS1_11comp_targetILNS1_3genE5ELNS1_11target_archE942ELNS1_3gpuE9ELNS1_3repE0EEENS1_47radix_sort_onesweep_sort_config_static_selectorELNS0_4arch9wavefront6targetE1EEEvSG_
; %bb.0:
	.section	.rodata,"a",@progbits
	.p2align	6, 0x0
	.amdhsa_kernel _ZN7rocprim17ROCPRIM_400000_NS6detail17trampoline_kernelINS0_14default_configENS1_35radix_sort_onesweep_config_selectorIslEEZZNS1_29radix_sort_onesweep_iterationIS3_Lb0EPsS7_N6thrust23THRUST_200600_302600_NS10device_ptrIlEESB_jNS0_19identity_decomposerENS1_16block_id_wrapperIjLb1EEEEE10hipError_tT1_PNSt15iterator_traitsISG_E10value_typeET2_T3_PNSH_ISM_E10value_typeET4_T5_PSR_SS_PNS1_23onesweep_lookback_stateEbbT6_jjT7_P12ihipStream_tbENKUlT_T0_SG_SL_E_clIS7_S7_PlSB_EEDaSZ_S10_SG_SL_EUlSZ_E_NS1_11comp_targetILNS1_3genE5ELNS1_11target_archE942ELNS1_3gpuE9ELNS1_3repE0EEENS1_47radix_sort_onesweep_sort_config_static_selectorELNS0_4arch9wavefront6targetE1EEEvSG_
		.amdhsa_group_segment_fixed_size 0
		.amdhsa_private_segment_fixed_size 0
		.amdhsa_kernarg_size 88
		.amdhsa_user_sgpr_count 6
		.amdhsa_user_sgpr_private_segment_buffer 1
		.amdhsa_user_sgpr_dispatch_ptr 0
		.amdhsa_user_sgpr_queue_ptr 0
		.amdhsa_user_sgpr_kernarg_segment_ptr 1
		.amdhsa_user_sgpr_dispatch_id 0
		.amdhsa_user_sgpr_flat_scratch_init 0
		.amdhsa_user_sgpr_kernarg_preload_length 0
		.amdhsa_user_sgpr_kernarg_preload_offset 0
		.amdhsa_user_sgpr_private_segment_size 0
		.amdhsa_uses_dynamic_stack 0
		.amdhsa_system_sgpr_private_segment_wavefront_offset 0
		.amdhsa_system_sgpr_workgroup_id_x 1
		.amdhsa_system_sgpr_workgroup_id_y 0
		.amdhsa_system_sgpr_workgroup_id_z 0
		.amdhsa_system_sgpr_workgroup_info 0
		.amdhsa_system_vgpr_workitem_id 0
		.amdhsa_next_free_vgpr 1
		.amdhsa_next_free_sgpr 0
		.amdhsa_accum_offset 4
		.amdhsa_reserve_vcc 0
		.amdhsa_reserve_flat_scratch 0
		.amdhsa_float_round_mode_32 0
		.amdhsa_float_round_mode_16_64 0
		.amdhsa_float_denorm_mode_32 3
		.amdhsa_float_denorm_mode_16_64 3
		.amdhsa_dx10_clamp 1
		.amdhsa_ieee_mode 1
		.amdhsa_fp16_overflow 0
		.amdhsa_tg_split 0
		.amdhsa_exception_fp_ieee_invalid_op 0
		.amdhsa_exception_fp_denorm_src 0
		.amdhsa_exception_fp_ieee_div_zero 0
		.amdhsa_exception_fp_ieee_overflow 0
		.amdhsa_exception_fp_ieee_underflow 0
		.amdhsa_exception_fp_ieee_inexact 0
		.amdhsa_exception_int_div_zero 0
	.end_amdhsa_kernel
	.section	.text._ZN7rocprim17ROCPRIM_400000_NS6detail17trampoline_kernelINS0_14default_configENS1_35radix_sort_onesweep_config_selectorIslEEZZNS1_29radix_sort_onesweep_iterationIS3_Lb0EPsS7_N6thrust23THRUST_200600_302600_NS10device_ptrIlEESB_jNS0_19identity_decomposerENS1_16block_id_wrapperIjLb1EEEEE10hipError_tT1_PNSt15iterator_traitsISG_E10value_typeET2_T3_PNSH_ISM_E10value_typeET4_T5_PSR_SS_PNS1_23onesweep_lookback_stateEbbT6_jjT7_P12ihipStream_tbENKUlT_T0_SG_SL_E_clIS7_S7_PlSB_EEDaSZ_S10_SG_SL_EUlSZ_E_NS1_11comp_targetILNS1_3genE5ELNS1_11target_archE942ELNS1_3gpuE9ELNS1_3repE0EEENS1_47radix_sort_onesweep_sort_config_static_selectorELNS0_4arch9wavefront6targetE1EEEvSG_,"axG",@progbits,_ZN7rocprim17ROCPRIM_400000_NS6detail17trampoline_kernelINS0_14default_configENS1_35radix_sort_onesweep_config_selectorIslEEZZNS1_29radix_sort_onesweep_iterationIS3_Lb0EPsS7_N6thrust23THRUST_200600_302600_NS10device_ptrIlEESB_jNS0_19identity_decomposerENS1_16block_id_wrapperIjLb1EEEEE10hipError_tT1_PNSt15iterator_traitsISG_E10value_typeET2_T3_PNSH_ISM_E10value_typeET4_T5_PSR_SS_PNS1_23onesweep_lookback_stateEbbT6_jjT7_P12ihipStream_tbENKUlT_T0_SG_SL_E_clIS7_S7_PlSB_EEDaSZ_S10_SG_SL_EUlSZ_E_NS1_11comp_targetILNS1_3genE5ELNS1_11target_archE942ELNS1_3gpuE9ELNS1_3repE0EEENS1_47radix_sort_onesweep_sort_config_static_selectorELNS0_4arch9wavefront6targetE1EEEvSG_,comdat
.Lfunc_end1418:
	.size	_ZN7rocprim17ROCPRIM_400000_NS6detail17trampoline_kernelINS0_14default_configENS1_35radix_sort_onesweep_config_selectorIslEEZZNS1_29radix_sort_onesweep_iterationIS3_Lb0EPsS7_N6thrust23THRUST_200600_302600_NS10device_ptrIlEESB_jNS0_19identity_decomposerENS1_16block_id_wrapperIjLb1EEEEE10hipError_tT1_PNSt15iterator_traitsISG_E10value_typeET2_T3_PNSH_ISM_E10value_typeET4_T5_PSR_SS_PNS1_23onesweep_lookback_stateEbbT6_jjT7_P12ihipStream_tbENKUlT_T0_SG_SL_E_clIS7_S7_PlSB_EEDaSZ_S10_SG_SL_EUlSZ_E_NS1_11comp_targetILNS1_3genE5ELNS1_11target_archE942ELNS1_3gpuE9ELNS1_3repE0EEENS1_47radix_sort_onesweep_sort_config_static_selectorELNS0_4arch9wavefront6targetE1EEEvSG_, .Lfunc_end1418-_ZN7rocprim17ROCPRIM_400000_NS6detail17trampoline_kernelINS0_14default_configENS1_35radix_sort_onesweep_config_selectorIslEEZZNS1_29radix_sort_onesweep_iterationIS3_Lb0EPsS7_N6thrust23THRUST_200600_302600_NS10device_ptrIlEESB_jNS0_19identity_decomposerENS1_16block_id_wrapperIjLb1EEEEE10hipError_tT1_PNSt15iterator_traitsISG_E10value_typeET2_T3_PNSH_ISM_E10value_typeET4_T5_PSR_SS_PNS1_23onesweep_lookback_stateEbbT6_jjT7_P12ihipStream_tbENKUlT_T0_SG_SL_E_clIS7_S7_PlSB_EEDaSZ_S10_SG_SL_EUlSZ_E_NS1_11comp_targetILNS1_3genE5ELNS1_11target_archE942ELNS1_3gpuE9ELNS1_3repE0EEENS1_47radix_sort_onesweep_sort_config_static_selectorELNS0_4arch9wavefront6targetE1EEEvSG_
                                        ; -- End function
	.section	.AMDGPU.csdata,"",@progbits
; Kernel info:
; codeLenInByte = 0
; NumSgprs: 4
; NumVgprs: 0
; NumAgprs: 0
; TotalNumVgprs: 0
; ScratchSize: 0
; MemoryBound: 0
; FloatMode: 240
; IeeeMode: 1
; LDSByteSize: 0 bytes/workgroup (compile time only)
; SGPRBlocks: 0
; VGPRBlocks: 0
; NumSGPRsForWavesPerEU: 4
; NumVGPRsForWavesPerEU: 1
; AccumOffset: 4
; Occupancy: 8
; WaveLimiterHint : 0
; COMPUTE_PGM_RSRC2:SCRATCH_EN: 0
; COMPUTE_PGM_RSRC2:USER_SGPR: 6
; COMPUTE_PGM_RSRC2:TRAP_HANDLER: 0
; COMPUTE_PGM_RSRC2:TGID_X_EN: 1
; COMPUTE_PGM_RSRC2:TGID_Y_EN: 0
; COMPUTE_PGM_RSRC2:TGID_Z_EN: 0
; COMPUTE_PGM_RSRC2:TIDIG_COMP_CNT: 0
; COMPUTE_PGM_RSRC3_GFX90A:ACCUM_OFFSET: 0
; COMPUTE_PGM_RSRC3_GFX90A:TG_SPLIT: 0
	.section	.text._ZN7rocprim17ROCPRIM_400000_NS6detail17trampoline_kernelINS0_14default_configENS1_35radix_sort_onesweep_config_selectorIslEEZZNS1_29radix_sort_onesweep_iterationIS3_Lb0EPsS7_N6thrust23THRUST_200600_302600_NS10device_ptrIlEESB_jNS0_19identity_decomposerENS1_16block_id_wrapperIjLb1EEEEE10hipError_tT1_PNSt15iterator_traitsISG_E10value_typeET2_T3_PNSH_ISM_E10value_typeET4_T5_PSR_SS_PNS1_23onesweep_lookback_stateEbbT6_jjT7_P12ihipStream_tbENKUlT_T0_SG_SL_E_clIS7_S7_PlSB_EEDaSZ_S10_SG_SL_EUlSZ_E_NS1_11comp_targetILNS1_3genE2ELNS1_11target_archE906ELNS1_3gpuE6ELNS1_3repE0EEENS1_47radix_sort_onesweep_sort_config_static_selectorELNS0_4arch9wavefront6targetE1EEEvSG_,"axG",@progbits,_ZN7rocprim17ROCPRIM_400000_NS6detail17trampoline_kernelINS0_14default_configENS1_35radix_sort_onesweep_config_selectorIslEEZZNS1_29radix_sort_onesweep_iterationIS3_Lb0EPsS7_N6thrust23THRUST_200600_302600_NS10device_ptrIlEESB_jNS0_19identity_decomposerENS1_16block_id_wrapperIjLb1EEEEE10hipError_tT1_PNSt15iterator_traitsISG_E10value_typeET2_T3_PNSH_ISM_E10value_typeET4_T5_PSR_SS_PNS1_23onesweep_lookback_stateEbbT6_jjT7_P12ihipStream_tbENKUlT_T0_SG_SL_E_clIS7_S7_PlSB_EEDaSZ_S10_SG_SL_EUlSZ_E_NS1_11comp_targetILNS1_3genE2ELNS1_11target_archE906ELNS1_3gpuE6ELNS1_3repE0EEENS1_47radix_sort_onesweep_sort_config_static_selectorELNS0_4arch9wavefront6targetE1EEEvSG_,comdat
	.protected	_ZN7rocprim17ROCPRIM_400000_NS6detail17trampoline_kernelINS0_14default_configENS1_35radix_sort_onesweep_config_selectorIslEEZZNS1_29radix_sort_onesweep_iterationIS3_Lb0EPsS7_N6thrust23THRUST_200600_302600_NS10device_ptrIlEESB_jNS0_19identity_decomposerENS1_16block_id_wrapperIjLb1EEEEE10hipError_tT1_PNSt15iterator_traitsISG_E10value_typeET2_T3_PNSH_ISM_E10value_typeET4_T5_PSR_SS_PNS1_23onesweep_lookback_stateEbbT6_jjT7_P12ihipStream_tbENKUlT_T0_SG_SL_E_clIS7_S7_PlSB_EEDaSZ_S10_SG_SL_EUlSZ_E_NS1_11comp_targetILNS1_3genE2ELNS1_11target_archE906ELNS1_3gpuE6ELNS1_3repE0EEENS1_47radix_sort_onesweep_sort_config_static_selectorELNS0_4arch9wavefront6targetE1EEEvSG_ ; -- Begin function _ZN7rocprim17ROCPRIM_400000_NS6detail17trampoline_kernelINS0_14default_configENS1_35radix_sort_onesweep_config_selectorIslEEZZNS1_29radix_sort_onesweep_iterationIS3_Lb0EPsS7_N6thrust23THRUST_200600_302600_NS10device_ptrIlEESB_jNS0_19identity_decomposerENS1_16block_id_wrapperIjLb1EEEEE10hipError_tT1_PNSt15iterator_traitsISG_E10value_typeET2_T3_PNSH_ISM_E10value_typeET4_T5_PSR_SS_PNS1_23onesweep_lookback_stateEbbT6_jjT7_P12ihipStream_tbENKUlT_T0_SG_SL_E_clIS7_S7_PlSB_EEDaSZ_S10_SG_SL_EUlSZ_E_NS1_11comp_targetILNS1_3genE2ELNS1_11target_archE906ELNS1_3gpuE6ELNS1_3repE0EEENS1_47radix_sort_onesweep_sort_config_static_selectorELNS0_4arch9wavefront6targetE1EEEvSG_
	.globl	_ZN7rocprim17ROCPRIM_400000_NS6detail17trampoline_kernelINS0_14default_configENS1_35radix_sort_onesweep_config_selectorIslEEZZNS1_29radix_sort_onesweep_iterationIS3_Lb0EPsS7_N6thrust23THRUST_200600_302600_NS10device_ptrIlEESB_jNS0_19identity_decomposerENS1_16block_id_wrapperIjLb1EEEEE10hipError_tT1_PNSt15iterator_traitsISG_E10value_typeET2_T3_PNSH_ISM_E10value_typeET4_T5_PSR_SS_PNS1_23onesweep_lookback_stateEbbT6_jjT7_P12ihipStream_tbENKUlT_T0_SG_SL_E_clIS7_S7_PlSB_EEDaSZ_S10_SG_SL_EUlSZ_E_NS1_11comp_targetILNS1_3genE2ELNS1_11target_archE906ELNS1_3gpuE6ELNS1_3repE0EEENS1_47radix_sort_onesweep_sort_config_static_selectorELNS0_4arch9wavefront6targetE1EEEvSG_
	.p2align	8
	.type	_ZN7rocprim17ROCPRIM_400000_NS6detail17trampoline_kernelINS0_14default_configENS1_35radix_sort_onesweep_config_selectorIslEEZZNS1_29radix_sort_onesweep_iterationIS3_Lb0EPsS7_N6thrust23THRUST_200600_302600_NS10device_ptrIlEESB_jNS0_19identity_decomposerENS1_16block_id_wrapperIjLb1EEEEE10hipError_tT1_PNSt15iterator_traitsISG_E10value_typeET2_T3_PNSH_ISM_E10value_typeET4_T5_PSR_SS_PNS1_23onesweep_lookback_stateEbbT6_jjT7_P12ihipStream_tbENKUlT_T0_SG_SL_E_clIS7_S7_PlSB_EEDaSZ_S10_SG_SL_EUlSZ_E_NS1_11comp_targetILNS1_3genE2ELNS1_11target_archE906ELNS1_3gpuE6ELNS1_3repE0EEENS1_47radix_sort_onesweep_sort_config_static_selectorELNS0_4arch9wavefront6targetE1EEEvSG_,@function
_ZN7rocprim17ROCPRIM_400000_NS6detail17trampoline_kernelINS0_14default_configENS1_35radix_sort_onesweep_config_selectorIslEEZZNS1_29radix_sort_onesweep_iterationIS3_Lb0EPsS7_N6thrust23THRUST_200600_302600_NS10device_ptrIlEESB_jNS0_19identity_decomposerENS1_16block_id_wrapperIjLb1EEEEE10hipError_tT1_PNSt15iterator_traitsISG_E10value_typeET2_T3_PNSH_ISM_E10value_typeET4_T5_PSR_SS_PNS1_23onesweep_lookback_stateEbbT6_jjT7_P12ihipStream_tbENKUlT_T0_SG_SL_E_clIS7_S7_PlSB_EEDaSZ_S10_SG_SL_EUlSZ_E_NS1_11comp_targetILNS1_3genE2ELNS1_11target_archE906ELNS1_3gpuE6ELNS1_3repE0EEENS1_47radix_sort_onesweep_sort_config_static_selectorELNS0_4arch9wavefront6targetE1EEEvSG_: ; @_ZN7rocprim17ROCPRIM_400000_NS6detail17trampoline_kernelINS0_14default_configENS1_35radix_sort_onesweep_config_selectorIslEEZZNS1_29radix_sort_onesweep_iterationIS3_Lb0EPsS7_N6thrust23THRUST_200600_302600_NS10device_ptrIlEESB_jNS0_19identity_decomposerENS1_16block_id_wrapperIjLb1EEEEE10hipError_tT1_PNSt15iterator_traitsISG_E10value_typeET2_T3_PNSH_ISM_E10value_typeET4_T5_PSR_SS_PNS1_23onesweep_lookback_stateEbbT6_jjT7_P12ihipStream_tbENKUlT_T0_SG_SL_E_clIS7_S7_PlSB_EEDaSZ_S10_SG_SL_EUlSZ_E_NS1_11comp_targetILNS1_3genE2ELNS1_11target_archE906ELNS1_3gpuE6ELNS1_3repE0EEENS1_47radix_sort_onesweep_sort_config_static_selectorELNS0_4arch9wavefront6targetE1EEEvSG_
; %bb.0:
	.section	.rodata,"a",@progbits
	.p2align	6, 0x0
	.amdhsa_kernel _ZN7rocprim17ROCPRIM_400000_NS6detail17trampoline_kernelINS0_14default_configENS1_35radix_sort_onesweep_config_selectorIslEEZZNS1_29radix_sort_onesweep_iterationIS3_Lb0EPsS7_N6thrust23THRUST_200600_302600_NS10device_ptrIlEESB_jNS0_19identity_decomposerENS1_16block_id_wrapperIjLb1EEEEE10hipError_tT1_PNSt15iterator_traitsISG_E10value_typeET2_T3_PNSH_ISM_E10value_typeET4_T5_PSR_SS_PNS1_23onesweep_lookback_stateEbbT6_jjT7_P12ihipStream_tbENKUlT_T0_SG_SL_E_clIS7_S7_PlSB_EEDaSZ_S10_SG_SL_EUlSZ_E_NS1_11comp_targetILNS1_3genE2ELNS1_11target_archE906ELNS1_3gpuE6ELNS1_3repE0EEENS1_47radix_sort_onesweep_sort_config_static_selectorELNS0_4arch9wavefront6targetE1EEEvSG_
		.amdhsa_group_segment_fixed_size 0
		.amdhsa_private_segment_fixed_size 0
		.amdhsa_kernarg_size 88
		.amdhsa_user_sgpr_count 6
		.amdhsa_user_sgpr_private_segment_buffer 1
		.amdhsa_user_sgpr_dispatch_ptr 0
		.amdhsa_user_sgpr_queue_ptr 0
		.amdhsa_user_sgpr_kernarg_segment_ptr 1
		.amdhsa_user_sgpr_dispatch_id 0
		.amdhsa_user_sgpr_flat_scratch_init 0
		.amdhsa_user_sgpr_kernarg_preload_length 0
		.amdhsa_user_sgpr_kernarg_preload_offset 0
		.amdhsa_user_sgpr_private_segment_size 0
		.amdhsa_uses_dynamic_stack 0
		.amdhsa_system_sgpr_private_segment_wavefront_offset 0
		.amdhsa_system_sgpr_workgroup_id_x 1
		.amdhsa_system_sgpr_workgroup_id_y 0
		.amdhsa_system_sgpr_workgroup_id_z 0
		.amdhsa_system_sgpr_workgroup_info 0
		.amdhsa_system_vgpr_workitem_id 0
		.amdhsa_next_free_vgpr 1
		.amdhsa_next_free_sgpr 0
		.amdhsa_accum_offset 4
		.amdhsa_reserve_vcc 0
		.amdhsa_reserve_flat_scratch 0
		.amdhsa_float_round_mode_32 0
		.amdhsa_float_round_mode_16_64 0
		.amdhsa_float_denorm_mode_32 3
		.amdhsa_float_denorm_mode_16_64 3
		.amdhsa_dx10_clamp 1
		.amdhsa_ieee_mode 1
		.amdhsa_fp16_overflow 0
		.amdhsa_tg_split 0
		.amdhsa_exception_fp_ieee_invalid_op 0
		.amdhsa_exception_fp_denorm_src 0
		.amdhsa_exception_fp_ieee_div_zero 0
		.amdhsa_exception_fp_ieee_overflow 0
		.amdhsa_exception_fp_ieee_underflow 0
		.amdhsa_exception_fp_ieee_inexact 0
		.amdhsa_exception_int_div_zero 0
	.end_amdhsa_kernel
	.section	.text._ZN7rocprim17ROCPRIM_400000_NS6detail17trampoline_kernelINS0_14default_configENS1_35radix_sort_onesweep_config_selectorIslEEZZNS1_29radix_sort_onesweep_iterationIS3_Lb0EPsS7_N6thrust23THRUST_200600_302600_NS10device_ptrIlEESB_jNS0_19identity_decomposerENS1_16block_id_wrapperIjLb1EEEEE10hipError_tT1_PNSt15iterator_traitsISG_E10value_typeET2_T3_PNSH_ISM_E10value_typeET4_T5_PSR_SS_PNS1_23onesweep_lookback_stateEbbT6_jjT7_P12ihipStream_tbENKUlT_T0_SG_SL_E_clIS7_S7_PlSB_EEDaSZ_S10_SG_SL_EUlSZ_E_NS1_11comp_targetILNS1_3genE2ELNS1_11target_archE906ELNS1_3gpuE6ELNS1_3repE0EEENS1_47radix_sort_onesweep_sort_config_static_selectorELNS0_4arch9wavefront6targetE1EEEvSG_,"axG",@progbits,_ZN7rocprim17ROCPRIM_400000_NS6detail17trampoline_kernelINS0_14default_configENS1_35radix_sort_onesweep_config_selectorIslEEZZNS1_29radix_sort_onesweep_iterationIS3_Lb0EPsS7_N6thrust23THRUST_200600_302600_NS10device_ptrIlEESB_jNS0_19identity_decomposerENS1_16block_id_wrapperIjLb1EEEEE10hipError_tT1_PNSt15iterator_traitsISG_E10value_typeET2_T3_PNSH_ISM_E10value_typeET4_T5_PSR_SS_PNS1_23onesweep_lookback_stateEbbT6_jjT7_P12ihipStream_tbENKUlT_T0_SG_SL_E_clIS7_S7_PlSB_EEDaSZ_S10_SG_SL_EUlSZ_E_NS1_11comp_targetILNS1_3genE2ELNS1_11target_archE906ELNS1_3gpuE6ELNS1_3repE0EEENS1_47radix_sort_onesweep_sort_config_static_selectorELNS0_4arch9wavefront6targetE1EEEvSG_,comdat
.Lfunc_end1419:
	.size	_ZN7rocprim17ROCPRIM_400000_NS6detail17trampoline_kernelINS0_14default_configENS1_35radix_sort_onesweep_config_selectorIslEEZZNS1_29radix_sort_onesweep_iterationIS3_Lb0EPsS7_N6thrust23THRUST_200600_302600_NS10device_ptrIlEESB_jNS0_19identity_decomposerENS1_16block_id_wrapperIjLb1EEEEE10hipError_tT1_PNSt15iterator_traitsISG_E10value_typeET2_T3_PNSH_ISM_E10value_typeET4_T5_PSR_SS_PNS1_23onesweep_lookback_stateEbbT6_jjT7_P12ihipStream_tbENKUlT_T0_SG_SL_E_clIS7_S7_PlSB_EEDaSZ_S10_SG_SL_EUlSZ_E_NS1_11comp_targetILNS1_3genE2ELNS1_11target_archE906ELNS1_3gpuE6ELNS1_3repE0EEENS1_47radix_sort_onesweep_sort_config_static_selectorELNS0_4arch9wavefront6targetE1EEEvSG_, .Lfunc_end1419-_ZN7rocprim17ROCPRIM_400000_NS6detail17trampoline_kernelINS0_14default_configENS1_35radix_sort_onesweep_config_selectorIslEEZZNS1_29radix_sort_onesweep_iterationIS3_Lb0EPsS7_N6thrust23THRUST_200600_302600_NS10device_ptrIlEESB_jNS0_19identity_decomposerENS1_16block_id_wrapperIjLb1EEEEE10hipError_tT1_PNSt15iterator_traitsISG_E10value_typeET2_T3_PNSH_ISM_E10value_typeET4_T5_PSR_SS_PNS1_23onesweep_lookback_stateEbbT6_jjT7_P12ihipStream_tbENKUlT_T0_SG_SL_E_clIS7_S7_PlSB_EEDaSZ_S10_SG_SL_EUlSZ_E_NS1_11comp_targetILNS1_3genE2ELNS1_11target_archE906ELNS1_3gpuE6ELNS1_3repE0EEENS1_47radix_sort_onesweep_sort_config_static_selectorELNS0_4arch9wavefront6targetE1EEEvSG_
                                        ; -- End function
	.section	.AMDGPU.csdata,"",@progbits
; Kernel info:
; codeLenInByte = 0
; NumSgprs: 4
; NumVgprs: 0
; NumAgprs: 0
; TotalNumVgprs: 0
; ScratchSize: 0
; MemoryBound: 0
; FloatMode: 240
; IeeeMode: 1
; LDSByteSize: 0 bytes/workgroup (compile time only)
; SGPRBlocks: 0
; VGPRBlocks: 0
; NumSGPRsForWavesPerEU: 4
; NumVGPRsForWavesPerEU: 1
; AccumOffset: 4
; Occupancy: 8
; WaveLimiterHint : 0
; COMPUTE_PGM_RSRC2:SCRATCH_EN: 0
; COMPUTE_PGM_RSRC2:USER_SGPR: 6
; COMPUTE_PGM_RSRC2:TRAP_HANDLER: 0
; COMPUTE_PGM_RSRC2:TGID_X_EN: 1
; COMPUTE_PGM_RSRC2:TGID_Y_EN: 0
; COMPUTE_PGM_RSRC2:TGID_Z_EN: 0
; COMPUTE_PGM_RSRC2:TIDIG_COMP_CNT: 0
; COMPUTE_PGM_RSRC3_GFX90A:ACCUM_OFFSET: 0
; COMPUTE_PGM_RSRC3_GFX90A:TG_SPLIT: 0
	.section	.text._ZN7rocprim17ROCPRIM_400000_NS6detail17trampoline_kernelINS0_14default_configENS1_35radix_sort_onesweep_config_selectorIslEEZZNS1_29radix_sort_onesweep_iterationIS3_Lb0EPsS7_N6thrust23THRUST_200600_302600_NS10device_ptrIlEESB_jNS0_19identity_decomposerENS1_16block_id_wrapperIjLb1EEEEE10hipError_tT1_PNSt15iterator_traitsISG_E10value_typeET2_T3_PNSH_ISM_E10value_typeET4_T5_PSR_SS_PNS1_23onesweep_lookback_stateEbbT6_jjT7_P12ihipStream_tbENKUlT_T0_SG_SL_E_clIS7_S7_PlSB_EEDaSZ_S10_SG_SL_EUlSZ_E_NS1_11comp_targetILNS1_3genE4ELNS1_11target_archE910ELNS1_3gpuE8ELNS1_3repE0EEENS1_47radix_sort_onesweep_sort_config_static_selectorELNS0_4arch9wavefront6targetE1EEEvSG_,"axG",@progbits,_ZN7rocprim17ROCPRIM_400000_NS6detail17trampoline_kernelINS0_14default_configENS1_35radix_sort_onesweep_config_selectorIslEEZZNS1_29radix_sort_onesweep_iterationIS3_Lb0EPsS7_N6thrust23THRUST_200600_302600_NS10device_ptrIlEESB_jNS0_19identity_decomposerENS1_16block_id_wrapperIjLb1EEEEE10hipError_tT1_PNSt15iterator_traitsISG_E10value_typeET2_T3_PNSH_ISM_E10value_typeET4_T5_PSR_SS_PNS1_23onesweep_lookback_stateEbbT6_jjT7_P12ihipStream_tbENKUlT_T0_SG_SL_E_clIS7_S7_PlSB_EEDaSZ_S10_SG_SL_EUlSZ_E_NS1_11comp_targetILNS1_3genE4ELNS1_11target_archE910ELNS1_3gpuE8ELNS1_3repE0EEENS1_47radix_sort_onesweep_sort_config_static_selectorELNS0_4arch9wavefront6targetE1EEEvSG_,comdat
	.protected	_ZN7rocprim17ROCPRIM_400000_NS6detail17trampoline_kernelINS0_14default_configENS1_35radix_sort_onesweep_config_selectorIslEEZZNS1_29radix_sort_onesweep_iterationIS3_Lb0EPsS7_N6thrust23THRUST_200600_302600_NS10device_ptrIlEESB_jNS0_19identity_decomposerENS1_16block_id_wrapperIjLb1EEEEE10hipError_tT1_PNSt15iterator_traitsISG_E10value_typeET2_T3_PNSH_ISM_E10value_typeET4_T5_PSR_SS_PNS1_23onesweep_lookback_stateEbbT6_jjT7_P12ihipStream_tbENKUlT_T0_SG_SL_E_clIS7_S7_PlSB_EEDaSZ_S10_SG_SL_EUlSZ_E_NS1_11comp_targetILNS1_3genE4ELNS1_11target_archE910ELNS1_3gpuE8ELNS1_3repE0EEENS1_47radix_sort_onesweep_sort_config_static_selectorELNS0_4arch9wavefront6targetE1EEEvSG_ ; -- Begin function _ZN7rocprim17ROCPRIM_400000_NS6detail17trampoline_kernelINS0_14default_configENS1_35radix_sort_onesweep_config_selectorIslEEZZNS1_29radix_sort_onesweep_iterationIS3_Lb0EPsS7_N6thrust23THRUST_200600_302600_NS10device_ptrIlEESB_jNS0_19identity_decomposerENS1_16block_id_wrapperIjLb1EEEEE10hipError_tT1_PNSt15iterator_traitsISG_E10value_typeET2_T3_PNSH_ISM_E10value_typeET4_T5_PSR_SS_PNS1_23onesweep_lookback_stateEbbT6_jjT7_P12ihipStream_tbENKUlT_T0_SG_SL_E_clIS7_S7_PlSB_EEDaSZ_S10_SG_SL_EUlSZ_E_NS1_11comp_targetILNS1_3genE4ELNS1_11target_archE910ELNS1_3gpuE8ELNS1_3repE0EEENS1_47radix_sort_onesweep_sort_config_static_selectorELNS0_4arch9wavefront6targetE1EEEvSG_
	.globl	_ZN7rocprim17ROCPRIM_400000_NS6detail17trampoline_kernelINS0_14default_configENS1_35radix_sort_onesweep_config_selectorIslEEZZNS1_29radix_sort_onesweep_iterationIS3_Lb0EPsS7_N6thrust23THRUST_200600_302600_NS10device_ptrIlEESB_jNS0_19identity_decomposerENS1_16block_id_wrapperIjLb1EEEEE10hipError_tT1_PNSt15iterator_traitsISG_E10value_typeET2_T3_PNSH_ISM_E10value_typeET4_T5_PSR_SS_PNS1_23onesweep_lookback_stateEbbT6_jjT7_P12ihipStream_tbENKUlT_T0_SG_SL_E_clIS7_S7_PlSB_EEDaSZ_S10_SG_SL_EUlSZ_E_NS1_11comp_targetILNS1_3genE4ELNS1_11target_archE910ELNS1_3gpuE8ELNS1_3repE0EEENS1_47radix_sort_onesweep_sort_config_static_selectorELNS0_4arch9wavefront6targetE1EEEvSG_
	.p2align	8
	.type	_ZN7rocprim17ROCPRIM_400000_NS6detail17trampoline_kernelINS0_14default_configENS1_35radix_sort_onesweep_config_selectorIslEEZZNS1_29radix_sort_onesweep_iterationIS3_Lb0EPsS7_N6thrust23THRUST_200600_302600_NS10device_ptrIlEESB_jNS0_19identity_decomposerENS1_16block_id_wrapperIjLb1EEEEE10hipError_tT1_PNSt15iterator_traitsISG_E10value_typeET2_T3_PNSH_ISM_E10value_typeET4_T5_PSR_SS_PNS1_23onesweep_lookback_stateEbbT6_jjT7_P12ihipStream_tbENKUlT_T0_SG_SL_E_clIS7_S7_PlSB_EEDaSZ_S10_SG_SL_EUlSZ_E_NS1_11comp_targetILNS1_3genE4ELNS1_11target_archE910ELNS1_3gpuE8ELNS1_3repE0EEENS1_47radix_sort_onesweep_sort_config_static_selectorELNS0_4arch9wavefront6targetE1EEEvSG_,@function
_ZN7rocprim17ROCPRIM_400000_NS6detail17trampoline_kernelINS0_14default_configENS1_35radix_sort_onesweep_config_selectorIslEEZZNS1_29radix_sort_onesweep_iterationIS3_Lb0EPsS7_N6thrust23THRUST_200600_302600_NS10device_ptrIlEESB_jNS0_19identity_decomposerENS1_16block_id_wrapperIjLb1EEEEE10hipError_tT1_PNSt15iterator_traitsISG_E10value_typeET2_T3_PNSH_ISM_E10value_typeET4_T5_PSR_SS_PNS1_23onesweep_lookback_stateEbbT6_jjT7_P12ihipStream_tbENKUlT_T0_SG_SL_E_clIS7_S7_PlSB_EEDaSZ_S10_SG_SL_EUlSZ_E_NS1_11comp_targetILNS1_3genE4ELNS1_11target_archE910ELNS1_3gpuE8ELNS1_3repE0EEENS1_47radix_sort_onesweep_sort_config_static_selectorELNS0_4arch9wavefront6targetE1EEEvSG_: ; @_ZN7rocprim17ROCPRIM_400000_NS6detail17trampoline_kernelINS0_14default_configENS1_35radix_sort_onesweep_config_selectorIslEEZZNS1_29radix_sort_onesweep_iterationIS3_Lb0EPsS7_N6thrust23THRUST_200600_302600_NS10device_ptrIlEESB_jNS0_19identity_decomposerENS1_16block_id_wrapperIjLb1EEEEE10hipError_tT1_PNSt15iterator_traitsISG_E10value_typeET2_T3_PNSH_ISM_E10value_typeET4_T5_PSR_SS_PNS1_23onesweep_lookback_stateEbbT6_jjT7_P12ihipStream_tbENKUlT_T0_SG_SL_E_clIS7_S7_PlSB_EEDaSZ_S10_SG_SL_EUlSZ_E_NS1_11comp_targetILNS1_3genE4ELNS1_11target_archE910ELNS1_3gpuE8ELNS1_3repE0EEENS1_47radix_sort_onesweep_sort_config_static_selectorELNS0_4arch9wavefront6targetE1EEEvSG_
; %bb.0:
	s_load_dwordx4 s[44:47], s[4:5], 0x28
	s_load_dwordx2 s[30:31], s[4:5], 0x38
	s_load_dwordx4 s[48:51], s[4:5], 0x44
	v_and_b32_e32 v10, 0x3ff, v0
	v_cmp_eq_u32_e64 s[0:1], 0, v10
	s_and_saveexec_b64 s[2:3], s[0:1]
	s_cbranch_execz .LBB1420_4
; %bb.1:
	s_mov_b64 s[10:11], exec
	v_mbcnt_lo_u32_b32 v1, s10, 0
	v_mbcnt_hi_u32_b32 v1, s11, v1
	v_cmp_eq_u32_e32 vcc, 0, v1
                                        ; implicit-def: $vgpr2
	s_and_saveexec_b64 s[8:9], vcc
	s_cbranch_execz .LBB1420_3
; %bb.2:
	s_load_dwordx2 s[12:13], s[4:5], 0x50
	s_bcnt1_i32_b64 s7, s[10:11]
	v_mov_b32_e32 v2, 0
	v_mov_b32_e32 v3, s7
	s_waitcnt lgkmcnt(0)
	global_atomic_add v2, v2, v3, s[12:13] glc
.LBB1420_3:
	s_or_b64 exec, exec, s[8:9]
	s_waitcnt vmcnt(0)
	v_readfirstlane_b32 s7, v2
	v_add_u32_e32 v1, s7, v1
	v_mov_b32_e32 v2, 0
	ds_write_b32 v2, v1 offset:20544
.LBB1420_4:
	s_or_b64 exec, exec, s[2:3]
	v_mov_b32_e32 v1, 0
	s_load_dwordx8 s[36:43], s[4:5], 0x0
	s_load_dword s2, s[4:5], 0x20
	s_waitcnt lgkmcnt(0)
	s_barrier
	ds_read_b32 v1, v1 offset:20544
	v_mbcnt_lo_u32_b32 v30, -1, 0
	s_waitcnt lgkmcnt(0)
	s_barrier
	v_cmp_le_u32_e32 vcc, s50, v1
	v_readfirstlane_b32 s33, v1
	v_lshlrev_b32_e32 v1, 3, v10
	s_cbranch_vccz .LBB1420_88
; %bb.5:
	s_lshl_b32 s3, s50, 13
	s_lshl_b32 s34, s33, 13
	s_mov_b32 s35, 0
	s_sub_i32 s7, s2, s3
	s_lshl_b64 s[2:3], s[34:35], 1
	v_mbcnt_hi_u32_b32 v13, -1, v30
	s_add_u32 s2, s36, s2
	v_and_b32_e32 v12, 63, v13
	s_addc_u32 s3, s37, s3
	v_lshlrev_b32_e32 v2, 1, v12
	v_and_b32_e32 v11, 0x1e00, v1
	v_mov_b32_e32 v3, s3
	v_add_co_u32_e32 v2, vcc, s2, v2
	v_addc_co_u32_e32 v3, vcc, 0, v3, vcc
	v_lshlrev_b32_e32 v4, 1, v11
	s_mov_b32 s8, 0x7fff7fff
	v_add_co_u32_e32 v6, vcc, v2, v4
	s_mov_b32 s9, s8
	v_addc_co_u32_e32 v7, vcc, 0, v3, vcc
	v_or_b32_e32 v8, v12, v11
	s_mov_b32 s10, s8
	s_mov_b32 s11, s8
	v_pk_mov_b32 v[2:3], s[8:9], s[8:9] op_sel:[0,1]
	v_cmp_gt_u32_e32 vcc, s7, v8
	v_pk_mov_b32 v[4:5], s[10:11], s[10:11] op_sel:[0,1]
	s_and_saveexec_b64 s[2:3], vcc
	s_cbranch_execz .LBB1420_7
; %bb.6:
	global_load_ushort v2, v[6:7], off
	s_movk_i32 s8, 0x7fff
	v_mov_b32_e32 v5, 0x5040100
	v_mov_b32_e32 v3, 0x7fff7fff
	;; [unrolled: 1-line block ×3, first 2 shown]
	s_waitcnt vmcnt(0)
	v_perm_b32 v2, s8, v2, v5
	v_mov_b32_e32 v5, v3
.LBB1420_7:
	s_or_b64 exec, exec, s[2:3]
	v_or_b32_e32 v9, 64, v8
	v_cmp_gt_u32_e64 s[2:3], s7, v9
	s_and_saveexec_b64 s[8:9], s[2:3]
	s_cbranch_execz .LBB1420_9
; %bb.8:
	global_load_ushort v9, v[6:7], off offset:128
	s_mov_b32 s10, 0x5040100
	s_waitcnt vmcnt(0)
	v_perm_b32 v2, v9, v2, s10
.LBB1420_9:
	s_or_b64 exec, exec, s[8:9]
	v_or_b32_e32 v9, 0x80, v8
	v_cmp_gt_u32_e64 s[26:27], s7, v9
	s_and_saveexec_b64 s[8:9], s[26:27]
	s_cbranch_execz .LBB1420_11
; %bb.10:
	global_load_ushort v9, v[6:7], off offset:256
	s_mov_b32 s10, 0xffff
	s_waitcnt vmcnt(0)
	v_bfi_b32 v3, s10, v9, v3
.LBB1420_11:
	s_or_b64 exec, exec, s[8:9]
	v_or_b32_e32 v9, 0xc0, v8
	v_cmp_gt_u32_e64 s[8:9], s7, v9
	s_and_saveexec_b64 s[10:11], s[8:9]
	s_cbranch_execz .LBB1420_13
; %bb.12:
	global_load_ushort v9, v[6:7], off offset:384
	s_mov_b32 s12, 0x5040100
	s_waitcnt vmcnt(0)
	v_perm_b32 v3, v9, v3, s12
.LBB1420_13:
	s_or_b64 exec, exec, s[10:11]
	v_or_b32_e32 v9, 0x100, v8
	v_cmp_gt_u32_e64 s[10:11], s7, v9
	s_and_saveexec_b64 s[12:13], s[10:11]
	s_cbranch_execz .LBB1420_15
; %bb.14:
	global_load_ushort v9, v[6:7], off offset:512
	s_mov_b32 s14, 0xffff
	s_waitcnt vmcnt(0)
	v_bfi_b32 v4, s14, v9, v4
.LBB1420_15:
	;; [unrolled: 22-line block ×3, first 2 shown]
	s_or_b64 exec, exec, s[16:17]
	v_or_b32_e32 v8, 0x1c0, v8
	v_cmp_gt_u32_e64 s[16:17], s7, v8
	s_and_saveexec_b64 s[18:19], s[16:17]
	s_cbranch_execz .LBB1420_21
; %bb.20:
	global_load_ushort v6, v[6:7], off offset:896
	s_mov_b32 s20, 0x5040100
	s_waitcnt vmcnt(0)
	v_perm_b32 v5, v6, v5, s20
.LBB1420_21:
	s_or_b64 exec, exec, s[18:19]
	s_load_dword s18, s[4:5], 0x64
	s_load_dword s52, s[4:5], 0x58
	s_add_u32 s19, s4, 0x58
	s_addc_u32 s20, s5, 0
	v_mov_b32_e32 v6, 0
	s_waitcnt lgkmcnt(0)
	s_lshr_b32 s21, s18, 16
	s_cmp_lt_u32 s6, s52
	s_cselect_b32 s18, 12, 18
	s_add_u32 s18, s19, s18
	s_addc_u32 s19, s20, 0
	global_load_ushort v8, v6, s[18:19]
	v_xor_b32_e32 v14, 0xffff8000, v2
	s_lshl_b32 s18, -1, s49
	v_lshrrev_b32_sdwa v16, s48, v14 dst_sel:DWORD dst_unused:UNUSED_PAD src0_sel:DWORD src1_sel:WORD_0
	s_not_b32 s53, s18
	v_and_b32_e32 v16, s53, v16
	v_and_b32_e32 v18, 1, v16
	v_bfe_u32 v7, v0, 10, 10
	v_bfe_u32 v9, v0, 20, 10
	v_add_co_u32_e64 v19, s[18:19], -1, v18
	v_mad_u32_u24 v9, v9, s21, v7
	v_lshlrev_b32_e32 v7, 30, v16
	v_addc_co_u32_e64 v20, s[18:19], 0, -1, s[18:19]
	v_cmp_ne_u32_e64 s[18:19], 0, v18
	v_cmp_gt_i64_e64 s[20:21], 0, v[6:7]
	v_not_b32_e32 v18, v7
	v_lshlrev_b32_e32 v7, 29, v16
	v_xor_b32_e32 v20, s19, v20
	v_xor_b32_e32 v19, s18, v19
	v_ashrrev_i32_e32 v18, 31, v18
	v_cmp_gt_i64_e64 s[18:19], 0, v[6:7]
	v_not_b32_e32 v21, v7
	v_lshlrev_b32_e32 v7, 28, v16
	v_and_b32_e32 v20, exec_hi, v20
	v_and_b32_e32 v19, exec_lo, v19
	v_xor_b32_e32 v22, s21, v18
	v_xor_b32_e32 v18, s20, v18
	v_ashrrev_i32_e32 v21, 31, v21
	v_cmp_gt_i64_e64 s[20:21], 0, v[6:7]
	v_not_b32_e32 v23, v7
	v_lshlrev_b32_e32 v7, 27, v16
	v_and_b32_e32 v20, v20, v22
	v_and_b32_e32 v18, v19, v18
	v_xor_b32_e32 v19, s19, v21
	v_xor_b32_e32 v21, s18, v21
	v_ashrrev_i32_e32 v22, 31, v23
	v_cmp_gt_i64_e64 s[18:19], 0, v[6:7]
	v_not_b32_e32 v23, v7
	v_lshlrev_b32_e32 v7, 26, v16
	v_and_b32_e32 v19, v20, v19
	v_and_b32_e32 v18, v18, v21
	;; [unrolled: 8-line block ×3, first 2 shown]
	v_xor_b32_e32 v20, s19, v22
	v_xor_b32_e32 v21, s18, v22
	v_ashrrev_i32_e32 v22, 31, v23
	v_cmp_gt_i64_e64 s[18:19], 0, v[6:7]
	v_not_b32_e32 v23, v7
	v_lshlrev_b32_e32 v7, 24, v16
	v_mul_u32_u24_e32 v17, 17, v16
	v_and_b32_e32 v16, v19, v20
	v_and_b32_e32 v18, v18, v21
	v_xor_b32_e32 v19, s21, v22
	v_xor_b32_e32 v20, s20, v22
	v_ashrrev_i32_e32 v21, 31, v23
	v_cmp_gt_i64_e64 s[20:21], 0, v[6:7]
	v_not_b32_e32 v7, v7
	v_and_b32_e32 v16, v16, v19
	v_and_b32_e32 v18, v18, v20
	v_xor_b32_e32 v19, s19, v21
	v_xor_b32_e32 v20, s18, v21
	v_ashrrev_i32_e32 v7, 31, v7
	v_and_b32_e32 v16, v16, v19
	v_and_b32_e32 v19, v18, v20
	v_mul_u32_u24_e32 v15, 5, v10
	s_movk_i32 s22, 0x8000
	v_lshlrev_b32_e32 v15, 2, v15
	ds_write2_b32 v15, v6, v6 offset0:16 offset1:17
	ds_write2_b32 v15, v6, v6 offset0:18 offset1:19
	ds_write_b32 v15, v6 offset:80
	s_waitcnt lgkmcnt(0)
	s_barrier
	s_waitcnt vmcnt(0)
	v_mad_u64_u32 v[8:9], s[18:19], v9, v8, v[10:11]
	v_lshrrev_b32_e32 v22, 6, v8
	v_xor_b32_e32 v8, s21, v7
	v_xor_b32_e32 v7, s20, v7
	v_and_b32_e32 v9, v16, v8
	v_and_b32_e32 v8, v19, v7
	v_mbcnt_lo_u32_b32 v7, v8, 0
	v_mbcnt_hi_u32_b32 v16, v9, v7
	v_cmp_eq_u32_e64 s[18:19], 0, v16
	v_cmp_ne_u64_e64 s[20:21], 0, v[8:9]
	v_add_lshl_u32 v18, v22, v17, 2
	s_and_b64 s[20:21], s[20:21], s[18:19]
	; wave barrier
	s_and_saveexec_b64 s[18:19], s[20:21]
	s_cbranch_execz .LBB1420_23
; %bb.22:
	v_bcnt_u32_b32 v7, v8, 0
	v_bcnt_u32_b32 v7, v9, v7
	ds_write_b32 v18, v7 offset:64
.LBB1420_23:
	s_or_b64 exec, exec, s[18:19]
	v_xor_b32_sdwa v17, v2, s22 dst_sel:DWORD dst_unused:UNUSED_PAD src0_sel:WORD_1 src1_sel:DWORD
	v_lshrrev_b32_sdwa v2, s48, v17 dst_sel:DWORD dst_unused:UNUSED_PAD src0_sel:DWORD src1_sel:WORD_0
	v_and_b32_e32 v2, s53, v2
	v_mul_u32_u24_e32 v7, 17, v2
	v_add_lshl_u32 v19, v22, v7, 2
	v_and_b32_e32 v7, 1, v2
	v_add_co_u32_e64 v8, s[18:19], -1, v7
	v_addc_co_u32_e64 v9, s[18:19], 0, -1, s[18:19]
	v_cmp_ne_u32_e64 s[18:19], 0, v7
	v_xor_b32_e32 v7, s19, v9
	v_and_b32_e32 v9, exec_hi, v7
	v_lshlrev_b32_e32 v7, 30, v2
	v_xor_b32_e32 v8, s18, v8
	v_cmp_gt_i64_e64 s[18:19], 0, v[6:7]
	v_not_b32_e32 v7, v7
	v_ashrrev_i32_e32 v7, 31, v7
	v_and_b32_e32 v8, exec_lo, v8
	v_xor_b32_e32 v20, s19, v7
	v_xor_b32_e32 v7, s18, v7
	v_and_b32_e32 v8, v8, v7
	v_lshlrev_b32_e32 v7, 29, v2
	v_cmp_gt_i64_e64 s[18:19], 0, v[6:7]
	v_not_b32_e32 v7, v7
	v_ashrrev_i32_e32 v7, 31, v7
	v_and_b32_e32 v9, v9, v20
	v_xor_b32_e32 v20, s19, v7
	v_xor_b32_e32 v7, s18, v7
	v_and_b32_e32 v8, v8, v7
	v_lshlrev_b32_e32 v7, 28, v2
	v_cmp_gt_i64_e64 s[18:19], 0, v[6:7]
	v_not_b32_e32 v7, v7
	v_ashrrev_i32_e32 v7, 31, v7
	v_and_b32_e32 v9, v9, v20
	;; [unrolled: 8-line block ×5, first 2 shown]
	v_xor_b32_e32 v20, s19, v7
	v_xor_b32_e32 v7, s18, v7
	v_and_b32_e32 v8, v8, v7
	v_lshlrev_b32_e32 v7, 24, v2
	v_not_b32_e32 v2, v7
	v_cmp_gt_i64_e64 s[18:19], 0, v[6:7]
	v_ashrrev_i32_e32 v2, 31, v2
	v_and_b32_e32 v9, v9, v20
	v_xor_b32_e32 v6, s19, v2
	v_xor_b32_e32 v2, s18, v2
	; wave barrier
	ds_read_b32 v31, v19 offset:64
	v_and_b32_e32 v7, v9, v6
	v_and_b32_e32 v6, v8, v2
	v_mbcnt_lo_u32_b32 v2, v6, 0
	v_mbcnt_hi_u32_b32 v32, v7, v2
	v_cmp_eq_u32_e64 s[18:19], 0, v32
	v_cmp_ne_u64_e64 s[20:21], 0, v[6:7]
	s_and_b64 s[20:21], s[20:21], s[18:19]
	; wave barrier
	s_and_saveexec_b64 s[18:19], s[20:21]
	s_cbranch_execz .LBB1420_25
; %bb.24:
	v_bcnt_u32_b32 v2, v6, 0
	v_bcnt_u32_b32 v2, v7, v2
	s_waitcnt lgkmcnt(0)
	v_add_u32_e32 v2, v31, v2
	ds_write_b32 v19, v2 offset:64
.LBB1420_25:
	s_or_b64 exec, exec, s[18:19]
	v_xor_b32_e32 v20, 0xffff8000, v3
	v_lshrrev_b32_sdwa v2, s48, v20 dst_sel:DWORD dst_unused:UNUSED_PAD src0_sel:DWORD src1_sel:WORD_0
	v_and_b32_e32 v2, s53, v2
	v_and_b32_e32 v7, 1, v2
	v_add_co_u32_e64 v8, s[18:19], -1, v7
	v_addc_co_u32_e64 v9, s[18:19], 0, -1, s[18:19]
	v_cmp_ne_u32_e64 s[18:19], 0, v7
	v_mul_u32_u24_e32 v6, 17, v2
	v_xor_b32_e32 v7, s19, v9
	v_add_lshl_u32 v21, v22, v6, 2
	v_mov_b32_e32 v6, 0
	v_and_b32_e32 v9, exec_hi, v7
	v_lshlrev_b32_e32 v7, 30, v2
	v_xor_b32_e32 v8, s18, v8
	v_cmp_gt_i64_e64 s[18:19], 0, v[6:7]
	v_not_b32_e32 v7, v7
	v_ashrrev_i32_e32 v7, 31, v7
	v_and_b32_e32 v8, exec_lo, v8
	v_xor_b32_e32 v23, s19, v7
	v_xor_b32_e32 v7, s18, v7
	v_and_b32_e32 v8, v8, v7
	v_lshlrev_b32_e32 v7, 29, v2
	v_cmp_gt_i64_e64 s[18:19], 0, v[6:7]
	v_not_b32_e32 v7, v7
	v_ashrrev_i32_e32 v7, 31, v7
	v_and_b32_e32 v9, v9, v23
	v_xor_b32_e32 v23, s19, v7
	v_xor_b32_e32 v7, s18, v7
	v_and_b32_e32 v8, v8, v7
	v_lshlrev_b32_e32 v7, 28, v2
	v_cmp_gt_i64_e64 s[18:19], 0, v[6:7]
	v_not_b32_e32 v7, v7
	v_ashrrev_i32_e32 v7, 31, v7
	v_and_b32_e32 v9, v9, v23
	;; [unrolled: 8-line block ×5, first 2 shown]
	v_xor_b32_e32 v23, s19, v7
	v_xor_b32_e32 v7, s18, v7
	v_and_b32_e32 v8, v8, v7
	v_lshlrev_b32_e32 v7, 24, v2
	v_not_b32_e32 v2, v7
	v_cmp_gt_i64_e64 s[18:19], 0, v[6:7]
	v_ashrrev_i32_e32 v2, 31, v2
	v_xor_b32_e32 v7, s19, v2
	v_xor_b32_e32 v2, s18, v2
	; wave barrier
	ds_read_b32 v33, v21 offset:64
	v_and_b32_e32 v9, v9, v23
	v_and_b32_e32 v8, v8, v2
	;; [unrolled: 1-line block ×3, first 2 shown]
	v_mbcnt_lo_u32_b32 v2, v8, 0
	v_mbcnt_hi_u32_b32 v34, v9, v2
	v_cmp_eq_u32_e64 s[18:19], 0, v34
	v_cmp_ne_u64_e64 s[20:21], 0, v[8:9]
	s_and_b64 s[20:21], s[20:21], s[18:19]
	; wave barrier
	s_and_saveexec_b64 s[18:19], s[20:21]
	s_cbranch_execz .LBB1420_27
; %bb.26:
	v_bcnt_u32_b32 v2, v8, 0
	v_bcnt_u32_b32 v2, v9, v2
	s_waitcnt lgkmcnt(0)
	v_add_u32_e32 v2, v33, v2
	ds_write_b32 v21, v2 offset:64
.LBB1420_27:
	s_or_b64 exec, exec, s[18:19]
	v_xor_b32_sdwa v8, v3, s22 dst_sel:DWORD dst_unused:UNUSED_PAD src0_sel:WORD_1 src1_sel:DWORD
	v_lshrrev_b32_sdwa v2, s48, v8 dst_sel:DWORD dst_unused:UNUSED_PAD src0_sel:DWORD src1_sel:WORD_0
	v_and_b32_e32 v2, s53, v2
	v_mul_u32_u24_e32 v3, 17, v2
	v_add_lshl_u32 v9, v22, v3, 2
	v_and_b32_e32 v3, 1, v2
	v_add_co_u32_e64 v7, s[18:19], -1, v3
	v_addc_co_u32_e64 v23, s[18:19], 0, -1, s[18:19]
	v_cmp_ne_u32_e64 s[18:19], 0, v3
	v_xor_b32_e32 v7, s18, v7
	v_xor_b32_e32 v3, s19, v23
	v_and_b32_e32 v23, exec_lo, v7
	v_lshlrev_b32_e32 v7, 30, v2
	v_cmp_gt_i64_e64 s[18:19], 0, v[6:7]
	v_not_b32_e32 v7, v7
	v_ashrrev_i32_e32 v7, 31, v7
	v_xor_b32_e32 v24, s19, v7
	v_xor_b32_e32 v7, s18, v7
	v_and_b32_e32 v23, v23, v7
	v_lshlrev_b32_e32 v7, 29, v2
	v_cmp_gt_i64_e64 s[18:19], 0, v[6:7]
	v_not_b32_e32 v7, v7
	v_and_b32_e32 v3, exec_hi, v3
	v_ashrrev_i32_e32 v7, 31, v7
	v_and_b32_e32 v3, v3, v24
	v_xor_b32_e32 v24, s19, v7
	v_xor_b32_e32 v7, s18, v7
	v_and_b32_e32 v23, v23, v7
	v_lshlrev_b32_e32 v7, 28, v2
	v_cmp_gt_i64_e64 s[18:19], 0, v[6:7]
	v_not_b32_e32 v7, v7
	v_ashrrev_i32_e32 v7, 31, v7
	v_and_b32_e32 v3, v3, v24
	v_xor_b32_e32 v24, s19, v7
	v_xor_b32_e32 v7, s18, v7
	v_and_b32_e32 v23, v23, v7
	v_lshlrev_b32_e32 v7, 27, v2
	v_cmp_gt_i64_e64 s[18:19], 0, v[6:7]
	v_not_b32_e32 v7, v7
	;; [unrolled: 8-line block ×4, first 2 shown]
	v_ashrrev_i32_e32 v7, 31, v7
	v_and_b32_e32 v3, v3, v24
	v_xor_b32_e32 v24, s19, v7
	v_xor_b32_e32 v7, s18, v7
	v_and_b32_e32 v23, v23, v7
	v_lshlrev_b32_e32 v7, 24, v2
	v_not_b32_e32 v2, v7
	v_cmp_gt_i64_e64 s[18:19], 0, v[6:7]
	v_ashrrev_i32_e32 v2, 31, v2
	v_xor_b32_e32 v6, s19, v2
	v_xor_b32_e32 v2, s18, v2
	; wave barrier
	ds_read_b32 v35, v9 offset:64
	v_and_b32_e32 v3, v3, v24
	v_and_b32_e32 v2, v23, v2
	;; [unrolled: 1-line block ×3, first 2 shown]
	v_mbcnt_lo_u32_b32 v6, v2, 0
	v_mbcnt_hi_u32_b32 v36, v3, v6
	v_cmp_eq_u32_e64 s[18:19], 0, v36
	v_cmp_ne_u64_e64 s[20:21], 0, v[2:3]
	s_and_b64 s[20:21], s[20:21], s[18:19]
	; wave barrier
	s_and_saveexec_b64 s[18:19], s[20:21]
	s_cbranch_execz .LBB1420_29
; %bb.28:
	v_bcnt_u32_b32 v2, v2, 0
	v_bcnt_u32_b32 v2, v3, v2
	s_waitcnt lgkmcnt(0)
	v_add_u32_e32 v2, v35, v2
	ds_write_b32 v9, v2 offset:64
.LBB1420_29:
	s_or_b64 exec, exec, s[18:19]
	v_xor_b32_e32 v23, 0xffff8000, v4
	v_lshrrev_b32_sdwa v2, s48, v23 dst_sel:DWORD dst_unused:UNUSED_PAD src0_sel:DWORD src1_sel:WORD_0
	v_and_b32_e32 v6, s53, v2
	v_and_b32_e32 v3, 1, v6
	v_add_co_u32_e64 v7, s[18:19], -1, v3
	v_addc_co_u32_e64 v25, s[18:19], 0, -1, s[18:19]
	v_cmp_ne_u32_e64 s[18:19], 0, v3
	v_mul_u32_u24_e32 v2, 17, v6
	v_xor_b32_e32 v3, s19, v25
	v_add_lshl_u32 v24, v22, v2, 2
	v_mov_b32_e32 v2, 0
	v_and_b32_e32 v25, exec_hi, v3
	v_lshlrev_b32_e32 v3, 30, v6
	v_xor_b32_e32 v7, s18, v7
	v_cmp_gt_i64_e64 s[18:19], 0, v[2:3]
	v_not_b32_e32 v3, v3
	v_ashrrev_i32_e32 v3, 31, v3
	v_and_b32_e32 v7, exec_lo, v7
	v_xor_b32_e32 v26, s19, v3
	v_xor_b32_e32 v3, s18, v3
	v_and_b32_e32 v7, v7, v3
	v_lshlrev_b32_e32 v3, 29, v6
	v_cmp_gt_i64_e64 s[18:19], 0, v[2:3]
	v_not_b32_e32 v3, v3
	v_ashrrev_i32_e32 v3, 31, v3
	v_and_b32_e32 v25, v25, v26
	v_xor_b32_e32 v26, s19, v3
	v_xor_b32_e32 v3, s18, v3
	v_and_b32_e32 v7, v7, v3
	v_lshlrev_b32_e32 v3, 28, v6
	v_cmp_gt_i64_e64 s[18:19], 0, v[2:3]
	v_not_b32_e32 v3, v3
	v_ashrrev_i32_e32 v3, 31, v3
	v_and_b32_e32 v25, v25, v26
	;; [unrolled: 8-line block ×5, first 2 shown]
	v_xor_b32_e32 v26, s19, v3
	v_xor_b32_e32 v3, s18, v3
	v_and_b32_e32 v25, v25, v26
	v_and_b32_e32 v26, v7, v3
	v_lshlrev_b32_e32 v3, 24, v6
	v_cmp_gt_i64_e64 s[18:19], 0, v[2:3]
	v_not_b32_e32 v3, v3
	v_ashrrev_i32_e32 v3, 31, v3
	v_xor_b32_e32 v6, s19, v3
	v_xor_b32_e32 v3, s18, v3
	; wave barrier
	ds_read_b32 v37, v24 offset:64
	v_and_b32_e32 v7, v25, v6
	v_and_b32_e32 v6, v26, v3
	v_mbcnt_lo_u32_b32 v3, v6, 0
	v_mbcnt_hi_u32_b32 v38, v7, v3
	v_cmp_eq_u32_e64 s[18:19], 0, v38
	v_cmp_ne_u64_e64 s[20:21], 0, v[6:7]
	s_and_b64 s[20:21], s[20:21], s[18:19]
	; wave barrier
	s_and_saveexec_b64 s[18:19], s[20:21]
	s_cbranch_execz .LBB1420_31
; %bb.30:
	v_bcnt_u32_b32 v3, v6, 0
	v_bcnt_u32_b32 v3, v7, v3
	s_waitcnt lgkmcnt(0)
	v_add_u32_e32 v3, v37, v3
	ds_write_b32 v24, v3 offset:64
.LBB1420_31:
	s_or_b64 exec, exec, s[18:19]
	v_xor_b32_sdwa v25, v4, s22 dst_sel:DWORD dst_unused:UNUSED_PAD src0_sel:WORD_1 src1_sel:DWORD
	v_lshrrev_b32_sdwa v3, s48, v25 dst_sel:DWORD dst_unused:UNUSED_PAD src0_sel:DWORD src1_sel:WORD_0
	v_and_b32_e32 v4, s53, v3
	v_mul_u32_u24_e32 v3, 17, v4
	v_add_lshl_u32 v26, v22, v3, 2
	v_and_b32_e32 v3, 1, v4
	v_add_co_u32_e64 v6, s[18:19], -1, v3
	v_addc_co_u32_e64 v7, s[18:19], 0, -1, s[18:19]
	v_cmp_ne_u32_e64 s[18:19], 0, v3
	v_xor_b32_e32 v3, s19, v7
	v_and_b32_e32 v7, exec_hi, v3
	v_lshlrev_b32_e32 v3, 30, v4
	v_xor_b32_e32 v6, s18, v6
	v_cmp_gt_i64_e64 s[18:19], 0, v[2:3]
	v_not_b32_e32 v3, v3
	v_ashrrev_i32_e32 v3, 31, v3
	v_and_b32_e32 v6, exec_lo, v6
	v_xor_b32_e32 v27, s19, v3
	v_xor_b32_e32 v3, s18, v3
	v_and_b32_e32 v6, v6, v3
	v_lshlrev_b32_e32 v3, 29, v4
	v_cmp_gt_i64_e64 s[18:19], 0, v[2:3]
	v_not_b32_e32 v3, v3
	v_ashrrev_i32_e32 v3, 31, v3
	v_and_b32_e32 v7, v7, v27
	v_xor_b32_e32 v27, s19, v3
	v_xor_b32_e32 v3, s18, v3
	v_and_b32_e32 v6, v6, v3
	v_lshlrev_b32_e32 v3, 28, v4
	v_cmp_gt_i64_e64 s[18:19], 0, v[2:3]
	v_not_b32_e32 v3, v3
	v_ashrrev_i32_e32 v3, 31, v3
	v_and_b32_e32 v7, v7, v27
	;; [unrolled: 8-line block ×5, first 2 shown]
	v_xor_b32_e32 v27, s19, v3
	v_xor_b32_e32 v3, s18, v3
	v_and_b32_e32 v6, v6, v3
	v_lshlrev_b32_e32 v3, 24, v4
	v_cmp_gt_i64_e64 s[18:19], 0, v[2:3]
	v_not_b32_e32 v2, v3
	v_ashrrev_i32_e32 v2, 31, v2
	v_xor_b32_e32 v3, s19, v2
	v_xor_b32_e32 v2, s18, v2
	; wave barrier
	ds_read_b32 v39, v26 offset:64
	v_and_b32_e32 v7, v7, v27
	v_and_b32_e32 v2, v6, v2
	;; [unrolled: 1-line block ×3, first 2 shown]
	v_mbcnt_lo_u32_b32 v4, v2, 0
	v_mbcnt_hi_u32_b32 v40, v3, v4
	v_cmp_eq_u32_e64 s[18:19], 0, v40
	v_cmp_ne_u64_e64 s[20:21], 0, v[2:3]
	s_and_b64 s[20:21], s[20:21], s[18:19]
	; wave barrier
	s_and_saveexec_b64 s[18:19], s[20:21]
	s_cbranch_execz .LBB1420_33
; %bb.32:
	v_bcnt_u32_b32 v2, v2, 0
	v_bcnt_u32_b32 v2, v3, v2
	s_waitcnt lgkmcnt(0)
	v_add_u32_e32 v2, v39, v2
	ds_write_b32 v26, v2 offset:64
.LBB1420_33:
	s_or_b64 exec, exec, s[18:19]
	v_xor_b32_e32 v27, 0xffff8000, v5
	v_lshrrev_b32_sdwa v2, s48, v27 dst_sel:DWORD dst_unused:UNUSED_PAD src0_sel:DWORD src1_sel:WORD_0
	v_and_b32_e32 v4, s53, v2
	v_and_b32_e32 v3, 1, v4
	v_add_co_u32_e64 v6, s[18:19], -1, v3
	v_addc_co_u32_e64 v7, s[18:19], 0, -1, s[18:19]
	v_cmp_ne_u32_e64 s[18:19], 0, v3
	v_mul_u32_u24_e32 v2, 17, v4
	v_xor_b32_e32 v3, s19, v7
	v_add_lshl_u32 v28, v22, v2, 2
	v_mov_b32_e32 v2, 0
	v_and_b32_e32 v7, exec_hi, v3
	v_lshlrev_b32_e32 v3, 30, v4
	v_xor_b32_e32 v6, s18, v6
	v_cmp_gt_i64_e64 s[18:19], 0, v[2:3]
	v_not_b32_e32 v3, v3
	v_ashrrev_i32_e32 v3, 31, v3
	v_and_b32_e32 v6, exec_lo, v6
	v_xor_b32_e32 v29, s19, v3
	v_xor_b32_e32 v3, s18, v3
	v_and_b32_e32 v6, v6, v3
	v_lshlrev_b32_e32 v3, 29, v4
	v_cmp_gt_i64_e64 s[18:19], 0, v[2:3]
	v_not_b32_e32 v3, v3
	v_ashrrev_i32_e32 v3, 31, v3
	v_and_b32_e32 v7, v7, v29
	v_xor_b32_e32 v29, s19, v3
	v_xor_b32_e32 v3, s18, v3
	v_and_b32_e32 v6, v6, v3
	v_lshlrev_b32_e32 v3, 28, v4
	v_cmp_gt_i64_e64 s[18:19], 0, v[2:3]
	v_not_b32_e32 v3, v3
	v_ashrrev_i32_e32 v3, 31, v3
	v_and_b32_e32 v7, v7, v29
	;; [unrolled: 8-line block ×5, first 2 shown]
	v_xor_b32_e32 v29, s19, v3
	v_xor_b32_e32 v3, s18, v3
	v_and_b32_e32 v6, v6, v3
	v_lshlrev_b32_e32 v3, 24, v4
	v_cmp_gt_i64_e64 s[18:19], 0, v[2:3]
	v_not_b32_e32 v3, v3
	v_ashrrev_i32_e32 v3, 31, v3
	v_xor_b32_e32 v4, s19, v3
	v_xor_b32_e32 v3, s18, v3
	; wave barrier
	ds_read_b32 v41, v28 offset:64
	v_and_b32_e32 v7, v7, v29
	v_and_b32_e32 v6, v6, v3
	;; [unrolled: 1-line block ×3, first 2 shown]
	v_mbcnt_lo_u32_b32 v3, v6, 0
	v_mbcnt_hi_u32_b32 v42, v7, v3
	v_cmp_eq_u32_e64 s[18:19], 0, v42
	v_cmp_ne_u64_e64 s[20:21], 0, v[6:7]
	s_and_b64 s[20:21], s[20:21], s[18:19]
	; wave barrier
	s_and_saveexec_b64 s[18:19], s[20:21]
	s_cbranch_execz .LBB1420_35
; %bb.34:
	v_bcnt_u32_b32 v3, v6, 0
	v_bcnt_u32_b32 v3, v7, v3
	s_waitcnt lgkmcnt(0)
	v_add_u32_e32 v3, v41, v3
	ds_write_b32 v28, v3 offset:64
.LBB1420_35:
	s_or_b64 exec, exec, s[18:19]
	v_xor_b32_sdwa v6, v5, s22 dst_sel:DWORD dst_unused:UNUSED_PAD src0_sel:WORD_1 src1_sel:DWORD
	v_lshrrev_b32_sdwa v3, s48, v6 dst_sel:DWORD dst_unused:UNUSED_PAD src0_sel:DWORD src1_sel:WORD_0
	v_and_b32_e32 v4, s53, v3
	v_mul_u32_u24_e32 v3, 17, v4
	v_add_lshl_u32 v7, v22, v3, 2
	v_and_b32_e32 v3, 1, v4
	v_add_co_u32_e64 v5, s[18:19], -1, v3
	v_addc_co_u32_e64 v22, s[18:19], 0, -1, s[18:19]
	v_cmp_ne_u32_e64 s[18:19], 0, v3
	v_xor_b32_e32 v3, s19, v22
	v_and_b32_e32 v22, exec_hi, v3
	v_lshlrev_b32_e32 v3, 30, v4
	v_xor_b32_e32 v5, s18, v5
	v_cmp_gt_i64_e64 s[18:19], 0, v[2:3]
	v_not_b32_e32 v3, v3
	v_ashrrev_i32_e32 v3, 31, v3
	v_and_b32_e32 v5, exec_lo, v5
	v_xor_b32_e32 v44, s19, v3
	v_xor_b32_e32 v3, s18, v3
	v_and_b32_e32 v5, v5, v3
	v_lshlrev_b32_e32 v3, 29, v4
	v_cmp_gt_i64_e64 s[18:19], 0, v[2:3]
	v_not_b32_e32 v3, v3
	v_ashrrev_i32_e32 v3, 31, v3
	v_and_b32_e32 v22, v22, v44
	v_xor_b32_e32 v44, s19, v3
	v_xor_b32_e32 v3, s18, v3
	v_and_b32_e32 v5, v5, v3
	v_lshlrev_b32_e32 v3, 28, v4
	v_cmp_gt_i64_e64 s[18:19], 0, v[2:3]
	v_not_b32_e32 v3, v3
	v_ashrrev_i32_e32 v3, 31, v3
	v_and_b32_e32 v22, v22, v44
	v_xor_b32_e32 v44, s19, v3
	v_xor_b32_e32 v3, s18, v3
	v_and_b32_e32 v5, v5, v3
	v_lshlrev_b32_e32 v3, 27, v4
	v_cmp_gt_i64_e64 s[18:19], 0, v[2:3]
	v_not_b32_e32 v3, v3
	v_ashrrev_i32_e32 v3, 31, v3
	v_and_b32_e32 v22, v22, v44
	v_xor_b32_e32 v44, s19, v3
	v_xor_b32_e32 v3, s18, v3
	v_and_b32_e32 v5, v5, v3
	v_lshlrev_b32_e32 v3, 26, v4
	v_cmp_gt_i64_e64 s[18:19], 0, v[2:3]
	v_not_b32_e32 v3, v3
	v_ashrrev_i32_e32 v3, 31, v3
	v_and_b32_e32 v22, v22, v44
	v_xor_b32_e32 v44, s19, v3
	v_xor_b32_e32 v3, s18, v3
	v_and_b32_e32 v5, v5, v3
	v_lshlrev_b32_e32 v3, 25, v4
	v_cmp_gt_i64_e64 s[18:19], 0, v[2:3]
	v_not_b32_e32 v3, v3
	v_ashrrev_i32_e32 v3, 31, v3
	v_and_b32_e32 v22, v22, v44
	v_xor_b32_e32 v44, s19, v3
	v_xor_b32_e32 v3, s18, v3
	v_and_b32_e32 v5, v5, v3
	v_lshlrev_b32_e32 v3, 24, v4
	v_cmp_gt_i64_e64 s[18:19], 0, v[2:3]
	v_not_b32_e32 v2, v3
	v_ashrrev_i32_e32 v2, 31, v2
	v_xor_b32_e32 v3, s19, v2
	v_xor_b32_e32 v2, s18, v2
	; wave barrier
	ds_read_b32 v43, v7 offset:64
	v_and_b32_e32 v22, v22, v44
	v_and_b32_e32 v2, v5, v2
	;; [unrolled: 1-line block ×3, first 2 shown]
	v_mbcnt_lo_u32_b32 v4, v2, 0
	v_mbcnt_hi_u32_b32 v46, v3, v4
	v_cmp_eq_u32_e64 s[18:19], 0, v46
	v_cmp_ne_u64_e64 s[20:21], 0, v[2:3]
	v_add_u32_e32 v29, 64, v15
	s_and_b64 s[20:21], s[20:21], s[18:19]
	; wave barrier
	s_and_saveexec_b64 s[18:19], s[20:21]
	s_cbranch_execz .LBB1420_37
; %bb.36:
	v_bcnt_u32_b32 v2, v2, 0
	v_bcnt_u32_b32 v2, v3, v2
	s_waitcnt lgkmcnt(0)
	v_add_u32_e32 v2, v43, v2
	ds_write_b32 v7, v2 offset:64
.LBB1420_37:
	s_or_b64 exec, exec, s[18:19]
	; wave barrier
	s_waitcnt lgkmcnt(0)
	s_barrier
	ds_read2_b32 v[4:5], v15 offset0:16 offset1:17
	ds_read2_b32 v[2:3], v29 offset0:2 offset1:3
	ds_read_b32 v22, v29 offset:16
	v_cmp_lt_u32_e64 s[28:29], 31, v13
	s_waitcnt lgkmcnt(1)
	v_add3_u32 v44, v5, v4, v2
	s_waitcnt lgkmcnt(0)
	v_add3_u32 v22, v44, v3, v22
	v_and_b32_e32 v44, 15, v13
	v_cmp_eq_u32_e64 s[18:19], 0, v44
	v_mov_b32_dpp v45, v22 row_shr:1 row_mask:0xf bank_mask:0xf
	v_cndmask_b32_e64 v45, v45, 0, s[18:19]
	v_add_u32_e32 v22, v45, v22
	v_cmp_lt_u32_e64 s[20:21], 1, v44
	v_cmp_lt_u32_e64 s[22:23], 3, v44
	v_mov_b32_dpp v45, v22 row_shr:2 row_mask:0xf bank_mask:0xf
	v_cndmask_b32_e64 v45, 0, v45, s[20:21]
	v_add_u32_e32 v22, v22, v45
	v_cmp_lt_u32_e64 s[24:25], 7, v44
	s_nop 0
	v_mov_b32_dpp v45, v22 row_shr:4 row_mask:0xf bank_mask:0xf
	v_cndmask_b32_e64 v45, 0, v45, s[22:23]
	v_add_u32_e32 v22, v22, v45
	s_nop 1
	v_mov_b32_dpp v45, v22 row_shr:8 row_mask:0xf bank_mask:0xf
	v_cndmask_b32_e64 v44, 0, v45, s[24:25]
	v_add_u32_e32 v22, v22, v44
	v_bfe_i32 v45, v13, 4, 1
	s_nop 0
	v_mov_b32_dpp v44, v22 row_bcast:15 row_mask:0xf bank_mask:0xf
	v_and_b32_e32 v44, v45, v44
	v_add_u32_e32 v22, v22, v44
	v_and_b32_e32 v45, 63, v10
	s_nop 0
	v_mov_b32_dpp v44, v22 row_bcast:31 row_mask:0xf bank_mask:0xf
	v_cndmask_b32_e64 v44, 0, v44, s[28:29]
	v_add_u32_e32 v22, v22, v44
	v_lshrrev_b32_e32 v44, 6, v10
	v_cmp_eq_u32_e64 s[28:29], 63, v45
	s_and_saveexec_b64 s[50:51], s[28:29]
	s_cbranch_execz .LBB1420_39
; %bb.38:
	v_lshlrev_b32_e32 v45, 2, v44
	ds_write_b32 v45, v22
.LBB1420_39:
	s_or_b64 exec, exec, s[50:51]
	v_cmp_gt_u32_e64 s[28:29], 16, v10
	s_waitcnt lgkmcnt(0)
	s_barrier
	s_and_saveexec_b64 s[50:51], s[28:29]
	s_cbranch_execz .LBB1420_41
; %bb.40:
	v_lshlrev_b32_e32 v45, 2, v10
	ds_read_b32 v47, v45
	s_waitcnt lgkmcnt(0)
	s_nop 0
	v_mov_b32_dpp v48, v47 row_shr:1 row_mask:0xf bank_mask:0xf
	v_cndmask_b32_e64 v48, v48, 0, s[18:19]
	v_add_u32_e32 v47, v48, v47
	s_nop 1
	v_mov_b32_dpp v48, v47 row_shr:2 row_mask:0xf bank_mask:0xf
	v_cndmask_b32_e64 v48, 0, v48, s[20:21]
	v_add_u32_e32 v47, v47, v48
	;; [unrolled: 4-line block ×4, first 2 shown]
	ds_write_b32 v45, v47
.LBB1420_41:
	s_or_b64 exec, exec, s[50:51]
	v_cmp_lt_u32_e64 s[18:19], 63, v10
	v_mov_b32_e32 v45, 0
	s_waitcnt lgkmcnt(0)
	s_barrier
	s_and_saveexec_b64 s[20:21], s[18:19]
	s_cbranch_execz .LBB1420_43
; %bb.42:
	v_lshl_add_u32 v44, v44, 2, -4
	ds_read_b32 v45, v44
.LBB1420_43:
	s_or_b64 exec, exec, s[20:21]
	v_add_u32_e32 v44, -1, v13
	v_and_b32_e32 v47, 64, v13
	v_cmp_lt_i32_e64 s[18:19], v44, v47
	v_cndmask_b32_e64 v44, v44, v13, s[18:19]
	s_waitcnt lgkmcnt(0)
	v_add_u32_e32 v22, v45, v22
	v_lshlrev_b32_e32 v44, 2, v44
	ds_bpermute_b32 v22, v44, v22
	v_cmp_eq_u32_e64 s[18:19], 0, v13
                                        ; implicit-def: $vgpr44
	s_waitcnt lgkmcnt(0)
	v_cndmask_b32_e64 v13, v22, v45, s[18:19]
	v_cndmask_b32_e64 v13, v13, 0, s[0:1]
	v_add_u32_e32 v4, v13, v4
	v_add_u32_e32 v5, v4, v5
	;; [unrolled: 1-line block ×4, first 2 shown]
	ds_write2_b32 v15, v13, v4 offset0:16 offset1:17
	ds_write2_b32 v29, v5, v2 offset0:2 offset1:3
	ds_write_b32 v29, v3 offset:16
	s_waitcnt lgkmcnt(0)
	s_barrier
	ds_read_b32 v2, v18 offset:64
	ds_read_b32 v48, v19 offset:64
	;; [unrolled: 1-line block ×8, first 2 shown]
	s_movk_i32 s18, 0x100
	v_cmp_gt_u32_e64 s[18:19], s18, v10
                                        ; implicit-def: $vgpr45
	s_and_saveexec_b64 s[22:23], s[18:19]
	s_cbranch_execz .LBB1420_47
; %bb.44:
	v_mul_u32_u24_e32 v3, 17, v10
	v_lshlrev_b32_e32 v4, 2, v3
	ds_read_b32 v44, v4 offset:64
	s_movk_i32 s20, 0xff
	v_cmp_ne_u32_e64 s[20:21], s20, v10
	v_mov_b32_e32 v3, 0x2000
	s_and_saveexec_b64 s[24:25], s[20:21]
	s_cbranch_execz .LBB1420_46
; %bb.45:
	ds_read_b32 v3, v4 offset:132
.LBB1420_46:
	s_or_b64 exec, exec, s[24:25]
	s_waitcnt lgkmcnt(0)
	v_sub_u32_e32 v45, v3, v44
.LBB1420_47:
	s_or_b64 exec, exec, s[22:23]
	s_waitcnt lgkmcnt(7)
	v_add_u32_e32 v47, v2, v16
	v_add_u32_e32 v15, v32, v31
	v_lshlrev_b32_e32 v2, 1, v47
	v_add_u32_e32 v13, v34, v33
	s_waitcnt lgkmcnt(0)
	s_barrier
	ds_write_b16 v2, v14 offset:1024
	v_add_lshl_u32 v2, v15, v48, 1
	v_add_u32_e32 v9, v36, v35
	ds_write_b16 v2, v17 offset:1024
	v_add_lshl_u32 v2, v13, v49, 1
	v_add_u32_e32 v7, v38, v37
	;; [unrolled: 3-line block ×5, first 2 shown]
	ds_write_b16 v2, v25 offset:1024
	v_add_lshl_u32 v2, v4, v53, 1
	ds_write_b16 v2, v27 offset:1024
	v_add_lshl_u32 v2, v3, v54, 1
	ds_write_b16 v2, v6 offset:1024
	s_and_saveexec_b64 s[22:23], s[18:19]
	s_cbranch_execz .LBB1420_57
; %bb.48:
	v_lshl_or_b32 v2, s33, 8, v10
	v_mov_b32_e32 v3, 0
	v_lshlrev_b64 v[4:5], 2, v[2:3]
	v_mov_b32_e32 v8, s31
	v_add_co_u32_e64 v4, s[20:21], s30, v4
	v_addc_co_u32_e64 v5, s[20:21], v8, v5, s[20:21]
	v_or_b32_e32 v2, 2.0, v45
	s_mov_b64 s[24:25], 0
	s_brev_b32 s54, 1
	s_mov_b32 s55, s33
	v_mov_b32_e32 v9, 0
	global_store_dword v[4:5], v2, off
                                        ; implicit-def: $sgpr20_sgpr21
	s_branch .LBB1420_50
.LBB1420_49:                            ;   in Loop: Header=BB1420_50 Depth=1
	s_or_b64 exec, exec, s[28:29]
	v_and_b32_e32 v6, 0x3fffffff, v13
	v_add_u32_e32 v9, v6, v9
	v_cmp_eq_u32_e64 s[20:21], s54, v2
	s_and_b64 s[28:29], exec, s[20:21]
	s_or_b64 s[24:25], s[28:29], s[24:25]
	s_andn2_b64 exec, exec, s[24:25]
	s_cbranch_execz .LBB1420_56
.LBB1420_50:                            ; =>This Loop Header: Depth=1
                                        ;     Child Loop BB1420_53 Depth 2
	s_or_b64 s[20:21], s[20:21], exec
	s_cmp_eq_u32 s55, 0
	s_cbranch_scc1 .LBB1420_55
; %bb.51:                               ;   in Loop: Header=BB1420_50 Depth=1
	s_add_i32 s55, s55, -1
	v_lshl_or_b32 v2, s55, 8, v10
	v_lshlrev_b64 v[6:7], 2, v[2:3]
	v_add_co_u32_e64 v6, s[20:21], s30, v6
	v_addc_co_u32_e64 v7, s[20:21], v8, v7, s[20:21]
	global_load_dword v13, v[6:7], off glc
	s_waitcnt vmcnt(0)
	v_and_b32_e32 v2, -2.0, v13
	v_cmp_eq_u32_e64 s[20:21], 0, v2
	s_and_saveexec_b64 s[28:29], s[20:21]
	s_cbranch_execz .LBB1420_49
; %bb.52:                               ;   in Loop: Header=BB1420_50 Depth=1
	s_mov_b64 s[50:51], 0
.LBB1420_53:                            ;   Parent Loop BB1420_50 Depth=1
                                        ; =>  This Inner Loop Header: Depth=2
	global_load_dword v13, v[6:7], off glc
	s_waitcnt vmcnt(0)
	v_and_b32_e32 v2, -2.0, v13
	v_cmp_ne_u32_e64 s[20:21], 0, v2
	s_or_b64 s[50:51], s[20:21], s[50:51]
	s_andn2_b64 exec, exec, s[50:51]
	s_cbranch_execnz .LBB1420_53
; %bb.54:                               ;   in Loop: Header=BB1420_50 Depth=1
	s_or_b64 exec, exec, s[50:51]
	s_branch .LBB1420_49
.LBB1420_55:                            ;   in Loop: Header=BB1420_50 Depth=1
                                        ; implicit-def: $sgpr55
	s_and_b64 s[28:29], exec, s[20:21]
	s_or_b64 s[24:25], s[28:29], s[24:25]
	s_andn2_b64 exec, exec, s[24:25]
	s_cbranch_execnz .LBB1420_50
.LBB1420_56:
	s_or_b64 exec, exec, s[24:25]
	v_add_u32_e32 v2, v9, v45
	v_or_b32_e32 v2, 0x80000000, v2
	global_store_dword v[4:5], v2, off
	v_lshlrev_b32_e32 v2, 2, v10
	global_load_dword v3, v2, s[44:45]
	v_sub_u32_e32 v4, v9, v44
	s_waitcnt vmcnt(0)
	v_add_u32_e32 v3, v4, v3
	ds_write_b32 v2, v3
.LBB1420_57:
	s_or_b64 exec, exec, s[22:23]
	v_cmp_gt_u32_e64 s[20:21], s7, v10
	s_waitcnt lgkmcnt(0)
	s_barrier
	s_waitcnt lgkmcnt(0)
                                        ; implicit-def: $vgpr2_vgpr3_vgpr4_vgpr5_vgpr6_vgpr7_vgpr8_vgpr9
	s_and_saveexec_b64 s[22:23], s[20:21]
	s_cbranch_execz .LBB1420_59
; %bb.58:
	v_lshlrev_b32_e32 v2, 1, v10
	ds_read_u16 v3, v2 offset:1024
	v_mov_b32_e32 v5, 0
	v_mov_b32_e32 v6, s39
	s_waitcnt lgkmcnt(0)
	v_lshrrev_b32_sdwa v2, s48, v3 dst_sel:DWORD dst_unused:UNUSED_PAD src0_sel:DWORD src1_sel:WORD_0
	v_and_b32_e32 v2, s53, v2
	v_lshlrev_b32_e32 v4, 2, v2
	ds_read_b32 v4, v4
	v_xor_b32_e32 v3, 0xffff8000, v3
	s_waitcnt lgkmcnt(0)
	v_add_u32_e32 v4, v4, v10
	v_lshlrev_b64 v[4:5], 1, v[4:5]
	v_add_co_u32_e64 v4, s[20:21], s38, v4
	v_addc_co_u32_e64 v5, s[20:21], v6, v5, s[20:21]
	global_store_short v[4:5], v3, off
.LBB1420_59:
	s_or_b64 exec, exec, s[22:23]
	v_or_b32_e32 v13, 0x400, v10
	v_cmp_gt_u32_e64 s[20:21], s7, v13
	s_and_saveexec_b64 s[22:23], s[20:21]
	s_cbranch_execz .LBB1420_61
; %bb.60:
	v_lshlrev_b32_e32 v3, 1, v10
	ds_read_u16 v14, v3 offset:3072
	v_mov_b32_e32 v17, s39
	s_waitcnt lgkmcnt(0)
	v_lshrrev_b32_sdwa v3, s48, v14 dst_sel:DWORD dst_unused:UNUSED_PAD src0_sel:DWORD src1_sel:WORD_0
	v_and_b32_e32 v3, s53, v3
	v_lshlrev_b32_e32 v15, 2, v3
	ds_read_b32 v16, v15
	v_mov_b32_e32 v15, 0
	v_xor_b32_e32 v18, 0xffff8000, v14
	s_waitcnt lgkmcnt(0)
	v_add_u32_e32 v14, v16, v13
	v_lshlrev_b64 v[14:15], 1, v[14:15]
	v_add_co_u32_e64 v14, s[20:21], s38, v14
	v_addc_co_u32_e64 v15, s[20:21], v17, v15, s[20:21]
	global_store_short v[14:15], v18, off
.LBB1420_61:
	s_or_b64 exec, exec, s[22:23]
	v_or_b32_e32 v13, 0x800, v10
	v_cmp_gt_u32_e64 s[20:21], s7, v13
	s_and_saveexec_b64 s[22:23], s[20:21]
	s_cbranch_execz .LBB1420_63
; %bb.62:
	v_lshlrev_b32_e32 v4, 1, v10
	ds_read_u16 v14, v4 offset:5120
	v_mov_b32_e32 v17, s39
	s_waitcnt lgkmcnt(0)
	v_lshrrev_b32_sdwa v4, s48, v14 dst_sel:DWORD dst_unused:UNUSED_PAD src0_sel:DWORD src1_sel:WORD_0
	v_and_b32_e32 v4, s53, v4
	v_lshlrev_b32_e32 v15, 2, v4
	ds_read_b32 v16, v15
	v_mov_b32_e32 v15, 0
	v_xor_b32_e32 v18, 0xffff8000, v14
	s_waitcnt lgkmcnt(0)
	v_add_u32_e32 v14, v16, v13
	v_lshlrev_b64 v[14:15], 1, v[14:15]
	v_add_co_u32_e64 v14, s[20:21], s38, v14
	v_addc_co_u32_e64 v15, s[20:21], v17, v15, s[20:21]
	global_store_short v[14:15], v18, off
.LBB1420_63:
	;; [unrolled: 23-line block ×7, first 2 shown]
	s_or_b64 exec, exec, s[22:23]
	s_lshl_b64 s[20:21], s[34:35], 3
	s_add_u32 s20, s40, s20
	s_addc_u32 s21, s41, s21
	v_lshlrev_b32_e32 v12, 3, v12
	v_mov_b32_e32 v13, s21
	v_add_co_u32_e64 v12, s[20:21], s20, v12
	v_addc_co_u32_e64 v13, s[20:21], 0, v13, s[20:21]
	v_lshlrev_b32_e32 v11, 3, v11
	v_add_co_u32_e64 v28, s[20:21], v12, v11
	v_addc_co_u32_e64 v29, s[20:21], 0, v13, s[20:21]
                                        ; implicit-def: $vgpr12_vgpr13
	s_and_saveexec_b64 s[20:21], vcc
	s_xor_b64 s[20:21], exec, s[20:21]
	s_cbranch_execnz .LBB1420_138
; %bb.74:
	s_or_b64 exec, exec, s[20:21]
                                        ; implicit-def: $vgpr14_vgpr15
	s_and_saveexec_b64 s[20:21], s[2:3]
	s_cbranch_execnz .LBB1420_139
.LBB1420_75:
	s_or_b64 exec, exec, s[20:21]
                                        ; implicit-def: $vgpr16_vgpr17
	s_and_saveexec_b64 s[2:3], s[26:27]
	s_cbranch_execnz .LBB1420_140
.LBB1420_76:
	s_or_b64 exec, exec, s[2:3]
                                        ; implicit-def: $vgpr18_vgpr19
	s_and_saveexec_b64 s[2:3], s[8:9]
	s_cbranch_execnz .LBB1420_141
.LBB1420_77:
	s_or_b64 exec, exec, s[2:3]
                                        ; implicit-def: $vgpr20_vgpr21
	s_and_saveexec_b64 s[2:3], s[10:11]
	s_cbranch_execnz .LBB1420_142
.LBB1420_78:
	s_or_b64 exec, exec, s[2:3]
                                        ; implicit-def: $vgpr22_vgpr23
	s_and_saveexec_b64 s[2:3], s[12:13]
	s_cbranch_execnz .LBB1420_143
.LBB1420_79:
	s_or_b64 exec, exec, s[2:3]
                                        ; implicit-def: $vgpr24_vgpr25
	s_and_saveexec_b64 s[2:3], s[14:15]
	s_cbranch_execnz .LBB1420_144
.LBB1420_80:
	s_or_b64 exec, exec, s[2:3]
                                        ; implicit-def: $vgpr26_vgpr27
	s_and_saveexec_b64 s[2:3], s[16:17]
	s_cbranch_execz .LBB1420_82
.LBB1420_81:
	global_load_dwordx2 v[26:27], v[28:29], off offset:3584
.LBB1420_82:
	s_or_b64 exec, exec, s[2:3]
	s_movk_i32 s8, 0x400
	v_add_u32_e32 v11, 0x400, v1
	v_add3_u32 v43, v46, v54, v43
	v_add3_u32 v41, v42, v53, v41
	;; [unrolled: 1-line block ×7, first 2 shown]
	s_mov_b32 s9, 0
	v_mov_b32_e32 v29, 0
	s_mov_b32 s10, 0
	v_mov_b32_e32 v32, v10
	s_barrier
	s_waitcnt vmcnt(0)
	s_branch .LBB1420_84
.LBB1420_83:                            ;   in Loop: Header=BB1420_84 Depth=1
	s_or_b64 exec, exec, s[2:3]
	s_addk_i32 s10, 0xf800
	s_add_i32 s9, s9, 2
	s_cmpk_eq_i32 s10, 0xe000
	v_add_u32_e32 v32, 0x800, v32
	s_barrier
	s_cbranch_scc1 .LBB1420_89
.LBB1420_84:                            ; =>This Inner Loop Header: Depth=1
	v_add_u32_e32 v28, s10, v47
	v_min_u32_e32 v28, 0x800, v28
	v_lshlrev_b32_e32 v28, 3, v28
	ds_write_b64 v28, v[12:13] offset:1024
	v_add_u32_e32 v28, s10, v31
	v_min_u32_e32 v28, 0x800, v28
	v_lshlrev_b32_e32 v28, 3, v28
	ds_write_b64 v28, v[14:15] offset:1024
	;; [unrolled: 4-line block ×7, first 2 shown]
	v_add_u32_e32 v28, s10, v43
	v_min_u32_e32 v28, 0x800, v28
	v_lshlrev_b32_e32 v28, 3, v28
	v_cmp_gt_u32_e32 vcc, s7, v32
	ds_write_b64 v28, v[26:27] offset:1024
	s_waitcnt lgkmcnt(0)
	s_barrier
	s_and_saveexec_b64 s[2:3], vcc
	s_cbranch_execz .LBB1420_86
; %bb.85:                               ;   in Loop: Header=BB1420_84 Depth=1
	s_cmp_eq_u32 s9, 1
	s_cselect_b64 vcc, -1, 0
	s_cmp_eq_u32 s9, 2
	v_cndmask_b32_e32 v28, v2, v3, vcc
	s_cselect_b64 vcc, -1, 0
	s_cmp_eq_u32 s9, 3
	v_cndmask_b32_e32 v28, v28, v4, vcc
	;; [unrolled: 3-line block ×6, first 2 shown]
	s_cselect_b64 vcc, -1, 0
	v_cndmask_b32_e32 v28, v28, v9, vcc
	v_lshlrev_b32_e32 v28, 2, v28
	ds_read_b32 v28, v28
	ds_read_b64 v[48:49], v1 offset:1024
	s_waitcnt lgkmcnt(1)
	v_add_u32_e32 v28, v32, v28
	v_lshlrev_b64 v[50:51], 3, v[28:29]
	v_mov_b32_e32 v28, s43
	v_add_co_u32_e32 v50, vcc, s42, v50
	v_addc_co_u32_e32 v51, vcc, v28, v51, vcc
	s_waitcnt lgkmcnt(0)
	global_store_dwordx2 v[50:51], v[48:49], off
.LBB1420_86:                            ;   in Loop: Header=BB1420_84 Depth=1
	s_or_b64 exec, exec, s[2:3]
	v_add_u32_e32 v28, 0x400, v32
	v_cmp_gt_u32_e32 vcc, s7, v28
	s_and_saveexec_b64 s[2:3], vcc
	s_cbranch_execz .LBB1420_83
; %bb.87:                               ;   in Loop: Header=BB1420_84 Depth=1
	s_add_i32 s11, s9, 1
	s_cmp_eq_u32 s11, 1
	s_cselect_b64 vcc, -1, 0
	s_cmp_eq_u32 s11, 2
	v_cndmask_b32_e32 v28, v2, v3, vcc
	s_cselect_b64 vcc, -1, 0
	s_cmp_eq_u32 s11, 3
	v_cndmask_b32_e32 v28, v28, v4, vcc
	;; [unrolled: 3-line block ×6, first 2 shown]
	s_cselect_b64 vcc, -1, 0
	v_cndmask_b32_e32 v28, v28, v9, vcc
	v_lshlrev_b32_e32 v28, 2, v28
	ds_read_b32 v28, v28
	ds_read_b64 v[48:49], v11 offset:8192
	s_waitcnt lgkmcnt(1)
	v_add3_u32 v28, v32, v28, s8
	v_lshlrev_b64 v[50:51], 3, v[28:29]
	v_mov_b32_e32 v28, s43
	v_add_co_u32_e32 v50, vcc, s42, v50
	v_addc_co_u32_e32 v51, vcc, v28, v51, vcc
	s_waitcnt lgkmcnt(0)
	global_store_dwordx2 v[50:51], v[48:49], off
	s_branch .LBB1420_83
.LBB1420_88:
	s_mov_b64 s[10:11], 0
                                        ; implicit-def: $vgpr2
                                        ; implicit-def: $vgpr8_vgpr9
	s_cbranch_execnz .LBB1420_92
	s_branch .LBB1420_135
.LBB1420_89:
	s_add_i32 s52, s52, -1
	s_cmp_eq_u32 s52, s33
	s_cselect_b64 s[2:3], -1, 0
	s_and_b64 s[8:9], s[18:19], s[2:3]
	s_mov_b64 s[2:3], 0
	s_mov_b64 s[10:11], 0
                                        ; implicit-def: $vgpr2
                                        ; implicit-def: $vgpr8_vgpr9
	s_and_saveexec_b64 s[12:13], s[8:9]
	s_xor_b64 s[8:9], exec, s[12:13]
; %bb.90:
	v_mov_b32_e32 v11, 0
	s_mov_b64 s[10:11], exec
	v_add_u32_e32 v2, v44, v45
	v_pk_mov_b32 v[8:9], v[10:11], v[10:11] op_sel:[0,1]
; %bb.91:
	s_or_b64 exec, exec, s[8:9]
	s_and_b64 vcc, exec, s[2:3]
	s_cbranch_vccz .LBB1420_135
.LBB1420_92:
	s_lshl_b32 s12, s33, 13
	s_mov_b32 s13, 0
	v_mbcnt_hi_u32_b32 v5, -1, v30
	s_lshl_b64 s[2:3], s[12:13], 1
	v_and_b32_e32 v15, 63, v5
	s_add_u32 s2, s36, s2
	v_and_b32_e32 v14, 0x1e00, v1
	v_lshlrev_b32_e32 v1, 1, v15
	v_add_co_u32_e32 v1, vcc, s2, v1
	s_load_dword s16, s[4:5], 0x58
	s_load_dword s2, s[4:5], 0x64
	s_addc_u32 s3, s37, s3
	v_mov_b32_e32 v3, s3
	v_addc_co_u32_e32 v3, vcc, 0, v3, vcc
	v_lshlrev_b32_e32 v4, 1, v14
	s_add_u32 s3, s4, 0x58
	v_add_co_u32_e32 v16, vcc, v1, v4
	s_addc_u32 s4, s5, 0
	s_waitcnt lgkmcnt(0)
	s_lshr_b32 s5, s2, 16
	v_addc_co_u32_e32 v17, vcc, 0, v3, vcc
	s_cmp_lt_u32 s6, s16
	global_load_ushort v1, v[16:17], off
	s_cselect_b32 s2, 12, 18
	s_add_u32 s2, s3, s2
	v_mov_b32_e32 v2, 0
	s_addc_u32 s3, s4, 0
	global_load_ushort v3, v2, s[2:3]
	v_mul_u32_u24_e32 v6, 5, v10
	v_lshlrev_b32_e32 v6, 2, v6
	ds_write2_b32 v6, v2, v2 offset0:16 offset1:17
	ds_write2_b32 v6, v2, v2 offset0:18 offset1:19
	ds_write_b32 v6, v2 offset:80
	global_load_ushort v9, v[16:17], off offset:128
	global_load_ushort v12, v[16:17], off offset:256
	;; [unrolled: 1-line block ×7, first 2 shown]
	v_bfe_u32 v4, v0, 10, 10
	v_bfe_u32 v0, v0, 20, 10
	v_mad_u32_u24 v0, v0, s5, v4
	s_lshl_b32 s2, -1, s49
	s_not_b32 s17, s2
	s_waitcnt lgkmcnt(0)
	s_barrier
	s_waitcnt lgkmcnt(0)
	; wave barrier
	s_waitcnt vmcnt(8)
	v_xor_b32_e32 v4, 0xffff8000, v1
	v_lshrrev_b32_sdwa v1, s48, v4 dst_sel:DWORD dst_unused:UNUSED_PAD src0_sel:DWORD src1_sel:WORD_0
	v_and_b32_e32 v8, s17, v1
	v_and_b32_e32 v7, 1, v8
	s_waitcnt vmcnt(7)
	v_mad_u64_u32 v[0:1], s[2:3], v0, v3, v[10:11]
	v_lshrrev_b32_e32 v27, 6, v0
	v_add_co_u32_e32 v0, vcc, -1, v7
	v_lshlrev_b32_e32 v3, 30, v8
	v_addc_co_u32_e64 v11, s[2:3], 0, -1, vcc
	v_mul_u32_u24_e32 v1, 17, v8
	v_cmp_ne_u32_e32 vcc, 0, v7
	v_cmp_gt_i64_e64 s[2:3], 0, v[2:3]
	v_not_b32_e32 v16, v3
	v_lshlrev_b32_e32 v3, 29, v8
	v_add_lshl_u32 v7, v27, v1, 2
	v_xor_b32_e32 v1, vcc_hi, v11
	v_xor_b32_e32 v0, vcc_lo, v0
	v_ashrrev_i32_e32 v11, 31, v16
	v_cmp_gt_i64_e32 vcc, 0, v[2:3]
	v_not_b32_e32 v16, v3
	v_lshlrev_b32_e32 v3, 28, v8
	v_and_b32_e32 v1, exec_hi, v1
	v_and_b32_e32 v0, exec_lo, v0
	v_xor_b32_e32 v17, s3, v11
	v_xor_b32_e32 v11, s2, v11
	v_ashrrev_i32_e32 v16, 31, v16
	v_cmp_gt_i64_e64 s[2:3], 0, v[2:3]
	v_not_b32_e32 v18, v3
	v_lshlrev_b32_e32 v3, 27, v8
	v_and_b32_e32 v1, v1, v17
	v_and_b32_e32 v0, v0, v11
	v_xor_b32_e32 v11, vcc_hi, v16
	v_xor_b32_e32 v16, vcc_lo, v16
	v_ashrrev_i32_e32 v17, 31, v18
	v_cmp_gt_i64_e32 vcc, 0, v[2:3]
	v_not_b32_e32 v3, v3
	v_and_b32_e32 v1, v1, v11
	v_and_b32_e32 v0, v0, v16
	v_xor_b32_e32 v11, s3, v17
	v_xor_b32_e32 v16, s2, v17
	v_ashrrev_i32_e32 v3, 31, v3
	v_and_b32_e32 v1, v1, v11
	v_and_b32_e32 v0, v0, v16
	v_xor_b32_e32 v11, vcc_hi, v3
	v_xor_b32_e32 v3, vcc_lo, v3
	v_and_b32_e32 v0, v0, v3
	v_lshlrev_b32_e32 v3, 26, v8
	v_cmp_gt_i64_e32 vcc, 0, v[2:3]
	v_not_b32_e32 v3, v3
	v_ashrrev_i32_e32 v3, 31, v3
	v_and_b32_e32 v1, v1, v11
	v_xor_b32_e32 v11, vcc_hi, v3
	v_xor_b32_e32 v3, vcc_lo, v3
	v_and_b32_e32 v0, v0, v3
	v_lshlrev_b32_e32 v3, 25, v8
	v_cmp_gt_i64_e32 vcc, 0, v[2:3]
	v_not_b32_e32 v3, v3
	v_ashrrev_i32_e32 v3, 31, v3
	;; [unrolled: 8-line block ×3, first 2 shown]
	v_xor_b32_e32 v8, vcc_hi, v3
	v_xor_b32_e32 v3, vcc_lo, v3
	v_and_b32_e32 v1, v1, v11
	v_and_b32_e32 v0, v0, v3
	;; [unrolled: 1-line block ×3, first 2 shown]
	v_mbcnt_lo_u32_b32 v3, v0, 0
	v_mbcnt_hi_u32_b32 v8, v1, v3
	v_cmp_eq_u32_e32 vcc, 0, v8
	v_cmp_ne_u64_e64 s[2:3], 0, v[0:1]
	s_and_b64 s[4:5], s[2:3], vcc
	s_and_saveexec_b64 s[2:3], s[4:5]
	s_cbranch_execz .LBB1420_94
; %bb.93:
	v_bcnt_u32_b32 v0, v0, 0
	v_bcnt_u32_b32 v0, v1, v0
	ds_write_b32 v7, v0 offset:64
.LBB1420_94:
	s_or_b64 exec, exec, s[2:3]
	s_waitcnt vmcnt(6)
	v_xor_b32_e32 v9, 0xffff8000, v9
	v_lshrrev_b32_sdwa v0, s48, v9 dst_sel:DWORD dst_unused:UNUSED_PAD src0_sel:DWORD src1_sel:WORD_0
	v_and_b32_e32 v0, s17, v0
	v_mul_u32_u24_e32 v1, 17, v0
	v_add_lshl_u32 v11, v27, v1, 2
	v_and_b32_e32 v1, 1, v0
	v_add_co_u32_e32 v3, vcc, -1, v1
	v_addc_co_u32_e64 v17, s[2:3], 0, -1, vcc
	v_cmp_ne_u32_e32 vcc, 0, v1
	v_xor_b32_e32 v3, vcc_lo, v3
	v_xor_b32_e32 v1, vcc_hi, v17
	v_and_b32_e32 v17, exec_lo, v3
	v_lshlrev_b32_e32 v3, 30, v0
	v_cmp_gt_i64_e32 vcc, 0, v[2:3]
	v_not_b32_e32 v3, v3
	v_ashrrev_i32_e32 v3, 31, v3
	v_xor_b32_e32 v18, vcc_hi, v3
	v_xor_b32_e32 v3, vcc_lo, v3
	v_and_b32_e32 v17, v17, v3
	v_lshlrev_b32_e32 v3, 29, v0
	v_cmp_gt_i64_e32 vcc, 0, v[2:3]
	v_not_b32_e32 v3, v3
	v_and_b32_e32 v1, exec_hi, v1
	v_ashrrev_i32_e32 v3, 31, v3
	v_and_b32_e32 v1, v1, v18
	v_xor_b32_e32 v18, vcc_hi, v3
	v_xor_b32_e32 v3, vcc_lo, v3
	v_and_b32_e32 v17, v17, v3
	v_lshlrev_b32_e32 v3, 28, v0
	v_cmp_gt_i64_e32 vcc, 0, v[2:3]
	v_not_b32_e32 v3, v3
	v_ashrrev_i32_e32 v3, 31, v3
	v_and_b32_e32 v1, v1, v18
	v_xor_b32_e32 v18, vcc_hi, v3
	v_xor_b32_e32 v3, vcc_lo, v3
	v_and_b32_e32 v17, v17, v3
	v_lshlrev_b32_e32 v3, 27, v0
	v_cmp_gt_i64_e32 vcc, 0, v[2:3]
	v_not_b32_e32 v3, v3
	;; [unrolled: 8-line block ×4, first 2 shown]
	v_ashrrev_i32_e32 v3, 31, v3
	v_and_b32_e32 v1, v1, v18
	v_xor_b32_e32 v18, vcc_hi, v3
	v_xor_b32_e32 v3, vcc_lo, v3
	v_and_b32_e32 v17, v17, v3
	v_lshlrev_b32_e32 v3, 24, v0
	v_not_b32_e32 v0, v3
	v_cmp_gt_i64_e32 vcc, 0, v[2:3]
	v_ashrrev_i32_e32 v0, 31, v0
	v_xor_b32_e32 v2, vcc_hi, v0
	v_xor_b32_e32 v0, vcc_lo, v0
	; wave barrier
	ds_read_b32 v16, v11 offset:64
	v_and_b32_e32 v1, v1, v18
	v_and_b32_e32 v0, v17, v0
	;; [unrolled: 1-line block ×3, first 2 shown]
	v_mbcnt_lo_u32_b32 v2, v0, 0
	v_mbcnt_hi_u32_b32 v17, v1, v2
	v_cmp_eq_u32_e32 vcc, 0, v17
	v_cmp_ne_u64_e64 s[2:3], 0, v[0:1]
	s_and_b64 s[4:5], s[2:3], vcc
	; wave barrier
	s_and_saveexec_b64 s[2:3], s[4:5]
	s_cbranch_execz .LBB1420_96
; %bb.95:
	v_bcnt_u32_b32 v0, v0, 0
	v_bcnt_u32_b32 v0, v1, v0
	s_waitcnt lgkmcnt(0)
	v_add_u32_e32 v0, v16, v0
	ds_write_b32 v11, v0 offset:64
.LBB1420_96:
	s_or_b64 exec, exec, s[2:3]
	s_waitcnt vmcnt(5)
	v_xor_b32_e32 v12, 0xffff8000, v12
	v_lshrrev_b32_sdwa v0, s48, v12 dst_sel:DWORD dst_unused:UNUSED_PAD src0_sel:DWORD src1_sel:WORD_0
	v_and_b32_e32 v2, s17, v0
	v_and_b32_e32 v1, 1, v2
	v_add_co_u32_e32 v3, vcc, -1, v1
	v_addc_co_u32_e64 v19, s[2:3], 0, -1, vcc
	v_cmp_ne_u32_e32 vcc, 0, v1
	v_mul_u32_u24_e32 v0, 17, v2
	v_xor_b32_e32 v1, vcc_hi, v19
	v_add_lshl_u32 v28, v27, v0, 2
	v_mov_b32_e32 v0, 0
	v_and_b32_e32 v19, exec_hi, v1
	v_lshlrev_b32_e32 v1, 30, v2
	v_xor_b32_e32 v3, vcc_lo, v3
	v_cmp_gt_i64_e32 vcc, 0, v[0:1]
	v_not_b32_e32 v1, v1
	v_ashrrev_i32_e32 v1, 31, v1
	v_and_b32_e32 v3, exec_lo, v3
	v_xor_b32_e32 v21, vcc_hi, v1
	v_xor_b32_e32 v1, vcc_lo, v1
	v_and_b32_e32 v3, v3, v1
	v_lshlrev_b32_e32 v1, 29, v2
	v_cmp_gt_i64_e32 vcc, 0, v[0:1]
	v_not_b32_e32 v1, v1
	v_ashrrev_i32_e32 v1, 31, v1
	v_and_b32_e32 v19, v19, v21
	v_xor_b32_e32 v21, vcc_hi, v1
	v_xor_b32_e32 v1, vcc_lo, v1
	v_and_b32_e32 v3, v3, v1
	v_lshlrev_b32_e32 v1, 28, v2
	v_cmp_gt_i64_e32 vcc, 0, v[0:1]
	v_not_b32_e32 v1, v1
	v_ashrrev_i32_e32 v1, 31, v1
	v_and_b32_e32 v19, v19, v21
	;; [unrolled: 8-line block ×5, first 2 shown]
	v_xor_b32_e32 v21, vcc_hi, v1
	v_xor_b32_e32 v1, vcc_lo, v1
	v_and_b32_e32 v19, v19, v21
	v_and_b32_e32 v21, v3, v1
	v_lshlrev_b32_e32 v1, 24, v2
	v_cmp_gt_i64_e32 vcc, 0, v[0:1]
	v_not_b32_e32 v1, v1
	v_ashrrev_i32_e32 v1, 31, v1
	v_xor_b32_e32 v2, vcc_hi, v1
	v_xor_b32_e32 v1, vcc_lo, v1
	; wave barrier
	ds_read_b32 v18, v28 offset:64
	v_and_b32_e32 v3, v19, v2
	v_and_b32_e32 v2, v21, v1
	v_mbcnt_lo_u32_b32 v1, v2, 0
	v_mbcnt_hi_u32_b32 v19, v3, v1
	v_cmp_eq_u32_e32 vcc, 0, v19
	v_cmp_ne_u64_e64 s[2:3], 0, v[2:3]
	s_and_b64 s[4:5], s[2:3], vcc
	; wave barrier
	s_and_saveexec_b64 s[2:3], s[4:5]
	s_cbranch_execz .LBB1420_98
; %bb.97:
	v_bcnt_u32_b32 v1, v2, 0
	v_bcnt_u32_b32 v1, v3, v1
	s_waitcnt lgkmcnt(0)
	v_add_u32_e32 v1, v18, v1
	ds_write_b32 v28, v1 offset:64
.LBB1420_98:
	s_or_b64 exec, exec, s[2:3]
	s_waitcnt vmcnt(4)
	v_xor_b32_e32 v29, 0xffff8000, v20
	v_lshrrev_b32_sdwa v1, s48, v29 dst_sel:DWORD dst_unused:UNUSED_PAD src0_sel:DWORD src1_sel:WORD_0
	v_and_b32_e32 v2, s17, v1
	v_mul_u32_u24_e32 v1, 17, v2
	v_add_lshl_u32 v31, v27, v1, 2
	v_and_b32_e32 v1, 1, v2
	v_add_co_u32_e32 v3, vcc, -1, v1
	v_addc_co_u32_e64 v21, s[2:3], 0, -1, vcc
	v_cmp_ne_u32_e32 vcc, 0, v1
	v_xor_b32_e32 v1, vcc_hi, v21
	v_and_b32_e32 v21, exec_hi, v1
	v_lshlrev_b32_e32 v1, 30, v2
	v_xor_b32_e32 v3, vcc_lo, v3
	v_cmp_gt_i64_e32 vcc, 0, v[0:1]
	v_not_b32_e32 v1, v1
	v_ashrrev_i32_e32 v1, 31, v1
	v_and_b32_e32 v3, exec_lo, v3
	v_xor_b32_e32 v23, vcc_hi, v1
	v_xor_b32_e32 v1, vcc_lo, v1
	v_and_b32_e32 v3, v3, v1
	v_lshlrev_b32_e32 v1, 29, v2
	v_cmp_gt_i64_e32 vcc, 0, v[0:1]
	v_not_b32_e32 v1, v1
	v_ashrrev_i32_e32 v1, 31, v1
	v_and_b32_e32 v21, v21, v23
	v_xor_b32_e32 v23, vcc_hi, v1
	v_xor_b32_e32 v1, vcc_lo, v1
	v_and_b32_e32 v3, v3, v1
	v_lshlrev_b32_e32 v1, 28, v2
	v_cmp_gt_i64_e32 vcc, 0, v[0:1]
	v_not_b32_e32 v1, v1
	v_ashrrev_i32_e32 v1, 31, v1
	v_and_b32_e32 v21, v21, v23
	v_xor_b32_e32 v23, vcc_hi, v1
	v_xor_b32_e32 v1, vcc_lo, v1
	v_and_b32_e32 v3, v3, v1
	v_lshlrev_b32_e32 v1, 27, v2
	v_cmp_gt_i64_e32 vcc, 0, v[0:1]
	v_not_b32_e32 v1, v1
	v_ashrrev_i32_e32 v1, 31, v1
	v_and_b32_e32 v21, v21, v23
	v_xor_b32_e32 v23, vcc_hi, v1
	v_xor_b32_e32 v1, vcc_lo, v1
	v_and_b32_e32 v3, v3, v1
	v_lshlrev_b32_e32 v1, 26, v2
	v_cmp_gt_i64_e32 vcc, 0, v[0:1]
	v_not_b32_e32 v1, v1
	v_ashrrev_i32_e32 v1, 31, v1
	v_and_b32_e32 v21, v21, v23
	v_xor_b32_e32 v23, vcc_hi, v1
	v_xor_b32_e32 v1, vcc_lo, v1
	v_and_b32_e32 v3, v3, v1
	v_lshlrev_b32_e32 v1, 25, v2
	v_cmp_gt_i64_e32 vcc, 0, v[0:1]
	v_not_b32_e32 v1, v1
	v_ashrrev_i32_e32 v1, 31, v1
	v_and_b32_e32 v21, v21, v23
	v_xor_b32_e32 v23, vcc_hi, v1
	v_xor_b32_e32 v1, vcc_lo, v1
	v_and_b32_e32 v3, v3, v1
	v_lshlrev_b32_e32 v1, 24, v2
	v_cmp_gt_i64_e32 vcc, 0, v[0:1]
	v_not_b32_e32 v0, v1
	v_ashrrev_i32_e32 v0, 31, v0
	v_xor_b32_e32 v1, vcc_hi, v0
	v_xor_b32_e32 v0, vcc_lo, v0
	; wave barrier
	ds_read_b32 v20, v31 offset:64
	v_and_b32_e32 v21, v21, v23
	v_and_b32_e32 v0, v3, v0
	;; [unrolled: 1-line block ×3, first 2 shown]
	v_mbcnt_lo_u32_b32 v2, v0, 0
	v_mbcnt_hi_u32_b32 v21, v1, v2
	v_cmp_eq_u32_e32 vcc, 0, v21
	v_cmp_ne_u64_e64 s[2:3], 0, v[0:1]
	s_and_b64 s[4:5], s[2:3], vcc
	; wave barrier
	s_and_saveexec_b64 s[2:3], s[4:5]
	s_cbranch_execz .LBB1420_100
; %bb.99:
	v_bcnt_u32_b32 v0, v0, 0
	v_bcnt_u32_b32 v0, v1, v0
	s_waitcnt lgkmcnt(0)
	v_add_u32_e32 v0, v20, v0
	ds_write_b32 v31, v0 offset:64
.LBB1420_100:
	s_or_b64 exec, exec, s[2:3]
	s_waitcnt vmcnt(3)
	v_xor_b32_e32 v33, 0xffff8000, v22
	v_lshrrev_b32_sdwa v0, s48, v33 dst_sel:DWORD dst_unused:UNUSED_PAD src0_sel:DWORD src1_sel:WORD_0
	v_and_b32_e32 v2, s17, v0
	v_and_b32_e32 v1, 1, v2
	v_add_co_u32_e32 v3, vcc, -1, v1
	v_addc_co_u32_e64 v23, s[2:3], 0, -1, vcc
	v_cmp_ne_u32_e32 vcc, 0, v1
	v_mul_u32_u24_e32 v0, 17, v2
	v_xor_b32_e32 v1, vcc_hi, v23
	v_add_lshl_u32 v32, v27, v0, 2
	v_mov_b32_e32 v0, 0
	v_and_b32_e32 v23, exec_hi, v1
	v_lshlrev_b32_e32 v1, 30, v2
	v_xor_b32_e32 v3, vcc_lo, v3
	v_cmp_gt_i64_e32 vcc, 0, v[0:1]
	v_not_b32_e32 v1, v1
	v_ashrrev_i32_e32 v1, 31, v1
	v_and_b32_e32 v3, exec_lo, v3
	v_xor_b32_e32 v25, vcc_hi, v1
	v_xor_b32_e32 v1, vcc_lo, v1
	v_and_b32_e32 v3, v3, v1
	v_lshlrev_b32_e32 v1, 29, v2
	v_cmp_gt_i64_e32 vcc, 0, v[0:1]
	v_not_b32_e32 v1, v1
	v_ashrrev_i32_e32 v1, 31, v1
	v_and_b32_e32 v23, v23, v25
	v_xor_b32_e32 v25, vcc_hi, v1
	v_xor_b32_e32 v1, vcc_lo, v1
	v_and_b32_e32 v3, v3, v1
	v_lshlrev_b32_e32 v1, 28, v2
	v_cmp_gt_i64_e32 vcc, 0, v[0:1]
	v_not_b32_e32 v1, v1
	v_ashrrev_i32_e32 v1, 31, v1
	v_and_b32_e32 v23, v23, v25
	;; [unrolled: 8-line block ×5, first 2 shown]
	v_xor_b32_e32 v25, vcc_hi, v1
	v_xor_b32_e32 v1, vcc_lo, v1
	v_and_b32_e32 v23, v23, v25
	v_and_b32_e32 v25, v3, v1
	v_lshlrev_b32_e32 v1, 24, v2
	v_cmp_gt_i64_e32 vcc, 0, v[0:1]
	v_not_b32_e32 v1, v1
	v_ashrrev_i32_e32 v1, 31, v1
	v_xor_b32_e32 v2, vcc_hi, v1
	v_xor_b32_e32 v1, vcc_lo, v1
	; wave barrier
	ds_read_b32 v22, v32 offset:64
	v_and_b32_e32 v3, v23, v2
	v_and_b32_e32 v2, v25, v1
	v_mbcnt_lo_u32_b32 v1, v2, 0
	v_mbcnt_hi_u32_b32 v23, v3, v1
	v_cmp_eq_u32_e32 vcc, 0, v23
	v_cmp_ne_u64_e64 s[2:3], 0, v[2:3]
	s_and_b64 s[4:5], s[2:3], vcc
	; wave barrier
	s_and_saveexec_b64 s[2:3], s[4:5]
	s_cbranch_execz .LBB1420_102
; %bb.101:
	v_bcnt_u32_b32 v1, v2, 0
	v_bcnt_u32_b32 v1, v3, v1
	s_waitcnt lgkmcnt(0)
	v_add_u32_e32 v1, v22, v1
	ds_write_b32 v32, v1 offset:64
.LBB1420_102:
	s_or_b64 exec, exec, s[2:3]
	s_waitcnt vmcnt(2)
	v_xor_b32_e32 v36, 0xffff8000, v24
	v_lshrrev_b32_sdwa v1, s48, v36 dst_sel:DWORD dst_unused:UNUSED_PAD src0_sel:DWORD src1_sel:WORD_0
	v_and_b32_e32 v2, s17, v1
	v_mul_u32_u24_e32 v1, 17, v2
	v_add_lshl_u32 v35, v27, v1, 2
	v_and_b32_e32 v1, 1, v2
	v_add_co_u32_e32 v3, vcc, -1, v1
	v_addc_co_u32_e64 v25, s[2:3], 0, -1, vcc
	v_cmp_ne_u32_e32 vcc, 0, v1
	v_xor_b32_e32 v1, vcc_hi, v25
	v_and_b32_e32 v25, exec_hi, v1
	v_lshlrev_b32_e32 v1, 30, v2
	v_xor_b32_e32 v3, vcc_lo, v3
	v_cmp_gt_i64_e32 vcc, 0, v[0:1]
	v_not_b32_e32 v1, v1
	v_ashrrev_i32_e32 v1, 31, v1
	v_and_b32_e32 v3, exec_lo, v3
	v_xor_b32_e32 v30, vcc_hi, v1
	v_xor_b32_e32 v1, vcc_lo, v1
	v_and_b32_e32 v3, v3, v1
	v_lshlrev_b32_e32 v1, 29, v2
	v_cmp_gt_i64_e32 vcc, 0, v[0:1]
	v_not_b32_e32 v1, v1
	v_ashrrev_i32_e32 v1, 31, v1
	v_and_b32_e32 v25, v25, v30
	v_xor_b32_e32 v30, vcc_hi, v1
	v_xor_b32_e32 v1, vcc_lo, v1
	v_and_b32_e32 v3, v3, v1
	v_lshlrev_b32_e32 v1, 28, v2
	v_cmp_gt_i64_e32 vcc, 0, v[0:1]
	v_not_b32_e32 v1, v1
	v_ashrrev_i32_e32 v1, 31, v1
	v_and_b32_e32 v25, v25, v30
	;; [unrolled: 8-line block ×5, first 2 shown]
	v_xor_b32_e32 v30, vcc_hi, v1
	v_xor_b32_e32 v1, vcc_lo, v1
	v_and_b32_e32 v3, v3, v1
	v_lshlrev_b32_e32 v1, 24, v2
	v_cmp_gt_i64_e32 vcc, 0, v[0:1]
	v_not_b32_e32 v0, v1
	v_ashrrev_i32_e32 v0, 31, v0
	v_xor_b32_e32 v1, vcc_hi, v0
	v_xor_b32_e32 v0, vcc_lo, v0
	; wave barrier
	ds_read_b32 v24, v35 offset:64
	v_and_b32_e32 v25, v25, v30
	v_and_b32_e32 v0, v3, v0
	;; [unrolled: 1-line block ×3, first 2 shown]
	v_mbcnt_lo_u32_b32 v2, v0, 0
	v_mbcnt_hi_u32_b32 v25, v1, v2
	v_cmp_eq_u32_e32 vcc, 0, v25
	v_cmp_ne_u64_e64 s[2:3], 0, v[0:1]
	s_and_b64 s[4:5], s[2:3], vcc
	; wave barrier
	s_and_saveexec_b64 s[2:3], s[4:5]
	s_cbranch_execz .LBB1420_104
; %bb.103:
	v_bcnt_u32_b32 v0, v0, 0
	v_bcnt_u32_b32 v0, v1, v0
	s_waitcnt lgkmcnt(0)
	v_add_u32_e32 v0, v24, v0
	ds_write_b32 v35, v0 offset:64
.LBB1420_104:
	s_or_b64 exec, exec, s[2:3]
	s_waitcnt vmcnt(1)
	v_xor_b32_e32 v43, 0xffff8000, v26
	v_lshrrev_b32_sdwa v0, s48, v43 dst_sel:DWORD dst_unused:UNUSED_PAD src0_sel:DWORD src1_sel:WORD_0
	v_and_b32_e32 v2, s17, v0
	v_and_b32_e32 v1, 1, v2
	v_add_co_u32_e32 v3, vcc, -1, v1
	v_addc_co_u32_e64 v30, s[2:3], 0, -1, vcc
	v_cmp_ne_u32_e32 vcc, 0, v1
	v_mul_u32_u24_e32 v0, 17, v2
	v_xor_b32_e32 v1, vcc_hi, v30
	v_add_lshl_u32 v41, v27, v0, 2
	v_mov_b32_e32 v0, 0
	v_and_b32_e32 v30, exec_hi, v1
	v_lshlrev_b32_e32 v1, 30, v2
	v_xor_b32_e32 v3, vcc_lo, v3
	v_cmp_gt_i64_e32 vcc, 0, v[0:1]
	v_not_b32_e32 v1, v1
	v_ashrrev_i32_e32 v1, 31, v1
	v_and_b32_e32 v3, exec_lo, v3
	v_xor_b32_e32 v34, vcc_hi, v1
	v_xor_b32_e32 v1, vcc_lo, v1
	v_and_b32_e32 v3, v3, v1
	v_lshlrev_b32_e32 v1, 29, v2
	v_cmp_gt_i64_e32 vcc, 0, v[0:1]
	v_not_b32_e32 v1, v1
	v_ashrrev_i32_e32 v1, 31, v1
	v_and_b32_e32 v30, v30, v34
	v_xor_b32_e32 v34, vcc_hi, v1
	v_xor_b32_e32 v1, vcc_lo, v1
	v_and_b32_e32 v3, v3, v1
	v_lshlrev_b32_e32 v1, 28, v2
	v_cmp_gt_i64_e32 vcc, 0, v[0:1]
	v_not_b32_e32 v1, v1
	v_ashrrev_i32_e32 v1, 31, v1
	v_and_b32_e32 v30, v30, v34
	;; [unrolled: 8-line block ×5, first 2 shown]
	v_xor_b32_e32 v34, vcc_hi, v1
	v_xor_b32_e32 v1, vcc_lo, v1
	v_and_b32_e32 v30, v30, v34
	v_and_b32_e32 v34, v3, v1
	v_lshlrev_b32_e32 v1, 24, v2
	v_cmp_gt_i64_e32 vcc, 0, v[0:1]
	v_not_b32_e32 v1, v1
	v_ashrrev_i32_e32 v1, 31, v1
	v_xor_b32_e32 v2, vcc_hi, v1
	v_xor_b32_e32 v1, vcc_lo, v1
	; wave barrier
	ds_read_b32 v26, v41 offset:64
	v_and_b32_e32 v3, v30, v2
	v_and_b32_e32 v2, v34, v1
	v_mbcnt_lo_u32_b32 v1, v2, 0
	v_mbcnt_hi_u32_b32 v30, v3, v1
	v_cmp_eq_u32_e32 vcc, 0, v30
	v_cmp_ne_u64_e64 s[2:3], 0, v[2:3]
	s_and_b64 s[4:5], s[2:3], vcc
	; wave barrier
	s_and_saveexec_b64 s[2:3], s[4:5]
	s_cbranch_execz .LBB1420_106
; %bb.105:
	v_bcnt_u32_b32 v1, v2, 0
	v_bcnt_u32_b32 v1, v3, v1
	s_waitcnt lgkmcnt(0)
	v_add_u32_e32 v1, v26, v1
	ds_write_b32 v41, v1 offset:64
.LBB1420_106:
	s_or_b64 exec, exec, s[2:3]
	s_waitcnt vmcnt(0)
	v_xor_b32_e32 v13, 0xffff8000, v13
	v_lshrrev_b32_sdwa v1, s48, v13 dst_sel:DWORD dst_unused:UNUSED_PAD src0_sel:DWORD src1_sel:WORD_0
	v_and_b32_e32 v2, s17, v1
	v_mul_u32_u24_e32 v1, 17, v2
	v_add_lshl_u32 v42, v27, v1, 2
	v_and_b32_e32 v1, 1, v2
	v_add_co_u32_e32 v3, vcc, -1, v1
	v_addc_co_u32_e64 v34, s[2:3], 0, -1, vcc
	v_cmp_ne_u32_e32 vcc, 0, v1
	v_xor_b32_e32 v1, vcc_hi, v34
	v_and_b32_e32 v34, exec_hi, v1
	v_lshlrev_b32_e32 v1, 30, v2
	v_xor_b32_e32 v3, vcc_lo, v3
	v_cmp_gt_i64_e32 vcc, 0, v[0:1]
	v_not_b32_e32 v1, v1
	v_ashrrev_i32_e32 v1, 31, v1
	v_and_b32_e32 v3, exec_lo, v3
	v_xor_b32_e32 v38, vcc_hi, v1
	v_xor_b32_e32 v1, vcc_lo, v1
	v_and_b32_e32 v3, v3, v1
	v_lshlrev_b32_e32 v1, 29, v2
	v_cmp_gt_i64_e32 vcc, 0, v[0:1]
	v_not_b32_e32 v1, v1
	v_ashrrev_i32_e32 v1, 31, v1
	v_and_b32_e32 v34, v34, v38
	v_xor_b32_e32 v38, vcc_hi, v1
	v_xor_b32_e32 v1, vcc_lo, v1
	v_and_b32_e32 v3, v3, v1
	v_lshlrev_b32_e32 v1, 28, v2
	v_cmp_gt_i64_e32 vcc, 0, v[0:1]
	v_not_b32_e32 v1, v1
	v_ashrrev_i32_e32 v1, 31, v1
	v_and_b32_e32 v34, v34, v38
	;; [unrolled: 8-line block ×5, first 2 shown]
	v_xor_b32_e32 v38, vcc_hi, v1
	v_xor_b32_e32 v1, vcc_lo, v1
	v_and_b32_e32 v3, v3, v1
	v_lshlrev_b32_e32 v1, 24, v2
	v_cmp_gt_i64_e32 vcc, 0, v[0:1]
	v_not_b32_e32 v0, v1
	v_ashrrev_i32_e32 v0, 31, v0
	v_xor_b32_e32 v1, vcc_hi, v0
	v_xor_b32_e32 v0, vcc_lo, v0
	; wave barrier
	ds_read_b32 v27, v42 offset:64
	v_and_b32_e32 v34, v34, v38
	v_and_b32_e32 v0, v3, v0
	;; [unrolled: 1-line block ×3, first 2 shown]
	v_mbcnt_lo_u32_b32 v2, v0, 0
	v_mbcnt_hi_u32_b32 v34, v1, v2
	v_cmp_eq_u32_e32 vcc, 0, v34
	v_cmp_ne_u64_e64 s[2:3], 0, v[0:1]
	v_add_u32_e32 v37, 64, v6
	s_and_b64 s[4:5], s[2:3], vcc
	; wave barrier
	s_and_saveexec_b64 s[2:3], s[4:5]
	s_cbranch_execz .LBB1420_108
; %bb.107:
	v_bcnt_u32_b32 v0, v0, 0
	v_bcnt_u32_b32 v0, v1, v0
	s_waitcnt lgkmcnt(0)
	v_add_u32_e32 v0, v27, v0
	ds_write_b32 v42, v0 offset:64
.LBB1420_108:
	s_or_b64 exec, exec, s[2:3]
	; wave barrier
	s_waitcnt lgkmcnt(0)
	s_barrier
	ds_read2_b32 v[2:3], v6 offset0:16 offset1:17
	ds_read2_b32 v[0:1], v37 offset0:2 offset1:3
	ds_read_b32 v38, v37 offset:16
	v_cmp_lt_u32_e64 s[8:9], 31, v5
	s_waitcnt lgkmcnt(1)
	v_add3_u32 v39, v3, v2, v0
	s_waitcnt lgkmcnt(0)
	v_add3_u32 v38, v39, v1, v38
	v_and_b32_e32 v39, 15, v5
	v_cmp_eq_u32_e32 vcc, 0, v39
	v_mov_b32_dpp v40, v38 row_shr:1 row_mask:0xf bank_mask:0xf
	v_cndmask_b32_e64 v40, v40, 0, vcc
	v_add_u32_e32 v38, v40, v38
	v_cmp_lt_u32_e64 s[2:3], 1, v39
	v_cmp_lt_u32_e64 s[4:5], 3, v39
	v_mov_b32_dpp v40, v38 row_shr:2 row_mask:0xf bank_mask:0xf
	v_cndmask_b32_e64 v40, 0, v40, s[2:3]
	v_add_u32_e32 v38, v38, v40
	v_cmp_lt_u32_e64 s[6:7], 7, v39
	s_nop 0
	v_mov_b32_dpp v40, v38 row_shr:4 row_mask:0xf bank_mask:0xf
	v_cndmask_b32_e64 v40, 0, v40, s[4:5]
	v_add_u32_e32 v38, v38, v40
	s_nop 1
	v_mov_b32_dpp v40, v38 row_shr:8 row_mask:0xf bank_mask:0xf
	v_cndmask_b32_e64 v39, 0, v40, s[6:7]
	v_add_u32_e32 v38, v38, v39
	v_bfe_i32 v40, v5, 4, 1
	s_nop 0
	v_mov_b32_dpp v39, v38 row_bcast:15 row_mask:0xf bank_mask:0xf
	v_and_b32_e32 v39, v40, v39
	v_add_u32_e32 v38, v38, v39
	v_and_b32_e32 v40, 63, v10
	s_nop 0
	v_mov_b32_dpp v39, v38 row_bcast:31 row_mask:0xf bank_mask:0xf
	v_cndmask_b32_e64 v39, 0, v39, s[8:9]
	v_add_u32_e32 v38, v38, v39
	v_lshrrev_b32_e32 v39, 6, v10
	v_cmp_eq_u32_e64 s[8:9], 63, v40
	s_and_saveexec_b64 s[14:15], s[8:9]
	s_cbranch_execz .LBB1420_110
; %bb.109:
	v_lshlrev_b32_e32 v40, 2, v39
	ds_write_b32 v40, v38
.LBB1420_110:
	s_or_b64 exec, exec, s[14:15]
	v_cmp_gt_u32_e64 s[8:9], 16, v10
	v_lshlrev_b32_e32 v44, 2, v10
	s_waitcnt lgkmcnt(0)
	s_barrier
	s_and_saveexec_b64 s[14:15], s[8:9]
	s_cbranch_execz .LBB1420_112
; %bb.111:
	ds_read_b32 v40, v44
	s_waitcnt lgkmcnt(0)
	s_nop 0
	v_mov_b32_dpp v45, v40 row_shr:1 row_mask:0xf bank_mask:0xf
	v_cndmask_b32_e64 v45, v45, 0, vcc
	v_add_u32_e32 v40, v45, v40
	s_nop 1
	v_mov_b32_dpp v45, v40 row_shr:2 row_mask:0xf bank_mask:0xf
	v_cndmask_b32_e64 v45, 0, v45, s[2:3]
	v_add_u32_e32 v40, v40, v45
	s_nop 1
	v_mov_b32_dpp v45, v40 row_shr:4 row_mask:0xf bank_mask:0xf
	v_cndmask_b32_e64 v45, 0, v45, s[4:5]
	v_add_u32_e32 v40, v40, v45
	s_nop 1
	v_mov_b32_dpp v45, v40 row_shr:8 row_mask:0xf bank_mask:0xf
	v_cndmask_b32_e64 v45, 0, v45, s[6:7]
	v_add_u32_e32 v40, v40, v45
	ds_write_b32 v44, v40
.LBB1420_112:
	s_or_b64 exec, exec, s[14:15]
	v_cmp_lt_u32_e32 vcc, 63, v10
	v_mov_b32_e32 v40, 0
	s_waitcnt lgkmcnt(0)
	s_barrier
	s_and_saveexec_b64 s[2:3], vcc
	s_cbranch_execz .LBB1420_114
; %bb.113:
	v_lshl_add_u32 v39, v39, 2, -4
	ds_read_b32 v40, v39
.LBB1420_114:
	s_or_b64 exec, exec, s[2:3]
	v_add_u32_e32 v39, -1, v5
	v_and_b32_e32 v45, 64, v5
	v_cmp_lt_i32_e32 vcc, v39, v45
	v_cndmask_b32_e32 v39, v39, v5, vcc
	s_waitcnt lgkmcnt(0)
	v_add_u32_e32 v38, v40, v38
	v_lshlrev_b32_e32 v39, 2, v39
	ds_bpermute_b32 v38, v39, v38
	v_cmp_eq_u32_e32 vcc, 0, v5
	s_movk_i32 s2, 0xff
	s_movk_i32 s3, 0x100
	s_waitcnt lgkmcnt(0)
	v_cndmask_b32_e32 v5, v38, v40, vcc
	v_cndmask_b32_e64 v5, v5, 0, s[0:1]
	v_add_u32_e32 v2, v5, v2
	v_add_u32_e32 v3, v2, v3
	;; [unrolled: 1-line block ×4, first 2 shown]
	ds_write2_b32 v6, v5, v2 offset0:16 offset1:17
	ds_write2_b32 v37, v3, v0 offset0:2 offset1:3
	ds_write_b32 v37, v1 offset:16
	s_waitcnt lgkmcnt(0)
	s_barrier
	ds_read_b32 v0, v7 offset:64
	ds_read_b32 v37, v11 offset:64
	;; [unrolled: 1-line block ×8, first 2 shown]
	v_cmp_lt_u32_e64 s[0:1], s2, v10
	v_cmp_gt_u32_e32 vcc, s3, v10
                                        ; implicit-def: $vgpr31
                                        ; implicit-def: $vgpr32
	s_and_saveexec_b64 s[4:5], vcc
	s_cbranch_execz .LBB1420_118
; %bb.115:
	v_mul_u32_u24_e32 v1, 17, v10
	v_lshlrev_b32_e32 v2, 2, v1
	ds_read_b32 v31, v2 offset:64
	v_cmp_ne_u32_e64 s[2:3], s2, v10
	v_mov_b32_e32 v1, 0x2000
	s_and_saveexec_b64 s[6:7], s[2:3]
	s_cbranch_execz .LBB1420_117
; %bb.116:
	ds_read_b32 v1, v2 offset:132
.LBB1420_117:
	s_or_b64 exec, exec, s[6:7]
	s_waitcnt lgkmcnt(0)
	v_sub_u32_e32 v32, v1, v31
.LBB1420_118:
	s_or_b64 exec, exec, s[4:5]
	s_waitcnt lgkmcnt(7)
	v_add_u32_e32 v35, v0, v8
	v_add_u32_e32 v11, v17, v16
	v_lshlrev_b32_e32 v0, 1, v35
	v_add_u32_e32 v7, v19, v18
	s_waitcnt lgkmcnt(0)
	s_barrier
	ds_write_b16 v0, v4 offset:1024
	v_add_lshl_u32 v0, v11, v37, 1
	v_add_u32_e32 v6, v21, v20
	ds_write_b16 v0, v9 offset:1024
	v_add_lshl_u32 v0, v7, v28, 1
	v_add_u32_e32 v5, v23, v22
	;; [unrolled: 3-line block ×5, first 2 shown]
	ds_write_b16 v0, v36 offset:1024
	v_add_lshl_u32 v0, v2, v41, 1
	ds_write_b16 v0, v43 offset:1024
	v_add_lshl_u32 v0, v1, v42, 1
	ds_write_b16 v0, v13 offset:1024
                                        ; implicit-def: $vgpr8_vgpr9
	s_and_saveexec_b64 s[2:3], s[0:1]
	s_xor_b64 s[0:1], exec, s[2:3]
; %bb.119:
	v_mov_b32_e32 v11, 0
	v_pk_mov_b32 v[8:9], v[10:11], v[10:11] op_sel:[0,1]
                                        ; implicit-def: $vgpr44
; %bb.120:
	s_andn2_saveexec_b64 s[2:3], s[0:1]
	s_cbranch_execz .LBB1420_130
; %bb.121:
	v_lshl_or_b32 v0, s33, 8, v10
	v_mov_b32_e32 v1, 0
	v_lshlrev_b64 v[2:3], 2, v[0:1]
	v_mov_b32_e32 v6, s31
	v_add_co_u32_e64 v2, s[0:1], s30, v2
	v_addc_co_u32_e64 v3, s[0:1], v6, v3, s[0:1]
	v_or_b32_e32 v0, 2.0, v32
	s_mov_b64 s[4:5], 0
	s_brev_b32 s14, 1
	s_mov_b32 s15, s33
	v_mov_b32_e32 v7, 0
	global_store_dword v[2:3], v0, off
                                        ; implicit-def: $sgpr0_sgpr1
	s_branch .LBB1420_124
.LBB1420_122:                           ;   in Loop: Header=BB1420_124 Depth=1
	s_or_b64 exec, exec, s[8:9]
.LBB1420_123:                           ;   in Loop: Header=BB1420_124 Depth=1
	s_or_b64 exec, exec, s[6:7]
	v_and_b32_e32 v4, 0x3fffffff, v8
	v_add_u32_e32 v7, v4, v7
	v_cmp_eq_u32_e64 s[0:1], s14, v0
	s_and_b64 s[6:7], exec, s[0:1]
	s_or_b64 s[4:5], s[6:7], s[4:5]
	s_andn2_b64 exec, exec, s[4:5]
	s_cbranch_execz .LBB1420_129
.LBB1420_124:                           ; =>This Loop Header: Depth=1
                                        ;     Child Loop BB1420_127 Depth 2
	s_or_b64 s[0:1], s[0:1], exec
	s_cmp_eq_u32 s15, 0
	s_cbranch_scc1 .LBB1420_128
; %bb.125:                              ;   in Loop: Header=BB1420_124 Depth=1
	s_add_i32 s15, s15, -1
	v_lshl_or_b32 v0, s15, 8, v10
	v_lshlrev_b64 v[4:5], 2, v[0:1]
	v_add_co_u32_e64 v4, s[0:1], s30, v4
	v_addc_co_u32_e64 v5, s[0:1], v6, v5, s[0:1]
	global_load_dword v8, v[4:5], off glc
	s_waitcnt vmcnt(0)
	v_and_b32_e32 v0, -2.0, v8
	v_cmp_eq_u32_e64 s[0:1], 0, v0
	s_and_saveexec_b64 s[6:7], s[0:1]
	s_cbranch_execz .LBB1420_123
; %bb.126:                              ;   in Loop: Header=BB1420_124 Depth=1
	s_mov_b64 s[8:9], 0
.LBB1420_127:                           ;   Parent Loop BB1420_124 Depth=1
                                        ; =>  This Inner Loop Header: Depth=2
	global_load_dword v8, v[4:5], off glc
	s_waitcnt vmcnt(0)
	v_and_b32_e32 v0, -2.0, v8
	v_cmp_ne_u32_e64 s[0:1], 0, v0
	s_or_b64 s[8:9], s[0:1], s[8:9]
	s_andn2_b64 exec, exec, s[8:9]
	s_cbranch_execnz .LBB1420_127
	s_branch .LBB1420_122
.LBB1420_128:                           ;   in Loop: Header=BB1420_124 Depth=1
                                        ; implicit-def: $sgpr15
	s_and_b64 s[6:7], exec, s[0:1]
	s_or_b64 s[4:5], s[6:7], s[4:5]
	s_andn2_b64 exec, exec, s[4:5]
	s_cbranch_execnz .LBB1420_124
.LBB1420_129:
	s_or_b64 exec, exec, s[4:5]
	v_add_u32_e32 v0, v7, v32
	v_or_b32_e32 v0, 0x80000000, v0
	global_store_dword v[2:3], v0, off
	global_load_dword v0, v44, s[44:45]
	v_mov_b32_e32 v11, 0
	v_sub_u32_e32 v1, v7, v31
	v_pk_mov_b32 v[8:9], v[10:11], v[10:11] op_sel:[0,1]
	s_waitcnt vmcnt(0)
	v_add_u32_e32 v0, v1, v0
	ds_write_b32 v44, v0
.LBB1420_130:
	s_or_b64 exec, exec, s[2:3]
	v_lshlrev_b32_e32 v0, 1, v8
	s_waitcnt lgkmcnt(0)
	s_barrier
	v_lshlrev_b32_e32 v11, 1, v10
	ds_read_u16 v1, v0 offset:1024
	ds_read_u16 v2, v11 offset:3072
	;; [unrolled: 1-line block ×5, first 2 shown]
	s_waitcnt lgkmcnt(4)
	v_lshrrev_b32_sdwa v0, s48, v1 dst_sel:DWORD dst_unused:UNUSED_PAD src0_sel:DWORD src1_sel:WORD_0
	v_and_b32_e32 v0, s17, v0
	v_lshlrev_b32_e32 v3, 2, v0
	ds_read_b32 v4, v3
	s_waitcnt lgkmcnt(3)
	v_lshrrev_b32_sdwa v3, s48, v29 dst_sel:DWORD dst_unused:UNUSED_PAD src0_sel:DWORD src1_sel:WORD_0
	v_and_b32_e32 v3, s17, v3
	s_waitcnt lgkmcnt(2)
	v_lshrrev_b32_sdwa v5, s48, v33 dst_sel:DWORD dst_unused:UNUSED_PAD src0_sel:DWORD src1_sel:WORD_0
	v_lshlrev_b32_e32 v6, 2, v3
	v_and_b32_e32 v5, s17, v5
	s_waitcnt lgkmcnt(0)
	v_add_u32_e32 v12, v4, v10
	v_mov_b32_e32 v13, 0
	v_lshlrev_b32_e32 v7, 2, v5
	ds_read_b32 v43, v6
	ds_read_b32 v46, v7
	v_lshrrev_b32_sdwa v6, s48, v36 dst_sel:DWORD dst_unused:UNUSED_PAD src0_sel:DWORD src1_sel:WORD_0
	v_lshlrev_b64 v[44:45], 1, v[12:13]
	v_and_b32_e32 v7, s17, v6
	v_mov_b32_e32 v4, s39
	v_add_co_u32_e64 v44, s[0:1], s38, v44
	v_lshlrev_b32_e32 v6, 2, v7
	v_addc_co_u32_e64 v45, s[0:1], v4, v45, s[0:1]
	v_xor_b32_e32 v1, 0xffff8000, v1
	ds_read_b32 v47, v6
	ds_read_u16 v48, v11 offset:5120
	ds_read_u16 v49, v11 offset:9216
	;; [unrolled: 1-line block ×3, first 2 shown]
	global_store_short v[44:45], v1, off
	v_lshrrev_b32_sdwa v1, s48, v2 dst_sel:DWORD dst_unused:UNUSED_PAD src0_sel:DWORD src1_sel:WORD_0
	v_and_b32_e32 v1, s17, v1
	v_lshlrev_b32_e32 v4, 2, v1
	ds_read_b32 v4, v4
	s_movk_i32 s2, 0x400
	v_xor_b32_e32 v2, 0xffff8000, v2
	v_mov_b32_e32 v53, s39
	v_lshlrev_b32_e32 v14, 3, v14
	s_waitcnt lgkmcnt(0)
	v_add3_u32 v12, v4, v10, s2
	v_lshlrev_b64 v[44:45], 1, v[12:13]
	v_mov_b32_e32 v4, s39
	v_add_co_u32_e64 v44, s[0:1], s38, v44
	v_addc_co_u32_e64 v45, s[0:1], v4, v45, s[0:1]
	global_store_short v[44:45], v2, off
	v_lshrrev_b32_sdwa v2, s48, v48 dst_sel:DWORD dst_unused:UNUSED_PAD src0_sel:DWORD src1_sel:WORD_0
	v_and_b32_e32 v2, s17, v2
	v_lshlrev_b32_e32 v4, 2, v2
	ds_read_b32 v12, v4
	v_lshrrev_b32_sdwa v4, s48, v49 dst_sel:DWORD dst_unused:UNUSED_PAD src0_sel:DWORD src1_sel:WORD_0
	v_and_b32_e32 v4, s17, v4
	v_lshlrev_b32_e32 v6, 2, v4
	ds_read_b32 v51, v6
	v_lshrrev_b32_sdwa v6, s48, v50 dst_sel:DWORD dst_unused:UNUSED_PAD src0_sel:DWORD src1_sel:WORD_0
	s_movk_i32 s0, 0x800
	v_and_b32_e32 v6, s17, v6
	v_lshlrev_b32_e32 v44, 2, v6
	s_waitcnt lgkmcnt(1)
	v_add3_u32 v12, v12, v10, s0
	ds_read_b32 v52, v44
	v_lshlrev_b64 v[44:45], 1, v[12:13]
	v_add_co_u32_e64 v44, s[0:1], s38, v44
	v_addc_co_u32_e64 v45, s[0:1], v53, v45, s[0:1]
	v_xor_b32_e32 v12, 0xffff8000, v48
	s_movk_i32 s0, 0xc00
	global_store_short v[44:45], v12, off
	v_add3_u32 v12, v43, v10, s0
	v_lshlrev_b64 v[44:45], 1, v[12:13]
	v_mov_b32_e32 v43, s39
	v_add_co_u32_e64 v44, s[0:1], s38, v44
	v_addc_co_u32_e64 v45, s[0:1], v43, v45, s[0:1]
	v_xor_b32_e32 v12, 0xffff8000, v29
	s_movk_i32 s0, 0x1000
	global_store_short v[44:45], v12, off
	s_waitcnt lgkmcnt(1)
	v_add3_u32 v12, v51, v10, s0
	v_lshlrev_b64 v[44:45], 1, v[12:13]
	v_mov_b32_e32 v29, s39
	v_add_co_u32_e64 v44, s[0:1], s38, v44
	v_addc_co_u32_e64 v45, s[0:1], v29, v45, s[0:1]
	v_xor_b32_e32 v12, 0xffff8000, v49
	s_movk_i32 s0, 0x1400
	global_store_short v[44:45], v12, off
	v_add3_u32 v12, v46, v10, s0
	v_lshlrev_b64 v[44:45], 1, v[12:13]
	v_add_co_u32_e64 v44, s[0:1], s38, v44
	v_addc_co_u32_e64 v45, s[0:1], v29, v45, s[0:1]
	v_xor_b32_e32 v12, 0xffff8000, v33
	s_movk_i32 s0, 0x1800
	global_store_short v[44:45], v12, off
	s_waitcnt lgkmcnt(0)
	v_add3_u32 v12, v52, v10, s0
	v_lshlrev_b64 v[44:45], 1, v[12:13]
	v_add_co_u32_e64 v44, s[0:1], s38, v44
	v_addc_co_u32_e64 v45, s[0:1], v29, v45, s[0:1]
	v_xor_b32_e32 v12, 0xffff8000, v50
	s_movk_i32 s0, 0x1c00
	global_store_short v[44:45], v12, off
	v_add3_u32 v12, v47, v10, s0
	v_lshlrev_b64 v[44:45], 1, v[12:13]
	v_add_co_u32_e64 v44, s[0:1], s38, v44
	v_addc_co_u32_e64 v45, s[0:1], v29, v45, s[0:1]
	s_lshl_b64 s[0:1], s[12:13], 3
	v_xor_b32_e32 v12, 0xffff8000, v36
	s_add_u32 s0, s40, s0
	global_store_short v[44:45], v12, off
	s_addc_u32 s1, s41, s1
	v_lshlrev_b32_e32 v12, 3, v15
	v_mov_b32_e32 v15, s1
	v_add_co_u32_e64 v12, s[0:1], s0, v12
	v_addc_co_u32_e64 v15, s[0:1], 0, v15, s[0:1]
	v_add3_u32 v33, v34, v42, v27
	v_add3_u32 v34, v25, v40, v24
	v_add_co_u32_e64 v40, s[0:1], v12, v14
	v_add3_u32 v30, v30, v41, v26
	v_addc_co_u32_e64 v41, s[0:1], 0, v15, s[0:1]
	v_add3_u32 v36, v23, v39, v22
	v_add3_u32 v38, v21, v38, v20
	;; [unrolled: 1-line block ×4, first 2 shown]
	global_load_dwordx2 v[14:15], v[40:41], off
	global_load_dwordx2 v[16:17], v[40:41], off offset:512
	global_load_dwordx2 v[18:19], v[40:41], off offset:1024
	;; [unrolled: 1-line block ×7, first 2 shown]
	v_add_u32_e32 v11, 0x400, v11
	v_mul_u32_u24_e32 v12, 6, v10
	v_add_u32_e32 v11, v11, v12
	s_mov_b32 s3, 1
	s_mov_b32 s4, 0
	v_lshlrev_b32_e32 v40, 3, v8
	s_barrier
	s_waitcnt vmcnt(0)
.LBB1420_131:                           ; =>This Inner Loop Header: Depth=1
	v_add_u32_e32 v12, s4, v35
	v_min_u32_e32 v12, 0x800, v12
	v_lshlrev_b32_e32 v12, 3, v12
	ds_write_b64 v12, v[14:15] offset:1024
	v_add_u32_e32 v12, s4, v37
	v_min_u32_e32 v12, 0x800, v12
	v_lshlrev_b32_e32 v12, 3, v12
	ds_write_b64 v12, v[16:17] offset:1024
	;; [unrolled: 4-line block ×7, first 2 shown]
	v_add_u32_e32 v12, s4, v33
	s_add_i32 s5, s3, -1
	v_min_u32_e32 v12, 0x800, v12
	s_cmp_eq_u32 s5, 1
	v_lshlrev_b32_e32 v12, 3, v12
	s_cselect_b64 s[0:1], -1, 0
	s_cmp_eq_u32 s5, 2
	ds_write_b64 v12, v[28:29] offset:1024
	v_cndmask_b32_e64 v12, v0, v1, s[0:1]
	s_cselect_b64 s[0:1], -1, 0
	s_cmp_eq_u32 s5, 3
	v_cndmask_b32_e64 v12, v12, v2, s[0:1]
	s_cselect_b64 s[0:1], -1, 0
	s_cmp_eq_u32 s5, 4
	v_cndmask_b32_e64 v12, v12, v3, s[0:1]
	s_cselect_b64 s[0:1], -1, 0
	s_cmp_eq_u32 s5, 5
	v_cndmask_b32_e64 v12, v12, v4, s[0:1]
	s_cselect_b64 s[0:1], -1, 0
	s_cmp_eq_u32 s5, 6
	v_cndmask_b32_e64 v12, v12, v5, s[0:1]
	s_cselect_b64 s[0:1], -1, 0
	s_cmp_eq_u32 s5, 7
	v_cndmask_b32_e64 v12, v12, v6, s[0:1]
	s_cselect_b64 s[0:1], -1, 0
	s_cmp_eq_u32 s3, 1
	v_cndmask_b32_e64 v12, v12, v7, s[0:1]
	s_cselect_b64 s[0:1], -1, 0
	s_cmp_eq_u32 s3, 2
	v_cndmask_b32_e64 v41, v0, v1, s[0:1]
	s_cselect_b64 s[0:1], -1, 0
	s_cmp_eq_u32 s3, 3
	v_cndmask_b32_e64 v41, v41, v2, s[0:1]
	s_cselect_b64 s[0:1], -1, 0
	s_cmp_eq_u32 s3, 4
	v_cndmask_b32_e64 v41, v41, v3, s[0:1]
	s_cselect_b64 s[0:1], -1, 0
	s_cmp_eq_u32 s3, 5
	v_lshlrev_b32_e32 v12, 2, v12
	v_cndmask_b32_e64 v41, v41, v4, s[0:1]
	s_cselect_b64 s[0:1], -1, 0
	s_cmp_eq_u32 s3, 6
	s_waitcnt lgkmcnt(0)
	s_barrier
	ds_read_b32 v12, v12
	v_cndmask_b32_e64 v41, v41, v5, s[0:1]
	s_cselect_b64 s[0:1], -1, 0
	s_cmp_eq_u32 s3, 7
	v_cndmask_b32_e64 v41, v41, v6, s[0:1]
	s_cselect_b64 s[0:1], -1, 0
	v_cndmask_b32_e64 v41, v41, v7, s[0:1]
	v_lshlrev_b32_e32 v41, 2, v41
	ds_read_b32 v41, v41
	ds_read_b64 v[42:43], v11 offset:8192
	ds_read_b64 v[46:47], v40 offset:1024
	s_waitcnt lgkmcnt(3)
	v_add_u32_e32 v12, v10, v12
	v_lshlrev_b64 v[44:45], 3, v[12:13]
	v_mov_b32_e32 v48, s43
	v_add_co_u32_e64 v44, s[0:1], s42, v44
	v_addc_co_u32_e64 v45, s[0:1], v48, v45, s[0:1]
	s_waitcnt lgkmcnt(2)
	v_add3_u32 v12, v10, v41, s2
	s_waitcnt lgkmcnt(0)
	global_store_dwordx2 v[44:45], v[46:47], off
	v_lshlrev_b64 v[44:45], 3, v[12:13]
	v_add_co_u32_e64 v44, s[0:1], s42, v44
	s_addk_i32 s4, 0xf800
	s_add_i32 s3, s3, 2
	v_addc_co_u32_e64 v45, s[0:1], v48, v45, s[0:1]
	s_cmpk_lg_i32 s4, 0xe000
	v_add_u32_e32 v10, 0x800, v10
	global_store_dwordx2 v[44:45], v[42:43], off
	s_barrier
	s_cbranch_scc1 .LBB1420_131
; %bb.132:
	s_add_i32 s16, s16, -1
	s_cmp_eq_u32 s16, s33
	s_cselect_b64 s[0:1], -1, 0
	s_and_b64 s[2:3], vcc, s[0:1]
                                        ; implicit-def: $vgpr2
	s_and_saveexec_b64 s[0:1], s[2:3]
; %bb.133:
	v_add_u32_e32 v2, v31, v32
	s_or_b64 s[10:11], s[10:11], exec
; %bb.134:
	s_or_b64 exec, exec, s[0:1]
	v_mov_b32_e32 v10, v8
.LBB1420_135:
	s_and_saveexec_b64 s[0:1], s[10:11]
	s_cbranch_execnz .LBB1420_137
; %bb.136:
	s_endpgm
.LBB1420_137:
	v_lshlrev_b32_e32 v3, 2, v10
	ds_read_b32 v3, v3
	v_lshlrev_b64 v[0:1], 2, v[8:9]
	v_mov_b32_e32 v4, s47
	v_add_co_u32_e32 v0, vcc, s46, v0
	v_addc_co_u32_e32 v1, vcc, v4, v1, vcc
	s_waitcnt lgkmcnt(0)
	v_add_u32_e32 v2, v3, v2
	global_store_dword v[0:1], v2, off
	s_endpgm
.LBB1420_138:
	global_load_dwordx2 v[12:13], v[28:29], off
	s_or_b64 exec, exec, s[20:21]
                                        ; implicit-def: $vgpr14_vgpr15
	s_and_saveexec_b64 s[20:21], s[2:3]
	s_cbranch_execz .LBB1420_75
.LBB1420_139:
	global_load_dwordx2 v[14:15], v[28:29], off offset:512
	s_or_b64 exec, exec, s[20:21]
                                        ; implicit-def: $vgpr16_vgpr17
	s_and_saveexec_b64 s[2:3], s[26:27]
	s_cbranch_execz .LBB1420_76
.LBB1420_140:
	global_load_dwordx2 v[16:17], v[28:29], off offset:1024
	s_or_b64 exec, exec, s[2:3]
                                        ; implicit-def: $vgpr18_vgpr19
	s_and_saveexec_b64 s[2:3], s[8:9]
	s_cbranch_execz .LBB1420_77
.LBB1420_141:
	global_load_dwordx2 v[18:19], v[28:29], off offset:1536
	s_or_b64 exec, exec, s[2:3]
                                        ; implicit-def: $vgpr20_vgpr21
	s_and_saveexec_b64 s[2:3], s[10:11]
	s_cbranch_execz .LBB1420_78
.LBB1420_142:
	global_load_dwordx2 v[20:21], v[28:29], off offset:2048
	s_or_b64 exec, exec, s[2:3]
                                        ; implicit-def: $vgpr22_vgpr23
	s_and_saveexec_b64 s[2:3], s[12:13]
	s_cbranch_execz .LBB1420_79
.LBB1420_143:
	global_load_dwordx2 v[22:23], v[28:29], off offset:2560
	s_or_b64 exec, exec, s[2:3]
                                        ; implicit-def: $vgpr24_vgpr25
	s_and_saveexec_b64 s[2:3], s[14:15]
	s_cbranch_execz .LBB1420_80
.LBB1420_144:
	global_load_dwordx2 v[24:25], v[28:29], off offset:3072
	s_or_b64 exec, exec, s[2:3]
                                        ; implicit-def: $vgpr26_vgpr27
	s_and_saveexec_b64 s[2:3], s[16:17]
	s_cbranch_execnz .LBB1420_81
	s_branch .LBB1420_82
	.section	.rodata,"a",@progbits
	.p2align	6, 0x0
	.amdhsa_kernel _ZN7rocprim17ROCPRIM_400000_NS6detail17trampoline_kernelINS0_14default_configENS1_35radix_sort_onesweep_config_selectorIslEEZZNS1_29radix_sort_onesweep_iterationIS3_Lb0EPsS7_N6thrust23THRUST_200600_302600_NS10device_ptrIlEESB_jNS0_19identity_decomposerENS1_16block_id_wrapperIjLb1EEEEE10hipError_tT1_PNSt15iterator_traitsISG_E10value_typeET2_T3_PNSH_ISM_E10value_typeET4_T5_PSR_SS_PNS1_23onesweep_lookback_stateEbbT6_jjT7_P12ihipStream_tbENKUlT_T0_SG_SL_E_clIS7_S7_PlSB_EEDaSZ_S10_SG_SL_EUlSZ_E_NS1_11comp_targetILNS1_3genE4ELNS1_11target_archE910ELNS1_3gpuE8ELNS1_3repE0EEENS1_47radix_sort_onesweep_sort_config_static_selectorELNS0_4arch9wavefront6targetE1EEEvSG_
		.amdhsa_group_segment_fixed_size 20552
		.amdhsa_private_segment_fixed_size 0
		.amdhsa_kernarg_size 344
		.amdhsa_user_sgpr_count 6
		.amdhsa_user_sgpr_private_segment_buffer 1
		.amdhsa_user_sgpr_dispatch_ptr 0
		.amdhsa_user_sgpr_queue_ptr 0
		.amdhsa_user_sgpr_kernarg_segment_ptr 1
		.amdhsa_user_sgpr_dispatch_id 0
		.amdhsa_user_sgpr_flat_scratch_init 0
		.amdhsa_user_sgpr_kernarg_preload_length 0
		.amdhsa_user_sgpr_kernarg_preload_offset 0
		.amdhsa_user_sgpr_private_segment_size 0
		.amdhsa_uses_dynamic_stack 0
		.amdhsa_system_sgpr_private_segment_wavefront_offset 0
		.amdhsa_system_sgpr_workgroup_id_x 1
		.amdhsa_system_sgpr_workgroup_id_y 0
		.amdhsa_system_sgpr_workgroup_id_z 0
		.amdhsa_system_sgpr_workgroup_info 0
		.amdhsa_system_vgpr_workitem_id 2
		.amdhsa_next_free_vgpr 55
		.amdhsa_next_free_sgpr 56
		.amdhsa_accum_offset 56
		.amdhsa_reserve_vcc 1
		.amdhsa_reserve_flat_scratch 0
		.amdhsa_float_round_mode_32 0
		.amdhsa_float_round_mode_16_64 0
		.amdhsa_float_denorm_mode_32 3
		.amdhsa_float_denorm_mode_16_64 3
		.amdhsa_dx10_clamp 1
		.amdhsa_ieee_mode 1
		.amdhsa_fp16_overflow 0
		.amdhsa_tg_split 0
		.amdhsa_exception_fp_ieee_invalid_op 0
		.amdhsa_exception_fp_denorm_src 0
		.amdhsa_exception_fp_ieee_div_zero 0
		.amdhsa_exception_fp_ieee_overflow 0
		.amdhsa_exception_fp_ieee_underflow 0
		.amdhsa_exception_fp_ieee_inexact 0
		.amdhsa_exception_int_div_zero 0
	.end_amdhsa_kernel
	.section	.text._ZN7rocprim17ROCPRIM_400000_NS6detail17trampoline_kernelINS0_14default_configENS1_35radix_sort_onesweep_config_selectorIslEEZZNS1_29radix_sort_onesweep_iterationIS3_Lb0EPsS7_N6thrust23THRUST_200600_302600_NS10device_ptrIlEESB_jNS0_19identity_decomposerENS1_16block_id_wrapperIjLb1EEEEE10hipError_tT1_PNSt15iterator_traitsISG_E10value_typeET2_T3_PNSH_ISM_E10value_typeET4_T5_PSR_SS_PNS1_23onesweep_lookback_stateEbbT6_jjT7_P12ihipStream_tbENKUlT_T0_SG_SL_E_clIS7_S7_PlSB_EEDaSZ_S10_SG_SL_EUlSZ_E_NS1_11comp_targetILNS1_3genE4ELNS1_11target_archE910ELNS1_3gpuE8ELNS1_3repE0EEENS1_47radix_sort_onesweep_sort_config_static_selectorELNS0_4arch9wavefront6targetE1EEEvSG_,"axG",@progbits,_ZN7rocprim17ROCPRIM_400000_NS6detail17trampoline_kernelINS0_14default_configENS1_35radix_sort_onesweep_config_selectorIslEEZZNS1_29radix_sort_onesweep_iterationIS3_Lb0EPsS7_N6thrust23THRUST_200600_302600_NS10device_ptrIlEESB_jNS0_19identity_decomposerENS1_16block_id_wrapperIjLb1EEEEE10hipError_tT1_PNSt15iterator_traitsISG_E10value_typeET2_T3_PNSH_ISM_E10value_typeET4_T5_PSR_SS_PNS1_23onesweep_lookback_stateEbbT6_jjT7_P12ihipStream_tbENKUlT_T0_SG_SL_E_clIS7_S7_PlSB_EEDaSZ_S10_SG_SL_EUlSZ_E_NS1_11comp_targetILNS1_3genE4ELNS1_11target_archE910ELNS1_3gpuE8ELNS1_3repE0EEENS1_47radix_sort_onesweep_sort_config_static_selectorELNS0_4arch9wavefront6targetE1EEEvSG_,comdat
.Lfunc_end1420:
	.size	_ZN7rocprim17ROCPRIM_400000_NS6detail17trampoline_kernelINS0_14default_configENS1_35radix_sort_onesweep_config_selectorIslEEZZNS1_29radix_sort_onesweep_iterationIS3_Lb0EPsS7_N6thrust23THRUST_200600_302600_NS10device_ptrIlEESB_jNS0_19identity_decomposerENS1_16block_id_wrapperIjLb1EEEEE10hipError_tT1_PNSt15iterator_traitsISG_E10value_typeET2_T3_PNSH_ISM_E10value_typeET4_T5_PSR_SS_PNS1_23onesweep_lookback_stateEbbT6_jjT7_P12ihipStream_tbENKUlT_T0_SG_SL_E_clIS7_S7_PlSB_EEDaSZ_S10_SG_SL_EUlSZ_E_NS1_11comp_targetILNS1_3genE4ELNS1_11target_archE910ELNS1_3gpuE8ELNS1_3repE0EEENS1_47radix_sort_onesweep_sort_config_static_selectorELNS0_4arch9wavefront6targetE1EEEvSG_, .Lfunc_end1420-_ZN7rocprim17ROCPRIM_400000_NS6detail17trampoline_kernelINS0_14default_configENS1_35radix_sort_onesweep_config_selectorIslEEZZNS1_29radix_sort_onesweep_iterationIS3_Lb0EPsS7_N6thrust23THRUST_200600_302600_NS10device_ptrIlEESB_jNS0_19identity_decomposerENS1_16block_id_wrapperIjLb1EEEEE10hipError_tT1_PNSt15iterator_traitsISG_E10value_typeET2_T3_PNSH_ISM_E10value_typeET4_T5_PSR_SS_PNS1_23onesweep_lookback_stateEbbT6_jjT7_P12ihipStream_tbENKUlT_T0_SG_SL_E_clIS7_S7_PlSB_EEDaSZ_S10_SG_SL_EUlSZ_E_NS1_11comp_targetILNS1_3genE4ELNS1_11target_archE910ELNS1_3gpuE8ELNS1_3repE0EEENS1_47radix_sort_onesweep_sort_config_static_selectorELNS0_4arch9wavefront6targetE1EEEvSG_
                                        ; -- End function
	.section	.AMDGPU.csdata,"",@progbits
; Kernel info:
; codeLenInByte = 13768
; NumSgprs: 60
; NumVgprs: 55
; NumAgprs: 0
; TotalNumVgprs: 55
; ScratchSize: 0
; MemoryBound: 0
; FloatMode: 240
; IeeeMode: 1
; LDSByteSize: 20552 bytes/workgroup (compile time only)
; SGPRBlocks: 7
; VGPRBlocks: 6
; NumSGPRsForWavesPerEU: 60
; NumVGPRsForWavesPerEU: 55
; AccumOffset: 56
; Occupancy: 8
; WaveLimiterHint : 1
; COMPUTE_PGM_RSRC2:SCRATCH_EN: 0
; COMPUTE_PGM_RSRC2:USER_SGPR: 6
; COMPUTE_PGM_RSRC2:TRAP_HANDLER: 0
; COMPUTE_PGM_RSRC2:TGID_X_EN: 1
; COMPUTE_PGM_RSRC2:TGID_Y_EN: 0
; COMPUTE_PGM_RSRC2:TGID_Z_EN: 0
; COMPUTE_PGM_RSRC2:TIDIG_COMP_CNT: 2
; COMPUTE_PGM_RSRC3_GFX90A:ACCUM_OFFSET: 13
; COMPUTE_PGM_RSRC3_GFX90A:TG_SPLIT: 0
	.section	.text._ZN7rocprim17ROCPRIM_400000_NS6detail17trampoline_kernelINS0_14default_configENS1_35radix_sort_onesweep_config_selectorIslEEZZNS1_29radix_sort_onesweep_iterationIS3_Lb0EPsS7_N6thrust23THRUST_200600_302600_NS10device_ptrIlEESB_jNS0_19identity_decomposerENS1_16block_id_wrapperIjLb1EEEEE10hipError_tT1_PNSt15iterator_traitsISG_E10value_typeET2_T3_PNSH_ISM_E10value_typeET4_T5_PSR_SS_PNS1_23onesweep_lookback_stateEbbT6_jjT7_P12ihipStream_tbENKUlT_T0_SG_SL_E_clIS7_S7_PlSB_EEDaSZ_S10_SG_SL_EUlSZ_E_NS1_11comp_targetILNS1_3genE3ELNS1_11target_archE908ELNS1_3gpuE7ELNS1_3repE0EEENS1_47radix_sort_onesweep_sort_config_static_selectorELNS0_4arch9wavefront6targetE1EEEvSG_,"axG",@progbits,_ZN7rocprim17ROCPRIM_400000_NS6detail17trampoline_kernelINS0_14default_configENS1_35radix_sort_onesweep_config_selectorIslEEZZNS1_29radix_sort_onesweep_iterationIS3_Lb0EPsS7_N6thrust23THRUST_200600_302600_NS10device_ptrIlEESB_jNS0_19identity_decomposerENS1_16block_id_wrapperIjLb1EEEEE10hipError_tT1_PNSt15iterator_traitsISG_E10value_typeET2_T3_PNSH_ISM_E10value_typeET4_T5_PSR_SS_PNS1_23onesweep_lookback_stateEbbT6_jjT7_P12ihipStream_tbENKUlT_T0_SG_SL_E_clIS7_S7_PlSB_EEDaSZ_S10_SG_SL_EUlSZ_E_NS1_11comp_targetILNS1_3genE3ELNS1_11target_archE908ELNS1_3gpuE7ELNS1_3repE0EEENS1_47radix_sort_onesweep_sort_config_static_selectorELNS0_4arch9wavefront6targetE1EEEvSG_,comdat
	.protected	_ZN7rocprim17ROCPRIM_400000_NS6detail17trampoline_kernelINS0_14default_configENS1_35radix_sort_onesweep_config_selectorIslEEZZNS1_29radix_sort_onesweep_iterationIS3_Lb0EPsS7_N6thrust23THRUST_200600_302600_NS10device_ptrIlEESB_jNS0_19identity_decomposerENS1_16block_id_wrapperIjLb1EEEEE10hipError_tT1_PNSt15iterator_traitsISG_E10value_typeET2_T3_PNSH_ISM_E10value_typeET4_T5_PSR_SS_PNS1_23onesweep_lookback_stateEbbT6_jjT7_P12ihipStream_tbENKUlT_T0_SG_SL_E_clIS7_S7_PlSB_EEDaSZ_S10_SG_SL_EUlSZ_E_NS1_11comp_targetILNS1_3genE3ELNS1_11target_archE908ELNS1_3gpuE7ELNS1_3repE0EEENS1_47radix_sort_onesweep_sort_config_static_selectorELNS0_4arch9wavefront6targetE1EEEvSG_ ; -- Begin function _ZN7rocprim17ROCPRIM_400000_NS6detail17trampoline_kernelINS0_14default_configENS1_35radix_sort_onesweep_config_selectorIslEEZZNS1_29radix_sort_onesweep_iterationIS3_Lb0EPsS7_N6thrust23THRUST_200600_302600_NS10device_ptrIlEESB_jNS0_19identity_decomposerENS1_16block_id_wrapperIjLb1EEEEE10hipError_tT1_PNSt15iterator_traitsISG_E10value_typeET2_T3_PNSH_ISM_E10value_typeET4_T5_PSR_SS_PNS1_23onesweep_lookback_stateEbbT6_jjT7_P12ihipStream_tbENKUlT_T0_SG_SL_E_clIS7_S7_PlSB_EEDaSZ_S10_SG_SL_EUlSZ_E_NS1_11comp_targetILNS1_3genE3ELNS1_11target_archE908ELNS1_3gpuE7ELNS1_3repE0EEENS1_47radix_sort_onesweep_sort_config_static_selectorELNS0_4arch9wavefront6targetE1EEEvSG_
	.globl	_ZN7rocprim17ROCPRIM_400000_NS6detail17trampoline_kernelINS0_14default_configENS1_35radix_sort_onesweep_config_selectorIslEEZZNS1_29radix_sort_onesweep_iterationIS3_Lb0EPsS7_N6thrust23THRUST_200600_302600_NS10device_ptrIlEESB_jNS0_19identity_decomposerENS1_16block_id_wrapperIjLb1EEEEE10hipError_tT1_PNSt15iterator_traitsISG_E10value_typeET2_T3_PNSH_ISM_E10value_typeET4_T5_PSR_SS_PNS1_23onesweep_lookback_stateEbbT6_jjT7_P12ihipStream_tbENKUlT_T0_SG_SL_E_clIS7_S7_PlSB_EEDaSZ_S10_SG_SL_EUlSZ_E_NS1_11comp_targetILNS1_3genE3ELNS1_11target_archE908ELNS1_3gpuE7ELNS1_3repE0EEENS1_47radix_sort_onesweep_sort_config_static_selectorELNS0_4arch9wavefront6targetE1EEEvSG_
	.p2align	8
	.type	_ZN7rocprim17ROCPRIM_400000_NS6detail17trampoline_kernelINS0_14default_configENS1_35radix_sort_onesweep_config_selectorIslEEZZNS1_29radix_sort_onesweep_iterationIS3_Lb0EPsS7_N6thrust23THRUST_200600_302600_NS10device_ptrIlEESB_jNS0_19identity_decomposerENS1_16block_id_wrapperIjLb1EEEEE10hipError_tT1_PNSt15iterator_traitsISG_E10value_typeET2_T3_PNSH_ISM_E10value_typeET4_T5_PSR_SS_PNS1_23onesweep_lookback_stateEbbT6_jjT7_P12ihipStream_tbENKUlT_T0_SG_SL_E_clIS7_S7_PlSB_EEDaSZ_S10_SG_SL_EUlSZ_E_NS1_11comp_targetILNS1_3genE3ELNS1_11target_archE908ELNS1_3gpuE7ELNS1_3repE0EEENS1_47radix_sort_onesweep_sort_config_static_selectorELNS0_4arch9wavefront6targetE1EEEvSG_,@function
_ZN7rocprim17ROCPRIM_400000_NS6detail17trampoline_kernelINS0_14default_configENS1_35radix_sort_onesweep_config_selectorIslEEZZNS1_29radix_sort_onesweep_iterationIS3_Lb0EPsS7_N6thrust23THRUST_200600_302600_NS10device_ptrIlEESB_jNS0_19identity_decomposerENS1_16block_id_wrapperIjLb1EEEEE10hipError_tT1_PNSt15iterator_traitsISG_E10value_typeET2_T3_PNSH_ISM_E10value_typeET4_T5_PSR_SS_PNS1_23onesweep_lookback_stateEbbT6_jjT7_P12ihipStream_tbENKUlT_T0_SG_SL_E_clIS7_S7_PlSB_EEDaSZ_S10_SG_SL_EUlSZ_E_NS1_11comp_targetILNS1_3genE3ELNS1_11target_archE908ELNS1_3gpuE7ELNS1_3repE0EEENS1_47radix_sort_onesweep_sort_config_static_selectorELNS0_4arch9wavefront6targetE1EEEvSG_: ; @_ZN7rocprim17ROCPRIM_400000_NS6detail17trampoline_kernelINS0_14default_configENS1_35radix_sort_onesweep_config_selectorIslEEZZNS1_29radix_sort_onesweep_iterationIS3_Lb0EPsS7_N6thrust23THRUST_200600_302600_NS10device_ptrIlEESB_jNS0_19identity_decomposerENS1_16block_id_wrapperIjLb1EEEEE10hipError_tT1_PNSt15iterator_traitsISG_E10value_typeET2_T3_PNSH_ISM_E10value_typeET4_T5_PSR_SS_PNS1_23onesweep_lookback_stateEbbT6_jjT7_P12ihipStream_tbENKUlT_T0_SG_SL_E_clIS7_S7_PlSB_EEDaSZ_S10_SG_SL_EUlSZ_E_NS1_11comp_targetILNS1_3genE3ELNS1_11target_archE908ELNS1_3gpuE7ELNS1_3repE0EEENS1_47radix_sort_onesweep_sort_config_static_selectorELNS0_4arch9wavefront6targetE1EEEvSG_
; %bb.0:
	.section	.rodata,"a",@progbits
	.p2align	6, 0x0
	.amdhsa_kernel _ZN7rocprim17ROCPRIM_400000_NS6detail17trampoline_kernelINS0_14default_configENS1_35radix_sort_onesweep_config_selectorIslEEZZNS1_29radix_sort_onesweep_iterationIS3_Lb0EPsS7_N6thrust23THRUST_200600_302600_NS10device_ptrIlEESB_jNS0_19identity_decomposerENS1_16block_id_wrapperIjLb1EEEEE10hipError_tT1_PNSt15iterator_traitsISG_E10value_typeET2_T3_PNSH_ISM_E10value_typeET4_T5_PSR_SS_PNS1_23onesweep_lookback_stateEbbT6_jjT7_P12ihipStream_tbENKUlT_T0_SG_SL_E_clIS7_S7_PlSB_EEDaSZ_S10_SG_SL_EUlSZ_E_NS1_11comp_targetILNS1_3genE3ELNS1_11target_archE908ELNS1_3gpuE7ELNS1_3repE0EEENS1_47radix_sort_onesweep_sort_config_static_selectorELNS0_4arch9wavefront6targetE1EEEvSG_
		.amdhsa_group_segment_fixed_size 0
		.amdhsa_private_segment_fixed_size 0
		.amdhsa_kernarg_size 88
		.amdhsa_user_sgpr_count 6
		.amdhsa_user_sgpr_private_segment_buffer 1
		.amdhsa_user_sgpr_dispatch_ptr 0
		.amdhsa_user_sgpr_queue_ptr 0
		.amdhsa_user_sgpr_kernarg_segment_ptr 1
		.amdhsa_user_sgpr_dispatch_id 0
		.amdhsa_user_sgpr_flat_scratch_init 0
		.amdhsa_user_sgpr_kernarg_preload_length 0
		.amdhsa_user_sgpr_kernarg_preload_offset 0
		.amdhsa_user_sgpr_private_segment_size 0
		.amdhsa_uses_dynamic_stack 0
		.amdhsa_system_sgpr_private_segment_wavefront_offset 0
		.amdhsa_system_sgpr_workgroup_id_x 1
		.amdhsa_system_sgpr_workgroup_id_y 0
		.amdhsa_system_sgpr_workgroup_id_z 0
		.amdhsa_system_sgpr_workgroup_info 0
		.amdhsa_system_vgpr_workitem_id 0
		.amdhsa_next_free_vgpr 1
		.amdhsa_next_free_sgpr 0
		.amdhsa_accum_offset 4
		.amdhsa_reserve_vcc 0
		.amdhsa_reserve_flat_scratch 0
		.amdhsa_float_round_mode_32 0
		.amdhsa_float_round_mode_16_64 0
		.amdhsa_float_denorm_mode_32 3
		.amdhsa_float_denorm_mode_16_64 3
		.amdhsa_dx10_clamp 1
		.amdhsa_ieee_mode 1
		.amdhsa_fp16_overflow 0
		.amdhsa_tg_split 0
		.amdhsa_exception_fp_ieee_invalid_op 0
		.amdhsa_exception_fp_denorm_src 0
		.amdhsa_exception_fp_ieee_div_zero 0
		.amdhsa_exception_fp_ieee_overflow 0
		.amdhsa_exception_fp_ieee_underflow 0
		.amdhsa_exception_fp_ieee_inexact 0
		.amdhsa_exception_int_div_zero 0
	.end_amdhsa_kernel
	.section	.text._ZN7rocprim17ROCPRIM_400000_NS6detail17trampoline_kernelINS0_14default_configENS1_35radix_sort_onesweep_config_selectorIslEEZZNS1_29radix_sort_onesweep_iterationIS3_Lb0EPsS7_N6thrust23THRUST_200600_302600_NS10device_ptrIlEESB_jNS0_19identity_decomposerENS1_16block_id_wrapperIjLb1EEEEE10hipError_tT1_PNSt15iterator_traitsISG_E10value_typeET2_T3_PNSH_ISM_E10value_typeET4_T5_PSR_SS_PNS1_23onesweep_lookback_stateEbbT6_jjT7_P12ihipStream_tbENKUlT_T0_SG_SL_E_clIS7_S7_PlSB_EEDaSZ_S10_SG_SL_EUlSZ_E_NS1_11comp_targetILNS1_3genE3ELNS1_11target_archE908ELNS1_3gpuE7ELNS1_3repE0EEENS1_47radix_sort_onesweep_sort_config_static_selectorELNS0_4arch9wavefront6targetE1EEEvSG_,"axG",@progbits,_ZN7rocprim17ROCPRIM_400000_NS6detail17trampoline_kernelINS0_14default_configENS1_35radix_sort_onesweep_config_selectorIslEEZZNS1_29radix_sort_onesweep_iterationIS3_Lb0EPsS7_N6thrust23THRUST_200600_302600_NS10device_ptrIlEESB_jNS0_19identity_decomposerENS1_16block_id_wrapperIjLb1EEEEE10hipError_tT1_PNSt15iterator_traitsISG_E10value_typeET2_T3_PNSH_ISM_E10value_typeET4_T5_PSR_SS_PNS1_23onesweep_lookback_stateEbbT6_jjT7_P12ihipStream_tbENKUlT_T0_SG_SL_E_clIS7_S7_PlSB_EEDaSZ_S10_SG_SL_EUlSZ_E_NS1_11comp_targetILNS1_3genE3ELNS1_11target_archE908ELNS1_3gpuE7ELNS1_3repE0EEENS1_47radix_sort_onesweep_sort_config_static_selectorELNS0_4arch9wavefront6targetE1EEEvSG_,comdat
.Lfunc_end1421:
	.size	_ZN7rocprim17ROCPRIM_400000_NS6detail17trampoline_kernelINS0_14default_configENS1_35radix_sort_onesweep_config_selectorIslEEZZNS1_29radix_sort_onesweep_iterationIS3_Lb0EPsS7_N6thrust23THRUST_200600_302600_NS10device_ptrIlEESB_jNS0_19identity_decomposerENS1_16block_id_wrapperIjLb1EEEEE10hipError_tT1_PNSt15iterator_traitsISG_E10value_typeET2_T3_PNSH_ISM_E10value_typeET4_T5_PSR_SS_PNS1_23onesweep_lookback_stateEbbT6_jjT7_P12ihipStream_tbENKUlT_T0_SG_SL_E_clIS7_S7_PlSB_EEDaSZ_S10_SG_SL_EUlSZ_E_NS1_11comp_targetILNS1_3genE3ELNS1_11target_archE908ELNS1_3gpuE7ELNS1_3repE0EEENS1_47radix_sort_onesweep_sort_config_static_selectorELNS0_4arch9wavefront6targetE1EEEvSG_, .Lfunc_end1421-_ZN7rocprim17ROCPRIM_400000_NS6detail17trampoline_kernelINS0_14default_configENS1_35radix_sort_onesweep_config_selectorIslEEZZNS1_29radix_sort_onesweep_iterationIS3_Lb0EPsS7_N6thrust23THRUST_200600_302600_NS10device_ptrIlEESB_jNS0_19identity_decomposerENS1_16block_id_wrapperIjLb1EEEEE10hipError_tT1_PNSt15iterator_traitsISG_E10value_typeET2_T3_PNSH_ISM_E10value_typeET4_T5_PSR_SS_PNS1_23onesweep_lookback_stateEbbT6_jjT7_P12ihipStream_tbENKUlT_T0_SG_SL_E_clIS7_S7_PlSB_EEDaSZ_S10_SG_SL_EUlSZ_E_NS1_11comp_targetILNS1_3genE3ELNS1_11target_archE908ELNS1_3gpuE7ELNS1_3repE0EEENS1_47radix_sort_onesweep_sort_config_static_selectorELNS0_4arch9wavefront6targetE1EEEvSG_
                                        ; -- End function
	.section	.AMDGPU.csdata,"",@progbits
; Kernel info:
; codeLenInByte = 0
; NumSgprs: 4
; NumVgprs: 0
; NumAgprs: 0
; TotalNumVgprs: 0
; ScratchSize: 0
; MemoryBound: 0
; FloatMode: 240
; IeeeMode: 1
; LDSByteSize: 0 bytes/workgroup (compile time only)
; SGPRBlocks: 0
; VGPRBlocks: 0
; NumSGPRsForWavesPerEU: 4
; NumVGPRsForWavesPerEU: 1
; AccumOffset: 4
; Occupancy: 8
; WaveLimiterHint : 0
; COMPUTE_PGM_RSRC2:SCRATCH_EN: 0
; COMPUTE_PGM_RSRC2:USER_SGPR: 6
; COMPUTE_PGM_RSRC2:TRAP_HANDLER: 0
; COMPUTE_PGM_RSRC2:TGID_X_EN: 1
; COMPUTE_PGM_RSRC2:TGID_Y_EN: 0
; COMPUTE_PGM_RSRC2:TGID_Z_EN: 0
; COMPUTE_PGM_RSRC2:TIDIG_COMP_CNT: 0
; COMPUTE_PGM_RSRC3_GFX90A:ACCUM_OFFSET: 0
; COMPUTE_PGM_RSRC3_GFX90A:TG_SPLIT: 0
	.section	.text._ZN7rocprim17ROCPRIM_400000_NS6detail17trampoline_kernelINS0_14default_configENS1_35radix_sort_onesweep_config_selectorIslEEZZNS1_29radix_sort_onesweep_iterationIS3_Lb0EPsS7_N6thrust23THRUST_200600_302600_NS10device_ptrIlEESB_jNS0_19identity_decomposerENS1_16block_id_wrapperIjLb1EEEEE10hipError_tT1_PNSt15iterator_traitsISG_E10value_typeET2_T3_PNSH_ISM_E10value_typeET4_T5_PSR_SS_PNS1_23onesweep_lookback_stateEbbT6_jjT7_P12ihipStream_tbENKUlT_T0_SG_SL_E_clIS7_S7_PlSB_EEDaSZ_S10_SG_SL_EUlSZ_E_NS1_11comp_targetILNS1_3genE10ELNS1_11target_archE1201ELNS1_3gpuE5ELNS1_3repE0EEENS1_47radix_sort_onesweep_sort_config_static_selectorELNS0_4arch9wavefront6targetE1EEEvSG_,"axG",@progbits,_ZN7rocprim17ROCPRIM_400000_NS6detail17trampoline_kernelINS0_14default_configENS1_35radix_sort_onesweep_config_selectorIslEEZZNS1_29radix_sort_onesweep_iterationIS3_Lb0EPsS7_N6thrust23THRUST_200600_302600_NS10device_ptrIlEESB_jNS0_19identity_decomposerENS1_16block_id_wrapperIjLb1EEEEE10hipError_tT1_PNSt15iterator_traitsISG_E10value_typeET2_T3_PNSH_ISM_E10value_typeET4_T5_PSR_SS_PNS1_23onesweep_lookback_stateEbbT6_jjT7_P12ihipStream_tbENKUlT_T0_SG_SL_E_clIS7_S7_PlSB_EEDaSZ_S10_SG_SL_EUlSZ_E_NS1_11comp_targetILNS1_3genE10ELNS1_11target_archE1201ELNS1_3gpuE5ELNS1_3repE0EEENS1_47radix_sort_onesweep_sort_config_static_selectorELNS0_4arch9wavefront6targetE1EEEvSG_,comdat
	.protected	_ZN7rocprim17ROCPRIM_400000_NS6detail17trampoline_kernelINS0_14default_configENS1_35radix_sort_onesweep_config_selectorIslEEZZNS1_29radix_sort_onesweep_iterationIS3_Lb0EPsS7_N6thrust23THRUST_200600_302600_NS10device_ptrIlEESB_jNS0_19identity_decomposerENS1_16block_id_wrapperIjLb1EEEEE10hipError_tT1_PNSt15iterator_traitsISG_E10value_typeET2_T3_PNSH_ISM_E10value_typeET4_T5_PSR_SS_PNS1_23onesweep_lookback_stateEbbT6_jjT7_P12ihipStream_tbENKUlT_T0_SG_SL_E_clIS7_S7_PlSB_EEDaSZ_S10_SG_SL_EUlSZ_E_NS1_11comp_targetILNS1_3genE10ELNS1_11target_archE1201ELNS1_3gpuE5ELNS1_3repE0EEENS1_47radix_sort_onesweep_sort_config_static_selectorELNS0_4arch9wavefront6targetE1EEEvSG_ ; -- Begin function _ZN7rocprim17ROCPRIM_400000_NS6detail17trampoline_kernelINS0_14default_configENS1_35radix_sort_onesweep_config_selectorIslEEZZNS1_29radix_sort_onesweep_iterationIS3_Lb0EPsS7_N6thrust23THRUST_200600_302600_NS10device_ptrIlEESB_jNS0_19identity_decomposerENS1_16block_id_wrapperIjLb1EEEEE10hipError_tT1_PNSt15iterator_traitsISG_E10value_typeET2_T3_PNSH_ISM_E10value_typeET4_T5_PSR_SS_PNS1_23onesweep_lookback_stateEbbT6_jjT7_P12ihipStream_tbENKUlT_T0_SG_SL_E_clIS7_S7_PlSB_EEDaSZ_S10_SG_SL_EUlSZ_E_NS1_11comp_targetILNS1_3genE10ELNS1_11target_archE1201ELNS1_3gpuE5ELNS1_3repE0EEENS1_47radix_sort_onesweep_sort_config_static_selectorELNS0_4arch9wavefront6targetE1EEEvSG_
	.globl	_ZN7rocprim17ROCPRIM_400000_NS6detail17trampoline_kernelINS0_14default_configENS1_35radix_sort_onesweep_config_selectorIslEEZZNS1_29radix_sort_onesweep_iterationIS3_Lb0EPsS7_N6thrust23THRUST_200600_302600_NS10device_ptrIlEESB_jNS0_19identity_decomposerENS1_16block_id_wrapperIjLb1EEEEE10hipError_tT1_PNSt15iterator_traitsISG_E10value_typeET2_T3_PNSH_ISM_E10value_typeET4_T5_PSR_SS_PNS1_23onesweep_lookback_stateEbbT6_jjT7_P12ihipStream_tbENKUlT_T0_SG_SL_E_clIS7_S7_PlSB_EEDaSZ_S10_SG_SL_EUlSZ_E_NS1_11comp_targetILNS1_3genE10ELNS1_11target_archE1201ELNS1_3gpuE5ELNS1_3repE0EEENS1_47radix_sort_onesweep_sort_config_static_selectorELNS0_4arch9wavefront6targetE1EEEvSG_
	.p2align	8
	.type	_ZN7rocprim17ROCPRIM_400000_NS6detail17trampoline_kernelINS0_14default_configENS1_35radix_sort_onesweep_config_selectorIslEEZZNS1_29radix_sort_onesweep_iterationIS3_Lb0EPsS7_N6thrust23THRUST_200600_302600_NS10device_ptrIlEESB_jNS0_19identity_decomposerENS1_16block_id_wrapperIjLb1EEEEE10hipError_tT1_PNSt15iterator_traitsISG_E10value_typeET2_T3_PNSH_ISM_E10value_typeET4_T5_PSR_SS_PNS1_23onesweep_lookback_stateEbbT6_jjT7_P12ihipStream_tbENKUlT_T0_SG_SL_E_clIS7_S7_PlSB_EEDaSZ_S10_SG_SL_EUlSZ_E_NS1_11comp_targetILNS1_3genE10ELNS1_11target_archE1201ELNS1_3gpuE5ELNS1_3repE0EEENS1_47radix_sort_onesweep_sort_config_static_selectorELNS0_4arch9wavefront6targetE1EEEvSG_,@function
_ZN7rocprim17ROCPRIM_400000_NS6detail17trampoline_kernelINS0_14default_configENS1_35radix_sort_onesweep_config_selectorIslEEZZNS1_29radix_sort_onesweep_iterationIS3_Lb0EPsS7_N6thrust23THRUST_200600_302600_NS10device_ptrIlEESB_jNS0_19identity_decomposerENS1_16block_id_wrapperIjLb1EEEEE10hipError_tT1_PNSt15iterator_traitsISG_E10value_typeET2_T3_PNSH_ISM_E10value_typeET4_T5_PSR_SS_PNS1_23onesweep_lookback_stateEbbT6_jjT7_P12ihipStream_tbENKUlT_T0_SG_SL_E_clIS7_S7_PlSB_EEDaSZ_S10_SG_SL_EUlSZ_E_NS1_11comp_targetILNS1_3genE10ELNS1_11target_archE1201ELNS1_3gpuE5ELNS1_3repE0EEENS1_47radix_sort_onesweep_sort_config_static_selectorELNS0_4arch9wavefront6targetE1EEEvSG_: ; @_ZN7rocprim17ROCPRIM_400000_NS6detail17trampoline_kernelINS0_14default_configENS1_35radix_sort_onesweep_config_selectorIslEEZZNS1_29radix_sort_onesweep_iterationIS3_Lb0EPsS7_N6thrust23THRUST_200600_302600_NS10device_ptrIlEESB_jNS0_19identity_decomposerENS1_16block_id_wrapperIjLb1EEEEE10hipError_tT1_PNSt15iterator_traitsISG_E10value_typeET2_T3_PNSH_ISM_E10value_typeET4_T5_PSR_SS_PNS1_23onesweep_lookback_stateEbbT6_jjT7_P12ihipStream_tbENKUlT_T0_SG_SL_E_clIS7_S7_PlSB_EEDaSZ_S10_SG_SL_EUlSZ_E_NS1_11comp_targetILNS1_3genE10ELNS1_11target_archE1201ELNS1_3gpuE5ELNS1_3repE0EEENS1_47radix_sort_onesweep_sort_config_static_selectorELNS0_4arch9wavefront6targetE1EEEvSG_
; %bb.0:
	.section	.rodata,"a",@progbits
	.p2align	6, 0x0
	.amdhsa_kernel _ZN7rocprim17ROCPRIM_400000_NS6detail17trampoline_kernelINS0_14default_configENS1_35radix_sort_onesweep_config_selectorIslEEZZNS1_29radix_sort_onesweep_iterationIS3_Lb0EPsS7_N6thrust23THRUST_200600_302600_NS10device_ptrIlEESB_jNS0_19identity_decomposerENS1_16block_id_wrapperIjLb1EEEEE10hipError_tT1_PNSt15iterator_traitsISG_E10value_typeET2_T3_PNSH_ISM_E10value_typeET4_T5_PSR_SS_PNS1_23onesweep_lookback_stateEbbT6_jjT7_P12ihipStream_tbENKUlT_T0_SG_SL_E_clIS7_S7_PlSB_EEDaSZ_S10_SG_SL_EUlSZ_E_NS1_11comp_targetILNS1_3genE10ELNS1_11target_archE1201ELNS1_3gpuE5ELNS1_3repE0EEENS1_47radix_sort_onesweep_sort_config_static_selectorELNS0_4arch9wavefront6targetE1EEEvSG_
		.amdhsa_group_segment_fixed_size 0
		.amdhsa_private_segment_fixed_size 0
		.amdhsa_kernarg_size 88
		.amdhsa_user_sgpr_count 6
		.amdhsa_user_sgpr_private_segment_buffer 1
		.amdhsa_user_sgpr_dispatch_ptr 0
		.amdhsa_user_sgpr_queue_ptr 0
		.amdhsa_user_sgpr_kernarg_segment_ptr 1
		.amdhsa_user_sgpr_dispatch_id 0
		.amdhsa_user_sgpr_flat_scratch_init 0
		.amdhsa_user_sgpr_kernarg_preload_length 0
		.amdhsa_user_sgpr_kernarg_preload_offset 0
		.amdhsa_user_sgpr_private_segment_size 0
		.amdhsa_uses_dynamic_stack 0
		.amdhsa_system_sgpr_private_segment_wavefront_offset 0
		.amdhsa_system_sgpr_workgroup_id_x 1
		.amdhsa_system_sgpr_workgroup_id_y 0
		.amdhsa_system_sgpr_workgroup_id_z 0
		.amdhsa_system_sgpr_workgroup_info 0
		.amdhsa_system_vgpr_workitem_id 0
		.amdhsa_next_free_vgpr 1
		.amdhsa_next_free_sgpr 0
		.amdhsa_accum_offset 4
		.amdhsa_reserve_vcc 0
		.amdhsa_reserve_flat_scratch 0
		.amdhsa_float_round_mode_32 0
		.amdhsa_float_round_mode_16_64 0
		.amdhsa_float_denorm_mode_32 3
		.amdhsa_float_denorm_mode_16_64 3
		.amdhsa_dx10_clamp 1
		.amdhsa_ieee_mode 1
		.amdhsa_fp16_overflow 0
		.amdhsa_tg_split 0
		.amdhsa_exception_fp_ieee_invalid_op 0
		.amdhsa_exception_fp_denorm_src 0
		.amdhsa_exception_fp_ieee_div_zero 0
		.amdhsa_exception_fp_ieee_overflow 0
		.amdhsa_exception_fp_ieee_underflow 0
		.amdhsa_exception_fp_ieee_inexact 0
		.amdhsa_exception_int_div_zero 0
	.end_amdhsa_kernel
	.section	.text._ZN7rocprim17ROCPRIM_400000_NS6detail17trampoline_kernelINS0_14default_configENS1_35radix_sort_onesweep_config_selectorIslEEZZNS1_29radix_sort_onesweep_iterationIS3_Lb0EPsS7_N6thrust23THRUST_200600_302600_NS10device_ptrIlEESB_jNS0_19identity_decomposerENS1_16block_id_wrapperIjLb1EEEEE10hipError_tT1_PNSt15iterator_traitsISG_E10value_typeET2_T3_PNSH_ISM_E10value_typeET4_T5_PSR_SS_PNS1_23onesweep_lookback_stateEbbT6_jjT7_P12ihipStream_tbENKUlT_T0_SG_SL_E_clIS7_S7_PlSB_EEDaSZ_S10_SG_SL_EUlSZ_E_NS1_11comp_targetILNS1_3genE10ELNS1_11target_archE1201ELNS1_3gpuE5ELNS1_3repE0EEENS1_47radix_sort_onesweep_sort_config_static_selectorELNS0_4arch9wavefront6targetE1EEEvSG_,"axG",@progbits,_ZN7rocprim17ROCPRIM_400000_NS6detail17trampoline_kernelINS0_14default_configENS1_35radix_sort_onesweep_config_selectorIslEEZZNS1_29radix_sort_onesweep_iterationIS3_Lb0EPsS7_N6thrust23THRUST_200600_302600_NS10device_ptrIlEESB_jNS0_19identity_decomposerENS1_16block_id_wrapperIjLb1EEEEE10hipError_tT1_PNSt15iterator_traitsISG_E10value_typeET2_T3_PNSH_ISM_E10value_typeET4_T5_PSR_SS_PNS1_23onesweep_lookback_stateEbbT6_jjT7_P12ihipStream_tbENKUlT_T0_SG_SL_E_clIS7_S7_PlSB_EEDaSZ_S10_SG_SL_EUlSZ_E_NS1_11comp_targetILNS1_3genE10ELNS1_11target_archE1201ELNS1_3gpuE5ELNS1_3repE0EEENS1_47radix_sort_onesweep_sort_config_static_selectorELNS0_4arch9wavefront6targetE1EEEvSG_,comdat
.Lfunc_end1422:
	.size	_ZN7rocprim17ROCPRIM_400000_NS6detail17trampoline_kernelINS0_14default_configENS1_35radix_sort_onesweep_config_selectorIslEEZZNS1_29radix_sort_onesweep_iterationIS3_Lb0EPsS7_N6thrust23THRUST_200600_302600_NS10device_ptrIlEESB_jNS0_19identity_decomposerENS1_16block_id_wrapperIjLb1EEEEE10hipError_tT1_PNSt15iterator_traitsISG_E10value_typeET2_T3_PNSH_ISM_E10value_typeET4_T5_PSR_SS_PNS1_23onesweep_lookback_stateEbbT6_jjT7_P12ihipStream_tbENKUlT_T0_SG_SL_E_clIS7_S7_PlSB_EEDaSZ_S10_SG_SL_EUlSZ_E_NS1_11comp_targetILNS1_3genE10ELNS1_11target_archE1201ELNS1_3gpuE5ELNS1_3repE0EEENS1_47radix_sort_onesweep_sort_config_static_selectorELNS0_4arch9wavefront6targetE1EEEvSG_, .Lfunc_end1422-_ZN7rocprim17ROCPRIM_400000_NS6detail17trampoline_kernelINS0_14default_configENS1_35radix_sort_onesweep_config_selectorIslEEZZNS1_29radix_sort_onesweep_iterationIS3_Lb0EPsS7_N6thrust23THRUST_200600_302600_NS10device_ptrIlEESB_jNS0_19identity_decomposerENS1_16block_id_wrapperIjLb1EEEEE10hipError_tT1_PNSt15iterator_traitsISG_E10value_typeET2_T3_PNSH_ISM_E10value_typeET4_T5_PSR_SS_PNS1_23onesweep_lookback_stateEbbT6_jjT7_P12ihipStream_tbENKUlT_T0_SG_SL_E_clIS7_S7_PlSB_EEDaSZ_S10_SG_SL_EUlSZ_E_NS1_11comp_targetILNS1_3genE10ELNS1_11target_archE1201ELNS1_3gpuE5ELNS1_3repE0EEENS1_47radix_sort_onesweep_sort_config_static_selectorELNS0_4arch9wavefront6targetE1EEEvSG_
                                        ; -- End function
	.section	.AMDGPU.csdata,"",@progbits
; Kernel info:
; codeLenInByte = 0
; NumSgprs: 4
; NumVgprs: 0
; NumAgprs: 0
; TotalNumVgprs: 0
; ScratchSize: 0
; MemoryBound: 0
; FloatMode: 240
; IeeeMode: 1
; LDSByteSize: 0 bytes/workgroup (compile time only)
; SGPRBlocks: 0
; VGPRBlocks: 0
; NumSGPRsForWavesPerEU: 4
; NumVGPRsForWavesPerEU: 1
; AccumOffset: 4
; Occupancy: 8
; WaveLimiterHint : 0
; COMPUTE_PGM_RSRC2:SCRATCH_EN: 0
; COMPUTE_PGM_RSRC2:USER_SGPR: 6
; COMPUTE_PGM_RSRC2:TRAP_HANDLER: 0
; COMPUTE_PGM_RSRC2:TGID_X_EN: 1
; COMPUTE_PGM_RSRC2:TGID_Y_EN: 0
; COMPUTE_PGM_RSRC2:TGID_Z_EN: 0
; COMPUTE_PGM_RSRC2:TIDIG_COMP_CNT: 0
; COMPUTE_PGM_RSRC3_GFX90A:ACCUM_OFFSET: 0
; COMPUTE_PGM_RSRC3_GFX90A:TG_SPLIT: 0
	.section	.text._ZN7rocprim17ROCPRIM_400000_NS6detail17trampoline_kernelINS0_14default_configENS1_35radix_sort_onesweep_config_selectorIslEEZZNS1_29radix_sort_onesweep_iterationIS3_Lb0EPsS7_N6thrust23THRUST_200600_302600_NS10device_ptrIlEESB_jNS0_19identity_decomposerENS1_16block_id_wrapperIjLb1EEEEE10hipError_tT1_PNSt15iterator_traitsISG_E10value_typeET2_T3_PNSH_ISM_E10value_typeET4_T5_PSR_SS_PNS1_23onesweep_lookback_stateEbbT6_jjT7_P12ihipStream_tbENKUlT_T0_SG_SL_E_clIS7_S7_PlSB_EEDaSZ_S10_SG_SL_EUlSZ_E_NS1_11comp_targetILNS1_3genE9ELNS1_11target_archE1100ELNS1_3gpuE3ELNS1_3repE0EEENS1_47radix_sort_onesweep_sort_config_static_selectorELNS0_4arch9wavefront6targetE1EEEvSG_,"axG",@progbits,_ZN7rocprim17ROCPRIM_400000_NS6detail17trampoline_kernelINS0_14default_configENS1_35radix_sort_onesweep_config_selectorIslEEZZNS1_29radix_sort_onesweep_iterationIS3_Lb0EPsS7_N6thrust23THRUST_200600_302600_NS10device_ptrIlEESB_jNS0_19identity_decomposerENS1_16block_id_wrapperIjLb1EEEEE10hipError_tT1_PNSt15iterator_traitsISG_E10value_typeET2_T3_PNSH_ISM_E10value_typeET4_T5_PSR_SS_PNS1_23onesweep_lookback_stateEbbT6_jjT7_P12ihipStream_tbENKUlT_T0_SG_SL_E_clIS7_S7_PlSB_EEDaSZ_S10_SG_SL_EUlSZ_E_NS1_11comp_targetILNS1_3genE9ELNS1_11target_archE1100ELNS1_3gpuE3ELNS1_3repE0EEENS1_47radix_sort_onesweep_sort_config_static_selectorELNS0_4arch9wavefront6targetE1EEEvSG_,comdat
	.protected	_ZN7rocprim17ROCPRIM_400000_NS6detail17trampoline_kernelINS0_14default_configENS1_35radix_sort_onesweep_config_selectorIslEEZZNS1_29radix_sort_onesweep_iterationIS3_Lb0EPsS7_N6thrust23THRUST_200600_302600_NS10device_ptrIlEESB_jNS0_19identity_decomposerENS1_16block_id_wrapperIjLb1EEEEE10hipError_tT1_PNSt15iterator_traitsISG_E10value_typeET2_T3_PNSH_ISM_E10value_typeET4_T5_PSR_SS_PNS1_23onesweep_lookback_stateEbbT6_jjT7_P12ihipStream_tbENKUlT_T0_SG_SL_E_clIS7_S7_PlSB_EEDaSZ_S10_SG_SL_EUlSZ_E_NS1_11comp_targetILNS1_3genE9ELNS1_11target_archE1100ELNS1_3gpuE3ELNS1_3repE0EEENS1_47radix_sort_onesweep_sort_config_static_selectorELNS0_4arch9wavefront6targetE1EEEvSG_ ; -- Begin function _ZN7rocprim17ROCPRIM_400000_NS6detail17trampoline_kernelINS0_14default_configENS1_35radix_sort_onesweep_config_selectorIslEEZZNS1_29radix_sort_onesweep_iterationIS3_Lb0EPsS7_N6thrust23THRUST_200600_302600_NS10device_ptrIlEESB_jNS0_19identity_decomposerENS1_16block_id_wrapperIjLb1EEEEE10hipError_tT1_PNSt15iterator_traitsISG_E10value_typeET2_T3_PNSH_ISM_E10value_typeET4_T5_PSR_SS_PNS1_23onesweep_lookback_stateEbbT6_jjT7_P12ihipStream_tbENKUlT_T0_SG_SL_E_clIS7_S7_PlSB_EEDaSZ_S10_SG_SL_EUlSZ_E_NS1_11comp_targetILNS1_3genE9ELNS1_11target_archE1100ELNS1_3gpuE3ELNS1_3repE0EEENS1_47radix_sort_onesweep_sort_config_static_selectorELNS0_4arch9wavefront6targetE1EEEvSG_
	.globl	_ZN7rocprim17ROCPRIM_400000_NS6detail17trampoline_kernelINS0_14default_configENS1_35radix_sort_onesweep_config_selectorIslEEZZNS1_29radix_sort_onesweep_iterationIS3_Lb0EPsS7_N6thrust23THRUST_200600_302600_NS10device_ptrIlEESB_jNS0_19identity_decomposerENS1_16block_id_wrapperIjLb1EEEEE10hipError_tT1_PNSt15iterator_traitsISG_E10value_typeET2_T3_PNSH_ISM_E10value_typeET4_T5_PSR_SS_PNS1_23onesweep_lookback_stateEbbT6_jjT7_P12ihipStream_tbENKUlT_T0_SG_SL_E_clIS7_S7_PlSB_EEDaSZ_S10_SG_SL_EUlSZ_E_NS1_11comp_targetILNS1_3genE9ELNS1_11target_archE1100ELNS1_3gpuE3ELNS1_3repE0EEENS1_47radix_sort_onesweep_sort_config_static_selectorELNS0_4arch9wavefront6targetE1EEEvSG_
	.p2align	8
	.type	_ZN7rocprim17ROCPRIM_400000_NS6detail17trampoline_kernelINS0_14default_configENS1_35radix_sort_onesweep_config_selectorIslEEZZNS1_29radix_sort_onesweep_iterationIS3_Lb0EPsS7_N6thrust23THRUST_200600_302600_NS10device_ptrIlEESB_jNS0_19identity_decomposerENS1_16block_id_wrapperIjLb1EEEEE10hipError_tT1_PNSt15iterator_traitsISG_E10value_typeET2_T3_PNSH_ISM_E10value_typeET4_T5_PSR_SS_PNS1_23onesweep_lookback_stateEbbT6_jjT7_P12ihipStream_tbENKUlT_T0_SG_SL_E_clIS7_S7_PlSB_EEDaSZ_S10_SG_SL_EUlSZ_E_NS1_11comp_targetILNS1_3genE9ELNS1_11target_archE1100ELNS1_3gpuE3ELNS1_3repE0EEENS1_47radix_sort_onesweep_sort_config_static_selectorELNS0_4arch9wavefront6targetE1EEEvSG_,@function
_ZN7rocprim17ROCPRIM_400000_NS6detail17trampoline_kernelINS0_14default_configENS1_35radix_sort_onesweep_config_selectorIslEEZZNS1_29radix_sort_onesweep_iterationIS3_Lb0EPsS7_N6thrust23THRUST_200600_302600_NS10device_ptrIlEESB_jNS0_19identity_decomposerENS1_16block_id_wrapperIjLb1EEEEE10hipError_tT1_PNSt15iterator_traitsISG_E10value_typeET2_T3_PNSH_ISM_E10value_typeET4_T5_PSR_SS_PNS1_23onesweep_lookback_stateEbbT6_jjT7_P12ihipStream_tbENKUlT_T0_SG_SL_E_clIS7_S7_PlSB_EEDaSZ_S10_SG_SL_EUlSZ_E_NS1_11comp_targetILNS1_3genE9ELNS1_11target_archE1100ELNS1_3gpuE3ELNS1_3repE0EEENS1_47radix_sort_onesweep_sort_config_static_selectorELNS0_4arch9wavefront6targetE1EEEvSG_: ; @_ZN7rocprim17ROCPRIM_400000_NS6detail17trampoline_kernelINS0_14default_configENS1_35radix_sort_onesweep_config_selectorIslEEZZNS1_29radix_sort_onesweep_iterationIS3_Lb0EPsS7_N6thrust23THRUST_200600_302600_NS10device_ptrIlEESB_jNS0_19identity_decomposerENS1_16block_id_wrapperIjLb1EEEEE10hipError_tT1_PNSt15iterator_traitsISG_E10value_typeET2_T3_PNSH_ISM_E10value_typeET4_T5_PSR_SS_PNS1_23onesweep_lookback_stateEbbT6_jjT7_P12ihipStream_tbENKUlT_T0_SG_SL_E_clIS7_S7_PlSB_EEDaSZ_S10_SG_SL_EUlSZ_E_NS1_11comp_targetILNS1_3genE9ELNS1_11target_archE1100ELNS1_3gpuE3ELNS1_3repE0EEENS1_47radix_sort_onesweep_sort_config_static_selectorELNS0_4arch9wavefront6targetE1EEEvSG_
; %bb.0:
	.section	.rodata,"a",@progbits
	.p2align	6, 0x0
	.amdhsa_kernel _ZN7rocprim17ROCPRIM_400000_NS6detail17trampoline_kernelINS0_14default_configENS1_35radix_sort_onesweep_config_selectorIslEEZZNS1_29radix_sort_onesweep_iterationIS3_Lb0EPsS7_N6thrust23THRUST_200600_302600_NS10device_ptrIlEESB_jNS0_19identity_decomposerENS1_16block_id_wrapperIjLb1EEEEE10hipError_tT1_PNSt15iterator_traitsISG_E10value_typeET2_T3_PNSH_ISM_E10value_typeET4_T5_PSR_SS_PNS1_23onesweep_lookback_stateEbbT6_jjT7_P12ihipStream_tbENKUlT_T0_SG_SL_E_clIS7_S7_PlSB_EEDaSZ_S10_SG_SL_EUlSZ_E_NS1_11comp_targetILNS1_3genE9ELNS1_11target_archE1100ELNS1_3gpuE3ELNS1_3repE0EEENS1_47radix_sort_onesweep_sort_config_static_selectorELNS0_4arch9wavefront6targetE1EEEvSG_
		.amdhsa_group_segment_fixed_size 0
		.amdhsa_private_segment_fixed_size 0
		.amdhsa_kernarg_size 88
		.amdhsa_user_sgpr_count 6
		.amdhsa_user_sgpr_private_segment_buffer 1
		.amdhsa_user_sgpr_dispatch_ptr 0
		.amdhsa_user_sgpr_queue_ptr 0
		.amdhsa_user_sgpr_kernarg_segment_ptr 1
		.amdhsa_user_sgpr_dispatch_id 0
		.amdhsa_user_sgpr_flat_scratch_init 0
		.amdhsa_user_sgpr_kernarg_preload_length 0
		.amdhsa_user_sgpr_kernarg_preload_offset 0
		.amdhsa_user_sgpr_private_segment_size 0
		.amdhsa_uses_dynamic_stack 0
		.amdhsa_system_sgpr_private_segment_wavefront_offset 0
		.amdhsa_system_sgpr_workgroup_id_x 1
		.amdhsa_system_sgpr_workgroup_id_y 0
		.amdhsa_system_sgpr_workgroup_id_z 0
		.amdhsa_system_sgpr_workgroup_info 0
		.amdhsa_system_vgpr_workitem_id 0
		.amdhsa_next_free_vgpr 1
		.amdhsa_next_free_sgpr 0
		.amdhsa_accum_offset 4
		.amdhsa_reserve_vcc 0
		.amdhsa_reserve_flat_scratch 0
		.amdhsa_float_round_mode_32 0
		.amdhsa_float_round_mode_16_64 0
		.amdhsa_float_denorm_mode_32 3
		.amdhsa_float_denorm_mode_16_64 3
		.amdhsa_dx10_clamp 1
		.amdhsa_ieee_mode 1
		.amdhsa_fp16_overflow 0
		.amdhsa_tg_split 0
		.amdhsa_exception_fp_ieee_invalid_op 0
		.amdhsa_exception_fp_denorm_src 0
		.amdhsa_exception_fp_ieee_div_zero 0
		.amdhsa_exception_fp_ieee_overflow 0
		.amdhsa_exception_fp_ieee_underflow 0
		.amdhsa_exception_fp_ieee_inexact 0
		.amdhsa_exception_int_div_zero 0
	.end_amdhsa_kernel
	.section	.text._ZN7rocprim17ROCPRIM_400000_NS6detail17trampoline_kernelINS0_14default_configENS1_35radix_sort_onesweep_config_selectorIslEEZZNS1_29radix_sort_onesweep_iterationIS3_Lb0EPsS7_N6thrust23THRUST_200600_302600_NS10device_ptrIlEESB_jNS0_19identity_decomposerENS1_16block_id_wrapperIjLb1EEEEE10hipError_tT1_PNSt15iterator_traitsISG_E10value_typeET2_T3_PNSH_ISM_E10value_typeET4_T5_PSR_SS_PNS1_23onesweep_lookback_stateEbbT6_jjT7_P12ihipStream_tbENKUlT_T0_SG_SL_E_clIS7_S7_PlSB_EEDaSZ_S10_SG_SL_EUlSZ_E_NS1_11comp_targetILNS1_3genE9ELNS1_11target_archE1100ELNS1_3gpuE3ELNS1_3repE0EEENS1_47radix_sort_onesweep_sort_config_static_selectorELNS0_4arch9wavefront6targetE1EEEvSG_,"axG",@progbits,_ZN7rocprim17ROCPRIM_400000_NS6detail17trampoline_kernelINS0_14default_configENS1_35radix_sort_onesweep_config_selectorIslEEZZNS1_29radix_sort_onesweep_iterationIS3_Lb0EPsS7_N6thrust23THRUST_200600_302600_NS10device_ptrIlEESB_jNS0_19identity_decomposerENS1_16block_id_wrapperIjLb1EEEEE10hipError_tT1_PNSt15iterator_traitsISG_E10value_typeET2_T3_PNSH_ISM_E10value_typeET4_T5_PSR_SS_PNS1_23onesweep_lookback_stateEbbT6_jjT7_P12ihipStream_tbENKUlT_T0_SG_SL_E_clIS7_S7_PlSB_EEDaSZ_S10_SG_SL_EUlSZ_E_NS1_11comp_targetILNS1_3genE9ELNS1_11target_archE1100ELNS1_3gpuE3ELNS1_3repE0EEENS1_47radix_sort_onesweep_sort_config_static_selectorELNS0_4arch9wavefront6targetE1EEEvSG_,comdat
.Lfunc_end1423:
	.size	_ZN7rocprim17ROCPRIM_400000_NS6detail17trampoline_kernelINS0_14default_configENS1_35radix_sort_onesweep_config_selectorIslEEZZNS1_29radix_sort_onesweep_iterationIS3_Lb0EPsS7_N6thrust23THRUST_200600_302600_NS10device_ptrIlEESB_jNS0_19identity_decomposerENS1_16block_id_wrapperIjLb1EEEEE10hipError_tT1_PNSt15iterator_traitsISG_E10value_typeET2_T3_PNSH_ISM_E10value_typeET4_T5_PSR_SS_PNS1_23onesweep_lookback_stateEbbT6_jjT7_P12ihipStream_tbENKUlT_T0_SG_SL_E_clIS7_S7_PlSB_EEDaSZ_S10_SG_SL_EUlSZ_E_NS1_11comp_targetILNS1_3genE9ELNS1_11target_archE1100ELNS1_3gpuE3ELNS1_3repE0EEENS1_47radix_sort_onesweep_sort_config_static_selectorELNS0_4arch9wavefront6targetE1EEEvSG_, .Lfunc_end1423-_ZN7rocprim17ROCPRIM_400000_NS6detail17trampoline_kernelINS0_14default_configENS1_35radix_sort_onesweep_config_selectorIslEEZZNS1_29radix_sort_onesweep_iterationIS3_Lb0EPsS7_N6thrust23THRUST_200600_302600_NS10device_ptrIlEESB_jNS0_19identity_decomposerENS1_16block_id_wrapperIjLb1EEEEE10hipError_tT1_PNSt15iterator_traitsISG_E10value_typeET2_T3_PNSH_ISM_E10value_typeET4_T5_PSR_SS_PNS1_23onesweep_lookback_stateEbbT6_jjT7_P12ihipStream_tbENKUlT_T0_SG_SL_E_clIS7_S7_PlSB_EEDaSZ_S10_SG_SL_EUlSZ_E_NS1_11comp_targetILNS1_3genE9ELNS1_11target_archE1100ELNS1_3gpuE3ELNS1_3repE0EEENS1_47radix_sort_onesweep_sort_config_static_selectorELNS0_4arch9wavefront6targetE1EEEvSG_
                                        ; -- End function
	.section	.AMDGPU.csdata,"",@progbits
; Kernel info:
; codeLenInByte = 0
; NumSgprs: 4
; NumVgprs: 0
; NumAgprs: 0
; TotalNumVgprs: 0
; ScratchSize: 0
; MemoryBound: 0
; FloatMode: 240
; IeeeMode: 1
; LDSByteSize: 0 bytes/workgroup (compile time only)
; SGPRBlocks: 0
; VGPRBlocks: 0
; NumSGPRsForWavesPerEU: 4
; NumVGPRsForWavesPerEU: 1
; AccumOffset: 4
; Occupancy: 8
; WaveLimiterHint : 0
; COMPUTE_PGM_RSRC2:SCRATCH_EN: 0
; COMPUTE_PGM_RSRC2:USER_SGPR: 6
; COMPUTE_PGM_RSRC2:TRAP_HANDLER: 0
; COMPUTE_PGM_RSRC2:TGID_X_EN: 1
; COMPUTE_PGM_RSRC2:TGID_Y_EN: 0
; COMPUTE_PGM_RSRC2:TGID_Z_EN: 0
; COMPUTE_PGM_RSRC2:TIDIG_COMP_CNT: 0
; COMPUTE_PGM_RSRC3_GFX90A:ACCUM_OFFSET: 0
; COMPUTE_PGM_RSRC3_GFX90A:TG_SPLIT: 0
	.section	.text._ZN7rocprim17ROCPRIM_400000_NS6detail17trampoline_kernelINS0_14default_configENS1_35radix_sort_onesweep_config_selectorIslEEZZNS1_29radix_sort_onesweep_iterationIS3_Lb0EPsS7_N6thrust23THRUST_200600_302600_NS10device_ptrIlEESB_jNS0_19identity_decomposerENS1_16block_id_wrapperIjLb1EEEEE10hipError_tT1_PNSt15iterator_traitsISG_E10value_typeET2_T3_PNSH_ISM_E10value_typeET4_T5_PSR_SS_PNS1_23onesweep_lookback_stateEbbT6_jjT7_P12ihipStream_tbENKUlT_T0_SG_SL_E_clIS7_S7_PlSB_EEDaSZ_S10_SG_SL_EUlSZ_E_NS1_11comp_targetILNS1_3genE8ELNS1_11target_archE1030ELNS1_3gpuE2ELNS1_3repE0EEENS1_47radix_sort_onesweep_sort_config_static_selectorELNS0_4arch9wavefront6targetE1EEEvSG_,"axG",@progbits,_ZN7rocprim17ROCPRIM_400000_NS6detail17trampoline_kernelINS0_14default_configENS1_35radix_sort_onesweep_config_selectorIslEEZZNS1_29radix_sort_onesweep_iterationIS3_Lb0EPsS7_N6thrust23THRUST_200600_302600_NS10device_ptrIlEESB_jNS0_19identity_decomposerENS1_16block_id_wrapperIjLb1EEEEE10hipError_tT1_PNSt15iterator_traitsISG_E10value_typeET2_T3_PNSH_ISM_E10value_typeET4_T5_PSR_SS_PNS1_23onesweep_lookback_stateEbbT6_jjT7_P12ihipStream_tbENKUlT_T0_SG_SL_E_clIS7_S7_PlSB_EEDaSZ_S10_SG_SL_EUlSZ_E_NS1_11comp_targetILNS1_3genE8ELNS1_11target_archE1030ELNS1_3gpuE2ELNS1_3repE0EEENS1_47radix_sort_onesweep_sort_config_static_selectorELNS0_4arch9wavefront6targetE1EEEvSG_,comdat
	.protected	_ZN7rocprim17ROCPRIM_400000_NS6detail17trampoline_kernelINS0_14default_configENS1_35radix_sort_onesweep_config_selectorIslEEZZNS1_29radix_sort_onesweep_iterationIS3_Lb0EPsS7_N6thrust23THRUST_200600_302600_NS10device_ptrIlEESB_jNS0_19identity_decomposerENS1_16block_id_wrapperIjLb1EEEEE10hipError_tT1_PNSt15iterator_traitsISG_E10value_typeET2_T3_PNSH_ISM_E10value_typeET4_T5_PSR_SS_PNS1_23onesweep_lookback_stateEbbT6_jjT7_P12ihipStream_tbENKUlT_T0_SG_SL_E_clIS7_S7_PlSB_EEDaSZ_S10_SG_SL_EUlSZ_E_NS1_11comp_targetILNS1_3genE8ELNS1_11target_archE1030ELNS1_3gpuE2ELNS1_3repE0EEENS1_47radix_sort_onesweep_sort_config_static_selectorELNS0_4arch9wavefront6targetE1EEEvSG_ ; -- Begin function _ZN7rocprim17ROCPRIM_400000_NS6detail17trampoline_kernelINS0_14default_configENS1_35radix_sort_onesweep_config_selectorIslEEZZNS1_29radix_sort_onesweep_iterationIS3_Lb0EPsS7_N6thrust23THRUST_200600_302600_NS10device_ptrIlEESB_jNS0_19identity_decomposerENS1_16block_id_wrapperIjLb1EEEEE10hipError_tT1_PNSt15iterator_traitsISG_E10value_typeET2_T3_PNSH_ISM_E10value_typeET4_T5_PSR_SS_PNS1_23onesweep_lookback_stateEbbT6_jjT7_P12ihipStream_tbENKUlT_T0_SG_SL_E_clIS7_S7_PlSB_EEDaSZ_S10_SG_SL_EUlSZ_E_NS1_11comp_targetILNS1_3genE8ELNS1_11target_archE1030ELNS1_3gpuE2ELNS1_3repE0EEENS1_47radix_sort_onesweep_sort_config_static_selectorELNS0_4arch9wavefront6targetE1EEEvSG_
	.globl	_ZN7rocprim17ROCPRIM_400000_NS6detail17trampoline_kernelINS0_14default_configENS1_35radix_sort_onesweep_config_selectorIslEEZZNS1_29radix_sort_onesweep_iterationIS3_Lb0EPsS7_N6thrust23THRUST_200600_302600_NS10device_ptrIlEESB_jNS0_19identity_decomposerENS1_16block_id_wrapperIjLb1EEEEE10hipError_tT1_PNSt15iterator_traitsISG_E10value_typeET2_T3_PNSH_ISM_E10value_typeET4_T5_PSR_SS_PNS1_23onesweep_lookback_stateEbbT6_jjT7_P12ihipStream_tbENKUlT_T0_SG_SL_E_clIS7_S7_PlSB_EEDaSZ_S10_SG_SL_EUlSZ_E_NS1_11comp_targetILNS1_3genE8ELNS1_11target_archE1030ELNS1_3gpuE2ELNS1_3repE0EEENS1_47radix_sort_onesweep_sort_config_static_selectorELNS0_4arch9wavefront6targetE1EEEvSG_
	.p2align	8
	.type	_ZN7rocprim17ROCPRIM_400000_NS6detail17trampoline_kernelINS0_14default_configENS1_35radix_sort_onesweep_config_selectorIslEEZZNS1_29radix_sort_onesweep_iterationIS3_Lb0EPsS7_N6thrust23THRUST_200600_302600_NS10device_ptrIlEESB_jNS0_19identity_decomposerENS1_16block_id_wrapperIjLb1EEEEE10hipError_tT1_PNSt15iterator_traitsISG_E10value_typeET2_T3_PNSH_ISM_E10value_typeET4_T5_PSR_SS_PNS1_23onesweep_lookback_stateEbbT6_jjT7_P12ihipStream_tbENKUlT_T0_SG_SL_E_clIS7_S7_PlSB_EEDaSZ_S10_SG_SL_EUlSZ_E_NS1_11comp_targetILNS1_3genE8ELNS1_11target_archE1030ELNS1_3gpuE2ELNS1_3repE0EEENS1_47radix_sort_onesweep_sort_config_static_selectorELNS0_4arch9wavefront6targetE1EEEvSG_,@function
_ZN7rocprim17ROCPRIM_400000_NS6detail17trampoline_kernelINS0_14default_configENS1_35radix_sort_onesweep_config_selectorIslEEZZNS1_29radix_sort_onesweep_iterationIS3_Lb0EPsS7_N6thrust23THRUST_200600_302600_NS10device_ptrIlEESB_jNS0_19identity_decomposerENS1_16block_id_wrapperIjLb1EEEEE10hipError_tT1_PNSt15iterator_traitsISG_E10value_typeET2_T3_PNSH_ISM_E10value_typeET4_T5_PSR_SS_PNS1_23onesweep_lookback_stateEbbT6_jjT7_P12ihipStream_tbENKUlT_T0_SG_SL_E_clIS7_S7_PlSB_EEDaSZ_S10_SG_SL_EUlSZ_E_NS1_11comp_targetILNS1_3genE8ELNS1_11target_archE1030ELNS1_3gpuE2ELNS1_3repE0EEENS1_47radix_sort_onesweep_sort_config_static_selectorELNS0_4arch9wavefront6targetE1EEEvSG_: ; @_ZN7rocprim17ROCPRIM_400000_NS6detail17trampoline_kernelINS0_14default_configENS1_35radix_sort_onesweep_config_selectorIslEEZZNS1_29radix_sort_onesweep_iterationIS3_Lb0EPsS7_N6thrust23THRUST_200600_302600_NS10device_ptrIlEESB_jNS0_19identity_decomposerENS1_16block_id_wrapperIjLb1EEEEE10hipError_tT1_PNSt15iterator_traitsISG_E10value_typeET2_T3_PNSH_ISM_E10value_typeET4_T5_PSR_SS_PNS1_23onesweep_lookback_stateEbbT6_jjT7_P12ihipStream_tbENKUlT_T0_SG_SL_E_clIS7_S7_PlSB_EEDaSZ_S10_SG_SL_EUlSZ_E_NS1_11comp_targetILNS1_3genE8ELNS1_11target_archE1030ELNS1_3gpuE2ELNS1_3repE0EEENS1_47radix_sort_onesweep_sort_config_static_selectorELNS0_4arch9wavefront6targetE1EEEvSG_
; %bb.0:
	.section	.rodata,"a",@progbits
	.p2align	6, 0x0
	.amdhsa_kernel _ZN7rocprim17ROCPRIM_400000_NS6detail17trampoline_kernelINS0_14default_configENS1_35radix_sort_onesweep_config_selectorIslEEZZNS1_29radix_sort_onesweep_iterationIS3_Lb0EPsS7_N6thrust23THRUST_200600_302600_NS10device_ptrIlEESB_jNS0_19identity_decomposerENS1_16block_id_wrapperIjLb1EEEEE10hipError_tT1_PNSt15iterator_traitsISG_E10value_typeET2_T3_PNSH_ISM_E10value_typeET4_T5_PSR_SS_PNS1_23onesweep_lookback_stateEbbT6_jjT7_P12ihipStream_tbENKUlT_T0_SG_SL_E_clIS7_S7_PlSB_EEDaSZ_S10_SG_SL_EUlSZ_E_NS1_11comp_targetILNS1_3genE8ELNS1_11target_archE1030ELNS1_3gpuE2ELNS1_3repE0EEENS1_47radix_sort_onesweep_sort_config_static_selectorELNS0_4arch9wavefront6targetE1EEEvSG_
		.amdhsa_group_segment_fixed_size 0
		.amdhsa_private_segment_fixed_size 0
		.amdhsa_kernarg_size 88
		.amdhsa_user_sgpr_count 6
		.amdhsa_user_sgpr_private_segment_buffer 1
		.amdhsa_user_sgpr_dispatch_ptr 0
		.amdhsa_user_sgpr_queue_ptr 0
		.amdhsa_user_sgpr_kernarg_segment_ptr 1
		.amdhsa_user_sgpr_dispatch_id 0
		.amdhsa_user_sgpr_flat_scratch_init 0
		.amdhsa_user_sgpr_kernarg_preload_length 0
		.amdhsa_user_sgpr_kernarg_preload_offset 0
		.amdhsa_user_sgpr_private_segment_size 0
		.amdhsa_uses_dynamic_stack 0
		.amdhsa_system_sgpr_private_segment_wavefront_offset 0
		.amdhsa_system_sgpr_workgroup_id_x 1
		.amdhsa_system_sgpr_workgroup_id_y 0
		.amdhsa_system_sgpr_workgroup_id_z 0
		.amdhsa_system_sgpr_workgroup_info 0
		.amdhsa_system_vgpr_workitem_id 0
		.amdhsa_next_free_vgpr 1
		.amdhsa_next_free_sgpr 0
		.amdhsa_accum_offset 4
		.amdhsa_reserve_vcc 0
		.amdhsa_reserve_flat_scratch 0
		.amdhsa_float_round_mode_32 0
		.amdhsa_float_round_mode_16_64 0
		.amdhsa_float_denorm_mode_32 3
		.amdhsa_float_denorm_mode_16_64 3
		.amdhsa_dx10_clamp 1
		.amdhsa_ieee_mode 1
		.amdhsa_fp16_overflow 0
		.amdhsa_tg_split 0
		.amdhsa_exception_fp_ieee_invalid_op 0
		.amdhsa_exception_fp_denorm_src 0
		.amdhsa_exception_fp_ieee_div_zero 0
		.amdhsa_exception_fp_ieee_overflow 0
		.amdhsa_exception_fp_ieee_underflow 0
		.amdhsa_exception_fp_ieee_inexact 0
		.amdhsa_exception_int_div_zero 0
	.end_amdhsa_kernel
	.section	.text._ZN7rocprim17ROCPRIM_400000_NS6detail17trampoline_kernelINS0_14default_configENS1_35radix_sort_onesweep_config_selectorIslEEZZNS1_29radix_sort_onesweep_iterationIS3_Lb0EPsS7_N6thrust23THRUST_200600_302600_NS10device_ptrIlEESB_jNS0_19identity_decomposerENS1_16block_id_wrapperIjLb1EEEEE10hipError_tT1_PNSt15iterator_traitsISG_E10value_typeET2_T3_PNSH_ISM_E10value_typeET4_T5_PSR_SS_PNS1_23onesweep_lookback_stateEbbT6_jjT7_P12ihipStream_tbENKUlT_T0_SG_SL_E_clIS7_S7_PlSB_EEDaSZ_S10_SG_SL_EUlSZ_E_NS1_11comp_targetILNS1_3genE8ELNS1_11target_archE1030ELNS1_3gpuE2ELNS1_3repE0EEENS1_47radix_sort_onesweep_sort_config_static_selectorELNS0_4arch9wavefront6targetE1EEEvSG_,"axG",@progbits,_ZN7rocprim17ROCPRIM_400000_NS6detail17trampoline_kernelINS0_14default_configENS1_35radix_sort_onesweep_config_selectorIslEEZZNS1_29radix_sort_onesweep_iterationIS3_Lb0EPsS7_N6thrust23THRUST_200600_302600_NS10device_ptrIlEESB_jNS0_19identity_decomposerENS1_16block_id_wrapperIjLb1EEEEE10hipError_tT1_PNSt15iterator_traitsISG_E10value_typeET2_T3_PNSH_ISM_E10value_typeET4_T5_PSR_SS_PNS1_23onesweep_lookback_stateEbbT6_jjT7_P12ihipStream_tbENKUlT_T0_SG_SL_E_clIS7_S7_PlSB_EEDaSZ_S10_SG_SL_EUlSZ_E_NS1_11comp_targetILNS1_3genE8ELNS1_11target_archE1030ELNS1_3gpuE2ELNS1_3repE0EEENS1_47radix_sort_onesweep_sort_config_static_selectorELNS0_4arch9wavefront6targetE1EEEvSG_,comdat
.Lfunc_end1424:
	.size	_ZN7rocprim17ROCPRIM_400000_NS6detail17trampoline_kernelINS0_14default_configENS1_35radix_sort_onesweep_config_selectorIslEEZZNS1_29radix_sort_onesweep_iterationIS3_Lb0EPsS7_N6thrust23THRUST_200600_302600_NS10device_ptrIlEESB_jNS0_19identity_decomposerENS1_16block_id_wrapperIjLb1EEEEE10hipError_tT1_PNSt15iterator_traitsISG_E10value_typeET2_T3_PNSH_ISM_E10value_typeET4_T5_PSR_SS_PNS1_23onesweep_lookback_stateEbbT6_jjT7_P12ihipStream_tbENKUlT_T0_SG_SL_E_clIS7_S7_PlSB_EEDaSZ_S10_SG_SL_EUlSZ_E_NS1_11comp_targetILNS1_3genE8ELNS1_11target_archE1030ELNS1_3gpuE2ELNS1_3repE0EEENS1_47radix_sort_onesweep_sort_config_static_selectorELNS0_4arch9wavefront6targetE1EEEvSG_, .Lfunc_end1424-_ZN7rocprim17ROCPRIM_400000_NS6detail17trampoline_kernelINS0_14default_configENS1_35radix_sort_onesweep_config_selectorIslEEZZNS1_29radix_sort_onesweep_iterationIS3_Lb0EPsS7_N6thrust23THRUST_200600_302600_NS10device_ptrIlEESB_jNS0_19identity_decomposerENS1_16block_id_wrapperIjLb1EEEEE10hipError_tT1_PNSt15iterator_traitsISG_E10value_typeET2_T3_PNSH_ISM_E10value_typeET4_T5_PSR_SS_PNS1_23onesweep_lookback_stateEbbT6_jjT7_P12ihipStream_tbENKUlT_T0_SG_SL_E_clIS7_S7_PlSB_EEDaSZ_S10_SG_SL_EUlSZ_E_NS1_11comp_targetILNS1_3genE8ELNS1_11target_archE1030ELNS1_3gpuE2ELNS1_3repE0EEENS1_47radix_sort_onesweep_sort_config_static_selectorELNS0_4arch9wavefront6targetE1EEEvSG_
                                        ; -- End function
	.section	.AMDGPU.csdata,"",@progbits
; Kernel info:
; codeLenInByte = 0
; NumSgprs: 4
; NumVgprs: 0
; NumAgprs: 0
; TotalNumVgprs: 0
; ScratchSize: 0
; MemoryBound: 0
; FloatMode: 240
; IeeeMode: 1
; LDSByteSize: 0 bytes/workgroup (compile time only)
; SGPRBlocks: 0
; VGPRBlocks: 0
; NumSGPRsForWavesPerEU: 4
; NumVGPRsForWavesPerEU: 1
; AccumOffset: 4
; Occupancy: 8
; WaveLimiterHint : 0
; COMPUTE_PGM_RSRC2:SCRATCH_EN: 0
; COMPUTE_PGM_RSRC2:USER_SGPR: 6
; COMPUTE_PGM_RSRC2:TRAP_HANDLER: 0
; COMPUTE_PGM_RSRC2:TGID_X_EN: 1
; COMPUTE_PGM_RSRC2:TGID_Y_EN: 0
; COMPUTE_PGM_RSRC2:TGID_Z_EN: 0
; COMPUTE_PGM_RSRC2:TIDIG_COMP_CNT: 0
; COMPUTE_PGM_RSRC3_GFX90A:ACCUM_OFFSET: 0
; COMPUTE_PGM_RSRC3_GFX90A:TG_SPLIT: 0
	.section	.text._ZN7rocprim17ROCPRIM_400000_NS6detail17trampoline_kernelINS0_14default_configENS1_35radix_sort_onesweep_config_selectorIslEEZZNS1_29radix_sort_onesweep_iterationIS3_Lb0EPsS7_N6thrust23THRUST_200600_302600_NS10device_ptrIlEESB_jNS0_19identity_decomposerENS1_16block_id_wrapperIjLb0EEEEE10hipError_tT1_PNSt15iterator_traitsISG_E10value_typeET2_T3_PNSH_ISM_E10value_typeET4_T5_PSR_SS_PNS1_23onesweep_lookback_stateEbbT6_jjT7_P12ihipStream_tbENKUlT_T0_SG_SL_E_clIS7_S7_SB_SB_EEDaSZ_S10_SG_SL_EUlSZ_E_NS1_11comp_targetILNS1_3genE0ELNS1_11target_archE4294967295ELNS1_3gpuE0ELNS1_3repE0EEENS1_47radix_sort_onesweep_sort_config_static_selectorELNS0_4arch9wavefront6targetE1EEEvSG_,"axG",@progbits,_ZN7rocprim17ROCPRIM_400000_NS6detail17trampoline_kernelINS0_14default_configENS1_35radix_sort_onesweep_config_selectorIslEEZZNS1_29radix_sort_onesweep_iterationIS3_Lb0EPsS7_N6thrust23THRUST_200600_302600_NS10device_ptrIlEESB_jNS0_19identity_decomposerENS1_16block_id_wrapperIjLb0EEEEE10hipError_tT1_PNSt15iterator_traitsISG_E10value_typeET2_T3_PNSH_ISM_E10value_typeET4_T5_PSR_SS_PNS1_23onesweep_lookback_stateEbbT6_jjT7_P12ihipStream_tbENKUlT_T0_SG_SL_E_clIS7_S7_SB_SB_EEDaSZ_S10_SG_SL_EUlSZ_E_NS1_11comp_targetILNS1_3genE0ELNS1_11target_archE4294967295ELNS1_3gpuE0ELNS1_3repE0EEENS1_47radix_sort_onesweep_sort_config_static_selectorELNS0_4arch9wavefront6targetE1EEEvSG_,comdat
	.protected	_ZN7rocprim17ROCPRIM_400000_NS6detail17trampoline_kernelINS0_14default_configENS1_35radix_sort_onesweep_config_selectorIslEEZZNS1_29radix_sort_onesweep_iterationIS3_Lb0EPsS7_N6thrust23THRUST_200600_302600_NS10device_ptrIlEESB_jNS0_19identity_decomposerENS1_16block_id_wrapperIjLb0EEEEE10hipError_tT1_PNSt15iterator_traitsISG_E10value_typeET2_T3_PNSH_ISM_E10value_typeET4_T5_PSR_SS_PNS1_23onesweep_lookback_stateEbbT6_jjT7_P12ihipStream_tbENKUlT_T0_SG_SL_E_clIS7_S7_SB_SB_EEDaSZ_S10_SG_SL_EUlSZ_E_NS1_11comp_targetILNS1_3genE0ELNS1_11target_archE4294967295ELNS1_3gpuE0ELNS1_3repE0EEENS1_47radix_sort_onesweep_sort_config_static_selectorELNS0_4arch9wavefront6targetE1EEEvSG_ ; -- Begin function _ZN7rocprim17ROCPRIM_400000_NS6detail17trampoline_kernelINS0_14default_configENS1_35radix_sort_onesweep_config_selectorIslEEZZNS1_29radix_sort_onesweep_iterationIS3_Lb0EPsS7_N6thrust23THRUST_200600_302600_NS10device_ptrIlEESB_jNS0_19identity_decomposerENS1_16block_id_wrapperIjLb0EEEEE10hipError_tT1_PNSt15iterator_traitsISG_E10value_typeET2_T3_PNSH_ISM_E10value_typeET4_T5_PSR_SS_PNS1_23onesweep_lookback_stateEbbT6_jjT7_P12ihipStream_tbENKUlT_T0_SG_SL_E_clIS7_S7_SB_SB_EEDaSZ_S10_SG_SL_EUlSZ_E_NS1_11comp_targetILNS1_3genE0ELNS1_11target_archE4294967295ELNS1_3gpuE0ELNS1_3repE0EEENS1_47radix_sort_onesweep_sort_config_static_selectorELNS0_4arch9wavefront6targetE1EEEvSG_
	.globl	_ZN7rocprim17ROCPRIM_400000_NS6detail17trampoline_kernelINS0_14default_configENS1_35radix_sort_onesweep_config_selectorIslEEZZNS1_29radix_sort_onesweep_iterationIS3_Lb0EPsS7_N6thrust23THRUST_200600_302600_NS10device_ptrIlEESB_jNS0_19identity_decomposerENS1_16block_id_wrapperIjLb0EEEEE10hipError_tT1_PNSt15iterator_traitsISG_E10value_typeET2_T3_PNSH_ISM_E10value_typeET4_T5_PSR_SS_PNS1_23onesweep_lookback_stateEbbT6_jjT7_P12ihipStream_tbENKUlT_T0_SG_SL_E_clIS7_S7_SB_SB_EEDaSZ_S10_SG_SL_EUlSZ_E_NS1_11comp_targetILNS1_3genE0ELNS1_11target_archE4294967295ELNS1_3gpuE0ELNS1_3repE0EEENS1_47radix_sort_onesweep_sort_config_static_selectorELNS0_4arch9wavefront6targetE1EEEvSG_
	.p2align	8
	.type	_ZN7rocprim17ROCPRIM_400000_NS6detail17trampoline_kernelINS0_14default_configENS1_35radix_sort_onesweep_config_selectorIslEEZZNS1_29radix_sort_onesweep_iterationIS3_Lb0EPsS7_N6thrust23THRUST_200600_302600_NS10device_ptrIlEESB_jNS0_19identity_decomposerENS1_16block_id_wrapperIjLb0EEEEE10hipError_tT1_PNSt15iterator_traitsISG_E10value_typeET2_T3_PNSH_ISM_E10value_typeET4_T5_PSR_SS_PNS1_23onesweep_lookback_stateEbbT6_jjT7_P12ihipStream_tbENKUlT_T0_SG_SL_E_clIS7_S7_SB_SB_EEDaSZ_S10_SG_SL_EUlSZ_E_NS1_11comp_targetILNS1_3genE0ELNS1_11target_archE4294967295ELNS1_3gpuE0ELNS1_3repE0EEENS1_47radix_sort_onesweep_sort_config_static_selectorELNS0_4arch9wavefront6targetE1EEEvSG_,@function
_ZN7rocprim17ROCPRIM_400000_NS6detail17trampoline_kernelINS0_14default_configENS1_35radix_sort_onesweep_config_selectorIslEEZZNS1_29radix_sort_onesweep_iterationIS3_Lb0EPsS7_N6thrust23THRUST_200600_302600_NS10device_ptrIlEESB_jNS0_19identity_decomposerENS1_16block_id_wrapperIjLb0EEEEE10hipError_tT1_PNSt15iterator_traitsISG_E10value_typeET2_T3_PNSH_ISM_E10value_typeET4_T5_PSR_SS_PNS1_23onesweep_lookback_stateEbbT6_jjT7_P12ihipStream_tbENKUlT_T0_SG_SL_E_clIS7_S7_SB_SB_EEDaSZ_S10_SG_SL_EUlSZ_E_NS1_11comp_targetILNS1_3genE0ELNS1_11target_archE4294967295ELNS1_3gpuE0ELNS1_3repE0EEENS1_47radix_sort_onesweep_sort_config_static_selectorELNS0_4arch9wavefront6targetE1EEEvSG_: ; @_ZN7rocprim17ROCPRIM_400000_NS6detail17trampoline_kernelINS0_14default_configENS1_35radix_sort_onesweep_config_selectorIslEEZZNS1_29radix_sort_onesweep_iterationIS3_Lb0EPsS7_N6thrust23THRUST_200600_302600_NS10device_ptrIlEESB_jNS0_19identity_decomposerENS1_16block_id_wrapperIjLb0EEEEE10hipError_tT1_PNSt15iterator_traitsISG_E10value_typeET2_T3_PNSH_ISM_E10value_typeET4_T5_PSR_SS_PNS1_23onesweep_lookback_stateEbbT6_jjT7_P12ihipStream_tbENKUlT_T0_SG_SL_E_clIS7_S7_SB_SB_EEDaSZ_S10_SG_SL_EUlSZ_E_NS1_11comp_targetILNS1_3genE0ELNS1_11target_archE4294967295ELNS1_3gpuE0ELNS1_3repE0EEENS1_47radix_sort_onesweep_sort_config_static_selectorELNS0_4arch9wavefront6targetE1EEEvSG_
; %bb.0:
	.section	.rodata,"a",@progbits
	.p2align	6, 0x0
	.amdhsa_kernel _ZN7rocprim17ROCPRIM_400000_NS6detail17trampoline_kernelINS0_14default_configENS1_35radix_sort_onesweep_config_selectorIslEEZZNS1_29radix_sort_onesweep_iterationIS3_Lb0EPsS7_N6thrust23THRUST_200600_302600_NS10device_ptrIlEESB_jNS0_19identity_decomposerENS1_16block_id_wrapperIjLb0EEEEE10hipError_tT1_PNSt15iterator_traitsISG_E10value_typeET2_T3_PNSH_ISM_E10value_typeET4_T5_PSR_SS_PNS1_23onesweep_lookback_stateEbbT6_jjT7_P12ihipStream_tbENKUlT_T0_SG_SL_E_clIS7_S7_SB_SB_EEDaSZ_S10_SG_SL_EUlSZ_E_NS1_11comp_targetILNS1_3genE0ELNS1_11target_archE4294967295ELNS1_3gpuE0ELNS1_3repE0EEENS1_47radix_sort_onesweep_sort_config_static_selectorELNS0_4arch9wavefront6targetE1EEEvSG_
		.amdhsa_group_segment_fixed_size 0
		.amdhsa_private_segment_fixed_size 0
		.amdhsa_kernarg_size 88
		.amdhsa_user_sgpr_count 6
		.amdhsa_user_sgpr_private_segment_buffer 1
		.amdhsa_user_sgpr_dispatch_ptr 0
		.amdhsa_user_sgpr_queue_ptr 0
		.amdhsa_user_sgpr_kernarg_segment_ptr 1
		.amdhsa_user_sgpr_dispatch_id 0
		.amdhsa_user_sgpr_flat_scratch_init 0
		.amdhsa_user_sgpr_kernarg_preload_length 0
		.amdhsa_user_sgpr_kernarg_preload_offset 0
		.amdhsa_user_sgpr_private_segment_size 0
		.amdhsa_uses_dynamic_stack 0
		.amdhsa_system_sgpr_private_segment_wavefront_offset 0
		.amdhsa_system_sgpr_workgroup_id_x 1
		.amdhsa_system_sgpr_workgroup_id_y 0
		.amdhsa_system_sgpr_workgroup_id_z 0
		.amdhsa_system_sgpr_workgroup_info 0
		.amdhsa_system_vgpr_workitem_id 0
		.amdhsa_next_free_vgpr 1
		.amdhsa_next_free_sgpr 0
		.amdhsa_accum_offset 4
		.amdhsa_reserve_vcc 0
		.amdhsa_reserve_flat_scratch 0
		.amdhsa_float_round_mode_32 0
		.amdhsa_float_round_mode_16_64 0
		.amdhsa_float_denorm_mode_32 3
		.amdhsa_float_denorm_mode_16_64 3
		.amdhsa_dx10_clamp 1
		.amdhsa_ieee_mode 1
		.amdhsa_fp16_overflow 0
		.amdhsa_tg_split 0
		.amdhsa_exception_fp_ieee_invalid_op 0
		.amdhsa_exception_fp_denorm_src 0
		.amdhsa_exception_fp_ieee_div_zero 0
		.amdhsa_exception_fp_ieee_overflow 0
		.amdhsa_exception_fp_ieee_underflow 0
		.amdhsa_exception_fp_ieee_inexact 0
		.amdhsa_exception_int_div_zero 0
	.end_amdhsa_kernel
	.section	.text._ZN7rocprim17ROCPRIM_400000_NS6detail17trampoline_kernelINS0_14default_configENS1_35radix_sort_onesweep_config_selectorIslEEZZNS1_29radix_sort_onesweep_iterationIS3_Lb0EPsS7_N6thrust23THRUST_200600_302600_NS10device_ptrIlEESB_jNS0_19identity_decomposerENS1_16block_id_wrapperIjLb0EEEEE10hipError_tT1_PNSt15iterator_traitsISG_E10value_typeET2_T3_PNSH_ISM_E10value_typeET4_T5_PSR_SS_PNS1_23onesweep_lookback_stateEbbT6_jjT7_P12ihipStream_tbENKUlT_T0_SG_SL_E_clIS7_S7_SB_SB_EEDaSZ_S10_SG_SL_EUlSZ_E_NS1_11comp_targetILNS1_3genE0ELNS1_11target_archE4294967295ELNS1_3gpuE0ELNS1_3repE0EEENS1_47radix_sort_onesweep_sort_config_static_selectorELNS0_4arch9wavefront6targetE1EEEvSG_,"axG",@progbits,_ZN7rocprim17ROCPRIM_400000_NS6detail17trampoline_kernelINS0_14default_configENS1_35radix_sort_onesweep_config_selectorIslEEZZNS1_29radix_sort_onesweep_iterationIS3_Lb0EPsS7_N6thrust23THRUST_200600_302600_NS10device_ptrIlEESB_jNS0_19identity_decomposerENS1_16block_id_wrapperIjLb0EEEEE10hipError_tT1_PNSt15iterator_traitsISG_E10value_typeET2_T3_PNSH_ISM_E10value_typeET4_T5_PSR_SS_PNS1_23onesweep_lookback_stateEbbT6_jjT7_P12ihipStream_tbENKUlT_T0_SG_SL_E_clIS7_S7_SB_SB_EEDaSZ_S10_SG_SL_EUlSZ_E_NS1_11comp_targetILNS1_3genE0ELNS1_11target_archE4294967295ELNS1_3gpuE0ELNS1_3repE0EEENS1_47radix_sort_onesweep_sort_config_static_selectorELNS0_4arch9wavefront6targetE1EEEvSG_,comdat
.Lfunc_end1425:
	.size	_ZN7rocprim17ROCPRIM_400000_NS6detail17trampoline_kernelINS0_14default_configENS1_35radix_sort_onesweep_config_selectorIslEEZZNS1_29radix_sort_onesweep_iterationIS3_Lb0EPsS7_N6thrust23THRUST_200600_302600_NS10device_ptrIlEESB_jNS0_19identity_decomposerENS1_16block_id_wrapperIjLb0EEEEE10hipError_tT1_PNSt15iterator_traitsISG_E10value_typeET2_T3_PNSH_ISM_E10value_typeET4_T5_PSR_SS_PNS1_23onesweep_lookback_stateEbbT6_jjT7_P12ihipStream_tbENKUlT_T0_SG_SL_E_clIS7_S7_SB_SB_EEDaSZ_S10_SG_SL_EUlSZ_E_NS1_11comp_targetILNS1_3genE0ELNS1_11target_archE4294967295ELNS1_3gpuE0ELNS1_3repE0EEENS1_47radix_sort_onesweep_sort_config_static_selectorELNS0_4arch9wavefront6targetE1EEEvSG_, .Lfunc_end1425-_ZN7rocprim17ROCPRIM_400000_NS6detail17trampoline_kernelINS0_14default_configENS1_35radix_sort_onesweep_config_selectorIslEEZZNS1_29radix_sort_onesweep_iterationIS3_Lb0EPsS7_N6thrust23THRUST_200600_302600_NS10device_ptrIlEESB_jNS0_19identity_decomposerENS1_16block_id_wrapperIjLb0EEEEE10hipError_tT1_PNSt15iterator_traitsISG_E10value_typeET2_T3_PNSH_ISM_E10value_typeET4_T5_PSR_SS_PNS1_23onesweep_lookback_stateEbbT6_jjT7_P12ihipStream_tbENKUlT_T0_SG_SL_E_clIS7_S7_SB_SB_EEDaSZ_S10_SG_SL_EUlSZ_E_NS1_11comp_targetILNS1_3genE0ELNS1_11target_archE4294967295ELNS1_3gpuE0ELNS1_3repE0EEENS1_47radix_sort_onesweep_sort_config_static_selectorELNS0_4arch9wavefront6targetE1EEEvSG_
                                        ; -- End function
	.section	.AMDGPU.csdata,"",@progbits
; Kernel info:
; codeLenInByte = 0
; NumSgprs: 4
; NumVgprs: 0
; NumAgprs: 0
; TotalNumVgprs: 0
; ScratchSize: 0
; MemoryBound: 0
; FloatMode: 240
; IeeeMode: 1
; LDSByteSize: 0 bytes/workgroup (compile time only)
; SGPRBlocks: 0
; VGPRBlocks: 0
; NumSGPRsForWavesPerEU: 4
; NumVGPRsForWavesPerEU: 1
; AccumOffset: 4
; Occupancy: 8
; WaveLimiterHint : 0
; COMPUTE_PGM_RSRC2:SCRATCH_EN: 0
; COMPUTE_PGM_RSRC2:USER_SGPR: 6
; COMPUTE_PGM_RSRC2:TRAP_HANDLER: 0
; COMPUTE_PGM_RSRC2:TGID_X_EN: 1
; COMPUTE_PGM_RSRC2:TGID_Y_EN: 0
; COMPUTE_PGM_RSRC2:TGID_Z_EN: 0
; COMPUTE_PGM_RSRC2:TIDIG_COMP_CNT: 0
; COMPUTE_PGM_RSRC3_GFX90A:ACCUM_OFFSET: 0
; COMPUTE_PGM_RSRC3_GFX90A:TG_SPLIT: 0
	.section	.text._ZN7rocprim17ROCPRIM_400000_NS6detail17trampoline_kernelINS0_14default_configENS1_35radix_sort_onesweep_config_selectorIslEEZZNS1_29radix_sort_onesweep_iterationIS3_Lb0EPsS7_N6thrust23THRUST_200600_302600_NS10device_ptrIlEESB_jNS0_19identity_decomposerENS1_16block_id_wrapperIjLb0EEEEE10hipError_tT1_PNSt15iterator_traitsISG_E10value_typeET2_T3_PNSH_ISM_E10value_typeET4_T5_PSR_SS_PNS1_23onesweep_lookback_stateEbbT6_jjT7_P12ihipStream_tbENKUlT_T0_SG_SL_E_clIS7_S7_SB_SB_EEDaSZ_S10_SG_SL_EUlSZ_E_NS1_11comp_targetILNS1_3genE6ELNS1_11target_archE950ELNS1_3gpuE13ELNS1_3repE0EEENS1_47radix_sort_onesweep_sort_config_static_selectorELNS0_4arch9wavefront6targetE1EEEvSG_,"axG",@progbits,_ZN7rocprim17ROCPRIM_400000_NS6detail17trampoline_kernelINS0_14default_configENS1_35radix_sort_onesweep_config_selectorIslEEZZNS1_29radix_sort_onesweep_iterationIS3_Lb0EPsS7_N6thrust23THRUST_200600_302600_NS10device_ptrIlEESB_jNS0_19identity_decomposerENS1_16block_id_wrapperIjLb0EEEEE10hipError_tT1_PNSt15iterator_traitsISG_E10value_typeET2_T3_PNSH_ISM_E10value_typeET4_T5_PSR_SS_PNS1_23onesweep_lookback_stateEbbT6_jjT7_P12ihipStream_tbENKUlT_T0_SG_SL_E_clIS7_S7_SB_SB_EEDaSZ_S10_SG_SL_EUlSZ_E_NS1_11comp_targetILNS1_3genE6ELNS1_11target_archE950ELNS1_3gpuE13ELNS1_3repE0EEENS1_47radix_sort_onesweep_sort_config_static_selectorELNS0_4arch9wavefront6targetE1EEEvSG_,comdat
	.protected	_ZN7rocprim17ROCPRIM_400000_NS6detail17trampoline_kernelINS0_14default_configENS1_35radix_sort_onesweep_config_selectorIslEEZZNS1_29radix_sort_onesweep_iterationIS3_Lb0EPsS7_N6thrust23THRUST_200600_302600_NS10device_ptrIlEESB_jNS0_19identity_decomposerENS1_16block_id_wrapperIjLb0EEEEE10hipError_tT1_PNSt15iterator_traitsISG_E10value_typeET2_T3_PNSH_ISM_E10value_typeET4_T5_PSR_SS_PNS1_23onesweep_lookback_stateEbbT6_jjT7_P12ihipStream_tbENKUlT_T0_SG_SL_E_clIS7_S7_SB_SB_EEDaSZ_S10_SG_SL_EUlSZ_E_NS1_11comp_targetILNS1_3genE6ELNS1_11target_archE950ELNS1_3gpuE13ELNS1_3repE0EEENS1_47radix_sort_onesweep_sort_config_static_selectorELNS0_4arch9wavefront6targetE1EEEvSG_ ; -- Begin function _ZN7rocprim17ROCPRIM_400000_NS6detail17trampoline_kernelINS0_14default_configENS1_35radix_sort_onesweep_config_selectorIslEEZZNS1_29radix_sort_onesweep_iterationIS3_Lb0EPsS7_N6thrust23THRUST_200600_302600_NS10device_ptrIlEESB_jNS0_19identity_decomposerENS1_16block_id_wrapperIjLb0EEEEE10hipError_tT1_PNSt15iterator_traitsISG_E10value_typeET2_T3_PNSH_ISM_E10value_typeET4_T5_PSR_SS_PNS1_23onesweep_lookback_stateEbbT6_jjT7_P12ihipStream_tbENKUlT_T0_SG_SL_E_clIS7_S7_SB_SB_EEDaSZ_S10_SG_SL_EUlSZ_E_NS1_11comp_targetILNS1_3genE6ELNS1_11target_archE950ELNS1_3gpuE13ELNS1_3repE0EEENS1_47radix_sort_onesweep_sort_config_static_selectorELNS0_4arch9wavefront6targetE1EEEvSG_
	.globl	_ZN7rocprim17ROCPRIM_400000_NS6detail17trampoline_kernelINS0_14default_configENS1_35radix_sort_onesweep_config_selectorIslEEZZNS1_29radix_sort_onesweep_iterationIS3_Lb0EPsS7_N6thrust23THRUST_200600_302600_NS10device_ptrIlEESB_jNS0_19identity_decomposerENS1_16block_id_wrapperIjLb0EEEEE10hipError_tT1_PNSt15iterator_traitsISG_E10value_typeET2_T3_PNSH_ISM_E10value_typeET4_T5_PSR_SS_PNS1_23onesweep_lookback_stateEbbT6_jjT7_P12ihipStream_tbENKUlT_T0_SG_SL_E_clIS7_S7_SB_SB_EEDaSZ_S10_SG_SL_EUlSZ_E_NS1_11comp_targetILNS1_3genE6ELNS1_11target_archE950ELNS1_3gpuE13ELNS1_3repE0EEENS1_47radix_sort_onesweep_sort_config_static_selectorELNS0_4arch9wavefront6targetE1EEEvSG_
	.p2align	8
	.type	_ZN7rocprim17ROCPRIM_400000_NS6detail17trampoline_kernelINS0_14default_configENS1_35radix_sort_onesweep_config_selectorIslEEZZNS1_29radix_sort_onesweep_iterationIS3_Lb0EPsS7_N6thrust23THRUST_200600_302600_NS10device_ptrIlEESB_jNS0_19identity_decomposerENS1_16block_id_wrapperIjLb0EEEEE10hipError_tT1_PNSt15iterator_traitsISG_E10value_typeET2_T3_PNSH_ISM_E10value_typeET4_T5_PSR_SS_PNS1_23onesweep_lookback_stateEbbT6_jjT7_P12ihipStream_tbENKUlT_T0_SG_SL_E_clIS7_S7_SB_SB_EEDaSZ_S10_SG_SL_EUlSZ_E_NS1_11comp_targetILNS1_3genE6ELNS1_11target_archE950ELNS1_3gpuE13ELNS1_3repE0EEENS1_47radix_sort_onesweep_sort_config_static_selectorELNS0_4arch9wavefront6targetE1EEEvSG_,@function
_ZN7rocprim17ROCPRIM_400000_NS6detail17trampoline_kernelINS0_14default_configENS1_35radix_sort_onesweep_config_selectorIslEEZZNS1_29radix_sort_onesweep_iterationIS3_Lb0EPsS7_N6thrust23THRUST_200600_302600_NS10device_ptrIlEESB_jNS0_19identity_decomposerENS1_16block_id_wrapperIjLb0EEEEE10hipError_tT1_PNSt15iterator_traitsISG_E10value_typeET2_T3_PNSH_ISM_E10value_typeET4_T5_PSR_SS_PNS1_23onesweep_lookback_stateEbbT6_jjT7_P12ihipStream_tbENKUlT_T0_SG_SL_E_clIS7_S7_SB_SB_EEDaSZ_S10_SG_SL_EUlSZ_E_NS1_11comp_targetILNS1_3genE6ELNS1_11target_archE950ELNS1_3gpuE13ELNS1_3repE0EEENS1_47radix_sort_onesweep_sort_config_static_selectorELNS0_4arch9wavefront6targetE1EEEvSG_: ; @_ZN7rocprim17ROCPRIM_400000_NS6detail17trampoline_kernelINS0_14default_configENS1_35radix_sort_onesweep_config_selectorIslEEZZNS1_29radix_sort_onesweep_iterationIS3_Lb0EPsS7_N6thrust23THRUST_200600_302600_NS10device_ptrIlEESB_jNS0_19identity_decomposerENS1_16block_id_wrapperIjLb0EEEEE10hipError_tT1_PNSt15iterator_traitsISG_E10value_typeET2_T3_PNSH_ISM_E10value_typeET4_T5_PSR_SS_PNS1_23onesweep_lookback_stateEbbT6_jjT7_P12ihipStream_tbENKUlT_T0_SG_SL_E_clIS7_S7_SB_SB_EEDaSZ_S10_SG_SL_EUlSZ_E_NS1_11comp_targetILNS1_3genE6ELNS1_11target_archE950ELNS1_3gpuE13ELNS1_3repE0EEENS1_47radix_sort_onesweep_sort_config_static_selectorELNS0_4arch9wavefront6targetE1EEEvSG_
; %bb.0:
	.section	.rodata,"a",@progbits
	.p2align	6, 0x0
	.amdhsa_kernel _ZN7rocprim17ROCPRIM_400000_NS6detail17trampoline_kernelINS0_14default_configENS1_35radix_sort_onesweep_config_selectorIslEEZZNS1_29radix_sort_onesweep_iterationIS3_Lb0EPsS7_N6thrust23THRUST_200600_302600_NS10device_ptrIlEESB_jNS0_19identity_decomposerENS1_16block_id_wrapperIjLb0EEEEE10hipError_tT1_PNSt15iterator_traitsISG_E10value_typeET2_T3_PNSH_ISM_E10value_typeET4_T5_PSR_SS_PNS1_23onesweep_lookback_stateEbbT6_jjT7_P12ihipStream_tbENKUlT_T0_SG_SL_E_clIS7_S7_SB_SB_EEDaSZ_S10_SG_SL_EUlSZ_E_NS1_11comp_targetILNS1_3genE6ELNS1_11target_archE950ELNS1_3gpuE13ELNS1_3repE0EEENS1_47radix_sort_onesweep_sort_config_static_selectorELNS0_4arch9wavefront6targetE1EEEvSG_
		.amdhsa_group_segment_fixed_size 0
		.amdhsa_private_segment_fixed_size 0
		.amdhsa_kernarg_size 88
		.amdhsa_user_sgpr_count 6
		.amdhsa_user_sgpr_private_segment_buffer 1
		.amdhsa_user_sgpr_dispatch_ptr 0
		.amdhsa_user_sgpr_queue_ptr 0
		.amdhsa_user_sgpr_kernarg_segment_ptr 1
		.amdhsa_user_sgpr_dispatch_id 0
		.amdhsa_user_sgpr_flat_scratch_init 0
		.amdhsa_user_sgpr_kernarg_preload_length 0
		.amdhsa_user_sgpr_kernarg_preload_offset 0
		.amdhsa_user_sgpr_private_segment_size 0
		.amdhsa_uses_dynamic_stack 0
		.amdhsa_system_sgpr_private_segment_wavefront_offset 0
		.amdhsa_system_sgpr_workgroup_id_x 1
		.amdhsa_system_sgpr_workgroup_id_y 0
		.amdhsa_system_sgpr_workgroup_id_z 0
		.amdhsa_system_sgpr_workgroup_info 0
		.amdhsa_system_vgpr_workitem_id 0
		.amdhsa_next_free_vgpr 1
		.amdhsa_next_free_sgpr 0
		.amdhsa_accum_offset 4
		.amdhsa_reserve_vcc 0
		.amdhsa_reserve_flat_scratch 0
		.amdhsa_float_round_mode_32 0
		.amdhsa_float_round_mode_16_64 0
		.amdhsa_float_denorm_mode_32 3
		.amdhsa_float_denorm_mode_16_64 3
		.amdhsa_dx10_clamp 1
		.amdhsa_ieee_mode 1
		.amdhsa_fp16_overflow 0
		.amdhsa_tg_split 0
		.amdhsa_exception_fp_ieee_invalid_op 0
		.amdhsa_exception_fp_denorm_src 0
		.amdhsa_exception_fp_ieee_div_zero 0
		.amdhsa_exception_fp_ieee_overflow 0
		.amdhsa_exception_fp_ieee_underflow 0
		.amdhsa_exception_fp_ieee_inexact 0
		.amdhsa_exception_int_div_zero 0
	.end_amdhsa_kernel
	.section	.text._ZN7rocprim17ROCPRIM_400000_NS6detail17trampoline_kernelINS0_14default_configENS1_35radix_sort_onesweep_config_selectorIslEEZZNS1_29radix_sort_onesweep_iterationIS3_Lb0EPsS7_N6thrust23THRUST_200600_302600_NS10device_ptrIlEESB_jNS0_19identity_decomposerENS1_16block_id_wrapperIjLb0EEEEE10hipError_tT1_PNSt15iterator_traitsISG_E10value_typeET2_T3_PNSH_ISM_E10value_typeET4_T5_PSR_SS_PNS1_23onesweep_lookback_stateEbbT6_jjT7_P12ihipStream_tbENKUlT_T0_SG_SL_E_clIS7_S7_SB_SB_EEDaSZ_S10_SG_SL_EUlSZ_E_NS1_11comp_targetILNS1_3genE6ELNS1_11target_archE950ELNS1_3gpuE13ELNS1_3repE0EEENS1_47radix_sort_onesweep_sort_config_static_selectorELNS0_4arch9wavefront6targetE1EEEvSG_,"axG",@progbits,_ZN7rocprim17ROCPRIM_400000_NS6detail17trampoline_kernelINS0_14default_configENS1_35radix_sort_onesweep_config_selectorIslEEZZNS1_29radix_sort_onesweep_iterationIS3_Lb0EPsS7_N6thrust23THRUST_200600_302600_NS10device_ptrIlEESB_jNS0_19identity_decomposerENS1_16block_id_wrapperIjLb0EEEEE10hipError_tT1_PNSt15iterator_traitsISG_E10value_typeET2_T3_PNSH_ISM_E10value_typeET4_T5_PSR_SS_PNS1_23onesweep_lookback_stateEbbT6_jjT7_P12ihipStream_tbENKUlT_T0_SG_SL_E_clIS7_S7_SB_SB_EEDaSZ_S10_SG_SL_EUlSZ_E_NS1_11comp_targetILNS1_3genE6ELNS1_11target_archE950ELNS1_3gpuE13ELNS1_3repE0EEENS1_47radix_sort_onesweep_sort_config_static_selectorELNS0_4arch9wavefront6targetE1EEEvSG_,comdat
.Lfunc_end1426:
	.size	_ZN7rocprim17ROCPRIM_400000_NS6detail17trampoline_kernelINS0_14default_configENS1_35radix_sort_onesweep_config_selectorIslEEZZNS1_29radix_sort_onesweep_iterationIS3_Lb0EPsS7_N6thrust23THRUST_200600_302600_NS10device_ptrIlEESB_jNS0_19identity_decomposerENS1_16block_id_wrapperIjLb0EEEEE10hipError_tT1_PNSt15iterator_traitsISG_E10value_typeET2_T3_PNSH_ISM_E10value_typeET4_T5_PSR_SS_PNS1_23onesweep_lookback_stateEbbT6_jjT7_P12ihipStream_tbENKUlT_T0_SG_SL_E_clIS7_S7_SB_SB_EEDaSZ_S10_SG_SL_EUlSZ_E_NS1_11comp_targetILNS1_3genE6ELNS1_11target_archE950ELNS1_3gpuE13ELNS1_3repE0EEENS1_47radix_sort_onesweep_sort_config_static_selectorELNS0_4arch9wavefront6targetE1EEEvSG_, .Lfunc_end1426-_ZN7rocprim17ROCPRIM_400000_NS6detail17trampoline_kernelINS0_14default_configENS1_35radix_sort_onesweep_config_selectorIslEEZZNS1_29radix_sort_onesweep_iterationIS3_Lb0EPsS7_N6thrust23THRUST_200600_302600_NS10device_ptrIlEESB_jNS0_19identity_decomposerENS1_16block_id_wrapperIjLb0EEEEE10hipError_tT1_PNSt15iterator_traitsISG_E10value_typeET2_T3_PNSH_ISM_E10value_typeET4_T5_PSR_SS_PNS1_23onesweep_lookback_stateEbbT6_jjT7_P12ihipStream_tbENKUlT_T0_SG_SL_E_clIS7_S7_SB_SB_EEDaSZ_S10_SG_SL_EUlSZ_E_NS1_11comp_targetILNS1_3genE6ELNS1_11target_archE950ELNS1_3gpuE13ELNS1_3repE0EEENS1_47radix_sort_onesweep_sort_config_static_selectorELNS0_4arch9wavefront6targetE1EEEvSG_
                                        ; -- End function
	.section	.AMDGPU.csdata,"",@progbits
; Kernel info:
; codeLenInByte = 0
; NumSgprs: 4
; NumVgprs: 0
; NumAgprs: 0
; TotalNumVgprs: 0
; ScratchSize: 0
; MemoryBound: 0
; FloatMode: 240
; IeeeMode: 1
; LDSByteSize: 0 bytes/workgroup (compile time only)
; SGPRBlocks: 0
; VGPRBlocks: 0
; NumSGPRsForWavesPerEU: 4
; NumVGPRsForWavesPerEU: 1
; AccumOffset: 4
; Occupancy: 8
; WaveLimiterHint : 0
; COMPUTE_PGM_RSRC2:SCRATCH_EN: 0
; COMPUTE_PGM_RSRC2:USER_SGPR: 6
; COMPUTE_PGM_RSRC2:TRAP_HANDLER: 0
; COMPUTE_PGM_RSRC2:TGID_X_EN: 1
; COMPUTE_PGM_RSRC2:TGID_Y_EN: 0
; COMPUTE_PGM_RSRC2:TGID_Z_EN: 0
; COMPUTE_PGM_RSRC2:TIDIG_COMP_CNT: 0
; COMPUTE_PGM_RSRC3_GFX90A:ACCUM_OFFSET: 0
; COMPUTE_PGM_RSRC3_GFX90A:TG_SPLIT: 0
	.section	.text._ZN7rocprim17ROCPRIM_400000_NS6detail17trampoline_kernelINS0_14default_configENS1_35radix_sort_onesweep_config_selectorIslEEZZNS1_29radix_sort_onesweep_iterationIS3_Lb0EPsS7_N6thrust23THRUST_200600_302600_NS10device_ptrIlEESB_jNS0_19identity_decomposerENS1_16block_id_wrapperIjLb0EEEEE10hipError_tT1_PNSt15iterator_traitsISG_E10value_typeET2_T3_PNSH_ISM_E10value_typeET4_T5_PSR_SS_PNS1_23onesweep_lookback_stateEbbT6_jjT7_P12ihipStream_tbENKUlT_T0_SG_SL_E_clIS7_S7_SB_SB_EEDaSZ_S10_SG_SL_EUlSZ_E_NS1_11comp_targetILNS1_3genE5ELNS1_11target_archE942ELNS1_3gpuE9ELNS1_3repE0EEENS1_47radix_sort_onesweep_sort_config_static_selectorELNS0_4arch9wavefront6targetE1EEEvSG_,"axG",@progbits,_ZN7rocprim17ROCPRIM_400000_NS6detail17trampoline_kernelINS0_14default_configENS1_35radix_sort_onesweep_config_selectorIslEEZZNS1_29radix_sort_onesweep_iterationIS3_Lb0EPsS7_N6thrust23THRUST_200600_302600_NS10device_ptrIlEESB_jNS0_19identity_decomposerENS1_16block_id_wrapperIjLb0EEEEE10hipError_tT1_PNSt15iterator_traitsISG_E10value_typeET2_T3_PNSH_ISM_E10value_typeET4_T5_PSR_SS_PNS1_23onesweep_lookback_stateEbbT6_jjT7_P12ihipStream_tbENKUlT_T0_SG_SL_E_clIS7_S7_SB_SB_EEDaSZ_S10_SG_SL_EUlSZ_E_NS1_11comp_targetILNS1_3genE5ELNS1_11target_archE942ELNS1_3gpuE9ELNS1_3repE0EEENS1_47radix_sort_onesweep_sort_config_static_selectorELNS0_4arch9wavefront6targetE1EEEvSG_,comdat
	.protected	_ZN7rocprim17ROCPRIM_400000_NS6detail17trampoline_kernelINS0_14default_configENS1_35radix_sort_onesweep_config_selectorIslEEZZNS1_29radix_sort_onesweep_iterationIS3_Lb0EPsS7_N6thrust23THRUST_200600_302600_NS10device_ptrIlEESB_jNS0_19identity_decomposerENS1_16block_id_wrapperIjLb0EEEEE10hipError_tT1_PNSt15iterator_traitsISG_E10value_typeET2_T3_PNSH_ISM_E10value_typeET4_T5_PSR_SS_PNS1_23onesweep_lookback_stateEbbT6_jjT7_P12ihipStream_tbENKUlT_T0_SG_SL_E_clIS7_S7_SB_SB_EEDaSZ_S10_SG_SL_EUlSZ_E_NS1_11comp_targetILNS1_3genE5ELNS1_11target_archE942ELNS1_3gpuE9ELNS1_3repE0EEENS1_47radix_sort_onesweep_sort_config_static_selectorELNS0_4arch9wavefront6targetE1EEEvSG_ ; -- Begin function _ZN7rocprim17ROCPRIM_400000_NS6detail17trampoline_kernelINS0_14default_configENS1_35radix_sort_onesweep_config_selectorIslEEZZNS1_29radix_sort_onesweep_iterationIS3_Lb0EPsS7_N6thrust23THRUST_200600_302600_NS10device_ptrIlEESB_jNS0_19identity_decomposerENS1_16block_id_wrapperIjLb0EEEEE10hipError_tT1_PNSt15iterator_traitsISG_E10value_typeET2_T3_PNSH_ISM_E10value_typeET4_T5_PSR_SS_PNS1_23onesweep_lookback_stateEbbT6_jjT7_P12ihipStream_tbENKUlT_T0_SG_SL_E_clIS7_S7_SB_SB_EEDaSZ_S10_SG_SL_EUlSZ_E_NS1_11comp_targetILNS1_3genE5ELNS1_11target_archE942ELNS1_3gpuE9ELNS1_3repE0EEENS1_47radix_sort_onesweep_sort_config_static_selectorELNS0_4arch9wavefront6targetE1EEEvSG_
	.globl	_ZN7rocprim17ROCPRIM_400000_NS6detail17trampoline_kernelINS0_14default_configENS1_35radix_sort_onesweep_config_selectorIslEEZZNS1_29radix_sort_onesweep_iterationIS3_Lb0EPsS7_N6thrust23THRUST_200600_302600_NS10device_ptrIlEESB_jNS0_19identity_decomposerENS1_16block_id_wrapperIjLb0EEEEE10hipError_tT1_PNSt15iterator_traitsISG_E10value_typeET2_T3_PNSH_ISM_E10value_typeET4_T5_PSR_SS_PNS1_23onesweep_lookback_stateEbbT6_jjT7_P12ihipStream_tbENKUlT_T0_SG_SL_E_clIS7_S7_SB_SB_EEDaSZ_S10_SG_SL_EUlSZ_E_NS1_11comp_targetILNS1_3genE5ELNS1_11target_archE942ELNS1_3gpuE9ELNS1_3repE0EEENS1_47radix_sort_onesweep_sort_config_static_selectorELNS0_4arch9wavefront6targetE1EEEvSG_
	.p2align	8
	.type	_ZN7rocprim17ROCPRIM_400000_NS6detail17trampoline_kernelINS0_14default_configENS1_35radix_sort_onesweep_config_selectorIslEEZZNS1_29radix_sort_onesweep_iterationIS3_Lb0EPsS7_N6thrust23THRUST_200600_302600_NS10device_ptrIlEESB_jNS0_19identity_decomposerENS1_16block_id_wrapperIjLb0EEEEE10hipError_tT1_PNSt15iterator_traitsISG_E10value_typeET2_T3_PNSH_ISM_E10value_typeET4_T5_PSR_SS_PNS1_23onesweep_lookback_stateEbbT6_jjT7_P12ihipStream_tbENKUlT_T0_SG_SL_E_clIS7_S7_SB_SB_EEDaSZ_S10_SG_SL_EUlSZ_E_NS1_11comp_targetILNS1_3genE5ELNS1_11target_archE942ELNS1_3gpuE9ELNS1_3repE0EEENS1_47radix_sort_onesweep_sort_config_static_selectorELNS0_4arch9wavefront6targetE1EEEvSG_,@function
_ZN7rocprim17ROCPRIM_400000_NS6detail17trampoline_kernelINS0_14default_configENS1_35radix_sort_onesweep_config_selectorIslEEZZNS1_29radix_sort_onesweep_iterationIS3_Lb0EPsS7_N6thrust23THRUST_200600_302600_NS10device_ptrIlEESB_jNS0_19identity_decomposerENS1_16block_id_wrapperIjLb0EEEEE10hipError_tT1_PNSt15iterator_traitsISG_E10value_typeET2_T3_PNSH_ISM_E10value_typeET4_T5_PSR_SS_PNS1_23onesweep_lookback_stateEbbT6_jjT7_P12ihipStream_tbENKUlT_T0_SG_SL_E_clIS7_S7_SB_SB_EEDaSZ_S10_SG_SL_EUlSZ_E_NS1_11comp_targetILNS1_3genE5ELNS1_11target_archE942ELNS1_3gpuE9ELNS1_3repE0EEENS1_47radix_sort_onesweep_sort_config_static_selectorELNS0_4arch9wavefront6targetE1EEEvSG_: ; @_ZN7rocprim17ROCPRIM_400000_NS6detail17trampoline_kernelINS0_14default_configENS1_35radix_sort_onesweep_config_selectorIslEEZZNS1_29radix_sort_onesweep_iterationIS3_Lb0EPsS7_N6thrust23THRUST_200600_302600_NS10device_ptrIlEESB_jNS0_19identity_decomposerENS1_16block_id_wrapperIjLb0EEEEE10hipError_tT1_PNSt15iterator_traitsISG_E10value_typeET2_T3_PNSH_ISM_E10value_typeET4_T5_PSR_SS_PNS1_23onesweep_lookback_stateEbbT6_jjT7_P12ihipStream_tbENKUlT_T0_SG_SL_E_clIS7_S7_SB_SB_EEDaSZ_S10_SG_SL_EUlSZ_E_NS1_11comp_targetILNS1_3genE5ELNS1_11target_archE942ELNS1_3gpuE9ELNS1_3repE0EEENS1_47radix_sort_onesweep_sort_config_static_selectorELNS0_4arch9wavefront6targetE1EEEvSG_
; %bb.0:
	.section	.rodata,"a",@progbits
	.p2align	6, 0x0
	.amdhsa_kernel _ZN7rocprim17ROCPRIM_400000_NS6detail17trampoline_kernelINS0_14default_configENS1_35radix_sort_onesweep_config_selectorIslEEZZNS1_29radix_sort_onesweep_iterationIS3_Lb0EPsS7_N6thrust23THRUST_200600_302600_NS10device_ptrIlEESB_jNS0_19identity_decomposerENS1_16block_id_wrapperIjLb0EEEEE10hipError_tT1_PNSt15iterator_traitsISG_E10value_typeET2_T3_PNSH_ISM_E10value_typeET4_T5_PSR_SS_PNS1_23onesweep_lookback_stateEbbT6_jjT7_P12ihipStream_tbENKUlT_T0_SG_SL_E_clIS7_S7_SB_SB_EEDaSZ_S10_SG_SL_EUlSZ_E_NS1_11comp_targetILNS1_3genE5ELNS1_11target_archE942ELNS1_3gpuE9ELNS1_3repE0EEENS1_47radix_sort_onesweep_sort_config_static_selectorELNS0_4arch9wavefront6targetE1EEEvSG_
		.amdhsa_group_segment_fixed_size 0
		.amdhsa_private_segment_fixed_size 0
		.amdhsa_kernarg_size 88
		.amdhsa_user_sgpr_count 6
		.amdhsa_user_sgpr_private_segment_buffer 1
		.amdhsa_user_sgpr_dispatch_ptr 0
		.amdhsa_user_sgpr_queue_ptr 0
		.amdhsa_user_sgpr_kernarg_segment_ptr 1
		.amdhsa_user_sgpr_dispatch_id 0
		.amdhsa_user_sgpr_flat_scratch_init 0
		.amdhsa_user_sgpr_kernarg_preload_length 0
		.amdhsa_user_sgpr_kernarg_preload_offset 0
		.amdhsa_user_sgpr_private_segment_size 0
		.amdhsa_uses_dynamic_stack 0
		.amdhsa_system_sgpr_private_segment_wavefront_offset 0
		.amdhsa_system_sgpr_workgroup_id_x 1
		.amdhsa_system_sgpr_workgroup_id_y 0
		.amdhsa_system_sgpr_workgroup_id_z 0
		.amdhsa_system_sgpr_workgroup_info 0
		.amdhsa_system_vgpr_workitem_id 0
		.amdhsa_next_free_vgpr 1
		.amdhsa_next_free_sgpr 0
		.amdhsa_accum_offset 4
		.amdhsa_reserve_vcc 0
		.amdhsa_reserve_flat_scratch 0
		.amdhsa_float_round_mode_32 0
		.amdhsa_float_round_mode_16_64 0
		.amdhsa_float_denorm_mode_32 3
		.amdhsa_float_denorm_mode_16_64 3
		.amdhsa_dx10_clamp 1
		.amdhsa_ieee_mode 1
		.amdhsa_fp16_overflow 0
		.amdhsa_tg_split 0
		.amdhsa_exception_fp_ieee_invalid_op 0
		.amdhsa_exception_fp_denorm_src 0
		.amdhsa_exception_fp_ieee_div_zero 0
		.amdhsa_exception_fp_ieee_overflow 0
		.amdhsa_exception_fp_ieee_underflow 0
		.amdhsa_exception_fp_ieee_inexact 0
		.amdhsa_exception_int_div_zero 0
	.end_amdhsa_kernel
	.section	.text._ZN7rocprim17ROCPRIM_400000_NS6detail17trampoline_kernelINS0_14default_configENS1_35radix_sort_onesweep_config_selectorIslEEZZNS1_29radix_sort_onesweep_iterationIS3_Lb0EPsS7_N6thrust23THRUST_200600_302600_NS10device_ptrIlEESB_jNS0_19identity_decomposerENS1_16block_id_wrapperIjLb0EEEEE10hipError_tT1_PNSt15iterator_traitsISG_E10value_typeET2_T3_PNSH_ISM_E10value_typeET4_T5_PSR_SS_PNS1_23onesweep_lookback_stateEbbT6_jjT7_P12ihipStream_tbENKUlT_T0_SG_SL_E_clIS7_S7_SB_SB_EEDaSZ_S10_SG_SL_EUlSZ_E_NS1_11comp_targetILNS1_3genE5ELNS1_11target_archE942ELNS1_3gpuE9ELNS1_3repE0EEENS1_47radix_sort_onesweep_sort_config_static_selectorELNS0_4arch9wavefront6targetE1EEEvSG_,"axG",@progbits,_ZN7rocprim17ROCPRIM_400000_NS6detail17trampoline_kernelINS0_14default_configENS1_35radix_sort_onesweep_config_selectorIslEEZZNS1_29radix_sort_onesweep_iterationIS3_Lb0EPsS7_N6thrust23THRUST_200600_302600_NS10device_ptrIlEESB_jNS0_19identity_decomposerENS1_16block_id_wrapperIjLb0EEEEE10hipError_tT1_PNSt15iterator_traitsISG_E10value_typeET2_T3_PNSH_ISM_E10value_typeET4_T5_PSR_SS_PNS1_23onesweep_lookback_stateEbbT6_jjT7_P12ihipStream_tbENKUlT_T0_SG_SL_E_clIS7_S7_SB_SB_EEDaSZ_S10_SG_SL_EUlSZ_E_NS1_11comp_targetILNS1_3genE5ELNS1_11target_archE942ELNS1_3gpuE9ELNS1_3repE0EEENS1_47radix_sort_onesweep_sort_config_static_selectorELNS0_4arch9wavefront6targetE1EEEvSG_,comdat
.Lfunc_end1427:
	.size	_ZN7rocprim17ROCPRIM_400000_NS6detail17trampoline_kernelINS0_14default_configENS1_35radix_sort_onesweep_config_selectorIslEEZZNS1_29radix_sort_onesweep_iterationIS3_Lb0EPsS7_N6thrust23THRUST_200600_302600_NS10device_ptrIlEESB_jNS0_19identity_decomposerENS1_16block_id_wrapperIjLb0EEEEE10hipError_tT1_PNSt15iterator_traitsISG_E10value_typeET2_T3_PNSH_ISM_E10value_typeET4_T5_PSR_SS_PNS1_23onesweep_lookback_stateEbbT6_jjT7_P12ihipStream_tbENKUlT_T0_SG_SL_E_clIS7_S7_SB_SB_EEDaSZ_S10_SG_SL_EUlSZ_E_NS1_11comp_targetILNS1_3genE5ELNS1_11target_archE942ELNS1_3gpuE9ELNS1_3repE0EEENS1_47radix_sort_onesweep_sort_config_static_selectorELNS0_4arch9wavefront6targetE1EEEvSG_, .Lfunc_end1427-_ZN7rocprim17ROCPRIM_400000_NS6detail17trampoline_kernelINS0_14default_configENS1_35radix_sort_onesweep_config_selectorIslEEZZNS1_29radix_sort_onesweep_iterationIS3_Lb0EPsS7_N6thrust23THRUST_200600_302600_NS10device_ptrIlEESB_jNS0_19identity_decomposerENS1_16block_id_wrapperIjLb0EEEEE10hipError_tT1_PNSt15iterator_traitsISG_E10value_typeET2_T3_PNSH_ISM_E10value_typeET4_T5_PSR_SS_PNS1_23onesweep_lookback_stateEbbT6_jjT7_P12ihipStream_tbENKUlT_T0_SG_SL_E_clIS7_S7_SB_SB_EEDaSZ_S10_SG_SL_EUlSZ_E_NS1_11comp_targetILNS1_3genE5ELNS1_11target_archE942ELNS1_3gpuE9ELNS1_3repE0EEENS1_47radix_sort_onesweep_sort_config_static_selectorELNS0_4arch9wavefront6targetE1EEEvSG_
                                        ; -- End function
	.section	.AMDGPU.csdata,"",@progbits
; Kernel info:
; codeLenInByte = 0
; NumSgprs: 4
; NumVgprs: 0
; NumAgprs: 0
; TotalNumVgprs: 0
; ScratchSize: 0
; MemoryBound: 0
; FloatMode: 240
; IeeeMode: 1
; LDSByteSize: 0 bytes/workgroup (compile time only)
; SGPRBlocks: 0
; VGPRBlocks: 0
; NumSGPRsForWavesPerEU: 4
; NumVGPRsForWavesPerEU: 1
; AccumOffset: 4
; Occupancy: 8
; WaveLimiterHint : 0
; COMPUTE_PGM_RSRC2:SCRATCH_EN: 0
; COMPUTE_PGM_RSRC2:USER_SGPR: 6
; COMPUTE_PGM_RSRC2:TRAP_HANDLER: 0
; COMPUTE_PGM_RSRC2:TGID_X_EN: 1
; COMPUTE_PGM_RSRC2:TGID_Y_EN: 0
; COMPUTE_PGM_RSRC2:TGID_Z_EN: 0
; COMPUTE_PGM_RSRC2:TIDIG_COMP_CNT: 0
; COMPUTE_PGM_RSRC3_GFX90A:ACCUM_OFFSET: 0
; COMPUTE_PGM_RSRC3_GFX90A:TG_SPLIT: 0
	.section	.text._ZN7rocprim17ROCPRIM_400000_NS6detail17trampoline_kernelINS0_14default_configENS1_35radix_sort_onesweep_config_selectorIslEEZZNS1_29radix_sort_onesweep_iterationIS3_Lb0EPsS7_N6thrust23THRUST_200600_302600_NS10device_ptrIlEESB_jNS0_19identity_decomposerENS1_16block_id_wrapperIjLb0EEEEE10hipError_tT1_PNSt15iterator_traitsISG_E10value_typeET2_T3_PNSH_ISM_E10value_typeET4_T5_PSR_SS_PNS1_23onesweep_lookback_stateEbbT6_jjT7_P12ihipStream_tbENKUlT_T0_SG_SL_E_clIS7_S7_SB_SB_EEDaSZ_S10_SG_SL_EUlSZ_E_NS1_11comp_targetILNS1_3genE2ELNS1_11target_archE906ELNS1_3gpuE6ELNS1_3repE0EEENS1_47radix_sort_onesweep_sort_config_static_selectorELNS0_4arch9wavefront6targetE1EEEvSG_,"axG",@progbits,_ZN7rocprim17ROCPRIM_400000_NS6detail17trampoline_kernelINS0_14default_configENS1_35radix_sort_onesweep_config_selectorIslEEZZNS1_29radix_sort_onesweep_iterationIS3_Lb0EPsS7_N6thrust23THRUST_200600_302600_NS10device_ptrIlEESB_jNS0_19identity_decomposerENS1_16block_id_wrapperIjLb0EEEEE10hipError_tT1_PNSt15iterator_traitsISG_E10value_typeET2_T3_PNSH_ISM_E10value_typeET4_T5_PSR_SS_PNS1_23onesweep_lookback_stateEbbT6_jjT7_P12ihipStream_tbENKUlT_T0_SG_SL_E_clIS7_S7_SB_SB_EEDaSZ_S10_SG_SL_EUlSZ_E_NS1_11comp_targetILNS1_3genE2ELNS1_11target_archE906ELNS1_3gpuE6ELNS1_3repE0EEENS1_47radix_sort_onesweep_sort_config_static_selectorELNS0_4arch9wavefront6targetE1EEEvSG_,comdat
	.protected	_ZN7rocprim17ROCPRIM_400000_NS6detail17trampoline_kernelINS0_14default_configENS1_35radix_sort_onesweep_config_selectorIslEEZZNS1_29radix_sort_onesweep_iterationIS3_Lb0EPsS7_N6thrust23THRUST_200600_302600_NS10device_ptrIlEESB_jNS0_19identity_decomposerENS1_16block_id_wrapperIjLb0EEEEE10hipError_tT1_PNSt15iterator_traitsISG_E10value_typeET2_T3_PNSH_ISM_E10value_typeET4_T5_PSR_SS_PNS1_23onesweep_lookback_stateEbbT6_jjT7_P12ihipStream_tbENKUlT_T0_SG_SL_E_clIS7_S7_SB_SB_EEDaSZ_S10_SG_SL_EUlSZ_E_NS1_11comp_targetILNS1_3genE2ELNS1_11target_archE906ELNS1_3gpuE6ELNS1_3repE0EEENS1_47radix_sort_onesweep_sort_config_static_selectorELNS0_4arch9wavefront6targetE1EEEvSG_ ; -- Begin function _ZN7rocprim17ROCPRIM_400000_NS6detail17trampoline_kernelINS0_14default_configENS1_35radix_sort_onesweep_config_selectorIslEEZZNS1_29radix_sort_onesweep_iterationIS3_Lb0EPsS7_N6thrust23THRUST_200600_302600_NS10device_ptrIlEESB_jNS0_19identity_decomposerENS1_16block_id_wrapperIjLb0EEEEE10hipError_tT1_PNSt15iterator_traitsISG_E10value_typeET2_T3_PNSH_ISM_E10value_typeET4_T5_PSR_SS_PNS1_23onesweep_lookback_stateEbbT6_jjT7_P12ihipStream_tbENKUlT_T0_SG_SL_E_clIS7_S7_SB_SB_EEDaSZ_S10_SG_SL_EUlSZ_E_NS1_11comp_targetILNS1_3genE2ELNS1_11target_archE906ELNS1_3gpuE6ELNS1_3repE0EEENS1_47radix_sort_onesweep_sort_config_static_selectorELNS0_4arch9wavefront6targetE1EEEvSG_
	.globl	_ZN7rocprim17ROCPRIM_400000_NS6detail17trampoline_kernelINS0_14default_configENS1_35radix_sort_onesweep_config_selectorIslEEZZNS1_29radix_sort_onesweep_iterationIS3_Lb0EPsS7_N6thrust23THRUST_200600_302600_NS10device_ptrIlEESB_jNS0_19identity_decomposerENS1_16block_id_wrapperIjLb0EEEEE10hipError_tT1_PNSt15iterator_traitsISG_E10value_typeET2_T3_PNSH_ISM_E10value_typeET4_T5_PSR_SS_PNS1_23onesweep_lookback_stateEbbT6_jjT7_P12ihipStream_tbENKUlT_T0_SG_SL_E_clIS7_S7_SB_SB_EEDaSZ_S10_SG_SL_EUlSZ_E_NS1_11comp_targetILNS1_3genE2ELNS1_11target_archE906ELNS1_3gpuE6ELNS1_3repE0EEENS1_47radix_sort_onesweep_sort_config_static_selectorELNS0_4arch9wavefront6targetE1EEEvSG_
	.p2align	8
	.type	_ZN7rocprim17ROCPRIM_400000_NS6detail17trampoline_kernelINS0_14default_configENS1_35radix_sort_onesweep_config_selectorIslEEZZNS1_29radix_sort_onesweep_iterationIS3_Lb0EPsS7_N6thrust23THRUST_200600_302600_NS10device_ptrIlEESB_jNS0_19identity_decomposerENS1_16block_id_wrapperIjLb0EEEEE10hipError_tT1_PNSt15iterator_traitsISG_E10value_typeET2_T3_PNSH_ISM_E10value_typeET4_T5_PSR_SS_PNS1_23onesweep_lookback_stateEbbT6_jjT7_P12ihipStream_tbENKUlT_T0_SG_SL_E_clIS7_S7_SB_SB_EEDaSZ_S10_SG_SL_EUlSZ_E_NS1_11comp_targetILNS1_3genE2ELNS1_11target_archE906ELNS1_3gpuE6ELNS1_3repE0EEENS1_47radix_sort_onesweep_sort_config_static_selectorELNS0_4arch9wavefront6targetE1EEEvSG_,@function
_ZN7rocprim17ROCPRIM_400000_NS6detail17trampoline_kernelINS0_14default_configENS1_35radix_sort_onesweep_config_selectorIslEEZZNS1_29radix_sort_onesweep_iterationIS3_Lb0EPsS7_N6thrust23THRUST_200600_302600_NS10device_ptrIlEESB_jNS0_19identity_decomposerENS1_16block_id_wrapperIjLb0EEEEE10hipError_tT1_PNSt15iterator_traitsISG_E10value_typeET2_T3_PNSH_ISM_E10value_typeET4_T5_PSR_SS_PNS1_23onesweep_lookback_stateEbbT6_jjT7_P12ihipStream_tbENKUlT_T0_SG_SL_E_clIS7_S7_SB_SB_EEDaSZ_S10_SG_SL_EUlSZ_E_NS1_11comp_targetILNS1_3genE2ELNS1_11target_archE906ELNS1_3gpuE6ELNS1_3repE0EEENS1_47radix_sort_onesweep_sort_config_static_selectorELNS0_4arch9wavefront6targetE1EEEvSG_: ; @_ZN7rocprim17ROCPRIM_400000_NS6detail17trampoline_kernelINS0_14default_configENS1_35radix_sort_onesweep_config_selectorIslEEZZNS1_29radix_sort_onesweep_iterationIS3_Lb0EPsS7_N6thrust23THRUST_200600_302600_NS10device_ptrIlEESB_jNS0_19identity_decomposerENS1_16block_id_wrapperIjLb0EEEEE10hipError_tT1_PNSt15iterator_traitsISG_E10value_typeET2_T3_PNSH_ISM_E10value_typeET4_T5_PSR_SS_PNS1_23onesweep_lookback_stateEbbT6_jjT7_P12ihipStream_tbENKUlT_T0_SG_SL_E_clIS7_S7_SB_SB_EEDaSZ_S10_SG_SL_EUlSZ_E_NS1_11comp_targetILNS1_3genE2ELNS1_11target_archE906ELNS1_3gpuE6ELNS1_3repE0EEENS1_47radix_sort_onesweep_sort_config_static_selectorELNS0_4arch9wavefront6targetE1EEEvSG_
; %bb.0:
	.section	.rodata,"a",@progbits
	.p2align	6, 0x0
	.amdhsa_kernel _ZN7rocprim17ROCPRIM_400000_NS6detail17trampoline_kernelINS0_14default_configENS1_35radix_sort_onesweep_config_selectorIslEEZZNS1_29radix_sort_onesweep_iterationIS3_Lb0EPsS7_N6thrust23THRUST_200600_302600_NS10device_ptrIlEESB_jNS0_19identity_decomposerENS1_16block_id_wrapperIjLb0EEEEE10hipError_tT1_PNSt15iterator_traitsISG_E10value_typeET2_T3_PNSH_ISM_E10value_typeET4_T5_PSR_SS_PNS1_23onesweep_lookback_stateEbbT6_jjT7_P12ihipStream_tbENKUlT_T0_SG_SL_E_clIS7_S7_SB_SB_EEDaSZ_S10_SG_SL_EUlSZ_E_NS1_11comp_targetILNS1_3genE2ELNS1_11target_archE906ELNS1_3gpuE6ELNS1_3repE0EEENS1_47radix_sort_onesweep_sort_config_static_selectorELNS0_4arch9wavefront6targetE1EEEvSG_
		.amdhsa_group_segment_fixed_size 0
		.amdhsa_private_segment_fixed_size 0
		.amdhsa_kernarg_size 88
		.amdhsa_user_sgpr_count 6
		.amdhsa_user_sgpr_private_segment_buffer 1
		.amdhsa_user_sgpr_dispatch_ptr 0
		.amdhsa_user_sgpr_queue_ptr 0
		.amdhsa_user_sgpr_kernarg_segment_ptr 1
		.amdhsa_user_sgpr_dispatch_id 0
		.amdhsa_user_sgpr_flat_scratch_init 0
		.amdhsa_user_sgpr_kernarg_preload_length 0
		.amdhsa_user_sgpr_kernarg_preload_offset 0
		.amdhsa_user_sgpr_private_segment_size 0
		.amdhsa_uses_dynamic_stack 0
		.amdhsa_system_sgpr_private_segment_wavefront_offset 0
		.amdhsa_system_sgpr_workgroup_id_x 1
		.amdhsa_system_sgpr_workgroup_id_y 0
		.amdhsa_system_sgpr_workgroup_id_z 0
		.amdhsa_system_sgpr_workgroup_info 0
		.amdhsa_system_vgpr_workitem_id 0
		.amdhsa_next_free_vgpr 1
		.amdhsa_next_free_sgpr 0
		.amdhsa_accum_offset 4
		.amdhsa_reserve_vcc 0
		.amdhsa_reserve_flat_scratch 0
		.amdhsa_float_round_mode_32 0
		.amdhsa_float_round_mode_16_64 0
		.amdhsa_float_denorm_mode_32 3
		.amdhsa_float_denorm_mode_16_64 3
		.amdhsa_dx10_clamp 1
		.amdhsa_ieee_mode 1
		.amdhsa_fp16_overflow 0
		.amdhsa_tg_split 0
		.amdhsa_exception_fp_ieee_invalid_op 0
		.amdhsa_exception_fp_denorm_src 0
		.amdhsa_exception_fp_ieee_div_zero 0
		.amdhsa_exception_fp_ieee_overflow 0
		.amdhsa_exception_fp_ieee_underflow 0
		.amdhsa_exception_fp_ieee_inexact 0
		.amdhsa_exception_int_div_zero 0
	.end_amdhsa_kernel
	.section	.text._ZN7rocprim17ROCPRIM_400000_NS6detail17trampoline_kernelINS0_14default_configENS1_35radix_sort_onesweep_config_selectorIslEEZZNS1_29radix_sort_onesweep_iterationIS3_Lb0EPsS7_N6thrust23THRUST_200600_302600_NS10device_ptrIlEESB_jNS0_19identity_decomposerENS1_16block_id_wrapperIjLb0EEEEE10hipError_tT1_PNSt15iterator_traitsISG_E10value_typeET2_T3_PNSH_ISM_E10value_typeET4_T5_PSR_SS_PNS1_23onesweep_lookback_stateEbbT6_jjT7_P12ihipStream_tbENKUlT_T0_SG_SL_E_clIS7_S7_SB_SB_EEDaSZ_S10_SG_SL_EUlSZ_E_NS1_11comp_targetILNS1_3genE2ELNS1_11target_archE906ELNS1_3gpuE6ELNS1_3repE0EEENS1_47radix_sort_onesweep_sort_config_static_selectorELNS0_4arch9wavefront6targetE1EEEvSG_,"axG",@progbits,_ZN7rocprim17ROCPRIM_400000_NS6detail17trampoline_kernelINS0_14default_configENS1_35radix_sort_onesweep_config_selectorIslEEZZNS1_29radix_sort_onesweep_iterationIS3_Lb0EPsS7_N6thrust23THRUST_200600_302600_NS10device_ptrIlEESB_jNS0_19identity_decomposerENS1_16block_id_wrapperIjLb0EEEEE10hipError_tT1_PNSt15iterator_traitsISG_E10value_typeET2_T3_PNSH_ISM_E10value_typeET4_T5_PSR_SS_PNS1_23onesweep_lookback_stateEbbT6_jjT7_P12ihipStream_tbENKUlT_T0_SG_SL_E_clIS7_S7_SB_SB_EEDaSZ_S10_SG_SL_EUlSZ_E_NS1_11comp_targetILNS1_3genE2ELNS1_11target_archE906ELNS1_3gpuE6ELNS1_3repE0EEENS1_47radix_sort_onesweep_sort_config_static_selectorELNS0_4arch9wavefront6targetE1EEEvSG_,comdat
.Lfunc_end1428:
	.size	_ZN7rocprim17ROCPRIM_400000_NS6detail17trampoline_kernelINS0_14default_configENS1_35radix_sort_onesweep_config_selectorIslEEZZNS1_29radix_sort_onesweep_iterationIS3_Lb0EPsS7_N6thrust23THRUST_200600_302600_NS10device_ptrIlEESB_jNS0_19identity_decomposerENS1_16block_id_wrapperIjLb0EEEEE10hipError_tT1_PNSt15iterator_traitsISG_E10value_typeET2_T3_PNSH_ISM_E10value_typeET4_T5_PSR_SS_PNS1_23onesweep_lookback_stateEbbT6_jjT7_P12ihipStream_tbENKUlT_T0_SG_SL_E_clIS7_S7_SB_SB_EEDaSZ_S10_SG_SL_EUlSZ_E_NS1_11comp_targetILNS1_3genE2ELNS1_11target_archE906ELNS1_3gpuE6ELNS1_3repE0EEENS1_47radix_sort_onesweep_sort_config_static_selectorELNS0_4arch9wavefront6targetE1EEEvSG_, .Lfunc_end1428-_ZN7rocprim17ROCPRIM_400000_NS6detail17trampoline_kernelINS0_14default_configENS1_35radix_sort_onesweep_config_selectorIslEEZZNS1_29radix_sort_onesweep_iterationIS3_Lb0EPsS7_N6thrust23THRUST_200600_302600_NS10device_ptrIlEESB_jNS0_19identity_decomposerENS1_16block_id_wrapperIjLb0EEEEE10hipError_tT1_PNSt15iterator_traitsISG_E10value_typeET2_T3_PNSH_ISM_E10value_typeET4_T5_PSR_SS_PNS1_23onesweep_lookback_stateEbbT6_jjT7_P12ihipStream_tbENKUlT_T0_SG_SL_E_clIS7_S7_SB_SB_EEDaSZ_S10_SG_SL_EUlSZ_E_NS1_11comp_targetILNS1_3genE2ELNS1_11target_archE906ELNS1_3gpuE6ELNS1_3repE0EEENS1_47radix_sort_onesweep_sort_config_static_selectorELNS0_4arch9wavefront6targetE1EEEvSG_
                                        ; -- End function
	.section	.AMDGPU.csdata,"",@progbits
; Kernel info:
; codeLenInByte = 0
; NumSgprs: 4
; NumVgprs: 0
; NumAgprs: 0
; TotalNumVgprs: 0
; ScratchSize: 0
; MemoryBound: 0
; FloatMode: 240
; IeeeMode: 1
; LDSByteSize: 0 bytes/workgroup (compile time only)
; SGPRBlocks: 0
; VGPRBlocks: 0
; NumSGPRsForWavesPerEU: 4
; NumVGPRsForWavesPerEU: 1
; AccumOffset: 4
; Occupancy: 8
; WaveLimiterHint : 0
; COMPUTE_PGM_RSRC2:SCRATCH_EN: 0
; COMPUTE_PGM_RSRC2:USER_SGPR: 6
; COMPUTE_PGM_RSRC2:TRAP_HANDLER: 0
; COMPUTE_PGM_RSRC2:TGID_X_EN: 1
; COMPUTE_PGM_RSRC2:TGID_Y_EN: 0
; COMPUTE_PGM_RSRC2:TGID_Z_EN: 0
; COMPUTE_PGM_RSRC2:TIDIG_COMP_CNT: 0
; COMPUTE_PGM_RSRC3_GFX90A:ACCUM_OFFSET: 0
; COMPUTE_PGM_RSRC3_GFX90A:TG_SPLIT: 0
	.section	.text._ZN7rocprim17ROCPRIM_400000_NS6detail17trampoline_kernelINS0_14default_configENS1_35radix_sort_onesweep_config_selectorIslEEZZNS1_29radix_sort_onesweep_iterationIS3_Lb0EPsS7_N6thrust23THRUST_200600_302600_NS10device_ptrIlEESB_jNS0_19identity_decomposerENS1_16block_id_wrapperIjLb0EEEEE10hipError_tT1_PNSt15iterator_traitsISG_E10value_typeET2_T3_PNSH_ISM_E10value_typeET4_T5_PSR_SS_PNS1_23onesweep_lookback_stateEbbT6_jjT7_P12ihipStream_tbENKUlT_T0_SG_SL_E_clIS7_S7_SB_SB_EEDaSZ_S10_SG_SL_EUlSZ_E_NS1_11comp_targetILNS1_3genE4ELNS1_11target_archE910ELNS1_3gpuE8ELNS1_3repE0EEENS1_47radix_sort_onesweep_sort_config_static_selectorELNS0_4arch9wavefront6targetE1EEEvSG_,"axG",@progbits,_ZN7rocprim17ROCPRIM_400000_NS6detail17trampoline_kernelINS0_14default_configENS1_35radix_sort_onesweep_config_selectorIslEEZZNS1_29radix_sort_onesweep_iterationIS3_Lb0EPsS7_N6thrust23THRUST_200600_302600_NS10device_ptrIlEESB_jNS0_19identity_decomposerENS1_16block_id_wrapperIjLb0EEEEE10hipError_tT1_PNSt15iterator_traitsISG_E10value_typeET2_T3_PNSH_ISM_E10value_typeET4_T5_PSR_SS_PNS1_23onesweep_lookback_stateEbbT6_jjT7_P12ihipStream_tbENKUlT_T0_SG_SL_E_clIS7_S7_SB_SB_EEDaSZ_S10_SG_SL_EUlSZ_E_NS1_11comp_targetILNS1_3genE4ELNS1_11target_archE910ELNS1_3gpuE8ELNS1_3repE0EEENS1_47radix_sort_onesweep_sort_config_static_selectorELNS0_4arch9wavefront6targetE1EEEvSG_,comdat
	.protected	_ZN7rocprim17ROCPRIM_400000_NS6detail17trampoline_kernelINS0_14default_configENS1_35radix_sort_onesweep_config_selectorIslEEZZNS1_29radix_sort_onesweep_iterationIS3_Lb0EPsS7_N6thrust23THRUST_200600_302600_NS10device_ptrIlEESB_jNS0_19identity_decomposerENS1_16block_id_wrapperIjLb0EEEEE10hipError_tT1_PNSt15iterator_traitsISG_E10value_typeET2_T3_PNSH_ISM_E10value_typeET4_T5_PSR_SS_PNS1_23onesweep_lookback_stateEbbT6_jjT7_P12ihipStream_tbENKUlT_T0_SG_SL_E_clIS7_S7_SB_SB_EEDaSZ_S10_SG_SL_EUlSZ_E_NS1_11comp_targetILNS1_3genE4ELNS1_11target_archE910ELNS1_3gpuE8ELNS1_3repE0EEENS1_47radix_sort_onesweep_sort_config_static_selectorELNS0_4arch9wavefront6targetE1EEEvSG_ ; -- Begin function _ZN7rocprim17ROCPRIM_400000_NS6detail17trampoline_kernelINS0_14default_configENS1_35radix_sort_onesweep_config_selectorIslEEZZNS1_29radix_sort_onesweep_iterationIS3_Lb0EPsS7_N6thrust23THRUST_200600_302600_NS10device_ptrIlEESB_jNS0_19identity_decomposerENS1_16block_id_wrapperIjLb0EEEEE10hipError_tT1_PNSt15iterator_traitsISG_E10value_typeET2_T3_PNSH_ISM_E10value_typeET4_T5_PSR_SS_PNS1_23onesweep_lookback_stateEbbT6_jjT7_P12ihipStream_tbENKUlT_T0_SG_SL_E_clIS7_S7_SB_SB_EEDaSZ_S10_SG_SL_EUlSZ_E_NS1_11comp_targetILNS1_3genE4ELNS1_11target_archE910ELNS1_3gpuE8ELNS1_3repE0EEENS1_47radix_sort_onesweep_sort_config_static_selectorELNS0_4arch9wavefront6targetE1EEEvSG_
	.globl	_ZN7rocprim17ROCPRIM_400000_NS6detail17trampoline_kernelINS0_14default_configENS1_35radix_sort_onesweep_config_selectorIslEEZZNS1_29radix_sort_onesweep_iterationIS3_Lb0EPsS7_N6thrust23THRUST_200600_302600_NS10device_ptrIlEESB_jNS0_19identity_decomposerENS1_16block_id_wrapperIjLb0EEEEE10hipError_tT1_PNSt15iterator_traitsISG_E10value_typeET2_T3_PNSH_ISM_E10value_typeET4_T5_PSR_SS_PNS1_23onesweep_lookback_stateEbbT6_jjT7_P12ihipStream_tbENKUlT_T0_SG_SL_E_clIS7_S7_SB_SB_EEDaSZ_S10_SG_SL_EUlSZ_E_NS1_11comp_targetILNS1_3genE4ELNS1_11target_archE910ELNS1_3gpuE8ELNS1_3repE0EEENS1_47radix_sort_onesweep_sort_config_static_selectorELNS0_4arch9wavefront6targetE1EEEvSG_
	.p2align	8
	.type	_ZN7rocprim17ROCPRIM_400000_NS6detail17trampoline_kernelINS0_14default_configENS1_35radix_sort_onesweep_config_selectorIslEEZZNS1_29radix_sort_onesweep_iterationIS3_Lb0EPsS7_N6thrust23THRUST_200600_302600_NS10device_ptrIlEESB_jNS0_19identity_decomposerENS1_16block_id_wrapperIjLb0EEEEE10hipError_tT1_PNSt15iterator_traitsISG_E10value_typeET2_T3_PNSH_ISM_E10value_typeET4_T5_PSR_SS_PNS1_23onesweep_lookback_stateEbbT6_jjT7_P12ihipStream_tbENKUlT_T0_SG_SL_E_clIS7_S7_SB_SB_EEDaSZ_S10_SG_SL_EUlSZ_E_NS1_11comp_targetILNS1_3genE4ELNS1_11target_archE910ELNS1_3gpuE8ELNS1_3repE0EEENS1_47radix_sort_onesweep_sort_config_static_selectorELNS0_4arch9wavefront6targetE1EEEvSG_,@function
_ZN7rocprim17ROCPRIM_400000_NS6detail17trampoline_kernelINS0_14default_configENS1_35radix_sort_onesweep_config_selectorIslEEZZNS1_29radix_sort_onesweep_iterationIS3_Lb0EPsS7_N6thrust23THRUST_200600_302600_NS10device_ptrIlEESB_jNS0_19identity_decomposerENS1_16block_id_wrapperIjLb0EEEEE10hipError_tT1_PNSt15iterator_traitsISG_E10value_typeET2_T3_PNSH_ISM_E10value_typeET4_T5_PSR_SS_PNS1_23onesweep_lookback_stateEbbT6_jjT7_P12ihipStream_tbENKUlT_T0_SG_SL_E_clIS7_S7_SB_SB_EEDaSZ_S10_SG_SL_EUlSZ_E_NS1_11comp_targetILNS1_3genE4ELNS1_11target_archE910ELNS1_3gpuE8ELNS1_3repE0EEENS1_47radix_sort_onesweep_sort_config_static_selectorELNS0_4arch9wavefront6targetE1EEEvSG_: ; @_ZN7rocprim17ROCPRIM_400000_NS6detail17trampoline_kernelINS0_14default_configENS1_35radix_sort_onesweep_config_selectorIslEEZZNS1_29radix_sort_onesweep_iterationIS3_Lb0EPsS7_N6thrust23THRUST_200600_302600_NS10device_ptrIlEESB_jNS0_19identity_decomposerENS1_16block_id_wrapperIjLb0EEEEE10hipError_tT1_PNSt15iterator_traitsISG_E10value_typeET2_T3_PNSH_ISM_E10value_typeET4_T5_PSR_SS_PNS1_23onesweep_lookback_stateEbbT6_jjT7_P12ihipStream_tbENKUlT_T0_SG_SL_E_clIS7_S7_SB_SB_EEDaSZ_S10_SG_SL_EUlSZ_E_NS1_11comp_targetILNS1_3genE4ELNS1_11target_archE910ELNS1_3gpuE8ELNS1_3repE0EEENS1_47radix_sort_onesweep_sort_config_static_selectorELNS0_4arch9wavefront6targetE1EEEvSG_
; %bb.0:
	s_load_dwordx8 s[36:43], s[4:5], 0x0
	s_load_dwordx4 s[44:47], s[4:5], 0x44
	s_load_dwordx4 s[28:31], s[4:5], 0x28
	s_load_dwordx2 s[34:35], s[4:5], 0x38
	v_mbcnt_lo_u32_b32 v1, -1, 0
	s_waitcnt lgkmcnt(0)
	s_cmp_ge_u32 s6, s46
	s_cbranch_scc0 .LBB1429_84
; %bb.1:
	s_load_dword s0, s[4:5], 0x20
	s_lshl_b32 s1, s46, 13
	s_lshl_b32 s46, s6, 13
	s_mov_b32 s47, 0
	v_mbcnt_hi_u32_b32 v14, -1, v1
	s_waitcnt lgkmcnt(0)
	s_sub_i32 s7, s0, s1
	s_lshl_b64 s[0:1], s[46:47], 1
	v_and_b32_e32 v10, 0x3ff, v0
	s_add_u32 s0, s36, s0
	v_and_b32_e32 v13, 63, v14
	s_addc_u32 s1, s37, s1
	v_lshlrev_b32_e32 v11, 3, v10
	v_lshlrev_b32_e32 v2, 1, v13
	v_and_b32_e32 v12, 0x1e00, v11
	v_mov_b32_e32 v3, s1
	v_add_co_u32_e32 v2, vcc, s0, v2
	v_addc_co_u32_e32 v3, vcc, 0, v3, vcc
	v_lshlrev_b32_e32 v4, 1, v12
	s_mov_b32 s0, 0x7fff7fff
	v_add_co_u32_e32 v6, vcc, v2, v4
	s_mov_b32 s2, s0
	s_mov_b32 s3, s0
	v_addc_co_u32_e32 v7, vcc, 0, v3, vcc
	v_or_b32_e32 v8, v13, v12
	s_mov_b32 s1, s0
	v_pk_mov_b32 v[4:5], s[2:3], s[2:3] op_sel:[0,1]
	v_cmp_gt_u32_e32 vcc, s7, v8
	v_pk_mov_b32 v[2:3], s[0:1], s[0:1] op_sel:[0,1]
	s_and_saveexec_b64 s[0:1], vcc
	s_cbranch_execz .LBB1429_3
; %bb.2:
	global_load_ushort v2, v[6:7], off
	s_movk_i32 s2, 0x7fff
	v_mov_b32_e32 v5, 0x5040100
	v_mov_b32_e32 v3, 0x7fff7fff
	;; [unrolled: 1-line block ×3, first 2 shown]
	s_waitcnt vmcnt(0)
	v_perm_b32 v2, s2, v2, v5
	v_mov_b32_e32 v5, v3
.LBB1429_3:
	s_or_b64 exec, exec, s[0:1]
	v_or_b32_e32 v9, 64, v8
	v_cmp_gt_u32_e64 s[0:1], s7, v9
	s_and_saveexec_b64 s[2:3], s[0:1]
	s_cbranch_execz .LBB1429_5
; %bb.4:
	global_load_ushort v9, v[6:7], off offset:128
	s_mov_b32 s8, 0x5040100
	s_waitcnt vmcnt(0)
	v_perm_b32 v2, v9, v2, s8
.LBB1429_5:
	s_or_b64 exec, exec, s[2:3]
	v_or_b32_e32 v9, 0x80, v8
	v_cmp_gt_u32_e64 s[2:3], s7, v9
	s_and_saveexec_b64 s[8:9], s[2:3]
	s_cbranch_execz .LBB1429_7
; %bb.6:
	global_load_ushort v9, v[6:7], off offset:256
	s_mov_b32 s10, 0xffff
	s_waitcnt vmcnt(0)
	v_bfi_b32 v3, s10, v9, v3
.LBB1429_7:
	s_or_b64 exec, exec, s[8:9]
	v_or_b32_e32 v9, 0xc0, v8
	v_cmp_gt_u32_e64 s[24:25], s7, v9
	s_and_saveexec_b64 s[8:9], s[24:25]
	s_cbranch_execz .LBB1429_9
; %bb.8:
	global_load_ushort v9, v[6:7], off offset:384
	s_mov_b32 s10, 0x5040100
	s_waitcnt vmcnt(0)
	v_perm_b32 v3, v9, v3, s10
.LBB1429_9:
	s_or_b64 exec, exec, s[8:9]
	v_or_b32_e32 v9, 0x100, v8
	v_cmp_gt_u32_e64 s[8:9], s7, v9
	s_and_saveexec_b64 s[10:11], s[8:9]
	s_cbranch_execz .LBB1429_11
; %bb.10:
	global_load_ushort v9, v[6:7], off offset:512
	s_mov_b32 s12, 0xffff
	s_waitcnt vmcnt(0)
	v_bfi_b32 v4, s12, v9, v4
.LBB1429_11:
	;; [unrolled: 22-line block ×3, first 2 shown]
	s_or_b64 exec, exec, s[14:15]
	v_or_b32_e32 v8, 0x1c0, v8
	v_cmp_gt_u32_e64 s[14:15], s7, v8
	s_and_saveexec_b64 s[16:17], s[14:15]
	s_cbranch_execz .LBB1429_17
; %bb.16:
	global_load_ushort v6, v[6:7], off offset:896
	s_mov_b32 s18, 0x5040100
	s_waitcnt vmcnt(0)
	v_perm_b32 v5, v6, v5, s18
.LBB1429_17:
	s_or_b64 exec, exec, s[16:17]
	s_load_dword s16, s[4:5], 0x64
	s_load_dword s33, s[4:5], 0x58
	s_add_u32 s17, s4, 0x58
	s_addc_u32 s18, s5, 0
	v_mov_b32_e32 v6, 0
	s_waitcnt lgkmcnt(0)
	s_lshr_b32 s19, s16, 16
	s_cmp_lt_u32 s6, s33
	s_cselect_b32 s16, 12, 18
	s_add_u32 s16, s17, s16
	s_addc_u32 s17, s18, 0
	global_load_ushort v8, v6, s[16:17]
	v_xor_b32_e32 v15, 0xffff8000, v2
	s_lshl_b32 s16, -1, s45
	v_lshrrev_b32_sdwa v17, s44, v15 dst_sel:DWORD dst_unused:UNUSED_PAD src0_sel:DWORD src1_sel:WORD_0
	s_not_b32 s50, s16
	v_and_b32_e32 v17, s50, v17
	v_and_b32_e32 v19, 1, v17
	v_bfe_u32 v7, v0, 10, 10
	v_bfe_u32 v9, v0, 20, 10
	v_add_co_u32_e64 v20, s[16:17], -1, v19
	v_mad_u32_u24 v9, v9, s19, v7
	v_lshlrev_b32_e32 v7, 30, v17
	v_addc_co_u32_e64 v21, s[16:17], 0, -1, s[16:17]
	v_cmp_ne_u32_e64 s[16:17], 0, v19
	v_cmp_gt_i64_e64 s[18:19], 0, v[6:7]
	v_not_b32_e32 v19, v7
	v_lshlrev_b32_e32 v7, 29, v17
	v_xor_b32_e32 v21, s17, v21
	v_xor_b32_e32 v20, s16, v20
	v_ashrrev_i32_e32 v19, 31, v19
	v_cmp_gt_i64_e64 s[16:17], 0, v[6:7]
	v_not_b32_e32 v22, v7
	v_lshlrev_b32_e32 v7, 28, v17
	v_and_b32_e32 v21, exec_hi, v21
	v_and_b32_e32 v20, exec_lo, v20
	v_xor_b32_e32 v23, s19, v19
	v_xor_b32_e32 v19, s18, v19
	v_ashrrev_i32_e32 v22, 31, v22
	v_cmp_gt_i64_e64 s[18:19], 0, v[6:7]
	v_not_b32_e32 v24, v7
	v_lshlrev_b32_e32 v7, 27, v17
	v_and_b32_e32 v21, v21, v23
	v_and_b32_e32 v19, v20, v19
	v_xor_b32_e32 v20, s17, v22
	v_xor_b32_e32 v22, s16, v22
	v_ashrrev_i32_e32 v23, 31, v24
	v_cmp_gt_i64_e64 s[16:17], 0, v[6:7]
	v_not_b32_e32 v24, v7
	v_lshlrev_b32_e32 v7, 26, v17
	v_and_b32_e32 v20, v21, v20
	v_and_b32_e32 v19, v19, v22
	;; [unrolled: 8-line block ×3, first 2 shown]
	v_xor_b32_e32 v21, s17, v23
	v_xor_b32_e32 v22, s16, v23
	v_ashrrev_i32_e32 v23, 31, v24
	v_cmp_gt_i64_e64 s[16:17], 0, v[6:7]
	v_not_b32_e32 v24, v7
	v_lshlrev_b32_e32 v7, 24, v17
	v_mul_u32_u24_e32 v18, 17, v17
	v_and_b32_e32 v17, v20, v21
	v_and_b32_e32 v19, v19, v22
	v_xor_b32_e32 v20, s19, v23
	v_xor_b32_e32 v21, s18, v23
	v_ashrrev_i32_e32 v22, 31, v24
	v_cmp_gt_i64_e64 s[18:19], 0, v[6:7]
	v_not_b32_e32 v7, v7
	v_and_b32_e32 v17, v17, v20
	v_and_b32_e32 v19, v19, v21
	v_xor_b32_e32 v20, s17, v22
	v_xor_b32_e32 v21, s16, v22
	v_ashrrev_i32_e32 v7, 31, v7
	v_and_b32_e32 v17, v17, v20
	v_and_b32_e32 v20, v19, v21
	v_mul_u32_u24_e32 v16, 5, v10
	s_movk_i32 s20, 0x8000
	v_lshlrev_b32_e32 v16, 2, v16
	ds_write2_b32 v16, v6, v6 offset0:16 offset1:17
	ds_write2_b32 v16, v6, v6 offset0:18 offset1:19
	ds_write_b32 v16, v6 offset:80
	s_waitcnt lgkmcnt(0)
	s_barrier
	s_waitcnt vmcnt(0)
	v_mad_u64_u32 v[8:9], s[16:17], v9, v8, v[10:11]
	v_lshrrev_b32_e32 v23, 6, v8
	v_xor_b32_e32 v8, s19, v7
	v_xor_b32_e32 v7, s18, v7
	v_and_b32_e32 v9, v17, v8
	v_and_b32_e32 v8, v20, v7
	v_mbcnt_lo_u32_b32 v7, v8, 0
	v_mbcnt_hi_u32_b32 v17, v9, v7
	v_cmp_eq_u32_e64 s[16:17], 0, v17
	v_cmp_ne_u64_e64 s[18:19], 0, v[8:9]
	v_add_lshl_u32 v19, v23, v18, 2
	s_and_b64 s[18:19], s[18:19], s[16:17]
	; wave barrier
	s_and_saveexec_b64 s[16:17], s[18:19]
	s_cbranch_execz .LBB1429_19
; %bb.18:
	v_bcnt_u32_b32 v7, v8, 0
	v_bcnt_u32_b32 v7, v9, v7
	ds_write_b32 v19, v7 offset:64
.LBB1429_19:
	s_or_b64 exec, exec, s[16:17]
	v_xor_b32_sdwa v18, v2, s20 dst_sel:DWORD dst_unused:UNUSED_PAD src0_sel:WORD_1 src1_sel:DWORD
	v_lshrrev_b32_sdwa v2, s44, v18 dst_sel:DWORD dst_unused:UNUSED_PAD src0_sel:DWORD src1_sel:WORD_0
	v_and_b32_e32 v2, s50, v2
	v_mul_u32_u24_e32 v7, 17, v2
	v_add_lshl_u32 v20, v23, v7, 2
	v_and_b32_e32 v7, 1, v2
	v_add_co_u32_e64 v8, s[16:17], -1, v7
	v_addc_co_u32_e64 v9, s[16:17], 0, -1, s[16:17]
	v_cmp_ne_u32_e64 s[16:17], 0, v7
	v_xor_b32_e32 v7, s17, v9
	v_and_b32_e32 v9, exec_hi, v7
	v_lshlrev_b32_e32 v7, 30, v2
	v_xor_b32_e32 v8, s16, v8
	v_cmp_gt_i64_e64 s[16:17], 0, v[6:7]
	v_not_b32_e32 v7, v7
	v_ashrrev_i32_e32 v7, 31, v7
	v_and_b32_e32 v8, exec_lo, v8
	v_xor_b32_e32 v21, s17, v7
	v_xor_b32_e32 v7, s16, v7
	v_and_b32_e32 v8, v8, v7
	v_lshlrev_b32_e32 v7, 29, v2
	v_cmp_gt_i64_e64 s[16:17], 0, v[6:7]
	v_not_b32_e32 v7, v7
	v_ashrrev_i32_e32 v7, 31, v7
	v_and_b32_e32 v9, v9, v21
	v_xor_b32_e32 v21, s17, v7
	v_xor_b32_e32 v7, s16, v7
	v_and_b32_e32 v8, v8, v7
	v_lshlrev_b32_e32 v7, 28, v2
	v_cmp_gt_i64_e64 s[16:17], 0, v[6:7]
	v_not_b32_e32 v7, v7
	v_ashrrev_i32_e32 v7, 31, v7
	v_and_b32_e32 v9, v9, v21
	;; [unrolled: 8-line block ×5, first 2 shown]
	v_xor_b32_e32 v21, s17, v7
	v_xor_b32_e32 v7, s16, v7
	v_and_b32_e32 v8, v8, v7
	v_lshlrev_b32_e32 v7, 24, v2
	v_not_b32_e32 v2, v7
	v_cmp_gt_i64_e64 s[16:17], 0, v[6:7]
	v_ashrrev_i32_e32 v2, 31, v2
	v_and_b32_e32 v9, v9, v21
	v_xor_b32_e32 v6, s17, v2
	v_xor_b32_e32 v2, s16, v2
	; wave barrier
	ds_read_b32 v30, v20 offset:64
	v_and_b32_e32 v7, v9, v6
	v_and_b32_e32 v6, v8, v2
	v_mbcnt_lo_u32_b32 v2, v6, 0
	v_mbcnt_hi_u32_b32 v31, v7, v2
	v_cmp_eq_u32_e64 s[16:17], 0, v31
	v_cmp_ne_u64_e64 s[18:19], 0, v[6:7]
	s_and_b64 s[18:19], s[18:19], s[16:17]
	; wave barrier
	s_and_saveexec_b64 s[16:17], s[18:19]
	s_cbranch_execz .LBB1429_21
; %bb.20:
	v_bcnt_u32_b32 v2, v6, 0
	v_bcnt_u32_b32 v2, v7, v2
	s_waitcnt lgkmcnt(0)
	v_add_u32_e32 v2, v30, v2
	ds_write_b32 v20, v2 offset:64
.LBB1429_21:
	s_or_b64 exec, exec, s[16:17]
	v_xor_b32_e32 v21, 0xffff8000, v3
	v_lshrrev_b32_sdwa v2, s44, v21 dst_sel:DWORD dst_unused:UNUSED_PAD src0_sel:DWORD src1_sel:WORD_0
	v_and_b32_e32 v2, s50, v2
	v_and_b32_e32 v7, 1, v2
	v_add_co_u32_e64 v8, s[16:17], -1, v7
	v_addc_co_u32_e64 v9, s[16:17], 0, -1, s[16:17]
	v_cmp_ne_u32_e64 s[16:17], 0, v7
	v_mul_u32_u24_e32 v6, 17, v2
	v_xor_b32_e32 v7, s17, v9
	v_add_lshl_u32 v22, v23, v6, 2
	v_mov_b32_e32 v6, 0
	v_and_b32_e32 v9, exec_hi, v7
	v_lshlrev_b32_e32 v7, 30, v2
	v_xor_b32_e32 v8, s16, v8
	v_cmp_gt_i64_e64 s[16:17], 0, v[6:7]
	v_not_b32_e32 v7, v7
	v_ashrrev_i32_e32 v7, 31, v7
	v_and_b32_e32 v8, exec_lo, v8
	v_xor_b32_e32 v24, s17, v7
	v_xor_b32_e32 v7, s16, v7
	v_and_b32_e32 v8, v8, v7
	v_lshlrev_b32_e32 v7, 29, v2
	v_cmp_gt_i64_e64 s[16:17], 0, v[6:7]
	v_not_b32_e32 v7, v7
	v_ashrrev_i32_e32 v7, 31, v7
	v_and_b32_e32 v9, v9, v24
	v_xor_b32_e32 v24, s17, v7
	v_xor_b32_e32 v7, s16, v7
	v_and_b32_e32 v8, v8, v7
	v_lshlrev_b32_e32 v7, 28, v2
	v_cmp_gt_i64_e64 s[16:17], 0, v[6:7]
	v_not_b32_e32 v7, v7
	v_ashrrev_i32_e32 v7, 31, v7
	v_and_b32_e32 v9, v9, v24
	;; [unrolled: 8-line block ×5, first 2 shown]
	v_xor_b32_e32 v24, s17, v7
	v_xor_b32_e32 v7, s16, v7
	v_and_b32_e32 v8, v8, v7
	v_lshlrev_b32_e32 v7, 24, v2
	v_not_b32_e32 v2, v7
	v_cmp_gt_i64_e64 s[16:17], 0, v[6:7]
	v_ashrrev_i32_e32 v2, 31, v2
	v_xor_b32_e32 v7, s17, v2
	v_xor_b32_e32 v2, s16, v2
	; wave barrier
	ds_read_b32 v32, v22 offset:64
	v_and_b32_e32 v9, v9, v24
	v_and_b32_e32 v8, v8, v2
	;; [unrolled: 1-line block ×3, first 2 shown]
	v_mbcnt_lo_u32_b32 v2, v8, 0
	v_mbcnt_hi_u32_b32 v33, v9, v2
	v_cmp_eq_u32_e64 s[16:17], 0, v33
	v_cmp_ne_u64_e64 s[18:19], 0, v[8:9]
	s_and_b64 s[18:19], s[18:19], s[16:17]
	; wave barrier
	s_and_saveexec_b64 s[16:17], s[18:19]
	s_cbranch_execz .LBB1429_23
; %bb.22:
	v_bcnt_u32_b32 v2, v8, 0
	v_bcnt_u32_b32 v2, v9, v2
	s_waitcnt lgkmcnt(0)
	v_add_u32_e32 v2, v32, v2
	ds_write_b32 v22, v2 offset:64
.LBB1429_23:
	s_or_b64 exec, exec, s[16:17]
	v_xor_b32_sdwa v8, v3, s20 dst_sel:DWORD dst_unused:UNUSED_PAD src0_sel:WORD_1 src1_sel:DWORD
	v_lshrrev_b32_sdwa v2, s44, v8 dst_sel:DWORD dst_unused:UNUSED_PAD src0_sel:DWORD src1_sel:WORD_0
	v_and_b32_e32 v2, s50, v2
	v_mul_u32_u24_e32 v3, 17, v2
	v_add_lshl_u32 v9, v23, v3, 2
	v_and_b32_e32 v3, 1, v2
	v_add_co_u32_e64 v7, s[16:17], -1, v3
	v_addc_co_u32_e64 v24, s[16:17], 0, -1, s[16:17]
	v_cmp_ne_u32_e64 s[16:17], 0, v3
	v_xor_b32_e32 v7, s16, v7
	v_xor_b32_e32 v3, s17, v24
	v_and_b32_e32 v24, exec_lo, v7
	v_lshlrev_b32_e32 v7, 30, v2
	v_cmp_gt_i64_e64 s[16:17], 0, v[6:7]
	v_not_b32_e32 v7, v7
	v_ashrrev_i32_e32 v7, 31, v7
	v_xor_b32_e32 v25, s17, v7
	v_xor_b32_e32 v7, s16, v7
	v_and_b32_e32 v24, v24, v7
	v_lshlrev_b32_e32 v7, 29, v2
	v_cmp_gt_i64_e64 s[16:17], 0, v[6:7]
	v_not_b32_e32 v7, v7
	v_and_b32_e32 v3, exec_hi, v3
	v_ashrrev_i32_e32 v7, 31, v7
	v_and_b32_e32 v3, v3, v25
	v_xor_b32_e32 v25, s17, v7
	v_xor_b32_e32 v7, s16, v7
	v_and_b32_e32 v24, v24, v7
	v_lshlrev_b32_e32 v7, 28, v2
	v_cmp_gt_i64_e64 s[16:17], 0, v[6:7]
	v_not_b32_e32 v7, v7
	v_ashrrev_i32_e32 v7, 31, v7
	v_and_b32_e32 v3, v3, v25
	v_xor_b32_e32 v25, s17, v7
	v_xor_b32_e32 v7, s16, v7
	v_and_b32_e32 v24, v24, v7
	v_lshlrev_b32_e32 v7, 27, v2
	v_cmp_gt_i64_e64 s[16:17], 0, v[6:7]
	v_not_b32_e32 v7, v7
	;; [unrolled: 8-line block ×4, first 2 shown]
	v_ashrrev_i32_e32 v7, 31, v7
	v_and_b32_e32 v3, v3, v25
	v_xor_b32_e32 v25, s17, v7
	v_xor_b32_e32 v7, s16, v7
	v_and_b32_e32 v24, v24, v7
	v_lshlrev_b32_e32 v7, 24, v2
	v_not_b32_e32 v2, v7
	v_cmp_gt_i64_e64 s[16:17], 0, v[6:7]
	v_ashrrev_i32_e32 v2, 31, v2
	v_xor_b32_e32 v6, s17, v2
	v_xor_b32_e32 v2, s16, v2
	; wave barrier
	ds_read_b32 v34, v9 offset:64
	v_and_b32_e32 v3, v3, v25
	v_and_b32_e32 v2, v24, v2
	;; [unrolled: 1-line block ×3, first 2 shown]
	v_mbcnt_lo_u32_b32 v6, v2, 0
	v_mbcnt_hi_u32_b32 v35, v3, v6
	v_cmp_eq_u32_e64 s[16:17], 0, v35
	v_cmp_ne_u64_e64 s[18:19], 0, v[2:3]
	s_and_b64 s[18:19], s[18:19], s[16:17]
	; wave barrier
	s_and_saveexec_b64 s[16:17], s[18:19]
	s_cbranch_execz .LBB1429_25
; %bb.24:
	v_bcnt_u32_b32 v2, v2, 0
	v_bcnt_u32_b32 v2, v3, v2
	s_waitcnt lgkmcnt(0)
	v_add_u32_e32 v2, v34, v2
	ds_write_b32 v9, v2 offset:64
.LBB1429_25:
	s_or_b64 exec, exec, s[16:17]
	v_xor_b32_e32 v24, 0xffff8000, v4
	v_lshrrev_b32_sdwa v2, s44, v24 dst_sel:DWORD dst_unused:UNUSED_PAD src0_sel:DWORD src1_sel:WORD_0
	v_and_b32_e32 v6, s50, v2
	v_and_b32_e32 v3, 1, v6
	v_add_co_u32_e64 v7, s[16:17], -1, v3
	v_addc_co_u32_e64 v26, s[16:17], 0, -1, s[16:17]
	v_cmp_ne_u32_e64 s[16:17], 0, v3
	v_mul_u32_u24_e32 v2, 17, v6
	v_xor_b32_e32 v3, s17, v26
	v_add_lshl_u32 v25, v23, v2, 2
	v_mov_b32_e32 v2, 0
	v_and_b32_e32 v26, exec_hi, v3
	v_lshlrev_b32_e32 v3, 30, v6
	v_xor_b32_e32 v7, s16, v7
	v_cmp_gt_i64_e64 s[16:17], 0, v[2:3]
	v_not_b32_e32 v3, v3
	v_ashrrev_i32_e32 v3, 31, v3
	v_and_b32_e32 v7, exec_lo, v7
	v_xor_b32_e32 v27, s17, v3
	v_xor_b32_e32 v3, s16, v3
	v_and_b32_e32 v7, v7, v3
	v_lshlrev_b32_e32 v3, 29, v6
	v_cmp_gt_i64_e64 s[16:17], 0, v[2:3]
	v_not_b32_e32 v3, v3
	v_ashrrev_i32_e32 v3, 31, v3
	v_and_b32_e32 v26, v26, v27
	v_xor_b32_e32 v27, s17, v3
	v_xor_b32_e32 v3, s16, v3
	v_and_b32_e32 v7, v7, v3
	v_lshlrev_b32_e32 v3, 28, v6
	v_cmp_gt_i64_e64 s[16:17], 0, v[2:3]
	v_not_b32_e32 v3, v3
	v_ashrrev_i32_e32 v3, 31, v3
	v_and_b32_e32 v26, v26, v27
	;; [unrolled: 8-line block ×5, first 2 shown]
	v_xor_b32_e32 v27, s17, v3
	v_xor_b32_e32 v3, s16, v3
	v_and_b32_e32 v26, v26, v27
	v_and_b32_e32 v27, v7, v3
	v_lshlrev_b32_e32 v3, 24, v6
	v_cmp_gt_i64_e64 s[16:17], 0, v[2:3]
	v_not_b32_e32 v3, v3
	v_ashrrev_i32_e32 v3, 31, v3
	v_xor_b32_e32 v6, s17, v3
	v_xor_b32_e32 v3, s16, v3
	; wave barrier
	ds_read_b32 v36, v25 offset:64
	v_and_b32_e32 v7, v26, v6
	v_and_b32_e32 v6, v27, v3
	v_mbcnt_lo_u32_b32 v3, v6, 0
	v_mbcnt_hi_u32_b32 v37, v7, v3
	v_cmp_eq_u32_e64 s[16:17], 0, v37
	v_cmp_ne_u64_e64 s[18:19], 0, v[6:7]
	s_and_b64 s[18:19], s[18:19], s[16:17]
	; wave barrier
	s_and_saveexec_b64 s[16:17], s[18:19]
	s_cbranch_execz .LBB1429_27
; %bb.26:
	v_bcnt_u32_b32 v3, v6, 0
	v_bcnt_u32_b32 v3, v7, v3
	s_waitcnt lgkmcnt(0)
	v_add_u32_e32 v3, v36, v3
	ds_write_b32 v25, v3 offset:64
.LBB1429_27:
	s_or_b64 exec, exec, s[16:17]
	v_xor_b32_sdwa v26, v4, s20 dst_sel:DWORD dst_unused:UNUSED_PAD src0_sel:WORD_1 src1_sel:DWORD
	v_lshrrev_b32_sdwa v3, s44, v26 dst_sel:DWORD dst_unused:UNUSED_PAD src0_sel:DWORD src1_sel:WORD_0
	v_and_b32_e32 v4, s50, v3
	v_mul_u32_u24_e32 v3, 17, v4
	v_add_lshl_u32 v27, v23, v3, 2
	v_and_b32_e32 v3, 1, v4
	v_add_co_u32_e64 v6, s[16:17], -1, v3
	v_addc_co_u32_e64 v7, s[16:17], 0, -1, s[16:17]
	v_cmp_ne_u32_e64 s[16:17], 0, v3
	v_xor_b32_e32 v3, s17, v7
	v_and_b32_e32 v7, exec_hi, v3
	v_lshlrev_b32_e32 v3, 30, v4
	v_xor_b32_e32 v6, s16, v6
	v_cmp_gt_i64_e64 s[16:17], 0, v[2:3]
	v_not_b32_e32 v3, v3
	v_ashrrev_i32_e32 v3, 31, v3
	v_and_b32_e32 v6, exec_lo, v6
	v_xor_b32_e32 v28, s17, v3
	v_xor_b32_e32 v3, s16, v3
	v_and_b32_e32 v6, v6, v3
	v_lshlrev_b32_e32 v3, 29, v4
	v_cmp_gt_i64_e64 s[16:17], 0, v[2:3]
	v_not_b32_e32 v3, v3
	v_ashrrev_i32_e32 v3, 31, v3
	v_and_b32_e32 v7, v7, v28
	v_xor_b32_e32 v28, s17, v3
	v_xor_b32_e32 v3, s16, v3
	v_and_b32_e32 v6, v6, v3
	v_lshlrev_b32_e32 v3, 28, v4
	v_cmp_gt_i64_e64 s[16:17], 0, v[2:3]
	v_not_b32_e32 v3, v3
	v_ashrrev_i32_e32 v3, 31, v3
	v_and_b32_e32 v7, v7, v28
	;; [unrolled: 8-line block ×5, first 2 shown]
	v_xor_b32_e32 v28, s17, v3
	v_xor_b32_e32 v3, s16, v3
	v_and_b32_e32 v6, v6, v3
	v_lshlrev_b32_e32 v3, 24, v4
	v_cmp_gt_i64_e64 s[16:17], 0, v[2:3]
	v_not_b32_e32 v2, v3
	v_ashrrev_i32_e32 v2, 31, v2
	v_xor_b32_e32 v3, s17, v2
	v_xor_b32_e32 v2, s16, v2
	; wave barrier
	ds_read_b32 v38, v27 offset:64
	v_and_b32_e32 v7, v7, v28
	v_and_b32_e32 v2, v6, v2
	;; [unrolled: 1-line block ×3, first 2 shown]
	v_mbcnt_lo_u32_b32 v4, v2, 0
	v_mbcnt_hi_u32_b32 v39, v3, v4
	v_cmp_eq_u32_e64 s[16:17], 0, v39
	v_cmp_ne_u64_e64 s[18:19], 0, v[2:3]
	s_and_b64 s[18:19], s[18:19], s[16:17]
	; wave barrier
	s_and_saveexec_b64 s[16:17], s[18:19]
	s_cbranch_execz .LBB1429_29
; %bb.28:
	v_bcnt_u32_b32 v2, v2, 0
	v_bcnt_u32_b32 v2, v3, v2
	s_waitcnt lgkmcnt(0)
	v_add_u32_e32 v2, v38, v2
	ds_write_b32 v27, v2 offset:64
.LBB1429_29:
	s_or_b64 exec, exec, s[16:17]
	v_xor_b32_e32 v28, 0xffff8000, v5
	v_lshrrev_b32_sdwa v2, s44, v28 dst_sel:DWORD dst_unused:UNUSED_PAD src0_sel:DWORD src1_sel:WORD_0
	v_and_b32_e32 v4, s50, v2
	v_and_b32_e32 v3, 1, v4
	v_add_co_u32_e64 v6, s[16:17], -1, v3
	v_addc_co_u32_e64 v7, s[16:17], 0, -1, s[16:17]
	v_cmp_ne_u32_e64 s[16:17], 0, v3
	v_mul_u32_u24_e32 v2, 17, v4
	v_xor_b32_e32 v3, s17, v7
	v_add_lshl_u32 v29, v23, v2, 2
	v_mov_b32_e32 v2, 0
	v_and_b32_e32 v7, exec_hi, v3
	v_lshlrev_b32_e32 v3, 30, v4
	v_xor_b32_e32 v6, s16, v6
	v_cmp_gt_i64_e64 s[16:17], 0, v[2:3]
	v_not_b32_e32 v3, v3
	v_ashrrev_i32_e32 v3, 31, v3
	v_and_b32_e32 v6, exec_lo, v6
	v_xor_b32_e32 v41, s17, v3
	v_xor_b32_e32 v3, s16, v3
	v_and_b32_e32 v6, v6, v3
	v_lshlrev_b32_e32 v3, 29, v4
	v_cmp_gt_i64_e64 s[16:17], 0, v[2:3]
	v_not_b32_e32 v3, v3
	v_ashrrev_i32_e32 v3, 31, v3
	v_and_b32_e32 v7, v7, v41
	v_xor_b32_e32 v41, s17, v3
	v_xor_b32_e32 v3, s16, v3
	v_and_b32_e32 v6, v6, v3
	v_lshlrev_b32_e32 v3, 28, v4
	v_cmp_gt_i64_e64 s[16:17], 0, v[2:3]
	v_not_b32_e32 v3, v3
	v_ashrrev_i32_e32 v3, 31, v3
	v_and_b32_e32 v7, v7, v41
	v_xor_b32_e32 v41, s17, v3
	v_xor_b32_e32 v3, s16, v3
	v_and_b32_e32 v6, v6, v3
	v_lshlrev_b32_e32 v3, 27, v4
	v_cmp_gt_i64_e64 s[16:17], 0, v[2:3]
	v_not_b32_e32 v3, v3
	v_ashrrev_i32_e32 v3, 31, v3
	v_and_b32_e32 v7, v7, v41
	v_xor_b32_e32 v41, s17, v3
	v_xor_b32_e32 v3, s16, v3
	v_and_b32_e32 v6, v6, v3
	v_lshlrev_b32_e32 v3, 26, v4
	v_cmp_gt_i64_e64 s[16:17], 0, v[2:3]
	v_not_b32_e32 v3, v3
	v_ashrrev_i32_e32 v3, 31, v3
	v_and_b32_e32 v7, v7, v41
	v_xor_b32_e32 v41, s17, v3
	v_xor_b32_e32 v3, s16, v3
	v_and_b32_e32 v6, v6, v3
	v_lshlrev_b32_e32 v3, 25, v4
	v_cmp_gt_i64_e64 s[16:17], 0, v[2:3]
	v_not_b32_e32 v3, v3
	v_ashrrev_i32_e32 v3, 31, v3
	v_and_b32_e32 v7, v7, v41
	v_xor_b32_e32 v41, s17, v3
	v_xor_b32_e32 v3, s16, v3
	v_and_b32_e32 v6, v6, v3
	v_lshlrev_b32_e32 v3, 24, v4
	v_cmp_gt_i64_e64 s[16:17], 0, v[2:3]
	v_not_b32_e32 v3, v3
	v_ashrrev_i32_e32 v3, 31, v3
	v_xor_b32_e32 v4, s17, v3
	v_xor_b32_e32 v3, s16, v3
	; wave barrier
	ds_read_b32 v40, v29 offset:64
	v_and_b32_e32 v7, v7, v41
	v_and_b32_e32 v6, v6, v3
	v_and_b32_e32 v7, v7, v4
	v_mbcnt_lo_u32_b32 v3, v6, 0
	v_mbcnt_hi_u32_b32 v41, v7, v3
	v_cmp_eq_u32_e64 s[16:17], 0, v41
	v_cmp_ne_u64_e64 s[18:19], 0, v[6:7]
	s_and_b64 s[18:19], s[18:19], s[16:17]
	; wave barrier
	s_and_saveexec_b64 s[16:17], s[18:19]
	s_cbranch_execz .LBB1429_31
; %bb.30:
	v_bcnt_u32_b32 v3, v6, 0
	v_bcnt_u32_b32 v3, v7, v3
	s_waitcnt lgkmcnt(0)
	v_add_u32_e32 v3, v40, v3
	ds_write_b32 v29, v3 offset:64
.LBB1429_31:
	s_or_b64 exec, exec, s[16:17]
	v_xor_b32_sdwa v6, v5, s20 dst_sel:DWORD dst_unused:UNUSED_PAD src0_sel:WORD_1 src1_sel:DWORD
	v_lshrrev_b32_sdwa v3, s44, v6 dst_sel:DWORD dst_unused:UNUSED_PAD src0_sel:DWORD src1_sel:WORD_0
	v_and_b32_e32 v4, s50, v3
	v_mul_u32_u24_e32 v3, 17, v4
	v_add_lshl_u32 v7, v23, v3, 2
	v_and_b32_e32 v3, 1, v4
	v_add_co_u32_e64 v5, s[16:17], -1, v3
	v_addc_co_u32_e64 v23, s[16:17], 0, -1, s[16:17]
	v_cmp_ne_u32_e64 s[16:17], 0, v3
	v_xor_b32_e32 v3, s17, v23
	v_and_b32_e32 v23, exec_hi, v3
	v_lshlrev_b32_e32 v3, 30, v4
	v_xor_b32_e32 v5, s16, v5
	v_cmp_gt_i64_e64 s[16:17], 0, v[2:3]
	v_not_b32_e32 v3, v3
	v_ashrrev_i32_e32 v3, 31, v3
	v_and_b32_e32 v5, exec_lo, v5
	v_xor_b32_e32 v44, s17, v3
	v_xor_b32_e32 v3, s16, v3
	v_and_b32_e32 v5, v5, v3
	v_lshlrev_b32_e32 v3, 29, v4
	v_cmp_gt_i64_e64 s[16:17], 0, v[2:3]
	v_not_b32_e32 v3, v3
	v_ashrrev_i32_e32 v3, 31, v3
	v_and_b32_e32 v23, v23, v44
	v_xor_b32_e32 v44, s17, v3
	v_xor_b32_e32 v3, s16, v3
	v_and_b32_e32 v5, v5, v3
	v_lshlrev_b32_e32 v3, 28, v4
	v_cmp_gt_i64_e64 s[16:17], 0, v[2:3]
	v_not_b32_e32 v3, v3
	v_ashrrev_i32_e32 v3, 31, v3
	v_and_b32_e32 v23, v23, v44
	;; [unrolled: 8-line block ×5, first 2 shown]
	v_xor_b32_e32 v44, s17, v3
	v_xor_b32_e32 v3, s16, v3
	v_and_b32_e32 v5, v5, v3
	v_lshlrev_b32_e32 v3, 24, v4
	v_cmp_gt_i64_e64 s[16:17], 0, v[2:3]
	v_not_b32_e32 v2, v3
	v_ashrrev_i32_e32 v2, 31, v2
	v_xor_b32_e32 v3, s17, v2
	v_xor_b32_e32 v2, s16, v2
	; wave barrier
	ds_read_b32 v42, v7 offset:64
	v_and_b32_e32 v23, v23, v44
	v_and_b32_e32 v2, v5, v2
	;; [unrolled: 1-line block ×3, first 2 shown]
	v_mbcnt_lo_u32_b32 v4, v2, 0
	v_mbcnt_hi_u32_b32 v45, v3, v4
	v_cmp_eq_u32_e64 s[16:17], 0, v45
	v_cmp_ne_u64_e64 s[18:19], 0, v[2:3]
	v_add_u32_e32 v43, 64, v16
	s_and_b64 s[18:19], s[18:19], s[16:17]
	; wave barrier
	s_and_saveexec_b64 s[16:17], s[18:19]
	s_cbranch_execz .LBB1429_33
; %bb.32:
	v_bcnt_u32_b32 v2, v2, 0
	v_bcnt_u32_b32 v2, v3, v2
	s_waitcnt lgkmcnt(0)
	v_add_u32_e32 v2, v42, v2
	ds_write_b32 v7, v2 offset:64
.LBB1429_33:
	s_or_b64 exec, exec, s[16:17]
	; wave barrier
	s_waitcnt lgkmcnt(0)
	s_barrier
	ds_read2_b32 v[4:5], v16 offset0:16 offset1:17
	ds_read2_b32 v[2:3], v43 offset0:2 offset1:3
	ds_read_b32 v23, v43 offset:16
	v_cmp_lt_u32_e64 s[26:27], 31, v14
	s_waitcnt lgkmcnt(1)
	v_add3_u32 v44, v5, v4, v2
	s_waitcnt lgkmcnt(0)
	v_add3_u32 v23, v44, v3, v23
	v_and_b32_e32 v44, 15, v14
	v_cmp_eq_u32_e64 s[16:17], 0, v44
	v_mov_b32_dpp v46, v23 row_shr:1 row_mask:0xf bank_mask:0xf
	v_cndmask_b32_e64 v46, v46, 0, s[16:17]
	v_add_u32_e32 v23, v46, v23
	v_cmp_lt_u32_e64 s[18:19], 1, v44
	v_cmp_lt_u32_e64 s[20:21], 3, v44
	v_mov_b32_dpp v46, v23 row_shr:2 row_mask:0xf bank_mask:0xf
	v_cndmask_b32_e64 v46, 0, v46, s[18:19]
	v_add_u32_e32 v23, v23, v46
	v_cmp_lt_u32_e64 s[22:23], 7, v44
	s_nop 0
	v_mov_b32_dpp v46, v23 row_shr:4 row_mask:0xf bank_mask:0xf
	v_cndmask_b32_e64 v46, 0, v46, s[20:21]
	v_add_u32_e32 v23, v23, v46
	s_nop 1
	v_mov_b32_dpp v46, v23 row_shr:8 row_mask:0xf bank_mask:0xf
	v_cndmask_b32_e64 v44, 0, v46, s[22:23]
	v_add_u32_e32 v23, v23, v44
	v_bfe_i32 v46, v14, 4, 1
	s_nop 0
	v_mov_b32_dpp v44, v23 row_bcast:15 row_mask:0xf bank_mask:0xf
	v_and_b32_e32 v44, v46, v44
	v_add_u32_e32 v23, v23, v44
	v_lshrrev_b32_e32 v46, 6, v10
	s_nop 0
	v_mov_b32_dpp v44, v23 row_bcast:31 row_mask:0xf bank_mask:0xf
	v_cndmask_b32_e64 v44, 0, v44, s[26:27]
	v_add_u32_e32 v44, v23, v44
	v_and_b32_e32 v23, 63, v10
	v_cmp_eq_u32_e64 s[26:27], 63, v23
	s_and_saveexec_b64 s[48:49], s[26:27]
	s_cbranch_execz .LBB1429_35
; %bb.34:
	v_lshlrev_b32_e32 v23, 2, v46
	ds_write_b32 v23, v44
.LBB1429_35:
	s_or_b64 exec, exec, s[48:49]
	v_cmp_gt_u32_e64 s[26:27], 16, v10
	v_lshlrev_b32_e32 v23, 2, v10
	s_waitcnt lgkmcnt(0)
	s_barrier
	s_and_saveexec_b64 s[48:49], s[26:27]
	s_cbranch_execz .LBB1429_37
; %bb.36:
	ds_read_b32 v47, v23
	s_waitcnt lgkmcnt(0)
	s_nop 0
	v_mov_b32_dpp v48, v47 row_shr:1 row_mask:0xf bank_mask:0xf
	v_cndmask_b32_e64 v48, v48, 0, s[16:17]
	v_add_u32_e32 v47, v48, v47
	s_nop 1
	v_mov_b32_dpp v48, v47 row_shr:2 row_mask:0xf bank_mask:0xf
	v_cndmask_b32_e64 v48, 0, v48, s[18:19]
	v_add_u32_e32 v47, v47, v48
	;; [unrolled: 4-line block ×4, first 2 shown]
	ds_write_b32 v23, v47
.LBB1429_37:
	s_or_b64 exec, exec, s[48:49]
	v_cmp_lt_u32_e64 s[16:17], 63, v10
	v_mov_b32_e32 v47, 0
	s_waitcnt lgkmcnt(0)
	s_barrier
	s_and_saveexec_b64 s[18:19], s[16:17]
	s_cbranch_execz .LBB1429_39
; %bb.38:
	v_lshl_add_u32 v46, v46, 2, -4
	ds_read_b32 v47, v46
.LBB1429_39:
	s_or_b64 exec, exec, s[18:19]
	v_add_u32_e32 v46, -1, v14
	v_and_b32_e32 v48, 64, v14
	v_cmp_lt_i32_e64 s[16:17], v46, v48
	v_cndmask_b32_e64 v46, v46, v14, s[16:17]
	s_waitcnt lgkmcnt(0)
	v_add_u32_e32 v44, v47, v44
	v_lshlrev_b32_e32 v46, 2, v46
	ds_bpermute_b32 v44, v46, v44
	v_cmp_eq_u32_e64 s[16:17], 0, v14
	s_waitcnt lgkmcnt(0)
	v_cndmask_b32_e64 v14, v44, v47, s[16:17]
	v_cmp_ne_u32_e64 s[16:17], 0, v10
	v_cndmask_b32_e64 v14, 0, v14, s[16:17]
	v_add_u32_e32 v4, v14, v4
	v_add_u32_e32 v5, v4, v5
	;; [unrolled: 1-line block ×4, first 2 shown]
	ds_write2_b32 v16, v14, v4 offset0:16 offset1:17
	ds_write2_b32 v43, v5, v2 offset0:2 offset1:3
	ds_write_b32 v43, v3 offset:16
	s_waitcnt lgkmcnt(0)
	s_barrier
	ds_read_b32 v2, v19 offset:64
	ds_read_b32 v47, v20 offset:64
	;; [unrolled: 1-line block ×8, first 2 shown]
	s_movk_i32 s16, 0x100
	v_cmp_gt_u32_e64 s[16:17], s16, v10
                                        ; implicit-def: $vgpr43
                                        ; implicit-def: $vgpr44
	s_and_saveexec_b64 s[20:21], s[16:17]
	s_cbranch_execz .LBB1429_43
; %bb.40:
	v_mul_u32_u24_e32 v3, 17, v10
	v_lshlrev_b32_e32 v4, 2, v3
	ds_read_b32 v43, v4 offset:64
	s_movk_i32 s18, 0xff
	v_cmp_ne_u32_e64 s[18:19], s18, v10
	v_mov_b32_e32 v3, 0x2000
	s_and_saveexec_b64 s[22:23], s[18:19]
	s_cbranch_execz .LBB1429_42
; %bb.41:
	ds_read_b32 v3, v4 offset:132
.LBB1429_42:
	s_or_b64 exec, exec, s[22:23]
	s_waitcnt lgkmcnt(0)
	v_sub_u32_e32 v44, v3, v43
.LBB1429_43:
	s_or_b64 exec, exec, s[20:21]
	s_waitcnt lgkmcnt(7)
	v_add_u32_e32 v46, v2, v17
	v_add_u32_e32 v16, v31, v30
	v_lshlrev_b32_e32 v2, 1, v46
	v_add_u32_e32 v14, v33, v32
	s_waitcnt lgkmcnt(0)
	s_barrier
	ds_write_b16 v2, v15 offset:1024
	v_add_lshl_u32 v2, v16, v47, 1
	v_add_u32_e32 v9, v35, v34
	ds_write_b16 v2, v18 offset:1024
	v_add_lshl_u32 v2, v14, v48, 1
	v_add_u32_e32 v7, v37, v36
	;; [unrolled: 3-line block ×5, first 2 shown]
	ds_write_b16 v2, v26 offset:1024
	v_add_lshl_u32 v2, v4, v52, 1
	ds_write_b16 v2, v28 offset:1024
	v_add_lshl_u32 v2, v3, v53, 1
	ds_write_b16 v2, v6 offset:1024
	s_and_saveexec_b64 s[20:21], s[16:17]
	s_cbranch_execz .LBB1429_53
; %bb.44:
	v_lshl_or_b32 v2, s6, 8, v10
	v_mov_b32_e32 v3, 0
	v_lshlrev_b64 v[4:5], 2, v[2:3]
	v_mov_b32_e32 v8, s35
	v_add_co_u32_e64 v4, s[18:19], s34, v4
	v_addc_co_u32_e64 v5, s[18:19], v8, v5, s[18:19]
	v_or_b32_e32 v2, 2.0, v44
	s_mov_b64 s[22:23], 0
	s_brev_b32 s51, 1
	s_mov_b32 s52, s6
	v_mov_b32_e32 v9, 0
	global_store_dword v[4:5], v2, off
                                        ; implicit-def: $sgpr18_sgpr19
	s_branch .LBB1429_46
.LBB1429_45:                            ;   in Loop: Header=BB1429_46 Depth=1
	s_or_b64 exec, exec, s[26:27]
	v_and_b32_e32 v6, 0x3fffffff, v14
	v_add_u32_e32 v9, v6, v9
	v_cmp_eq_u32_e64 s[18:19], s51, v2
	s_and_b64 s[26:27], exec, s[18:19]
	s_or_b64 s[22:23], s[26:27], s[22:23]
	s_andn2_b64 exec, exec, s[22:23]
	s_cbranch_execz .LBB1429_52
.LBB1429_46:                            ; =>This Loop Header: Depth=1
                                        ;     Child Loop BB1429_49 Depth 2
	s_or_b64 s[18:19], s[18:19], exec
	s_cmp_eq_u32 s52, 0
	s_cbranch_scc1 .LBB1429_51
; %bb.47:                               ;   in Loop: Header=BB1429_46 Depth=1
	s_add_i32 s52, s52, -1
	v_lshl_or_b32 v2, s52, 8, v10
	v_lshlrev_b64 v[6:7], 2, v[2:3]
	v_add_co_u32_e64 v6, s[18:19], s34, v6
	v_addc_co_u32_e64 v7, s[18:19], v8, v7, s[18:19]
	global_load_dword v14, v[6:7], off glc
	s_waitcnt vmcnt(0)
	v_and_b32_e32 v2, -2.0, v14
	v_cmp_eq_u32_e64 s[18:19], 0, v2
	s_and_saveexec_b64 s[26:27], s[18:19]
	s_cbranch_execz .LBB1429_45
; %bb.48:                               ;   in Loop: Header=BB1429_46 Depth=1
	s_mov_b64 s[48:49], 0
.LBB1429_49:                            ;   Parent Loop BB1429_46 Depth=1
                                        ; =>  This Inner Loop Header: Depth=2
	global_load_dword v14, v[6:7], off glc
	s_waitcnt vmcnt(0)
	v_and_b32_e32 v2, -2.0, v14
	v_cmp_ne_u32_e64 s[18:19], 0, v2
	s_or_b64 s[48:49], s[18:19], s[48:49]
	s_andn2_b64 exec, exec, s[48:49]
	s_cbranch_execnz .LBB1429_49
; %bb.50:                               ;   in Loop: Header=BB1429_46 Depth=1
	s_or_b64 exec, exec, s[48:49]
	s_branch .LBB1429_45
.LBB1429_51:                            ;   in Loop: Header=BB1429_46 Depth=1
                                        ; implicit-def: $sgpr52
	s_and_b64 s[26:27], exec, s[18:19]
	s_or_b64 s[22:23], s[26:27], s[22:23]
	s_andn2_b64 exec, exec, s[22:23]
	s_cbranch_execnz .LBB1429_46
.LBB1429_52:
	s_or_b64 exec, exec, s[22:23]
	v_add_u32_e32 v2, v9, v44
	v_or_b32_e32 v2, 0x80000000, v2
	global_store_dword v[4:5], v2, off
	global_load_dword v2, v23, s[28:29]
	v_sub_u32_e32 v3, v9, v43
	s_waitcnt vmcnt(0)
	v_add_u32_e32 v2, v3, v2
	ds_write_b32 v23, v2
.LBB1429_53:
	s_or_b64 exec, exec, s[20:21]
	v_cmp_gt_u32_e64 s[18:19], s7, v10
	v_lshlrev_b32_e32 v14, 1, v10
	s_waitcnt lgkmcnt(0)
	s_barrier
	s_waitcnt lgkmcnt(0)
                                        ; implicit-def: $vgpr2_vgpr3_vgpr4_vgpr5_vgpr6_vgpr7_vgpr8_vgpr9
	s_and_saveexec_b64 s[20:21], s[18:19]
	s_cbranch_execz .LBB1429_55
; %bb.54:
	ds_read_u16 v3, v14 offset:1024
	v_mov_b32_e32 v5, 0
	v_mov_b32_e32 v6, s39
	s_waitcnt lgkmcnt(0)
	v_lshrrev_b32_sdwa v2, s44, v3 dst_sel:DWORD dst_unused:UNUSED_PAD src0_sel:DWORD src1_sel:WORD_0
	v_and_b32_e32 v2, s50, v2
	v_lshlrev_b32_e32 v4, 2, v2
	ds_read_b32 v4, v4
	v_xor_b32_e32 v3, 0xffff8000, v3
	s_waitcnt lgkmcnt(0)
	v_add_u32_e32 v4, v4, v10
	v_lshlrev_b64 v[4:5], 1, v[4:5]
	v_add_co_u32_e64 v4, s[18:19], s38, v4
	v_addc_co_u32_e64 v5, s[18:19], v6, v5, s[18:19]
	global_store_short v[4:5], v3, off
.LBB1429_55:
	s_or_b64 exec, exec, s[20:21]
	v_or_b32_e32 v15, 0x400, v10
	v_cmp_gt_u32_e64 s[18:19], s7, v15
	s_and_saveexec_b64 s[20:21], s[18:19]
	s_cbranch_execz .LBB1429_57
; %bb.56:
	ds_read_u16 v16, v14 offset:3072
	v_mov_b32_e32 v19, s39
	s_waitcnt lgkmcnt(0)
	v_lshrrev_b32_sdwa v3, s44, v16 dst_sel:DWORD dst_unused:UNUSED_PAD src0_sel:DWORD src1_sel:WORD_0
	v_and_b32_e32 v3, s50, v3
	v_lshlrev_b32_e32 v17, 2, v3
	ds_read_b32 v18, v17
	v_mov_b32_e32 v17, 0
	v_xor_b32_e32 v20, 0xffff8000, v16
	s_waitcnt lgkmcnt(0)
	v_add_u32_e32 v16, v18, v15
	v_lshlrev_b64 v[16:17], 1, v[16:17]
	v_add_co_u32_e64 v16, s[18:19], s38, v16
	v_addc_co_u32_e64 v17, s[18:19], v19, v17, s[18:19]
	global_store_short v[16:17], v20, off
.LBB1429_57:
	s_or_b64 exec, exec, s[20:21]
	v_or_b32_e32 v15, 0x800, v10
	v_cmp_gt_u32_e64 s[18:19], s7, v15
	s_and_saveexec_b64 s[20:21], s[18:19]
	s_cbranch_execz .LBB1429_59
; %bb.58:
	ds_read_u16 v16, v14 offset:5120
	v_mov_b32_e32 v19, s39
	s_waitcnt lgkmcnt(0)
	v_lshrrev_b32_sdwa v4, s44, v16 dst_sel:DWORD dst_unused:UNUSED_PAD src0_sel:DWORD src1_sel:WORD_0
	v_and_b32_e32 v4, s50, v4
	v_lshlrev_b32_e32 v17, 2, v4
	ds_read_b32 v18, v17
	v_mov_b32_e32 v17, 0
	v_xor_b32_e32 v20, 0xffff8000, v16
	s_waitcnt lgkmcnt(0)
	v_add_u32_e32 v16, v18, v15
	v_lshlrev_b64 v[16:17], 1, v[16:17]
	v_add_co_u32_e64 v16, s[18:19], s38, v16
	v_addc_co_u32_e64 v17, s[18:19], v19, v17, s[18:19]
	global_store_short v[16:17], v20, off
.LBB1429_59:
	;; [unrolled: 22-line block ×6, first 2 shown]
	s_or_b64 exec, exec, s[20:21]
	v_or_b32_e32 v15, 0x1c00, v10
	v_cmp_gt_u32_e64 s[18:19], s7, v15
	s_and_saveexec_b64 s[20:21], s[18:19]
	s_cbranch_execz .LBB1429_69
; %bb.68:
	ds_read_u16 v14, v14 offset:15360
	v_mov_b32_e32 v17, 0
	v_mov_b32_e32 v18, s39
	s_waitcnt lgkmcnt(0)
	v_lshrrev_b32_sdwa v9, s44, v14 dst_sel:DWORD dst_unused:UNUSED_PAD src0_sel:DWORD src1_sel:WORD_0
	v_and_b32_e32 v9, s50, v9
	v_lshlrev_b32_e32 v16, 2, v9
	ds_read_b32 v16, v16
	v_xor_b32_e32 v19, 0xffff8000, v14
	s_waitcnt lgkmcnt(0)
	v_add_u32_e32 v16, v16, v15
	v_lshlrev_b64 v[14:15], 1, v[16:17]
	v_add_co_u32_e64 v14, s[18:19], s38, v14
	v_addc_co_u32_e64 v15, s[18:19], v18, v15, s[18:19]
	global_store_short v[14:15], v19, off
.LBB1429_69:
	s_or_b64 exec, exec, s[20:21]
	s_lshl_b64 s[18:19], s[46:47], 3
	s_add_u32 s18, s40, s18
	s_addc_u32 s19, s41, s19
	v_lshlrev_b32_e32 v13, 3, v13
	v_mov_b32_e32 v14, s19
	v_add_co_u32_e64 v13, s[18:19], s18, v13
	v_addc_co_u32_e64 v14, s[18:19], 0, v14, s[18:19]
	v_lshlrev_b32_e32 v12, 3, v12
	v_add_co_u32_e64 v28, s[18:19], v13, v12
	v_addc_co_u32_e64 v29, s[18:19], 0, v14, s[18:19]
                                        ; implicit-def: $vgpr12_vgpr13
	s_and_saveexec_b64 s[18:19], vcc
	s_xor_b64 s[18:19], exec, s[18:19]
	s_cbranch_execnz .LBB1429_134
; %bb.70:
	s_or_b64 exec, exec, s[18:19]
                                        ; implicit-def: $vgpr14_vgpr15
	s_and_saveexec_b64 s[18:19], s[0:1]
	s_cbranch_execnz .LBB1429_135
.LBB1429_71:
	s_or_b64 exec, exec, s[18:19]
                                        ; implicit-def: $vgpr16_vgpr17
	s_and_saveexec_b64 s[0:1], s[2:3]
	s_cbranch_execnz .LBB1429_136
.LBB1429_72:
	s_or_b64 exec, exec, s[0:1]
                                        ; implicit-def: $vgpr18_vgpr19
	s_and_saveexec_b64 s[0:1], s[24:25]
	s_cbranch_execnz .LBB1429_137
.LBB1429_73:
	s_or_b64 exec, exec, s[0:1]
                                        ; implicit-def: $vgpr20_vgpr21
	s_and_saveexec_b64 s[0:1], s[8:9]
	s_cbranch_execnz .LBB1429_138
.LBB1429_74:
	s_or_b64 exec, exec, s[0:1]
                                        ; implicit-def: $vgpr22_vgpr23
	s_and_saveexec_b64 s[0:1], s[10:11]
	s_cbranch_execnz .LBB1429_139
.LBB1429_75:
	s_or_b64 exec, exec, s[0:1]
                                        ; implicit-def: $vgpr24_vgpr25
	s_and_saveexec_b64 s[0:1], s[12:13]
	s_cbranch_execnz .LBB1429_140
.LBB1429_76:
	s_or_b64 exec, exec, s[0:1]
                                        ; implicit-def: $vgpr26_vgpr27
	s_and_saveexec_b64 s[0:1], s[14:15]
	s_cbranch_execz .LBB1429_78
.LBB1429_77:
	global_load_dwordx2 v[26:27], v[28:29], off offset:3584
.LBB1429_78:
	s_or_b64 exec, exec, s[0:1]
	s_movk_i32 s2, 0x400
	v_add_u32_e32 v54, 0x400, v11
	v_add3_u32 v42, v45, v53, v42
	v_add3_u32 v40, v41, v52, v40
	v_add3_u32 v38, v39, v51, v38
	v_add3_u32 v36, v37, v50, v36
	v_add3_u32 v34, v35, v49, v34
	v_add3_u32 v32, v33, v48, v32
	v_add3_u32 v30, v31, v47, v30
	s_mov_b32 s3, 0
	v_mov_b32_e32 v29, 0
	s_mov_b32 s8, 0
	v_mov_b32_e32 v31, v10
	s_barrier
	s_waitcnt vmcnt(0)
	s_branch .LBB1429_80
.LBB1429_79:                            ;   in Loop: Header=BB1429_80 Depth=1
	s_or_b64 exec, exec, s[0:1]
	s_addk_i32 s8, 0xf800
	s_add_i32 s3, s3, 2
	s_cmpk_eq_i32 s8, 0xe000
	v_add_u32_e32 v31, 0x800, v31
	s_barrier
	s_cbranch_scc1 .LBB1429_85
.LBB1429_80:                            ; =>This Inner Loop Header: Depth=1
	v_add_u32_e32 v28, s8, v46
	v_min_u32_e32 v28, 0x800, v28
	v_lshlrev_b32_e32 v28, 3, v28
	ds_write_b64 v28, v[12:13] offset:1024
	v_add_u32_e32 v28, s8, v30
	v_min_u32_e32 v28, 0x800, v28
	v_lshlrev_b32_e32 v28, 3, v28
	ds_write_b64 v28, v[14:15] offset:1024
	;; [unrolled: 4-line block ×7, first 2 shown]
	v_add_u32_e32 v28, s8, v42
	v_min_u32_e32 v28, 0x800, v28
	v_lshlrev_b32_e32 v28, 3, v28
	v_cmp_gt_u32_e32 vcc, s7, v31
	ds_write_b64 v28, v[26:27] offset:1024
	s_waitcnt lgkmcnt(0)
	s_barrier
	s_and_saveexec_b64 s[0:1], vcc
	s_cbranch_execz .LBB1429_82
; %bb.81:                               ;   in Loop: Header=BB1429_80 Depth=1
	s_cmp_eq_u32 s3, 1
	s_cselect_b64 vcc, -1, 0
	s_cmp_eq_u32 s3, 2
	v_cndmask_b32_e32 v28, v2, v3, vcc
	s_cselect_b64 vcc, -1, 0
	s_cmp_eq_u32 s3, 3
	v_cndmask_b32_e32 v28, v28, v4, vcc
	s_cselect_b64 vcc, -1, 0
	s_cmp_eq_u32 s3, 4
	v_cndmask_b32_e32 v28, v28, v5, vcc
	s_cselect_b64 vcc, -1, 0
	s_cmp_eq_u32 s3, 5
	v_cndmask_b32_e32 v28, v28, v6, vcc
	s_cselect_b64 vcc, -1, 0
	s_cmp_eq_u32 s3, 6
	v_cndmask_b32_e32 v28, v28, v7, vcc
	s_cselect_b64 vcc, -1, 0
	s_cmp_eq_u32 s3, 7
	v_cndmask_b32_e32 v28, v28, v8, vcc
	s_cselect_b64 vcc, -1, 0
	v_cndmask_b32_e32 v28, v28, v9, vcc
	v_lshlrev_b32_e32 v28, 2, v28
	ds_read_b32 v28, v28
	ds_read_b64 v[48:49], v11 offset:1024
	s_waitcnt lgkmcnt(1)
	v_add_u32_e32 v28, v31, v28
	v_lshlrev_b64 v[50:51], 3, v[28:29]
	v_mov_b32_e32 v28, s43
	v_add_co_u32_e32 v50, vcc, s42, v50
	v_addc_co_u32_e32 v51, vcc, v28, v51, vcc
	s_waitcnt lgkmcnt(0)
	global_store_dwordx2 v[50:51], v[48:49], off
.LBB1429_82:                            ;   in Loop: Header=BB1429_80 Depth=1
	s_or_b64 exec, exec, s[0:1]
	v_add_u32_e32 v28, 0x400, v31
	v_cmp_gt_u32_e32 vcc, s7, v28
	s_and_saveexec_b64 s[0:1], vcc
	s_cbranch_execz .LBB1429_79
; %bb.83:                               ;   in Loop: Header=BB1429_80 Depth=1
	s_add_i32 s9, s3, 1
	s_cmp_eq_u32 s9, 1
	s_cselect_b64 vcc, -1, 0
	s_cmp_eq_u32 s9, 2
	v_cndmask_b32_e32 v28, v2, v3, vcc
	s_cselect_b64 vcc, -1, 0
	s_cmp_eq_u32 s9, 3
	v_cndmask_b32_e32 v28, v28, v4, vcc
	s_cselect_b64 vcc, -1, 0
	s_cmp_eq_u32 s9, 4
	v_cndmask_b32_e32 v28, v28, v5, vcc
	s_cselect_b64 vcc, -1, 0
	s_cmp_eq_u32 s9, 5
	v_cndmask_b32_e32 v28, v28, v6, vcc
	s_cselect_b64 vcc, -1, 0
	s_cmp_eq_u32 s9, 6
	v_cndmask_b32_e32 v28, v28, v7, vcc
	s_cselect_b64 vcc, -1, 0
	s_cmp_eq_u32 s9, 7
	v_cndmask_b32_e32 v28, v28, v8, vcc
	s_cselect_b64 vcc, -1, 0
	v_cndmask_b32_e32 v28, v28, v9, vcc
	v_lshlrev_b32_e32 v28, 2, v28
	ds_read_b32 v28, v28
	ds_read_b64 v[48:49], v54 offset:8192
	s_waitcnt lgkmcnt(1)
	v_add3_u32 v28, v31, v28, s2
	v_lshlrev_b64 v[50:51], 3, v[28:29]
	v_mov_b32_e32 v28, s43
	v_add_co_u32_e32 v50, vcc, s42, v50
	v_addc_co_u32_e32 v51, vcc, v28, v51, vcc
	s_waitcnt lgkmcnt(0)
	global_store_dwordx2 v[50:51], v[48:49], off
	s_branch .LBB1429_79
.LBB1429_84:
	s_mov_b64 s[10:11], 0
                                        ; implicit-def: $vgpr2
                                        ; implicit-def: $vgpr10_vgpr11
	s_cbranch_execnz .LBB1429_88
	s_branch .LBB1429_131
.LBB1429_85:
	s_add_i32 s33, s33, -1
	s_cmp_eq_u32 s33, s6
	s_cselect_b64 s[0:1], -1, 0
	s_and_b64 s[2:3], s[16:17], s[0:1]
	s_mov_b64 s[0:1], 0
	s_mov_b64 s[10:11], 0
                                        ; implicit-def: $vgpr2
	s_and_saveexec_b64 s[8:9], s[2:3]
	s_xor_b64 s[2:3], exec, s[8:9]
; %bb.86:
	s_mov_b64 s[10:11], exec
	v_mov_b32_e32 v11, 0
	v_add_u32_e32 v2, v43, v44
; %bb.87:
	s_or_b64 exec, exec, s[2:3]
	s_and_b64 vcc, exec, s[0:1]
	s_cbranch_vccz .LBB1429_131
.LBB1429_88:
	v_and_b32_e32 v8, 0x3ff, v0
	s_lshl_b32 s12, s6, 13
	s_mov_b32 s13, 0
	v_mbcnt_hi_u32_b32 v5, -1, v1
	s_lshl_b64 s[0:1], s[12:13], 1
	v_and_b32_e32 v15, 63, v5
	v_lshlrev_b32_e32 v1, 3, v8
	s_add_u32 s0, s36, s0
	v_and_b32_e32 v14, 0x1e00, v1
	v_lshlrev_b32_e32 v1, 1, v15
	v_add_co_u32_e32 v1, vcc, s0, v1
	s_load_dword s7, s[4:5], 0x58
	s_load_dword s0, s[4:5], 0x64
	s_addc_u32 s1, s37, s1
	v_mov_b32_e32 v3, s1
	v_addc_co_u32_e32 v3, vcc, 0, v3, vcc
	v_lshlrev_b32_e32 v4, 1, v14
	s_add_u32 s1, s4, 0x58
	v_add_co_u32_e32 v16, vcc, v1, v4
	s_addc_u32 s2, s5, 0
	s_waitcnt lgkmcnt(0)
	s_lshr_b32 s3, s0, 16
	v_addc_co_u32_e32 v17, vcc, 0, v3, vcc
	s_cmp_lt_u32 s6, s7
	global_load_ushort v1, v[16:17], off
	s_cselect_b32 s0, 12, 18
	s_add_u32 s0, s1, s0
	v_mov_b32_e32 v2, 0
	s_addc_u32 s1, s2, 0
	global_load_ushort v3, v2, s[0:1]
	v_mul_u32_u24_e32 v6, 5, v8
	v_lshlrev_b32_e32 v6, 2, v6
	ds_write2_b32 v6, v2, v2 offset0:16 offset1:17
	ds_write2_b32 v6, v2, v2 offset0:18 offset1:19
	ds_write_b32 v6, v2 offset:80
	global_load_ushort v10, v[16:17], off offset:128
	global_load_ushort v12, v[16:17], off offset:256
	;; [unrolled: 1-line block ×7, first 2 shown]
	v_bfe_u32 v4, v0, 10, 10
	v_bfe_u32 v0, v0, 20, 10
	v_mad_u32_u24 v0, v0, s3, v4
	s_lshl_b32 s0, -1, s45
	s_not_b32 s16, s0
	s_waitcnt lgkmcnt(0)
	s_barrier
	s_waitcnt lgkmcnt(0)
	; wave barrier
	s_waitcnt vmcnt(8)
	v_xor_b32_e32 v4, 0xffff8000, v1
	v_lshrrev_b32_sdwa v1, s44, v4 dst_sel:DWORD dst_unused:UNUSED_PAD src0_sel:DWORD src1_sel:WORD_0
	v_and_b32_e32 v9, s16, v1
	v_and_b32_e32 v7, 1, v9
	s_waitcnt vmcnt(7)
	v_mad_u64_u32 v[0:1], s[0:1], v0, v3, v[8:9]
	v_lshrrev_b32_e32 v27, 6, v0
	v_add_co_u32_e32 v0, vcc, -1, v7
	v_lshlrev_b32_e32 v3, 30, v9
	v_addc_co_u32_e64 v11, s[0:1], 0, -1, vcc
	v_mul_u32_u24_e32 v1, 17, v9
	v_cmp_ne_u32_e32 vcc, 0, v7
	v_cmp_gt_i64_e64 s[0:1], 0, v[2:3]
	v_not_b32_e32 v16, v3
	v_lshlrev_b32_e32 v3, 29, v9
	v_add_lshl_u32 v7, v27, v1, 2
	v_xor_b32_e32 v1, vcc_hi, v11
	v_xor_b32_e32 v0, vcc_lo, v0
	v_ashrrev_i32_e32 v11, 31, v16
	v_cmp_gt_i64_e32 vcc, 0, v[2:3]
	v_not_b32_e32 v16, v3
	v_lshlrev_b32_e32 v3, 28, v9
	v_and_b32_e32 v1, exec_hi, v1
	v_and_b32_e32 v0, exec_lo, v0
	v_xor_b32_e32 v17, s1, v11
	v_xor_b32_e32 v11, s0, v11
	v_ashrrev_i32_e32 v16, 31, v16
	v_cmp_gt_i64_e64 s[0:1], 0, v[2:3]
	v_not_b32_e32 v18, v3
	v_lshlrev_b32_e32 v3, 27, v9
	v_and_b32_e32 v1, v1, v17
	v_and_b32_e32 v0, v0, v11
	v_xor_b32_e32 v11, vcc_hi, v16
	v_xor_b32_e32 v16, vcc_lo, v16
	v_ashrrev_i32_e32 v17, 31, v18
	v_cmp_gt_i64_e32 vcc, 0, v[2:3]
	v_not_b32_e32 v3, v3
	v_and_b32_e32 v1, v1, v11
	v_and_b32_e32 v0, v0, v16
	v_xor_b32_e32 v11, s1, v17
	v_xor_b32_e32 v16, s0, v17
	v_ashrrev_i32_e32 v3, 31, v3
	v_and_b32_e32 v1, v1, v11
	v_and_b32_e32 v0, v0, v16
	v_xor_b32_e32 v11, vcc_hi, v3
	v_xor_b32_e32 v3, vcc_lo, v3
	v_and_b32_e32 v0, v0, v3
	v_lshlrev_b32_e32 v3, 26, v9
	v_cmp_gt_i64_e32 vcc, 0, v[2:3]
	v_not_b32_e32 v3, v3
	v_ashrrev_i32_e32 v3, 31, v3
	v_and_b32_e32 v1, v1, v11
	v_xor_b32_e32 v11, vcc_hi, v3
	v_xor_b32_e32 v3, vcc_lo, v3
	v_and_b32_e32 v0, v0, v3
	v_lshlrev_b32_e32 v3, 25, v9
	v_cmp_gt_i64_e32 vcc, 0, v[2:3]
	v_not_b32_e32 v3, v3
	v_ashrrev_i32_e32 v3, 31, v3
	;; [unrolled: 8-line block ×3, first 2 shown]
	v_xor_b32_e32 v9, vcc_hi, v3
	v_xor_b32_e32 v3, vcc_lo, v3
	v_and_b32_e32 v1, v1, v11
	v_and_b32_e32 v0, v0, v3
	;; [unrolled: 1-line block ×3, first 2 shown]
	v_mbcnt_lo_u32_b32 v3, v0, 0
	v_mbcnt_hi_u32_b32 v9, v1, v3
	v_cmp_eq_u32_e32 vcc, 0, v9
	v_cmp_ne_u64_e64 s[0:1], 0, v[0:1]
	s_and_b64 s[2:3], s[0:1], vcc
	s_and_saveexec_b64 s[0:1], s[2:3]
	s_cbranch_execz .LBB1429_90
; %bb.89:
	v_bcnt_u32_b32 v0, v0, 0
	v_bcnt_u32_b32 v0, v1, v0
	ds_write_b32 v7, v0 offset:64
.LBB1429_90:
	s_or_b64 exec, exec, s[0:1]
	s_waitcnt vmcnt(6)
	v_xor_b32_e32 v10, 0xffff8000, v10
	v_lshrrev_b32_sdwa v0, s44, v10 dst_sel:DWORD dst_unused:UNUSED_PAD src0_sel:DWORD src1_sel:WORD_0
	v_and_b32_e32 v0, s16, v0
	v_mul_u32_u24_e32 v1, 17, v0
	v_add_lshl_u32 v11, v27, v1, 2
	v_and_b32_e32 v1, 1, v0
	v_add_co_u32_e32 v3, vcc, -1, v1
	v_addc_co_u32_e64 v17, s[0:1], 0, -1, vcc
	v_cmp_ne_u32_e32 vcc, 0, v1
	v_xor_b32_e32 v3, vcc_lo, v3
	v_xor_b32_e32 v1, vcc_hi, v17
	v_and_b32_e32 v17, exec_lo, v3
	v_lshlrev_b32_e32 v3, 30, v0
	v_cmp_gt_i64_e32 vcc, 0, v[2:3]
	v_not_b32_e32 v3, v3
	v_ashrrev_i32_e32 v3, 31, v3
	v_xor_b32_e32 v18, vcc_hi, v3
	v_xor_b32_e32 v3, vcc_lo, v3
	v_and_b32_e32 v17, v17, v3
	v_lshlrev_b32_e32 v3, 29, v0
	v_cmp_gt_i64_e32 vcc, 0, v[2:3]
	v_not_b32_e32 v3, v3
	v_and_b32_e32 v1, exec_hi, v1
	v_ashrrev_i32_e32 v3, 31, v3
	v_and_b32_e32 v1, v1, v18
	v_xor_b32_e32 v18, vcc_hi, v3
	v_xor_b32_e32 v3, vcc_lo, v3
	v_and_b32_e32 v17, v17, v3
	v_lshlrev_b32_e32 v3, 28, v0
	v_cmp_gt_i64_e32 vcc, 0, v[2:3]
	v_not_b32_e32 v3, v3
	v_ashrrev_i32_e32 v3, 31, v3
	v_and_b32_e32 v1, v1, v18
	v_xor_b32_e32 v18, vcc_hi, v3
	v_xor_b32_e32 v3, vcc_lo, v3
	v_and_b32_e32 v17, v17, v3
	v_lshlrev_b32_e32 v3, 27, v0
	v_cmp_gt_i64_e32 vcc, 0, v[2:3]
	v_not_b32_e32 v3, v3
	;; [unrolled: 8-line block ×4, first 2 shown]
	v_ashrrev_i32_e32 v3, 31, v3
	v_and_b32_e32 v1, v1, v18
	v_xor_b32_e32 v18, vcc_hi, v3
	v_xor_b32_e32 v3, vcc_lo, v3
	v_and_b32_e32 v17, v17, v3
	v_lshlrev_b32_e32 v3, 24, v0
	v_not_b32_e32 v0, v3
	v_cmp_gt_i64_e32 vcc, 0, v[2:3]
	v_ashrrev_i32_e32 v0, 31, v0
	v_xor_b32_e32 v2, vcc_hi, v0
	v_xor_b32_e32 v0, vcc_lo, v0
	; wave barrier
	ds_read_b32 v16, v11 offset:64
	v_and_b32_e32 v1, v1, v18
	v_and_b32_e32 v0, v17, v0
	;; [unrolled: 1-line block ×3, first 2 shown]
	v_mbcnt_lo_u32_b32 v2, v0, 0
	v_mbcnt_hi_u32_b32 v17, v1, v2
	v_cmp_eq_u32_e32 vcc, 0, v17
	v_cmp_ne_u64_e64 s[0:1], 0, v[0:1]
	s_and_b64 s[2:3], s[0:1], vcc
	; wave barrier
	s_and_saveexec_b64 s[0:1], s[2:3]
	s_cbranch_execz .LBB1429_92
; %bb.91:
	v_bcnt_u32_b32 v0, v0, 0
	v_bcnt_u32_b32 v0, v1, v0
	s_waitcnt lgkmcnt(0)
	v_add_u32_e32 v0, v16, v0
	ds_write_b32 v11, v0 offset:64
.LBB1429_92:
	s_or_b64 exec, exec, s[0:1]
	s_waitcnt vmcnt(5)
	v_xor_b32_e32 v12, 0xffff8000, v12
	v_lshrrev_b32_sdwa v0, s44, v12 dst_sel:DWORD dst_unused:UNUSED_PAD src0_sel:DWORD src1_sel:WORD_0
	v_and_b32_e32 v2, s16, v0
	v_and_b32_e32 v1, 1, v2
	v_add_co_u32_e32 v3, vcc, -1, v1
	v_addc_co_u32_e64 v19, s[0:1], 0, -1, vcc
	v_cmp_ne_u32_e32 vcc, 0, v1
	v_mul_u32_u24_e32 v0, 17, v2
	v_xor_b32_e32 v1, vcc_hi, v19
	v_add_lshl_u32 v28, v27, v0, 2
	v_mov_b32_e32 v0, 0
	v_and_b32_e32 v19, exec_hi, v1
	v_lshlrev_b32_e32 v1, 30, v2
	v_xor_b32_e32 v3, vcc_lo, v3
	v_cmp_gt_i64_e32 vcc, 0, v[0:1]
	v_not_b32_e32 v1, v1
	v_ashrrev_i32_e32 v1, 31, v1
	v_and_b32_e32 v3, exec_lo, v3
	v_xor_b32_e32 v21, vcc_hi, v1
	v_xor_b32_e32 v1, vcc_lo, v1
	v_and_b32_e32 v3, v3, v1
	v_lshlrev_b32_e32 v1, 29, v2
	v_cmp_gt_i64_e32 vcc, 0, v[0:1]
	v_not_b32_e32 v1, v1
	v_ashrrev_i32_e32 v1, 31, v1
	v_and_b32_e32 v19, v19, v21
	v_xor_b32_e32 v21, vcc_hi, v1
	v_xor_b32_e32 v1, vcc_lo, v1
	v_and_b32_e32 v3, v3, v1
	v_lshlrev_b32_e32 v1, 28, v2
	v_cmp_gt_i64_e32 vcc, 0, v[0:1]
	v_not_b32_e32 v1, v1
	v_ashrrev_i32_e32 v1, 31, v1
	v_and_b32_e32 v19, v19, v21
	;; [unrolled: 8-line block ×5, first 2 shown]
	v_xor_b32_e32 v21, vcc_hi, v1
	v_xor_b32_e32 v1, vcc_lo, v1
	v_and_b32_e32 v19, v19, v21
	v_and_b32_e32 v21, v3, v1
	v_lshlrev_b32_e32 v1, 24, v2
	v_cmp_gt_i64_e32 vcc, 0, v[0:1]
	v_not_b32_e32 v1, v1
	v_ashrrev_i32_e32 v1, 31, v1
	v_xor_b32_e32 v2, vcc_hi, v1
	v_xor_b32_e32 v1, vcc_lo, v1
	; wave barrier
	ds_read_b32 v18, v28 offset:64
	v_and_b32_e32 v3, v19, v2
	v_and_b32_e32 v2, v21, v1
	v_mbcnt_lo_u32_b32 v1, v2, 0
	v_mbcnt_hi_u32_b32 v19, v3, v1
	v_cmp_eq_u32_e32 vcc, 0, v19
	v_cmp_ne_u64_e64 s[0:1], 0, v[2:3]
	s_and_b64 s[2:3], s[0:1], vcc
	; wave barrier
	s_and_saveexec_b64 s[0:1], s[2:3]
	s_cbranch_execz .LBB1429_94
; %bb.93:
	v_bcnt_u32_b32 v1, v2, 0
	v_bcnt_u32_b32 v1, v3, v1
	s_waitcnt lgkmcnt(0)
	v_add_u32_e32 v1, v18, v1
	ds_write_b32 v28, v1 offset:64
.LBB1429_94:
	s_or_b64 exec, exec, s[0:1]
	s_waitcnt vmcnt(4)
	v_xor_b32_e32 v29, 0xffff8000, v20
	v_lshrrev_b32_sdwa v1, s44, v29 dst_sel:DWORD dst_unused:UNUSED_PAD src0_sel:DWORD src1_sel:WORD_0
	v_and_b32_e32 v2, s16, v1
	v_mul_u32_u24_e32 v1, 17, v2
	v_add_lshl_u32 v31, v27, v1, 2
	v_and_b32_e32 v1, 1, v2
	v_add_co_u32_e32 v3, vcc, -1, v1
	v_addc_co_u32_e64 v21, s[0:1], 0, -1, vcc
	v_cmp_ne_u32_e32 vcc, 0, v1
	v_xor_b32_e32 v1, vcc_hi, v21
	v_and_b32_e32 v21, exec_hi, v1
	v_lshlrev_b32_e32 v1, 30, v2
	v_xor_b32_e32 v3, vcc_lo, v3
	v_cmp_gt_i64_e32 vcc, 0, v[0:1]
	v_not_b32_e32 v1, v1
	v_ashrrev_i32_e32 v1, 31, v1
	v_and_b32_e32 v3, exec_lo, v3
	v_xor_b32_e32 v23, vcc_hi, v1
	v_xor_b32_e32 v1, vcc_lo, v1
	v_and_b32_e32 v3, v3, v1
	v_lshlrev_b32_e32 v1, 29, v2
	v_cmp_gt_i64_e32 vcc, 0, v[0:1]
	v_not_b32_e32 v1, v1
	v_ashrrev_i32_e32 v1, 31, v1
	v_and_b32_e32 v21, v21, v23
	v_xor_b32_e32 v23, vcc_hi, v1
	v_xor_b32_e32 v1, vcc_lo, v1
	v_and_b32_e32 v3, v3, v1
	v_lshlrev_b32_e32 v1, 28, v2
	v_cmp_gt_i64_e32 vcc, 0, v[0:1]
	v_not_b32_e32 v1, v1
	v_ashrrev_i32_e32 v1, 31, v1
	v_and_b32_e32 v21, v21, v23
	;; [unrolled: 8-line block ×5, first 2 shown]
	v_xor_b32_e32 v23, vcc_hi, v1
	v_xor_b32_e32 v1, vcc_lo, v1
	v_and_b32_e32 v3, v3, v1
	v_lshlrev_b32_e32 v1, 24, v2
	v_cmp_gt_i64_e32 vcc, 0, v[0:1]
	v_not_b32_e32 v0, v1
	v_ashrrev_i32_e32 v0, 31, v0
	v_xor_b32_e32 v1, vcc_hi, v0
	v_xor_b32_e32 v0, vcc_lo, v0
	; wave barrier
	ds_read_b32 v20, v31 offset:64
	v_and_b32_e32 v21, v21, v23
	v_and_b32_e32 v0, v3, v0
	;; [unrolled: 1-line block ×3, first 2 shown]
	v_mbcnt_lo_u32_b32 v2, v0, 0
	v_mbcnt_hi_u32_b32 v21, v1, v2
	v_cmp_eq_u32_e32 vcc, 0, v21
	v_cmp_ne_u64_e64 s[0:1], 0, v[0:1]
	s_and_b64 s[2:3], s[0:1], vcc
	; wave barrier
	s_and_saveexec_b64 s[0:1], s[2:3]
	s_cbranch_execz .LBB1429_96
; %bb.95:
	v_bcnt_u32_b32 v0, v0, 0
	v_bcnt_u32_b32 v0, v1, v0
	s_waitcnt lgkmcnt(0)
	v_add_u32_e32 v0, v20, v0
	ds_write_b32 v31, v0 offset:64
.LBB1429_96:
	s_or_b64 exec, exec, s[0:1]
	s_waitcnt vmcnt(3)
	v_xor_b32_e32 v33, 0xffff8000, v22
	v_lshrrev_b32_sdwa v0, s44, v33 dst_sel:DWORD dst_unused:UNUSED_PAD src0_sel:DWORD src1_sel:WORD_0
	v_and_b32_e32 v2, s16, v0
	v_and_b32_e32 v1, 1, v2
	v_add_co_u32_e32 v3, vcc, -1, v1
	v_addc_co_u32_e64 v23, s[0:1], 0, -1, vcc
	v_cmp_ne_u32_e32 vcc, 0, v1
	v_mul_u32_u24_e32 v0, 17, v2
	v_xor_b32_e32 v1, vcc_hi, v23
	v_add_lshl_u32 v32, v27, v0, 2
	v_mov_b32_e32 v0, 0
	v_and_b32_e32 v23, exec_hi, v1
	v_lshlrev_b32_e32 v1, 30, v2
	v_xor_b32_e32 v3, vcc_lo, v3
	v_cmp_gt_i64_e32 vcc, 0, v[0:1]
	v_not_b32_e32 v1, v1
	v_ashrrev_i32_e32 v1, 31, v1
	v_and_b32_e32 v3, exec_lo, v3
	v_xor_b32_e32 v25, vcc_hi, v1
	v_xor_b32_e32 v1, vcc_lo, v1
	v_and_b32_e32 v3, v3, v1
	v_lshlrev_b32_e32 v1, 29, v2
	v_cmp_gt_i64_e32 vcc, 0, v[0:1]
	v_not_b32_e32 v1, v1
	v_ashrrev_i32_e32 v1, 31, v1
	v_and_b32_e32 v23, v23, v25
	v_xor_b32_e32 v25, vcc_hi, v1
	v_xor_b32_e32 v1, vcc_lo, v1
	v_and_b32_e32 v3, v3, v1
	v_lshlrev_b32_e32 v1, 28, v2
	v_cmp_gt_i64_e32 vcc, 0, v[0:1]
	v_not_b32_e32 v1, v1
	v_ashrrev_i32_e32 v1, 31, v1
	v_and_b32_e32 v23, v23, v25
	;; [unrolled: 8-line block ×5, first 2 shown]
	v_xor_b32_e32 v25, vcc_hi, v1
	v_xor_b32_e32 v1, vcc_lo, v1
	v_and_b32_e32 v23, v23, v25
	v_and_b32_e32 v25, v3, v1
	v_lshlrev_b32_e32 v1, 24, v2
	v_cmp_gt_i64_e32 vcc, 0, v[0:1]
	v_not_b32_e32 v1, v1
	v_ashrrev_i32_e32 v1, 31, v1
	v_xor_b32_e32 v2, vcc_hi, v1
	v_xor_b32_e32 v1, vcc_lo, v1
	; wave barrier
	ds_read_b32 v22, v32 offset:64
	v_and_b32_e32 v3, v23, v2
	v_and_b32_e32 v2, v25, v1
	v_mbcnt_lo_u32_b32 v1, v2, 0
	v_mbcnt_hi_u32_b32 v23, v3, v1
	v_cmp_eq_u32_e32 vcc, 0, v23
	v_cmp_ne_u64_e64 s[0:1], 0, v[2:3]
	s_and_b64 s[2:3], s[0:1], vcc
	; wave barrier
	s_and_saveexec_b64 s[0:1], s[2:3]
	s_cbranch_execz .LBB1429_98
; %bb.97:
	v_bcnt_u32_b32 v1, v2, 0
	v_bcnt_u32_b32 v1, v3, v1
	s_waitcnt lgkmcnt(0)
	v_add_u32_e32 v1, v22, v1
	ds_write_b32 v32, v1 offset:64
.LBB1429_98:
	s_or_b64 exec, exec, s[0:1]
	s_waitcnt vmcnt(2)
	v_xor_b32_e32 v36, 0xffff8000, v24
	v_lshrrev_b32_sdwa v1, s44, v36 dst_sel:DWORD dst_unused:UNUSED_PAD src0_sel:DWORD src1_sel:WORD_0
	v_and_b32_e32 v2, s16, v1
	v_mul_u32_u24_e32 v1, 17, v2
	v_add_lshl_u32 v35, v27, v1, 2
	v_and_b32_e32 v1, 1, v2
	v_add_co_u32_e32 v3, vcc, -1, v1
	v_addc_co_u32_e64 v25, s[0:1], 0, -1, vcc
	v_cmp_ne_u32_e32 vcc, 0, v1
	v_xor_b32_e32 v1, vcc_hi, v25
	v_and_b32_e32 v25, exec_hi, v1
	v_lshlrev_b32_e32 v1, 30, v2
	v_xor_b32_e32 v3, vcc_lo, v3
	v_cmp_gt_i64_e32 vcc, 0, v[0:1]
	v_not_b32_e32 v1, v1
	v_ashrrev_i32_e32 v1, 31, v1
	v_and_b32_e32 v3, exec_lo, v3
	v_xor_b32_e32 v30, vcc_hi, v1
	v_xor_b32_e32 v1, vcc_lo, v1
	v_and_b32_e32 v3, v3, v1
	v_lshlrev_b32_e32 v1, 29, v2
	v_cmp_gt_i64_e32 vcc, 0, v[0:1]
	v_not_b32_e32 v1, v1
	v_ashrrev_i32_e32 v1, 31, v1
	v_and_b32_e32 v25, v25, v30
	v_xor_b32_e32 v30, vcc_hi, v1
	v_xor_b32_e32 v1, vcc_lo, v1
	v_and_b32_e32 v3, v3, v1
	v_lshlrev_b32_e32 v1, 28, v2
	v_cmp_gt_i64_e32 vcc, 0, v[0:1]
	v_not_b32_e32 v1, v1
	v_ashrrev_i32_e32 v1, 31, v1
	v_and_b32_e32 v25, v25, v30
	;; [unrolled: 8-line block ×5, first 2 shown]
	v_xor_b32_e32 v30, vcc_hi, v1
	v_xor_b32_e32 v1, vcc_lo, v1
	v_and_b32_e32 v3, v3, v1
	v_lshlrev_b32_e32 v1, 24, v2
	v_cmp_gt_i64_e32 vcc, 0, v[0:1]
	v_not_b32_e32 v0, v1
	v_ashrrev_i32_e32 v0, 31, v0
	v_xor_b32_e32 v1, vcc_hi, v0
	v_xor_b32_e32 v0, vcc_lo, v0
	; wave barrier
	ds_read_b32 v24, v35 offset:64
	v_and_b32_e32 v25, v25, v30
	v_and_b32_e32 v0, v3, v0
	;; [unrolled: 1-line block ×3, first 2 shown]
	v_mbcnt_lo_u32_b32 v2, v0, 0
	v_mbcnt_hi_u32_b32 v25, v1, v2
	v_cmp_eq_u32_e32 vcc, 0, v25
	v_cmp_ne_u64_e64 s[0:1], 0, v[0:1]
	s_and_b64 s[2:3], s[0:1], vcc
	; wave barrier
	s_and_saveexec_b64 s[0:1], s[2:3]
	s_cbranch_execz .LBB1429_100
; %bb.99:
	v_bcnt_u32_b32 v0, v0, 0
	v_bcnt_u32_b32 v0, v1, v0
	s_waitcnt lgkmcnt(0)
	v_add_u32_e32 v0, v24, v0
	ds_write_b32 v35, v0 offset:64
.LBB1429_100:
	s_or_b64 exec, exec, s[0:1]
	s_waitcnt vmcnt(1)
	v_xor_b32_e32 v43, 0xffff8000, v26
	v_lshrrev_b32_sdwa v0, s44, v43 dst_sel:DWORD dst_unused:UNUSED_PAD src0_sel:DWORD src1_sel:WORD_0
	v_and_b32_e32 v2, s16, v0
	v_and_b32_e32 v1, 1, v2
	v_add_co_u32_e32 v3, vcc, -1, v1
	v_addc_co_u32_e64 v30, s[0:1], 0, -1, vcc
	v_cmp_ne_u32_e32 vcc, 0, v1
	v_mul_u32_u24_e32 v0, 17, v2
	v_xor_b32_e32 v1, vcc_hi, v30
	v_add_lshl_u32 v41, v27, v0, 2
	v_mov_b32_e32 v0, 0
	v_and_b32_e32 v30, exec_hi, v1
	v_lshlrev_b32_e32 v1, 30, v2
	v_xor_b32_e32 v3, vcc_lo, v3
	v_cmp_gt_i64_e32 vcc, 0, v[0:1]
	v_not_b32_e32 v1, v1
	v_ashrrev_i32_e32 v1, 31, v1
	v_and_b32_e32 v3, exec_lo, v3
	v_xor_b32_e32 v34, vcc_hi, v1
	v_xor_b32_e32 v1, vcc_lo, v1
	v_and_b32_e32 v3, v3, v1
	v_lshlrev_b32_e32 v1, 29, v2
	v_cmp_gt_i64_e32 vcc, 0, v[0:1]
	v_not_b32_e32 v1, v1
	v_ashrrev_i32_e32 v1, 31, v1
	v_and_b32_e32 v30, v30, v34
	v_xor_b32_e32 v34, vcc_hi, v1
	v_xor_b32_e32 v1, vcc_lo, v1
	v_and_b32_e32 v3, v3, v1
	v_lshlrev_b32_e32 v1, 28, v2
	v_cmp_gt_i64_e32 vcc, 0, v[0:1]
	v_not_b32_e32 v1, v1
	v_ashrrev_i32_e32 v1, 31, v1
	v_and_b32_e32 v30, v30, v34
	;; [unrolled: 8-line block ×5, first 2 shown]
	v_xor_b32_e32 v34, vcc_hi, v1
	v_xor_b32_e32 v1, vcc_lo, v1
	v_and_b32_e32 v30, v30, v34
	v_and_b32_e32 v34, v3, v1
	v_lshlrev_b32_e32 v1, 24, v2
	v_cmp_gt_i64_e32 vcc, 0, v[0:1]
	v_not_b32_e32 v1, v1
	v_ashrrev_i32_e32 v1, 31, v1
	v_xor_b32_e32 v2, vcc_hi, v1
	v_xor_b32_e32 v1, vcc_lo, v1
	; wave barrier
	ds_read_b32 v26, v41 offset:64
	v_and_b32_e32 v3, v30, v2
	v_and_b32_e32 v2, v34, v1
	v_mbcnt_lo_u32_b32 v1, v2, 0
	v_mbcnt_hi_u32_b32 v30, v3, v1
	v_cmp_eq_u32_e32 vcc, 0, v30
	v_cmp_ne_u64_e64 s[0:1], 0, v[2:3]
	s_and_b64 s[2:3], s[0:1], vcc
	; wave barrier
	s_and_saveexec_b64 s[0:1], s[2:3]
	s_cbranch_execz .LBB1429_102
; %bb.101:
	v_bcnt_u32_b32 v1, v2, 0
	v_bcnt_u32_b32 v1, v3, v1
	s_waitcnt lgkmcnt(0)
	v_add_u32_e32 v1, v26, v1
	ds_write_b32 v41, v1 offset:64
.LBB1429_102:
	s_or_b64 exec, exec, s[0:1]
	s_waitcnt vmcnt(0)
	v_xor_b32_e32 v13, 0xffff8000, v13
	v_lshrrev_b32_sdwa v1, s44, v13 dst_sel:DWORD dst_unused:UNUSED_PAD src0_sel:DWORD src1_sel:WORD_0
	v_and_b32_e32 v2, s16, v1
	v_mul_u32_u24_e32 v1, 17, v2
	v_add_lshl_u32 v42, v27, v1, 2
	v_and_b32_e32 v1, 1, v2
	v_add_co_u32_e32 v3, vcc, -1, v1
	v_addc_co_u32_e64 v34, s[0:1], 0, -1, vcc
	v_cmp_ne_u32_e32 vcc, 0, v1
	v_xor_b32_e32 v1, vcc_hi, v34
	v_and_b32_e32 v34, exec_hi, v1
	v_lshlrev_b32_e32 v1, 30, v2
	v_xor_b32_e32 v3, vcc_lo, v3
	v_cmp_gt_i64_e32 vcc, 0, v[0:1]
	v_not_b32_e32 v1, v1
	v_ashrrev_i32_e32 v1, 31, v1
	v_and_b32_e32 v3, exec_lo, v3
	v_xor_b32_e32 v38, vcc_hi, v1
	v_xor_b32_e32 v1, vcc_lo, v1
	v_and_b32_e32 v3, v3, v1
	v_lshlrev_b32_e32 v1, 29, v2
	v_cmp_gt_i64_e32 vcc, 0, v[0:1]
	v_not_b32_e32 v1, v1
	v_ashrrev_i32_e32 v1, 31, v1
	v_and_b32_e32 v34, v34, v38
	v_xor_b32_e32 v38, vcc_hi, v1
	v_xor_b32_e32 v1, vcc_lo, v1
	v_and_b32_e32 v3, v3, v1
	v_lshlrev_b32_e32 v1, 28, v2
	v_cmp_gt_i64_e32 vcc, 0, v[0:1]
	v_not_b32_e32 v1, v1
	v_ashrrev_i32_e32 v1, 31, v1
	v_and_b32_e32 v34, v34, v38
	;; [unrolled: 8-line block ×5, first 2 shown]
	v_xor_b32_e32 v38, vcc_hi, v1
	v_xor_b32_e32 v1, vcc_lo, v1
	v_and_b32_e32 v3, v3, v1
	v_lshlrev_b32_e32 v1, 24, v2
	v_cmp_gt_i64_e32 vcc, 0, v[0:1]
	v_not_b32_e32 v0, v1
	v_ashrrev_i32_e32 v0, 31, v0
	v_xor_b32_e32 v1, vcc_hi, v0
	v_xor_b32_e32 v0, vcc_lo, v0
	; wave barrier
	ds_read_b32 v27, v42 offset:64
	v_and_b32_e32 v34, v34, v38
	v_and_b32_e32 v0, v3, v0
	;; [unrolled: 1-line block ×3, first 2 shown]
	v_mbcnt_lo_u32_b32 v2, v0, 0
	v_mbcnt_hi_u32_b32 v34, v1, v2
	v_cmp_eq_u32_e32 vcc, 0, v34
	v_cmp_ne_u64_e64 s[0:1], 0, v[0:1]
	v_add_u32_e32 v37, 64, v6
	s_and_b64 s[2:3], s[0:1], vcc
	; wave barrier
	s_and_saveexec_b64 s[0:1], s[2:3]
	s_cbranch_execz .LBB1429_104
; %bb.103:
	v_bcnt_u32_b32 v0, v0, 0
	v_bcnt_u32_b32 v0, v1, v0
	s_waitcnt lgkmcnt(0)
	v_add_u32_e32 v0, v27, v0
	ds_write_b32 v42, v0 offset:64
.LBB1429_104:
	s_or_b64 exec, exec, s[0:1]
	; wave barrier
	s_waitcnt lgkmcnt(0)
	s_barrier
	ds_read2_b32 v[2:3], v6 offset0:16 offset1:17
	ds_read2_b32 v[0:1], v37 offset0:2 offset1:3
	ds_read_b32 v38, v37 offset:16
	v_cmp_lt_u32_e64 s[8:9], 31, v5
	s_waitcnt lgkmcnt(1)
	v_add3_u32 v39, v3, v2, v0
	s_waitcnt lgkmcnt(0)
	v_add3_u32 v38, v39, v1, v38
	v_and_b32_e32 v39, 15, v5
	v_cmp_eq_u32_e32 vcc, 0, v39
	v_mov_b32_dpp v40, v38 row_shr:1 row_mask:0xf bank_mask:0xf
	v_cndmask_b32_e64 v40, v40, 0, vcc
	v_add_u32_e32 v38, v40, v38
	v_cmp_lt_u32_e64 s[0:1], 1, v39
	v_cmp_lt_u32_e64 s[2:3], 3, v39
	v_mov_b32_dpp v40, v38 row_shr:2 row_mask:0xf bank_mask:0xf
	v_cndmask_b32_e64 v40, 0, v40, s[0:1]
	v_add_u32_e32 v38, v38, v40
	v_cmp_lt_u32_e64 s[4:5], 7, v39
	s_nop 0
	v_mov_b32_dpp v40, v38 row_shr:4 row_mask:0xf bank_mask:0xf
	v_cndmask_b32_e64 v40, 0, v40, s[2:3]
	v_add_u32_e32 v38, v38, v40
	s_nop 1
	v_mov_b32_dpp v40, v38 row_shr:8 row_mask:0xf bank_mask:0xf
	v_cndmask_b32_e64 v39, 0, v40, s[4:5]
	v_add_u32_e32 v38, v38, v39
	v_bfe_i32 v40, v5, 4, 1
	s_nop 0
	v_mov_b32_dpp v39, v38 row_bcast:15 row_mask:0xf bank_mask:0xf
	v_and_b32_e32 v39, v40, v39
	v_add_u32_e32 v38, v38, v39
	v_and_b32_e32 v40, 63, v8
	s_nop 0
	v_mov_b32_dpp v39, v38 row_bcast:31 row_mask:0xf bank_mask:0xf
	v_cndmask_b32_e64 v39, 0, v39, s[8:9]
	v_add_u32_e32 v38, v38, v39
	v_lshrrev_b32_e32 v39, 6, v8
	v_cmp_eq_u32_e64 s[8:9], 63, v40
	s_and_saveexec_b64 s[14:15], s[8:9]
	s_cbranch_execz .LBB1429_106
; %bb.105:
	v_lshlrev_b32_e32 v40, 2, v39
	ds_write_b32 v40, v38
.LBB1429_106:
	s_or_b64 exec, exec, s[14:15]
	v_cmp_gt_u32_e64 s[8:9], 16, v8
	v_lshlrev_b32_e32 v44, 2, v8
	s_waitcnt lgkmcnt(0)
	s_barrier
	s_and_saveexec_b64 s[14:15], s[8:9]
	s_cbranch_execz .LBB1429_108
; %bb.107:
	ds_read_b32 v40, v44
	s_waitcnt lgkmcnt(0)
	s_nop 0
	v_mov_b32_dpp v45, v40 row_shr:1 row_mask:0xf bank_mask:0xf
	v_cndmask_b32_e64 v45, v45, 0, vcc
	v_add_u32_e32 v40, v45, v40
	s_nop 1
	v_mov_b32_dpp v45, v40 row_shr:2 row_mask:0xf bank_mask:0xf
	v_cndmask_b32_e64 v45, 0, v45, s[0:1]
	v_add_u32_e32 v40, v40, v45
	s_nop 1
	v_mov_b32_dpp v45, v40 row_shr:4 row_mask:0xf bank_mask:0xf
	v_cndmask_b32_e64 v45, 0, v45, s[2:3]
	;; [unrolled: 4-line block ×3, first 2 shown]
	v_add_u32_e32 v40, v40, v45
	ds_write_b32 v44, v40
.LBB1429_108:
	s_or_b64 exec, exec, s[14:15]
	v_cmp_lt_u32_e32 vcc, 63, v8
	v_mov_b32_e32 v40, 0
	s_waitcnt lgkmcnt(0)
	s_barrier
	s_and_saveexec_b64 s[0:1], vcc
	s_cbranch_execz .LBB1429_110
; %bb.109:
	v_lshl_add_u32 v39, v39, 2, -4
	ds_read_b32 v40, v39
.LBB1429_110:
	s_or_b64 exec, exec, s[0:1]
	v_add_u32_e32 v39, -1, v5
	v_and_b32_e32 v45, 64, v5
	v_cmp_lt_i32_e32 vcc, v39, v45
	v_cndmask_b32_e32 v39, v39, v5, vcc
	s_waitcnt lgkmcnt(0)
	v_add_u32_e32 v38, v40, v38
	v_lshlrev_b32_e32 v39, 2, v39
	ds_bpermute_b32 v38, v39, v38
	v_cmp_eq_u32_e32 vcc, 0, v5
	s_movk_i32 s2, 0xff
	s_movk_i32 s3, 0x100
	v_cmp_lt_u32_e64 s[0:1], s2, v8
	s_waitcnt lgkmcnt(0)
	v_cndmask_b32_e32 v5, v38, v40, vcc
	v_cmp_ne_u32_e32 vcc, 0, v8
	v_cndmask_b32_e32 v5, 0, v5, vcc
	v_add_u32_e32 v2, v5, v2
	v_add_u32_e32 v3, v2, v3
	;; [unrolled: 1-line block ×4, first 2 shown]
	ds_write2_b32 v6, v5, v2 offset0:16 offset1:17
	ds_write2_b32 v37, v3, v0 offset0:2 offset1:3
	ds_write_b32 v37, v1 offset:16
	s_waitcnt lgkmcnt(0)
	s_barrier
	ds_read_b32 v0, v7 offset:64
	ds_read_b32 v37, v11 offset:64
	;; [unrolled: 1-line block ×8, first 2 shown]
	v_cmp_gt_u32_e32 vcc, s3, v8
                                        ; implicit-def: $vgpr31
                                        ; implicit-def: $vgpr32
	s_and_saveexec_b64 s[4:5], vcc
	s_cbranch_execz .LBB1429_114
; %bb.111:
	v_mul_u32_u24_e32 v1, 17, v8
	v_lshlrev_b32_e32 v2, 2, v1
	ds_read_b32 v31, v2 offset:64
	v_cmp_ne_u32_e64 s[2:3], s2, v8
	v_mov_b32_e32 v1, 0x2000
	s_and_saveexec_b64 s[8:9], s[2:3]
	s_cbranch_execz .LBB1429_113
; %bb.112:
	ds_read_b32 v1, v2 offset:132
.LBB1429_113:
	s_or_b64 exec, exec, s[8:9]
	s_waitcnt lgkmcnt(0)
	v_sub_u32_e32 v32, v1, v31
.LBB1429_114:
	s_or_b64 exec, exec, s[4:5]
	s_waitcnt lgkmcnt(7)
	v_add_u32_e32 v35, v0, v9
	v_add_u32_e32 v11, v17, v16
	v_lshlrev_b32_e32 v0, 1, v35
	v_add_u32_e32 v7, v19, v18
	s_waitcnt lgkmcnt(0)
	s_barrier
	ds_write_b16 v0, v4 offset:1024
	v_add_lshl_u32 v0, v11, v37, 1
	v_add_u32_e32 v6, v21, v20
	ds_write_b16 v0, v10 offset:1024
	v_add_lshl_u32 v0, v7, v28, 1
	v_add_u32_e32 v5, v23, v22
	;; [unrolled: 3-line block ×5, first 2 shown]
	ds_write_b16 v0, v36 offset:1024
	v_add_lshl_u32 v0, v2, v41, 1
	ds_write_b16 v0, v43 offset:1024
	v_add_lshl_u32 v0, v1, v42, 1
	ds_write_b16 v0, v13 offset:1024
                                        ; implicit-def: $vgpr10_vgpr11
	s_and_saveexec_b64 s[2:3], s[0:1]
	s_xor_b64 s[0:1], exec, s[2:3]
; %bb.115:
	v_mov_b32_e32 v9, 0
	v_pk_mov_b32 v[10:11], v[8:9], v[8:9] op_sel:[0,1]
                                        ; implicit-def: $vgpr44
; %bb.116:
	s_andn2_saveexec_b64 s[2:3], s[0:1]
	s_cbranch_execz .LBB1429_126
; %bb.117:
	v_lshl_or_b32 v0, s6, 8, v8
	v_mov_b32_e32 v1, 0
	v_lshlrev_b64 v[2:3], 2, v[0:1]
	v_mov_b32_e32 v6, s35
	v_add_co_u32_e64 v2, s[0:1], s34, v2
	v_addc_co_u32_e64 v3, s[0:1], v6, v3, s[0:1]
	v_or_b32_e32 v0, 2.0, v32
	s_mov_b64 s[4:5], 0
	s_brev_b32 s17, 1
	s_mov_b32 s18, s6
	v_mov_b32_e32 v7, 0
	global_store_dword v[2:3], v0, off
                                        ; implicit-def: $sgpr0_sgpr1
	s_branch .LBB1429_120
.LBB1429_118:                           ;   in Loop: Header=BB1429_120 Depth=1
	s_or_b64 exec, exec, s[14:15]
.LBB1429_119:                           ;   in Loop: Header=BB1429_120 Depth=1
	s_or_b64 exec, exec, s[8:9]
	v_and_b32_e32 v4, 0x3fffffff, v9
	v_add_u32_e32 v7, v4, v7
	v_cmp_eq_u32_e64 s[0:1], s17, v0
	s_and_b64 s[8:9], exec, s[0:1]
	s_or_b64 s[4:5], s[8:9], s[4:5]
	s_andn2_b64 exec, exec, s[4:5]
	s_cbranch_execz .LBB1429_125
.LBB1429_120:                           ; =>This Loop Header: Depth=1
                                        ;     Child Loop BB1429_123 Depth 2
	s_or_b64 s[0:1], s[0:1], exec
	s_cmp_eq_u32 s18, 0
	s_cbranch_scc1 .LBB1429_124
; %bb.121:                              ;   in Loop: Header=BB1429_120 Depth=1
	s_add_i32 s18, s18, -1
	v_lshl_or_b32 v0, s18, 8, v8
	v_lshlrev_b64 v[4:5], 2, v[0:1]
	v_add_co_u32_e64 v4, s[0:1], s34, v4
	v_addc_co_u32_e64 v5, s[0:1], v6, v5, s[0:1]
	global_load_dword v9, v[4:5], off glc
	s_waitcnt vmcnt(0)
	v_and_b32_e32 v0, -2.0, v9
	v_cmp_eq_u32_e64 s[0:1], 0, v0
	s_and_saveexec_b64 s[8:9], s[0:1]
	s_cbranch_execz .LBB1429_119
; %bb.122:                              ;   in Loop: Header=BB1429_120 Depth=1
	s_mov_b64 s[14:15], 0
.LBB1429_123:                           ;   Parent Loop BB1429_120 Depth=1
                                        ; =>  This Inner Loop Header: Depth=2
	global_load_dword v9, v[4:5], off glc
	s_waitcnt vmcnt(0)
	v_and_b32_e32 v0, -2.0, v9
	v_cmp_ne_u32_e64 s[0:1], 0, v0
	s_or_b64 s[14:15], s[0:1], s[14:15]
	s_andn2_b64 exec, exec, s[14:15]
	s_cbranch_execnz .LBB1429_123
	s_branch .LBB1429_118
.LBB1429_124:                           ;   in Loop: Header=BB1429_120 Depth=1
                                        ; implicit-def: $sgpr18
	s_and_b64 s[8:9], exec, s[0:1]
	s_or_b64 s[4:5], s[8:9], s[4:5]
	s_andn2_b64 exec, exec, s[4:5]
	s_cbranch_execnz .LBB1429_120
.LBB1429_125:
	s_or_b64 exec, exec, s[4:5]
	v_add_u32_e32 v0, v7, v32
	v_or_b32_e32 v0, 0x80000000, v0
	global_store_dword v[2:3], v0, off
	global_load_dword v0, v44, s[28:29]
	v_mov_b32_e32 v9, 0
	v_sub_u32_e32 v1, v7, v31
	v_pk_mov_b32 v[10:11], v[8:9], v[8:9] op_sel:[0,1]
	s_waitcnt vmcnt(0)
	v_add_u32_e32 v0, v1, v0
	ds_write_b32 v44, v0
.LBB1429_126:
	s_or_b64 exec, exec, s[2:3]
	v_lshlrev_b32_e32 v0, 1, v10
	s_waitcnt lgkmcnt(0)
	s_barrier
	v_lshlrev_b32_e32 v9, 1, v8
	ds_read_u16 v1, v0 offset:1024
	ds_read_u16 v2, v9 offset:3072
	;; [unrolled: 1-line block ×5, first 2 shown]
	s_waitcnt lgkmcnt(4)
	v_lshrrev_b32_sdwa v0, s44, v1 dst_sel:DWORD dst_unused:UNUSED_PAD src0_sel:DWORD src1_sel:WORD_0
	v_and_b32_e32 v0, s16, v0
	v_lshlrev_b32_e32 v3, 2, v0
	ds_read_b32 v4, v3
	s_waitcnt lgkmcnt(3)
	v_lshrrev_b32_sdwa v3, s44, v29 dst_sel:DWORD dst_unused:UNUSED_PAD src0_sel:DWORD src1_sel:WORD_0
	v_and_b32_e32 v3, s16, v3
	s_waitcnt lgkmcnt(2)
	v_lshrrev_b32_sdwa v5, s44, v33 dst_sel:DWORD dst_unused:UNUSED_PAD src0_sel:DWORD src1_sel:WORD_0
	v_lshlrev_b32_e32 v6, 2, v3
	v_and_b32_e32 v5, s16, v5
	s_waitcnt lgkmcnt(0)
	v_add_u32_e32 v12, v4, v8
	v_mov_b32_e32 v13, 0
	v_lshlrev_b32_e32 v7, 2, v5
	ds_read_b32 v43, v6
	ds_read_b32 v46, v7
	v_lshrrev_b32_sdwa v6, s44, v36 dst_sel:DWORD dst_unused:UNUSED_PAD src0_sel:DWORD src1_sel:WORD_0
	v_lshlrev_b64 v[44:45], 1, v[12:13]
	v_and_b32_e32 v7, s16, v6
	v_mov_b32_e32 v4, s39
	v_add_co_u32_e64 v44, s[0:1], s38, v44
	v_lshlrev_b32_e32 v6, 2, v7
	v_addc_co_u32_e64 v45, s[0:1], v4, v45, s[0:1]
	v_xor_b32_e32 v1, 0xffff8000, v1
	ds_read_b32 v47, v6
	ds_read_u16 v48, v9 offset:5120
	ds_read_u16 v49, v9 offset:9216
	;; [unrolled: 1-line block ×3, first 2 shown]
	global_store_short v[44:45], v1, off
	v_lshrrev_b32_sdwa v1, s44, v2 dst_sel:DWORD dst_unused:UNUSED_PAD src0_sel:DWORD src1_sel:WORD_0
	v_and_b32_e32 v1, s16, v1
	v_lshlrev_b32_e32 v4, 2, v1
	ds_read_b32 v4, v4
	s_movk_i32 s2, 0x400
	v_xor_b32_e32 v2, 0xffff8000, v2
	v_mov_b32_e32 v53, s39
	v_lshlrev_b32_e32 v14, 3, v14
	s_waitcnt lgkmcnt(0)
	v_add3_u32 v12, v4, v8, s2
	v_lshlrev_b64 v[44:45], 1, v[12:13]
	v_mov_b32_e32 v4, s39
	v_add_co_u32_e64 v44, s[0:1], s38, v44
	v_addc_co_u32_e64 v45, s[0:1], v4, v45, s[0:1]
	global_store_short v[44:45], v2, off
	v_lshrrev_b32_sdwa v2, s44, v48 dst_sel:DWORD dst_unused:UNUSED_PAD src0_sel:DWORD src1_sel:WORD_0
	v_and_b32_e32 v2, s16, v2
	v_lshlrev_b32_e32 v4, 2, v2
	ds_read_b32 v12, v4
	v_lshrrev_b32_sdwa v4, s44, v49 dst_sel:DWORD dst_unused:UNUSED_PAD src0_sel:DWORD src1_sel:WORD_0
	v_and_b32_e32 v4, s16, v4
	v_lshlrev_b32_e32 v6, 2, v4
	ds_read_b32 v51, v6
	v_lshrrev_b32_sdwa v6, s44, v50 dst_sel:DWORD dst_unused:UNUSED_PAD src0_sel:DWORD src1_sel:WORD_0
	s_movk_i32 s0, 0x800
	v_and_b32_e32 v6, s16, v6
	v_lshlrev_b32_e32 v44, 2, v6
	s_waitcnt lgkmcnt(1)
	v_add3_u32 v12, v12, v8, s0
	ds_read_b32 v52, v44
	v_lshlrev_b64 v[44:45], 1, v[12:13]
	v_add_co_u32_e64 v44, s[0:1], s38, v44
	v_addc_co_u32_e64 v45, s[0:1], v53, v45, s[0:1]
	v_xor_b32_e32 v12, 0xffff8000, v48
	s_movk_i32 s0, 0xc00
	global_store_short v[44:45], v12, off
	v_add3_u32 v12, v43, v8, s0
	v_lshlrev_b64 v[44:45], 1, v[12:13]
	v_mov_b32_e32 v43, s39
	v_add_co_u32_e64 v44, s[0:1], s38, v44
	v_addc_co_u32_e64 v45, s[0:1], v43, v45, s[0:1]
	v_xor_b32_e32 v12, 0xffff8000, v29
	s_movk_i32 s0, 0x1000
	global_store_short v[44:45], v12, off
	s_waitcnt lgkmcnt(1)
	v_add3_u32 v12, v51, v8, s0
	v_lshlrev_b64 v[44:45], 1, v[12:13]
	v_mov_b32_e32 v29, s39
	v_add_co_u32_e64 v44, s[0:1], s38, v44
	v_addc_co_u32_e64 v45, s[0:1], v29, v45, s[0:1]
	v_xor_b32_e32 v12, 0xffff8000, v49
	s_movk_i32 s0, 0x1400
	global_store_short v[44:45], v12, off
	v_add3_u32 v12, v46, v8, s0
	v_lshlrev_b64 v[44:45], 1, v[12:13]
	v_add_co_u32_e64 v44, s[0:1], s38, v44
	v_addc_co_u32_e64 v45, s[0:1], v29, v45, s[0:1]
	v_xor_b32_e32 v12, 0xffff8000, v33
	s_movk_i32 s0, 0x1800
	global_store_short v[44:45], v12, off
	s_waitcnt lgkmcnt(0)
	v_add3_u32 v12, v52, v8, s0
	v_lshlrev_b64 v[44:45], 1, v[12:13]
	v_add_co_u32_e64 v44, s[0:1], s38, v44
	v_addc_co_u32_e64 v45, s[0:1], v29, v45, s[0:1]
	v_xor_b32_e32 v12, 0xffff8000, v50
	s_movk_i32 s0, 0x1c00
	global_store_short v[44:45], v12, off
	v_add3_u32 v12, v47, v8, s0
	v_lshlrev_b64 v[44:45], 1, v[12:13]
	v_add_co_u32_e64 v44, s[0:1], s38, v44
	v_addc_co_u32_e64 v45, s[0:1], v29, v45, s[0:1]
	s_lshl_b64 s[0:1], s[12:13], 3
	v_xor_b32_e32 v12, 0xffff8000, v36
	s_add_u32 s0, s40, s0
	global_store_short v[44:45], v12, off
	s_addc_u32 s1, s41, s1
	v_lshlrev_b32_e32 v12, 3, v15
	v_mov_b32_e32 v15, s1
	v_add_co_u32_e64 v12, s[0:1], s0, v12
	v_addc_co_u32_e64 v15, s[0:1], 0, v15, s[0:1]
	v_add3_u32 v33, v34, v42, v27
	v_add3_u32 v34, v25, v40, v24
	v_add_co_u32_e64 v40, s[0:1], v12, v14
	v_add3_u32 v30, v30, v41, v26
	v_addc_co_u32_e64 v41, s[0:1], 0, v15, s[0:1]
	v_add3_u32 v36, v23, v39, v22
	v_add3_u32 v38, v21, v38, v20
	;; [unrolled: 1-line block ×4, first 2 shown]
	global_load_dwordx2 v[14:15], v[40:41], off
	global_load_dwordx2 v[16:17], v[40:41], off offset:512
	global_load_dwordx2 v[18:19], v[40:41], off offset:1024
	;; [unrolled: 1-line block ×7, first 2 shown]
	v_add_u32_e32 v9, 0x400, v9
	v_mul_u32_u24_e32 v12, 6, v8
	v_add_u32_e32 v9, v9, v12
	s_mov_b32 s3, 1
	s_mov_b32 s4, 0
	v_lshlrev_b32_e32 v40, 3, v10
	s_barrier
	s_waitcnt vmcnt(0)
.LBB1429_127:                           ; =>This Inner Loop Header: Depth=1
	v_add_u32_e32 v12, s4, v35
	v_min_u32_e32 v12, 0x800, v12
	v_lshlrev_b32_e32 v12, 3, v12
	ds_write_b64 v12, v[14:15] offset:1024
	v_add_u32_e32 v12, s4, v37
	v_min_u32_e32 v12, 0x800, v12
	v_lshlrev_b32_e32 v12, 3, v12
	ds_write_b64 v12, v[16:17] offset:1024
	;; [unrolled: 4-line block ×7, first 2 shown]
	v_add_u32_e32 v12, s4, v33
	s_add_i32 s5, s3, -1
	v_min_u32_e32 v12, 0x800, v12
	s_cmp_eq_u32 s5, 1
	v_lshlrev_b32_e32 v12, 3, v12
	s_cselect_b64 s[0:1], -1, 0
	s_cmp_eq_u32 s5, 2
	ds_write_b64 v12, v[28:29] offset:1024
	v_cndmask_b32_e64 v12, v0, v1, s[0:1]
	s_cselect_b64 s[0:1], -1, 0
	s_cmp_eq_u32 s5, 3
	v_cndmask_b32_e64 v12, v12, v2, s[0:1]
	s_cselect_b64 s[0:1], -1, 0
	s_cmp_eq_u32 s5, 4
	;; [unrolled: 3-line block ×10, first 2 shown]
	v_lshlrev_b32_e32 v12, 2, v12
	v_cndmask_b32_e64 v41, v41, v4, s[0:1]
	s_cselect_b64 s[0:1], -1, 0
	s_cmp_eq_u32 s3, 6
	s_waitcnt lgkmcnt(0)
	s_barrier
	ds_read_b32 v12, v12
	v_cndmask_b32_e64 v41, v41, v5, s[0:1]
	s_cselect_b64 s[0:1], -1, 0
	s_cmp_eq_u32 s3, 7
	v_cndmask_b32_e64 v41, v41, v6, s[0:1]
	s_cselect_b64 s[0:1], -1, 0
	v_cndmask_b32_e64 v41, v41, v7, s[0:1]
	v_lshlrev_b32_e32 v41, 2, v41
	ds_read_b32 v41, v41
	ds_read_b64 v[42:43], v9 offset:8192
	ds_read_b64 v[46:47], v40 offset:1024
	s_waitcnt lgkmcnt(3)
	v_add_u32_e32 v12, v8, v12
	v_lshlrev_b64 v[44:45], 3, v[12:13]
	v_mov_b32_e32 v48, s43
	v_add_co_u32_e64 v44, s[0:1], s42, v44
	v_addc_co_u32_e64 v45, s[0:1], v48, v45, s[0:1]
	s_waitcnt lgkmcnt(2)
	v_add3_u32 v12, v8, v41, s2
	s_waitcnt lgkmcnt(0)
	global_store_dwordx2 v[44:45], v[46:47], off
	v_lshlrev_b64 v[44:45], 3, v[12:13]
	v_add_co_u32_e64 v44, s[0:1], s42, v44
	s_addk_i32 s4, 0xf800
	s_add_i32 s3, s3, 2
	v_addc_co_u32_e64 v45, s[0:1], v48, v45, s[0:1]
	s_cmpk_lg_i32 s4, 0xe000
	v_add_u32_e32 v8, 0x800, v8
	global_store_dwordx2 v[44:45], v[42:43], off
	s_barrier
	s_cbranch_scc1 .LBB1429_127
; %bb.128:
	s_add_i32 s7, s7, -1
	s_cmp_eq_u32 s7, s6
	s_cselect_b64 s[0:1], -1, 0
	s_and_b64 s[2:3], vcc, s[0:1]
                                        ; implicit-def: $vgpr2
	s_and_saveexec_b64 s[0:1], s[2:3]
; %bb.129:
	v_add_u32_e32 v2, v31, v32
	s_or_b64 s[10:11], s[10:11], exec
; %bb.130:
	s_or_b64 exec, exec, s[0:1]
.LBB1429_131:
	s_and_saveexec_b64 s[0:1], s[10:11]
	s_cbranch_execnz .LBB1429_133
; %bb.132:
	s_endpgm
.LBB1429_133:
	v_lshlrev_b32_e32 v3, 2, v10
	ds_read_b32 v3, v3
	v_lshlrev_b64 v[0:1], 2, v[10:11]
	v_mov_b32_e32 v4, s31
	v_add_co_u32_e32 v0, vcc, s30, v0
	v_addc_co_u32_e32 v1, vcc, v4, v1, vcc
	s_waitcnt lgkmcnt(0)
	v_add_u32_e32 v2, v3, v2
	global_store_dword v[0:1], v2, off
	s_endpgm
.LBB1429_134:
	global_load_dwordx2 v[12:13], v[28:29], off
	s_or_b64 exec, exec, s[18:19]
                                        ; implicit-def: $vgpr14_vgpr15
	s_and_saveexec_b64 s[18:19], s[0:1]
	s_cbranch_execz .LBB1429_71
.LBB1429_135:
	global_load_dwordx2 v[14:15], v[28:29], off offset:512
	s_or_b64 exec, exec, s[18:19]
                                        ; implicit-def: $vgpr16_vgpr17
	s_and_saveexec_b64 s[0:1], s[2:3]
	s_cbranch_execz .LBB1429_72
.LBB1429_136:
	global_load_dwordx2 v[16:17], v[28:29], off offset:1024
	s_or_b64 exec, exec, s[0:1]
                                        ; implicit-def: $vgpr18_vgpr19
	s_and_saveexec_b64 s[0:1], s[24:25]
	s_cbranch_execz .LBB1429_73
.LBB1429_137:
	global_load_dwordx2 v[18:19], v[28:29], off offset:1536
	s_or_b64 exec, exec, s[0:1]
                                        ; implicit-def: $vgpr20_vgpr21
	s_and_saveexec_b64 s[0:1], s[8:9]
	s_cbranch_execz .LBB1429_74
.LBB1429_138:
	global_load_dwordx2 v[20:21], v[28:29], off offset:2048
	s_or_b64 exec, exec, s[0:1]
                                        ; implicit-def: $vgpr22_vgpr23
	s_and_saveexec_b64 s[0:1], s[10:11]
	s_cbranch_execz .LBB1429_75
.LBB1429_139:
	global_load_dwordx2 v[22:23], v[28:29], off offset:2560
	s_or_b64 exec, exec, s[0:1]
                                        ; implicit-def: $vgpr24_vgpr25
	s_and_saveexec_b64 s[0:1], s[12:13]
	s_cbranch_execz .LBB1429_76
.LBB1429_140:
	global_load_dwordx2 v[24:25], v[28:29], off offset:3072
	s_or_b64 exec, exec, s[0:1]
                                        ; implicit-def: $vgpr26_vgpr27
	s_and_saveexec_b64 s[0:1], s[14:15]
	s_cbranch_execnz .LBB1429_77
	s_branch .LBB1429_78
	.section	.rodata,"a",@progbits
	.p2align	6, 0x0
	.amdhsa_kernel _ZN7rocprim17ROCPRIM_400000_NS6detail17trampoline_kernelINS0_14default_configENS1_35radix_sort_onesweep_config_selectorIslEEZZNS1_29radix_sort_onesweep_iterationIS3_Lb0EPsS7_N6thrust23THRUST_200600_302600_NS10device_ptrIlEESB_jNS0_19identity_decomposerENS1_16block_id_wrapperIjLb0EEEEE10hipError_tT1_PNSt15iterator_traitsISG_E10value_typeET2_T3_PNSH_ISM_E10value_typeET4_T5_PSR_SS_PNS1_23onesweep_lookback_stateEbbT6_jjT7_P12ihipStream_tbENKUlT_T0_SG_SL_E_clIS7_S7_SB_SB_EEDaSZ_S10_SG_SL_EUlSZ_E_NS1_11comp_targetILNS1_3genE4ELNS1_11target_archE910ELNS1_3gpuE8ELNS1_3repE0EEENS1_47radix_sort_onesweep_sort_config_static_selectorELNS0_4arch9wavefront6targetE1EEEvSG_
		.amdhsa_group_segment_fixed_size 20552
		.amdhsa_private_segment_fixed_size 0
		.amdhsa_kernarg_size 344
		.amdhsa_user_sgpr_count 6
		.amdhsa_user_sgpr_private_segment_buffer 1
		.amdhsa_user_sgpr_dispatch_ptr 0
		.amdhsa_user_sgpr_queue_ptr 0
		.amdhsa_user_sgpr_kernarg_segment_ptr 1
		.amdhsa_user_sgpr_dispatch_id 0
		.amdhsa_user_sgpr_flat_scratch_init 0
		.amdhsa_user_sgpr_kernarg_preload_length 0
		.amdhsa_user_sgpr_kernarg_preload_offset 0
		.amdhsa_user_sgpr_private_segment_size 0
		.amdhsa_uses_dynamic_stack 0
		.amdhsa_system_sgpr_private_segment_wavefront_offset 0
		.amdhsa_system_sgpr_workgroup_id_x 1
		.amdhsa_system_sgpr_workgroup_id_y 0
		.amdhsa_system_sgpr_workgroup_id_z 0
		.amdhsa_system_sgpr_workgroup_info 0
		.amdhsa_system_vgpr_workitem_id 2
		.amdhsa_next_free_vgpr 55
		.amdhsa_next_free_sgpr 53
		.amdhsa_accum_offset 56
		.amdhsa_reserve_vcc 1
		.amdhsa_reserve_flat_scratch 0
		.amdhsa_float_round_mode_32 0
		.amdhsa_float_round_mode_16_64 0
		.amdhsa_float_denorm_mode_32 3
		.amdhsa_float_denorm_mode_16_64 3
		.amdhsa_dx10_clamp 1
		.amdhsa_ieee_mode 1
		.amdhsa_fp16_overflow 0
		.amdhsa_tg_split 0
		.amdhsa_exception_fp_ieee_invalid_op 0
		.amdhsa_exception_fp_denorm_src 0
		.amdhsa_exception_fp_ieee_div_zero 0
		.amdhsa_exception_fp_ieee_overflow 0
		.amdhsa_exception_fp_ieee_underflow 0
		.amdhsa_exception_fp_ieee_inexact 0
		.amdhsa_exception_int_div_zero 0
	.end_amdhsa_kernel
	.section	.text._ZN7rocprim17ROCPRIM_400000_NS6detail17trampoline_kernelINS0_14default_configENS1_35radix_sort_onesweep_config_selectorIslEEZZNS1_29radix_sort_onesweep_iterationIS3_Lb0EPsS7_N6thrust23THRUST_200600_302600_NS10device_ptrIlEESB_jNS0_19identity_decomposerENS1_16block_id_wrapperIjLb0EEEEE10hipError_tT1_PNSt15iterator_traitsISG_E10value_typeET2_T3_PNSH_ISM_E10value_typeET4_T5_PSR_SS_PNS1_23onesweep_lookback_stateEbbT6_jjT7_P12ihipStream_tbENKUlT_T0_SG_SL_E_clIS7_S7_SB_SB_EEDaSZ_S10_SG_SL_EUlSZ_E_NS1_11comp_targetILNS1_3genE4ELNS1_11target_archE910ELNS1_3gpuE8ELNS1_3repE0EEENS1_47radix_sort_onesweep_sort_config_static_selectorELNS0_4arch9wavefront6targetE1EEEvSG_,"axG",@progbits,_ZN7rocprim17ROCPRIM_400000_NS6detail17trampoline_kernelINS0_14default_configENS1_35radix_sort_onesweep_config_selectorIslEEZZNS1_29radix_sort_onesweep_iterationIS3_Lb0EPsS7_N6thrust23THRUST_200600_302600_NS10device_ptrIlEESB_jNS0_19identity_decomposerENS1_16block_id_wrapperIjLb0EEEEE10hipError_tT1_PNSt15iterator_traitsISG_E10value_typeET2_T3_PNSH_ISM_E10value_typeET4_T5_PSR_SS_PNS1_23onesweep_lookback_stateEbbT6_jjT7_P12ihipStream_tbENKUlT_T0_SG_SL_E_clIS7_S7_SB_SB_EEDaSZ_S10_SG_SL_EUlSZ_E_NS1_11comp_targetILNS1_3genE4ELNS1_11target_archE910ELNS1_3gpuE8ELNS1_3repE0EEENS1_47radix_sort_onesweep_sort_config_static_selectorELNS0_4arch9wavefront6targetE1EEEvSG_,comdat
.Lfunc_end1429:
	.size	_ZN7rocprim17ROCPRIM_400000_NS6detail17trampoline_kernelINS0_14default_configENS1_35radix_sort_onesweep_config_selectorIslEEZZNS1_29radix_sort_onesweep_iterationIS3_Lb0EPsS7_N6thrust23THRUST_200600_302600_NS10device_ptrIlEESB_jNS0_19identity_decomposerENS1_16block_id_wrapperIjLb0EEEEE10hipError_tT1_PNSt15iterator_traitsISG_E10value_typeET2_T3_PNSH_ISM_E10value_typeET4_T5_PSR_SS_PNS1_23onesweep_lookback_stateEbbT6_jjT7_P12ihipStream_tbENKUlT_T0_SG_SL_E_clIS7_S7_SB_SB_EEDaSZ_S10_SG_SL_EUlSZ_E_NS1_11comp_targetILNS1_3genE4ELNS1_11target_archE910ELNS1_3gpuE8ELNS1_3repE0EEENS1_47radix_sort_onesweep_sort_config_static_selectorELNS0_4arch9wavefront6targetE1EEEvSG_, .Lfunc_end1429-_ZN7rocprim17ROCPRIM_400000_NS6detail17trampoline_kernelINS0_14default_configENS1_35radix_sort_onesweep_config_selectorIslEEZZNS1_29radix_sort_onesweep_iterationIS3_Lb0EPsS7_N6thrust23THRUST_200600_302600_NS10device_ptrIlEESB_jNS0_19identity_decomposerENS1_16block_id_wrapperIjLb0EEEEE10hipError_tT1_PNSt15iterator_traitsISG_E10value_typeET2_T3_PNSH_ISM_E10value_typeET4_T5_PSR_SS_PNS1_23onesweep_lookback_stateEbbT6_jjT7_P12ihipStream_tbENKUlT_T0_SG_SL_E_clIS7_S7_SB_SB_EEDaSZ_S10_SG_SL_EUlSZ_E_NS1_11comp_targetILNS1_3genE4ELNS1_11target_archE910ELNS1_3gpuE8ELNS1_3repE0EEENS1_47radix_sort_onesweep_sort_config_static_selectorELNS0_4arch9wavefront6targetE1EEEvSG_
                                        ; -- End function
	.section	.AMDGPU.csdata,"",@progbits
; Kernel info:
; codeLenInByte = 13608
; NumSgprs: 57
; NumVgprs: 55
; NumAgprs: 0
; TotalNumVgprs: 55
; ScratchSize: 0
; MemoryBound: 0
; FloatMode: 240
; IeeeMode: 1
; LDSByteSize: 20552 bytes/workgroup (compile time only)
; SGPRBlocks: 7
; VGPRBlocks: 6
; NumSGPRsForWavesPerEU: 57
; NumVGPRsForWavesPerEU: 55
; AccumOffset: 56
; Occupancy: 8
; WaveLimiterHint : 1
; COMPUTE_PGM_RSRC2:SCRATCH_EN: 0
; COMPUTE_PGM_RSRC2:USER_SGPR: 6
; COMPUTE_PGM_RSRC2:TRAP_HANDLER: 0
; COMPUTE_PGM_RSRC2:TGID_X_EN: 1
; COMPUTE_PGM_RSRC2:TGID_Y_EN: 0
; COMPUTE_PGM_RSRC2:TGID_Z_EN: 0
; COMPUTE_PGM_RSRC2:TIDIG_COMP_CNT: 2
; COMPUTE_PGM_RSRC3_GFX90A:ACCUM_OFFSET: 13
; COMPUTE_PGM_RSRC3_GFX90A:TG_SPLIT: 0
	.section	.text._ZN7rocprim17ROCPRIM_400000_NS6detail17trampoline_kernelINS0_14default_configENS1_35radix_sort_onesweep_config_selectorIslEEZZNS1_29radix_sort_onesweep_iterationIS3_Lb0EPsS7_N6thrust23THRUST_200600_302600_NS10device_ptrIlEESB_jNS0_19identity_decomposerENS1_16block_id_wrapperIjLb0EEEEE10hipError_tT1_PNSt15iterator_traitsISG_E10value_typeET2_T3_PNSH_ISM_E10value_typeET4_T5_PSR_SS_PNS1_23onesweep_lookback_stateEbbT6_jjT7_P12ihipStream_tbENKUlT_T0_SG_SL_E_clIS7_S7_SB_SB_EEDaSZ_S10_SG_SL_EUlSZ_E_NS1_11comp_targetILNS1_3genE3ELNS1_11target_archE908ELNS1_3gpuE7ELNS1_3repE0EEENS1_47radix_sort_onesweep_sort_config_static_selectorELNS0_4arch9wavefront6targetE1EEEvSG_,"axG",@progbits,_ZN7rocprim17ROCPRIM_400000_NS6detail17trampoline_kernelINS0_14default_configENS1_35radix_sort_onesweep_config_selectorIslEEZZNS1_29radix_sort_onesweep_iterationIS3_Lb0EPsS7_N6thrust23THRUST_200600_302600_NS10device_ptrIlEESB_jNS0_19identity_decomposerENS1_16block_id_wrapperIjLb0EEEEE10hipError_tT1_PNSt15iterator_traitsISG_E10value_typeET2_T3_PNSH_ISM_E10value_typeET4_T5_PSR_SS_PNS1_23onesweep_lookback_stateEbbT6_jjT7_P12ihipStream_tbENKUlT_T0_SG_SL_E_clIS7_S7_SB_SB_EEDaSZ_S10_SG_SL_EUlSZ_E_NS1_11comp_targetILNS1_3genE3ELNS1_11target_archE908ELNS1_3gpuE7ELNS1_3repE0EEENS1_47radix_sort_onesweep_sort_config_static_selectorELNS0_4arch9wavefront6targetE1EEEvSG_,comdat
	.protected	_ZN7rocprim17ROCPRIM_400000_NS6detail17trampoline_kernelINS0_14default_configENS1_35radix_sort_onesweep_config_selectorIslEEZZNS1_29radix_sort_onesweep_iterationIS3_Lb0EPsS7_N6thrust23THRUST_200600_302600_NS10device_ptrIlEESB_jNS0_19identity_decomposerENS1_16block_id_wrapperIjLb0EEEEE10hipError_tT1_PNSt15iterator_traitsISG_E10value_typeET2_T3_PNSH_ISM_E10value_typeET4_T5_PSR_SS_PNS1_23onesweep_lookback_stateEbbT6_jjT7_P12ihipStream_tbENKUlT_T0_SG_SL_E_clIS7_S7_SB_SB_EEDaSZ_S10_SG_SL_EUlSZ_E_NS1_11comp_targetILNS1_3genE3ELNS1_11target_archE908ELNS1_3gpuE7ELNS1_3repE0EEENS1_47radix_sort_onesweep_sort_config_static_selectorELNS0_4arch9wavefront6targetE1EEEvSG_ ; -- Begin function _ZN7rocprim17ROCPRIM_400000_NS6detail17trampoline_kernelINS0_14default_configENS1_35radix_sort_onesweep_config_selectorIslEEZZNS1_29radix_sort_onesweep_iterationIS3_Lb0EPsS7_N6thrust23THRUST_200600_302600_NS10device_ptrIlEESB_jNS0_19identity_decomposerENS1_16block_id_wrapperIjLb0EEEEE10hipError_tT1_PNSt15iterator_traitsISG_E10value_typeET2_T3_PNSH_ISM_E10value_typeET4_T5_PSR_SS_PNS1_23onesweep_lookback_stateEbbT6_jjT7_P12ihipStream_tbENKUlT_T0_SG_SL_E_clIS7_S7_SB_SB_EEDaSZ_S10_SG_SL_EUlSZ_E_NS1_11comp_targetILNS1_3genE3ELNS1_11target_archE908ELNS1_3gpuE7ELNS1_3repE0EEENS1_47radix_sort_onesweep_sort_config_static_selectorELNS0_4arch9wavefront6targetE1EEEvSG_
	.globl	_ZN7rocprim17ROCPRIM_400000_NS6detail17trampoline_kernelINS0_14default_configENS1_35radix_sort_onesweep_config_selectorIslEEZZNS1_29radix_sort_onesweep_iterationIS3_Lb0EPsS7_N6thrust23THRUST_200600_302600_NS10device_ptrIlEESB_jNS0_19identity_decomposerENS1_16block_id_wrapperIjLb0EEEEE10hipError_tT1_PNSt15iterator_traitsISG_E10value_typeET2_T3_PNSH_ISM_E10value_typeET4_T5_PSR_SS_PNS1_23onesweep_lookback_stateEbbT6_jjT7_P12ihipStream_tbENKUlT_T0_SG_SL_E_clIS7_S7_SB_SB_EEDaSZ_S10_SG_SL_EUlSZ_E_NS1_11comp_targetILNS1_3genE3ELNS1_11target_archE908ELNS1_3gpuE7ELNS1_3repE0EEENS1_47radix_sort_onesweep_sort_config_static_selectorELNS0_4arch9wavefront6targetE1EEEvSG_
	.p2align	8
	.type	_ZN7rocprim17ROCPRIM_400000_NS6detail17trampoline_kernelINS0_14default_configENS1_35radix_sort_onesweep_config_selectorIslEEZZNS1_29radix_sort_onesweep_iterationIS3_Lb0EPsS7_N6thrust23THRUST_200600_302600_NS10device_ptrIlEESB_jNS0_19identity_decomposerENS1_16block_id_wrapperIjLb0EEEEE10hipError_tT1_PNSt15iterator_traitsISG_E10value_typeET2_T3_PNSH_ISM_E10value_typeET4_T5_PSR_SS_PNS1_23onesweep_lookback_stateEbbT6_jjT7_P12ihipStream_tbENKUlT_T0_SG_SL_E_clIS7_S7_SB_SB_EEDaSZ_S10_SG_SL_EUlSZ_E_NS1_11comp_targetILNS1_3genE3ELNS1_11target_archE908ELNS1_3gpuE7ELNS1_3repE0EEENS1_47radix_sort_onesweep_sort_config_static_selectorELNS0_4arch9wavefront6targetE1EEEvSG_,@function
_ZN7rocprim17ROCPRIM_400000_NS6detail17trampoline_kernelINS0_14default_configENS1_35radix_sort_onesweep_config_selectorIslEEZZNS1_29radix_sort_onesweep_iterationIS3_Lb0EPsS7_N6thrust23THRUST_200600_302600_NS10device_ptrIlEESB_jNS0_19identity_decomposerENS1_16block_id_wrapperIjLb0EEEEE10hipError_tT1_PNSt15iterator_traitsISG_E10value_typeET2_T3_PNSH_ISM_E10value_typeET4_T5_PSR_SS_PNS1_23onesweep_lookback_stateEbbT6_jjT7_P12ihipStream_tbENKUlT_T0_SG_SL_E_clIS7_S7_SB_SB_EEDaSZ_S10_SG_SL_EUlSZ_E_NS1_11comp_targetILNS1_3genE3ELNS1_11target_archE908ELNS1_3gpuE7ELNS1_3repE0EEENS1_47radix_sort_onesweep_sort_config_static_selectorELNS0_4arch9wavefront6targetE1EEEvSG_: ; @_ZN7rocprim17ROCPRIM_400000_NS6detail17trampoline_kernelINS0_14default_configENS1_35radix_sort_onesweep_config_selectorIslEEZZNS1_29radix_sort_onesweep_iterationIS3_Lb0EPsS7_N6thrust23THRUST_200600_302600_NS10device_ptrIlEESB_jNS0_19identity_decomposerENS1_16block_id_wrapperIjLb0EEEEE10hipError_tT1_PNSt15iterator_traitsISG_E10value_typeET2_T3_PNSH_ISM_E10value_typeET4_T5_PSR_SS_PNS1_23onesweep_lookback_stateEbbT6_jjT7_P12ihipStream_tbENKUlT_T0_SG_SL_E_clIS7_S7_SB_SB_EEDaSZ_S10_SG_SL_EUlSZ_E_NS1_11comp_targetILNS1_3genE3ELNS1_11target_archE908ELNS1_3gpuE7ELNS1_3repE0EEENS1_47radix_sort_onesweep_sort_config_static_selectorELNS0_4arch9wavefront6targetE1EEEvSG_
; %bb.0:
	.section	.rodata,"a",@progbits
	.p2align	6, 0x0
	.amdhsa_kernel _ZN7rocprim17ROCPRIM_400000_NS6detail17trampoline_kernelINS0_14default_configENS1_35radix_sort_onesweep_config_selectorIslEEZZNS1_29radix_sort_onesweep_iterationIS3_Lb0EPsS7_N6thrust23THRUST_200600_302600_NS10device_ptrIlEESB_jNS0_19identity_decomposerENS1_16block_id_wrapperIjLb0EEEEE10hipError_tT1_PNSt15iterator_traitsISG_E10value_typeET2_T3_PNSH_ISM_E10value_typeET4_T5_PSR_SS_PNS1_23onesweep_lookback_stateEbbT6_jjT7_P12ihipStream_tbENKUlT_T0_SG_SL_E_clIS7_S7_SB_SB_EEDaSZ_S10_SG_SL_EUlSZ_E_NS1_11comp_targetILNS1_3genE3ELNS1_11target_archE908ELNS1_3gpuE7ELNS1_3repE0EEENS1_47radix_sort_onesweep_sort_config_static_selectorELNS0_4arch9wavefront6targetE1EEEvSG_
		.amdhsa_group_segment_fixed_size 0
		.amdhsa_private_segment_fixed_size 0
		.amdhsa_kernarg_size 88
		.amdhsa_user_sgpr_count 6
		.amdhsa_user_sgpr_private_segment_buffer 1
		.amdhsa_user_sgpr_dispatch_ptr 0
		.amdhsa_user_sgpr_queue_ptr 0
		.amdhsa_user_sgpr_kernarg_segment_ptr 1
		.amdhsa_user_sgpr_dispatch_id 0
		.amdhsa_user_sgpr_flat_scratch_init 0
		.amdhsa_user_sgpr_kernarg_preload_length 0
		.amdhsa_user_sgpr_kernarg_preload_offset 0
		.amdhsa_user_sgpr_private_segment_size 0
		.amdhsa_uses_dynamic_stack 0
		.amdhsa_system_sgpr_private_segment_wavefront_offset 0
		.amdhsa_system_sgpr_workgroup_id_x 1
		.amdhsa_system_sgpr_workgroup_id_y 0
		.amdhsa_system_sgpr_workgroup_id_z 0
		.amdhsa_system_sgpr_workgroup_info 0
		.amdhsa_system_vgpr_workitem_id 0
		.amdhsa_next_free_vgpr 1
		.amdhsa_next_free_sgpr 0
		.amdhsa_accum_offset 4
		.amdhsa_reserve_vcc 0
		.amdhsa_reserve_flat_scratch 0
		.amdhsa_float_round_mode_32 0
		.amdhsa_float_round_mode_16_64 0
		.amdhsa_float_denorm_mode_32 3
		.amdhsa_float_denorm_mode_16_64 3
		.amdhsa_dx10_clamp 1
		.amdhsa_ieee_mode 1
		.amdhsa_fp16_overflow 0
		.amdhsa_tg_split 0
		.amdhsa_exception_fp_ieee_invalid_op 0
		.amdhsa_exception_fp_denorm_src 0
		.amdhsa_exception_fp_ieee_div_zero 0
		.amdhsa_exception_fp_ieee_overflow 0
		.amdhsa_exception_fp_ieee_underflow 0
		.amdhsa_exception_fp_ieee_inexact 0
		.amdhsa_exception_int_div_zero 0
	.end_amdhsa_kernel
	.section	.text._ZN7rocprim17ROCPRIM_400000_NS6detail17trampoline_kernelINS0_14default_configENS1_35radix_sort_onesweep_config_selectorIslEEZZNS1_29radix_sort_onesweep_iterationIS3_Lb0EPsS7_N6thrust23THRUST_200600_302600_NS10device_ptrIlEESB_jNS0_19identity_decomposerENS1_16block_id_wrapperIjLb0EEEEE10hipError_tT1_PNSt15iterator_traitsISG_E10value_typeET2_T3_PNSH_ISM_E10value_typeET4_T5_PSR_SS_PNS1_23onesweep_lookback_stateEbbT6_jjT7_P12ihipStream_tbENKUlT_T0_SG_SL_E_clIS7_S7_SB_SB_EEDaSZ_S10_SG_SL_EUlSZ_E_NS1_11comp_targetILNS1_3genE3ELNS1_11target_archE908ELNS1_3gpuE7ELNS1_3repE0EEENS1_47radix_sort_onesweep_sort_config_static_selectorELNS0_4arch9wavefront6targetE1EEEvSG_,"axG",@progbits,_ZN7rocprim17ROCPRIM_400000_NS6detail17trampoline_kernelINS0_14default_configENS1_35radix_sort_onesweep_config_selectorIslEEZZNS1_29radix_sort_onesweep_iterationIS3_Lb0EPsS7_N6thrust23THRUST_200600_302600_NS10device_ptrIlEESB_jNS0_19identity_decomposerENS1_16block_id_wrapperIjLb0EEEEE10hipError_tT1_PNSt15iterator_traitsISG_E10value_typeET2_T3_PNSH_ISM_E10value_typeET4_T5_PSR_SS_PNS1_23onesweep_lookback_stateEbbT6_jjT7_P12ihipStream_tbENKUlT_T0_SG_SL_E_clIS7_S7_SB_SB_EEDaSZ_S10_SG_SL_EUlSZ_E_NS1_11comp_targetILNS1_3genE3ELNS1_11target_archE908ELNS1_3gpuE7ELNS1_3repE0EEENS1_47radix_sort_onesweep_sort_config_static_selectorELNS0_4arch9wavefront6targetE1EEEvSG_,comdat
.Lfunc_end1430:
	.size	_ZN7rocprim17ROCPRIM_400000_NS6detail17trampoline_kernelINS0_14default_configENS1_35radix_sort_onesweep_config_selectorIslEEZZNS1_29radix_sort_onesweep_iterationIS3_Lb0EPsS7_N6thrust23THRUST_200600_302600_NS10device_ptrIlEESB_jNS0_19identity_decomposerENS1_16block_id_wrapperIjLb0EEEEE10hipError_tT1_PNSt15iterator_traitsISG_E10value_typeET2_T3_PNSH_ISM_E10value_typeET4_T5_PSR_SS_PNS1_23onesweep_lookback_stateEbbT6_jjT7_P12ihipStream_tbENKUlT_T0_SG_SL_E_clIS7_S7_SB_SB_EEDaSZ_S10_SG_SL_EUlSZ_E_NS1_11comp_targetILNS1_3genE3ELNS1_11target_archE908ELNS1_3gpuE7ELNS1_3repE0EEENS1_47radix_sort_onesweep_sort_config_static_selectorELNS0_4arch9wavefront6targetE1EEEvSG_, .Lfunc_end1430-_ZN7rocprim17ROCPRIM_400000_NS6detail17trampoline_kernelINS0_14default_configENS1_35radix_sort_onesweep_config_selectorIslEEZZNS1_29radix_sort_onesweep_iterationIS3_Lb0EPsS7_N6thrust23THRUST_200600_302600_NS10device_ptrIlEESB_jNS0_19identity_decomposerENS1_16block_id_wrapperIjLb0EEEEE10hipError_tT1_PNSt15iterator_traitsISG_E10value_typeET2_T3_PNSH_ISM_E10value_typeET4_T5_PSR_SS_PNS1_23onesweep_lookback_stateEbbT6_jjT7_P12ihipStream_tbENKUlT_T0_SG_SL_E_clIS7_S7_SB_SB_EEDaSZ_S10_SG_SL_EUlSZ_E_NS1_11comp_targetILNS1_3genE3ELNS1_11target_archE908ELNS1_3gpuE7ELNS1_3repE0EEENS1_47radix_sort_onesweep_sort_config_static_selectorELNS0_4arch9wavefront6targetE1EEEvSG_
                                        ; -- End function
	.section	.AMDGPU.csdata,"",@progbits
; Kernel info:
; codeLenInByte = 0
; NumSgprs: 4
; NumVgprs: 0
; NumAgprs: 0
; TotalNumVgprs: 0
; ScratchSize: 0
; MemoryBound: 0
; FloatMode: 240
; IeeeMode: 1
; LDSByteSize: 0 bytes/workgroup (compile time only)
; SGPRBlocks: 0
; VGPRBlocks: 0
; NumSGPRsForWavesPerEU: 4
; NumVGPRsForWavesPerEU: 1
; AccumOffset: 4
; Occupancy: 8
; WaveLimiterHint : 0
; COMPUTE_PGM_RSRC2:SCRATCH_EN: 0
; COMPUTE_PGM_RSRC2:USER_SGPR: 6
; COMPUTE_PGM_RSRC2:TRAP_HANDLER: 0
; COMPUTE_PGM_RSRC2:TGID_X_EN: 1
; COMPUTE_PGM_RSRC2:TGID_Y_EN: 0
; COMPUTE_PGM_RSRC2:TGID_Z_EN: 0
; COMPUTE_PGM_RSRC2:TIDIG_COMP_CNT: 0
; COMPUTE_PGM_RSRC3_GFX90A:ACCUM_OFFSET: 0
; COMPUTE_PGM_RSRC3_GFX90A:TG_SPLIT: 0
	.section	.text._ZN7rocprim17ROCPRIM_400000_NS6detail17trampoline_kernelINS0_14default_configENS1_35radix_sort_onesweep_config_selectorIslEEZZNS1_29radix_sort_onesweep_iterationIS3_Lb0EPsS7_N6thrust23THRUST_200600_302600_NS10device_ptrIlEESB_jNS0_19identity_decomposerENS1_16block_id_wrapperIjLb0EEEEE10hipError_tT1_PNSt15iterator_traitsISG_E10value_typeET2_T3_PNSH_ISM_E10value_typeET4_T5_PSR_SS_PNS1_23onesweep_lookback_stateEbbT6_jjT7_P12ihipStream_tbENKUlT_T0_SG_SL_E_clIS7_S7_SB_SB_EEDaSZ_S10_SG_SL_EUlSZ_E_NS1_11comp_targetILNS1_3genE10ELNS1_11target_archE1201ELNS1_3gpuE5ELNS1_3repE0EEENS1_47radix_sort_onesweep_sort_config_static_selectorELNS0_4arch9wavefront6targetE1EEEvSG_,"axG",@progbits,_ZN7rocprim17ROCPRIM_400000_NS6detail17trampoline_kernelINS0_14default_configENS1_35radix_sort_onesweep_config_selectorIslEEZZNS1_29radix_sort_onesweep_iterationIS3_Lb0EPsS7_N6thrust23THRUST_200600_302600_NS10device_ptrIlEESB_jNS0_19identity_decomposerENS1_16block_id_wrapperIjLb0EEEEE10hipError_tT1_PNSt15iterator_traitsISG_E10value_typeET2_T3_PNSH_ISM_E10value_typeET4_T5_PSR_SS_PNS1_23onesweep_lookback_stateEbbT6_jjT7_P12ihipStream_tbENKUlT_T0_SG_SL_E_clIS7_S7_SB_SB_EEDaSZ_S10_SG_SL_EUlSZ_E_NS1_11comp_targetILNS1_3genE10ELNS1_11target_archE1201ELNS1_3gpuE5ELNS1_3repE0EEENS1_47radix_sort_onesweep_sort_config_static_selectorELNS0_4arch9wavefront6targetE1EEEvSG_,comdat
	.protected	_ZN7rocprim17ROCPRIM_400000_NS6detail17trampoline_kernelINS0_14default_configENS1_35radix_sort_onesweep_config_selectorIslEEZZNS1_29radix_sort_onesweep_iterationIS3_Lb0EPsS7_N6thrust23THRUST_200600_302600_NS10device_ptrIlEESB_jNS0_19identity_decomposerENS1_16block_id_wrapperIjLb0EEEEE10hipError_tT1_PNSt15iterator_traitsISG_E10value_typeET2_T3_PNSH_ISM_E10value_typeET4_T5_PSR_SS_PNS1_23onesweep_lookback_stateEbbT6_jjT7_P12ihipStream_tbENKUlT_T0_SG_SL_E_clIS7_S7_SB_SB_EEDaSZ_S10_SG_SL_EUlSZ_E_NS1_11comp_targetILNS1_3genE10ELNS1_11target_archE1201ELNS1_3gpuE5ELNS1_3repE0EEENS1_47radix_sort_onesweep_sort_config_static_selectorELNS0_4arch9wavefront6targetE1EEEvSG_ ; -- Begin function _ZN7rocprim17ROCPRIM_400000_NS6detail17trampoline_kernelINS0_14default_configENS1_35radix_sort_onesweep_config_selectorIslEEZZNS1_29radix_sort_onesweep_iterationIS3_Lb0EPsS7_N6thrust23THRUST_200600_302600_NS10device_ptrIlEESB_jNS0_19identity_decomposerENS1_16block_id_wrapperIjLb0EEEEE10hipError_tT1_PNSt15iterator_traitsISG_E10value_typeET2_T3_PNSH_ISM_E10value_typeET4_T5_PSR_SS_PNS1_23onesweep_lookback_stateEbbT6_jjT7_P12ihipStream_tbENKUlT_T0_SG_SL_E_clIS7_S7_SB_SB_EEDaSZ_S10_SG_SL_EUlSZ_E_NS1_11comp_targetILNS1_3genE10ELNS1_11target_archE1201ELNS1_3gpuE5ELNS1_3repE0EEENS1_47radix_sort_onesweep_sort_config_static_selectorELNS0_4arch9wavefront6targetE1EEEvSG_
	.globl	_ZN7rocprim17ROCPRIM_400000_NS6detail17trampoline_kernelINS0_14default_configENS1_35radix_sort_onesweep_config_selectorIslEEZZNS1_29radix_sort_onesweep_iterationIS3_Lb0EPsS7_N6thrust23THRUST_200600_302600_NS10device_ptrIlEESB_jNS0_19identity_decomposerENS1_16block_id_wrapperIjLb0EEEEE10hipError_tT1_PNSt15iterator_traitsISG_E10value_typeET2_T3_PNSH_ISM_E10value_typeET4_T5_PSR_SS_PNS1_23onesweep_lookback_stateEbbT6_jjT7_P12ihipStream_tbENKUlT_T0_SG_SL_E_clIS7_S7_SB_SB_EEDaSZ_S10_SG_SL_EUlSZ_E_NS1_11comp_targetILNS1_3genE10ELNS1_11target_archE1201ELNS1_3gpuE5ELNS1_3repE0EEENS1_47radix_sort_onesweep_sort_config_static_selectorELNS0_4arch9wavefront6targetE1EEEvSG_
	.p2align	8
	.type	_ZN7rocprim17ROCPRIM_400000_NS6detail17trampoline_kernelINS0_14default_configENS1_35radix_sort_onesweep_config_selectorIslEEZZNS1_29radix_sort_onesweep_iterationIS3_Lb0EPsS7_N6thrust23THRUST_200600_302600_NS10device_ptrIlEESB_jNS0_19identity_decomposerENS1_16block_id_wrapperIjLb0EEEEE10hipError_tT1_PNSt15iterator_traitsISG_E10value_typeET2_T3_PNSH_ISM_E10value_typeET4_T5_PSR_SS_PNS1_23onesweep_lookback_stateEbbT6_jjT7_P12ihipStream_tbENKUlT_T0_SG_SL_E_clIS7_S7_SB_SB_EEDaSZ_S10_SG_SL_EUlSZ_E_NS1_11comp_targetILNS1_3genE10ELNS1_11target_archE1201ELNS1_3gpuE5ELNS1_3repE0EEENS1_47radix_sort_onesweep_sort_config_static_selectorELNS0_4arch9wavefront6targetE1EEEvSG_,@function
_ZN7rocprim17ROCPRIM_400000_NS6detail17trampoline_kernelINS0_14default_configENS1_35radix_sort_onesweep_config_selectorIslEEZZNS1_29radix_sort_onesweep_iterationIS3_Lb0EPsS7_N6thrust23THRUST_200600_302600_NS10device_ptrIlEESB_jNS0_19identity_decomposerENS1_16block_id_wrapperIjLb0EEEEE10hipError_tT1_PNSt15iterator_traitsISG_E10value_typeET2_T3_PNSH_ISM_E10value_typeET4_T5_PSR_SS_PNS1_23onesweep_lookback_stateEbbT6_jjT7_P12ihipStream_tbENKUlT_T0_SG_SL_E_clIS7_S7_SB_SB_EEDaSZ_S10_SG_SL_EUlSZ_E_NS1_11comp_targetILNS1_3genE10ELNS1_11target_archE1201ELNS1_3gpuE5ELNS1_3repE0EEENS1_47radix_sort_onesweep_sort_config_static_selectorELNS0_4arch9wavefront6targetE1EEEvSG_: ; @_ZN7rocprim17ROCPRIM_400000_NS6detail17trampoline_kernelINS0_14default_configENS1_35radix_sort_onesweep_config_selectorIslEEZZNS1_29radix_sort_onesweep_iterationIS3_Lb0EPsS7_N6thrust23THRUST_200600_302600_NS10device_ptrIlEESB_jNS0_19identity_decomposerENS1_16block_id_wrapperIjLb0EEEEE10hipError_tT1_PNSt15iterator_traitsISG_E10value_typeET2_T3_PNSH_ISM_E10value_typeET4_T5_PSR_SS_PNS1_23onesweep_lookback_stateEbbT6_jjT7_P12ihipStream_tbENKUlT_T0_SG_SL_E_clIS7_S7_SB_SB_EEDaSZ_S10_SG_SL_EUlSZ_E_NS1_11comp_targetILNS1_3genE10ELNS1_11target_archE1201ELNS1_3gpuE5ELNS1_3repE0EEENS1_47radix_sort_onesweep_sort_config_static_selectorELNS0_4arch9wavefront6targetE1EEEvSG_
; %bb.0:
	.section	.rodata,"a",@progbits
	.p2align	6, 0x0
	.amdhsa_kernel _ZN7rocprim17ROCPRIM_400000_NS6detail17trampoline_kernelINS0_14default_configENS1_35radix_sort_onesweep_config_selectorIslEEZZNS1_29radix_sort_onesweep_iterationIS3_Lb0EPsS7_N6thrust23THRUST_200600_302600_NS10device_ptrIlEESB_jNS0_19identity_decomposerENS1_16block_id_wrapperIjLb0EEEEE10hipError_tT1_PNSt15iterator_traitsISG_E10value_typeET2_T3_PNSH_ISM_E10value_typeET4_T5_PSR_SS_PNS1_23onesweep_lookback_stateEbbT6_jjT7_P12ihipStream_tbENKUlT_T0_SG_SL_E_clIS7_S7_SB_SB_EEDaSZ_S10_SG_SL_EUlSZ_E_NS1_11comp_targetILNS1_3genE10ELNS1_11target_archE1201ELNS1_3gpuE5ELNS1_3repE0EEENS1_47radix_sort_onesweep_sort_config_static_selectorELNS0_4arch9wavefront6targetE1EEEvSG_
		.amdhsa_group_segment_fixed_size 0
		.amdhsa_private_segment_fixed_size 0
		.amdhsa_kernarg_size 88
		.amdhsa_user_sgpr_count 6
		.amdhsa_user_sgpr_private_segment_buffer 1
		.amdhsa_user_sgpr_dispatch_ptr 0
		.amdhsa_user_sgpr_queue_ptr 0
		.amdhsa_user_sgpr_kernarg_segment_ptr 1
		.amdhsa_user_sgpr_dispatch_id 0
		.amdhsa_user_sgpr_flat_scratch_init 0
		.amdhsa_user_sgpr_kernarg_preload_length 0
		.amdhsa_user_sgpr_kernarg_preload_offset 0
		.amdhsa_user_sgpr_private_segment_size 0
		.amdhsa_uses_dynamic_stack 0
		.amdhsa_system_sgpr_private_segment_wavefront_offset 0
		.amdhsa_system_sgpr_workgroup_id_x 1
		.amdhsa_system_sgpr_workgroup_id_y 0
		.amdhsa_system_sgpr_workgroup_id_z 0
		.amdhsa_system_sgpr_workgroup_info 0
		.amdhsa_system_vgpr_workitem_id 0
		.amdhsa_next_free_vgpr 1
		.amdhsa_next_free_sgpr 0
		.amdhsa_accum_offset 4
		.amdhsa_reserve_vcc 0
		.amdhsa_reserve_flat_scratch 0
		.amdhsa_float_round_mode_32 0
		.amdhsa_float_round_mode_16_64 0
		.amdhsa_float_denorm_mode_32 3
		.amdhsa_float_denorm_mode_16_64 3
		.amdhsa_dx10_clamp 1
		.amdhsa_ieee_mode 1
		.amdhsa_fp16_overflow 0
		.amdhsa_tg_split 0
		.amdhsa_exception_fp_ieee_invalid_op 0
		.amdhsa_exception_fp_denorm_src 0
		.amdhsa_exception_fp_ieee_div_zero 0
		.amdhsa_exception_fp_ieee_overflow 0
		.amdhsa_exception_fp_ieee_underflow 0
		.amdhsa_exception_fp_ieee_inexact 0
		.amdhsa_exception_int_div_zero 0
	.end_amdhsa_kernel
	.section	.text._ZN7rocprim17ROCPRIM_400000_NS6detail17trampoline_kernelINS0_14default_configENS1_35radix_sort_onesweep_config_selectorIslEEZZNS1_29radix_sort_onesweep_iterationIS3_Lb0EPsS7_N6thrust23THRUST_200600_302600_NS10device_ptrIlEESB_jNS0_19identity_decomposerENS1_16block_id_wrapperIjLb0EEEEE10hipError_tT1_PNSt15iterator_traitsISG_E10value_typeET2_T3_PNSH_ISM_E10value_typeET4_T5_PSR_SS_PNS1_23onesweep_lookback_stateEbbT6_jjT7_P12ihipStream_tbENKUlT_T0_SG_SL_E_clIS7_S7_SB_SB_EEDaSZ_S10_SG_SL_EUlSZ_E_NS1_11comp_targetILNS1_3genE10ELNS1_11target_archE1201ELNS1_3gpuE5ELNS1_3repE0EEENS1_47radix_sort_onesweep_sort_config_static_selectorELNS0_4arch9wavefront6targetE1EEEvSG_,"axG",@progbits,_ZN7rocprim17ROCPRIM_400000_NS6detail17trampoline_kernelINS0_14default_configENS1_35radix_sort_onesweep_config_selectorIslEEZZNS1_29radix_sort_onesweep_iterationIS3_Lb0EPsS7_N6thrust23THRUST_200600_302600_NS10device_ptrIlEESB_jNS0_19identity_decomposerENS1_16block_id_wrapperIjLb0EEEEE10hipError_tT1_PNSt15iterator_traitsISG_E10value_typeET2_T3_PNSH_ISM_E10value_typeET4_T5_PSR_SS_PNS1_23onesweep_lookback_stateEbbT6_jjT7_P12ihipStream_tbENKUlT_T0_SG_SL_E_clIS7_S7_SB_SB_EEDaSZ_S10_SG_SL_EUlSZ_E_NS1_11comp_targetILNS1_3genE10ELNS1_11target_archE1201ELNS1_3gpuE5ELNS1_3repE0EEENS1_47radix_sort_onesweep_sort_config_static_selectorELNS0_4arch9wavefront6targetE1EEEvSG_,comdat
.Lfunc_end1431:
	.size	_ZN7rocprim17ROCPRIM_400000_NS6detail17trampoline_kernelINS0_14default_configENS1_35radix_sort_onesweep_config_selectorIslEEZZNS1_29radix_sort_onesweep_iterationIS3_Lb0EPsS7_N6thrust23THRUST_200600_302600_NS10device_ptrIlEESB_jNS0_19identity_decomposerENS1_16block_id_wrapperIjLb0EEEEE10hipError_tT1_PNSt15iterator_traitsISG_E10value_typeET2_T3_PNSH_ISM_E10value_typeET4_T5_PSR_SS_PNS1_23onesweep_lookback_stateEbbT6_jjT7_P12ihipStream_tbENKUlT_T0_SG_SL_E_clIS7_S7_SB_SB_EEDaSZ_S10_SG_SL_EUlSZ_E_NS1_11comp_targetILNS1_3genE10ELNS1_11target_archE1201ELNS1_3gpuE5ELNS1_3repE0EEENS1_47radix_sort_onesweep_sort_config_static_selectorELNS0_4arch9wavefront6targetE1EEEvSG_, .Lfunc_end1431-_ZN7rocprim17ROCPRIM_400000_NS6detail17trampoline_kernelINS0_14default_configENS1_35radix_sort_onesweep_config_selectorIslEEZZNS1_29radix_sort_onesweep_iterationIS3_Lb0EPsS7_N6thrust23THRUST_200600_302600_NS10device_ptrIlEESB_jNS0_19identity_decomposerENS1_16block_id_wrapperIjLb0EEEEE10hipError_tT1_PNSt15iterator_traitsISG_E10value_typeET2_T3_PNSH_ISM_E10value_typeET4_T5_PSR_SS_PNS1_23onesweep_lookback_stateEbbT6_jjT7_P12ihipStream_tbENKUlT_T0_SG_SL_E_clIS7_S7_SB_SB_EEDaSZ_S10_SG_SL_EUlSZ_E_NS1_11comp_targetILNS1_3genE10ELNS1_11target_archE1201ELNS1_3gpuE5ELNS1_3repE0EEENS1_47radix_sort_onesweep_sort_config_static_selectorELNS0_4arch9wavefront6targetE1EEEvSG_
                                        ; -- End function
	.section	.AMDGPU.csdata,"",@progbits
; Kernel info:
; codeLenInByte = 0
; NumSgprs: 4
; NumVgprs: 0
; NumAgprs: 0
; TotalNumVgprs: 0
; ScratchSize: 0
; MemoryBound: 0
; FloatMode: 240
; IeeeMode: 1
; LDSByteSize: 0 bytes/workgroup (compile time only)
; SGPRBlocks: 0
; VGPRBlocks: 0
; NumSGPRsForWavesPerEU: 4
; NumVGPRsForWavesPerEU: 1
; AccumOffset: 4
; Occupancy: 8
; WaveLimiterHint : 0
; COMPUTE_PGM_RSRC2:SCRATCH_EN: 0
; COMPUTE_PGM_RSRC2:USER_SGPR: 6
; COMPUTE_PGM_RSRC2:TRAP_HANDLER: 0
; COMPUTE_PGM_RSRC2:TGID_X_EN: 1
; COMPUTE_PGM_RSRC2:TGID_Y_EN: 0
; COMPUTE_PGM_RSRC2:TGID_Z_EN: 0
; COMPUTE_PGM_RSRC2:TIDIG_COMP_CNT: 0
; COMPUTE_PGM_RSRC3_GFX90A:ACCUM_OFFSET: 0
; COMPUTE_PGM_RSRC3_GFX90A:TG_SPLIT: 0
	.section	.text._ZN7rocprim17ROCPRIM_400000_NS6detail17trampoline_kernelINS0_14default_configENS1_35radix_sort_onesweep_config_selectorIslEEZZNS1_29radix_sort_onesweep_iterationIS3_Lb0EPsS7_N6thrust23THRUST_200600_302600_NS10device_ptrIlEESB_jNS0_19identity_decomposerENS1_16block_id_wrapperIjLb0EEEEE10hipError_tT1_PNSt15iterator_traitsISG_E10value_typeET2_T3_PNSH_ISM_E10value_typeET4_T5_PSR_SS_PNS1_23onesweep_lookback_stateEbbT6_jjT7_P12ihipStream_tbENKUlT_T0_SG_SL_E_clIS7_S7_SB_SB_EEDaSZ_S10_SG_SL_EUlSZ_E_NS1_11comp_targetILNS1_3genE9ELNS1_11target_archE1100ELNS1_3gpuE3ELNS1_3repE0EEENS1_47radix_sort_onesweep_sort_config_static_selectorELNS0_4arch9wavefront6targetE1EEEvSG_,"axG",@progbits,_ZN7rocprim17ROCPRIM_400000_NS6detail17trampoline_kernelINS0_14default_configENS1_35radix_sort_onesweep_config_selectorIslEEZZNS1_29radix_sort_onesweep_iterationIS3_Lb0EPsS7_N6thrust23THRUST_200600_302600_NS10device_ptrIlEESB_jNS0_19identity_decomposerENS1_16block_id_wrapperIjLb0EEEEE10hipError_tT1_PNSt15iterator_traitsISG_E10value_typeET2_T3_PNSH_ISM_E10value_typeET4_T5_PSR_SS_PNS1_23onesweep_lookback_stateEbbT6_jjT7_P12ihipStream_tbENKUlT_T0_SG_SL_E_clIS7_S7_SB_SB_EEDaSZ_S10_SG_SL_EUlSZ_E_NS1_11comp_targetILNS1_3genE9ELNS1_11target_archE1100ELNS1_3gpuE3ELNS1_3repE0EEENS1_47radix_sort_onesweep_sort_config_static_selectorELNS0_4arch9wavefront6targetE1EEEvSG_,comdat
	.protected	_ZN7rocprim17ROCPRIM_400000_NS6detail17trampoline_kernelINS0_14default_configENS1_35radix_sort_onesweep_config_selectorIslEEZZNS1_29radix_sort_onesweep_iterationIS3_Lb0EPsS7_N6thrust23THRUST_200600_302600_NS10device_ptrIlEESB_jNS0_19identity_decomposerENS1_16block_id_wrapperIjLb0EEEEE10hipError_tT1_PNSt15iterator_traitsISG_E10value_typeET2_T3_PNSH_ISM_E10value_typeET4_T5_PSR_SS_PNS1_23onesweep_lookback_stateEbbT6_jjT7_P12ihipStream_tbENKUlT_T0_SG_SL_E_clIS7_S7_SB_SB_EEDaSZ_S10_SG_SL_EUlSZ_E_NS1_11comp_targetILNS1_3genE9ELNS1_11target_archE1100ELNS1_3gpuE3ELNS1_3repE0EEENS1_47radix_sort_onesweep_sort_config_static_selectorELNS0_4arch9wavefront6targetE1EEEvSG_ ; -- Begin function _ZN7rocprim17ROCPRIM_400000_NS6detail17trampoline_kernelINS0_14default_configENS1_35radix_sort_onesweep_config_selectorIslEEZZNS1_29radix_sort_onesweep_iterationIS3_Lb0EPsS7_N6thrust23THRUST_200600_302600_NS10device_ptrIlEESB_jNS0_19identity_decomposerENS1_16block_id_wrapperIjLb0EEEEE10hipError_tT1_PNSt15iterator_traitsISG_E10value_typeET2_T3_PNSH_ISM_E10value_typeET4_T5_PSR_SS_PNS1_23onesweep_lookback_stateEbbT6_jjT7_P12ihipStream_tbENKUlT_T0_SG_SL_E_clIS7_S7_SB_SB_EEDaSZ_S10_SG_SL_EUlSZ_E_NS1_11comp_targetILNS1_3genE9ELNS1_11target_archE1100ELNS1_3gpuE3ELNS1_3repE0EEENS1_47radix_sort_onesweep_sort_config_static_selectorELNS0_4arch9wavefront6targetE1EEEvSG_
	.globl	_ZN7rocprim17ROCPRIM_400000_NS6detail17trampoline_kernelINS0_14default_configENS1_35radix_sort_onesweep_config_selectorIslEEZZNS1_29radix_sort_onesweep_iterationIS3_Lb0EPsS7_N6thrust23THRUST_200600_302600_NS10device_ptrIlEESB_jNS0_19identity_decomposerENS1_16block_id_wrapperIjLb0EEEEE10hipError_tT1_PNSt15iterator_traitsISG_E10value_typeET2_T3_PNSH_ISM_E10value_typeET4_T5_PSR_SS_PNS1_23onesweep_lookback_stateEbbT6_jjT7_P12ihipStream_tbENKUlT_T0_SG_SL_E_clIS7_S7_SB_SB_EEDaSZ_S10_SG_SL_EUlSZ_E_NS1_11comp_targetILNS1_3genE9ELNS1_11target_archE1100ELNS1_3gpuE3ELNS1_3repE0EEENS1_47radix_sort_onesweep_sort_config_static_selectorELNS0_4arch9wavefront6targetE1EEEvSG_
	.p2align	8
	.type	_ZN7rocprim17ROCPRIM_400000_NS6detail17trampoline_kernelINS0_14default_configENS1_35radix_sort_onesweep_config_selectorIslEEZZNS1_29radix_sort_onesweep_iterationIS3_Lb0EPsS7_N6thrust23THRUST_200600_302600_NS10device_ptrIlEESB_jNS0_19identity_decomposerENS1_16block_id_wrapperIjLb0EEEEE10hipError_tT1_PNSt15iterator_traitsISG_E10value_typeET2_T3_PNSH_ISM_E10value_typeET4_T5_PSR_SS_PNS1_23onesweep_lookback_stateEbbT6_jjT7_P12ihipStream_tbENKUlT_T0_SG_SL_E_clIS7_S7_SB_SB_EEDaSZ_S10_SG_SL_EUlSZ_E_NS1_11comp_targetILNS1_3genE9ELNS1_11target_archE1100ELNS1_3gpuE3ELNS1_3repE0EEENS1_47radix_sort_onesweep_sort_config_static_selectorELNS0_4arch9wavefront6targetE1EEEvSG_,@function
_ZN7rocprim17ROCPRIM_400000_NS6detail17trampoline_kernelINS0_14default_configENS1_35radix_sort_onesweep_config_selectorIslEEZZNS1_29radix_sort_onesweep_iterationIS3_Lb0EPsS7_N6thrust23THRUST_200600_302600_NS10device_ptrIlEESB_jNS0_19identity_decomposerENS1_16block_id_wrapperIjLb0EEEEE10hipError_tT1_PNSt15iterator_traitsISG_E10value_typeET2_T3_PNSH_ISM_E10value_typeET4_T5_PSR_SS_PNS1_23onesweep_lookback_stateEbbT6_jjT7_P12ihipStream_tbENKUlT_T0_SG_SL_E_clIS7_S7_SB_SB_EEDaSZ_S10_SG_SL_EUlSZ_E_NS1_11comp_targetILNS1_3genE9ELNS1_11target_archE1100ELNS1_3gpuE3ELNS1_3repE0EEENS1_47radix_sort_onesweep_sort_config_static_selectorELNS0_4arch9wavefront6targetE1EEEvSG_: ; @_ZN7rocprim17ROCPRIM_400000_NS6detail17trampoline_kernelINS0_14default_configENS1_35radix_sort_onesweep_config_selectorIslEEZZNS1_29radix_sort_onesweep_iterationIS3_Lb0EPsS7_N6thrust23THRUST_200600_302600_NS10device_ptrIlEESB_jNS0_19identity_decomposerENS1_16block_id_wrapperIjLb0EEEEE10hipError_tT1_PNSt15iterator_traitsISG_E10value_typeET2_T3_PNSH_ISM_E10value_typeET4_T5_PSR_SS_PNS1_23onesweep_lookback_stateEbbT6_jjT7_P12ihipStream_tbENKUlT_T0_SG_SL_E_clIS7_S7_SB_SB_EEDaSZ_S10_SG_SL_EUlSZ_E_NS1_11comp_targetILNS1_3genE9ELNS1_11target_archE1100ELNS1_3gpuE3ELNS1_3repE0EEENS1_47radix_sort_onesweep_sort_config_static_selectorELNS0_4arch9wavefront6targetE1EEEvSG_
; %bb.0:
	.section	.rodata,"a",@progbits
	.p2align	6, 0x0
	.amdhsa_kernel _ZN7rocprim17ROCPRIM_400000_NS6detail17trampoline_kernelINS0_14default_configENS1_35radix_sort_onesweep_config_selectorIslEEZZNS1_29radix_sort_onesweep_iterationIS3_Lb0EPsS7_N6thrust23THRUST_200600_302600_NS10device_ptrIlEESB_jNS0_19identity_decomposerENS1_16block_id_wrapperIjLb0EEEEE10hipError_tT1_PNSt15iterator_traitsISG_E10value_typeET2_T3_PNSH_ISM_E10value_typeET4_T5_PSR_SS_PNS1_23onesweep_lookback_stateEbbT6_jjT7_P12ihipStream_tbENKUlT_T0_SG_SL_E_clIS7_S7_SB_SB_EEDaSZ_S10_SG_SL_EUlSZ_E_NS1_11comp_targetILNS1_3genE9ELNS1_11target_archE1100ELNS1_3gpuE3ELNS1_3repE0EEENS1_47radix_sort_onesweep_sort_config_static_selectorELNS0_4arch9wavefront6targetE1EEEvSG_
		.amdhsa_group_segment_fixed_size 0
		.amdhsa_private_segment_fixed_size 0
		.amdhsa_kernarg_size 88
		.amdhsa_user_sgpr_count 6
		.amdhsa_user_sgpr_private_segment_buffer 1
		.amdhsa_user_sgpr_dispatch_ptr 0
		.amdhsa_user_sgpr_queue_ptr 0
		.amdhsa_user_sgpr_kernarg_segment_ptr 1
		.amdhsa_user_sgpr_dispatch_id 0
		.amdhsa_user_sgpr_flat_scratch_init 0
		.amdhsa_user_sgpr_kernarg_preload_length 0
		.amdhsa_user_sgpr_kernarg_preload_offset 0
		.amdhsa_user_sgpr_private_segment_size 0
		.amdhsa_uses_dynamic_stack 0
		.amdhsa_system_sgpr_private_segment_wavefront_offset 0
		.amdhsa_system_sgpr_workgroup_id_x 1
		.amdhsa_system_sgpr_workgroup_id_y 0
		.amdhsa_system_sgpr_workgroup_id_z 0
		.amdhsa_system_sgpr_workgroup_info 0
		.amdhsa_system_vgpr_workitem_id 0
		.amdhsa_next_free_vgpr 1
		.amdhsa_next_free_sgpr 0
		.amdhsa_accum_offset 4
		.amdhsa_reserve_vcc 0
		.amdhsa_reserve_flat_scratch 0
		.amdhsa_float_round_mode_32 0
		.amdhsa_float_round_mode_16_64 0
		.amdhsa_float_denorm_mode_32 3
		.amdhsa_float_denorm_mode_16_64 3
		.amdhsa_dx10_clamp 1
		.amdhsa_ieee_mode 1
		.amdhsa_fp16_overflow 0
		.amdhsa_tg_split 0
		.amdhsa_exception_fp_ieee_invalid_op 0
		.amdhsa_exception_fp_denorm_src 0
		.amdhsa_exception_fp_ieee_div_zero 0
		.amdhsa_exception_fp_ieee_overflow 0
		.amdhsa_exception_fp_ieee_underflow 0
		.amdhsa_exception_fp_ieee_inexact 0
		.amdhsa_exception_int_div_zero 0
	.end_amdhsa_kernel
	.section	.text._ZN7rocprim17ROCPRIM_400000_NS6detail17trampoline_kernelINS0_14default_configENS1_35radix_sort_onesweep_config_selectorIslEEZZNS1_29radix_sort_onesweep_iterationIS3_Lb0EPsS7_N6thrust23THRUST_200600_302600_NS10device_ptrIlEESB_jNS0_19identity_decomposerENS1_16block_id_wrapperIjLb0EEEEE10hipError_tT1_PNSt15iterator_traitsISG_E10value_typeET2_T3_PNSH_ISM_E10value_typeET4_T5_PSR_SS_PNS1_23onesweep_lookback_stateEbbT6_jjT7_P12ihipStream_tbENKUlT_T0_SG_SL_E_clIS7_S7_SB_SB_EEDaSZ_S10_SG_SL_EUlSZ_E_NS1_11comp_targetILNS1_3genE9ELNS1_11target_archE1100ELNS1_3gpuE3ELNS1_3repE0EEENS1_47radix_sort_onesweep_sort_config_static_selectorELNS0_4arch9wavefront6targetE1EEEvSG_,"axG",@progbits,_ZN7rocprim17ROCPRIM_400000_NS6detail17trampoline_kernelINS0_14default_configENS1_35radix_sort_onesweep_config_selectorIslEEZZNS1_29radix_sort_onesweep_iterationIS3_Lb0EPsS7_N6thrust23THRUST_200600_302600_NS10device_ptrIlEESB_jNS0_19identity_decomposerENS1_16block_id_wrapperIjLb0EEEEE10hipError_tT1_PNSt15iterator_traitsISG_E10value_typeET2_T3_PNSH_ISM_E10value_typeET4_T5_PSR_SS_PNS1_23onesweep_lookback_stateEbbT6_jjT7_P12ihipStream_tbENKUlT_T0_SG_SL_E_clIS7_S7_SB_SB_EEDaSZ_S10_SG_SL_EUlSZ_E_NS1_11comp_targetILNS1_3genE9ELNS1_11target_archE1100ELNS1_3gpuE3ELNS1_3repE0EEENS1_47radix_sort_onesweep_sort_config_static_selectorELNS0_4arch9wavefront6targetE1EEEvSG_,comdat
.Lfunc_end1432:
	.size	_ZN7rocprim17ROCPRIM_400000_NS6detail17trampoline_kernelINS0_14default_configENS1_35radix_sort_onesweep_config_selectorIslEEZZNS1_29radix_sort_onesweep_iterationIS3_Lb0EPsS7_N6thrust23THRUST_200600_302600_NS10device_ptrIlEESB_jNS0_19identity_decomposerENS1_16block_id_wrapperIjLb0EEEEE10hipError_tT1_PNSt15iterator_traitsISG_E10value_typeET2_T3_PNSH_ISM_E10value_typeET4_T5_PSR_SS_PNS1_23onesweep_lookback_stateEbbT6_jjT7_P12ihipStream_tbENKUlT_T0_SG_SL_E_clIS7_S7_SB_SB_EEDaSZ_S10_SG_SL_EUlSZ_E_NS1_11comp_targetILNS1_3genE9ELNS1_11target_archE1100ELNS1_3gpuE3ELNS1_3repE0EEENS1_47radix_sort_onesweep_sort_config_static_selectorELNS0_4arch9wavefront6targetE1EEEvSG_, .Lfunc_end1432-_ZN7rocprim17ROCPRIM_400000_NS6detail17trampoline_kernelINS0_14default_configENS1_35radix_sort_onesweep_config_selectorIslEEZZNS1_29radix_sort_onesweep_iterationIS3_Lb0EPsS7_N6thrust23THRUST_200600_302600_NS10device_ptrIlEESB_jNS0_19identity_decomposerENS1_16block_id_wrapperIjLb0EEEEE10hipError_tT1_PNSt15iterator_traitsISG_E10value_typeET2_T3_PNSH_ISM_E10value_typeET4_T5_PSR_SS_PNS1_23onesweep_lookback_stateEbbT6_jjT7_P12ihipStream_tbENKUlT_T0_SG_SL_E_clIS7_S7_SB_SB_EEDaSZ_S10_SG_SL_EUlSZ_E_NS1_11comp_targetILNS1_3genE9ELNS1_11target_archE1100ELNS1_3gpuE3ELNS1_3repE0EEENS1_47radix_sort_onesweep_sort_config_static_selectorELNS0_4arch9wavefront6targetE1EEEvSG_
                                        ; -- End function
	.section	.AMDGPU.csdata,"",@progbits
; Kernel info:
; codeLenInByte = 0
; NumSgprs: 4
; NumVgprs: 0
; NumAgprs: 0
; TotalNumVgprs: 0
; ScratchSize: 0
; MemoryBound: 0
; FloatMode: 240
; IeeeMode: 1
; LDSByteSize: 0 bytes/workgroup (compile time only)
; SGPRBlocks: 0
; VGPRBlocks: 0
; NumSGPRsForWavesPerEU: 4
; NumVGPRsForWavesPerEU: 1
; AccumOffset: 4
; Occupancy: 8
; WaveLimiterHint : 0
; COMPUTE_PGM_RSRC2:SCRATCH_EN: 0
; COMPUTE_PGM_RSRC2:USER_SGPR: 6
; COMPUTE_PGM_RSRC2:TRAP_HANDLER: 0
; COMPUTE_PGM_RSRC2:TGID_X_EN: 1
; COMPUTE_PGM_RSRC2:TGID_Y_EN: 0
; COMPUTE_PGM_RSRC2:TGID_Z_EN: 0
; COMPUTE_PGM_RSRC2:TIDIG_COMP_CNT: 0
; COMPUTE_PGM_RSRC3_GFX90A:ACCUM_OFFSET: 0
; COMPUTE_PGM_RSRC3_GFX90A:TG_SPLIT: 0
	.section	.text._ZN7rocprim17ROCPRIM_400000_NS6detail17trampoline_kernelINS0_14default_configENS1_35radix_sort_onesweep_config_selectorIslEEZZNS1_29radix_sort_onesweep_iterationIS3_Lb0EPsS7_N6thrust23THRUST_200600_302600_NS10device_ptrIlEESB_jNS0_19identity_decomposerENS1_16block_id_wrapperIjLb0EEEEE10hipError_tT1_PNSt15iterator_traitsISG_E10value_typeET2_T3_PNSH_ISM_E10value_typeET4_T5_PSR_SS_PNS1_23onesweep_lookback_stateEbbT6_jjT7_P12ihipStream_tbENKUlT_T0_SG_SL_E_clIS7_S7_SB_SB_EEDaSZ_S10_SG_SL_EUlSZ_E_NS1_11comp_targetILNS1_3genE8ELNS1_11target_archE1030ELNS1_3gpuE2ELNS1_3repE0EEENS1_47radix_sort_onesweep_sort_config_static_selectorELNS0_4arch9wavefront6targetE1EEEvSG_,"axG",@progbits,_ZN7rocprim17ROCPRIM_400000_NS6detail17trampoline_kernelINS0_14default_configENS1_35radix_sort_onesweep_config_selectorIslEEZZNS1_29radix_sort_onesweep_iterationIS3_Lb0EPsS7_N6thrust23THRUST_200600_302600_NS10device_ptrIlEESB_jNS0_19identity_decomposerENS1_16block_id_wrapperIjLb0EEEEE10hipError_tT1_PNSt15iterator_traitsISG_E10value_typeET2_T3_PNSH_ISM_E10value_typeET4_T5_PSR_SS_PNS1_23onesweep_lookback_stateEbbT6_jjT7_P12ihipStream_tbENKUlT_T0_SG_SL_E_clIS7_S7_SB_SB_EEDaSZ_S10_SG_SL_EUlSZ_E_NS1_11comp_targetILNS1_3genE8ELNS1_11target_archE1030ELNS1_3gpuE2ELNS1_3repE0EEENS1_47radix_sort_onesweep_sort_config_static_selectorELNS0_4arch9wavefront6targetE1EEEvSG_,comdat
	.protected	_ZN7rocprim17ROCPRIM_400000_NS6detail17trampoline_kernelINS0_14default_configENS1_35radix_sort_onesweep_config_selectorIslEEZZNS1_29radix_sort_onesweep_iterationIS3_Lb0EPsS7_N6thrust23THRUST_200600_302600_NS10device_ptrIlEESB_jNS0_19identity_decomposerENS1_16block_id_wrapperIjLb0EEEEE10hipError_tT1_PNSt15iterator_traitsISG_E10value_typeET2_T3_PNSH_ISM_E10value_typeET4_T5_PSR_SS_PNS1_23onesweep_lookback_stateEbbT6_jjT7_P12ihipStream_tbENKUlT_T0_SG_SL_E_clIS7_S7_SB_SB_EEDaSZ_S10_SG_SL_EUlSZ_E_NS1_11comp_targetILNS1_3genE8ELNS1_11target_archE1030ELNS1_3gpuE2ELNS1_3repE0EEENS1_47radix_sort_onesweep_sort_config_static_selectorELNS0_4arch9wavefront6targetE1EEEvSG_ ; -- Begin function _ZN7rocprim17ROCPRIM_400000_NS6detail17trampoline_kernelINS0_14default_configENS1_35radix_sort_onesweep_config_selectorIslEEZZNS1_29radix_sort_onesweep_iterationIS3_Lb0EPsS7_N6thrust23THRUST_200600_302600_NS10device_ptrIlEESB_jNS0_19identity_decomposerENS1_16block_id_wrapperIjLb0EEEEE10hipError_tT1_PNSt15iterator_traitsISG_E10value_typeET2_T3_PNSH_ISM_E10value_typeET4_T5_PSR_SS_PNS1_23onesweep_lookback_stateEbbT6_jjT7_P12ihipStream_tbENKUlT_T0_SG_SL_E_clIS7_S7_SB_SB_EEDaSZ_S10_SG_SL_EUlSZ_E_NS1_11comp_targetILNS1_3genE8ELNS1_11target_archE1030ELNS1_3gpuE2ELNS1_3repE0EEENS1_47radix_sort_onesweep_sort_config_static_selectorELNS0_4arch9wavefront6targetE1EEEvSG_
	.globl	_ZN7rocprim17ROCPRIM_400000_NS6detail17trampoline_kernelINS0_14default_configENS1_35radix_sort_onesweep_config_selectorIslEEZZNS1_29radix_sort_onesweep_iterationIS3_Lb0EPsS7_N6thrust23THRUST_200600_302600_NS10device_ptrIlEESB_jNS0_19identity_decomposerENS1_16block_id_wrapperIjLb0EEEEE10hipError_tT1_PNSt15iterator_traitsISG_E10value_typeET2_T3_PNSH_ISM_E10value_typeET4_T5_PSR_SS_PNS1_23onesweep_lookback_stateEbbT6_jjT7_P12ihipStream_tbENKUlT_T0_SG_SL_E_clIS7_S7_SB_SB_EEDaSZ_S10_SG_SL_EUlSZ_E_NS1_11comp_targetILNS1_3genE8ELNS1_11target_archE1030ELNS1_3gpuE2ELNS1_3repE0EEENS1_47radix_sort_onesweep_sort_config_static_selectorELNS0_4arch9wavefront6targetE1EEEvSG_
	.p2align	8
	.type	_ZN7rocprim17ROCPRIM_400000_NS6detail17trampoline_kernelINS0_14default_configENS1_35radix_sort_onesweep_config_selectorIslEEZZNS1_29radix_sort_onesweep_iterationIS3_Lb0EPsS7_N6thrust23THRUST_200600_302600_NS10device_ptrIlEESB_jNS0_19identity_decomposerENS1_16block_id_wrapperIjLb0EEEEE10hipError_tT1_PNSt15iterator_traitsISG_E10value_typeET2_T3_PNSH_ISM_E10value_typeET4_T5_PSR_SS_PNS1_23onesweep_lookback_stateEbbT6_jjT7_P12ihipStream_tbENKUlT_T0_SG_SL_E_clIS7_S7_SB_SB_EEDaSZ_S10_SG_SL_EUlSZ_E_NS1_11comp_targetILNS1_3genE8ELNS1_11target_archE1030ELNS1_3gpuE2ELNS1_3repE0EEENS1_47radix_sort_onesweep_sort_config_static_selectorELNS0_4arch9wavefront6targetE1EEEvSG_,@function
_ZN7rocprim17ROCPRIM_400000_NS6detail17trampoline_kernelINS0_14default_configENS1_35radix_sort_onesweep_config_selectorIslEEZZNS1_29radix_sort_onesweep_iterationIS3_Lb0EPsS7_N6thrust23THRUST_200600_302600_NS10device_ptrIlEESB_jNS0_19identity_decomposerENS1_16block_id_wrapperIjLb0EEEEE10hipError_tT1_PNSt15iterator_traitsISG_E10value_typeET2_T3_PNSH_ISM_E10value_typeET4_T5_PSR_SS_PNS1_23onesweep_lookback_stateEbbT6_jjT7_P12ihipStream_tbENKUlT_T0_SG_SL_E_clIS7_S7_SB_SB_EEDaSZ_S10_SG_SL_EUlSZ_E_NS1_11comp_targetILNS1_3genE8ELNS1_11target_archE1030ELNS1_3gpuE2ELNS1_3repE0EEENS1_47radix_sort_onesweep_sort_config_static_selectorELNS0_4arch9wavefront6targetE1EEEvSG_: ; @_ZN7rocprim17ROCPRIM_400000_NS6detail17trampoline_kernelINS0_14default_configENS1_35radix_sort_onesweep_config_selectorIslEEZZNS1_29radix_sort_onesweep_iterationIS3_Lb0EPsS7_N6thrust23THRUST_200600_302600_NS10device_ptrIlEESB_jNS0_19identity_decomposerENS1_16block_id_wrapperIjLb0EEEEE10hipError_tT1_PNSt15iterator_traitsISG_E10value_typeET2_T3_PNSH_ISM_E10value_typeET4_T5_PSR_SS_PNS1_23onesweep_lookback_stateEbbT6_jjT7_P12ihipStream_tbENKUlT_T0_SG_SL_E_clIS7_S7_SB_SB_EEDaSZ_S10_SG_SL_EUlSZ_E_NS1_11comp_targetILNS1_3genE8ELNS1_11target_archE1030ELNS1_3gpuE2ELNS1_3repE0EEENS1_47radix_sort_onesweep_sort_config_static_selectorELNS0_4arch9wavefront6targetE1EEEvSG_
; %bb.0:
	.section	.rodata,"a",@progbits
	.p2align	6, 0x0
	.amdhsa_kernel _ZN7rocprim17ROCPRIM_400000_NS6detail17trampoline_kernelINS0_14default_configENS1_35radix_sort_onesweep_config_selectorIslEEZZNS1_29radix_sort_onesweep_iterationIS3_Lb0EPsS7_N6thrust23THRUST_200600_302600_NS10device_ptrIlEESB_jNS0_19identity_decomposerENS1_16block_id_wrapperIjLb0EEEEE10hipError_tT1_PNSt15iterator_traitsISG_E10value_typeET2_T3_PNSH_ISM_E10value_typeET4_T5_PSR_SS_PNS1_23onesweep_lookback_stateEbbT6_jjT7_P12ihipStream_tbENKUlT_T0_SG_SL_E_clIS7_S7_SB_SB_EEDaSZ_S10_SG_SL_EUlSZ_E_NS1_11comp_targetILNS1_3genE8ELNS1_11target_archE1030ELNS1_3gpuE2ELNS1_3repE0EEENS1_47radix_sort_onesweep_sort_config_static_selectorELNS0_4arch9wavefront6targetE1EEEvSG_
		.amdhsa_group_segment_fixed_size 0
		.amdhsa_private_segment_fixed_size 0
		.amdhsa_kernarg_size 88
		.amdhsa_user_sgpr_count 6
		.amdhsa_user_sgpr_private_segment_buffer 1
		.amdhsa_user_sgpr_dispatch_ptr 0
		.amdhsa_user_sgpr_queue_ptr 0
		.amdhsa_user_sgpr_kernarg_segment_ptr 1
		.amdhsa_user_sgpr_dispatch_id 0
		.amdhsa_user_sgpr_flat_scratch_init 0
		.amdhsa_user_sgpr_kernarg_preload_length 0
		.amdhsa_user_sgpr_kernarg_preload_offset 0
		.amdhsa_user_sgpr_private_segment_size 0
		.amdhsa_uses_dynamic_stack 0
		.amdhsa_system_sgpr_private_segment_wavefront_offset 0
		.amdhsa_system_sgpr_workgroup_id_x 1
		.amdhsa_system_sgpr_workgroup_id_y 0
		.amdhsa_system_sgpr_workgroup_id_z 0
		.amdhsa_system_sgpr_workgroup_info 0
		.amdhsa_system_vgpr_workitem_id 0
		.amdhsa_next_free_vgpr 1
		.amdhsa_next_free_sgpr 0
		.amdhsa_accum_offset 4
		.amdhsa_reserve_vcc 0
		.amdhsa_reserve_flat_scratch 0
		.amdhsa_float_round_mode_32 0
		.amdhsa_float_round_mode_16_64 0
		.amdhsa_float_denorm_mode_32 3
		.amdhsa_float_denorm_mode_16_64 3
		.amdhsa_dx10_clamp 1
		.amdhsa_ieee_mode 1
		.amdhsa_fp16_overflow 0
		.amdhsa_tg_split 0
		.amdhsa_exception_fp_ieee_invalid_op 0
		.amdhsa_exception_fp_denorm_src 0
		.amdhsa_exception_fp_ieee_div_zero 0
		.amdhsa_exception_fp_ieee_overflow 0
		.amdhsa_exception_fp_ieee_underflow 0
		.amdhsa_exception_fp_ieee_inexact 0
		.amdhsa_exception_int_div_zero 0
	.end_amdhsa_kernel
	.section	.text._ZN7rocprim17ROCPRIM_400000_NS6detail17trampoline_kernelINS0_14default_configENS1_35radix_sort_onesweep_config_selectorIslEEZZNS1_29radix_sort_onesweep_iterationIS3_Lb0EPsS7_N6thrust23THRUST_200600_302600_NS10device_ptrIlEESB_jNS0_19identity_decomposerENS1_16block_id_wrapperIjLb0EEEEE10hipError_tT1_PNSt15iterator_traitsISG_E10value_typeET2_T3_PNSH_ISM_E10value_typeET4_T5_PSR_SS_PNS1_23onesweep_lookback_stateEbbT6_jjT7_P12ihipStream_tbENKUlT_T0_SG_SL_E_clIS7_S7_SB_SB_EEDaSZ_S10_SG_SL_EUlSZ_E_NS1_11comp_targetILNS1_3genE8ELNS1_11target_archE1030ELNS1_3gpuE2ELNS1_3repE0EEENS1_47radix_sort_onesweep_sort_config_static_selectorELNS0_4arch9wavefront6targetE1EEEvSG_,"axG",@progbits,_ZN7rocprim17ROCPRIM_400000_NS6detail17trampoline_kernelINS0_14default_configENS1_35radix_sort_onesweep_config_selectorIslEEZZNS1_29radix_sort_onesweep_iterationIS3_Lb0EPsS7_N6thrust23THRUST_200600_302600_NS10device_ptrIlEESB_jNS0_19identity_decomposerENS1_16block_id_wrapperIjLb0EEEEE10hipError_tT1_PNSt15iterator_traitsISG_E10value_typeET2_T3_PNSH_ISM_E10value_typeET4_T5_PSR_SS_PNS1_23onesweep_lookback_stateEbbT6_jjT7_P12ihipStream_tbENKUlT_T0_SG_SL_E_clIS7_S7_SB_SB_EEDaSZ_S10_SG_SL_EUlSZ_E_NS1_11comp_targetILNS1_3genE8ELNS1_11target_archE1030ELNS1_3gpuE2ELNS1_3repE0EEENS1_47radix_sort_onesweep_sort_config_static_selectorELNS0_4arch9wavefront6targetE1EEEvSG_,comdat
.Lfunc_end1433:
	.size	_ZN7rocprim17ROCPRIM_400000_NS6detail17trampoline_kernelINS0_14default_configENS1_35radix_sort_onesweep_config_selectorIslEEZZNS1_29radix_sort_onesweep_iterationIS3_Lb0EPsS7_N6thrust23THRUST_200600_302600_NS10device_ptrIlEESB_jNS0_19identity_decomposerENS1_16block_id_wrapperIjLb0EEEEE10hipError_tT1_PNSt15iterator_traitsISG_E10value_typeET2_T3_PNSH_ISM_E10value_typeET4_T5_PSR_SS_PNS1_23onesweep_lookback_stateEbbT6_jjT7_P12ihipStream_tbENKUlT_T0_SG_SL_E_clIS7_S7_SB_SB_EEDaSZ_S10_SG_SL_EUlSZ_E_NS1_11comp_targetILNS1_3genE8ELNS1_11target_archE1030ELNS1_3gpuE2ELNS1_3repE0EEENS1_47radix_sort_onesweep_sort_config_static_selectorELNS0_4arch9wavefront6targetE1EEEvSG_, .Lfunc_end1433-_ZN7rocprim17ROCPRIM_400000_NS6detail17trampoline_kernelINS0_14default_configENS1_35radix_sort_onesweep_config_selectorIslEEZZNS1_29radix_sort_onesweep_iterationIS3_Lb0EPsS7_N6thrust23THRUST_200600_302600_NS10device_ptrIlEESB_jNS0_19identity_decomposerENS1_16block_id_wrapperIjLb0EEEEE10hipError_tT1_PNSt15iterator_traitsISG_E10value_typeET2_T3_PNSH_ISM_E10value_typeET4_T5_PSR_SS_PNS1_23onesweep_lookback_stateEbbT6_jjT7_P12ihipStream_tbENKUlT_T0_SG_SL_E_clIS7_S7_SB_SB_EEDaSZ_S10_SG_SL_EUlSZ_E_NS1_11comp_targetILNS1_3genE8ELNS1_11target_archE1030ELNS1_3gpuE2ELNS1_3repE0EEENS1_47radix_sort_onesweep_sort_config_static_selectorELNS0_4arch9wavefront6targetE1EEEvSG_
                                        ; -- End function
	.section	.AMDGPU.csdata,"",@progbits
; Kernel info:
; codeLenInByte = 0
; NumSgprs: 4
; NumVgprs: 0
; NumAgprs: 0
; TotalNumVgprs: 0
; ScratchSize: 0
; MemoryBound: 0
; FloatMode: 240
; IeeeMode: 1
; LDSByteSize: 0 bytes/workgroup (compile time only)
; SGPRBlocks: 0
; VGPRBlocks: 0
; NumSGPRsForWavesPerEU: 4
; NumVGPRsForWavesPerEU: 1
; AccumOffset: 4
; Occupancy: 8
; WaveLimiterHint : 0
; COMPUTE_PGM_RSRC2:SCRATCH_EN: 0
; COMPUTE_PGM_RSRC2:USER_SGPR: 6
; COMPUTE_PGM_RSRC2:TRAP_HANDLER: 0
; COMPUTE_PGM_RSRC2:TGID_X_EN: 1
; COMPUTE_PGM_RSRC2:TGID_Y_EN: 0
; COMPUTE_PGM_RSRC2:TGID_Z_EN: 0
; COMPUTE_PGM_RSRC2:TIDIG_COMP_CNT: 0
; COMPUTE_PGM_RSRC3_GFX90A:ACCUM_OFFSET: 0
; COMPUTE_PGM_RSRC3_GFX90A:TG_SPLIT: 0
	.section	.text._ZN7rocprim17ROCPRIM_400000_NS6detail17trampoline_kernelINS0_14default_configENS1_35radix_sort_onesweep_config_selectorIslEEZZNS1_29radix_sort_onesweep_iterationIS3_Lb0EPsS7_N6thrust23THRUST_200600_302600_NS10device_ptrIlEESB_jNS0_19identity_decomposerENS1_16block_id_wrapperIjLb0EEEEE10hipError_tT1_PNSt15iterator_traitsISG_E10value_typeET2_T3_PNSH_ISM_E10value_typeET4_T5_PSR_SS_PNS1_23onesweep_lookback_stateEbbT6_jjT7_P12ihipStream_tbENKUlT_T0_SG_SL_E_clIS7_S7_SB_PlEEDaSZ_S10_SG_SL_EUlSZ_E_NS1_11comp_targetILNS1_3genE0ELNS1_11target_archE4294967295ELNS1_3gpuE0ELNS1_3repE0EEENS1_47radix_sort_onesweep_sort_config_static_selectorELNS0_4arch9wavefront6targetE1EEEvSG_,"axG",@progbits,_ZN7rocprim17ROCPRIM_400000_NS6detail17trampoline_kernelINS0_14default_configENS1_35radix_sort_onesweep_config_selectorIslEEZZNS1_29radix_sort_onesweep_iterationIS3_Lb0EPsS7_N6thrust23THRUST_200600_302600_NS10device_ptrIlEESB_jNS0_19identity_decomposerENS1_16block_id_wrapperIjLb0EEEEE10hipError_tT1_PNSt15iterator_traitsISG_E10value_typeET2_T3_PNSH_ISM_E10value_typeET4_T5_PSR_SS_PNS1_23onesweep_lookback_stateEbbT6_jjT7_P12ihipStream_tbENKUlT_T0_SG_SL_E_clIS7_S7_SB_PlEEDaSZ_S10_SG_SL_EUlSZ_E_NS1_11comp_targetILNS1_3genE0ELNS1_11target_archE4294967295ELNS1_3gpuE0ELNS1_3repE0EEENS1_47radix_sort_onesweep_sort_config_static_selectorELNS0_4arch9wavefront6targetE1EEEvSG_,comdat
	.protected	_ZN7rocprim17ROCPRIM_400000_NS6detail17trampoline_kernelINS0_14default_configENS1_35radix_sort_onesweep_config_selectorIslEEZZNS1_29radix_sort_onesweep_iterationIS3_Lb0EPsS7_N6thrust23THRUST_200600_302600_NS10device_ptrIlEESB_jNS0_19identity_decomposerENS1_16block_id_wrapperIjLb0EEEEE10hipError_tT1_PNSt15iterator_traitsISG_E10value_typeET2_T3_PNSH_ISM_E10value_typeET4_T5_PSR_SS_PNS1_23onesweep_lookback_stateEbbT6_jjT7_P12ihipStream_tbENKUlT_T0_SG_SL_E_clIS7_S7_SB_PlEEDaSZ_S10_SG_SL_EUlSZ_E_NS1_11comp_targetILNS1_3genE0ELNS1_11target_archE4294967295ELNS1_3gpuE0ELNS1_3repE0EEENS1_47radix_sort_onesweep_sort_config_static_selectorELNS0_4arch9wavefront6targetE1EEEvSG_ ; -- Begin function _ZN7rocprim17ROCPRIM_400000_NS6detail17trampoline_kernelINS0_14default_configENS1_35radix_sort_onesweep_config_selectorIslEEZZNS1_29radix_sort_onesweep_iterationIS3_Lb0EPsS7_N6thrust23THRUST_200600_302600_NS10device_ptrIlEESB_jNS0_19identity_decomposerENS1_16block_id_wrapperIjLb0EEEEE10hipError_tT1_PNSt15iterator_traitsISG_E10value_typeET2_T3_PNSH_ISM_E10value_typeET4_T5_PSR_SS_PNS1_23onesweep_lookback_stateEbbT6_jjT7_P12ihipStream_tbENKUlT_T0_SG_SL_E_clIS7_S7_SB_PlEEDaSZ_S10_SG_SL_EUlSZ_E_NS1_11comp_targetILNS1_3genE0ELNS1_11target_archE4294967295ELNS1_3gpuE0ELNS1_3repE0EEENS1_47radix_sort_onesweep_sort_config_static_selectorELNS0_4arch9wavefront6targetE1EEEvSG_
	.globl	_ZN7rocprim17ROCPRIM_400000_NS6detail17trampoline_kernelINS0_14default_configENS1_35radix_sort_onesweep_config_selectorIslEEZZNS1_29radix_sort_onesweep_iterationIS3_Lb0EPsS7_N6thrust23THRUST_200600_302600_NS10device_ptrIlEESB_jNS0_19identity_decomposerENS1_16block_id_wrapperIjLb0EEEEE10hipError_tT1_PNSt15iterator_traitsISG_E10value_typeET2_T3_PNSH_ISM_E10value_typeET4_T5_PSR_SS_PNS1_23onesweep_lookback_stateEbbT6_jjT7_P12ihipStream_tbENKUlT_T0_SG_SL_E_clIS7_S7_SB_PlEEDaSZ_S10_SG_SL_EUlSZ_E_NS1_11comp_targetILNS1_3genE0ELNS1_11target_archE4294967295ELNS1_3gpuE0ELNS1_3repE0EEENS1_47radix_sort_onesweep_sort_config_static_selectorELNS0_4arch9wavefront6targetE1EEEvSG_
	.p2align	8
	.type	_ZN7rocprim17ROCPRIM_400000_NS6detail17trampoline_kernelINS0_14default_configENS1_35radix_sort_onesweep_config_selectorIslEEZZNS1_29radix_sort_onesweep_iterationIS3_Lb0EPsS7_N6thrust23THRUST_200600_302600_NS10device_ptrIlEESB_jNS0_19identity_decomposerENS1_16block_id_wrapperIjLb0EEEEE10hipError_tT1_PNSt15iterator_traitsISG_E10value_typeET2_T3_PNSH_ISM_E10value_typeET4_T5_PSR_SS_PNS1_23onesweep_lookback_stateEbbT6_jjT7_P12ihipStream_tbENKUlT_T0_SG_SL_E_clIS7_S7_SB_PlEEDaSZ_S10_SG_SL_EUlSZ_E_NS1_11comp_targetILNS1_3genE0ELNS1_11target_archE4294967295ELNS1_3gpuE0ELNS1_3repE0EEENS1_47radix_sort_onesweep_sort_config_static_selectorELNS0_4arch9wavefront6targetE1EEEvSG_,@function
_ZN7rocprim17ROCPRIM_400000_NS6detail17trampoline_kernelINS0_14default_configENS1_35radix_sort_onesweep_config_selectorIslEEZZNS1_29radix_sort_onesweep_iterationIS3_Lb0EPsS7_N6thrust23THRUST_200600_302600_NS10device_ptrIlEESB_jNS0_19identity_decomposerENS1_16block_id_wrapperIjLb0EEEEE10hipError_tT1_PNSt15iterator_traitsISG_E10value_typeET2_T3_PNSH_ISM_E10value_typeET4_T5_PSR_SS_PNS1_23onesweep_lookback_stateEbbT6_jjT7_P12ihipStream_tbENKUlT_T0_SG_SL_E_clIS7_S7_SB_PlEEDaSZ_S10_SG_SL_EUlSZ_E_NS1_11comp_targetILNS1_3genE0ELNS1_11target_archE4294967295ELNS1_3gpuE0ELNS1_3repE0EEENS1_47radix_sort_onesweep_sort_config_static_selectorELNS0_4arch9wavefront6targetE1EEEvSG_: ; @_ZN7rocprim17ROCPRIM_400000_NS6detail17trampoline_kernelINS0_14default_configENS1_35radix_sort_onesweep_config_selectorIslEEZZNS1_29radix_sort_onesweep_iterationIS3_Lb0EPsS7_N6thrust23THRUST_200600_302600_NS10device_ptrIlEESB_jNS0_19identity_decomposerENS1_16block_id_wrapperIjLb0EEEEE10hipError_tT1_PNSt15iterator_traitsISG_E10value_typeET2_T3_PNSH_ISM_E10value_typeET4_T5_PSR_SS_PNS1_23onesweep_lookback_stateEbbT6_jjT7_P12ihipStream_tbENKUlT_T0_SG_SL_E_clIS7_S7_SB_PlEEDaSZ_S10_SG_SL_EUlSZ_E_NS1_11comp_targetILNS1_3genE0ELNS1_11target_archE4294967295ELNS1_3gpuE0ELNS1_3repE0EEENS1_47radix_sort_onesweep_sort_config_static_selectorELNS0_4arch9wavefront6targetE1EEEvSG_
; %bb.0:
	.section	.rodata,"a",@progbits
	.p2align	6, 0x0
	.amdhsa_kernel _ZN7rocprim17ROCPRIM_400000_NS6detail17trampoline_kernelINS0_14default_configENS1_35radix_sort_onesweep_config_selectorIslEEZZNS1_29radix_sort_onesweep_iterationIS3_Lb0EPsS7_N6thrust23THRUST_200600_302600_NS10device_ptrIlEESB_jNS0_19identity_decomposerENS1_16block_id_wrapperIjLb0EEEEE10hipError_tT1_PNSt15iterator_traitsISG_E10value_typeET2_T3_PNSH_ISM_E10value_typeET4_T5_PSR_SS_PNS1_23onesweep_lookback_stateEbbT6_jjT7_P12ihipStream_tbENKUlT_T0_SG_SL_E_clIS7_S7_SB_PlEEDaSZ_S10_SG_SL_EUlSZ_E_NS1_11comp_targetILNS1_3genE0ELNS1_11target_archE4294967295ELNS1_3gpuE0ELNS1_3repE0EEENS1_47radix_sort_onesweep_sort_config_static_selectorELNS0_4arch9wavefront6targetE1EEEvSG_
		.amdhsa_group_segment_fixed_size 0
		.amdhsa_private_segment_fixed_size 0
		.amdhsa_kernarg_size 88
		.amdhsa_user_sgpr_count 6
		.amdhsa_user_sgpr_private_segment_buffer 1
		.amdhsa_user_sgpr_dispatch_ptr 0
		.amdhsa_user_sgpr_queue_ptr 0
		.amdhsa_user_sgpr_kernarg_segment_ptr 1
		.amdhsa_user_sgpr_dispatch_id 0
		.amdhsa_user_sgpr_flat_scratch_init 0
		.amdhsa_user_sgpr_kernarg_preload_length 0
		.amdhsa_user_sgpr_kernarg_preload_offset 0
		.amdhsa_user_sgpr_private_segment_size 0
		.amdhsa_uses_dynamic_stack 0
		.amdhsa_system_sgpr_private_segment_wavefront_offset 0
		.amdhsa_system_sgpr_workgroup_id_x 1
		.amdhsa_system_sgpr_workgroup_id_y 0
		.amdhsa_system_sgpr_workgroup_id_z 0
		.amdhsa_system_sgpr_workgroup_info 0
		.amdhsa_system_vgpr_workitem_id 0
		.amdhsa_next_free_vgpr 1
		.amdhsa_next_free_sgpr 0
		.amdhsa_accum_offset 4
		.amdhsa_reserve_vcc 0
		.amdhsa_reserve_flat_scratch 0
		.amdhsa_float_round_mode_32 0
		.amdhsa_float_round_mode_16_64 0
		.amdhsa_float_denorm_mode_32 3
		.amdhsa_float_denorm_mode_16_64 3
		.amdhsa_dx10_clamp 1
		.amdhsa_ieee_mode 1
		.amdhsa_fp16_overflow 0
		.amdhsa_tg_split 0
		.amdhsa_exception_fp_ieee_invalid_op 0
		.amdhsa_exception_fp_denorm_src 0
		.amdhsa_exception_fp_ieee_div_zero 0
		.amdhsa_exception_fp_ieee_overflow 0
		.amdhsa_exception_fp_ieee_underflow 0
		.amdhsa_exception_fp_ieee_inexact 0
		.amdhsa_exception_int_div_zero 0
	.end_amdhsa_kernel
	.section	.text._ZN7rocprim17ROCPRIM_400000_NS6detail17trampoline_kernelINS0_14default_configENS1_35radix_sort_onesweep_config_selectorIslEEZZNS1_29radix_sort_onesweep_iterationIS3_Lb0EPsS7_N6thrust23THRUST_200600_302600_NS10device_ptrIlEESB_jNS0_19identity_decomposerENS1_16block_id_wrapperIjLb0EEEEE10hipError_tT1_PNSt15iterator_traitsISG_E10value_typeET2_T3_PNSH_ISM_E10value_typeET4_T5_PSR_SS_PNS1_23onesweep_lookback_stateEbbT6_jjT7_P12ihipStream_tbENKUlT_T0_SG_SL_E_clIS7_S7_SB_PlEEDaSZ_S10_SG_SL_EUlSZ_E_NS1_11comp_targetILNS1_3genE0ELNS1_11target_archE4294967295ELNS1_3gpuE0ELNS1_3repE0EEENS1_47radix_sort_onesweep_sort_config_static_selectorELNS0_4arch9wavefront6targetE1EEEvSG_,"axG",@progbits,_ZN7rocprim17ROCPRIM_400000_NS6detail17trampoline_kernelINS0_14default_configENS1_35radix_sort_onesweep_config_selectorIslEEZZNS1_29radix_sort_onesweep_iterationIS3_Lb0EPsS7_N6thrust23THRUST_200600_302600_NS10device_ptrIlEESB_jNS0_19identity_decomposerENS1_16block_id_wrapperIjLb0EEEEE10hipError_tT1_PNSt15iterator_traitsISG_E10value_typeET2_T3_PNSH_ISM_E10value_typeET4_T5_PSR_SS_PNS1_23onesweep_lookback_stateEbbT6_jjT7_P12ihipStream_tbENKUlT_T0_SG_SL_E_clIS7_S7_SB_PlEEDaSZ_S10_SG_SL_EUlSZ_E_NS1_11comp_targetILNS1_3genE0ELNS1_11target_archE4294967295ELNS1_3gpuE0ELNS1_3repE0EEENS1_47radix_sort_onesweep_sort_config_static_selectorELNS0_4arch9wavefront6targetE1EEEvSG_,comdat
.Lfunc_end1434:
	.size	_ZN7rocprim17ROCPRIM_400000_NS6detail17trampoline_kernelINS0_14default_configENS1_35radix_sort_onesweep_config_selectorIslEEZZNS1_29radix_sort_onesweep_iterationIS3_Lb0EPsS7_N6thrust23THRUST_200600_302600_NS10device_ptrIlEESB_jNS0_19identity_decomposerENS1_16block_id_wrapperIjLb0EEEEE10hipError_tT1_PNSt15iterator_traitsISG_E10value_typeET2_T3_PNSH_ISM_E10value_typeET4_T5_PSR_SS_PNS1_23onesweep_lookback_stateEbbT6_jjT7_P12ihipStream_tbENKUlT_T0_SG_SL_E_clIS7_S7_SB_PlEEDaSZ_S10_SG_SL_EUlSZ_E_NS1_11comp_targetILNS1_3genE0ELNS1_11target_archE4294967295ELNS1_3gpuE0ELNS1_3repE0EEENS1_47radix_sort_onesweep_sort_config_static_selectorELNS0_4arch9wavefront6targetE1EEEvSG_, .Lfunc_end1434-_ZN7rocprim17ROCPRIM_400000_NS6detail17trampoline_kernelINS0_14default_configENS1_35radix_sort_onesweep_config_selectorIslEEZZNS1_29radix_sort_onesweep_iterationIS3_Lb0EPsS7_N6thrust23THRUST_200600_302600_NS10device_ptrIlEESB_jNS0_19identity_decomposerENS1_16block_id_wrapperIjLb0EEEEE10hipError_tT1_PNSt15iterator_traitsISG_E10value_typeET2_T3_PNSH_ISM_E10value_typeET4_T5_PSR_SS_PNS1_23onesweep_lookback_stateEbbT6_jjT7_P12ihipStream_tbENKUlT_T0_SG_SL_E_clIS7_S7_SB_PlEEDaSZ_S10_SG_SL_EUlSZ_E_NS1_11comp_targetILNS1_3genE0ELNS1_11target_archE4294967295ELNS1_3gpuE0ELNS1_3repE0EEENS1_47radix_sort_onesweep_sort_config_static_selectorELNS0_4arch9wavefront6targetE1EEEvSG_
                                        ; -- End function
	.section	.AMDGPU.csdata,"",@progbits
; Kernel info:
; codeLenInByte = 0
; NumSgprs: 4
; NumVgprs: 0
; NumAgprs: 0
; TotalNumVgprs: 0
; ScratchSize: 0
; MemoryBound: 0
; FloatMode: 240
; IeeeMode: 1
; LDSByteSize: 0 bytes/workgroup (compile time only)
; SGPRBlocks: 0
; VGPRBlocks: 0
; NumSGPRsForWavesPerEU: 4
; NumVGPRsForWavesPerEU: 1
; AccumOffset: 4
; Occupancy: 8
; WaveLimiterHint : 0
; COMPUTE_PGM_RSRC2:SCRATCH_EN: 0
; COMPUTE_PGM_RSRC2:USER_SGPR: 6
; COMPUTE_PGM_RSRC2:TRAP_HANDLER: 0
; COMPUTE_PGM_RSRC2:TGID_X_EN: 1
; COMPUTE_PGM_RSRC2:TGID_Y_EN: 0
; COMPUTE_PGM_RSRC2:TGID_Z_EN: 0
; COMPUTE_PGM_RSRC2:TIDIG_COMP_CNT: 0
; COMPUTE_PGM_RSRC3_GFX90A:ACCUM_OFFSET: 0
; COMPUTE_PGM_RSRC3_GFX90A:TG_SPLIT: 0
	.section	.text._ZN7rocprim17ROCPRIM_400000_NS6detail17trampoline_kernelINS0_14default_configENS1_35radix_sort_onesweep_config_selectorIslEEZZNS1_29radix_sort_onesweep_iterationIS3_Lb0EPsS7_N6thrust23THRUST_200600_302600_NS10device_ptrIlEESB_jNS0_19identity_decomposerENS1_16block_id_wrapperIjLb0EEEEE10hipError_tT1_PNSt15iterator_traitsISG_E10value_typeET2_T3_PNSH_ISM_E10value_typeET4_T5_PSR_SS_PNS1_23onesweep_lookback_stateEbbT6_jjT7_P12ihipStream_tbENKUlT_T0_SG_SL_E_clIS7_S7_SB_PlEEDaSZ_S10_SG_SL_EUlSZ_E_NS1_11comp_targetILNS1_3genE6ELNS1_11target_archE950ELNS1_3gpuE13ELNS1_3repE0EEENS1_47radix_sort_onesweep_sort_config_static_selectorELNS0_4arch9wavefront6targetE1EEEvSG_,"axG",@progbits,_ZN7rocprim17ROCPRIM_400000_NS6detail17trampoline_kernelINS0_14default_configENS1_35radix_sort_onesweep_config_selectorIslEEZZNS1_29radix_sort_onesweep_iterationIS3_Lb0EPsS7_N6thrust23THRUST_200600_302600_NS10device_ptrIlEESB_jNS0_19identity_decomposerENS1_16block_id_wrapperIjLb0EEEEE10hipError_tT1_PNSt15iterator_traitsISG_E10value_typeET2_T3_PNSH_ISM_E10value_typeET4_T5_PSR_SS_PNS1_23onesweep_lookback_stateEbbT6_jjT7_P12ihipStream_tbENKUlT_T0_SG_SL_E_clIS7_S7_SB_PlEEDaSZ_S10_SG_SL_EUlSZ_E_NS1_11comp_targetILNS1_3genE6ELNS1_11target_archE950ELNS1_3gpuE13ELNS1_3repE0EEENS1_47radix_sort_onesweep_sort_config_static_selectorELNS0_4arch9wavefront6targetE1EEEvSG_,comdat
	.protected	_ZN7rocprim17ROCPRIM_400000_NS6detail17trampoline_kernelINS0_14default_configENS1_35radix_sort_onesweep_config_selectorIslEEZZNS1_29radix_sort_onesweep_iterationIS3_Lb0EPsS7_N6thrust23THRUST_200600_302600_NS10device_ptrIlEESB_jNS0_19identity_decomposerENS1_16block_id_wrapperIjLb0EEEEE10hipError_tT1_PNSt15iterator_traitsISG_E10value_typeET2_T3_PNSH_ISM_E10value_typeET4_T5_PSR_SS_PNS1_23onesweep_lookback_stateEbbT6_jjT7_P12ihipStream_tbENKUlT_T0_SG_SL_E_clIS7_S7_SB_PlEEDaSZ_S10_SG_SL_EUlSZ_E_NS1_11comp_targetILNS1_3genE6ELNS1_11target_archE950ELNS1_3gpuE13ELNS1_3repE0EEENS1_47radix_sort_onesweep_sort_config_static_selectorELNS0_4arch9wavefront6targetE1EEEvSG_ ; -- Begin function _ZN7rocprim17ROCPRIM_400000_NS6detail17trampoline_kernelINS0_14default_configENS1_35radix_sort_onesweep_config_selectorIslEEZZNS1_29radix_sort_onesweep_iterationIS3_Lb0EPsS7_N6thrust23THRUST_200600_302600_NS10device_ptrIlEESB_jNS0_19identity_decomposerENS1_16block_id_wrapperIjLb0EEEEE10hipError_tT1_PNSt15iterator_traitsISG_E10value_typeET2_T3_PNSH_ISM_E10value_typeET4_T5_PSR_SS_PNS1_23onesweep_lookback_stateEbbT6_jjT7_P12ihipStream_tbENKUlT_T0_SG_SL_E_clIS7_S7_SB_PlEEDaSZ_S10_SG_SL_EUlSZ_E_NS1_11comp_targetILNS1_3genE6ELNS1_11target_archE950ELNS1_3gpuE13ELNS1_3repE0EEENS1_47radix_sort_onesweep_sort_config_static_selectorELNS0_4arch9wavefront6targetE1EEEvSG_
	.globl	_ZN7rocprim17ROCPRIM_400000_NS6detail17trampoline_kernelINS0_14default_configENS1_35radix_sort_onesweep_config_selectorIslEEZZNS1_29radix_sort_onesweep_iterationIS3_Lb0EPsS7_N6thrust23THRUST_200600_302600_NS10device_ptrIlEESB_jNS0_19identity_decomposerENS1_16block_id_wrapperIjLb0EEEEE10hipError_tT1_PNSt15iterator_traitsISG_E10value_typeET2_T3_PNSH_ISM_E10value_typeET4_T5_PSR_SS_PNS1_23onesweep_lookback_stateEbbT6_jjT7_P12ihipStream_tbENKUlT_T0_SG_SL_E_clIS7_S7_SB_PlEEDaSZ_S10_SG_SL_EUlSZ_E_NS1_11comp_targetILNS1_3genE6ELNS1_11target_archE950ELNS1_3gpuE13ELNS1_3repE0EEENS1_47radix_sort_onesweep_sort_config_static_selectorELNS0_4arch9wavefront6targetE1EEEvSG_
	.p2align	8
	.type	_ZN7rocprim17ROCPRIM_400000_NS6detail17trampoline_kernelINS0_14default_configENS1_35radix_sort_onesweep_config_selectorIslEEZZNS1_29radix_sort_onesweep_iterationIS3_Lb0EPsS7_N6thrust23THRUST_200600_302600_NS10device_ptrIlEESB_jNS0_19identity_decomposerENS1_16block_id_wrapperIjLb0EEEEE10hipError_tT1_PNSt15iterator_traitsISG_E10value_typeET2_T3_PNSH_ISM_E10value_typeET4_T5_PSR_SS_PNS1_23onesweep_lookback_stateEbbT6_jjT7_P12ihipStream_tbENKUlT_T0_SG_SL_E_clIS7_S7_SB_PlEEDaSZ_S10_SG_SL_EUlSZ_E_NS1_11comp_targetILNS1_3genE6ELNS1_11target_archE950ELNS1_3gpuE13ELNS1_3repE0EEENS1_47radix_sort_onesweep_sort_config_static_selectorELNS0_4arch9wavefront6targetE1EEEvSG_,@function
_ZN7rocprim17ROCPRIM_400000_NS6detail17trampoline_kernelINS0_14default_configENS1_35radix_sort_onesweep_config_selectorIslEEZZNS1_29radix_sort_onesweep_iterationIS3_Lb0EPsS7_N6thrust23THRUST_200600_302600_NS10device_ptrIlEESB_jNS0_19identity_decomposerENS1_16block_id_wrapperIjLb0EEEEE10hipError_tT1_PNSt15iterator_traitsISG_E10value_typeET2_T3_PNSH_ISM_E10value_typeET4_T5_PSR_SS_PNS1_23onesweep_lookback_stateEbbT6_jjT7_P12ihipStream_tbENKUlT_T0_SG_SL_E_clIS7_S7_SB_PlEEDaSZ_S10_SG_SL_EUlSZ_E_NS1_11comp_targetILNS1_3genE6ELNS1_11target_archE950ELNS1_3gpuE13ELNS1_3repE0EEENS1_47radix_sort_onesweep_sort_config_static_selectorELNS0_4arch9wavefront6targetE1EEEvSG_: ; @_ZN7rocprim17ROCPRIM_400000_NS6detail17trampoline_kernelINS0_14default_configENS1_35radix_sort_onesweep_config_selectorIslEEZZNS1_29radix_sort_onesweep_iterationIS3_Lb0EPsS7_N6thrust23THRUST_200600_302600_NS10device_ptrIlEESB_jNS0_19identity_decomposerENS1_16block_id_wrapperIjLb0EEEEE10hipError_tT1_PNSt15iterator_traitsISG_E10value_typeET2_T3_PNSH_ISM_E10value_typeET4_T5_PSR_SS_PNS1_23onesweep_lookback_stateEbbT6_jjT7_P12ihipStream_tbENKUlT_T0_SG_SL_E_clIS7_S7_SB_PlEEDaSZ_S10_SG_SL_EUlSZ_E_NS1_11comp_targetILNS1_3genE6ELNS1_11target_archE950ELNS1_3gpuE13ELNS1_3repE0EEENS1_47radix_sort_onesweep_sort_config_static_selectorELNS0_4arch9wavefront6targetE1EEEvSG_
; %bb.0:
	.section	.rodata,"a",@progbits
	.p2align	6, 0x0
	.amdhsa_kernel _ZN7rocprim17ROCPRIM_400000_NS6detail17trampoline_kernelINS0_14default_configENS1_35radix_sort_onesweep_config_selectorIslEEZZNS1_29radix_sort_onesweep_iterationIS3_Lb0EPsS7_N6thrust23THRUST_200600_302600_NS10device_ptrIlEESB_jNS0_19identity_decomposerENS1_16block_id_wrapperIjLb0EEEEE10hipError_tT1_PNSt15iterator_traitsISG_E10value_typeET2_T3_PNSH_ISM_E10value_typeET4_T5_PSR_SS_PNS1_23onesweep_lookback_stateEbbT6_jjT7_P12ihipStream_tbENKUlT_T0_SG_SL_E_clIS7_S7_SB_PlEEDaSZ_S10_SG_SL_EUlSZ_E_NS1_11comp_targetILNS1_3genE6ELNS1_11target_archE950ELNS1_3gpuE13ELNS1_3repE0EEENS1_47radix_sort_onesweep_sort_config_static_selectorELNS0_4arch9wavefront6targetE1EEEvSG_
		.amdhsa_group_segment_fixed_size 0
		.amdhsa_private_segment_fixed_size 0
		.amdhsa_kernarg_size 88
		.amdhsa_user_sgpr_count 6
		.amdhsa_user_sgpr_private_segment_buffer 1
		.amdhsa_user_sgpr_dispatch_ptr 0
		.amdhsa_user_sgpr_queue_ptr 0
		.amdhsa_user_sgpr_kernarg_segment_ptr 1
		.amdhsa_user_sgpr_dispatch_id 0
		.amdhsa_user_sgpr_flat_scratch_init 0
		.amdhsa_user_sgpr_kernarg_preload_length 0
		.amdhsa_user_sgpr_kernarg_preload_offset 0
		.amdhsa_user_sgpr_private_segment_size 0
		.amdhsa_uses_dynamic_stack 0
		.amdhsa_system_sgpr_private_segment_wavefront_offset 0
		.amdhsa_system_sgpr_workgroup_id_x 1
		.amdhsa_system_sgpr_workgroup_id_y 0
		.amdhsa_system_sgpr_workgroup_id_z 0
		.amdhsa_system_sgpr_workgroup_info 0
		.amdhsa_system_vgpr_workitem_id 0
		.amdhsa_next_free_vgpr 1
		.amdhsa_next_free_sgpr 0
		.amdhsa_accum_offset 4
		.amdhsa_reserve_vcc 0
		.amdhsa_reserve_flat_scratch 0
		.amdhsa_float_round_mode_32 0
		.amdhsa_float_round_mode_16_64 0
		.amdhsa_float_denorm_mode_32 3
		.amdhsa_float_denorm_mode_16_64 3
		.amdhsa_dx10_clamp 1
		.amdhsa_ieee_mode 1
		.amdhsa_fp16_overflow 0
		.amdhsa_tg_split 0
		.amdhsa_exception_fp_ieee_invalid_op 0
		.amdhsa_exception_fp_denorm_src 0
		.amdhsa_exception_fp_ieee_div_zero 0
		.amdhsa_exception_fp_ieee_overflow 0
		.amdhsa_exception_fp_ieee_underflow 0
		.amdhsa_exception_fp_ieee_inexact 0
		.amdhsa_exception_int_div_zero 0
	.end_amdhsa_kernel
	.section	.text._ZN7rocprim17ROCPRIM_400000_NS6detail17trampoline_kernelINS0_14default_configENS1_35radix_sort_onesweep_config_selectorIslEEZZNS1_29radix_sort_onesweep_iterationIS3_Lb0EPsS7_N6thrust23THRUST_200600_302600_NS10device_ptrIlEESB_jNS0_19identity_decomposerENS1_16block_id_wrapperIjLb0EEEEE10hipError_tT1_PNSt15iterator_traitsISG_E10value_typeET2_T3_PNSH_ISM_E10value_typeET4_T5_PSR_SS_PNS1_23onesweep_lookback_stateEbbT6_jjT7_P12ihipStream_tbENKUlT_T0_SG_SL_E_clIS7_S7_SB_PlEEDaSZ_S10_SG_SL_EUlSZ_E_NS1_11comp_targetILNS1_3genE6ELNS1_11target_archE950ELNS1_3gpuE13ELNS1_3repE0EEENS1_47radix_sort_onesweep_sort_config_static_selectorELNS0_4arch9wavefront6targetE1EEEvSG_,"axG",@progbits,_ZN7rocprim17ROCPRIM_400000_NS6detail17trampoline_kernelINS0_14default_configENS1_35radix_sort_onesweep_config_selectorIslEEZZNS1_29radix_sort_onesweep_iterationIS3_Lb0EPsS7_N6thrust23THRUST_200600_302600_NS10device_ptrIlEESB_jNS0_19identity_decomposerENS1_16block_id_wrapperIjLb0EEEEE10hipError_tT1_PNSt15iterator_traitsISG_E10value_typeET2_T3_PNSH_ISM_E10value_typeET4_T5_PSR_SS_PNS1_23onesweep_lookback_stateEbbT6_jjT7_P12ihipStream_tbENKUlT_T0_SG_SL_E_clIS7_S7_SB_PlEEDaSZ_S10_SG_SL_EUlSZ_E_NS1_11comp_targetILNS1_3genE6ELNS1_11target_archE950ELNS1_3gpuE13ELNS1_3repE0EEENS1_47radix_sort_onesweep_sort_config_static_selectorELNS0_4arch9wavefront6targetE1EEEvSG_,comdat
.Lfunc_end1435:
	.size	_ZN7rocprim17ROCPRIM_400000_NS6detail17trampoline_kernelINS0_14default_configENS1_35radix_sort_onesweep_config_selectorIslEEZZNS1_29radix_sort_onesweep_iterationIS3_Lb0EPsS7_N6thrust23THRUST_200600_302600_NS10device_ptrIlEESB_jNS0_19identity_decomposerENS1_16block_id_wrapperIjLb0EEEEE10hipError_tT1_PNSt15iterator_traitsISG_E10value_typeET2_T3_PNSH_ISM_E10value_typeET4_T5_PSR_SS_PNS1_23onesweep_lookback_stateEbbT6_jjT7_P12ihipStream_tbENKUlT_T0_SG_SL_E_clIS7_S7_SB_PlEEDaSZ_S10_SG_SL_EUlSZ_E_NS1_11comp_targetILNS1_3genE6ELNS1_11target_archE950ELNS1_3gpuE13ELNS1_3repE0EEENS1_47radix_sort_onesweep_sort_config_static_selectorELNS0_4arch9wavefront6targetE1EEEvSG_, .Lfunc_end1435-_ZN7rocprim17ROCPRIM_400000_NS6detail17trampoline_kernelINS0_14default_configENS1_35radix_sort_onesweep_config_selectorIslEEZZNS1_29radix_sort_onesweep_iterationIS3_Lb0EPsS7_N6thrust23THRUST_200600_302600_NS10device_ptrIlEESB_jNS0_19identity_decomposerENS1_16block_id_wrapperIjLb0EEEEE10hipError_tT1_PNSt15iterator_traitsISG_E10value_typeET2_T3_PNSH_ISM_E10value_typeET4_T5_PSR_SS_PNS1_23onesweep_lookback_stateEbbT6_jjT7_P12ihipStream_tbENKUlT_T0_SG_SL_E_clIS7_S7_SB_PlEEDaSZ_S10_SG_SL_EUlSZ_E_NS1_11comp_targetILNS1_3genE6ELNS1_11target_archE950ELNS1_3gpuE13ELNS1_3repE0EEENS1_47radix_sort_onesweep_sort_config_static_selectorELNS0_4arch9wavefront6targetE1EEEvSG_
                                        ; -- End function
	.section	.AMDGPU.csdata,"",@progbits
; Kernel info:
; codeLenInByte = 0
; NumSgprs: 4
; NumVgprs: 0
; NumAgprs: 0
; TotalNumVgprs: 0
; ScratchSize: 0
; MemoryBound: 0
; FloatMode: 240
; IeeeMode: 1
; LDSByteSize: 0 bytes/workgroup (compile time only)
; SGPRBlocks: 0
; VGPRBlocks: 0
; NumSGPRsForWavesPerEU: 4
; NumVGPRsForWavesPerEU: 1
; AccumOffset: 4
; Occupancy: 8
; WaveLimiterHint : 0
; COMPUTE_PGM_RSRC2:SCRATCH_EN: 0
; COMPUTE_PGM_RSRC2:USER_SGPR: 6
; COMPUTE_PGM_RSRC2:TRAP_HANDLER: 0
; COMPUTE_PGM_RSRC2:TGID_X_EN: 1
; COMPUTE_PGM_RSRC2:TGID_Y_EN: 0
; COMPUTE_PGM_RSRC2:TGID_Z_EN: 0
; COMPUTE_PGM_RSRC2:TIDIG_COMP_CNT: 0
; COMPUTE_PGM_RSRC3_GFX90A:ACCUM_OFFSET: 0
; COMPUTE_PGM_RSRC3_GFX90A:TG_SPLIT: 0
	.section	.text._ZN7rocprim17ROCPRIM_400000_NS6detail17trampoline_kernelINS0_14default_configENS1_35radix_sort_onesweep_config_selectorIslEEZZNS1_29radix_sort_onesweep_iterationIS3_Lb0EPsS7_N6thrust23THRUST_200600_302600_NS10device_ptrIlEESB_jNS0_19identity_decomposerENS1_16block_id_wrapperIjLb0EEEEE10hipError_tT1_PNSt15iterator_traitsISG_E10value_typeET2_T3_PNSH_ISM_E10value_typeET4_T5_PSR_SS_PNS1_23onesweep_lookback_stateEbbT6_jjT7_P12ihipStream_tbENKUlT_T0_SG_SL_E_clIS7_S7_SB_PlEEDaSZ_S10_SG_SL_EUlSZ_E_NS1_11comp_targetILNS1_3genE5ELNS1_11target_archE942ELNS1_3gpuE9ELNS1_3repE0EEENS1_47radix_sort_onesweep_sort_config_static_selectorELNS0_4arch9wavefront6targetE1EEEvSG_,"axG",@progbits,_ZN7rocprim17ROCPRIM_400000_NS6detail17trampoline_kernelINS0_14default_configENS1_35radix_sort_onesweep_config_selectorIslEEZZNS1_29radix_sort_onesweep_iterationIS3_Lb0EPsS7_N6thrust23THRUST_200600_302600_NS10device_ptrIlEESB_jNS0_19identity_decomposerENS1_16block_id_wrapperIjLb0EEEEE10hipError_tT1_PNSt15iterator_traitsISG_E10value_typeET2_T3_PNSH_ISM_E10value_typeET4_T5_PSR_SS_PNS1_23onesweep_lookback_stateEbbT6_jjT7_P12ihipStream_tbENKUlT_T0_SG_SL_E_clIS7_S7_SB_PlEEDaSZ_S10_SG_SL_EUlSZ_E_NS1_11comp_targetILNS1_3genE5ELNS1_11target_archE942ELNS1_3gpuE9ELNS1_3repE0EEENS1_47radix_sort_onesweep_sort_config_static_selectorELNS0_4arch9wavefront6targetE1EEEvSG_,comdat
	.protected	_ZN7rocprim17ROCPRIM_400000_NS6detail17trampoline_kernelINS0_14default_configENS1_35radix_sort_onesweep_config_selectorIslEEZZNS1_29radix_sort_onesweep_iterationIS3_Lb0EPsS7_N6thrust23THRUST_200600_302600_NS10device_ptrIlEESB_jNS0_19identity_decomposerENS1_16block_id_wrapperIjLb0EEEEE10hipError_tT1_PNSt15iterator_traitsISG_E10value_typeET2_T3_PNSH_ISM_E10value_typeET4_T5_PSR_SS_PNS1_23onesweep_lookback_stateEbbT6_jjT7_P12ihipStream_tbENKUlT_T0_SG_SL_E_clIS7_S7_SB_PlEEDaSZ_S10_SG_SL_EUlSZ_E_NS1_11comp_targetILNS1_3genE5ELNS1_11target_archE942ELNS1_3gpuE9ELNS1_3repE0EEENS1_47radix_sort_onesweep_sort_config_static_selectorELNS0_4arch9wavefront6targetE1EEEvSG_ ; -- Begin function _ZN7rocprim17ROCPRIM_400000_NS6detail17trampoline_kernelINS0_14default_configENS1_35radix_sort_onesweep_config_selectorIslEEZZNS1_29radix_sort_onesweep_iterationIS3_Lb0EPsS7_N6thrust23THRUST_200600_302600_NS10device_ptrIlEESB_jNS0_19identity_decomposerENS1_16block_id_wrapperIjLb0EEEEE10hipError_tT1_PNSt15iterator_traitsISG_E10value_typeET2_T3_PNSH_ISM_E10value_typeET4_T5_PSR_SS_PNS1_23onesweep_lookback_stateEbbT6_jjT7_P12ihipStream_tbENKUlT_T0_SG_SL_E_clIS7_S7_SB_PlEEDaSZ_S10_SG_SL_EUlSZ_E_NS1_11comp_targetILNS1_3genE5ELNS1_11target_archE942ELNS1_3gpuE9ELNS1_3repE0EEENS1_47radix_sort_onesweep_sort_config_static_selectorELNS0_4arch9wavefront6targetE1EEEvSG_
	.globl	_ZN7rocprim17ROCPRIM_400000_NS6detail17trampoline_kernelINS0_14default_configENS1_35radix_sort_onesweep_config_selectorIslEEZZNS1_29radix_sort_onesweep_iterationIS3_Lb0EPsS7_N6thrust23THRUST_200600_302600_NS10device_ptrIlEESB_jNS0_19identity_decomposerENS1_16block_id_wrapperIjLb0EEEEE10hipError_tT1_PNSt15iterator_traitsISG_E10value_typeET2_T3_PNSH_ISM_E10value_typeET4_T5_PSR_SS_PNS1_23onesweep_lookback_stateEbbT6_jjT7_P12ihipStream_tbENKUlT_T0_SG_SL_E_clIS7_S7_SB_PlEEDaSZ_S10_SG_SL_EUlSZ_E_NS1_11comp_targetILNS1_3genE5ELNS1_11target_archE942ELNS1_3gpuE9ELNS1_3repE0EEENS1_47radix_sort_onesweep_sort_config_static_selectorELNS0_4arch9wavefront6targetE1EEEvSG_
	.p2align	8
	.type	_ZN7rocprim17ROCPRIM_400000_NS6detail17trampoline_kernelINS0_14default_configENS1_35radix_sort_onesweep_config_selectorIslEEZZNS1_29radix_sort_onesweep_iterationIS3_Lb0EPsS7_N6thrust23THRUST_200600_302600_NS10device_ptrIlEESB_jNS0_19identity_decomposerENS1_16block_id_wrapperIjLb0EEEEE10hipError_tT1_PNSt15iterator_traitsISG_E10value_typeET2_T3_PNSH_ISM_E10value_typeET4_T5_PSR_SS_PNS1_23onesweep_lookback_stateEbbT6_jjT7_P12ihipStream_tbENKUlT_T0_SG_SL_E_clIS7_S7_SB_PlEEDaSZ_S10_SG_SL_EUlSZ_E_NS1_11comp_targetILNS1_3genE5ELNS1_11target_archE942ELNS1_3gpuE9ELNS1_3repE0EEENS1_47radix_sort_onesweep_sort_config_static_selectorELNS0_4arch9wavefront6targetE1EEEvSG_,@function
_ZN7rocprim17ROCPRIM_400000_NS6detail17trampoline_kernelINS0_14default_configENS1_35radix_sort_onesweep_config_selectorIslEEZZNS1_29radix_sort_onesweep_iterationIS3_Lb0EPsS7_N6thrust23THRUST_200600_302600_NS10device_ptrIlEESB_jNS0_19identity_decomposerENS1_16block_id_wrapperIjLb0EEEEE10hipError_tT1_PNSt15iterator_traitsISG_E10value_typeET2_T3_PNSH_ISM_E10value_typeET4_T5_PSR_SS_PNS1_23onesweep_lookback_stateEbbT6_jjT7_P12ihipStream_tbENKUlT_T0_SG_SL_E_clIS7_S7_SB_PlEEDaSZ_S10_SG_SL_EUlSZ_E_NS1_11comp_targetILNS1_3genE5ELNS1_11target_archE942ELNS1_3gpuE9ELNS1_3repE0EEENS1_47radix_sort_onesweep_sort_config_static_selectorELNS0_4arch9wavefront6targetE1EEEvSG_: ; @_ZN7rocprim17ROCPRIM_400000_NS6detail17trampoline_kernelINS0_14default_configENS1_35radix_sort_onesweep_config_selectorIslEEZZNS1_29radix_sort_onesweep_iterationIS3_Lb0EPsS7_N6thrust23THRUST_200600_302600_NS10device_ptrIlEESB_jNS0_19identity_decomposerENS1_16block_id_wrapperIjLb0EEEEE10hipError_tT1_PNSt15iterator_traitsISG_E10value_typeET2_T3_PNSH_ISM_E10value_typeET4_T5_PSR_SS_PNS1_23onesweep_lookback_stateEbbT6_jjT7_P12ihipStream_tbENKUlT_T0_SG_SL_E_clIS7_S7_SB_PlEEDaSZ_S10_SG_SL_EUlSZ_E_NS1_11comp_targetILNS1_3genE5ELNS1_11target_archE942ELNS1_3gpuE9ELNS1_3repE0EEENS1_47radix_sort_onesweep_sort_config_static_selectorELNS0_4arch9wavefront6targetE1EEEvSG_
; %bb.0:
	.section	.rodata,"a",@progbits
	.p2align	6, 0x0
	.amdhsa_kernel _ZN7rocprim17ROCPRIM_400000_NS6detail17trampoline_kernelINS0_14default_configENS1_35radix_sort_onesweep_config_selectorIslEEZZNS1_29radix_sort_onesweep_iterationIS3_Lb0EPsS7_N6thrust23THRUST_200600_302600_NS10device_ptrIlEESB_jNS0_19identity_decomposerENS1_16block_id_wrapperIjLb0EEEEE10hipError_tT1_PNSt15iterator_traitsISG_E10value_typeET2_T3_PNSH_ISM_E10value_typeET4_T5_PSR_SS_PNS1_23onesweep_lookback_stateEbbT6_jjT7_P12ihipStream_tbENKUlT_T0_SG_SL_E_clIS7_S7_SB_PlEEDaSZ_S10_SG_SL_EUlSZ_E_NS1_11comp_targetILNS1_3genE5ELNS1_11target_archE942ELNS1_3gpuE9ELNS1_3repE0EEENS1_47radix_sort_onesweep_sort_config_static_selectorELNS0_4arch9wavefront6targetE1EEEvSG_
		.amdhsa_group_segment_fixed_size 0
		.amdhsa_private_segment_fixed_size 0
		.amdhsa_kernarg_size 88
		.amdhsa_user_sgpr_count 6
		.amdhsa_user_sgpr_private_segment_buffer 1
		.amdhsa_user_sgpr_dispatch_ptr 0
		.amdhsa_user_sgpr_queue_ptr 0
		.amdhsa_user_sgpr_kernarg_segment_ptr 1
		.amdhsa_user_sgpr_dispatch_id 0
		.amdhsa_user_sgpr_flat_scratch_init 0
		.amdhsa_user_sgpr_kernarg_preload_length 0
		.amdhsa_user_sgpr_kernarg_preload_offset 0
		.amdhsa_user_sgpr_private_segment_size 0
		.amdhsa_uses_dynamic_stack 0
		.amdhsa_system_sgpr_private_segment_wavefront_offset 0
		.amdhsa_system_sgpr_workgroup_id_x 1
		.amdhsa_system_sgpr_workgroup_id_y 0
		.amdhsa_system_sgpr_workgroup_id_z 0
		.amdhsa_system_sgpr_workgroup_info 0
		.amdhsa_system_vgpr_workitem_id 0
		.amdhsa_next_free_vgpr 1
		.amdhsa_next_free_sgpr 0
		.amdhsa_accum_offset 4
		.amdhsa_reserve_vcc 0
		.amdhsa_reserve_flat_scratch 0
		.amdhsa_float_round_mode_32 0
		.amdhsa_float_round_mode_16_64 0
		.amdhsa_float_denorm_mode_32 3
		.amdhsa_float_denorm_mode_16_64 3
		.amdhsa_dx10_clamp 1
		.amdhsa_ieee_mode 1
		.amdhsa_fp16_overflow 0
		.amdhsa_tg_split 0
		.amdhsa_exception_fp_ieee_invalid_op 0
		.amdhsa_exception_fp_denorm_src 0
		.amdhsa_exception_fp_ieee_div_zero 0
		.amdhsa_exception_fp_ieee_overflow 0
		.amdhsa_exception_fp_ieee_underflow 0
		.amdhsa_exception_fp_ieee_inexact 0
		.amdhsa_exception_int_div_zero 0
	.end_amdhsa_kernel
	.section	.text._ZN7rocprim17ROCPRIM_400000_NS6detail17trampoline_kernelINS0_14default_configENS1_35radix_sort_onesweep_config_selectorIslEEZZNS1_29radix_sort_onesweep_iterationIS3_Lb0EPsS7_N6thrust23THRUST_200600_302600_NS10device_ptrIlEESB_jNS0_19identity_decomposerENS1_16block_id_wrapperIjLb0EEEEE10hipError_tT1_PNSt15iterator_traitsISG_E10value_typeET2_T3_PNSH_ISM_E10value_typeET4_T5_PSR_SS_PNS1_23onesweep_lookback_stateEbbT6_jjT7_P12ihipStream_tbENKUlT_T0_SG_SL_E_clIS7_S7_SB_PlEEDaSZ_S10_SG_SL_EUlSZ_E_NS1_11comp_targetILNS1_3genE5ELNS1_11target_archE942ELNS1_3gpuE9ELNS1_3repE0EEENS1_47radix_sort_onesweep_sort_config_static_selectorELNS0_4arch9wavefront6targetE1EEEvSG_,"axG",@progbits,_ZN7rocprim17ROCPRIM_400000_NS6detail17trampoline_kernelINS0_14default_configENS1_35radix_sort_onesweep_config_selectorIslEEZZNS1_29radix_sort_onesweep_iterationIS3_Lb0EPsS7_N6thrust23THRUST_200600_302600_NS10device_ptrIlEESB_jNS0_19identity_decomposerENS1_16block_id_wrapperIjLb0EEEEE10hipError_tT1_PNSt15iterator_traitsISG_E10value_typeET2_T3_PNSH_ISM_E10value_typeET4_T5_PSR_SS_PNS1_23onesweep_lookback_stateEbbT6_jjT7_P12ihipStream_tbENKUlT_T0_SG_SL_E_clIS7_S7_SB_PlEEDaSZ_S10_SG_SL_EUlSZ_E_NS1_11comp_targetILNS1_3genE5ELNS1_11target_archE942ELNS1_3gpuE9ELNS1_3repE0EEENS1_47radix_sort_onesweep_sort_config_static_selectorELNS0_4arch9wavefront6targetE1EEEvSG_,comdat
.Lfunc_end1436:
	.size	_ZN7rocprim17ROCPRIM_400000_NS6detail17trampoline_kernelINS0_14default_configENS1_35radix_sort_onesweep_config_selectorIslEEZZNS1_29radix_sort_onesweep_iterationIS3_Lb0EPsS7_N6thrust23THRUST_200600_302600_NS10device_ptrIlEESB_jNS0_19identity_decomposerENS1_16block_id_wrapperIjLb0EEEEE10hipError_tT1_PNSt15iterator_traitsISG_E10value_typeET2_T3_PNSH_ISM_E10value_typeET4_T5_PSR_SS_PNS1_23onesweep_lookback_stateEbbT6_jjT7_P12ihipStream_tbENKUlT_T0_SG_SL_E_clIS7_S7_SB_PlEEDaSZ_S10_SG_SL_EUlSZ_E_NS1_11comp_targetILNS1_3genE5ELNS1_11target_archE942ELNS1_3gpuE9ELNS1_3repE0EEENS1_47radix_sort_onesweep_sort_config_static_selectorELNS0_4arch9wavefront6targetE1EEEvSG_, .Lfunc_end1436-_ZN7rocprim17ROCPRIM_400000_NS6detail17trampoline_kernelINS0_14default_configENS1_35radix_sort_onesweep_config_selectorIslEEZZNS1_29radix_sort_onesweep_iterationIS3_Lb0EPsS7_N6thrust23THRUST_200600_302600_NS10device_ptrIlEESB_jNS0_19identity_decomposerENS1_16block_id_wrapperIjLb0EEEEE10hipError_tT1_PNSt15iterator_traitsISG_E10value_typeET2_T3_PNSH_ISM_E10value_typeET4_T5_PSR_SS_PNS1_23onesweep_lookback_stateEbbT6_jjT7_P12ihipStream_tbENKUlT_T0_SG_SL_E_clIS7_S7_SB_PlEEDaSZ_S10_SG_SL_EUlSZ_E_NS1_11comp_targetILNS1_3genE5ELNS1_11target_archE942ELNS1_3gpuE9ELNS1_3repE0EEENS1_47radix_sort_onesweep_sort_config_static_selectorELNS0_4arch9wavefront6targetE1EEEvSG_
                                        ; -- End function
	.section	.AMDGPU.csdata,"",@progbits
; Kernel info:
; codeLenInByte = 0
; NumSgprs: 4
; NumVgprs: 0
; NumAgprs: 0
; TotalNumVgprs: 0
; ScratchSize: 0
; MemoryBound: 0
; FloatMode: 240
; IeeeMode: 1
; LDSByteSize: 0 bytes/workgroup (compile time only)
; SGPRBlocks: 0
; VGPRBlocks: 0
; NumSGPRsForWavesPerEU: 4
; NumVGPRsForWavesPerEU: 1
; AccumOffset: 4
; Occupancy: 8
; WaveLimiterHint : 0
; COMPUTE_PGM_RSRC2:SCRATCH_EN: 0
; COMPUTE_PGM_RSRC2:USER_SGPR: 6
; COMPUTE_PGM_RSRC2:TRAP_HANDLER: 0
; COMPUTE_PGM_RSRC2:TGID_X_EN: 1
; COMPUTE_PGM_RSRC2:TGID_Y_EN: 0
; COMPUTE_PGM_RSRC2:TGID_Z_EN: 0
; COMPUTE_PGM_RSRC2:TIDIG_COMP_CNT: 0
; COMPUTE_PGM_RSRC3_GFX90A:ACCUM_OFFSET: 0
; COMPUTE_PGM_RSRC3_GFX90A:TG_SPLIT: 0
	.section	.text._ZN7rocprim17ROCPRIM_400000_NS6detail17trampoline_kernelINS0_14default_configENS1_35radix_sort_onesweep_config_selectorIslEEZZNS1_29radix_sort_onesweep_iterationIS3_Lb0EPsS7_N6thrust23THRUST_200600_302600_NS10device_ptrIlEESB_jNS0_19identity_decomposerENS1_16block_id_wrapperIjLb0EEEEE10hipError_tT1_PNSt15iterator_traitsISG_E10value_typeET2_T3_PNSH_ISM_E10value_typeET4_T5_PSR_SS_PNS1_23onesweep_lookback_stateEbbT6_jjT7_P12ihipStream_tbENKUlT_T0_SG_SL_E_clIS7_S7_SB_PlEEDaSZ_S10_SG_SL_EUlSZ_E_NS1_11comp_targetILNS1_3genE2ELNS1_11target_archE906ELNS1_3gpuE6ELNS1_3repE0EEENS1_47radix_sort_onesweep_sort_config_static_selectorELNS0_4arch9wavefront6targetE1EEEvSG_,"axG",@progbits,_ZN7rocprim17ROCPRIM_400000_NS6detail17trampoline_kernelINS0_14default_configENS1_35radix_sort_onesweep_config_selectorIslEEZZNS1_29radix_sort_onesweep_iterationIS3_Lb0EPsS7_N6thrust23THRUST_200600_302600_NS10device_ptrIlEESB_jNS0_19identity_decomposerENS1_16block_id_wrapperIjLb0EEEEE10hipError_tT1_PNSt15iterator_traitsISG_E10value_typeET2_T3_PNSH_ISM_E10value_typeET4_T5_PSR_SS_PNS1_23onesweep_lookback_stateEbbT6_jjT7_P12ihipStream_tbENKUlT_T0_SG_SL_E_clIS7_S7_SB_PlEEDaSZ_S10_SG_SL_EUlSZ_E_NS1_11comp_targetILNS1_3genE2ELNS1_11target_archE906ELNS1_3gpuE6ELNS1_3repE0EEENS1_47radix_sort_onesweep_sort_config_static_selectorELNS0_4arch9wavefront6targetE1EEEvSG_,comdat
	.protected	_ZN7rocprim17ROCPRIM_400000_NS6detail17trampoline_kernelINS0_14default_configENS1_35radix_sort_onesweep_config_selectorIslEEZZNS1_29radix_sort_onesweep_iterationIS3_Lb0EPsS7_N6thrust23THRUST_200600_302600_NS10device_ptrIlEESB_jNS0_19identity_decomposerENS1_16block_id_wrapperIjLb0EEEEE10hipError_tT1_PNSt15iterator_traitsISG_E10value_typeET2_T3_PNSH_ISM_E10value_typeET4_T5_PSR_SS_PNS1_23onesweep_lookback_stateEbbT6_jjT7_P12ihipStream_tbENKUlT_T0_SG_SL_E_clIS7_S7_SB_PlEEDaSZ_S10_SG_SL_EUlSZ_E_NS1_11comp_targetILNS1_3genE2ELNS1_11target_archE906ELNS1_3gpuE6ELNS1_3repE0EEENS1_47radix_sort_onesweep_sort_config_static_selectorELNS0_4arch9wavefront6targetE1EEEvSG_ ; -- Begin function _ZN7rocprim17ROCPRIM_400000_NS6detail17trampoline_kernelINS0_14default_configENS1_35radix_sort_onesweep_config_selectorIslEEZZNS1_29radix_sort_onesweep_iterationIS3_Lb0EPsS7_N6thrust23THRUST_200600_302600_NS10device_ptrIlEESB_jNS0_19identity_decomposerENS1_16block_id_wrapperIjLb0EEEEE10hipError_tT1_PNSt15iterator_traitsISG_E10value_typeET2_T3_PNSH_ISM_E10value_typeET4_T5_PSR_SS_PNS1_23onesweep_lookback_stateEbbT6_jjT7_P12ihipStream_tbENKUlT_T0_SG_SL_E_clIS7_S7_SB_PlEEDaSZ_S10_SG_SL_EUlSZ_E_NS1_11comp_targetILNS1_3genE2ELNS1_11target_archE906ELNS1_3gpuE6ELNS1_3repE0EEENS1_47radix_sort_onesweep_sort_config_static_selectorELNS0_4arch9wavefront6targetE1EEEvSG_
	.globl	_ZN7rocprim17ROCPRIM_400000_NS6detail17trampoline_kernelINS0_14default_configENS1_35radix_sort_onesweep_config_selectorIslEEZZNS1_29radix_sort_onesweep_iterationIS3_Lb0EPsS7_N6thrust23THRUST_200600_302600_NS10device_ptrIlEESB_jNS0_19identity_decomposerENS1_16block_id_wrapperIjLb0EEEEE10hipError_tT1_PNSt15iterator_traitsISG_E10value_typeET2_T3_PNSH_ISM_E10value_typeET4_T5_PSR_SS_PNS1_23onesweep_lookback_stateEbbT6_jjT7_P12ihipStream_tbENKUlT_T0_SG_SL_E_clIS7_S7_SB_PlEEDaSZ_S10_SG_SL_EUlSZ_E_NS1_11comp_targetILNS1_3genE2ELNS1_11target_archE906ELNS1_3gpuE6ELNS1_3repE0EEENS1_47radix_sort_onesweep_sort_config_static_selectorELNS0_4arch9wavefront6targetE1EEEvSG_
	.p2align	8
	.type	_ZN7rocprim17ROCPRIM_400000_NS6detail17trampoline_kernelINS0_14default_configENS1_35radix_sort_onesweep_config_selectorIslEEZZNS1_29radix_sort_onesweep_iterationIS3_Lb0EPsS7_N6thrust23THRUST_200600_302600_NS10device_ptrIlEESB_jNS0_19identity_decomposerENS1_16block_id_wrapperIjLb0EEEEE10hipError_tT1_PNSt15iterator_traitsISG_E10value_typeET2_T3_PNSH_ISM_E10value_typeET4_T5_PSR_SS_PNS1_23onesweep_lookback_stateEbbT6_jjT7_P12ihipStream_tbENKUlT_T0_SG_SL_E_clIS7_S7_SB_PlEEDaSZ_S10_SG_SL_EUlSZ_E_NS1_11comp_targetILNS1_3genE2ELNS1_11target_archE906ELNS1_3gpuE6ELNS1_3repE0EEENS1_47radix_sort_onesweep_sort_config_static_selectorELNS0_4arch9wavefront6targetE1EEEvSG_,@function
_ZN7rocprim17ROCPRIM_400000_NS6detail17trampoline_kernelINS0_14default_configENS1_35radix_sort_onesweep_config_selectorIslEEZZNS1_29radix_sort_onesweep_iterationIS3_Lb0EPsS7_N6thrust23THRUST_200600_302600_NS10device_ptrIlEESB_jNS0_19identity_decomposerENS1_16block_id_wrapperIjLb0EEEEE10hipError_tT1_PNSt15iterator_traitsISG_E10value_typeET2_T3_PNSH_ISM_E10value_typeET4_T5_PSR_SS_PNS1_23onesweep_lookback_stateEbbT6_jjT7_P12ihipStream_tbENKUlT_T0_SG_SL_E_clIS7_S7_SB_PlEEDaSZ_S10_SG_SL_EUlSZ_E_NS1_11comp_targetILNS1_3genE2ELNS1_11target_archE906ELNS1_3gpuE6ELNS1_3repE0EEENS1_47radix_sort_onesweep_sort_config_static_selectorELNS0_4arch9wavefront6targetE1EEEvSG_: ; @_ZN7rocprim17ROCPRIM_400000_NS6detail17trampoline_kernelINS0_14default_configENS1_35radix_sort_onesweep_config_selectorIslEEZZNS1_29radix_sort_onesweep_iterationIS3_Lb0EPsS7_N6thrust23THRUST_200600_302600_NS10device_ptrIlEESB_jNS0_19identity_decomposerENS1_16block_id_wrapperIjLb0EEEEE10hipError_tT1_PNSt15iterator_traitsISG_E10value_typeET2_T3_PNSH_ISM_E10value_typeET4_T5_PSR_SS_PNS1_23onesweep_lookback_stateEbbT6_jjT7_P12ihipStream_tbENKUlT_T0_SG_SL_E_clIS7_S7_SB_PlEEDaSZ_S10_SG_SL_EUlSZ_E_NS1_11comp_targetILNS1_3genE2ELNS1_11target_archE906ELNS1_3gpuE6ELNS1_3repE0EEENS1_47radix_sort_onesweep_sort_config_static_selectorELNS0_4arch9wavefront6targetE1EEEvSG_
; %bb.0:
	.section	.rodata,"a",@progbits
	.p2align	6, 0x0
	.amdhsa_kernel _ZN7rocprim17ROCPRIM_400000_NS6detail17trampoline_kernelINS0_14default_configENS1_35radix_sort_onesweep_config_selectorIslEEZZNS1_29radix_sort_onesweep_iterationIS3_Lb0EPsS7_N6thrust23THRUST_200600_302600_NS10device_ptrIlEESB_jNS0_19identity_decomposerENS1_16block_id_wrapperIjLb0EEEEE10hipError_tT1_PNSt15iterator_traitsISG_E10value_typeET2_T3_PNSH_ISM_E10value_typeET4_T5_PSR_SS_PNS1_23onesweep_lookback_stateEbbT6_jjT7_P12ihipStream_tbENKUlT_T0_SG_SL_E_clIS7_S7_SB_PlEEDaSZ_S10_SG_SL_EUlSZ_E_NS1_11comp_targetILNS1_3genE2ELNS1_11target_archE906ELNS1_3gpuE6ELNS1_3repE0EEENS1_47radix_sort_onesweep_sort_config_static_selectorELNS0_4arch9wavefront6targetE1EEEvSG_
		.amdhsa_group_segment_fixed_size 0
		.amdhsa_private_segment_fixed_size 0
		.amdhsa_kernarg_size 88
		.amdhsa_user_sgpr_count 6
		.amdhsa_user_sgpr_private_segment_buffer 1
		.amdhsa_user_sgpr_dispatch_ptr 0
		.amdhsa_user_sgpr_queue_ptr 0
		.amdhsa_user_sgpr_kernarg_segment_ptr 1
		.amdhsa_user_sgpr_dispatch_id 0
		.amdhsa_user_sgpr_flat_scratch_init 0
		.amdhsa_user_sgpr_kernarg_preload_length 0
		.amdhsa_user_sgpr_kernarg_preload_offset 0
		.amdhsa_user_sgpr_private_segment_size 0
		.amdhsa_uses_dynamic_stack 0
		.amdhsa_system_sgpr_private_segment_wavefront_offset 0
		.amdhsa_system_sgpr_workgroup_id_x 1
		.amdhsa_system_sgpr_workgroup_id_y 0
		.amdhsa_system_sgpr_workgroup_id_z 0
		.amdhsa_system_sgpr_workgroup_info 0
		.amdhsa_system_vgpr_workitem_id 0
		.amdhsa_next_free_vgpr 1
		.amdhsa_next_free_sgpr 0
		.amdhsa_accum_offset 4
		.amdhsa_reserve_vcc 0
		.amdhsa_reserve_flat_scratch 0
		.amdhsa_float_round_mode_32 0
		.amdhsa_float_round_mode_16_64 0
		.amdhsa_float_denorm_mode_32 3
		.amdhsa_float_denorm_mode_16_64 3
		.amdhsa_dx10_clamp 1
		.amdhsa_ieee_mode 1
		.amdhsa_fp16_overflow 0
		.amdhsa_tg_split 0
		.amdhsa_exception_fp_ieee_invalid_op 0
		.amdhsa_exception_fp_denorm_src 0
		.amdhsa_exception_fp_ieee_div_zero 0
		.amdhsa_exception_fp_ieee_overflow 0
		.amdhsa_exception_fp_ieee_underflow 0
		.amdhsa_exception_fp_ieee_inexact 0
		.amdhsa_exception_int_div_zero 0
	.end_amdhsa_kernel
	.section	.text._ZN7rocprim17ROCPRIM_400000_NS6detail17trampoline_kernelINS0_14default_configENS1_35radix_sort_onesweep_config_selectorIslEEZZNS1_29radix_sort_onesweep_iterationIS3_Lb0EPsS7_N6thrust23THRUST_200600_302600_NS10device_ptrIlEESB_jNS0_19identity_decomposerENS1_16block_id_wrapperIjLb0EEEEE10hipError_tT1_PNSt15iterator_traitsISG_E10value_typeET2_T3_PNSH_ISM_E10value_typeET4_T5_PSR_SS_PNS1_23onesweep_lookback_stateEbbT6_jjT7_P12ihipStream_tbENKUlT_T0_SG_SL_E_clIS7_S7_SB_PlEEDaSZ_S10_SG_SL_EUlSZ_E_NS1_11comp_targetILNS1_3genE2ELNS1_11target_archE906ELNS1_3gpuE6ELNS1_3repE0EEENS1_47radix_sort_onesweep_sort_config_static_selectorELNS0_4arch9wavefront6targetE1EEEvSG_,"axG",@progbits,_ZN7rocprim17ROCPRIM_400000_NS6detail17trampoline_kernelINS0_14default_configENS1_35radix_sort_onesweep_config_selectorIslEEZZNS1_29radix_sort_onesweep_iterationIS3_Lb0EPsS7_N6thrust23THRUST_200600_302600_NS10device_ptrIlEESB_jNS0_19identity_decomposerENS1_16block_id_wrapperIjLb0EEEEE10hipError_tT1_PNSt15iterator_traitsISG_E10value_typeET2_T3_PNSH_ISM_E10value_typeET4_T5_PSR_SS_PNS1_23onesweep_lookback_stateEbbT6_jjT7_P12ihipStream_tbENKUlT_T0_SG_SL_E_clIS7_S7_SB_PlEEDaSZ_S10_SG_SL_EUlSZ_E_NS1_11comp_targetILNS1_3genE2ELNS1_11target_archE906ELNS1_3gpuE6ELNS1_3repE0EEENS1_47radix_sort_onesweep_sort_config_static_selectorELNS0_4arch9wavefront6targetE1EEEvSG_,comdat
.Lfunc_end1437:
	.size	_ZN7rocprim17ROCPRIM_400000_NS6detail17trampoline_kernelINS0_14default_configENS1_35radix_sort_onesweep_config_selectorIslEEZZNS1_29radix_sort_onesweep_iterationIS3_Lb0EPsS7_N6thrust23THRUST_200600_302600_NS10device_ptrIlEESB_jNS0_19identity_decomposerENS1_16block_id_wrapperIjLb0EEEEE10hipError_tT1_PNSt15iterator_traitsISG_E10value_typeET2_T3_PNSH_ISM_E10value_typeET4_T5_PSR_SS_PNS1_23onesweep_lookback_stateEbbT6_jjT7_P12ihipStream_tbENKUlT_T0_SG_SL_E_clIS7_S7_SB_PlEEDaSZ_S10_SG_SL_EUlSZ_E_NS1_11comp_targetILNS1_3genE2ELNS1_11target_archE906ELNS1_3gpuE6ELNS1_3repE0EEENS1_47radix_sort_onesweep_sort_config_static_selectorELNS0_4arch9wavefront6targetE1EEEvSG_, .Lfunc_end1437-_ZN7rocprim17ROCPRIM_400000_NS6detail17trampoline_kernelINS0_14default_configENS1_35radix_sort_onesweep_config_selectorIslEEZZNS1_29radix_sort_onesweep_iterationIS3_Lb0EPsS7_N6thrust23THRUST_200600_302600_NS10device_ptrIlEESB_jNS0_19identity_decomposerENS1_16block_id_wrapperIjLb0EEEEE10hipError_tT1_PNSt15iterator_traitsISG_E10value_typeET2_T3_PNSH_ISM_E10value_typeET4_T5_PSR_SS_PNS1_23onesweep_lookback_stateEbbT6_jjT7_P12ihipStream_tbENKUlT_T0_SG_SL_E_clIS7_S7_SB_PlEEDaSZ_S10_SG_SL_EUlSZ_E_NS1_11comp_targetILNS1_3genE2ELNS1_11target_archE906ELNS1_3gpuE6ELNS1_3repE0EEENS1_47radix_sort_onesweep_sort_config_static_selectorELNS0_4arch9wavefront6targetE1EEEvSG_
                                        ; -- End function
	.section	.AMDGPU.csdata,"",@progbits
; Kernel info:
; codeLenInByte = 0
; NumSgprs: 4
; NumVgprs: 0
; NumAgprs: 0
; TotalNumVgprs: 0
; ScratchSize: 0
; MemoryBound: 0
; FloatMode: 240
; IeeeMode: 1
; LDSByteSize: 0 bytes/workgroup (compile time only)
; SGPRBlocks: 0
; VGPRBlocks: 0
; NumSGPRsForWavesPerEU: 4
; NumVGPRsForWavesPerEU: 1
; AccumOffset: 4
; Occupancy: 8
; WaveLimiterHint : 0
; COMPUTE_PGM_RSRC2:SCRATCH_EN: 0
; COMPUTE_PGM_RSRC2:USER_SGPR: 6
; COMPUTE_PGM_RSRC2:TRAP_HANDLER: 0
; COMPUTE_PGM_RSRC2:TGID_X_EN: 1
; COMPUTE_PGM_RSRC2:TGID_Y_EN: 0
; COMPUTE_PGM_RSRC2:TGID_Z_EN: 0
; COMPUTE_PGM_RSRC2:TIDIG_COMP_CNT: 0
; COMPUTE_PGM_RSRC3_GFX90A:ACCUM_OFFSET: 0
; COMPUTE_PGM_RSRC3_GFX90A:TG_SPLIT: 0
	.section	.text._ZN7rocprim17ROCPRIM_400000_NS6detail17trampoline_kernelINS0_14default_configENS1_35radix_sort_onesweep_config_selectorIslEEZZNS1_29radix_sort_onesweep_iterationIS3_Lb0EPsS7_N6thrust23THRUST_200600_302600_NS10device_ptrIlEESB_jNS0_19identity_decomposerENS1_16block_id_wrapperIjLb0EEEEE10hipError_tT1_PNSt15iterator_traitsISG_E10value_typeET2_T3_PNSH_ISM_E10value_typeET4_T5_PSR_SS_PNS1_23onesweep_lookback_stateEbbT6_jjT7_P12ihipStream_tbENKUlT_T0_SG_SL_E_clIS7_S7_SB_PlEEDaSZ_S10_SG_SL_EUlSZ_E_NS1_11comp_targetILNS1_3genE4ELNS1_11target_archE910ELNS1_3gpuE8ELNS1_3repE0EEENS1_47radix_sort_onesweep_sort_config_static_selectorELNS0_4arch9wavefront6targetE1EEEvSG_,"axG",@progbits,_ZN7rocprim17ROCPRIM_400000_NS6detail17trampoline_kernelINS0_14default_configENS1_35radix_sort_onesweep_config_selectorIslEEZZNS1_29radix_sort_onesweep_iterationIS3_Lb0EPsS7_N6thrust23THRUST_200600_302600_NS10device_ptrIlEESB_jNS0_19identity_decomposerENS1_16block_id_wrapperIjLb0EEEEE10hipError_tT1_PNSt15iterator_traitsISG_E10value_typeET2_T3_PNSH_ISM_E10value_typeET4_T5_PSR_SS_PNS1_23onesweep_lookback_stateEbbT6_jjT7_P12ihipStream_tbENKUlT_T0_SG_SL_E_clIS7_S7_SB_PlEEDaSZ_S10_SG_SL_EUlSZ_E_NS1_11comp_targetILNS1_3genE4ELNS1_11target_archE910ELNS1_3gpuE8ELNS1_3repE0EEENS1_47radix_sort_onesweep_sort_config_static_selectorELNS0_4arch9wavefront6targetE1EEEvSG_,comdat
	.protected	_ZN7rocprim17ROCPRIM_400000_NS6detail17trampoline_kernelINS0_14default_configENS1_35radix_sort_onesweep_config_selectorIslEEZZNS1_29radix_sort_onesweep_iterationIS3_Lb0EPsS7_N6thrust23THRUST_200600_302600_NS10device_ptrIlEESB_jNS0_19identity_decomposerENS1_16block_id_wrapperIjLb0EEEEE10hipError_tT1_PNSt15iterator_traitsISG_E10value_typeET2_T3_PNSH_ISM_E10value_typeET4_T5_PSR_SS_PNS1_23onesweep_lookback_stateEbbT6_jjT7_P12ihipStream_tbENKUlT_T0_SG_SL_E_clIS7_S7_SB_PlEEDaSZ_S10_SG_SL_EUlSZ_E_NS1_11comp_targetILNS1_3genE4ELNS1_11target_archE910ELNS1_3gpuE8ELNS1_3repE0EEENS1_47radix_sort_onesweep_sort_config_static_selectorELNS0_4arch9wavefront6targetE1EEEvSG_ ; -- Begin function _ZN7rocprim17ROCPRIM_400000_NS6detail17trampoline_kernelINS0_14default_configENS1_35radix_sort_onesweep_config_selectorIslEEZZNS1_29radix_sort_onesweep_iterationIS3_Lb0EPsS7_N6thrust23THRUST_200600_302600_NS10device_ptrIlEESB_jNS0_19identity_decomposerENS1_16block_id_wrapperIjLb0EEEEE10hipError_tT1_PNSt15iterator_traitsISG_E10value_typeET2_T3_PNSH_ISM_E10value_typeET4_T5_PSR_SS_PNS1_23onesweep_lookback_stateEbbT6_jjT7_P12ihipStream_tbENKUlT_T0_SG_SL_E_clIS7_S7_SB_PlEEDaSZ_S10_SG_SL_EUlSZ_E_NS1_11comp_targetILNS1_3genE4ELNS1_11target_archE910ELNS1_3gpuE8ELNS1_3repE0EEENS1_47radix_sort_onesweep_sort_config_static_selectorELNS0_4arch9wavefront6targetE1EEEvSG_
	.globl	_ZN7rocprim17ROCPRIM_400000_NS6detail17trampoline_kernelINS0_14default_configENS1_35radix_sort_onesweep_config_selectorIslEEZZNS1_29radix_sort_onesweep_iterationIS3_Lb0EPsS7_N6thrust23THRUST_200600_302600_NS10device_ptrIlEESB_jNS0_19identity_decomposerENS1_16block_id_wrapperIjLb0EEEEE10hipError_tT1_PNSt15iterator_traitsISG_E10value_typeET2_T3_PNSH_ISM_E10value_typeET4_T5_PSR_SS_PNS1_23onesweep_lookback_stateEbbT6_jjT7_P12ihipStream_tbENKUlT_T0_SG_SL_E_clIS7_S7_SB_PlEEDaSZ_S10_SG_SL_EUlSZ_E_NS1_11comp_targetILNS1_3genE4ELNS1_11target_archE910ELNS1_3gpuE8ELNS1_3repE0EEENS1_47radix_sort_onesweep_sort_config_static_selectorELNS0_4arch9wavefront6targetE1EEEvSG_
	.p2align	8
	.type	_ZN7rocprim17ROCPRIM_400000_NS6detail17trampoline_kernelINS0_14default_configENS1_35radix_sort_onesweep_config_selectorIslEEZZNS1_29radix_sort_onesweep_iterationIS3_Lb0EPsS7_N6thrust23THRUST_200600_302600_NS10device_ptrIlEESB_jNS0_19identity_decomposerENS1_16block_id_wrapperIjLb0EEEEE10hipError_tT1_PNSt15iterator_traitsISG_E10value_typeET2_T3_PNSH_ISM_E10value_typeET4_T5_PSR_SS_PNS1_23onesweep_lookback_stateEbbT6_jjT7_P12ihipStream_tbENKUlT_T0_SG_SL_E_clIS7_S7_SB_PlEEDaSZ_S10_SG_SL_EUlSZ_E_NS1_11comp_targetILNS1_3genE4ELNS1_11target_archE910ELNS1_3gpuE8ELNS1_3repE0EEENS1_47radix_sort_onesweep_sort_config_static_selectorELNS0_4arch9wavefront6targetE1EEEvSG_,@function
_ZN7rocprim17ROCPRIM_400000_NS6detail17trampoline_kernelINS0_14default_configENS1_35radix_sort_onesweep_config_selectorIslEEZZNS1_29radix_sort_onesweep_iterationIS3_Lb0EPsS7_N6thrust23THRUST_200600_302600_NS10device_ptrIlEESB_jNS0_19identity_decomposerENS1_16block_id_wrapperIjLb0EEEEE10hipError_tT1_PNSt15iterator_traitsISG_E10value_typeET2_T3_PNSH_ISM_E10value_typeET4_T5_PSR_SS_PNS1_23onesweep_lookback_stateEbbT6_jjT7_P12ihipStream_tbENKUlT_T0_SG_SL_E_clIS7_S7_SB_PlEEDaSZ_S10_SG_SL_EUlSZ_E_NS1_11comp_targetILNS1_3genE4ELNS1_11target_archE910ELNS1_3gpuE8ELNS1_3repE0EEENS1_47radix_sort_onesweep_sort_config_static_selectorELNS0_4arch9wavefront6targetE1EEEvSG_: ; @_ZN7rocprim17ROCPRIM_400000_NS6detail17trampoline_kernelINS0_14default_configENS1_35radix_sort_onesweep_config_selectorIslEEZZNS1_29radix_sort_onesweep_iterationIS3_Lb0EPsS7_N6thrust23THRUST_200600_302600_NS10device_ptrIlEESB_jNS0_19identity_decomposerENS1_16block_id_wrapperIjLb0EEEEE10hipError_tT1_PNSt15iterator_traitsISG_E10value_typeET2_T3_PNSH_ISM_E10value_typeET4_T5_PSR_SS_PNS1_23onesweep_lookback_stateEbbT6_jjT7_P12ihipStream_tbENKUlT_T0_SG_SL_E_clIS7_S7_SB_PlEEDaSZ_S10_SG_SL_EUlSZ_E_NS1_11comp_targetILNS1_3genE4ELNS1_11target_archE910ELNS1_3gpuE8ELNS1_3repE0EEENS1_47radix_sort_onesweep_sort_config_static_selectorELNS0_4arch9wavefront6targetE1EEEvSG_
; %bb.0:
	s_load_dwordx8 s[36:43], s[4:5], 0x0
	s_load_dwordx4 s[44:47], s[4:5], 0x44
	s_load_dwordx4 s[28:31], s[4:5], 0x28
	s_load_dwordx2 s[34:35], s[4:5], 0x38
	v_mbcnt_lo_u32_b32 v1, -1, 0
	s_waitcnt lgkmcnt(0)
	s_cmp_ge_u32 s6, s46
	s_cbranch_scc0 .LBB1438_84
; %bb.1:
	s_load_dword s0, s[4:5], 0x20
	s_lshl_b32 s1, s46, 13
	s_lshl_b32 s46, s6, 13
	s_mov_b32 s47, 0
	v_mbcnt_hi_u32_b32 v14, -1, v1
	s_waitcnt lgkmcnt(0)
	s_sub_i32 s7, s0, s1
	s_lshl_b64 s[0:1], s[46:47], 1
	v_and_b32_e32 v10, 0x3ff, v0
	s_add_u32 s0, s36, s0
	v_and_b32_e32 v13, 63, v14
	s_addc_u32 s1, s37, s1
	v_lshlrev_b32_e32 v11, 3, v10
	v_lshlrev_b32_e32 v2, 1, v13
	v_and_b32_e32 v12, 0x1e00, v11
	v_mov_b32_e32 v3, s1
	v_add_co_u32_e32 v2, vcc, s0, v2
	v_addc_co_u32_e32 v3, vcc, 0, v3, vcc
	v_lshlrev_b32_e32 v4, 1, v12
	s_mov_b32 s0, 0x7fff7fff
	v_add_co_u32_e32 v6, vcc, v2, v4
	s_mov_b32 s2, s0
	s_mov_b32 s3, s0
	v_addc_co_u32_e32 v7, vcc, 0, v3, vcc
	v_or_b32_e32 v8, v13, v12
	s_mov_b32 s1, s0
	v_pk_mov_b32 v[4:5], s[2:3], s[2:3] op_sel:[0,1]
	v_cmp_gt_u32_e32 vcc, s7, v8
	v_pk_mov_b32 v[2:3], s[0:1], s[0:1] op_sel:[0,1]
	s_and_saveexec_b64 s[0:1], vcc
	s_cbranch_execz .LBB1438_3
; %bb.2:
	global_load_ushort v2, v[6:7], off
	s_movk_i32 s2, 0x7fff
	v_mov_b32_e32 v5, 0x5040100
	v_mov_b32_e32 v3, 0x7fff7fff
	;; [unrolled: 1-line block ×3, first 2 shown]
	s_waitcnt vmcnt(0)
	v_perm_b32 v2, s2, v2, v5
	v_mov_b32_e32 v5, v3
.LBB1438_3:
	s_or_b64 exec, exec, s[0:1]
	v_or_b32_e32 v9, 64, v8
	v_cmp_gt_u32_e64 s[0:1], s7, v9
	s_and_saveexec_b64 s[2:3], s[0:1]
	s_cbranch_execz .LBB1438_5
; %bb.4:
	global_load_ushort v9, v[6:7], off offset:128
	s_mov_b32 s8, 0x5040100
	s_waitcnt vmcnt(0)
	v_perm_b32 v2, v9, v2, s8
.LBB1438_5:
	s_or_b64 exec, exec, s[2:3]
	v_or_b32_e32 v9, 0x80, v8
	v_cmp_gt_u32_e64 s[2:3], s7, v9
	s_and_saveexec_b64 s[8:9], s[2:3]
	s_cbranch_execz .LBB1438_7
; %bb.6:
	global_load_ushort v9, v[6:7], off offset:256
	s_mov_b32 s10, 0xffff
	s_waitcnt vmcnt(0)
	v_bfi_b32 v3, s10, v9, v3
.LBB1438_7:
	s_or_b64 exec, exec, s[8:9]
	v_or_b32_e32 v9, 0xc0, v8
	v_cmp_gt_u32_e64 s[24:25], s7, v9
	s_and_saveexec_b64 s[8:9], s[24:25]
	s_cbranch_execz .LBB1438_9
; %bb.8:
	global_load_ushort v9, v[6:7], off offset:384
	s_mov_b32 s10, 0x5040100
	s_waitcnt vmcnt(0)
	v_perm_b32 v3, v9, v3, s10
.LBB1438_9:
	s_or_b64 exec, exec, s[8:9]
	v_or_b32_e32 v9, 0x100, v8
	v_cmp_gt_u32_e64 s[8:9], s7, v9
	s_and_saveexec_b64 s[10:11], s[8:9]
	s_cbranch_execz .LBB1438_11
; %bb.10:
	global_load_ushort v9, v[6:7], off offset:512
	s_mov_b32 s12, 0xffff
	s_waitcnt vmcnt(0)
	v_bfi_b32 v4, s12, v9, v4
.LBB1438_11:
	;; [unrolled: 22-line block ×3, first 2 shown]
	s_or_b64 exec, exec, s[14:15]
	v_or_b32_e32 v8, 0x1c0, v8
	v_cmp_gt_u32_e64 s[14:15], s7, v8
	s_and_saveexec_b64 s[16:17], s[14:15]
	s_cbranch_execz .LBB1438_17
; %bb.16:
	global_load_ushort v6, v[6:7], off offset:896
	s_mov_b32 s18, 0x5040100
	s_waitcnt vmcnt(0)
	v_perm_b32 v5, v6, v5, s18
.LBB1438_17:
	s_or_b64 exec, exec, s[16:17]
	s_load_dword s16, s[4:5], 0x64
	s_load_dword s33, s[4:5], 0x58
	s_add_u32 s17, s4, 0x58
	s_addc_u32 s18, s5, 0
	v_mov_b32_e32 v6, 0
	s_waitcnt lgkmcnt(0)
	s_lshr_b32 s19, s16, 16
	s_cmp_lt_u32 s6, s33
	s_cselect_b32 s16, 12, 18
	s_add_u32 s16, s17, s16
	s_addc_u32 s17, s18, 0
	global_load_ushort v8, v6, s[16:17]
	v_xor_b32_e32 v15, 0xffff8000, v2
	s_lshl_b32 s16, -1, s45
	v_lshrrev_b32_sdwa v17, s44, v15 dst_sel:DWORD dst_unused:UNUSED_PAD src0_sel:DWORD src1_sel:WORD_0
	s_not_b32 s50, s16
	v_and_b32_e32 v17, s50, v17
	v_and_b32_e32 v19, 1, v17
	v_bfe_u32 v7, v0, 10, 10
	v_bfe_u32 v9, v0, 20, 10
	v_add_co_u32_e64 v20, s[16:17], -1, v19
	v_mad_u32_u24 v9, v9, s19, v7
	v_lshlrev_b32_e32 v7, 30, v17
	v_addc_co_u32_e64 v21, s[16:17], 0, -1, s[16:17]
	v_cmp_ne_u32_e64 s[16:17], 0, v19
	v_cmp_gt_i64_e64 s[18:19], 0, v[6:7]
	v_not_b32_e32 v19, v7
	v_lshlrev_b32_e32 v7, 29, v17
	v_xor_b32_e32 v21, s17, v21
	v_xor_b32_e32 v20, s16, v20
	v_ashrrev_i32_e32 v19, 31, v19
	v_cmp_gt_i64_e64 s[16:17], 0, v[6:7]
	v_not_b32_e32 v22, v7
	v_lshlrev_b32_e32 v7, 28, v17
	v_and_b32_e32 v21, exec_hi, v21
	v_and_b32_e32 v20, exec_lo, v20
	v_xor_b32_e32 v23, s19, v19
	v_xor_b32_e32 v19, s18, v19
	v_ashrrev_i32_e32 v22, 31, v22
	v_cmp_gt_i64_e64 s[18:19], 0, v[6:7]
	v_not_b32_e32 v24, v7
	v_lshlrev_b32_e32 v7, 27, v17
	v_and_b32_e32 v21, v21, v23
	v_and_b32_e32 v19, v20, v19
	v_xor_b32_e32 v20, s17, v22
	v_xor_b32_e32 v22, s16, v22
	v_ashrrev_i32_e32 v23, 31, v24
	v_cmp_gt_i64_e64 s[16:17], 0, v[6:7]
	v_not_b32_e32 v24, v7
	v_lshlrev_b32_e32 v7, 26, v17
	v_and_b32_e32 v20, v21, v20
	v_and_b32_e32 v19, v19, v22
	;; [unrolled: 8-line block ×3, first 2 shown]
	v_xor_b32_e32 v21, s17, v23
	v_xor_b32_e32 v22, s16, v23
	v_ashrrev_i32_e32 v23, 31, v24
	v_cmp_gt_i64_e64 s[16:17], 0, v[6:7]
	v_not_b32_e32 v24, v7
	v_lshlrev_b32_e32 v7, 24, v17
	v_mul_u32_u24_e32 v18, 17, v17
	v_and_b32_e32 v17, v20, v21
	v_and_b32_e32 v19, v19, v22
	v_xor_b32_e32 v20, s19, v23
	v_xor_b32_e32 v21, s18, v23
	v_ashrrev_i32_e32 v22, 31, v24
	v_cmp_gt_i64_e64 s[18:19], 0, v[6:7]
	v_not_b32_e32 v7, v7
	v_and_b32_e32 v17, v17, v20
	v_and_b32_e32 v19, v19, v21
	v_xor_b32_e32 v20, s17, v22
	v_xor_b32_e32 v21, s16, v22
	v_ashrrev_i32_e32 v7, 31, v7
	v_and_b32_e32 v17, v17, v20
	v_and_b32_e32 v20, v19, v21
	v_mul_u32_u24_e32 v16, 5, v10
	s_movk_i32 s20, 0x8000
	v_lshlrev_b32_e32 v16, 2, v16
	ds_write2_b32 v16, v6, v6 offset0:16 offset1:17
	ds_write2_b32 v16, v6, v6 offset0:18 offset1:19
	ds_write_b32 v16, v6 offset:80
	s_waitcnt lgkmcnt(0)
	s_barrier
	s_waitcnt vmcnt(0)
	v_mad_u64_u32 v[8:9], s[16:17], v9, v8, v[10:11]
	v_lshrrev_b32_e32 v23, 6, v8
	v_xor_b32_e32 v8, s19, v7
	v_xor_b32_e32 v7, s18, v7
	v_and_b32_e32 v9, v17, v8
	v_and_b32_e32 v8, v20, v7
	v_mbcnt_lo_u32_b32 v7, v8, 0
	v_mbcnt_hi_u32_b32 v17, v9, v7
	v_cmp_eq_u32_e64 s[16:17], 0, v17
	v_cmp_ne_u64_e64 s[18:19], 0, v[8:9]
	v_add_lshl_u32 v19, v23, v18, 2
	s_and_b64 s[18:19], s[18:19], s[16:17]
	; wave barrier
	s_and_saveexec_b64 s[16:17], s[18:19]
	s_cbranch_execz .LBB1438_19
; %bb.18:
	v_bcnt_u32_b32 v7, v8, 0
	v_bcnt_u32_b32 v7, v9, v7
	ds_write_b32 v19, v7 offset:64
.LBB1438_19:
	s_or_b64 exec, exec, s[16:17]
	v_xor_b32_sdwa v18, v2, s20 dst_sel:DWORD dst_unused:UNUSED_PAD src0_sel:WORD_1 src1_sel:DWORD
	v_lshrrev_b32_sdwa v2, s44, v18 dst_sel:DWORD dst_unused:UNUSED_PAD src0_sel:DWORD src1_sel:WORD_0
	v_and_b32_e32 v2, s50, v2
	v_mul_u32_u24_e32 v7, 17, v2
	v_add_lshl_u32 v20, v23, v7, 2
	v_and_b32_e32 v7, 1, v2
	v_add_co_u32_e64 v8, s[16:17], -1, v7
	v_addc_co_u32_e64 v9, s[16:17], 0, -1, s[16:17]
	v_cmp_ne_u32_e64 s[16:17], 0, v7
	v_xor_b32_e32 v7, s17, v9
	v_and_b32_e32 v9, exec_hi, v7
	v_lshlrev_b32_e32 v7, 30, v2
	v_xor_b32_e32 v8, s16, v8
	v_cmp_gt_i64_e64 s[16:17], 0, v[6:7]
	v_not_b32_e32 v7, v7
	v_ashrrev_i32_e32 v7, 31, v7
	v_and_b32_e32 v8, exec_lo, v8
	v_xor_b32_e32 v21, s17, v7
	v_xor_b32_e32 v7, s16, v7
	v_and_b32_e32 v8, v8, v7
	v_lshlrev_b32_e32 v7, 29, v2
	v_cmp_gt_i64_e64 s[16:17], 0, v[6:7]
	v_not_b32_e32 v7, v7
	v_ashrrev_i32_e32 v7, 31, v7
	v_and_b32_e32 v9, v9, v21
	v_xor_b32_e32 v21, s17, v7
	v_xor_b32_e32 v7, s16, v7
	v_and_b32_e32 v8, v8, v7
	v_lshlrev_b32_e32 v7, 28, v2
	v_cmp_gt_i64_e64 s[16:17], 0, v[6:7]
	v_not_b32_e32 v7, v7
	v_ashrrev_i32_e32 v7, 31, v7
	v_and_b32_e32 v9, v9, v21
	;; [unrolled: 8-line block ×5, first 2 shown]
	v_xor_b32_e32 v21, s17, v7
	v_xor_b32_e32 v7, s16, v7
	v_and_b32_e32 v8, v8, v7
	v_lshlrev_b32_e32 v7, 24, v2
	v_not_b32_e32 v2, v7
	v_cmp_gt_i64_e64 s[16:17], 0, v[6:7]
	v_ashrrev_i32_e32 v2, 31, v2
	v_and_b32_e32 v9, v9, v21
	v_xor_b32_e32 v6, s17, v2
	v_xor_b32_e32 v2, s16, v2
	; wave barrier
	ds_read_b32 v30, v20 offset:64
	v_and_b32_e32 v7, v9, v6
	v_and_b32_e32 v6, v8, v2
	v_mbcnt_lo_u32_b32 v2, v6, 0
	v_mbcnt_hi_u32_b32 v31, v7, v2
	v_cmp_eq_u32_e64 s[16:17], 0, v31
	v_cmp_ne_u64_e64 s[18:19], 0, v[6:7]
	s_and_b64 s[18:19], s[18:19], s[16:17]
	; wave barrier
	s_and_saveexec_b64 s[16:17], s[18:19]
	s_cbranch_execz .LBB1438_21
; %bb.20:
	v_bcnt_u32_b32 v2, v6, 0
	v_bcnt_u32_b32 v2, v7, v2
	s_waitcnt lgkmcnt(0)
	v_add_u32_e32 v2, v30, v2
	ds_write_b32 v20, v2 offset:64
.LBB1438_21:
	s_or_b64 exec, exec, s[16:17]
	v_xor_b32_e32 v21, 0xffff8000, v3
	v_lshrrev_b32_sdwa v2, s44, v21 dst_sel:DWORD dst_unused:UNUSED_PAD src0_sel:DWORD src1_sel:WORD_0
	v_and_b32_e32 v2, s50, v2
	v_and_b32_e32 v7, 1, v2
	v_add_co_u32_e64 v8, s[16:17], -1, v7
	v_addc_co_u32_e64 v9, s[16:17], 0, -1, s[16:17]
	v_cmp_ne_u32_e64 s[16:17], 0, v7
	v_mul_u32_u24_e32 v6, 17, v2
	v_xor_b32_e32 v7, s17, v9
	v_add_lshl_u32 v22, v23, v6, 2
	v_mov_b32_e32 v6, 0
	v_and_b32_e32 v9, exec_hi, v7
	v_lshlrev_b32_e32 v7, 30, v2
	v_xor_b32_e32 v8, s16, v8
	v_cmp_gt_i64_e64 s[16:17], 0, v[6:7]
	v_not_b32_e32 v7, v7
	v_ashrrev_i32_e32 v7, 31, v7
	v_and_b32_e32 v8, exec_lo, v8
	v_xor_b32_e32 v24, s17, v7
	v_xor_b32_e32 v7, s16, v7
	v_and_b32_e32 v8, v8, v7
	v_lshlrev_b32_e32 v7, 29, v2
	v_cmp_gt_i64_e64 s[16:17], 0, v[6:7]
	v_not_b32_e32 v7, v7
	v_ashrrev_i32_e32 v7, 31, v7
	v_and_b32_e32 v9, v9, v24
	v_xor_b32_e32 v24, s17, v7
	v_xor_b32_e32 v7, s16, v7
	v_and_b32_e32 v8, v8, v7
	v_lshlrev_b32_e32 v7, 28, v2
	v_cmp_gt_i64_e64 s[16:17], 0, v[6:7]
	v_not_b32_e32 v7, v7
	v_ashrrev_i32_e32 v7, 31, v7
	v_and_b32_e32 v9, v9, v24
	;; [unrolled: 8-line block ×5, first 2 shown]
	v_xor_b32_e32 v24, s17, v7
	v_xor_b32_e32 v7, s16, v7
	v_and_b32_e32 v8, v8, v7
	v_lshlrev_b32_e32 v7, 24, v2
	v_not_b32_e32 v2, v7
	v_cmp_gt_i64_e64 s[16:17], 0, v[6:7]
	v_ashrrev_i32_e32 v2, 31, v2
	v_xor_b32_e32 v7, s17, v2
	v_xor_b32_e32 v2, s16, v2
	; wave barrier
	ds_read_b32 v32, v22 offset:64
	v_and_b32_e32 v9, v9, v24
	v_and_b32_e32 v8, v8, v2
	;; [unrolled: 1-line block ×3, first 2 shown]
	v_mbcnt_lo_u32_b32 v2, v8, 0
	v_mbcnt_hi_u32_b32 v33, v9, v2
	v_cmp_eq_u32_e64 s[16:17], 0, v33
	v_cmp_ne_u64_e64 s[18:19], 0, v[8:9]
	s_and_b64 s[18:19], s[18:19], s[16:17]
	; wave barrier
	s_and_saveexec_b64 s[16:17], s[18:19]
	s_cbranch_execz .LBB1438_23
; %bb.22:
	v_bcnt_u32_b32 v2, v8, 0
	v_bcnt_u32_b32 v2, v9, v2
	s_waitcnt lgkmcnt(0)
	v_add_u32_e32 v2, v32, v2
	ds_write_b32 v22, v2 offset:64
.LBB1438_23:
	s_or_b64 exec, exec, s[16:17]
	v_xor_b32_sdwa v8, v3, s20 dst_sel:DWORD dst_unused:UNUSED_PAD src0_sel:WORD_1 src1_sel:DWORD
	v_lshrrev_b32_sdwa v2, s44, v8 dst_sel:DWORD dst_unused:UNUSED_PAD src0_sel:DWORD src1_sel:WORD_0
	v_and_b32_e32 v2, s50, v2
	v_mul_u32_u24_e32 v3, 17, v2
	v_add_lshl_u32 v9, v23, v3, 2
	v_and_b32_e32 v3, 1, v2
	v_add_co_u32_e64 v7, s[16:17], -1, v3
	v_addc_co_u32_e64 v24, s[16:17], 0, -1, s[16:17]
	v_cmp_ne_u32_e64 s[16:17], 0, v3
	v_xor_b32_e32 v7, s16, v7
	v_xor_b32_e32 v3, s17, v24
	v_and_b32_e32 v24, exec_lo, v7
	v_lshlrev_b32_e32 v7, 30, v2
	v_cmp_gt_i64_e64 s[16:17], 0, v[6:7]
	v_not_b32_e32 v7, v7
	v_ashrrev_i32_e32 v7, 31, v7
	v_xor_b32_e32 v25, s17, v7
	v_xor_b32_e32 v7, s16, v7
	v_and_b32_e32 v24, v24, v7
	v_lshlrev_b32_e32 v7, 29, v2
	v_cmp_gt_i64_e64 s[16:17], 0, v[6:7]
	v_not_b32_e32 v7, v7
	v_and_b32_e32 v3, exec_hi, v3
	v_ashrrev_i32_e32 v7, 31, v7
	v_and_b32_e32 v3, v3, v25
	v_xor_b32_e32 v25, s17, v7
	v_xor_b32_e32 v7, s16, v7
	v_and_b32_e32 v24, v24, v7
	v_lshlrev_b32_e32 v7, 28, v2
	v_cmp_gt_i64_e64 s[16:17], 0, v[6:7]
	v_not_b32_e32 v7, v7
	v_ashrrev_i32_e32 v7, 31, v7
	v_and_b32_e32 v3, v3, v25
	v_xor_b32_e32 v25, s17, v7
	v_xor_b32_e32 v7, s16, v7
	v_and_b32_e32 v24, v24, v7
	v_lshlrev_b32_e32 v7, 27, v2
	v_cmp_gt_i64_e64 s[16:17], 0, v[6:7]
	v_not_b32_e32 v7, v7
	;; [unrolled: 8-line block ×4, first 2 shown]
	v_ashrrev_i32_e32 v7, 31, v7
	v_and_b32_e32 v3, v3, v25
	v_xor_b32_e32 v25, s17, v7
	v_xor_b32_e32 v7, s16, v7
	v_and_b32_e32 v24, v24, v7
	v_lshlrev_b32_e32 v7, 24, v2
	v_not_b32_e32 v2, v7
	v_cmp_gt_i64_e64 s[16:17], 0, v[6:7]
	v_ashrrev_i32_e32 v2, 31, v2
	v_xor_b32_e32 v6, s17, v2
	v_xor_b32_e32 v2, s16, v2
	; wave barrier
	ds_read_b32 v34, v9 offset:64
	v_and_b32_e32 v3, v3, v25
	v_and_b32_e32 v2, v24, v2
	;; [unrolled: 1-line block ×3, first 2 shown]
	v_mbcnt_lo_u32_b32 v6, v2, 0
	v_mbcnt_hi_u32_b32 v35, v3, v6
	v_cmp_eq_u32_e64 s[16:17], 0, v35
	v_cmp_ne_u64_e64 s[18:19], 0, v[2:3]
	s_and_b64 s[18:19], s[18:19], s[16:17]
	; wave barrier
	s_and_saveexec_b64 s[16:17], s[18:19]
	s_cbranch_execz .LBB1438_25
; %bb.24:
	v_bcnt_u32_b32 v2, v2, 0
	v_bcnt_u32_b32 v2, v3, v2
	s_waitcnt lgkmcnt(0)
	v_add_u32_e32 v2, v34, v2
	ds_write_b32 v9, v2 offset:64
.LBB1438_25:
	s_or_b64 exec, exec, s[16:17]
	v_xor_b32_e32 v24, 0xffff8000, v4
	v_lshrrev_b32_sdwa v2, s44, v24 dst_sel:DWORD dst_unused:UNUSED_PAD src0_sel:DWORD src1_sel:WORD_0
	v_and_b32_e32 v6, s50, v2
	v_and_b32_e32 v3, 1, v6
	v_add_co_u32_e64 v7, s[16:17], -1, v3
	v_addc_co_u32_e64 v26, s[16:17], 0, -1, s[16:17]
	v_cmp_ne_u32_e64 s[16:17], 0, v3
	v_mul_u32_u24_e32 v2, 17, v6
	v_xor_b32_e32 v3, s17, v26
	v_add_lshl_u32 v25, v23, v2, 2
	v_mov_b32_e32 v2, 0
	v_and_b32_e32 v26, exec_hi, v3
	v_lshlrev_b32_e32 v3, 30, v6
	v_xor_b32_e32 v7, s16, v7
	v_cmp_gt_i64_e64 s[16:17], 0, v[2:3]
	v_not_b32_e32 v3, v3
	v_ashrrev_i32_e32 v3, 31, v3
	v_and_b32_e32 v7, exec_lo, v7
	v_xor_b32_e32 v27, s17, v3
	v_xor_b32_e32 v3, s16, v3
	v_and_b32_e32 v7, v7, v3
	v_lshlrev_b32_e32 v3, 29, v6
	v_cmp_gt_i64_e64 s[16:17], 0, v[2:3]
	v_not_b32_e32 v3, v3
	v_ashrrev_i32_e32 v3, 31, v3
	v_and_b32_e32 v26, v26, v27
	v_xor_b32_e32 v27, s17, v3
	v_xor_b32_e32 v3, s16, v3
	v_and_b32_e32 v7, v7, v3
	v_lshlrev_b32_e32 v3, 28, v6
	v_cmp_gt_i64_e64 s[16:17], 0, v[2:3]
	v_not_b32_e32 v3, v3
	v_ashrrev_i32_e32 v3, 31, v3
	v_and_b32_e32 v26, v26, v27
	;; [unrolled: 8-line block ×5, first 2 shown]
	v_xor_b32_e32 v27, s17, v3
	v_xor_b32_e32 v3, s16, v3
	v_and_b32_e32 v26, v26, v27
	v_and_b32_e32 v27, v7, v3
	v_lshlrev_b32_e32 v3, 24, v6
	v_cmp_gt_i64_e64 s[16:17], 0, v[2:3]
	v_not_b32_e32 v3, v3
	v_ashrrev_i32_e32 v3, 31, v3
	v_xor_b32_e32 v6, s17, v3
	v_xor_b32_e32 v3, s16, v3
	; wave barrier
	ds_read_b32 v36, v25 offset:64
	v_and_b32_e32 v7, v26, v6
	v_and_b32_e32 v6, v27, v3
	v_mbcnt_lo_u32_b32 v3, v6, 0
	v_mbcnt_hi_u32_b32 v37, v7, v3
	v_cmp_eq_u32_e64 s[16:17], 0, v37
	v_cmp_ne_u64_e64 s[18:19], 0, v[6:7]
	s_and_b64 s[18:19], s[18:19], s[16:17]
	; wave barrier
	s_and_saveexec_b64 s[16:17], s[18:19]
	s_cbranch_execz .LBB1438_27
; %bb.26:
	v_bcnt_u32_b32 v3, v6, 0
	v_bcnt_u32_b32 v3, v7, v3
	s_waitcnt lgkmcnt(0)
	v_add_u32_e32 v3, v36, v3
	ds_write_b32 v25, v3 offset:64
.LBB1438_27:
	s_or_b64 exec, exec, s[16:17]
	v_xor_b32_sdwa v26, v4, s20 dst_sel:DWORD dst_unused:UNUSED_PAD src0_sel:WORD_1 src1_sel:DWORD
	v_lshrrev_b32_sdwa v3, s44, v26 dst_sel:DWORD dst_unused:UNUSED_PAD src0_sel:DWORD src1_sel:WORD_0
	v_and_b32_e32 v4, s50, v3
	v_mul_u32_u24_e32 v3, 17, v4
	v_add_lshl_u32 v27, v23, v3, 2
	v_and_b32_e32 v3, 1, v4
	v_add_co_u32_e64 v6, s[16:17], -1, v3
	v_addc_co_u32_e64 v7, s[16:17], 0, -1, s[16:17]
	v_cmp_ne_u32_e64 s[16:17], 0, v3
	v_xor_b32_e32 v3, s17, v7
	v_and_b32_e32 v7, exec_hi, v3
	v_lshlrev_b32_e32 v3, 30, v4
	v_xor_b32_e32 v6, s16, v6
	v_cmp_gt_i64_e64 s[16:17], 0, v[2:3]
	v_not_b32_e32 v3, v3
	v_ashrrev_i32_e32 v3, 31, v3
	v_and_b32_e32 v6, exec_lo, v6
	v_xor_b32_e32 v28, s17, v3
	v_xor_b32_e32 v3, s16, v3
	v_and_b32_e32 v6, v6, v3
	v_lshlrev_b32_e32 v3, 29, v4
	v_cmp_gt_i64_e64 s[16:17], 0, v[2:3]
	v_not_b32_e32 v3, v3
	v_ashrrev_i32_e32 v3, 31, v3
	v_and_b32_e32 v7, v7, v28
	v_xor_b32_e32 v28, s17, v3
	v_xor_b32_e32 v3, s16, v3
	v_and_b32_e32 v6, v6, v3
	v_lshlrev_b32_e32 v3, 28, v4
	v_cmp_gt_i64_e64 s[16:17], 0, v[2:3]
	v_not_b32_e32 v3, v3
	v_ashrrev_i32_e32 v3, 31, v3
	v_and_b32_e32 v7, v7, v28
	;; [unrolled: 8-line block ×5, first 2 shown]
	v_xor_b32_e32 v28, s17, v3
	v_xor_b32_e32 v3, s16, v3
	v_and_b32_e32 v6, v6, v3
	v_lshlrev_b32_e32 v3, 24, v4
	v_cmp_gt_i64_e64 s[16:17], 0, v[2:3]
	v_not_b32_e32 v2, v3
	v_ashrrev_i32_e32 v2, 31, v2
	v_xor_b32_e32 v3, s17, v2
	v_xor_b32_e32 v2, s16, v2
	; wave barrier
	ds_read_b32 v38, v27 offset:64
	v_and_b32_e32 v7, v7, v28
	v_and_b32_e32 v2, v6, v2
	;; [unrolled: 1-line block ×3, first 2 shown]
	v_mbcnt_lo_u32_b32 v4, v2, 0
	v_mbcnt_hi_u32_b32 v39, v3, v4
	v_cmp_eq_u32_e64 s[16:17], 0, v39
	v_cmp_ne_u64_e64 s[18:19], 0, v[2:3]
	s_and_b64 s[18:19], s[18:19], s[16:17]
	; wave barrier
	s_and_saveexec_b64 s[16:17], s[18:19]
	s_cbranch_execz .LBB1438_29
; %bb.28:
	v_bcnt_u32_b32 v2, v2, 0
	v_bcnt_u32_b32 v2, v3, v2
	s_waitcnt lgkmcnt(0)
	v_add_u32_e32 v2, v38, v2
	ds_write_b32 v27, v2 offset:64
.LBB1438_29:
	s_or_b64 exec, exec, s[16:17]
	v_xor_b32_e32 v28, 0xffff8000, v5
	v_lshrrev_b32_sdwa v2, s44, v28 dst_sel:DWORD dst_unused:UNUSED_PAD src0_sel:DWORD src1_sel:WORD_0
	v_and_b32_e32 v4, s50, v2
	v_and_b32_e32 v3, 1, v4
	v_add_co_u32_e64 v6, s[16:17], -1, v3
	v_addc_co_u32_e64 v7, s[16:17], 0, -1, s[16:17]
	v_cmp_ne_u32_e64 s[16:17], 0, v3
	v_mul_u32_u24_e32 v2, 17, v4
	v_xor_b32_e32 v3, s17, v7
	v_add_lshl_u32 v29, v23, v2, 2
	v_mov_b32_e32 v2, 0
	v_and_b32_e32 v7, exec_hi, v3
	v_lshlrev_b32_e32 v3, 30, v4
	v_xor_b32_e32 v6, s16, v6
	v_cmp_gt_i64_e64 s[16:17], 0, v[2:3]
	v_not_b32_e32 v3, v3
	v_ashrrev_i32_e32 v3, 31, v3
	v_and_b32_e32 v6, exec_lo, v6
	v_xor_b32_e32 v41, s17, v3
	v_xor_b32_e32 v3, s16, v3
	v_and_b32_e32 v6, v6, v3
	v_lshlrev_b32_e32 v3, 29, v4
	v_cmp_gt_i64_e64 s[16:17], 0, v[2:3]
	v_not_b32_e32 v3, v3
	v_ashrrev_i32_e32 v3, 31, v3
	v_and_b32_e32 v7, v7, v41
	v_xor_b32_e32 v41, s17, v3
	v_xor_b32_e32 v3, s16, v3
	v_and_b32_e32 v6, v6, v3
	v_lshlrev_b32_e32 v3, 28, v4
	v_cmp_gt_i64_e64 s[16:17], 0, v[2:3]
	v_not_b32_e32 v3, v3
	v_ashrrev_i32_e32 v3, 31, v3
	v_and_b32_e32 v7, v7, v41
	;; [unrolled: 8-line block ×5, first 2 shown]
	v_xor_b32_e32 v41, s17, v3
	v_xor_b32_e32 v3, s16, v3
	v_and_b32_e32 v6, v6, v3
	v_lshlrev_b32_e32 v3, 24, v4
	v_cmp_gt_i64_e64 s[16:17], 0, v[2:3]
	v_not_b32_e32 v3, v3
	v_ashrrev_i32_e32 v3, 31, v3
	v_xor_b32_e32 v4, s17, v3
	v_xor_b32_e32 v3, s16, v3
	; wave barrier
	ds_read_b32 v40, v29 offset:64
	v_and_b32_e32 v7, v7, v41
	v_and_b32_e32 v6, v6, v3
	;; [unrolled: 1-line block ×3, first 2 shown]
	v_mbcnt_lo_u32_b32 v3, v6, 0
	v_mbcnt_hi_u32_b32 v41, v7, v3
	v_cmp_eq_u32_e64 s[16:17], 0, v41
	v_cmp_ne_u64_e64 s[18:19], 0, v[6:7]
	s_and_b64 s[18:19], s[18:19], s[16:17]
	; wave barrier
	s_and_saveexec_b64 s[16:17], s[18:19]
	s_cbranch_execz .LBB1438_31
; %bb.30:
	v_bcnt_u32_b32 v3, v6, 0
	v_bcnt_u32_b32 v3, v7, v3
	s_waitcnt lgkmcnt(0)
	v_add_u32_e32 v3, v40, v3
	ds_write_b32 v29, v3 offset:64
.LBB1438_31:
	s_or_b64 exec, exec, s[16:17]
	v_xor_b32_sdwa v6, v5, s20 dst_sel:DWORD dst_unused:UNUSED_PAD src0_sel:WORD_1 src1_sel:DWORD
	v_lshrrev_b32_sdwa v3, s44, v6 dst_sel:DWORD dst_unused:UNUSED_PAD src0_sel:DWORD src1_sel:WORD_0
	v_and_b32_e32 v4, s50, v3
	v_mul_u32_u24_e32 v3, 17, v4
	v_add_lshl_u32 v7, v23, v3, 2
	v_and_b32_e32 v3, 1, v4
	v_add_co_u32_e64 v5, s[16:17], -1, v3
	v_addc_co_u32_e64 v23, s[16:17], 0, -1, s[16:17]
	v_cmp_ne_u32_e64 s[16:17], 0, v3
	v_xor_b32_e32 v3, s17, v23
	v_and_b32_e32 v23, exec_hi, v3
	v_lshlrev_b32_e32 v3, 30, v4
	v_xor_b32_e32 v5, s16, v5
	v_cmp_gt_i64_e64 s[16:17], 0, v[2:3]
	v_not_b32_e32 v3, v3
	v_ashrrev_i32_e32 v3, 31, v3
	v_and_b32_e32 v5, exec_lo, v5
	v_xor_b32_e32 v44, s17, v3
	v_xor_b32_e32 v3, s16, v3
	v_and_b32_e32 v5, v5, v3
	v_lshlrev_b32_e32 v3, 29, v4
	v_cmp_gt_i64_e64 s[16:17], 0, v[2:3]
	v_not_b32_e32 v3, v3
	v_ashrrev_i32_e32 v3, 31, v3
	v_and_b32_e32 v23, v23, v44
	v_xor_b32_e32 v44, s17, v3
	v_xor_b32_e32 v3, s16, v3
	v_and_b32_e32 v5, v5, v3
	v_lshlrev_b32_e32 v3, 28, v4
	v_cmp_gt_i64_e64 s[16:17], 0, v[2:3]
	v_not_b32_e32 v3, v3
	v_ashrrev_i32_e32 v3, 31, v3
	v_and_b32_e32 v23, v23, v44
	v_xor_b32_e32 v44, s17, v3
	v_xor_b32_e32 v3, s16, v3
	v_and_b32_e32 v5, v5, v3
	v_lshlrev_b32_e32 v3, 27, v4
	v_cmp_gt_i64_e64 s[16:17], 0, v[2:3]
	v_not_b32_e32 v3, v3
	v_ashrrev_i32_e32 v3, 31, v3
	v_and_b32_e32 v23, v23, v44
	v_xor_b32_e32 v44, s17, v3
	v_xor_b32_e32 v3, s16, v3
	v_and_b32_e32 v5, v5, v3
	v_lshlrev_b32_e32 v3, 26, v4
	v_cmp_gt_i64_e64 s[16:17], 0, v[2:3]
	v_not_b32_e32 v3, v3
	v_ashrrev_i32_e32 v3, 31, v3
	v_and_b32_e32 v23, v23, v44
	v_xor_b32_e32 v44, s17, v3
	v_xor_b32_e32 v3, s16, v3
	v_and_b32_e32 v5, v5, v3
	v_lshlrev_b32_e32 v3, 25, v4
	v_cmp_gt_i64_e64 s[16:17], 0, v[2:3]
	v_not_b32_e32 v3, v3
	v_ashrrev_i32_e32 v3, 31, v3
	v_and_b32_e32 v23, v23, v44
	v_xor_b32_e32 v44, s17, v3
	v_xor_b32_e32 v3, s16, v3
	v_and_b32_e32 v5, v5, v3
	v_lshlrev_b32_e32 v3, 24, v4
	v_cmp_gt_i64_e64 s[16:17], 0, v[2:3]
	v_not_b32_e32 v2, v3
	v_ashrrev_i32_e32 v2, 31, v2
	v_xor_b32_e32 v3, s17, v2
	v_xor_b32_e32 v2, s16, v2
	; wave barrier
	ds_read_b32 v42, v7 offset:64
	v_and_b32_e32 v23, v23, v44
	v_and_b32_e32 v2, v5, v2
	;; [unrolled: 1-line block ×3, first 2 shown]
	v_mbcnt_lo_u32_b32 v4, v2, 0
	v_mbcnt_hi_u32_b32 v45, v3, v4
	v_cmp_eq_u32_e64 s[16:17], 0, v45
	v_cmp_ne_u64_e64 s[18:19], 0, v[2:3]
	v_add_u32_e32 v43, 64, v16
	s_and_b64 s[18:19], s[18:19], s[16:17]
	; wave barrier
	s_and_saveexec_b64 s[16:17], s[18:19]
	s_cbranch_execz .LBB1438_33
; %bb.32:
	v_bcnt_u32_b32 v2, v2, 0
	v_bcnt_u32_b32 v2, v3, v2
	s_waitcnt lgkmcnt(0)
	v_add_u32_e32 v2, v42, v2
	ds_write_b32 v7, v2 offset:64
.LBB1438_33:
	s_or_b64 exec, exec, s[16:17]
	; wave barrier
	s_waitcnt lgkmcnt(0)
	s_barrier
	ds_read2_b32 v[4:5], v16 offset0:16 offset1:17
	ds_read2_b32 v[2:3], v43 offset0:2 offset1:3
	ds_read_b32 v23, v43 offset:16
	v_cmp_lt_u32_e64 s[26:27], 31, v14
	s_waitcnt lgkmcnt(1)
	v_add3_u32 v44, v5, v4, v2
	s_waitcnt lgkmcnt(0)
	v_add3_u32 v23, v44, v3, v23
	v_and_b32_e32 v44, 15, v14
	v_cmp_eq_u32_e64 s[16:17], 0, v44
	v_mov_b32_dpp v46, v23 row_shr:1 row_mask:0xf bank_mask:0xf
	v_cndmask_b32_e64 v46, v46, 0, s[16:17]
	v_add_u32_e32 v23, v46, v23
	v_cmp_lt_u32_e64 s[18:19], 1, v44
	v_cmp_lt_u32_e64 s[20:21], 3, v44
	v_mov_b32_dpp v46, v23 row_shr:2 row_mask:0xf bank_mask:0xf
	v_cndmask_b32_e64 v46, 0, v46, s[18:19]
	v_add_u32_e32 v23, v23, v46
	v_cmp_lt_u32_e64 s[22:23], 7, v44
	s_nop 0
	v_mov_b32_dpp v46, v23 row_shr:4 row_mask:0xf bank_mask:0xf
	v_cndmask_b32_e64 v46, 0, v46, s[20:21]
	v_add_u32_e32 v23, v23, v46
	s_nop 1
	v_mov_b32_dpp v46, v23 row_shr:8 row_mask:0xf bank_mask:0xf
	v_cndmask_b32_e64 v44, 0, v46, s[22:23]
	v_add_u32_e32 v23, v23, v44
	v_bfe_i32 v46, v14, 4, 1
	s_nop 0
	v_mov_b32_dpp v44, v23 row_bcast:15 row_mask:0xf bank_mask:0xf
	v_and_b32_e32 v44, v46, v44
	v_add_u32_e32 v23, v23, v44
	v_lshrrev_b32_e32 v46, 6, v10
	s_nop 0
	v_mov_b32_dpp v44, v23 row_bcast:31 row_mask:0xf bank_mask:0xf
	v_cndmask_b32_e64 v44, 0, v44, s[26:27]
	v_add_u32_e32 v44, v23, v44
	v_and_b32_e32 v23, 63, v10
	v_cmp_eq_u32_e64 s[26:27], 63, v23
	s_and_saveexec_b64 s[48:49], s[26:27]
	s_cbranch_execz .LBB1438_35
; %bb.34:
	v_lshlrev_b32_e32 v23, 2, v46
	ds_write_b32 v23, v44
.LBB1438_35:
	s_or_b64 exec, exec, s[48:49]
	v_cmp_gt_u32_e64 s[26:27], 16, v10
	v_lshlrev_b32_e32 v23, 2, v10
	s_waitcnt lgkmcnt(0)
	s_barrier
	s_and_saveexec_b64 s[48:49], s[26:27]
	s_cbranch_execz .LBB1438_37
; %bb.36:
	ds_read_b32 v47, v23
	s_waitcnt lgkmcnt(0)
	s_nop 0
	v_mov_b32_dpp v48, v47 row_shr:1 row_mask:0xf bank_mask:0xf
	v_cndmask_b32_e64 v48, v48, 0, s[16:17]
	v_add_u32_e32 v47, v48, v47
	s_nop 1
	v_mov_b32_dpp v48, v47 row_shr:2 row_mask:0xf bank_mask:0xf
	v_cndmask_b32_e64 v48, 0, v48, s[18:19]
	v_add_u32_e32 v47, v47, v48
	;; [unrolled: 4-line block ×4, first 2 shown]
	ds_write_b32 v23, v47
.LBB1438_37:
	s_or_b64 exec, exec, s[48:49]
	v_cmp_lt_u32_e64 s[16:17], 63, v10
	v_mov_b32_e32 v47, 0
	s_waitcnt lgkmcnt(0)
	s_barrier
	s_and_saveexec_b64 s[18:19], s[16:17]
	s_cbranch_execz .LBB1438_39
; %bb.38:
	v_lshl_add_u32 v46, v46, 2, -4
	ds_read_b32 v47, v46
.LBB1438_39:
	s_or_b64 exec, exec, s[18:19]
	v_add_u32_e32 v46, -1, v14
	v_and_b32_e32 v48, 64, v14
	v_cmp_lt_i32_e64 s[16:17], v46, v48
	v_cndmask_b32_e64 v46, v46, v14, s[16:17]
	s_waitcnt lgkmcnt(0)
	v_add_u32_e32 v44, v47, v44
	v_lshlrev_b32_e32 v46, 2, v46
	ds_bpermute_b32 v44, v46, v44
	v_cmp_eq_u32_e64 s[16:17], 0, v14
	s_waitcnt lgkmcnt(0)
	v_cndmask_b32_e64 v14, v44, v47, s[16:17]
	v_cmp_ne_u32_e64 s[16:17], 0, v10
	v_cndmask_b32_e64 v14, 0, v14, s[16:17]
	v_add_u32_e32 v4, v14, v4
	v_add_u32_e32 v5, v4, v5
	v_add_u32_e32 v2, v5, v2
	v_add_u32_e32 v3, v2, v3
	ds_write2_b32 v16, v14, v4 offset0:16 offset1:17
	ds_write2_b32 v43, v5, v2 offset0:2 offset1:3
	ds_write_b32 v43, v3 offset:16
	s_waitcnt lgkmcnt(0)
	s_barrier
	ds_read_b32 v2, v19 offset:64
	ds_read_b32 v47, v20 offset:64
	;; [unrolled: 1-line block ×8, first 2 shown]
	s_movk_i32 s16, 0x100
	v_cmp_gt_u32_e64 s[16:17], s16, v10
                                        ; implicit-def: $vgpr43
                                        ; implicit-def: $vgpr44
	s_and_saveexec_b64 s[20:21], s[16:17]
	s_cbranch_execz .LBB1438_43
; %bb.40:
	v_mul_u32_u24_e32 v3, 17, v10
	v_lshlrev_b32_e32 v4, 2, v3
	ds_read_b32 v43, v4 offset:64
	s_movk_i32 s18, 0xff
	v_cmp_ne_u32_e64 s[18:19], s18, v10
	v_mov_b32_e32 v3, 0x2000
	s_and_saveexec_b64 s[22:23], s[18:19]
	s_cbranch_execz .LBB1438_42
; %bb.41:
	ds_read_b32 v3, v4 offset:132
.LBB1438_42:
	s_or_b64 exec, exec, s[22:23]
	s_waitcnt lgkmcnt(0)
	v_sub_u32_e32 v44, v3, v43
.LBB1438_43:
	s_or_b64 exec, exec, s[20:21]
	s_waitcnt lgkmcnt(7)
	v_add_u32_e32 v46, v2, v17
	v_add_u32_e32 v16, v31, v30
	v_lshlrev_b32_e32 v2, 1, v46
	v_add_u32_e32 v14, v33, v32
	s_waitcnt lgkmcnt(0)
	s_barrier
	ds_write_b16 v2, v15 offset:1024
	v_add_lshl_u32 v2, v16, v47, 1
	v_add_u32_e32 v9, v35, v34
	ds_write_b16 v2, v18 offset:1024
	v_add_lshl_u32 v2, v14, v48, 1
	v_add_u32_e32 v7, v37, v36
	;; [unrolled: 3-line block ×5, first 2 shown]
	ds_write_b16 v2, v26 offset:1024
	v_add_lshl_u32 v2, v4, v52, 1
	ds_write_b16 v2, v28 offset:1024
	v_add_lshl_u32 v2, v3, v53, 1
	ds_write_b16 v2, v6 offset:1024
	s_and_saveexec_b64 s[20:21], s[16:17]
	s_cbranch_execz .LBB1438_53
; %bb.44:
	v_lshl_or_b32 v2, s6, 8, v10
	v_mov_b32_e32 v3, 0
	v_lshlrev_b64 v[4:5], 2, v[2:3]
	v_mov_b32_e32 v8, s35
	v_add_co_u32_e64 v4, s[18:19], s34, v4
	v_addc_co_u32_e64 v5, s[18:19], v8, v5, s[18:19]
	v_or_b32_e32 v2, 2.0, v44
	s_mov_b64 s[22:23], 0
	s_brev_b32 s51, 1
	s_mov_b32 s52, s6
	v_mov_b32_e32 v9, 0
	global_store_dword v[4:5], v2, off
                                        ; implicit-def: $sgpr18_sgpr19
	s_branch .LBB1438_46
.LBB1438_45:                            ;   in Loop: Header=BB1438_46 Depth=1
	s_or_b64 exec, exec, s[26:27]
	v_and_b32_e32 v6, 0x3fffffff, v14
	v_add_u32_e32 v9, v6, v9
	v_cmp_eq_u32_e64 s[18:19], s51, v2
	s_and_b64 s[26:27], exec, s[18:19]
	s_or_b64 s[22:23], s[26:27], s[22:23]
	s_andn2_b64 exec, exec, s[22:23]
	s_cbranch_execz .LBB1438_52
.LBB1438_46:                            ; =>This Loop Header: Depth=1
                                        ;     Child Loop BB1438_49 Depth 2
	s_or_b64 s[18:19], s[18:19], exec
	s_cmp_eq_u32 s52, 0
	s_cbranch_scc1 .LBB1438_51
; %bb.47:                               ;   in Loop: Header=BB1438_46 Depth=1
	s_add_i32 s52, s52, -1
	v_lshl_or_b32 v2, s52, 8, v10
	v_lshlrev_b64 v[6:7], 2, v[2:3]
	v_add_co_u32_e64 v6, s[18:19], s34, v6
	v_addc_co_u32_e64 v7, s[18:19], v8, v7, s[18:19]
	global_load_dword v14, v[6:7], off glc
	s_waitcnt vmcnt(0)
	v_and_b32_e32 v2, -2.0, v14
	v_cmp_eq_u32_e64 s[18:19], 0, v2
	s_and_saveexec_b64 s[26:27], s[18:19]
	s_cbranch_execz .LBB1438_45
; %bb.48:                               ;   in Loop: Header=BB1438_46 Depth=1
	s_mov_b64 s[48:49], 0
.LBB1438_49:                            ;   Parent Loop BB1438_46 Depth=1
                                        ; =>  This Inner Loop Header: Depth=2
	global_load_dword v14, v[6:7], off glc
	s_waitcnt vmcnt(0)
	v_and_b32_e32 v2, -2.0, v14
	v_cmp_ne_u32_e64 s[18:19], 0, v2
	s_or_b64 s[48:49], s[18:19], s[48:49]
	s_andn2_b64 exec, exec, s[48:49]
	s_cbranch_execnz .LBB1438_49
; %bb.50:                               ;   in Loop: Header=BB1438_46 Depth=1
	s_or_b64 exec, exec, s[48:49]
	s_branch .LBB1438_45
.LBB1438_51:                            ;   in Loop: Header=BB1438_46 Depth=1
                                        ; implicit-def: $sgpr52
	s_and_b64 s[26:27], exec, s[18:19]
	s_or_b64 s[22:23], s[26:27], s[22:23]
	s_andn2_b64 exec, exec, s[22:23]
	s_cbranch_execnz .LBB1438_46
.LBB1438_52:
	s_or_b64 exec, exec, s[22:23]
	v_add_u32_e32 v2, v9, v44
	v_or_b32_e32 v2, 0x80000000, v2
	global_store_dword v[4:5], v2, off
	global_load_dword v2, v23, s[28:29]
	v_sub_u32_e32 v3, v9, v43
	s_waitcnt vmcnt(0)
	v_add_u32_e32 v2, v3, v2
	ds_write_b32 v23, v2
.LBB1438_53:
	s_or_b64 exec, exec, s[20:21]
	v_cmp_gt_u32_e64 s[18:19], s7, v10
	v_lshlrev_b32_e32 v14, 1, v10
	s_waitcnt lgkmcnt(0)
	s_barrier
	s_waitcnt lgkmcnt(0)
                                        ; implicit-def: $vgpr2_vgpr3_vgpr4_vgpr5_vgpr6_vgpr7_vgpr8_vgpr9
	s_and_saveexec_b64 s[20:21], s[18:19]
	s_cbranch_execz .LBB1438_55
; %bb.54:
	ds_read_u16 v3, v14 offset:1024
	v_mov_b32_e32 v5, 0
	v_mov_b32_e32 v6, s39
	s_waitcnt lgkmcnt(0)
	v_lshrrev_b32_sdwa v2, s44, v3 dst_sel:DWORD dst_unused:UNUSED_PAD src0_sel:DWORD src1_sel:WORD_0
	v_and_b32_e32 v2, s50, v2
	v_lshlrev_b32_e32 v4, 2, v2
	ds_read_b32 v4, v4
	v_xor_b32_e32 v3, 0xffff8000, v3
	s_waitcnt lgkmcnt(0)
	v_add_u32_e32 v4, v4, v10
	v_lshlrev_b64 v[4:5], 1, v[4:5]
	v_add_co_u32_e64 v4, s[18:19], s38, v4
	v_addc_co_u32_e64 v5, s[18:19], v6, v5, s[18:19]
	global_store_short v[4:5], v3, off
.LBB1438_55:
	s_or_b64 exec, exec, s[20:21]
	v_or_b32_e32 v15, 0x400, v10
	v_cmp_gt_u32_e64 s[18:19], s7, v15
	s_and_saveexec_b64 s[20:21], s[18:19]
	s_cbranch_execz .LBB1438_57
; %bb.56:
	ds_read_u16 v16, v14 offset:3072
	v_mov_b32_e32 v19, s39
	s_waitcnt lgkmcnt(0)
	v_lshrrev_b32_sdwa v3, s44, v16 dst_sel:DWORD dst_unused:UNUSED_PAD src0_sel:DWORD src1_sel:WORD_0
	v_and_b32_e32 v3, s50, v3
	v_lshlrev_b32_e32 v17, 2, v3
	ds_read_b32 v18, v17
	v_mov_b32_e32 v17, 0
	v_xor_b32_e32 v20, 0xffff8000, v16
	s_waitcnt lgkmcnt(0)
	v_add_u32_e32 v16, v18, v15
	v_lshlrev_b64 v[16:17], 1, v[16:17]
	v_add_co_u32_e64 v16, s[18:19], s38, v16
	v_addc_co_u32_e64 v17, s[18:19], v19, v17, s[18:19]
	global_store_short v[16:17], v20, off
.LBB1438_57:
	s_or_b64 exec, exec, s[20:21]
	v_or_b32_e32 v15, 0x800, v10
	v_cmp_gt_u32_e64 s[18:19], s7, v15
	s_and_saveexec_b64 s[20:21], s[18:19]
	s_cbranch_execz .LBB1438_59
; %bb.58:
	ds_read_u16 v16, v14 offset:5120
	v_mov_b32_e32 v19, s39
	s_waitcnt lgkmcnt(0)
	v_lshrrev_b32_sdwa v4, s44, v16 dst_sel:DWORD dst_unused:UNUSED_PAD src0_sel:DWORD src1_sel:WORD_0
	v_and_b32_e32 v4, s50, v4
	v_lshlrev_b32_e32 v17, 2, v4
	ds_read_b32 v18, v17
	v_mov_b32_e32 v17, 0
	v_xor_b32_e32 v20, 0xffff8000, v16
	s_waitcnt lgkmcnt(0)
	v_add_u32_e32 v16, v18, v15
	v_lshlrev_b64 v[16:17], 1, v[16:17]
	v_add_co_u32_e64 v16, s[18:19], s38, v16
	v_addc_co_u32_e64 v17, s[18:19], v19, v17, s[18:19]
	global_store_short v[16:17], v20, off
.LBB1438_59:
	;; [unrolled: 22-line block ×6, first 2 shown]
	s_or_b64 exec, exec, s[20:21]
	v_or_b32_e32 v15, 0x1c00, v10
	v_cmp_gt_u32_e64 s[18:19], s7, v15
	s_and_saveexec_b64 s[20:21], s[18:19]
	s_cbranch_execz .LBB1438_69
; %bb.68:
	ds_read_u16 v14, v14 offset:15360
	v_mov_b32_e32 v17, 0
	v_mov_b32_e32 v18, s39
	s_waitcnt lgkmcnt(0)
	v_lshrrev_b32_sdwa v9, s44, v14 dst_sel:DWORD dst_unused:UNUSED_PAD src0_sel:DWORD src1_sel:WORD_0
	v_and_b32_e32 v9, s50, v9
	v_lshlrev_b32_e32 v16, 2, v9
	ds_read_b32 v16, v16
	v_xor_b32_e32 v19, 0xffff8000, v14
	s_waitcnt lgkmcnt(0)
	v_add_u32_e32 v16, v16, v15
	v_lshlrev_b64 v[14:15], 1, v[16:17]
	v_add_co_u32_e64 v14, s[18:19], s38, v14
	v_addc_co_u32_e64 v15, s[18:19], v18, v15, s[18:19]
	global_store_short v[14:15], v19, off
.LBB1438_69:
	s_or_b64 exec, exec, s[20:21]
	s_lshl_b64 s[18:19], s[46:47], 3
	s_add_u32 s18, s40, s18
	s_addc_u32 s19, s41, s19
	v_lshlrev_b32_e32 v13, 3, v13
	v_mov_b32_e32 v14, s19
	v_add_co_u32_e64 v13, s[18:19], s18, v13
	v_addc_co_u32_e64 v14, s[18:19], 0, v14, s[18:19]
	v_lshlrev_b32_e32 v12, 3, v12
	v_add_co_u32_e64 v28, s[18:19], v13, v12
	v_addc_co_u32_e64 v29, s[18:19], 0, v14, s[18:19]
                                        ; implicit-def: $vgpr12_vgpr13
	s_and_saveexec_b64 s[18:19], vcc
	s_xor_b64 s[18:19], exec, s[18:19]
	s_cbranch_execnz .LBB1438_134
; %bb.70:
	s_or_b64 exec, exec, s[18:19]
                                        ; implicit-def: $vgpr14_vgpr15
	s_and_saveexec_b64 s[18:19], s[0:1]
	s_cbranch_execnz .LBB1438_135
.LBB1438_71:
	s_or_b64 exec, exec, s[18:19]
                                        ; implicit-def: $vgpr16_vgpr17
	s_and_saveexec_b64 s[0:1], s[2:3]
	s_cbranch_execnz .LBB1438_136
.LBB1438_72:
	s_or_b64 exec, exec, s[0:1]
                                        ; implicit-def: $vgpr18_vgpr19
	s_and_saveexec_b64 s[0:1], s[24:25]
	s_cbranch_execnz .LBB1438_137
.LBB1438_73:
	s_or_b64 exec, exec, s[0:1]
                                        ; implicit-def: $vgpr20_vgpr21
	s_and_saveexec_b64 s[0:1], s[8:9]
	s_cbranch_execnz .LBB1438_138
.LBB1438_74:
	s_or_b64 exec, exec, s[0:1]
                                        ; implicit-def: $vgpr22_vgpr23
	s_and_saveexec_b64 s[0:1], s[10:11]
	s_cbranch_execnz .LBB1438_139
.LBB1438_75:
	s_or_b64 exec, exec, s[0:1]
                                        ; implicit-def: $vgpr24_vgpr25
	s_and_saveexec_b64 s[0:1], s[12:13]
	s_cbranch_execnz .LBB1438_140
.LBB1438_76:
	s_or_b64 exec, exec, s[0:1]
                                        ; implicit-def: $vgpr26_vgpr27
	s_and_saveexec_b64 s[0:1], s[14:15]
	s_cbranch_execz .LBB1438_78
.LBB1438_77:
	global_load_dwordx2 v[26:27], v[28:29], off offset:3584
.LBB1438_78:
	s_or_b64 exec, exec, s[0:1]
	s_movk_i32 s2, 0x400
	v_add_u32_e32 v54, 0x400, v11
	v_add3_u32 v42, v45, v53, v42
	v_add3_u32 v40, v41, v52, v40
	;; [unrolled: 1-line block ×7, first 2 shown]
	s_mov_b32 s3, 0
	v_mov_b32_e32 v29, 0
	s_mov_b32 s8, 0
	v_mov_b32_e32 v31, v10
	s_barrier
	s_waitcnt vmcnt(0)
	s_branch .LBB1438_80
.LBB1438_79:                            ;   in Loop: Header=BB1438_80 Depth=1
	s_or_b64 exec, exec, s[0:1]
	s_addk_i32 s8, 0xf800
	s_add_i32 s3, s3, 2
	s_cmpk_eq_i32 s8, 0xe000
	v_add_u32_e32 v31, 0x800, v31
	s_barrier
	s_cbranch_scc1 .LBB1438_85
.LBB1438_80:                            ; =>This Inner Loop Header: Depth=1
	v_add_u32_e32 v28, s8, v46
	v_min_u32_e32 v28, 0x800, v28
	v_lshlrev_b32_e32 v28, 3, v28
	ds_write_b64 v28, v[12:13] offset:1024
	v_add_u32_e32 v28, s8, v30
	v_min_u32_e32 v28, 0x800, v28
	v_lshlrev_b32_e32 v28, 3, v28
	ds_write_b64 v28, v[14:15] offset:1024
	v_add_u32_e32 v28, s8, v32
	v_min_u32_e32 v28, 0x800, v28
	v_lshlrev_b32_e32 v28, 3, v28
	ds_write_b64 v28, v[16:17] offset:1024
	v_add_u32_e32 v28, s8, v34
	v_min_u32_e32 v28, 0x800, v28
	v_lshlrev_b32_e32 v28, 3, v28
	ds_write_b64 v28, v[18:19] offset:1024
	v_add_u32_e32 v28, s8, v36
	v_min_u32_e32 v28, 0x800, v28
	v_lshlrev_b32_e32 v28, 3, v28
	ds_write_b64 v28, v[20:21] offset:1024
	v_add_u32_e32 v28, s8, v38
	v_min_u32_e32 v28, 0x800, v28
	v_lshlrev_b32_e32 v28, 3, v28
	ds_write_b64 v28, v[22:23] offset:1024
	v_add_u32_e32 v28, s8, v40
	v_min_u32_e32 v28, 0x800, v28
	v_lshlrev_b32_e32 v28, 3, v28
	ds_write_b64 v28, v[24:25] offset:1024
	v_add_u32_e32 v28, s8, v42
	v_min_u32_e32 v28, 0x800, v28
	v_lshlrev_b32_e32 v28, 3, v28
	v_cmp_gt_u32_e32 vcc, s7, v31
	ds_write_b64 v28, v[26:27] offset:1024
	s_waitcnt lgkmcnt(0)
	s_barrier
	s_and_saveexec_b64 s[0:1], vcc
	s_cbranch_execz .LBB1438_82
; %bb.81:                               ;   in Loop: Header=BB1438_80 Depth=1
	s_cmp_eq_u32 s3, 1
	s_cselect_b64 vcc, -1, 0
	s_cmp_eq_u32 s3, 2
	v_cndmask_b32_e32 v28, v2, v3, vcc
	s_cselect_b64 vcc, -1, 0
	s_cmp_eq_u32 s3, 3
	v_cndmask_b32_e32 v28, v28, v4, vcc
	;; [unrolled: 3-line block ×6, first 2 shown]
	s_cselect_b64 vcc, -1, 0
	v_cndmask_b32_e32 v28, v28, v9, vcc
	v_lshlrev_b32_e32 v28, 2, v28
	ds_read_b32 v28, v28
	ds_read_b64 v[48:49], v11 offset:1024
	s_waitcnt lgkmcnt(1)
	v_add_u32_e32 v28, v31, v28
	v_lshlrev_b64 v[50:51], 3, v[28:29]
	v_mov_b32_e32 v28, s43
	v_add_co_u32_e32 v50, vcc, s42, v50
	v_addc_co_u32_e32 v51, vcc, v28, v51, vcc
	s_waitcnt lgkmcnt(0)
	global_store_dwordx2 v[50:51], v[48:49], off
.LBB1438_82:                            ;   in Loop: Header=BB1438_80 Depth=1
	s_or_b64 exec, exec, s[0:1]
	v_add_u32_e32 v28, 0x400, v31
	v_cmp_gt_u32_e32 vcc, s7, v28
	s_and_saveexec_b64 s[0:1], vcc
	s_cbranch_execz .LBB1438_79
; %bb.83:                               ;   in Loop: Header=BB1438_80 Depth=1
	s_add_i32 s9, s3, 1
	s_cmp_eq_u32 s9, 1
	s_cselect_b64 vcc, -1, 0
	s_cmp_eq_u32 s9, 2
	v_cndmask_b32_e32 v28, v2, v3, vcc
	s_cselect_b64 vcc, -1, 0
	s_cmp_eq_u32 s9, 3
	v_cndmask_b32_e32 v28, v28, v4, vcc
	s_cselect_b64 vcc, -1, 0
	s_cmp_eq_u32 s9, 4
	v_cndmask_b32_e32 v28, v28, v5, vcc
	s_cselect_b64 vcc, -1, 0
	s_cmp_eq_u32 s9, 5
	v_cndmask_b32_e32 v28, v28, v6, vcc
	s_cselect_b64 vcc, -1, 0
	s_cmp_eq_u32 s9, 6
	v_cndmask_b32_e32 v28, v28, v7, vcc
	s_cselect_b64 vcc, -1, 0
	s_cmp_eq_u32 s9, 7
	v_cndmask_b32_e32 v28, v28, v8, vcc
	s_cselect_b64 vcc, -1, 0
	v_cndmask_b32_e32 v28, v28, v9, vcc
	v_lshlrev_b32_e32 v28, 2, v28
	ds_read_b32 v28, v28
	ds_read_b64 v[48:49], v54 offset:8192
	s_waitcnt lgkmcnt(1)
	v_add3_u32 v28, v31, v28, s2
	v_lshlrev_b64 v[50:51], 3, v[28:29]
	v_mov_b32_e32 v28, s43
	v_add_co_u32_e32 v50, vcc, s42, v50
	v_addc_co_u32_e32 v51, vcc, v28, v51, vcc
	s_waitcnt lgkmcnt(0)
	global_store_dwordx2 v[50:51], v[48:49], off
	s_branch .LBB1438_79
.LBB1438_84:
	s_mov_b64 s[10:11], 0
                                        ; implicit-def: $vgpr2
                                        ; implicit-def: $vgpr10_vgpr11
	s_cbranch_execnz .LBB1438_88
	s_branch .LBB1438_131
.LBB1438_85:
	s_add_i32 s33, s33, -1
	s_cmp_eq_u32 s33, s6
	s_cselect_b64 s[0:1], -1, 0
	s_and_b64 s[2:3], s[16:17], s[0:1]
	s_mov_b64 s[0:1], 0
	s_mov_b64 s[10:11], 0
                                        ; implicit-def: $vgpr2
	s_and_saveexec_b64 s[8:9], s[2:3]
	s_xor_b64 s[2:3], exec, s[8:9]
; %bb.86:
	s_mov_b64 s[10:11], exec
	v_mov_b32_e32 v11, 0
	v_add_u32_e32 v2, v43, v44
; %bb.87:
	s_or_b64 exec, exec, s[2:3]
	s_and_b64 vcc, exec, s[0:1]
	s_cbranch_vccz .LBB1438_131
.LBB1438_88:
	v_and_b32_e32 v8, 0x3ff, v0
	s_lshl_b32 s12, s6, 13
	s_mov_b32 s13, 0
	v_mbcnt_hi_u32_b32 v5, -1, v1
	s_lshl_b64 s[0:1], s[12:13], 1
	v_and_b32_e32 v15, 63, v5
	v_lshlrev_b32_e32 v1, 3, v8
	s_add_u32 s0, s36, s0
	v_and_b32_e32 v14, 0x1e00, v1
	v_lshlrev_b32_e32 v1, 1, v15
	v_add_co_u32_e32 v1, vcc, s0, v1
	s_load_dword s7, s[4:5], 0x58
	s_load_dword s0, s[4:5], 0x64
	s_addc_u32 s1, s37, s1
	v_mov_b32_e32 v3, s1
	v_addc_co_u32_e32 v3, vcc, 0, v3, vcc
	v_lshlrev_b32_e32 v4, 1, v14
	s_add_u32 s1, s4, 0x58
	v_add_co_u32_e32 v16, vcc, v1, v4
	s_addc_u32 s2, s5, 0
	s_waitcnt lgkmcnt(0)
	s_lshr_b32 s3, s0, 16
	v_addc_co_u32_e32 v17, vcc, 0, v3, vcc
	s_cmp_lt_u32 s6, s7
	global_load_ushort v1, v[16:17], off
	s_cselect_b32 s0, 12, 18
	s_add_u32 s0, s1, s0
	v_mov_b32_e32 v2, 0
	s_addc_u32 s1, s2, 0
	global_load_ushort v3, v2, s[0:1]
	v_mul_u32_u24_e32 v6, 5, v8
	v_lshlrev_b32_e32 v6, 2, v6
	ds_write2_b32 v6, v2, v2 offset0:16 offset1:17
	ds_write2_b32 v6, v2, v2 offset0:18 offset1:19
	ds_write_b32 v6, v2 offset:80
	global_load_ushort v10, v[16:17], off offset:128
	global_load_ushort v12, v[16:17], off offset:256
	;; [unrolled: 1-line block ×7, first 2 shown]
	v_bfe_u32 v4, v0, 10, 10
	v_bfe_u32 v0, v0, 20, 10
	v_mad_u32_u24 v0, v0, s3, v4
	s_lshl_b32 s0, -1, s45
	s_not_b32 s16, s0
	s_waitcnt lgkmcnt(0)
	s_barrier
	s_waitcnt lgkmcnt(0)
	; wave barrier
	s_waitcnt vmcnt(8)
	v_xor_b32_e32 v4, 0xffff8000, v1
	v_lshrrev_b32_sdwa v1, s44, v4 dst_sel:DWORD dst_unused:UNUSED_PAD src0_sel:DWORD src1_sel:WORD_0
	v_and_b32_e32 v9, s16, v1
	v_and_b32_e32 v7, 1, v9
	s_waitcnt vmcnt(7)
	v_mad_u64_u32 v[0:1], s[0:1], v0, v3, v[8:9]
	v_lshrrev_b32_e32 v27, 6, v0
	v_add_co_u32_e32 v0, vcc, -1, v7
	v_lshlrev_b32_e32 v3, 30, v9
	v_addc_co_u32_e64 v11, s[0:1], 0, -1, vcc
	v_mul_u32_u24_e32 v1, 17, v9
	v_cmp_ne_u32_e32 vcc, 0, v7
	v_cmp_gt_i64_e64 s[0:1], 0, v[2:3]
	v_not_b32_e32 v16, v3
	v_lshlrev_b32_e32 v3, 29, v9
	v_add_lshl_u32 v7, v27, v1, 2
	v_xor_b32_e32 v1, vcc_hi, v11
	v_xor_b32_e32 v0, vcc_lo, v0
	v_ashrrev_i32_e32 v11, 31, v16
	v_cmp_gt_i64_e32 vcc, 0, v[2:3]
	v_not_b32_e32 v16, v3
	v_lshlrev_b32_e32 v3, 28, v9
	v_and_b32_e32 v1, exec_hi, v1
	v_and_b32_e32 v0, exec_lo, v0
	v_xor_b32_e32 v17, s1, v11
	v_xor_b32_e32 v11, s0, v11
	v_ashrrev_i32_e32 v16, 31, v16
	v_cmp_gt_i64_e64 s[0:1], 0, v[2:3]
	v_not_b32_e32 v18, v3
	v_lshlrev_b32_e32 v3, 27, v9
	v_and_b32_e32 v1, v1, v17
	v_and_b32_e32 v0, v0, v11
	v_xor_b32_e32 v11, vcc_hi, v16
	v_xor_b32_e32 v16, vcc_lo, v16
	v_ashrrev_i32_e32 v17, 31, v18
	v_cmp_gt_i64_e32 vcc, 0, v[2:3]
	v_not_b32_e32 v3, v3
	v_and_b32_e32 v1, v1, v11
	v_and_b32_e32 v0, v0, v16
	v_xor_b32_e32 v11, s1, v17
	v_xor_b32_e32 v16, s0, v17
	v_ashrrev_i32_e32 v3, 31, v3
	v_and_b32_e32 v1, v1, v11
	v_and_b32_e32 v0, v0, v16
	v_xor_b32_e32 v11, vcc_hi, v3
	v_xor_b32_e32 v3, vcc_lo, v3
	v_and_b32_e32 v0, v0, v3
	v_lshlrev_b32_e32 v3, 26, v9
	v_cmp_gt_i64_e32 vcc, 0, v[2:3]
	v_not_b32_e32 v3, v3
	v_ashrrev_i32_e32 v3, 31, v3
	v_and_b32_e32 v1, v1, v11
	v_xor_b32_e32 v11, vcc_hi, v3
	v_xor_b32_e32 v3, vcc_lo, v3
	v_and_b32_e32 v0, v0, v3
	v_lshlrev_b32_e32 v3, 25, v9
	v_cmp_gt_i64_e32 vcc, 0, v[2:3]
	v_not_b32_e32 v3, v3
	v_ashrrev_i32_e32 v3, 31, v3
	;; [unrolled: 8-line block ×3, first 2 shown]
	v_xor_b32_e32 v9, vcc_hi, v3
	v_xor_b32_e32 v3, vcc_lo, v3
	v_and_b32_e32 v1, v1, v11
	v_and_b32_e32 v0, v0, v3
	;; [unrolled: 1-line block ×3, first 2 shown]
	v_mbcnt_lo_u32_b32 v3, v0, 0
	v_mbcnt_hi_u32_b32 v9, v1, v3
	v_cmp_eq_u32_e32 vcc, 0, v9
	v_cmp_ne_u64_e64 s[0:1], 0, v[0:1]
	s_and_b64 s[2:3], s[0:1], vcc
	s_and_saveexec_b64 s[0:1], s[2:3]
	s_cbranch_execz .LBB1438_90
; %bb.89:
	v_bcnt_u32_b32 v0, v0, 0
	v_bcnt_u32_b32 v0, v1, v0
	ds_write_b32 v7, v0 offset:64
.LBB1438_90:
	s_or_b64 exec, exec, s[0:1]
	s_waitcnt vmcnt(6)
	v_xor_b32_e32 v10, 0xffff8000, v10
	v_lshrrev_b32_sdwa v0, s44, v10 dst_sel:DWORD dst_unused:UNUSED_PAD src0_sel:DWORD src1_sel:WORD_0
	v_and_b32_e32 v0, s16, v0
	v_mul_u32_u24_e32 v1, 17, v0
	v_add_lshl_u32 v11, v27, v1, 2
	v_and_b32_e32 v1, 1, v0
	v_add_co_u32_e32 v3, vcc, -1, v1
	v_addc_co_u32_e64 v17, s[0:1], 0, -1, vcc
	v_cmp_ne_u32_e32 vcc, 0, v1
	v_xor_b32_e32 v3, vcc_lo, v3
	v_xor_b32_e32 v1, vcc_hi, v17
	v_and_b32_e32 v17, exec_lo, v3
	v_lshlrev_b32_e32 v3, 30, v0
	v_cmp_gt_i64_e32 vcc, 0, v[2:3]
	v_not_b32_e32 v3, v3
	v_ashrrev_i32_e32 v3, 31, v3
	v_xor_b32_e32 v18, vcc_hi, v3
	v_xor_b32_e32 v3, vcc_lo, v3
	v_and_b32_e32 v17, v17, v3
	v_lshlrev_b32_e32 v3, 29, v0
	v_cmp_gt_i64_e32 vcc, 0, v[2:3]
	v_not_b32_e32 v3, v3
	v_and_b32_e32 v1, exec_hi, v1
	v_ashrrev_i32_e32 v3, 31, v3
	v_and_b32_e32 v1, v1, v18
	v_xor_b32_e32 v18, vcc_hi, v3
	v_xor_b32_e32 v3, vcc_lo, v3
	v_and_b32_e32 v17, v17, v3
	v_lshlrev_b32_e32 v3, 28, v0
	v_cmp_gt_i64_e32 vcc, 0, v[2:3]
	v_not_b32_e32 v3, v3
	v_ashrrev_i32_e32 v3, 31, v3
	v_and_b32_e32 v1, v1, v18
	v_xor_b32_e32 v18, vcc_hi, v3
	v_xor_b32_e32 v3, vcc_lo, v3
	v_and_b32_e32 v17, v17, v3
	v_lshlrev_b32_e32 v3, 27, v0
	v_cmp_gt_i64_e32 vcc, 0, v[2:3]
	v_not_b32_e32 v3, v3
	;; [unrolled: 8-line block ×4, first 2 shown]
	v_ashrrev_i32_e32 v3, 31, v3
	v_and_b32_e32 v1, v1, v18
	v_xor_b32_e32 v18, vcc_hi, v3
	v_xor_b32_e32 v3, vcc_lo, v3
	v_and_b32_e32 v17, v17, v3
	v_lshlrev_b32_e32 v3, 24, v0
	v_not_b32_e32 v0, v3
	v_cmp_gt_i64_e32 vcc, 0, v[2:3]
	v_ashrrev_i32_e32 v0, 31, v0
	v_xor_b32_e32 v2, vcc_hi, v0
	v_xor_b32_e32 v0, vcc_lo, v0
	; wave barrier
	ds_read_b32 v16, v11 offset:64
	v_and_b32_e32 v1, v1, v18
	v_and_b32_e32 v0, v17, v0
	v_and_b32_e32 v1, v1, v2
	v_mbcnt_lo_u32_b32 v2, v0, 0
	v_mbcnt_hi_u32_b32 v17, v1, v2
	v_cmp_eq_u32_e32 vcc, 0, v17
	v_cmp_ne_u64_e64 s[0:1], 0, v[0:1]
	s_and_b64 s[2:3], s[0:1], vcc
	; wave barrier
	s_and_saveexec_b64 s[0:1], s[2:3]
	s_cbranch_execz .LBB1438_92
; %bb.91:
	v_bcnt_u32_b32 v0, v0, 0
	v_bcnt_u32_b32 v0, v1, v0
	s_waitcnt lgkmcnt(0)
	v_add_u32_e32 v0, v16, v0
	ds_write_b32 v11, v0 offset:64
.LBB1438_92:
	s_or_b64 exec, exec, s[0:1]
	s_waitcnt vmcnt(5)
	v_xor_b32_e32 v12, 0xffff8000, v12
	v_lshrrev_b32_sdwa v0, s44, v12 dst_sel:DWORD dst_unused:UNUSED_PAD src0_sel:DWORD src1_sel:WORD_0
	v_and_b32_e32 v2, s16, v0
	v_and_b32_e32 v1, 1, v2
	v_add_co_u32_e32 v3, vcc, -1, v1
	v_addc_co_u32_e64 v19, s[0:1], 0, -1, vcc
	v_cmp_ne_u32_e32 vcc, 0, v1
	v_mul_u32_u24_e32 v0, 17, v2
	v_xor_b32_e32 v1, vcc_hi, v19
	v_add_lshl_u32 v28, v27, v0, 2
	v_mov_b32_e32 v0, 0
	v_and_b32_e32 v19, exec_hi, v1
	v_lshlrev_b32_e32 v1, 30, v2
	v_xor_b32_e32 v3, vcc_lo, v3
	v_cmp_gt_i64_e32 vcc, 0, v[0:1]
	v_not_b32_e32 v1, v1
	v_ashrrev_i32_e32 v1, 31, v1
	v_and_b32_e32 v3, exec_lo, v3
	v_xor_b32_e32 v21, vcc_hi, v1
	v_xor_b32_e32 v1, vcc_lo, v1
	v_and_b32_e32 v3, v3, v1
	v_lshlrev_b32_e32 v1, 29, v2
	v_cmp_gt_i64_e32 vcc, 0, v[0:1]
	v_not_b32_e32 v1, v1
	v_ashrrev_i32_e32 v1, 31, v1
	v_and_b32_e32 v19, v19, v21
	v_xor_b32_e32 v21, vcc_hi, v1
	v_xor_b32_e32 v1, vcc_lo, v1
	v_and_b32_e32 v3, v3, v1
	v_lshlrev_b32_e32 v1, 28, v2
	v_cmp_gt_i64_e32 vcc, 0, v[0:1]
	v_not_b32_e32 v1, v1
	v_ashrrev_i32_e32 v1, 31, v1
	v_and_b32_e32 v19, v19, v21
	;; [unrolled: 8-line block ×5, first 2 shown]
	v_xor_b32_e32 v21, vcc_hi, v1
	v_xor_b32_e32 v1, vcc_lo, v1
	v_and_b32_e32 v19, v19, v21
	v_and_b32_e32 v21, v3, v1
	v_lshlrev_b32_e32 v1, 24, v2
	v_cmp_gt_i64_e32 vcc, 0, v[0:1]
	v_not_b32_e32 v1, v1
	v_ashrrev_i32_e32 v1, 31, v1
	v_xor_b32_e32 v2, vcc_hi, v1
	v_xor_b32_e32 v1, vcc_lo, v1
	; wave barrier
	ds_read_b32 v18, v28 offset:64
	v_and_b32_e32 v3, v19, v2
	v_and_b32_e32 v2, v21, v1
	v_mbcnt_lo_u32_b32 v1, v2, 0
	v_mbcnt_hi_u32_b32 v19, v3, v1
	v_cmp_eq_u32_e32 vcc, 0, v19
	v_cmp_ne_u64_e64 s[0:1], 0, v[2:3]
	s_and_b64 s[2:3], s[0:1], vcc
	; wave barrier
	s_and_saveexec_b64 s[0:1], s[2:3]
	s_cbranch_execz .LBB1438_94
; %bb.93:
	v_bcnt_u32_b32 v1, v2, 0
	v_bcnt_u32_b32 v1, v3, v1
	s_waitcnt lgkmcnt(0)
	v_add_u32_e32 v1, v18, v1
	ds_write_b32 v28, v1 offset:64
.LBB1438_94:
	s_or_b64 exec, exec, s[0:1]
	s_waitcnt vmcnt(4)
	v_xor_b32_e32 v29, 0xffff8000, v20
	v_lshrrev_b32_sdwa v1, s44, v29 dst_sel:DWORD dst_unused:UNUSED_PAD src0_sel:DWORD src1_sel:WORD_0
	v_and_b32_e32 v2, s16, v1
	v_mul_u32_u24_e32 v1, 17, v2
	v_add_lshl_u32 v31, v27, v1, 2
	v_and_b32_e32 v1, 1, v2
	v_add_co_u32_e32 v3, vcc, -1, v1
	v_addc_co_u32_e64 v21, s[0:1], 0, -1, vcc
	v_cmp_ne_u32_e32 vcc, 0, v1
	v_xor_b32_e32 v1, vcc_hi, v21
	v_and_b32_e32 v21, exec_hi, v1
	v_lshlrev_b32_e32 v1, 30, v2
	v_xor_b32_e32 v3, vcc_lo, v3
	v_cmp_gt_i64_e32 vcc, 0, v[0:1]
	v_not_b32_e32 v1, v1
	v_ashrrev_i32_e32 v1, 31, v1
	v_and_b32_e32 v3, exec_lo, v3
	v_xor_b32_e32 v23, vcc_hi, v1
	v_xor_b32_e32 v1, vcc_lo, v1
	v_and_b32_e32 v3, v3, v1
	v_lshlrev_b32_e32 v1, 29, v2
	v_cmp_gt_i64_e32 vcc, 0, v[0:1]
	v_not_b32_e32 v1, v1
	v_ashrrev_i32_e32 v1, 31, v1
	v_and_b32_e32 v21, v21, v23
	v_xor_b32_e32 v23, vcc_hi, v1
	v_xor_b32_e32 v1, vcc_lo, v1
	v_and_b32_e32 v3, v3, v1
	v_lshlrev_b32_e32 v1, 28, v2
	v_cmp_gt_i64_e32 vcc, 0, v[0:1]
	v_not_b32_e32 v1, v1
	v_ashrrev_i32_e32 v1, 31, v1
	v_and_b32_e32 v21, v21, v23
	;; [unrolled: 8-line block ×5, first 2 shown]
	v_xor_b32_e32 v23, vcc_hi, v1
	v_xor_b32_e32 v1, vcc_lo, v1
	v_and_b32_e32 v3, v3, v1
	v_lshlrev_b32_e32 v1, 24, v2
	v_cmp_gt_i64_e32 vcc, 0, v[0:1]
	v_not_b32_e32 v0, v1
	v_ashrrev_i32_e32 v0, 31, v0
	v_xor_b32_e32 v1, vcc_hi, v0
	v_xor_b32_e32 v0, vcc_lo, v0
	; wave barrier
	ds_read_b32 v20, v31 offset:64
	v_and_b32_e32 v21, v21, v23
	v_and_b32_e32 v0, v3, v0
	v_and_b32_e32 v1, v21, v1
	v_mbcnt_lo_u32_b32 v2, v0, 0
	v_mbcnt_hi_u32_b32 v21, v1, v2
	v_cmp_eq_u32_e32 vcc, 0, v21
	v_cmp_ne_u64_e64 s[0:1], 0, v[0:1]
	s_and_b64 s[2:3], s[0:1], vcc
	; wave barrier
	s_and_saveexec_b64 s[0:1], s[2:3]
	s_cbranch_execz .LBB1438_96
; %bb.95:
	v_bcnt_u32_b32 v0, v0, 0
	v_bcnt_u32_b32 v0, v1, v0
	s_waitcnt lgkmcnt(0)
	v_add_u32_e32 v0, v20, v0
	ds_write_b32 v31, v0 offset:64
.LBB1438_96:
	s_or_b64 exec, exec, s[0:1]
	s_waitcnt vmcnt(3)
	v_xor_b32_e32 v33, 0xffff8000, v22
	v_lshrrev_b32_sdwa v0, s44, v33 dst_sel:DWORD dst_unused:UNUSED_PAD src0_sel:DWORD src1_sel:WORD_0
	v_and_b32_e32 v2, s16, v0
	v_and_b32_e32 v1, 1, v2
	v_add_co_u32_e32 v3, vcc, -1, v1
	v_addc_co_u32_e64 v23, s[0:1], 0, -1, vcc
	v_cmp_ne_u32_e32 vcc, 0, v1
	v_mul_u32_u24_e32 v0, 17, v2
	v_xor_b32_e32 v1, vcc_hi, v23
	v_add_lshl_u32 v32, v27, v0, 2
	v_mov_b32_e32 v0, 0
	v_and_b32_e32 v23, exec_hi, v1
	v_lshlrev_b32_e32 v1, 30, v2
	v_xor_b32_e32 v3, vcc_lo, v3
	v_cmp_gt_i64_e32 vcc, 0, v[0:1]
	v_not_b32_e32 v1, v1
	v_ashrrev_i32_e32 v1, 31, v1
	v_and_b32_e32 v3, exec_lo, v3
	v_xor_b32_e32 v25, vcc_hi, v1
	v_xor_b32_e32 v1, vcc_lo, v1
	v_and_b32_e32 v3, v3, v1
	v_lshlrev_b32_e32 v1, 29, v2
	v_cmp_gt_i64_e32 vcc, 0, v[0:1]
	v_not_b32_e32 v1, v1
	v_ashrrev_i32_e32 v1, 31, v1
	v_and_b32_e32 v23, v23, v25
	v_xor_b32_e32 v25, vcc_hi, v1
	v_xor_b32_e32 v1, vcc_lo, v1
	v_and_b32_e32 v3, v3, v1
	v_lshlrev_b32_e32 v1, 28, v2
	v_cmp_gt_i64_e32 vcc, 0, v[0:1]
	v_not_b32_e32 v1, v1
	v_ashrrev_i32_e32 v1, 31, v1
	v_and_b32_e32 v23, v23, v25
	;; [unrolled: 8-line block ×5, first 2 shown]
	v_xor_b32_e32 v25, vcc_hi, v1
	v_xor_b32_e32 v1, vcc_lo, v1
	v_and_b32_e32 v23, v23, v25
	v_and_b32_e32 v25, v3, v1
	v_lshlrev_b32_e32 v1, 24, v2
	v_cmp_gt_i64_e32 vcc, 0, v[0:1]
	v_not_b32_e32 v1, v1
	v_ashrrev_i32_e32 v1, 31, v1
	v_xor_b32_e32 v2, vcc_hi, v1
	v_xor_b32_e32 v1, vcc_lo, v1
	; wave barrier
	ds_read_b32 v22, v32 offset:64
	v_and_b32_e32 v3, v23, v2
	v_and_b32_e32 v2, v25, v1
	v_mbcnt_lo_u32_b32 v1, v2, 0
	v_mbcnt_hi_u32_b32 v23, v3, v1
	v_cmp_eq_u32_e32 vcc, 0, v23
	v_cmp_ne_u64_e64 s[0:1], 0, v[2:3]
	s_and_b64 s[2:3], s[0:1], vcc
	; wave barrier
	s_and_saveexec_b64 s[0:1], s[2:3]
	s_cbranch_execz .LBB1438_98
; %bb.97:
	v_bcnt_u32_b32 v1, v2, 0
	v_bcnt_u32_b32 v1, v3, v1
	s_waitcnt lgkmcnt(0)
	v_add_u32_e32 v1, v22, v1
	ds_write_b32 v32, v1 offset:64
.LBB1438_98:
	s_or_b64 exec, exec, s[0:1]
	s_waitcnt vmcnt(2)
	v_xor_b32_e32 v36, 0xffff8000, v24
	v_lshrrev_b32_sdwa v1, s44, v36 dst_sel:DWORD dst_unused:UNUSED_PAD src0_sel:DWORD src1_sel:WORD_0
	v_and_b32_e32 v2, s16, v1
	v_mul_u32_u24_e32 v1, 17, v2
	v_add_lshl_u32 v35, v27, v1, 2
	v_and_b32_e32 v1, 1, v2
	v_add_co_u32_e32 v3, vcc, -1, v1
	v_addc_co_u32_e64 v25, s[0:1], 0, -1, vcc
	v_cmp_ne_u32_e32 vcc, 0, v1
	v_xor_b32_e32 v1, vcc_hi, v25
	v_and_b32_e32 v25, exec_hi, v1
	v_lshlrev_b32_e32 v1, 30, v2
	v_xor_b32_e32 v3, vcc_lo, v3
	v_cmp_gt_i64_e32 vcc, 0, v[0:1]
	v_not_b32_e32 v1, v1
	v_ashrrev_i32_e32 v1, 31, v1
	v_and_b32_e32 v3, exec_lo, v3
	v_xor_b32_e32 v30, vcc_hi, v1
	v_xor_b32_e32 v1, vcc_lo, v1
	v_and_b32_e32 v3, v3, v1
	v_lshlrev_b32_e32 v1, 29, v2
	v_cmp_gt_i64_e32 vcc, 0, v[0:1]
	v_not_b32_e32 v1, v1
	v_ashrrev_i32_e32 v1, 31, v1
	v_and_b32_e32 v25, v25, v30
	v_xor_b32_e32 v30, vcc_hi, v1
	v_xor_b32_e32 v1, vcc_lo, v1
	v_and_b32_e32 v3, v3, v1
	v_lshlrev_b32_e32 v1, 28, v2
	v_cmp_gt_i64_e32 vcc, 0, v[0:1]
	v_not_b32_e32 v1, v1
	v_ashrrev_i32_e32 v1, 31, v1
	v_and_b32_e32 v25, v25, v30
	;; [unrolled: 8-line block ×5, first 2 shown]
	v_xor_b32_e32 v30, vcc_hi, v1
	v_xor_b32_e32 v1, vcc_lo, v1
	v_and_b32_e32 v3, v3, v1
	v_lshlrev_b32_e32 v1, 24, v2
	v_cmp_gt_i64_e32 vcc, 0, v[0:1]
	v_not_b32_e32 v0, v1
	v_ashrrev_i32_e32 v0, 31, v0
	v_xor_b32_e32 v1, vcc_hi, v0
	v_xor_b32_e32 v0, vcc_lo, v0
	; wave barrier
	ds_read_b32 v24, v35 offset:64
	v_and_b32_e32 v25, v25, v30
	v_and_b32_e32 v0, v3, v0
	;; [unrolled: 1-line block ×3, first 2 shown]
	v_mbcnt_lo_u32_b32 v2, v0, 0
	v_mbcnt_hi_u32_b32 v25, v1, v2
	v_cmp_eq_u32_e32 vcc, 0, v25
	v_cmp_ne_u64_e64 s[0:1], 0, v[0:1]
	s_and_b64 s[2:3], s[0:1], vcc
	; wave barrier
	s_and_saveexec_b64 s[0:1], s[2:3]
	s_cbranch_execz .LBB1438_100
; %bb.99:
	v_bcnt_u32_b32 v0, v0, 0
	v_bcnt_u32_b32 v0, v1, v0
	s_waitcnt lgkmcnt(0)
	v_add_u32_e32 v0, v24, v0
	ds_write_b32 v35, v0 offset:64
.LBB1438_100:
	s_or_b64 exec, exec, s[0:1]
	s_waitcnt vmcnt(1)
	v_xor_b32_e32 v43, 0xffff8000, v26
	v_lshrrev_b32_sdwa v0, s44, v43 dst_sel:DWORD dst_unused:UNUSED_PAD src0_sel:DWORD src1_sel:WORD_0
	v_and_b32_e32 v2, s16, v0
	v_and_b32_e32 v1, 1, v2
	v_add_co_u32_e32 v3, vcc, -1, v1
	v_addc_co_u32_e64 v30, s[0:1], 0, -1, vcc
	v_cmp_ne_u32_e32 vcc, 0, v1
	v_mul_u32_u24_e32 v0, 17, v2
	v_xor_b32_e32 v1, vcc_hi, v30
	v_add_lshl_u32 v41, v27, v0, 2
	v_mov_b32_e32 v0, 0
	v_and_b32_e32 v30, exec_hi, v1
	v_lshlrev_b32_e32 v1, 30, v2
	v_xor_b32_e32 v3, vcc_lo, v3
	v_cmp_gt_i64_e32 vcc, 0, v[0:1]
	v_not_b32_e32 v1, v1
	v_ashrrev_i32_e32 v1, 31, v1
	v_and_b32_e32 v3, exec_lo, v3
	v_xor_b32_e32 v34, vcc_hi, v1
	v_xor_b32_e32 v1, vcc_lo, v1
	v_and_b32_e32 v3, v3, v1
	v_lshlrev_b32_e32 v1, 29, v2
	v_cmp_gt_i64_e32 vcc, 0, v[0:1]
	v_not_b32_e32 v1, v1
	v_ashrrev_i32_e32 v1, 31, v1
	v_and_b32_e32 v30, v30, v34
	v_xor_b32_e32 v34, vcc_hi, v1
	v_xor_b32_e32 v1, vcc_lo, v1
	v_and_b32_e32 v3, v3, v1
	v_lshlrev_b32_e32 v1, 28, v2
	v_cmp_gt_i64_e32 vcc, 0, v[0:1]
	v_not_b32_e32 v1, v1
	v_ashrrev_i32_e32 v1, 31, v1
	v_and_b32_e32 v30, v30, v34
	;; [unrolled: 8-line block ×5, first 2 shown]
	v_xor_b32_e32 v34, vcc_hi, v1
	v_xor_b32_e32 v1, vcc_lo, v1
	v_and_b32_e32 v30, v30, v34
	v_and_b32_e32 v34, v3, v1
	v_lshlrev_b32_e32 v1, 24, v2
	v_cmp_gt_i64_e32 vcc, 0, v[0:1]
	v_not_b32_e32 v1, v1
	v_ashrrev_i32_e32 v1, 31, v1
	v_xor_b32_e32 v2, vcc_hi, v1
	v_xor_b32_e32 v1, vcc_lo, v1
	; wave barrier
	ds_read_b32 v26, v41 offset:64
	v_and_b32_e32 v3, v30, v2
	v_and_b32_e32 v2, v34, v1
	v_mbcnt_lo_u32_b32 v1, v2, 0
	v_mbcnt_hi_u32_b32 v30, v3, v1
	v_cmp_eq_u32_e32 vcc, 0, v30
	v_cmp_ne_u64_e64 s[0:1], 0, v[2:3]
	s_and_b64 s[2:3], s[0:1], vcc
	; wave barrier
	s_and_saveexec_b64 s[0:1], s[2:3]
	s_cbranch_execz .LBB1438_102
; %bb.101:
	v_bcnt_u32_b32 v1, v2, 0
	v_bcnt_u32_b32 v1, v3, v1
	s_waitcnt lgkmcnt(0)
	v_add_u32_e32 v1, v26, v1
	ds_write_b32 v41, v1 offset:64
.LBB1438_102:
	s_or_b64 exec, exec, s[0:1]
	s_waitcnt vmcnt(0)
	v_xor_b32_e32 v13, 0xffff8000, v13
	v_lshrrev_b32_sdwa v1, s44, v13 dst_sel:DWORD dst_unused:UNUSED_PAD src0_sel:DWORD src1_sel:WORD_0
	v_and_b32_e32 v2, s16, v1
	v_mul_u32_u24_e32 v1, 17, v2
	v_add_lshl_u32 v42, v27, v1, 2
	v_and_b32_e32 v1, 1, v2
	v_add_co_u32_e32 v3, vcc, -1, v1
	v_addc_co_u32_e64 v34, s[0:1], 0, -1, vcc
	v_cmp_ne_u32_e32 vcc, 0, v1
	v_xor_b32_e32 v1, vcc_hi, v34
	v_and_b32_e32 v34, exec_hi, v1
	v_lshlrev_b32_e32 v1, 30, v2
	v_xor_b32_e32 v3, vcc_lo, v3
	v_cmp_gt_i64_e32 vcc, 0, v[0:1]
	v_not_b32_e32 v1, v1
	v_ashrrev_i32_e32 v1, 31, v1
	v_and_b32_e32 v3, exec_lo, v3
	v_xor_b32_e32 v38, vcc_hi, v1
	v_xor_b32_e32 v1, vcc_lo, v1
	v_and_b32_e32 v3, v3, v1
	v_lshlrev_b32_e32 v1, 29, v2
	v_cmp_gt_i64_e32 vcc, 0, v[0:1]
	v_not_b32_e32 v1, v1
	v_ashrrev_i32_e32 v1, 31, v1
	v_and_b32_e32 v34, v34, v38
	v_xor_b32_e32 v38, vcc_hi, v1
	v_xor_b32_e32 v1, vcc_lo, v1
	v_and_b32_e32 v3, v3, v1
	v_lshlrev_b32_e32 v1, 28, v2
	v_cmp_gt_i64_e32 vcc, 0, v[0:1]
	v_not_b32_e32 v1, v1
	v_ashrrev_i32_e32 v1, 31, v1
	v_and_b32_e32 v34, v34, v38
	;; [unrolled: 8-line block ×5, first 2 shown]
	v_xor_b32_e32 v38, vcc_hi, v1
	v_xor_b32_e32 v1, vcc_lo, v1
	v_and_b32_e32 v3, v3, v1
	v_lshlrev_b32_e32 v1, 24, v2
	v_cmp_gt_i64_e32 vcc, 0, v[0:1]
	v_not_b32_e32 v0, v1
	v_ashrrev_i32_e32 v0, 31, v0
	v_xor_b32_e32 v1, vcc_hi, v0
	v_xor_b32_e32 v0, vcc_lo, v0
	; wave barrier
	ds_read_b32 v27, v42 offset:64
	v_and_b32_e32 v34, v34, v38
	v_and_b32_e32 v0, v3, v0
	;; [unrolled: 1-line block ×3, first 2 shown]
	v_mbcnt_lo_u32_b32 v2, v0, 0
	v_mbcnt_hi_u32_b32 v34, v1, v2
	v_cmp_eq_u32_e32 vcc, 0, v34
	v_cmp_ne_u64_e64 s[0:1], 0, v[0:1]
	v_add_u32_e32 v37, 64, v6
	s_and_b64 s[2:3], s[0:1], vcc
	; wave barrier
	s_and_saveexec_b64 s[0:1], s[2:3]
	s_cbranch_execz .LBB1438_104
; %bb.103:
	v_bcnt_u32_b32 v0, v0, 0
	v_bcnt_u32_b32 v0, v1, v0
	s_waitcnt lgkmcnt(0)
	v_add_u32_e32 v0, v27, v0
	ds_write_b32 v42, v0 offset:64
.LBB1438_104:
	s_or_b64 exec, exec, s[0:1]
	; wave barrier
	s_waitcnt lgkmcnt(0)
	s_barrier
	ds_read2_b32 v[2:3], v6 offset0:16 offset1:17
	ds_read2_b32 v[0:1], v37 offset0:2 offset1:3
	ds_read_b32 v38, v37 offset:16
	v_cmp_lt_u32_e64 s[8:9], 31, v5
	s_waitcnt lgkmcnt(1)
	v_add3_u32 v39, v3, v2, v0
	s_waitcnt lgkmcnt(0)
	v_add3_u32 v38, v39, v1, v38
	v_and_b32_e32 v39, 15, v5
	v_cmp_eq_u32_e32 vcc, 0, v39
	v_mov_b32_dpp v40, v38 row_shr:1 row_mask:0xf bank_mask:0xf
	v_cndmask_b32_e64 v40, v40, 0, vcc
	v_add_u32_e32 v38, v40, v38
	v_cmp_lt_u32_e64 s[0:1], 1, v39
	v_cmp_lt_u32_e64 s[2:3], 3, v39
	v_mov_b32_dpp v40, v38 row_shr:2 row_mask:0xf bank_mask:0xf
	v_cndmask_b32_e64 v40, 0, v40, s[0:1]
	v_add_u32_e32 v38, v38, v40
	v_cmp_lt_u32_e64 s[4:5], 7, v39
	s_nop 0
	v_mov_b32_dpp v40, v38 row_shr:4 row_mask:0xf bank_mask:0xf
	v_cndmask_b32_e64 v40, 0, v40, s[2:3]
	v_add_u32_e32 v38, v38, v40
	s_nop 1
	v_mov_b32_dpp v40, v38 row_shr:8 row_mask:0xf bank_mask:0xf
	v_cndmask_b32_e64 v39, 0, v40, s[4:5]
	v_add_u32_e32 v38, v38, v39
	v_bfe_i32 v40, v5, 4, 1
	s_nop 0
	v_mov_b32_dpp v39, v38 row_bcast:15 row_mask:0xf bank_mask:0xf
	v_and_b32_e32 v39, v40, v39
	v_add_u32_e32 v38, v38, v39
	v_and_b32_e32 v40, 63, v8
	s_nop 0
	v_mov_b32_dpp v39, v38 row_bcast:31 row_mask:0xf bank_mask:0xf
	v_cndmask_b32_e64 v39, 0, v39, s[8:9]
	v_add_u32_e32 v38, v38, v39
	v_lshrrev_b32_e32 v39, 6, v8
	v_cmp_eq_u32_e64 s[8:9], 63, v40
	s_and_saveexec_b64 s[14:15], s[8:9]
	s_cbranch_execz .LBB1438_106
; %bb.105:
	v_lshlrev_b32_e32 v40, 2, v39
	ds_write_b32 v40, v38
.LBB1438_106:
	s_or_b64 exec, exec, s[14:15]
	v_cmp_gt_u32_e64 s[8:9], 16, v8
	v_lshlrev_b32_e32 v44, 2, v8
	s_waitcnt lgkmcnt(0)
	s_barrier
	s_and_saveexec_b64 s[14:15], s[8:9]
	s_cbranch_execz .LBB1438_108
; %bb.107:
	ds_read_b32 v40, v44
	s_waitcnt lgkmcnt(0)
	s_nop 0
	v_mov_b32_dpp v45, v40 row_shr:1 row_mask:0xf bank_mask:0xf
	v_cndmask_b32_e64 v45, v45, 0, vcc
	v_add_u32_e32 v40, v45, v40
	s_nop 1
	v_mov_b32_dpp v45, v40 row_shr:2 row_mask:0xf bank_mask:0xf
	v_cndmask_b32_e64 v45, 0, v45, s[0:1]
	v_add_u32_e32 v40, v40, v45
	s_nop 1
	v_mov_b32_dpp v45, v40 row_shr:4 row_mask:0xf bank_mask:0xf
	v_cndmask_b32_e64 v45, 0, v45, s[2:3]
	;; [unrolled: 4-line block ×3, first 2 shown]
	v_add_u32_e32 v40, v40, v45
	ds_write_b32 v44, v40
.LBB1438_108:
	s_or_b64 exec, exec, s[14:15]
	v_cmp_lt_u32_e32 vcc, 63, v8
	v_mov_b32_e32 v40, 0
	s_waitcnt lgkmcnt(0)
	s_barrier
	s_and_saveexec_b64 s[0:1], vcc
	s_cbranch_execz .LBB1438_110
; %bb.109:
	v_lshl_add_u32 v39, v39, 2, -4
	ds_read_b32 v40, v39
.LBB1438_110:
	s_or_b64 exec, exec, s[0:1]
	v_add_u32_e32 v39, -1, v5
	v_and_b32_e32 v45, 64, v5
	v_cmp_lt_i32_e32 vcc, v39, v45
	v_cndmask_b32_e32 v39, v39, v5, vcc
	s_waitcnt lgkmcnt(0)
	v_add_u32_e32 v38, v40, v38
	v_lshlrev_b32_e32 v39, 2, v39
	ds_bpermute_b32 v38, v39, v38
	v_cmp_eq_u32_e32 vcc, 0, v5
	s_movk_i32 s2, 0xff
	s_movk_i32 s3, 0x100
	v_cmp_lt_u32_e64 s[0:1], s2, v8
	s_waitcnt lgkmcnt(0)
	v_cndmask_b32_e32 v5, v38, v40, vcc
	v_cmp_ne_u32_e32 vcc, 0, v8
	v_cndmask_b32_e32 v5, 0, v5, vcc
	v_add_u32_e32 v2, v5, v2
	v_add_u32_e32 v3, v2, v3
	;; [unrolled: 1-line block ×4, first 2 shown]
	ds_write2_b32 v6, v5, v2 offset0:16 offset1:17
	ds_write2_b32 v37, v3, v0 offset0:2 offset1:3
	ds_write_b32 v37, v1 offset:16
	s_waitcnt lgkmcnt(0)
	s_barrier
	ds_read_b32 v0, v7 offset:64
	ds_read_b32 v37, v11 offset:64
	;; [unrolled: 1-line block ×8, first 2 shown]
	v_cmp_gt_u32_e32 vcc, s3, v8
                                        ; implicit-def: $vgpr31
                                        ; implicit-def: $vgpr32
	s_and_saveexec_b64 s[4:5], vcc
	s_cbranch_execz .LBB1438_114
; %bb.111:
	v_mul_u32_u24_e32 v1, 17, v8
	v_lshlrev_b32_e32 v2, 2, v1
	ds_read_b32 v31, v2 offset:64
	v_cmp_ne_u32_e64 s[2:3], s2, v8
	v_mov_b32_e32 v1, 0x2000
	s_and_saveexec_b64 s[8:9], s[2:3]
	s_cbranch_execz .LBB1438_113
; %bb.112:
	ds_read_b32 v1, v2 offset:132
.LBB1438_113:
	s_or_b64 exec, exec, s[8:9]
	s_waitcnt lgkmcnt(0)
	v_sub_u32_e32 v32, v1, v31
.LBB1438_114:
	s_or_b64 exec, exec, s[4:5]
	s_waitcnt lgkmcnt(7)
	v_add_u32_e32 v35, v0, v9
	v_add_u32_e32 v11, v17, v16
	v_lshlrev_b32_e32 v0, 1, v35
	v_add_u32_e32 v7, v19, v18
	s_waitcnt lgkmcnt(0)
	s_barrier
	ds_write_b16 v0, v4 offset:1024
	v_add_lshl_u32 v0, v11, v37, 1
	v_add_u32_e32 v6, v21, v20
	ds_write_b16 v0, v10 offset:1024
	v_add_lshl_u32 v0, v7, v28, 1
	v_add_u32_e32 v5, v23, v22
	ds_write_b16 v0, v12 offset:1024
	v_add_lshl_u32 v0, v6, v38, 1
	v_add_u32_e32 v3, v25, v24
	ds_write_b16 v0, v29 offset:1024
	v_add_lshl_u32 v0, v5, v39, 1
	v_add_u32_e32 v2, v30, v26
	ds_write_b16 v0, v33 offset:1024
	v_add_lshl_u32 v0, v3, v40, 1
	v_add_u32_e32 v1, v34, v27
	ds_write_b16 v0, v36 offset:1024
	v_add_lshl_u32 v0, v2, v41, 1
	ds_write_b16 v0, v43 offset:1024
	v_add_lshl_u32 v0, v1, v42, 1
	ds_write_b16 v0, v13 offset:1024
                                        ; implicit-def: $vgpr10_vgpr11
	s_and_saveexec_b64 s[2:3], s[0:1]
	s_xor_b64 s[0:1], exec, s[2:3]
; %bb.115:
	v_mov_b32_e32 v9, 0
	v_pk_mov_b32 v[10:11], v[8:9], v[8:9] op_sel:[0,1]
                                        ; implicit-def: $vgpr44
; %bb.116:
	s_andn2_saveexec_b64 s[2:3], s[0:1]
	s_cbranch_execz .LBB1438_126
; %bb.117:
	v_lshl_or_b32 v0, s6, 8, v8
	v_mov_b32_e32 v1, 0
	v_lshlrev_b64 v[2:3], 2, v[0:1]
	v_mov_b32_e32 v6, s35
	v_add_co_u32_e64 v2, s[0:1], s34, v2
	v_addc_co_u32_e64 v3, s[0:1], v6, v3, s[0:1]
	v_or_b32_e32 v0, 2.0, v32
	s_mov_b64 s[4:5], 0
	s_brev_b32 s17, 1
	s_mov_b32 s18, s6
	v_mov_b32_e32 v7, 0
	global_store_dword v[2:3], v0, off
                                        ; implicit-def: $sgpr0_sgpr1
	s_branch .LBB1438_120
.LBB1438_118:                           ;   in Loop: Header=BB1438_120 Depth=1
	s_or_b64 exec, exec, s[14:15]
.LBB1438_119:                           ;   in Loop: Header=BB1438_120 Depth=1
	s_or_b64 exec, exec, s[8:9]
	v_and_b32_e32 v4, 0x3fffffff, v9
	v_add_u32_e32 v7, v4, v7
	v_cmp_eq_u32_e64 s[0:1], s17, v0
	s_and_b64 s[8:9], exec, s[0:1]
	s_or_b64 s[4:5], s[8:9], s[4:5]
	s_andn2_b64 exec, exec, s[4:5]
	s_cbranch_execz .LBB1438_125
.LBB1438_120:                           ; =>This Loop Header: Depth=1
                                        ;     Child Loop BB1438_123 Depth 2
	s_or_b64 s[0:1], s[0:1], exec
	s_cmp_eq_u32 s18, 0
	s_cbranch_scc1 .LBB1438_124
; %bb.121:                              ;   in Loop: Header=BB1438_120 Depth=1
	s_add_i32 s18, s18, -1
	v_lshl_or_b32 v0, s18, 8, v8
	v_lshlrev_b64 v[4:5], 2, v[0:1]
	v_add_co_u32_e64 v4, s[0:1], s34, v4
	v_addc_co_u32_e64 v5, s[0:1], v6, v5, s[0:1]
	global_load_dword v9, v[4:5], off glc
	s_waitcnt vmcnt(0)
	v_and_b32_e32 v0, -2.0, v9
	v_cmp_eq_u32_e64 s[0:1], 0, v0
	s_and_saveexec_b64 s[8:9], s[0:1]
	s_cbranch_execz .LBB1438_119
; %bb.122:                              ;   in Loop: Header=BB1438_120 Depth=1
	s_mov_b64 s[14:15], 0
.LBB1438_123:                           ;   Parent Loop BB1438_120 Depth=1
                                        ; =>  This Inner Loop Header: Depth=2
	global_load_dword v9, v[4:5], off glc
	s_waitcnt vmcnt(0)
	v_and_b32_e32 v0, -2.0, v9
	v_cmp_ne_u32_e64 s[0:1], 0, v0
	s_or_b64 s[14:15], s[0:1], s[14:15]
	s_andn2_b64 exec, exec, s[14:15]
	s_cbranch_execnz .LBB1438_123
	s_branch .LBB1438_118
.LBB1438_124:                           ;   in Loop: Header=BB1438_120 Depth=1
                                        ; implicit-def: $sgpr18
	s_and_b64 s[8:9], exec, s[0:1]
	s_or_b64 s[4:5], s[8:9], s[4:5]
	s_andn2_b64 exec, exec, s[4:5]
	s_cbranch_execnz .LBB1438_120
.LBB1438_125:
	s_or_b64 exec, exec, s[4:5]
	v_add_u32_e32 v0, v7, v32
	v_or_b32_e32 v0, 0x80000000, v0
	global_store_dword v[2:3], v0, off
	global_load_dword v0, v44, s[28:29]
	v_mov_b32_e32 v9, 0
	v_sub_u32_e32 v1, v7, v31
	v_pk_mov_b32 v[10:11], v[8:9], v[8:9] op_sel:[0,1]
	s_waitcnt vmcnt(0)
	v_add_u32_e32 v0, v1, v0
	ds_write_b32 v44, v0
.LBB1438_126:
	s_or_b64 exec, exec, s[2:3]
	v_lshlrev_b32_e32 v0, 1, v10
	s_waitcnt lgkmcnt(0)
	s_barrier
	v_lshlrev_b32_e32 v9, 1, v8
	ds_read_u16 v1, v0 offset:1024
	ds_read_u16 v2, v9 offset:3072
	;; [unrolled: 1-line block ×5, first 2 shown]
	s_waitcnt lgkmcnt(4)
	v_lshrrev_b32_sdwa v0, s44, v1 dst_sel:DWORD dst_unused:UNUSED_PAD src0_sel:DWORD src1_sel:WORD_0
	v_and_b32_e32 v0, s16, v0
	v_lshlrev_b32_e32 v3, 2, v0
	ds_read_b32 v4, v3
	s_waitcnt lgkmcnt(3)
	v_lshrrev_b32_sdwa v3, s44, v29 dst_sel:DWORD dst_unused:UNUSED_PAD src0_sel:DWORD src1_sel:WORD_0
	v_and_b32_e32 v3, s16, v3
	s_waitcnt lgkmcnt(2)
	v_lshrrev_b32_sdwa v5, s44, v33 dst_sel:DWORD dst_unused:UNUSED_PAD src0_sel:DWORD src1_sel:WORD_0
	v_lshlrev_b32_e32 v6, 2, v3
	v_and_b32_e32 v5, s16, v5
	s_waitcnt lgkmcnt(0)
	v_add_u32_e32 v12, v4, v8
	v_mov_b32_e32 v13, 0
	v_lshlrev_b32_e32 v7, 2, v5
	ds_read_b32 v43, v6
	ds_read_b32 v46, v7
	v_lshrrev_b32_sdwa v6, s44, v36 dst_sel:DWORD dst_unused:UNUSED_PAD src0_sel:DWORD src1_sel:WORD_0
	v_lshlrev_b64 v[44:45], 1, v[12:13]
	v_and_b32_e32 v7, s16, v6
	v_mov_b32_e32 v4, s39
	v_add_co_u32_e64 v44, s[0:1], s38, v44
	v_lshlrev_b32_e32 v6, 2, v7
	v_addc_co_u32_e64 v45, s[0:1], v4, v45, s[0:1]
	v_xor_b32_e32 v1, 0xffff8000, v1
	ds_read_b32 v47, v6
	ds_read_u16 v48, v9 offset:5120
	ds_read_u16 v49, v9 offset:9216
	;; [unrolled: 1-line block ×3, first 2 shown]
	global_store_short v[44:45], v1, off
	v_lshrrev_b32_sdwa v1, s44, v2 dst_sel:DWORD dst_unused:UNUSED_PAD src0_sel:DWORD src1_sel:WORD_0
	v_and_b32_e32 v1, s16, v1
	v_lshlrev_b32_e32 v4, 2, v1
	ds_read_b32 v4, v4
	s_movk_i32 s2, 0x400
	v_xor_b32_e32 v2, 0xffff8000, v2
	v_mov_b32_e32 v53, s39
	v_lshlrev_b32_e32 v14, 3, v14
	s_waitcnt lgkmcnt(0)
	v_add3_u32 v12, v4, v8, s2
	v_lshlrev_b64 v[44:45], 1, v[12:13]
	v_mov_b32_e32 v4, s39
	v_add_co_u32_e64 v44, s[0:1], s38, v44
	v_addc_co_u32_e64 v45, s[0:1], v4, v45, s[0:1]
	global_store_short v[44:45], v2, off
	v_lshrrev_b32_sdwa v2, s44, v48 dst_sel:DWORD dst_unused:UNUSED_PAD src0_sel:DWORD src1_sel:WORD_0
	v_and_b32_e32 v2, s16, v2
	v_lshlrev_b32_e32 v4, 2, v2
	ds_read_b32 v12, v4
	v_lshrrev_b32_sdwa v4, s44, v49 dst_sel:DWORD dst_unused:UNUSED_PAD src0_sel:DWORD src1_sel:WORD_0
	v_and_b32_e32 v4, s16, v4
	v_lshlrev_b32_e32 v6, 2, v4
	ds_read_b32 v51, v6
	v_lshrrev_b32_sdwa v6, s44, v50 dst_sel:DWORD dst_unused:UNUSED_PAD src0_sel:DWORD src1_sel:WORD_0
	s_movk_i32 s0, 0x800
	v_and_b32_e32 v6, s16, v6
	v_lshlrev_b32_e32 v44, 2, v6
	s_waitcnt lgkmcnt(1)
	v_add3_u32 v12, v12, v8, s0
	ds_read_b32 v52, v44
	v_lshlrev_b64 v[44:45], 1, v[12:13]
	v_add_co_u32_e64 v44, s[0:1], s38, v44
	v_addc_co_u32_e64 v45, s[0:1], v53, v45, s[0:1]
	v_xor_b32_e32 v12, 0xffff8000, v48
	s_movk_i32 s0, 0xc00
	global_store_short v[44:45], v12, off
	v_add3_u32 v12, v43, v8, s0
	v_lshlrev_b64 v[44:45], 1, v[12:13]
	v_mov_b32_e32 v43, s39
	v_add_co_u32_e64 v44, s[0:1], s38, v44
	v_addc_co_u32_e64 v45, s[0:1], v43, v45, s[0:1]
	v_xor_b32_e32 v12, 0xffff8000, v29
	s_movk_i32 s0, 0x1000
	global_store_short v[44:45], v12, off
	s_waitcnt lgkmcnt(1)
	v_add3_u32 v12, v51, v8, s0
	v_lshlrev_b64 v[44:45], 1, v[12:13]
	v_mov_b32_e32 v29, s39
	v_add_co_u32_e64 v44, s[0:1], s38, v44
	v_addc_co_u32_e64 v45, s[0:1], v29, v45, s[0:1]
	v_xor_b32_e32 v12, 0xffff8000, v49
	s_movk_i32 s0, 0x1400
	global_store_short v[44:45], v12, off
	v_add3_u32 v12, v46, v8, s0
	v_lshlrev_b64 v[44:45], 1, v[12:13]
	v_add_co_u32_e64 v44, s[0:1], s38, v44
	v_addc_co_u32_e64 v45, s[0:1], v29, v45, s[0:1]
	v_xor_b32_e32 v12, 0xffff8000, v33
	s_movk_i32 s0, 0x1800
	global_store_short v[44:45], v12, off
	s_waitcnt lgkmcnt(0)
	v_add3_u32 v12, v52, v8, s0
	v_lshlrev_b64 v[44:45], 1, v[12:13]
	v_add_co_u32_e64 v44, s[0:1], s38, v44
	v_addc_co_u32_e64 v45, s[0:1], v29, v45, s[0:1]
	v_xor_b32_e32 v12, 0xffff8000, v50
	s_movk_i32 s0, 0x1c00
	global_store_short v[44:45], v12, off
	v_add3_u32 v12, v47, v8, s0
	v_lshlrev_b64 v[44:45], 1, v[12:13]
	v_add_co_u32_e64 v44, s[0:1], s38, v44
	v_addc_co_u32_e64 v45, s[0:1], v29, v45, s[0:1]
	s_lshl_b64 s[0:1], s[12:13], 3
	v_xor_b32_e32 v12, 0xffff8000, v36
	s_add_u32 s0, s40, s0
	global_store_short v[44:45], v12, off
	s_addc_u32 s1, s41, s1
	v_lshlrev_b32_e32 v12, 3, v15
	v_mov_b32_e32 v15, s1
	v_add_co_u32_e64 v12, s[0:1], s0, v12
	v_addc_co_u32_e64 v15, s[0:1], 0, v15, s[0:1]
	v_add3_u32 v33, v34, v42, v27
	v_add3_u32 v34, v25, v40, v24
	v_add_co_u32_e64 v40, s[0:1], v12, v14
	v_add3_u32 v30, v30, v41, v26
	v_addc_co_u32_e64 v41, s[0:1], 0, v15, s[0:1]
	v_add3_u32 v36, v23, v39, v22
	v_add3_u32 v38, v21, v38, v20
	;; [unrolled: 1-line block ×4, first 2 shown]
	global_load_dwordx2 v[14:15], v[40:41], off
	global_load_dwordx2 v[16:17], v[40:41], off offset:512
	global_load_dwordx2 v[18:19], v[40:41], off offset:1024
	;; [unrolled: 1-line block ×7, first 2 shown]
	v_add_u32_e32 v9, 0x400, v9
	v_mul_u32_u24_e32 v12, 6, v8
	v_add_u32_e32 v9, v9, v12
	s_mov_b32 s3, 1
	s_mov_b32 s4, 0
	v_lshlrev_b32_e32 v40, 3, v10
	s_barrier
	s_waitcnt vmcnt(0)
.LBB1438_127:                           ; =>This Inner Loop Header: Depth=1
	v_add_u32_e32 v12, s4, v35
	v_min_u32_e32 v12, 0x800, v12
	v_lshlrev_b32_e32 v12, 3, v12
	ds_write_b64 v12, v[14:15] offset:1024
	v_add_u32_e32 v12, s4, v37
	v_min_u32_e32 v12, 0x800, v12
	v_lshlrev_b32_e32 v12, 3, v12
	ds_write_b64 v12, v[16:17] offset:1024
	;; [unrolled: 4-line block ×7, first 2 shown]
	v_add_u32_e32 v12, s4, v33
	s_add_i32 s5, s3, -1
	v_min_u32_e32 v12, 0x800, v12
	s_cmp_eq_u32 s5, 1
	v_lshlrev_b32_e32 v12, 3, v12
	s_cselect_b64 s[0:1], -1, 0
	s_cmp_eq_u32 s5, 2
	ds_write_b64 v12, v[28:29] offset:1024
	v_cndmask_b32_e64 v12, v0, v1, s[0:1]
	s_cselect_b64 s[0:1], -1, 0
	s_cmp_eq_u32 s5, 3
	v_cndmask_b32_e64 v12, v12, v2, s[0:1]
	s_cselect_b64 s[0:1], -1, 0
	s_cmp_eq_u32 s5, 4
	;; [unrolled: 3-line block ×10, first 2 shown]
	v_lshlrev_b32_e32 v12, 2, v12
	v_cndmask_b32_e64 v41, v41, v4, s[0:1]
	s_cselect_b64 s[0:1], -1, 0
	s_cmp_eq_u32 s3, 6
	s_waitcnt lgkmcnt(0)
	s_barrier
	ds_read_b32 v12, v12
	v_cndmask_b32_e64 v41, v41, v5, s[0:1]
	s_cselect_b64 s[0:1], -1, 0
	s_cmp_eq_u32 s3, 7
	v_cndmask_b32_e64 v41, v41, v6, s[0:1]
	s_cselect_b64 s[0:1], -1, 0
	v_cndmask_b32_e64 v41, v41, v7, s[0:1]
	v_lshlrev_b32_e32 v41, 2, v41
	ds_read_b32 v41, v41
	ds_read_b64 v[42:43], v9 offset:8192
	ds_read_b64 v[46:47], v40 offset:1024
	s_waitcnt lgkmcnt(3)
	v_add_u32_e32 v12, v8, v12
	v_lshlrev_b64 v[44:45], 3, v[12:13]
	v_mov_b32_e32 v48, s43
	v_add_co_u32_e64 v44, s[0:1], s42, v44
	v_addc_co_u32_e64 v45, s[0:1], v48, v45, s[0:1]
	s_waitcnt lgkmcnt(2)
	v_add3_u32 v12, v8, v41, s2
	s_waitcnt lgkmcnt(0)
	global_store_dwordx2 v[44:45], v[46:47], off
	v_lshlrev_b64 v[44:45], 3, v[12:13]
	v_add_co_u32_e64 v44, s[0:1], s42, v44
	s_addk_i32 s4, 0xf800
	s_add_i32 s3, s3, 2
	v_addc_co_u32_e64 v45, s[0:1], v48, v45, s[0:1]
	s_cmpk_lg_i32 s4, 0xe000
	v_add_u32_e32 v8, 0x800, v8
	global_store_dwordx2 v[44:45], v[42:43], off
	s_barrier
	s_cbranch_scc1 .LBB1438_127
; %bb.128:
	s_add_i32 s7, s7, -1
	s_cmp_eq_u32 s7, s6
	s_cselect_b64 s[0:1], -1, 0
	s_and_b64 s[2:3], vcc, s[0:1]
                                        ; implicit-def: $vgpr2
	s_and_saveexec_b64 s[0:1], s[2:3]
; %bb.129:
	v_add_u32_e32 v2, v31, v32
	s_or_b64 s[10:11], s[10:11], exec
; %bb.130:
	s_or_b64 exec, exec, s[0:1]
.LBB1438_131:
	s_and_saveexec_b64 s[0:1], s[10:11]
	s_cbranch_execnz .LBB1438_133
; %bb.132:
	s_endpgm
.LBB1438_133:
	v_lshlrev_b32_e32 v3, 2, v10
	ds_read_b32 v3, v3
	v_lshlrev_b64 v[0:1], 2, v[10:11]
	v_mov_b32_e32 v4, s31
	v_add_co_u32_e32 v0, vcc, s30, v0
	v_addc_co_u32_e32 v1, vcc, v4, v1, vcc
	s_waitcnt lgkmcnt(0)
	v_add_u32_e32 v2, v3, v2
	global_store_dword v[0:1], v2, off
	s_endpgm
.LBB1438_134:
	global_load_dwordx2 v[12:13], v[28:29], off
	s_or_b64 exec, exec, s[18:19]
                                        ; implicit-def: $vgpr14_vgpr15
	s_and_saveexec_b64 s[18:19], s[0:1]
	s_cbranch_execz .LBB1438_71
.LBB1438_135:
	global_load_dwordx2 v[14:15], v[28:29], off offset:512
	s_or_b64 exec, exec, s[18:19]
                                        ; implicit-def: $vgpr16_vgpr17
	s_and_saveexec_b64 s[0:1], s[2:3]
	s_cbranch_execz .LBB1438_72
.LBB1438_136:
	global_load_dwordx2 v[16:17], v[28:29], off offset:1024
	s_or_b64 exec, exec, s[0:1]
                                        ; implicit-def: $vgpr18_vgpr19
	s_and_saveexec_b64 s[0:1], s[24:25]
	s_cbranch_execz .LBB1438_73
.LBB1438_137:
	global_load_dwordx2 v[18:19], v[28:29], off offset:1536
	s_or_b64 exec, exec, s[0:1]
                                        ; implicit-def: $vgpr20_vgpr21
	s_and_saveexec_b64 s[0:1], s[8:9]
	s_cbranch_execz .LBB1438_74
.LBB1438_138:
	global_load_dwordx2 v[20:21], v[28:29], off offset:2048
	s_or_b64 exec, exec, s[0:1]
                                        ; implicit-def: $vgpr22_vgpr23
	s_and_saveexec_b64 s[0:1], s[10:11]
	s_cbranch_execz .LBB1438_75
.LBB1438_139:
	global_load_dwordx2 v[22:23], v[28:29], off offset:2560
	s_or_b64 exec, exec, s[0:1]
                                        ; implicit-def: $vgpr24_vgpr25
	s_and_saveexec_b64 s[0:1], s[12:13]
	s_cbranch_execz .LBB1438_76
.LBB1438_140:
	global_load_dwordx2 v[24:25], v[28:29], off offset:3072
	s_or_b64 exec, exec, s[0:1]
                                        ; implicit-def: $vgpr26_vgpr27
	s_and_saveexec_b64 s[0:1], s[14:15]
	s_cbranch_execnz .LBB1438_77
	s_branch .LBB1438_78
	.section	.rodata,"a",@progbits
	.p2align	6, 0x0
	.amdhsa_kernel _ZN7rocprim17ROCPRIM_400000_NS6detail17trampoline_kernelINS0_14default_configENS1_35radix_sort_onesweep_config_selectorIslEEZZNS1_29radix_sort_onesweep_iterationIS3_Lb0EPsS7_N6thrust23THRUST_200600_302600_NS10device_ptrIlEESB_jNS0_19identity_decomposerENS1_16block_id_wrapperIjLb0EEEEE10hipError_tT1_PNSt15iterator_traitsISG_E10value_typeET2_T3_PNSH_ISM_E10value_typeET4_T5_PSR_SS_PNS1_23onesweep_lookback_stateEbbT6_jjT7_P12ihipStream_tbENKUlT_T0_SG_SL_E_clIS7_S7_SB_PlEEDaSZ_S10_SG_SL_EUlSZ_E_NS1_11comp_targetILNS1_3genE4ELNS1_11target_archE910ELNS1_3gpuE8ELNS1_3repE0EEENS1_47radix_sort_onesweep_sort_config_static_selectorELNS0_4arch9wavefront6targetE1EEEvSG_
		.amdhsa_group_segment_fixed_size 20552
		.amdhsa_private_segment_fixed_size 0
		.amdhsa_kernarg_size 344
		.amdhsa_user_sgpr_count 6
		.amdhsa_user_sgpr_private_segment_buffer 1
		.amdhsa_user_sgpr_dispatch_ptr 0
		.amdhsa_user_sgpr_queue_ptr 0
		.amdhsa_user_sgpr_kernarg_segment_ptr 1
		.amdhsa_user_sgpr_dispatch_id 0
		.amdhsa_user_sgpr_flat_scratch_init 0
		.amdhsa_user_sgpr_kernarg_preload_length 0
		.amdhsa_user_sgpr_kernarg_preload_offset 0
		.amdhsa_user_sgpr_private_segment_size 0
		.amdhsa_uses_dynamic_stack 0
		.amdhsa_system_sgpr_private_segment_wavefront_offset 0
		.amdhsa_system_sgpr_workgroup_id_x 1
		.amdhsa_system_sgpr_workgroup_id_y 0
		.amdhsa_system_sgpr_workgroup_id_z 0
		.amdhsa_system_sgpr_workgroup_info 0
		.amdhsa_system_vgpr_workitem_id 2
		.amdhsa_next_free_vgpr 55
		.amdhsa_next_free_sgpr 53
		.amdhsa_accum_offset 56
		.amdhsa_reserve_vcc 1
		.amdhsa_reserve_flat_scratch 0
		.amdhsa_float_round_mode_32 0
		.amdhsa_float_round_mode_16_64 0
		.amdhsa_float_denorm_mode_32 3
		.amdhsa_float_denorm_mode_16_64 3
		.amdhsa_dx10_clamp 1
		.amdhsa_ieee_mode 1
		.amdhsa_fp16_overflow 0
		.amdhsa_tg_split 0
		.amdhsa_exception_fp_ieee_invalid_op 0
		.amdhsa_exception_fp_denorm_src 0
		.amdhsa_exception_fp_ieee_div_zero 0
		.amdhsa_exception_fp_ieee_overflow 0
		.amdhsa_exception_fp_ieee_underflow 0
		.amdhsa_exception_fp_ieee_inexact 0
		.amdhsa_exception_int_div_zero 0
	.end_amdhsa_kernel
	.section	.text._ZN7rocprim17ROCPRIM_400000_NS6detail17trampoline_kernelINS0_14default_configENS1_35radix_sort_onesweep_config_selectorIslEEZZNS1_29radix_sort_onesweep_iterationIS3_Lb0EPsS7_N6thrust23THRUST_200600_302600_NS10device_ptrIlEESB_jNS0_19identity_decomposerENS1_16block_id_wrapperIjLb0EEEEE10hipError_tT1_PNSt15iterator_traitsISG_E10value_typeET2_T3_PNSH_ISM_E10value_typeET4_T5_PSR_SS_PNS1_23onesweep_lookback_stateEbbT6_jjT7_P12ihipStream_tbENKUlT_T0_SG_SL_E_clIS7_S7_SB_PlEEDaSZ_S10_SG_SL_EUlSZ_E_NS1_11comp_targetILNS1_3genE4ELNS1_11target_archE910ELNS1_3gpuE8ELNS1_3repE0EEENS1_47radix_sort_onesweep_sort_config_static_selectorELNS0_4arch9wavefront6targetE1EEEvSG_,"axG",@progbits,_ZN7rocprim17ROCPRIM_400000_NS6detail17trampoline_kernelINS0_14default_configENS1_35radix_sort_onesweep_config_selectorIslEEZZNS1_29radix_sort_onesweep_iterationIS3_Lb0EPsS7_N6thrust23THRUST_200600_302600_NS10device_ptrIlEESB_jNS0_19identity_decomposerENS1_16block_id_wrapperIjLb0EEEEE10hipError_tT1_PNSt15iterator_traitsISG_E10value_typeET2_T3_PNSH_ISM_E10value_typeET4_T5_PSR_SS_PNS1_23onesweep_lookback_stateEbbT6_jjT7_P12ihipStream_tbENKUlT_T0_SG_SL_E_clIS7_S7_SB_PlEEDaSZ_S10_SG_SL_EUlSZ_E_NS1_11comp_targetILNS1_3genE4ELNS1_11target_archE910ELNS1_3gpuE8ELNS1_3repE0EEENS1_47radix_sort_onesweep_sort_config_static_selectorELNS0_4arch9wavefront6targetE1EEEvSG_,comdat
.Lfunc_end1438:
	.size	_ZN7rocprim17ROCPRIM_400000_NS6detail17trampoline_kernelINS0_14default_configENS1_35radix_sort_onesweep_config_selectorIslEEZZNS1_29radix_sort_onesweep_iterationIS3_Lb0EPsS7_N6thrust23THRUST_200600_302600_NS10device_ptrIlEESB_jNS0_19identity_decomposerENS1_16block_id_wrapperIjLb0EEEEE10hipError_tT1_PNSt15iterator_traitsISG_E10value_typeET2_T3_PNSH_ISM_E10value_typeET4_T5_PSR_SS_PNS1_23onesweep_lookback_stateEbbT6_jjT7_P12ihipStream_tbENKUlT_T0_SG_SL_E_clIS7_S7_SB_PlEEDaSZ_S10_SG_SL_EUlSZ_E_NS1_11comp_targetILNS1_3genE4ELNS1_11target_archE910ELNS1_3gpuE8ELNS1_3repE0EEENS1_47radix_sort_onesweep_sort_config_static_selectorELNS0_4arch9wavefront6targetE1EEEvSG_, .Lfunc_end1438-_ZN7rocprim17ROCPRIM_400000_NS6detail17trampoline_kernelINS0_14default_configENS1_35radix_sort_onesweep_config_selectorIslEEZZNS1_29radix_sort_onesweep_iterationIS3_Lb0EPsS7_N6thrust23THRUST_200600_302600_NS10device_ptrIlEESB_jNS0_19identity_decomposerENS1_16block_id_wrapperIjLb0EEEEE10hipError_tT1_PNSt15iterator_traitsISG_E10value_typeET2_T3_PNSH_ISM_E10value_typeET4_T5_PSR_SS_PNS1_23onesweep_lookback_stateEbbT6_jjT7_P12ihipStream_tbENKUlT_T0_SG_SL_E_clIS7_S7_SB_PlEEDaSZ_S10_SG_SL_EUlSZ_E_NS1_11comp_targetILNS1_3genE4ELNS1_11target_archE910ELNS1_3gpuE8ELNS1_3repE0EEENS1_47radix_sort_onesweep_sort_config_static_selectorELNS0_4arch9wavefront6targetE1EEEvSG_
                                        ; -- End function
	.section	.AMDGPU.csdata,"",@progbits
; Kernel info:
; codeLenInByte = 13608
; NumSgprs: 57
; NumVgprs: 55
; NumAgprs: 0
; TotalNumVgprs: 55
; ScratchSize: 0
; MemoryBound: 0
; FloatMode: 240
; IeeeMode: 1
; LDSByteSize: 20552 bytes/workgroup (compile time only)
; SGPRBlocks: 7
; VGPRBlocks: 6
; NumSGPRsForWavesPerEU: 57
; NumVGPRsForWavesPerEU: 55
; AccumOffset: 56
; Occupancy: 8
; WaveLimiterHint : 1
; COMPUTE_PGM_RSRC2:SCRATCH_EN: 0
; COMPUTE_PGM_RSRC2:USER_SGPR: 6
; COMPUTE_PGM_RSRC2:TRAP_HANDLER: 0
; COMPUTE_PGM_RSRC2:TGID_X_EN: 1
; COMPUTE_PGM_RSRC2:TGID_Y_EN: 0
; COMPUTE_PGM_RSRC2:TGID_Z_EN: 0
; COMPUTE_PGM_RSRC2:TIDIG_COMP_CNT: 2
; COMPUTE_PGM_RSRC3_GFX90A:ACCUM_OFFSET: 13
; COMPUTE_PGM_RSRC3_GFX90A:TG_SPLIT: 0
	.section	.text._ZN7rocprim17ROCPRIM_400000_NS6detail17trampoline_kernelINS0_14default_configENS1_35radix_sort_onesweep_config_selectorIslEEZZNS1_29radix_sort_onesweep_iterationIS3_Lb0EPsS7_N6thrust23THRUST_200600_302600_NS10device_ptrIlEESB_jNS0_19identity_decomposerENS1_16block_id_wrapperIjLb0EEEEE10hipError_tT1_PNSt15iterator_traitsISG_E10value_typeET2_T3_PNSH_ISM_E10value_typeET4_T5_PSR_SS_PNS1_23onesweep_lookback_stateEbbT6_jjT7_P12ihipStream_tbENKUlT_T0_SG_SL_E_clIS7_S7_SB_PlEEDaSZ_S10_SG_SL_EUlSZ_E_NS1_11comp_targetILNS1_3genE3ELNS1_11target_archE908ELNS1_3gpuE7ELNS1_3repE0EEENS1_47radix_sort_onesweep_sort_config_static_selectorELNS0_4arch9wavefront6targetE1EEEvSG_,"axG",@progbits,_ZN7rocprim17ROCPRIM_400000_NS6detail17trampoline_kernelINS0_14default_configENS1_35radix_sort_onesweep_config_selectorIslEEZZNS1_29radix_sort_onesweep_iterationIS3_Lb0EPsS7_N6thrust23THRUST_200600_302600_NS10device_ptrIlEESB_jNS0_19identity_decomposerENS1_16block_id_wrapperIjLb0EEEEE10hipError_tT1_PNSt15iterator_traitsISG_E10value_typeET2_T3_PNSH_ISM_E10value_typeET4_T5_PSR_SS_PNS1_23onesweep_lookback_stateEbbT6_jjT7_P12ihipStream_tbENKUlT_T0_SG_SL_E_clIS7_S7_SB_PlEEDaSZ_S10_SG_SL_EUlSZ_E_NS1_11comp_targetILNS1_3genE3ELNS1_11target_archE908ELNS1_3gpuE7ELNS1_3repE0EEENS1_47radix_sort_onesweep_sort_config_static_selectorELNS0_4arch9wavefront6targetE1EEEvSG_,comdat
	.protected	_ZN7rocprim17ROCPRIM_400000_NS6detail17trampoline_kernelINS0_14default_configENS1_35radix_sort_onesweep_config_selectorIslEEZZNS1_29radix_sort_onesweep_iterationIS3_Lb0EPsS7_N6thrust23THRUST_200600_302600_NS10device_ptrIlEESB_jNS0_19identity_decomposerENS1_16block_id_wrapperIjLb0EEEEE10hipError_tT1_PNSt15iterator_traitsISG_E10value_typeET2_T3_PNSH_ISM_E10value_typeET4_T5_PSR_SS_PNS1_23onesweep_lookback_stateEbbT6_jjT7_P12ihipStream_tbENKUlT_T0_SG_SL_E_clIS7_S7_SB_PlEEDaSZ_S10_SG_SL_EUlSZ_E_NS1_11comp_targetILNS1_3genE3ELNS1_11target_archE908ELNS1_3gpuE7ELNS1_3repE0EEENS1_47radix_sort_onesweep_sort_config_static_selectorELNS0_4arch9wavefront6targetE1EEEvSG_ ; -- Begin function _ZN7rocprim17ROCPRIM_400000_NS6detail17trampoline_kernelINS0_14default_configENS1_35radix_sort_onesweep_config_selectorIslEEZZNS1_29radix_sort_onesweep_iterationIS3_Lb0EPsS7_N6thrust23THRUST_200600_302600_NS10device_ptrIlEESB_jNS0_19identity_decomposerENS1_16block_id_wrapperIjLb0EEEEE10hipError_tT1_PNSt15iterator_traitsISG_E10value_typeET2_T3_PNSH_ISM_E10value_typeET4_T5_PSR_SS_PNS1_23onesweep_lookback_stateEbbT6_jjT7_P12ihipStream_tbENKUlT_T0_SG_SL_E_clIS7_S7_SB_PlEEDaSZ_S10_SG_SL_EUlSZ_E_NS1_11comp_targetILNS1_3genE3ELNS1_11target_archE908ELNS1_3gpuE7ELNS1_3repE0EEENS1_47radix_sort_onesweep_sort_config_static_selectorELNS0_4arch9wavefront6targetE1EEEvSG_
	.globl	_ZN7rocprim17ROCPRIM_400000_NS6detail17trampoline_kernelINS0_14default_configENS1_35radix_sort_onesweep_config_selectorIslEEZZNS1_29radix_sort_onesweep_iterationIS3_Lb0EPsS7_N6thrust23THRUST_200600_302600_NS10device_ptrIlEESB_jNS0_19identity_decomposerENS1_16block_id_wrapperIjLb0EEEEE10hipError_tT1_PNSt15iterator_traitsISG_E10value_typeET2_T3_PNSH_ISM_E10value_typeET4_T5_PSR_SS_PNS1_23onesweep_lookback_stateEbbT6_jjT7_P12ihipStream_tbENKUlT_T0_SG_SL_E_clIS7_S7_SB_PlEEDaSZ_S10_SG_SL_EUlSZ_E_NS1_11comp_targetILNS1_3genE3ELNS1_11target_archE908ELNS1_3gpuE7ELNS1_3repE0EEENS1_47radix_sort_onesweep_sort_config_static_selectorELNS0_4arch9wavefront6targetE1EEEvSG_
	.p2align	8
	.type	_ZN7rocprim17ROCPRIM_400000_NS6detail17trampoline_kernelINS0_14default_configENS1_35radix_sort_onesweep_config_selectorIslEEZZNS1_29radix_sort_onesweep_iterationIS3_Lb0EPsS7_N6thrust23THRUST_200600_302600_NS10device_ptrIlEESB_jNS0_19identity_decomposerENS1_16block_id_wrapperIjLb0EEEEE10hipError_tT1_PNSt15iterator_traitsISG_E10value_typeET2_T3_PNSH_ISM_E10value_typeET4_T5_PSR_SS_PNS1_23onesweep_lookback_stateEbbT6_jjT7_P12ihipStream_tbENKUlT_T0_SG_SL_E_clIS7_S7_SB_PlEEDaSZ_S10_SG_SL_EUlSZ_E_NS1_11comp_targetILNS1_3genE3ELNS1_11target_archE908ELNS1_3gpuE7ELNS1_3repE0EEENS1_47radix_sort_onesweep_sort_config_static_selectorELNS0_4arch9wavefront6targetE1EEEvSG_,@function
_ZN7rocprim17ROCPRIM_400000_NS6detail17trampoline_kernelINS0_14default_configENS1_35radix_sort_onesweep_config_selectorIslEEZZNS1_29radix_sort_onesweep_iterationIS3_Lb0EPsS7_N6thrust23THRUST_200600_302600_NS10device_ptrIlEESB_jNS0_19identity_decomposerENS1_16block_id_wrapperIjLb0EEEEE10hipError_tT1_PNSt15iterator_traitsISG_E10value_typeET2_T3_PNSH_ISM_E10value_typeET4_T5_PSR_SS_PNS1_23onesweep_lookback_stateEbbT6_jjT7_P12ihipStream_tbENKUlT_T0_SG_SL_E_clIS7_S7_SB_PlEEDaSZ_S10_SG_SL_EUlSZ_E_NS1_11comp_targetILNS1_3genE3ELNS1_11target_archE908ELNS1_3gpuE7ELNS1_3repE0EEENS1_47radix_sort_onesweep_sort_config_static_selectorELNS0_4arch9wavefront6targetE1EEEvSG_: ; @_ZN7rocprim17ROCPRIM_400000_NS6detail17trampoline_kernelINS0_14default_configENS1_35radix_sort_onesweep_config_selectorIslEEZZNS1_29radix_sort_onesweep_iterationIS3_Lb0EPsS7_N6thrust23THRUST_200600_302600_NS10device_ptrIlEESB_jNS0_19identity_decomposerENS1_16block_id_wrapperIjLb0EEEEE10hipError_tT1_PNSt15iterator_traitsISG_E10value_typeET2_T3_PNSH_ISM_E10value_typeET4_T5_PSR_SS_PNS1_23onesweep_lookback_stateEbbT6_jjT7_P12ihipStream_tbENKUlT_T0_SG_SL_E_clIS7_S7_SB_PlEEDaSZ_S10_SG_SL_EUlSZ_E_NS1_11comp_targetILNS1_3genE3ELNS1_11target_archE908ELNS1_3gpuE7ELNS1_3repE0EEENS1_47radix_sort_onesweep_sort_config_static_selectorELNS0_4arch9wavefront6targetE1EEEvSG_
; %bb.0:
	.section	.rodata,"a",@progbits
	.p2align	6, 0x0
	.amdhsa_kernel _ZN7rocprim17ROCPRIM_400000_NS6detail17trampoline_kernelINS0_14default_configENS1_35radix_sort_onesweep_config_selectorIslEEZZNS1_29radix_sort_onesweep_iterationIS3_Lb0EPsS7_N6thrust23THRUST_200600_302600_NS10device_ptrIlEESB_jNS0_19identity_decomposerENS1_16block_id_wrapperIjLb0EEEEE10hipError_tT1_PNSt15iterator_traitsISG_E10value_typeET2_T3_PNSH_ISM_E10value_typeET4_T5_PSR_SS_PNS1_23onesweep_lookback_stateEbbT6_jjT7_P12ihipStream_tbENKUlT_T0_SG_SL_E_clIS7_S7_SB_PlEEDaSZ_S10_SG_SL_EUlSZ_E_NS1_11comp_targetILNS1_3genE3ELNS1_11target_archE908ELNS1_3gpuE7ELNS1_3repE0EEENS1_47radix_sort_onesweep_sort_config_static_selectorELNS0_4arch9wavefront6targetE1EEEvSG_
		.amdhsa_group_segment_fixed_size 0
		.amdhsa_private_segment_fixed_size 0
		.amdhsa_kernarg_size 88
		.amdhsa_user_sgpr_count 6
		.amdhsa_user_sgpr_private_segment_buffer 1
		.amdhsa_user_sgpr_dispatch_ptr 0
		.amdhsa_user_sgpr_queue_ptr 0
		.amdhsa_user_sgpr_kernarg_segment_ptr 1
		.amdhsa_user_sgpr_dispatch_id 0
		.amdhsa_user_sgpr_flat_scratch_init 0
		.amdhsa_user_sgpr_kernarg_preload_length 0
		.amdhsa_user_sgpr_kernarg_preload_offset 0
		.amdhsa_user_sgpr_private_segment_size 0
		.amdhsa_uses_dynamic_stack 0
		.amdhsa_system_sgpr_private_segment_wavefront_offset 0
		.amdhsa_system_sgpr_workgroup_id_x 1
		.amdhsa_system_sgpr_workgroup_id_y 0
		.amdhsa_system_sgpr_workgroup_id_z 0
		.amdhsa_system_sgpr_workgroup_info 0
		.amdhsa_system_vgpr_workitem_id 0
		.amdhsa_next_free_vgpr 1
		.amdhsa_next_free_sgpr 0
		.amdhsa_accum_offset 4
		.amdhsa_reserve_vcc 0
		.amdhsa_reserve_flat_scratch 0
		.amdhsa_float_round_mode_32 0
		.amdhsa_float_round_mode_16_64 0
		.amdhsa_float_denorm_mode_32 3
		.amdhsa_float_denorm_mode_16_64 3
		.amdhsa_dx10_clamp 1
		.amdhsa_ieee_mode 1
		.amdhsa_fp16_overflow 0
		.amdhsa_tg_split 0
		.amdhsa_exception_fp_ieee_invalid_op 0
		.amdhsa_exception_fp_denorm_src 0
		.amdhsa_exception_fp_ieee_div_zero 0
		.amdhsa_exception_fp_ieee_overflow 0
		.amdhsa_exception_fp_ieee_underflow 0
		.amdhsa_exception_fp_ieee_inexact 0
		.amdhsa_exception_int_div_zero 0
	.end_amdhsa_kernel
	.section	.text._ZN7rocprim17ROCPRIM_400000_NS6detail17trampoline_kernelINS0_14default_configENS1_35radix_sort_onesweep_config_selectorIslEEZZNS1_29radix_sort_onesweep_iterationIS3_Lb0EPsS7_N6thrust23THRUST_200600_302600_NS10device_ptrIlEESB_jNS0_19identity_decomposerENS1_16block_id_wrapperIjLb0EEEEE10hipError_tT1_PNSt15iterator_traitsISG_E10value_typeET2_T3_PNSH_ISM_E10value_typeET4_T5_PSR_SS_PNS1_23onesweep_lookback_stateEbbT6_jjT7_P12ihipStream_tbENKUlT_T0_SG_SL_E_clIS7_S7_SB_PlEEDaSZ_S10_SG_SL_EUlSZ_E_NS1_11comp_targetILNS1_3genE3ELNS1_11target_archE908ELNS1_3gpuE7ELNS1_3repE0EEENS1_47radix_sort_onesweep_sort_config_static_selectorELNS0_4arch9wavefront6targetE1EEEvSG_,"axG",@progbits,_ZN7rocprim17ROCPRIM_400000_NS6detail17trampoline_kernelINS0_14default_configENS1_35radix_sort_onesweep_config_selectorIslEEZZNS1_29radix_sort_onesweep_iterationIS3_Lb0EPsS7_N6thrust23THRUST_200600_302600_NS10device_ptrIlEESB_jNS0_19identity_decomposerENS1_16block_id_wrapperIjLb0EEEEE10hipError_tT1_PNSt15iterator_traitsISG_E10value_typeET2_T3_PNSH_ISM_E10value_typeET4_T5_PSR_SS_PNS1_23onesweep_lookback_stateEbbT6_jjT7_P12ihipStream_tbENKUlT_T0_SG_SL_E_clIS7_S7_SB_PlEEDaSZ_S10_SG_SL_EUlSZ_E_NS1_11comp_targetILNS1_3genE3ELNS1_11target_archE908ELNS1_3gpuE7ELNS1_3repE0EEENS1_47radix_sort_onesweep_sort_config_static_selectorELNS0_4arch9wavefront6targetE1EEEvSG_,comdat
.Lfunc_end1439:
	.size	_ZN7rocprim17ROCPRIM_400000_NS6detail17trampoline_kernelINS0_14default_configENS1_35radix_sort_onesweep_config_selectorIslEEZZNS1_29radix_sort_onesweep_iterationIS3_Lb0EPsS7_N6thrust23THRUST_200600_302600_NS10device_ptrIlEESB_jNS0_19identity_decomposerENS1_16block_id_wrapperIjLb0EEEEE10hipError_tT1_PNSt15iterator_traitsISG_E10value_typeET2_T3_PNSH_ISM_E10value_typeET4_T5_PSR_SS_PNS1_23onesweep_lookback_stateEbbT6_jjT7_P12ihipStream_tbENKUlT_T0_SG_SL_E_clIS7_S7_SB_PlEEDaSZ_S10_SG_SL_EUlSZ_E_NS1_11comp_targetILNS1_3genE3ELNS1_11target_archE908ELNS1_3gpuE7ELNS1_3repE0EEENS1_47radix_sort_onesweep_sort_config_static_selectorELNS0_4arch9wavefront6targetE1EEEvSG_, .Lfunc_end1439-_ZN7rocprim17ROCPRIM_400000_NS6detail17trampoline_kernelINS0_14default_configENS1_35radix_sort_onesweep_config_selectorIslEEZZNS1_29radix_sort_onesweep_iterationIS3_Lb0EPsS7_N6thrust23THRUST_200600_302600_NS10device_ptrIlEESB_jNS0_19identity_decomposerENS1_16block_id_wrapperIjLb0EEEEE10hipError_tT1_PNSt15iterator_traitsISG_E10value_typeET2_T3_PNSH_ISM_E10value_typeET4_T5_PSR_SS_PNS1_23onesweep_lookback_stateEbbT6_jjT7_P12ihipStream_tbENKUlT_T0_SG_SL_E_clIS7_S7_SB_PlEEDaSZ_S10_SG_SL_EUlSZ_E_NS1_11comp_targetILNS1_3genE3ELNS1_11target_archE908ELNS1_3gpuE7ELNS1_3repE0EEENS1_47radix_sort_onesweep_sort_config_static_selectorELNS0_4arch9wavefront6targetE1EEEvSG_
                                        ; -- End function
	.section	.AMDGPU.csdata,"",@progbits
; Kernel info:
; codeLenInByte = 0
; NumSgprs: 4
; NumVgprs: 0
; NumAgprs: 0
; TotalNumVgprs: 0
; ScratchSize: 0
; MemoryBound: 0
; FloatMode: 240
; IeeeMode: 1
; LDSByteSize: 0 bytes/workgroup (compile time only)
; SGPRBlocks: 0
; VGPRBlocks: 0
; NumSGPRsForWavesPerEU: 4
; NumVGPRsForWavesPerEU: 1
; AccumOffset: 4
; Occupancy: 8
; WaveLimiterHint : 0
; COMPUTE_PGM_RSRC2:SCRATCH_EN: 0
; COMPUTE_PGM_RSRC2:USER_SGPR: 6
; COMPUTE_PGM_RSRC2:TRAP_HANDLER: 0
; COMPUTE_PGM_RSRC2:TGID_X_EN: 1
; COMPUTE_PGM_RSRC2:TGID_Y_EN: 0
; COMPUTE_PGM_RSRC2:TGID_Z_EN: 0
; COMPUTE_PGM_RSRC2:TIDIG_COMP_CNT: 0
; COMPUTE_PGM_RSRC3_GFX90A:ACCUM_OFFSET: 0
; COMPUTE_PGM_RSRC3_GFX90A:TG_SPLIT: 0
	.section	.text._ZN7rocprim17ROCPRIM_400000_NS6detail17trampoline_kernelINS0_14default_configENS1_35radix_sort_onesweep_config_selectorIslEEZZNS1_29radix_sort_onesweep_iterationIS3_Lb0EPsS7_N6thrust23THRUST_200600_302600_NS10device_ptrIlEESB_jNS0_19identity_decomposerENS1_16block_id_wrapperIjLb0EEEEE10hipError_tT1_PNSt15iterator_traitsISG_E10value_typeET2_T3_PNSH_ISM_E10value_typeET4_T5_PSR_SS_PNS1_23onesweep_lookback_stateEbbT6_jjT7_P12ihipStream_tbENKUlT_T0_SG_SL_E_clIS7_S7_SB_PlEEDaSZ_S10_SG_SL_EUlSZ_E_NS1_11comp_targetILNS1_3genE10ELNS1_11target_archE1201ELNS1_3gpuE5ELNS1_3repE0EEENS1_47radix_sort_onesweep_sort_config_static_selectorELNS0_4arch9wavefront6targetE1EEEvSG_,"axG",@progbits,_ZN7rocprim17ROCPRIM_400000_NS6detail17trampoline_kernelINS0_14default_configENS1_35radix_sort_onesweep_config_selectorIslEEZZNS1_29radix_sort_onesweep_iterationIS3_Lb0EPsS7_N6thrust23THRUST_200600_302600_NS10device_ptrIlEESB_jNS0_19identity_decomposerENS1_16block_id_wrapperIjLb0EEEEE10hipError_tT1_PNSt15iterator_traitsISG_E10value_typeET2_T3_PNSH_ISM_E10value_typeET4_T5_PSR_SS_PNS1_23onesweep_lookback_stateEbbT6_jjT7_P12ihipStream_tbENKUlT_T0_SG_SL_E_clIS7_S7_SB_PlEEDaSZ_S10_SG_SL_EUlSZ_E_NS1_11comp_targetILNS1_3genE10ELNS1_11target_archE1201ELNS1_3gpuE5ELNS1_3repE0EEENS1_47radix_sort_onesweep_sort_config_static_selectorELNS0_4arch9wavefront6targetE1EEEvSG_,comdat
	.protected	_ZN7rocprim17ROCPRIM_400000_NS6detail17trampoline_kernelINS0_14default_configENS1_35radix_sort_onesweep_config_selectorIslEEZZNS1_29radix_sort_onesweep_iterationIS3_Lb0EPsS7_N6thrust23THRUST_200600_302600_NS10device_ptrIlEESB_jNS0_19identity_decomposerENS1_16block_id_wrapperIjLb0EEEEE10hipError_tT1_PNSt15iterator_traitsISG_E10value_typeET2_T3_PNSH_ISM_E10value_typeET4_T5_PSR_SS_PNS1_23onesweep_lookback_stateEbbT6_jjT7_P12ihipStream_tbENKUlT_T0_SG_SL_E_clIS7_S7_SB_PlEEDaSZ_S10_SG_SL_EUlSZ_E_NS1_11comp_targetILNS1_3genE10ELNS1_11target_archE1201ELNS1_3gpuE5ELNS1_3repE0EEENS1_47radix_sort_onesweep_sort_config_static_selectorELNS0_4arch9wavefront6targetE1EEEvSG_ ; -- Begin function _ZN7rocprim17ROCPRIM_400000_NS6detail17trampoline_kernelINS0_14default_configENS1_35radix_sort_onesweep_config_selectorIslEEZZNS1_29radix_sort_onesweep_iterationIS3_Lb0EPsS7_N6thrust23THRUST_200600_302600_NS10device_ptrIlEESB_jNS0_19identity_decomposerENS1_16block_id_wrapperIjLb0EEEEE10hipError_tT1_PNSt15iterator_traitsISG_E10value_typeET2_T3_PNSH_ISM_E10value_typeET4_T5_PSR_SS_PNS1_23onesweep_lookback_stateEbbT6_jjT7_P12ihipStream_tbENKUlT_T0_SG_SL_E_clIS7_S7_SB_PlEEDaSZ_S10_SG_SL_EUlSZ_E_NS1_11comp_targetILNS1_3genE10ELNS1_11target_archE1201ELNS1_3gpuE5ELNS1_3repE0EEENS1_47radix_sort_onesweep_sort_config_static_selectorELNS0_4arch9wavefront6targetE1EEEvSG_
	.globl	_ZN7rocprim17ROCPRIM_400000_NS6detail17trampoline_kernelINS0_14default_configENS1_35radix_sort_onesweep_config_selectorIslEEZZNS1_29radix_sort_onesweep_iterationIS3_Lb0EPsS7_N6thrust23THRUST_200600_302600_NS10device_ptrIlEESB_jNS0_19identity_decomposerENS1_16block_id_wrapperIjLb0EEEEE10hipError_tT1_PNSt15iterator_traitsISG_E10value_typeET2_T3_PNSH_ISM_E10value_typeET4_T5_PSR_SS_PNS1_23onesweep_lookback_stateEbbT6_jjT7_P12ihipStream_tbENKUlT_T0_SG_SL_E_clIS7_S7_SB_PlEEDaSZ_S10_SG_SL_EUlSZ_E_NS1_11comp_targetILNS1_3genE10ELNS1_11target_archE1201ELNS1_3gpuE5ELNS1_3repE0EEENS1_47radix_sort_onesweep_sort_config_static_selectorELNS0_4arch9wavefront6targetE1EEEvSG_
	.p2align	8
	.type	_ZN7rocprim17ROCPRIM_400000_NS6detail17trampoline_kernelINS0_14default_configENS1_35radix_sort_onesweep_config_selectorIslEEZZNS1_29radix_sort_onesweep_iterationIS3_Lb0EPsS7_N6thrust23THRUST_200600_302600_NS10device_ptrIlEESB_jNS0_19identity_decomposerENS1_16block_id_wrapperIjLb0EEEEE10hipError_tT1_PNSt15iterator_traitsISG_E10value_typeET2_T3_PNSH_ISM_E10value_typeET4_T5_PSR_SS_PNS1_23onesweep_lookback_stateEbbT6_jjT7_P12ihipStream_tbENKUlT_T0_SG_SL_E_clIS7_S7_SB_PlEEDaSZ_S10_SG_SL_EUlSZ_E_NS1_11comp_targetILNS1_3genE10ELNS1_11target_archE1201ELNS1_3gpuE5ELNS1_3repE0EEENS1_47radix_sort_onesweep_sort_config_static_selectorELNS0_4arch9wavefront6targetE1EEEvSG_,@function
_ZN7rocprim17ROCPRIM_400000_NS6detail17trampoline_kernelINS0_14default_configENS1_35radix_sort_onesweep_config_selectorIslEEZZNS1_29radix_sort_onesweep_iterationIS3_Lb0EPsS7_N6thrust23THRUST_200600_302600_NS10device_ptrIlEESB_jNS0_19identity_decomposerENS1_16block_id_wrapperIjLb0EEEEE10hipError_tT1_PNSt15iterator_traitsISG_E10value_typeET2_T3_PNSH_ISM_E10value_typeET4_T5_PSR_SS_PNS1_23onesweep_lookback_stateEbbT6_jjT7_P12ihipStream_tbENKUlT_T0_SG_SL_E_clIS7_S7_SB_PlEEDaSZ_S10_SG_SL_EUlSZ_E_NS1_11comp_targetILNS1_3genE10ELNS1_11target_archE1201ELNS1_3gpuE5ELNS1_3repE0EEENS1_47radix_sort_onesweep_sort_config_static_selectorELNS0_4arch9wavefront6targetE1EEEvSG_: ; @_ZN7rocprim17ROCPRIM_400000_NS6detail17trampoline_kernelINS0_14default_configENS1_35radix_sort_onesweep_config_selectorIslEEZZNS1_29radix_sort_onesweep_iterationIS3_Lb0EPsS7_N6thrust23THRUST_200600_302600_NS10device_ptrIlEESB_jNS0_19identity_decomposerENS1_16block_id_wrapperIjLb0EEEEE10hipError_tT1_PNSt15iterator_traitsISG_E10value_typeET2_T3_PNSH_ISM_E10value_typeET4_T5_PSR_SS_PNS1_23onesweep_lookback_stateEbbT6_jjT7_P12ihipStream_tbENKUlT_T0_SG_SL_E_clIS7_S7_SB_PlEEDaSZ_S10_SG_SL_EUlSZ_E_NS1_11comp_targetILNS1_3genE10ELNS1_11target_archE1201ELNS1_3gpuE5ELNS1_3repE0EEENS1_47radix_sort_onesweep_sort_config_static_selectorELNS0_4arch9wavefront6targetE1EEEvSG_
; %bb.0:
	.section	.rodata,"a",@progbits
	.p2align	6, 0x0
	.amdhsa_kernel _ZN7rocprim17ROCPRIM_400000_NS6detail17trampoline_kernelINS0_14default_configENS1_35radix_sort_onesweep_config_selectorIslEEZZNS1_29radix_sort_onesweep_iterationIS3_Lb0EPsS7_N6thrust23THRUST_200600_302600_NS10device_ptrIlEESB_jNS0_19identity_decomposerENS1_16block_id_wrapperIjLb0EEEEE10hipError_tT1_PNSt15iterator_traitsISG_E10value_typeET2_T3_PNSH_ISM_E10value_typeET4_T5_PSR_SS_PNS1_23onesweep_lookback_stateEbbT6_jjT7_P12ihipStream_tbENKUlT_T0_SG_SL_E_clIS7_S7_SB_PlEEDaSZ_S10_SG_SL_EUlSZ_E_NS1_11comp_targetILNS1_3genE10ELNS1_11target_archE1201ELNS1_3gpuE5ELNS1_3repE0EEENS1_47radix_sort_onesweep_sort_config_static_selectorELNS0_4arch9wavefront6targetE1EEEvSG_
		.amdhsa_group_segment_fixed_size 0
		.amdhsa_private_segment_fixed_size 0
		.amdhsa_kernarg_size 88
		.amdhsa_user_sgpr_count 6
		.amdhsa_user_sgpr_private_segment_buffer 1
		.amdhsa_user_sgpr_dispatch_ptr 0
		.amdhsa_user_sgpr_queue_ptr 0
		.amdhsa_user_sgpr_kernarg_segment_ptr 1
		.amdhsa_user_sgpr_dispatch_id 0
		.amdhsa_user_sgpr_flat_scratch_init 0
		.amdhsa_user_sgpr_kernarg_preload_length 0
		.amdhsa_user_sgpr_kernarg_preload_offset 0
		.amdhsa_user_sgpr_private_segment_size 0
		.amdhsa_uses_dynamic_stack 0
		.amdhsa_system_sgpr_private_segment_wavefront_offset 0
		.amdhsa_system_sgpr_workgroup_id_x 1
		.amdhsa_system_sgpr_workgroup_id_y 0
		.amdhsa_system_sgpr_workgroup_id_z 0
		.amdhsa_system_sgpr_workgroup_info 0
		.amdhsa_system_vgpr_workitem_id 0
		.amdhsa_next_free_vgpr 1
		.amdhsa_next_free_sgpr 0
		.amdhsa_accum_offset 4
		.amdhsa_reserve_vcc 0
		.amdhsa_reserve_flat_scratch 0
		.amdhsa_float_round_mode_32 0
		.amdhsa_float_round_mode_16_64 0
		.amdhsa_float_denorm_mode_32 3
		.amdhsa_float_denorm_mode_16_64 3
		.amdhsa_dx10_clamp 1
		.amdhsa_ieee_mode 1
		.amdhsa_fp16_overflow 0
		.amdhsa_tg_split 0
		.amdhsa_exception_fp_ieee_invalid_op 0
		.amdhsa_exception_fp_denorm_src 0
		.amdhsa_exception_fp_ieee_div_zero 0
		.amdhsa_exception_fp_ieee_overflow 0
		.amdhsa_exception_fp_ieee_underflow 0
		.amdhsa_exception_fp_ieee_inexact 0
		.amdhsa_exception_int_div_zero 0
	.end_amdhsa_kernel
	.section	.text._ZN7rocprim17ROCPRIM_400000_NS6detail17trampoline_kernelINS0_14default_configENS1_35radix_sort_onesweep_config_selectorIslEEZZNS1_29radix_sort_onesweep_iterationIS3_Lb0EPsS7_N6thrust23THRUST_200600_302600_NS10device_ptrIlEESB_jNS0_19identity_decomposerENS1_16block_id_wrapperIjLb0EEEEE10hipError_tT1_PNSt15iterator_traitsISG_E10value_typeET2_T3_PNSH_ISM_E10value_typeET4_T5_PSR_SS_PNS1_23onesweep_lookback_stateEbbT6_jjT7_P12ihipStream_tbENKUlT_T0_SG_SL_E_clIS7_S7_SB_PlEEDaSZ_S10_SG_SL_EUlSZ_E_NS1_11comp_targetILNS1_3genE10ELNS1_11target_archE1201ELNS1_3gpuE5ELNS1_3repE0EEENS1_47radix_sort_onesweep_sort_config_static_selectorELNS0_4arch9wavefront6targetE1EEEvSG_,"axG",@progbits,_ZN7rocprim17ROCPRIM_400000_NS6detail17trampoline_kernelINS0_14default_configENS1_35radix_sort_onesweep_config_selectorIslEEZZNS1_29radix_sort_onesweep_iterationIS3_Lb0EPsS7_N6thrust23THRUST_200600_302600_NS10device_ptrIlEESB_jNS0_19identity_decomposerENS1_16block_id_wrapperIjLb0EEEEE10hipError_tT1_PNSt15iterator_traitsISG_E10value_typeET2_T3_PNSH_ISM_E10value_typeET4_T5_PSR_SS_PNS1_23onesweep_lookback_stateEbbT6_jjT7_P12ihipStream_tbENKUlT_T0_SG_SL_E_clIS7_S7_SB_PlEEDaSZ_S10_SG_SL_EUlSZ_E_NS1_11comp_targetILNS1_3genE10ELNS1_11target_archE1201ELNS1_3gpuE5ELNS1_3repE0EEENS1_47radix_sort_onesweep_sort_config_static_selectorELNS0_4arch9wavefront6targetE1EEEvSG_,comdat
.Lfunc_end1440:
	.size	_ZN7rocprim17ROCPRIM_400000_NS6detail17trampoline_kernelINS0_14default_configENS1_35radix_sort_onesweep_config_selectorIslEEZZNS1_29radix_sort_onesweep_iterationIS3_Lb0EPsS7_N6thrust23THRUST_200600_302600_NS10device_ptrIlEESB_jNS0_19identity_decomposerENS1_16block_id_wrapperIjLb0EEEEE10hipError_tT1_PNSt15iterator_traitsISG_E10value_typeET2_T3_PNSH_ISM_E10value_typeET4_T5_PSR_SS_PNS1_23onesweep_lookback_stateEbbT6_jjT7_P12ihipStream_tbENKUlT_T0_SG_SL_E_clIS7_S7_SB_PlEEDaSZ_S10_SG_SL_EUlSZ_E_NS1_11comp_targetILNS1_3genE10ELNS1_11target_archE1201ELNS1_3gpuE5ELNS1_3repE0EEENS1_47radix_sort_onesweep_sort_config_static_selectorELNS0_4arch9wavefront6targetE1EEEvSG_, .Lfunc_end1440-_ZN7rocprim17ROCPRIM_400000_NS6detail17trampoline_kernelINS0_14default_configENS1_35radix_sort_onesweep_config_selectorIslEEZZNS1_29radix_sort_onesweep_iterationIS3_Lb0EPsS7_N6thrust23THRUST_200600_302600_NS10device_ptrIlEESB_jNS0_19identity_decomposerENS1_16block_id_wrapperIjLb0EEEEE10hipError_tT1_PNSt15iterator_traitsISG_E10value_typeET2_T3_PNSH_ISM_E10value_typeET4_T5_PSR_SS_PNS1_23onesweep_lookback_stateEbbT6_jjT7_P12ihipStream_tbENKUlT_T0_SG_SL_E_clIS7_S7_SB_PlEEDaSZ_S10_SG_SL_EUlSZ_E_NS1_11comp_targetILNS1_3genE10ELNS1_11target_archE1201ELNS1_3gpuE5ELNS1_3repE0EEENS1_47radix_sort_onesweep_sort_config_static_selectorELNS0_4arch9wavefront6targetE1EEEvSG_
                                        ; -- End function
	.section	.AMDGPU.csdata,"",@progbits
; Kernel info:
; codeLenInByte = 0
; NumSgprs: 4
; NumVgprs: 0
; NumAgprs: 0
; TotalNumVgprs: 0
; ScratchSize: 0
; MemoryBound: 0
; FloatMode: 240
; IeeeMode: 1
; LDSByteSize: 0 bytes/workgroup (compile time only)
; SGPRBlocks: 0
; VGPRBlocks: 0
; NumSGPRsForWavesPerEU: 4
; NumVGPRsForWavesPerEU: 1
; AccumOffset: 4
; Occupancy: 8
; WaveLimiterHint : 0
; COMPUTE_PGM_RSRC2:SCRATCH_EN: 0
; COMPUTE_PGM_RSRC2:USER_SGPR: 6
; COMPUTE_PGM_RSRC2:TRAP_HANDLER: 0
; COMPUTE_PGM_RSRC2:TGID_X_EN: 1
; COMPUTE_PGM_RSRC2:TGID_Y_EN: 0
; COMPUTE_PGM_RSRC2:TGID_Z_EN: 0
; COMPUTE_PGM_RSRC2:TIDIG_COMP_CNT: 0
; COMPUTE_PGM_RSRC3_GFX90A:ACCUM_OFFSET: 0
; COMPUTE_PGM_RSRC3_GFX90A:TG_SPLIT: 0
	.section	.text._ZN7rocprim17ROCPRIM_400000_NS6detail17trampoline_kernelINS0_14default_configENS1_35radix_sort_onesweep_config_selectorIslEEZZNS1_29radix_sort_onesweep_iterationIS3_Lb0EPsS7_N6thrust23THRUST_200600_302600_NS10device_ptrIlEESB_jNS0_19identity_decomposerENS1_16block_id_wrapperIjLb0EEEEE10hipError_tT1_PNSt15iterator_traitsISG_E10value_typeET2_T3_PNSH_ISM_E10value_typeET4_T5_PSR_SS_PNS1_23onesweep_lookback_stateEbbT6_jjT7_P12ihipStream_tbENKUlT_T0_SG_SL_E_clIS7_S7_SB_PlEEDaSZ_S10_SG_SL_EUlSZ_E_NS1_11comp_targetILNS1_3genE9ELNS1_11target_archE1100ELNS1_3gpuE3ELNS1_3repE0EEENS1_47radix_sort_onesweep_sort_config_static_selectorELNS0_4arch9wavefront6targetE1EEEvSG_,"axG",@progbits,_ZN7rocprim17ROCPRIM_400000_NS6detail17trampoline_kernelINS0_14default_configENS1_35radix_sort_onesweep_config_selectorIslEEZZNS1_29radix_sort_onesweep_iterationIS3_Lb0EPsS7_N6thrust23THRUST_200600_302600_NS10device_ptrIlEESB_jNS0_19identity_decomposerENS1_16block_id_wrapperIjLb0EEEEE10hipError_tT1_PNSt15iterator_traitsISG_E10value_typeET2_T3_PNSH_ISM_E10value_typeET4_T5_PSR_SS_PNS1_23onesweep_lookback_stateEbbT6_jjT7_P12ihipStream_tbENKUlT_T0_SG_SL_E_clIS7_S7_SB_PlEEDaSZ_S10_SG_SL_EUlSZ_E_NS1_11comp_targetILNS1_3genE9ELNS1_11target_archE1100ELNS1_3gpuE3ELNS1_3repE0EEENS1_47radix_sort_onesweep_sort_config_static_selectorELNS0_4arch9wavefront6targetE1EEEvSG_,comdat
	.protected	_ZN7rocprim17ROCPRIM_400000_NS6detail17trampoline_kernelINS0_14default_configENS1_35radix_sort_onesweep_config_selectorIslEEZZNS1_29radix_sort_onesweep_iterationIS3_Lb0EPsS7_N6thrust23THRUST_200600_302600_NS10device_ptrIlEESB_jNS0_19identity_decomposerENS1_16block_id_wrapperIjLb0EEEEE10hipError_tT1_PNSt15iterator_traitsISG_E10value_typeET2_T3_PNSH_ISM_E10value_typeET4_T5_PSR_SS_PNS1_23onesweep_lookback_stateEbbT6_jjT7_P12ihipStream_tbENKUlT_T0_SG_SL_E_clIS7_S7_SB_PlEEDaSZ_S10_SG_SL_EUlSZ_E_NS1_11comp_targetILNS1_3genE9ELNS1_11target_archE1100ELNS1_3gpuE3ELNS1_3repE0EEENS1_47radix_sort_onesweep_sort_config_static_selectorELNS0_4arch9wavefront6targetE1EEEvSG_ ; -- Begin function _ZN7rocprim17ROCPRIM_400000_NS6detail17trampoline_kernelINS0_14default_configENS1_35radix_sort_onesweep_config_selectorIslEEZZNS1_29radix_sort_onesweep_iterationIS3_Lb0EPsS7_N6thrust23THRUST_200600_302600_NS10device_ptrIlEESB_jNS0_19identity_decomposerENS1_16block_id_wrapperIjLb0EEEEE10hipError_tT1_PNSt15iterator_traitsISG_E10value_typeET2_T3_PNSH_ISM_E10value_typeET4_T5_PSR_SS_PNS1_23onesweep_lookback_stateEbbT6_jjT7_P12ihipStream_tbENKUlT_T0_SG_SL_E_clIS7_S7_SB_PlEEDaSZ_S10_SG_SL_EUlSZ_E_NS1_11comp_targetILNS1_3genE9ELNS1_11target_archE1100ELNS1_3gpuE3ELNS1_3repE0EEENS1_47radix_sort_onesweep_sort_config_static_selectorELNS0_4arch9wavefront6targetE1EEEvSG_
	.globl	_ZN7rocprim17ROCPRIM_400000_NS6detail17trampoline_kernelINS0_14default_configENS1_35radix_sort_onesweep_config_selectorIslEEZZNS1_29radix_sort_onesweep_iterationIS3_Lb0EPsS7_N6thrust23THRUST_200600_302600_NS10device_ptrIlEESB_jNS0_19identity_decomposerENS1_16block_id_wrapperIjLb0EEEEE10hipError_tT1_PNSt15iterator_traitsISG_E10value_typeET2_T3_PNSH_ISM_E10value_typeET4_T5_PSR_SS_PNS1_23onesweep_lookback_stateEbbT6_jjT7_P12ihipStream_tbENKUlT_T0_SG_SL_E_clIS7_S7_SB_PlEEDaSZ_S10_SG_SL_EUlSZ_E_NS1_11comp_targetILNS1_3genE9ELNS1_11target_archE1100ELNS1_3gpuE3ELNS1_3repE0EEENS1_47radix_sort_onesweep_sort_config_static_selectorELNS0_4arch9wavefront6targetE1EEEvSG_
	.p2align	8
	.type	_ZN7rocprim17ROCPRIM_400000_NS6detail17trampoline_kernelINS0_14default_configENS1_35radix_sort_onesweep_config_selectorIslEEZZNS1_29radix_sort_onesweep_iterationIS3_Lb0EPsS7_N6thrust23THRUST_200600_302600_NS10device_ptrIlEESB_jNS0_19identity_decomposerENS1_16block_id_wrapperIjLb0EEEEE10hipError_tT1_PNSt15iterator_traitsISG_E10value_typeET2_T3_PNSH_ISM_E10value_typeET4_T5_PSR_SS_PNS1_23onesweep_lookback_stateEbbT6_jjT7_P12ihipStream_tbENKUlT_T0_SG_SL_E_clIS7_S7_SB_PlEEDaSZ_S10_SG_SL_EUlSZ_E_NS1_11comp_targetILNS1_3genE9ELNS1_11target_archE1100ELNS1_3gpuE3ELNS1_3repE0EEENS1_47radix_sort_onesweep_sort_config_static_selectorELNS0_4arch9wavefront6targetE1EEEvSG_,@function
_ZN7rocprim17ROCPRIM_400000_NS6detail17trampoline_kernelINS0_14default_configENS1_35radix_sort_onesweep_config_selectorIslEEZZNS1_29radix_sort_onesweep_iterationIS3_Lb0EPsS7_N6thrust23THRUST_200600_302600_NS10device_ptrIlEESB_jNS0_19identity_decomposerENS1_16block_id_wrapperIjLb0EEEEE10hipError_tT1_PNSt15iterator_traitsISG_E10value_typeET2_T3_PNSH_ISM_E10value_typeET4_T5_PSR_SS_PNS1_23onesweep_lookback_stateEbbT6_jjT7_P12ihipStream_tbENKUlT_T0_SG_SL_E_clIS7_S7_SB_PlEEDaSZ_S10_SG_SL_EUlSZ_E_NS1_11comp_targetILNS1_3genE9ELNS1_11target_archE1100ELNS1_3gpuE3ELNS1_3repE0EEENS1_47radix_sort_onesweep_sort_config_static_selectorELNS0_4arch9wavefront6targetE1EEEvSG_: ; @_ZN7rocprim17ROCPRIM_400000_NS6detail17trampoline_kernelINS0_14default_configENS1_35radix_sort_onesweep_config_selectorIslEEZZNS1_29radix_sort_onesweep_iterationIS3_Lb0EPsS7_N6thrust23THRUST_200600_302600_NS10device_ptrIlEESB_jNS0_19identity_decomposerENS1_16block_id_wrapperIjLb0EEEEE10hipError_tT1_PNSt15iterator_traitsISG_E10value_typeET2_T3_PNSH_ISM_E10value_typeET4_T5_PSR_SS_PNS1_23onesweep_lookback_stateEbbT6_jjT7_P12ihipStream_tbENKUlT_T0_SG_SL_E_clIS7_S7_SB_PlEEDaSZ_S10_SG_SL_EUlSZ_E_NS1_11comp_targetILNS1_3genE9ELNS1_11target_archE1100ELNS1_3gpuE3ELNS1_3repE0EEENS1_47radix_sort_onesweep_sort_config_static_selectorELNS0_4arch9wavefront6targetE1EEEvSG_
; %bb.0:
	.section	.rodata,"a",@progbits
	.p2align	6, 0x0
	.amdhsa_kernel _ZN7rocprim17ROCPRIM_400000_NS6detail17trampoline_kernelINS0_14default_configENS1_35radix_sort_onesweep_config_selectorIslEEZZNS1_29radix_sort_onesweep_iterationIS3_Lb0EPsS7_N6thrust23THRUST_200600_302600_NS10device_ptrIlEESB_jNS0_19identity_decomposerENS1_16block_id_wrapperIjLb0EEEEE10hipError_tT1_PNSt15iterator_traitsISG_E10value_typeET2_T3_PNSH_ISM_E10value_typeET4_T5_PSR_SS_PNS1_23onesweep_lookback_stateEbbT6_jjT7_P12ihipStream_tbENKUlT_T0_SG_SL_E_clIS7_S7_SB_PlEEDaSZ_S10_SG_SL_EUlSZ_E_NS1_11comp_targetILNS1_3genE9ELNS1_11target_archE1100ELNS1_3gpuE3ELNS1_3repE0EEENS1_47radix_sort_onesweep_sort_config_static_selectorELNS0_4arch9wavefront6targetE1EEEvSG_
		.amdhsa_group_segment_fixed_size 0
		.amdhsa_private_segment_fixed_size 0
		.amdhsa_kernarg_size 88
		.amdhsa_user_sgpr_count 6
		.amdhsa_user_sgpr_private_segment_buffer 1
		.amdhsa_user_sgpr_dispatch_ptr 0
		.amdhsa_user_sgpr_queue_ptr 0
		.amdhsa_user_sgpr_kernarg_segment_ptr 1
		.amdhsa_user_sgpr_dispatch_id 0
		.amdhsa_user_sgpr_flat_scratch_init 0
		.amdhsa_user_sgpr_kernarg_preload_length 0
		.amdhsa_user_sgpr_kernarg_preload_offset 0
		.amdhsa_user_sgpr_private_segment_size 0
		.amdhsa_uses_dynamic_stack 0
		.amdhsa_system_sgpr_private_segment_wavefront_offset 0
		.amdhsa_system_sgpr_workgroup_id_x 1
		.amdhsa_system_sgpr_workgroup_id_y 0
		.amdhsa_system_sgpr_workgroup_id_z 0
		.amdhsa_system_sgpr_workgroup_info 0
		.amdhsa_system_vgpr_workitem_id 0
		.amdhsa_next_free_vgpr 1
		.amdhsa_next_free_sgpr 0
		.amdhsa_accum_offset 4
		.amdhsa_reserve_vcc 0
		.amdhsa_reserve_flat_scratch 0
		.amdhsa_float_round_mode_32 0
		.amdhsa_float_round_mode_16_64 0
		.amdhsa_float_denorm_mode_32 3
		.amdhsa_float_denorm_mode_16_64 3
		.amdhsa_dx10_clamp 1
		.amdhsa_ieee_mode 1
		.amdhsa_fp16_overflow 0
		.amdhsa_tg_split 0
		.amdhsa_exception_fp_ieee_invalid_op 0
		.amdhsa_exception_fp_denorm_src 0
		.amdhsa_exception_fp_ieee_div_zero 0
		.amdhsa_exception_fp_ieee_overflow 0
		.amdhsa_exception_fp_ieee_underflow 0
		.amdhsa_exception_fp_ieee_inexact 0
		.amdhsa_exception_int_div_zero 0
	.end_amdhsa_kernel
	.section	.text._ZN7rocprim17ROCPRIM_400000_NS6detail17trampoline_kernelINS0_14default_configENS1_35radix_sort_onesweep_config_selectorIslEEZZNS1_29radix_sort_onesweep_iterationIS3_Lb0EPsS7_N6thrust23THRUST_200600_302600_NS10device_ptrIlEESB_jNS0_19identity_decomposerENS1_16block_id_wrapperIjLb0EEEEE10hipError_tT1_PNSt15iterator_traitsISG_E10value_typeET2_T3_PNSH_ISM_E10value_typeET4_T5_PSR_SS_PNS1_23onesweep_lookback_stateEbbT6_jjT7_P12ihipStream_tbENKUlT_T0_SG_SL_E_clIS7_S7_SB_PlEEDaSZ_S10_SG_SL_EUlSZ_E_NS1_11comp_targetILNS1_3genE9ELNS1_11target_archE1100ELNS1_3gpuE3ELNS1_3repE0EEENS1_47radix_sort_onesweep_sort_config_static_selectorELNS0_4arch9wavefront6targetE1EEEvSG_,"axG",@progbits,_ZN7rocprim17ROCPRIM_400000_NS6detail17trampoline_kernelINS0_14default_configENS1_35radix_sort_onesweep_config_selectorIslEEZZNS1_29radix_sort_onesweep_iterationIS3_Lb0EPsS7_N6thrust23THRUST_200600_302600_NS10device_ptrIlEESB_jNS0_19identity_decomposerENS1_16block_id_wrapperIjLb0EEEEE10hipError_tT1_PNSt15iterator_traitsISG_E10value_typeET2_T3_PNSH_ISM_E10value_typeET4_T5_PSR_SS_PNS1_23onesweep_lookback_stateEbbT6_jjT7_P12ihipStream_tbENKUlT_T0_SG_SL_E_clIS7_S7_SB_PlEEDaSZ_S10_SG_SL_EUlSZ_E_NS1_11comp_targetILNS1_3genE9ELNS1_11target_archE1100ELNS1_3gpuE3ELNS1_3repE0EEENS1_47radix_sort_onesweep_sort_config_static_selectorELNS0_4arch9wavefront6targetE1EEEvSG_,comdat
.Lfunc_end1441:
	.size	_ZN7rocprim17ROCPRIM_400000_NS6detail17trampoline_kernelINS0_14default_configENS1_35radix_sort_onesweep_config_selectorIslEEZZNS1_29radix_sort_onesweep_iterationIS3_Lb0EPsS7_N6thrust23THRUST_200600_302600_NS10device_ptrIlEESB_jNS0_19identity_decomposerENS1_16block_id_wrapperIjLb0EEEEE10hipError_tT1_PNSt15iterator_traitsISG_E10value_typeET2_T3_PNSH_ISM_E10value_typeET4_T5_PSR_SS_PNS1_23onesweep_lookback_stateEbbT6_jjT7_P12ihipStream_tbENKUlT_T0_SG_SL_E_clIS7_S7_SB_PlEEDaSZ_S10_SG_SL_EUlSZ_E_NS1_11comp_targetILNS1_3genE9ELNS1_11target_archE1100ELNS1_3gpuE3ELNS1_3repE0EEENS1_47radix_sort_onesweep_sort_config_static_selectorELNS0_4arch9wavefront6targetE1EEEvSG_, .Lfunc_end1441-_ZN7rocprim17ROCPRIM_400000_NS6detail17trampoline_kernelINS0_14default_configENS1_35radix_sort_onesweep_config_selectorIslEEZZNS1_29radix_sort_onesweep_iterationIS3_Lb0EPsS7_N6thrust23THRUST_200600_302600_NS10device_ptrIlEESB_jNS0_19identity_decomposerENS1_16block_id_wrapperIjLb0EEEEE10hipError_tT1_PNSt15iterator_traitsISG_E10value_typeET2_T3_PNSH_ISM_E10value_typeET4_T5_PSR_SS_PNS1_23onesweep_lookback_stateEbbT6_jjT7_P12ihipStream_tbENKUlT_T0_SG_SL_E_clIS7_S7_SB_PlEEDaSZ_S10_SG_SL_EUlSZ_E_NS1_11comp_targetILNS1_3genE9ELNS1_11target_archE1100ELNS1_3gpuE3ELNS1_3repE0EEENS1_47radix_sort_onesweep_sort_config_static_selectorELNS0_4arch9wavefront6targetE1EEEvSG_
                                        ; -- End function
	.section	.AMDGPU.csdata,"",@progbits
; Kernel info:
; codeLenInByte = 0
; NumSgprs: 4
; NumVgprs: 0
; NumAgprs: 0
; TotalNumVgprs: 0
; ScratchSize: 0
; MemoryBound: 0
; FloatMode: 240
; IeeeMode: 1
; LDSByteSize: 0 bytes/workgroup (compile time only)
; SGPRBlocks: 0
; VGPRBlocks: 0
; NumSGPRsForWavesPerEU: 4
; NumVGPRsForWavesPerEU: 1
; AccumOffset: 4
; Occupancy: 8
; WaveLimiterHint : 0
; COMPUTE_PGM_RSRC2:SCRATCH_EN: 0
; COMPUTE_PGM_RSRC2:USER_SGPR: 6
; COMPUTE_PGM_RSRC2:TRAP_HANDLER: 0
; COMPUTE_PGM_RSRC2:TGID_X_EN: 1
; COMPUTE_PGM_RSRC2:TGID_Y_EN: 0
; COMPUTE_PGM_RSRC2:TGID_Z_EN: 0
; COMPUTE_PGM_RSRC2:TIDIG_COMP_CNT: 0
; COMPUTE_PGM_RSRC3_GFX90A:ACCUM_OFFSET: 0
; COMPUTE_PGM_RSRC3_GFX90A:TG_SPLIT: 0
	.section	.text._ZN7rocprim17ROCPRIM_400000_NS6detail17trampoline_kernelINS0_14default_configENS1_35radix_sort_onesweep_config_selectorIslEEZZNS1_29radix_sort_onesweep_iterationIS3_Lb0EPsS7_N6thrust23THRUST_200600_302600_NS10device_ptrIlEESB_jNS0_19identity_decomposerENS1_16block_id_wrapperIjLb0EEEEE10hipError_tT1_PNSt15iterator_traitsISG_E10value_typeET2_T3_PNSH_ISM_E10value_typeET4_T5_PSR_SS_PNS1_23onesweep_lookback_stateEbbT6_jjT7_P12ihipStream_tbENKUlT_T0_SG_SL_E_clIS7_S7_SB_PlEEDaSZ_S10_SG_SL_EUlSZ_E_NS1_11comp_targetILNS1_3genE8ELNS1_11target_archE1030ELNS1_3gpuE2ELNS1_3repE0EEENS1_47radix_sort_onesweep_sort_config_static_selectorELNS0_4arch9wavefront6targetE1EEEvSG_,"axG",@progbits,_ZN7rocprim17ROCPRIM_400000_NS6detail17trampoline_kernelINS0_14default_configENS1_35radix_sort_onesweep_config_selectorIslEEZZNS1_29radix_sort_onesweep_iterationIS3_Lb0EPsS7_N6thrust23THRUST_200600_302600_NS10device_ptrIlEESB_jNS0_19identity_decomposerENS1_16block_id_wrapperIjLb0EEEEE10hipError_tT1_PNSt15iterator_traitsISG_E10value_typeET2_T3_PNSH_ISM_E10value_typeET4_T5_PSR_SS_PNS1_23onesweep_lookback_stateEbbT6_jjT7_P12ihipStream_tbENKUlT_T0_SG_SL_E_clIS7_S7_SB_PlEEDaSZ_S10_SG_SL_EUlSZ_E_NS1_11comp_targetILNS1_3genE8ELNS1_11target_archE1030ELNS1_3gpuE2ELNS1_3repE0EEENS1_47radix_sort_onesweep_sort_config_static_selectorELNS0_4arch9wavefront6targetE1EEEvSG_,comdat
	.protected	_ZN7rocprim17ROCPRIM_400000_NS6detail17trampoline_kernelINS0_14default_configENS1_35radix_sort_onesweep_config_selectorIslEEZZNS1_29radix_sort_onesweep_iterationIS3_Lb0EPsS7_N6thrust23THRUST_200600_302600_NS10device_ptrIlEESB_jNS0_19identity_decomposerENS1_16block_id_wrapperIjLb0EEEEE10hipError_tT1_PNSt15iterator_traitsISG_E10value_typeET2_T3_PNSH_ISM_E10value_typeET4_T5_PSR_SS_PNS1_23onesweep_lookback_stateEbbT6_jjT7_P12ihipStream_tbENKUlT_T0_SG_SL_E_clIS7_S7_SB_PlEEDaSZ_S10_SG_SL_EUlSZ_E_NS1_11comp_targetILNS1_3genE8ELNS1_11target_archE1030ELNS1_3gpuE2ELNS1_3repE0EEENS1_47radix_sort_onesweep_sort_config_static_selectorELNS0_4arch9wavefront6targetE1EEEvSG_ ; -- Begin function _ZN7rocprim17ROCPRIM_400000_NS6detail17trampoline_kernelINS0_14default_configENS1_35radix_sort_onesweep_config_selectorIslEEZZNS1_29radix_sort_onesweep_iterationIS3_Lb0EPsS7_N6thrust23THRUST_200600_302600_NS10device_ptrIlEESB_jNS0_19identity_decomposerENS1_16block_id_wrapperIjLb0EEEEE10hipError_tT1_PNSt15iterator_traitsISG_E10value_typeET2_T3_PNSH_ISM_E10value_typeET4_T5_PSR_SS_PNS1_23onesweep_lookback_stateEbbT6_jjT7_P12ihipStream_tbENKUlT_T0_SG_SL_E_clIS7_S7_SB_PlEEDaSZ_S10_SG_SL_EUlSZ_E_NS1_11comp_targetILNS1_3genE8ELNS1_11target_archE1030ELNS1_3gpuE2ELNS1_3repE0EEENS1_47radix_sort_onesweep_sort_config_static_selectorELNS0_4arch9wavefront6targetE1EEEvSG_
	.globl	_ZN7rocprim17ROCPRIM_400000_NS6detail17trampoline_kernelINS0_14default_configENS1_35radix_sort_onesweep_config_selectorIslEEZZNS1_29radix_sort_onesweep_iterationIS3_Lb0EPsS7_N6thrust23THRUST_200600_302600_NS10device_ptrIlEESB_jNS0_19identity_decomposerENS1_16block_id_wrapperIjLb0EEEEE10hipError_tT1_PNSt15iterator_traitsISG_E10value_typeET2_T3_PNSH_ISM_E10value_typeET4_T5_PSR_SS_PNS1_23onesweep_lookback_stateEbbT6_jjT7_P12ihipStream_tbENKUlT_T0_SG_SL_E_clIS7_S7_SB_PlEEDaSZ_S10_SG_SL_EUlSZ_E_NS1_11comp_targetILNS1_3genE8ELNS1_11target_archE1030ELNS1_3gpuE2ELNS1_3repE0EEENS1_47radix_sort_onesweep_sort_config_static_selectorELNS0_4arch9wavefront6targetE1EEEvSG_
	.p2align	8
	.type	_ZN7rocprim17ROCPRIM_400000_NS6detail17trampoline_kernelINS0_14default_configENS1_35radix_sort_onesweep_config_selectorIslEEZZNS1_29radix_sort_onesweep_iterationIS3_Lb0EPsS7_N6thrust23THRUST_200600_302600_NS10device_ptrIlEESB_jNS0_19identity_decomposerENS1_16block_id_wrapperIjLb0EEEEE10hipError_tT1_PNSt15iterator_traitsISG_E10value_typeET2_T3_PNSH_ISM_E10value_typeET4_T5_PSR_SS_PNS1_23onesweep_lookback_stateEbbT6_jjT7_P12ihipStream_tbENKUlT_T0_SG_SL_E_clIS7_S7_SB_PlEEDaSZ_S10_SG_SL_EUlSZ_E_NS1_11comp_targetILNS1_3genE8ELNS1_11target_archE1030ELNS1_3gpuE2ELNS1_3repE0EEENS1_47radix_sort_onesweep_sort_config_static_selectorELNS0_4arch9wavefront6targetE1EEEvSG_,@function
_ZN7rocprim17ROCPRIM_400000_NS6detail17trampoline_kernelINS0_14default_configENS1_35radix_sort_onesweep_config_selectorIslEEZZNS1_29radix_sort_onesweep_iterationIS3_Lb0EPsS7_N6thrust23THRUST_200600_302600_NS10device_ptrIlEESB_jNS0_19identity_decomposerENS1_16block_id_wrapperIjLb0EEEEE10hipError_tT1_PNSt15iterator_traitsISG_E10value_typeET2_T3_PNSH_ISM_E10value_typeET4_T5_PSR_SS_PNS1_23onesweep_lookback_stateEbbT6_jjT7_P12ihipStream_tbENKUlT_T0_SG_SL_E_clIS7_S7_SB_PlEEDaSZ_S10_SG_SL_EUlSZ_E_NS1_11comp_targetILNS1_3genE8ELNS1_11target_archE1030ELNS1_3gpuE2ELNS1_3repE0EEENS1_47radix_sort_onesweep_sort_config_static_selectorELNS0_4arch9wavefront6targetE1EEEvSG_: ; @_ZN7rocprim17ROCPRIM_400000_NS6detail17trampoline_kernelINS0_14default_configENS1_35radix_sort_onesweep_config_selectorIslEEZZNS1_29radix_sort_onesweep_iterationIS3_Lb0EPsS7_N6thrust23THRUST_200600_302600_NS10device_ptrIlEESB_jNS0_19identity_decomposerENS1_16block_id_wrapperIjLb0EEEEE10hipError_tT1_PNSt15iterator_traitsISG_E10value_typeET2_T3_PNSH_ISM_E10value_typeET4_T5_PSR_SS_PNS1_23onesweep_lookback_stateEbbT6_jjT7_P12ihipStream_tbENKUlT_T0_SG_SL_E_clIS7_S7_SB_PlEEDaSZ_S10_SG_SL_EUlSZ_E_NS1_11comp_targetILNS1_3genE8ELNS1_11target_archE1030ELNS1_3gpuE2ELNS1_3repE0EEENS1_47radix_sort_onesweep_sort_config_static_selectorELNS0_4arch9wavefront6targetE1EEEvSG_
; %bb.0:
	.section	.rodata,"a",@progbits
	.p2align	6, 0x0
	.amdhsa_kernel _ZN7rocprim17ROCPRIM_400000_NS6detail17trampoline_kernelINS0_14default_configENS1_35radix_sort_onesweep_config_selectorIslEEZZNS1_29radix_sort_onesweep_iterationIS3_Lb0EPsS7_N6thrust23THRUST_200600_302600_NS10device_ptrIlEESB_jNS0_19identity_decomposerENS1_16block_id_wrapperIjLb0EEEEE10hipError_tT1_PNSt15iterator_traitsISG_E10value_typeET2_T3_PNSH_ISM_E10value_typeET4_T5_PSR_SS_PNS1_23onesweep_lookback_stateEbbT6_jjT7_P12ihipStream_tbENKUlT_T0_SG_SL_E_clIS7_S7_SB_PlEEDaSZ_S10_SG_SL_EUlSZ_E_NS1_11comp_targetILNS1_3genE8ELNS1_11target_archE1030ELNS1_3gpuE2ELNS1_3repE0EEENS1_47radix_sort_onesweep_sort_config_static_selectorELNS0_4arch9wavefront6targetE1EEEvSG_
		.amdhsa_group_segment_fixed_size 0
		.amdhsa_private_segment_fixed_size 0
		.amdhsa_kernarg_size 88
		.amdhsa_user_sgpr_count 6
		.amdhsa_user_sgpr_private_segment_buffer 1
		.amdhsa_user_sgpr_dispatch_ptr 0
		.amdhsa_user_sgpr_queue_ptr 0
		.amdhsa_user_sgpr_kernarg_segment_ptr 1
		.amdhsa_user_sgpr_dispatch_id 0
		.amdhsa_user_sgpr_flat_scratch_init 0
		.amdhsa_user_sgpr_kernarg_preload_length 0
		.amdhsa_user_sgpr_kernarg_preload_offset 0
		.amdhsa_user_sgpr_private_segment_size 0
		.amdhsa_uses_dynamic_stack 0
		.amdhsa_system_sgpr_private_segment_wavefront_offset 0
		.amdhsa_system_sgpr_workgroup_id_x 1
		.amdhsa_system_sgpr_workgroup_id_y 0
		.amdhsa_system_sgpr_workgroup_id_z 0
		.amdhsa_system_sgpr_workgroup_info 0
		.amdhsa_system_vgpr_workitem_id 0
		.amdhsa_next_free_vgpr 1
		.amdhsa_next_free_sgpr 0
		.amdhsa_accum_offset 4
		.amdhsa_reserve_vcc 0
		.amdhsa_reserve_flat_scratch 0
		.amdhsa_float_round_mode_32 0
		.amdhsa_float_round_mode_16_64 0
		.amdhsa_float_denorm_mode_32 3
		.amdhsa_float_denorm_mode_16_64 3
		.amdhsa_dx10_clamp 1
		.amdhsa_ieee_mode 1
		.amdhsa_fp16_overflow 0
		.amdhsa_tg_split 0
		.amdhsa_exception_fp_ieee_invalid_op 0
		.amdhsa_exception_fp_denorm_src 0
		.amdhsa_exception_fp_ieee_div_zero 0
		.amdhsa_exception_fp_ieee_overflow 0
		.amdhsa_exception_fp_ieee_underflow 0
		.amdhsa_exception_fp_ieee_inexact 0
		.amdhsa_exception_int_div_zero 0
	.end_amdhsa_kernel
	.section	.text._ZN7rocprim17ROCPRIM_400000_NS6detail17trampoline_kernelINS0_14default_configENS1_35radix_sort_onesweep_config_selectorIslEEZZNS1_29radix_sort_onesweep_iterationIS3_Lb0EPsS7_N6thrust23THRUST_200600_302600_NS10device_ptrIlEESB_jNS0_19identity_decomposerENS1_16block_id_wrapperIjLb0EEEEE10hipError_tT1_PNSt15iterator_traitsISG_E10value_typeET2_T3_PNSH_ISM_E10value_typeET4_T5_PSR_SS_PNS1_23onesweep_lookback_stateEbbT6_jjT7_P12ihipStream_tbENKUlT_T0_SG_SL_E_clIS7_S7_SB_PlEEDaSZ_S10_SG_SL_EUlSZ_E_NS1_11comp_targetILNS1_3genE8ELNS1_11target_archE1030ELNS1_3gpuE2ELNS1_3repE0EEENS1_47radix_sort_onesweep_sort_config_static_selectorELNS0_4arch9wavefront6targetE1EEEvSG_,"axG",@progbits,_ZN7rocprim17ROCPRIM_400000_NS6detail17trampoline_kernelINS0_14default_configENS1_35radix_sort_onesweep_config_selectorIslEEZZNS1_29radix_sort_onesweep_iterationIS3_Lb0EPsS7_N6thrust23THRUST_200600_302600_NS10device_ptrIlEESB_jNS0_19identity_decomposerENS1_16block_id_wrapperIjLb0EEEEE10hipError_tT1_PNSt15iterator_traitsISG_E10value_typeET2_T3_PNSH_ISM_E10value_typeET4_T5_PSR_SS_PNS1_23onesweep_lookback_stateEbbT6_jjT7_P12ihipStream_tbENKUlT_T0_SG_SL_E_clIS7_S7_SB_PlEEDaSZ_S10_SG_SL_EUlSZ_E_NS1_11comp_targetILNS1_3genE8ELNS1_11target_archE1030ELNS1_3gpuE2ELNS1_3repE0EEENS1_47radix_sort_onesweep_sort_config_static_selectorELNS0_4arch9wavefront6targetE1EEEvSG_,comdat
.Lfunc_end1442:
	.size	_ZN7rocprim17ROCPRIM_400000_NS6detail17trampoline_kernelINS0_14default_configENS1_35radix_sort_onesweep_config_selectorIslEEZZNS1_29radix_sort_onesweep_iterationIS3_Lb0EPsS7_N6thrust23THRUST_200600_302600_NS10device_ptrIlEESB_jNS0_19identity_decomposerENS1_16block_id_wrapperIjLb0EEEEE10hipError_tT1_PNSt15iterator_traitsISG_E10value_typeET2_T3_PNSH_ISM_E10value_typeET4_T5_PSR_SS_PNS1_23onesweep_lookback_stateEbbT6_jjT7_P12ihipStream_tbENKUlT_T0_SG_SL_E_clIS7_S7_SB_PlEEDaSZ_S10_SG_SL_EUlSZ_E_NS1_11comp_targetILNS1_3genE8ELNS1_11target_archE1030ELNS1_3gpuE2ELNS1_3repE0EEENS1_47radix_sort_onesweep_sort_config_static_selectorELNS0_4arch9wavefront6targetE1EEEvSG_, .Lfunc_end1442-_ZN7rocprim17ROCPRIM_400000_NS6detail17trampoline_kernelINS0_14default_configENS1_35radix_sort_onesweep_config_selectorIslEEZZNS1_29radix_sort_onesweep_iterationIS3_Lb0EPsS7_N6thrust23THRUST_200600_302600_NS10device_ptrIlEESB_jNS0_19identity_decomposerENS1_16block_id_wrapperIjLb0EEEEE10hipError_tT1_PNSt15iterator_traitsISG_E10value_typeET2_T3_PNSH_ISM_E10value_typeET4_T5_PSR_SS_PNS1_23onesweep_lookback_stateEbbT6_jjT7_P12ihipStream_tbENKUlT_T0_SG_SL_E_clIS7_S7_SB_PlEEDaSZ_S10_SG_SL_EUlSZ_E_NS1_11comp_targetILNS1_3genE8ELNS1_11target_archE1030ELNS1_3gpuE2ELNS1_3repE0EEENS1_47radix_sort_onesweep_sort_config_static_selectorELNS0_4arch9wavefront6targetE1EEEvSG_
                                        ; -- End function
	.section	.AMDGPU.csdata,"",@progbits
; Kernel info:
; codeLenInByte = 0
; NumSgprs: 4
; NumVgprs: 0
; NumAgprs: 0
; TotalNumVgprs: 0
; ScratchSize: 0
; MemoryBound: 0
; FloatMode: 240
; IeeeMode: 1
; LDSByteSize: 0 bytes/workgroup (compile time only)
; SGPRBlocks: 0
; VGPRBlocks: 0
; NumSGPRsForWavesPerEU: 4
; NumVGPRsForWavesPerEU: 1
; AccumOffset: 4
; Occupancy: 8
; WaveLimiterHint : 0
; COMPUTE_PGM_RSRC2:SCRATCH_EN: 0
; COMPUTE_PGM_RSRC2:USER_SGPR: 6
; COMPUTE_PGM_RSRC2:TRAP_HANDLER: 0
; COMPUTE_PGM_RSRC2:TGID_X_EN: 1
; COMPUTE_PGM_RSRC2:TGID_Y_EN: 0
; COMPUTE_PGM_RSRC2:TGID_Z_EN: 0
; COMPUTE_PGM_RSRC2:TIDIG_COMP_CNT: 0
; COMPUTE_PGM_RSRC3_GFX90A:ACCUM_OFFSET: 0
; COMPUTE_PGM_RSRC3_GFX90A:TG_SPLIT: 0
	.section	.text._ZN7rocprim17ROCPRIM_400000_NS6detail17trampoline_kernelINS0_14default_configENS1_35radix_sort_onesweep_config_selectorIslEEZZNS1_29radix_sort_onesweep_iterationIS3_Lb0EPsS7_N6thrust23THRUST_200600_302600_NS10device_ptrIlEESB_jNS0_19identity_decomposerENS1_16block_id_wrapperIjLb0EEEEE10hipError_tT1_PNSt15iterator_traitsISG_E10value_typeET2_T3_PNSH_ISM_E10value_typeET4_T5_PSR_SS_PNS1_23onesweep_lookback_stateEbbT6_jjT7_P12ihipStream_tbENKUlT_T0_SG_SL_E_clIS7_S7_PlSB_EEDaSZ_S10_SG_SL_EUlSZ_E_NS1_11comp_targetILNS1_3genE0ELNS1_11target_archE4294967295ELNS1_3gpuE0ELNS1_3repE0EEENS1_47radix_sort_onesweep_sort_config_static_selectorELNS0_4arch9wavefront6targetE1EEEvSG_,"axG",@progbits,_ZN7rocprim17ROCPRIM_400000_NS6detail17trampoline_kernelINS0_14default_configENS1_35radix_sort_onesweep_config_selectorIslEEZZNS1_29radix_sort_onesweep_iterationIS3_Lb0EPsS7_N6thrust23THRUST_200600_302600_NS10device_ptrIlEESB_jNS0_19identity_decomposerENS1_16block_id_wrapperIjLb0EEEEE10hipError_tT1_PNSt15iterator_traitsISG_E10value_typeET2_T3_PNSH_ISM_E10value_typeET4_T5_PSR_SS_PNS1_23onesweep_lookback_stateEbbT6_jjT7_P12ihipStream_tbENKUlT_T0_SG_SL_E_clIS7_S7_PlSB_EEDaSZ_S10_SG_SL_EUlSZ_E_NS1_11comp_targetILNS1_3genE0ELNS1_11target_archE4294967295ELNS1_3gpuE0ELNS1_3repE0EEENS1_47radix_sort_onesweep_sort_config_static_selectorELNS0_4arch9wavefront6targetE1EEEvSG_,comdat
	.protected	_ZN7rocprim17ROCPRIM_400000_NS6detail17trampoline_kernelINS0_14default_configENS1_35radix_sort_onesweep_config_selectorIslEEZZNS1_29radix_sort_onesweep_iterationIS3_Lb0EPsS7_N6thrust23THRUST_200600_302600_NS10device_ptrIlEESB_jNS0_19identity_decomposerENS1_16block_id_wrapperIjLb0EEEEE10hipError_tT1_PNSt15iterator_traitsISG_E10value_typeET2_T3_PNSH_ISM_E10value_typeET4_T5_PSR_SS_PNS1_23onesweep_lookback_stateEbbT6_jjT7_P12ihipStream_tbENKUlT_T0_SG_SL_E_clIS7_S7_PlSB_EEDaSZ_S10_SG_SL_EUlSZ_E_NS1_11comp_targetILNS1_3genE0ELNS1_11target_archE4294967295ELNS1_3gpuE0ELNS1_3repE0EEENS1_47radix_sort_onesweep_sort_config_static_selectorELNS0_4arch9wavefront6targetE1EEEvSG_ ; -- Begin function _ZN7rocprim17ROCPRIM_400000_NS6detail17trampoline_kernelINS0_14default_configENS1_35radix_sort_onesweep_config_selectorIslEEZZNS1_29radix_sort_onesweep_iterationIS3_Lb0EPsS7_N6thrust23THRUST_200600_302600_NS10device_ptrIlEESB_jNS0_19identity_decomposerENS1_16block_id_wrapperIjLb0EEEEE10hipError_tT1_PNSt15iterator_traitsISG_E10value_typeET2_T3_PNSH_ISM_E10value_typeET4_T5_PSR_SS_PNS1_23onesweep_lookback_stateEbbT6_jjT7_P12ihipStream_tbENKUlT_T0_SG_SL_E_clIS7_S7_PlSB_EEDaSZ_S10_SG_SL_EUlSZ_E_NS1_11comp_targetILNS1_3genE0ELNS1_11target_archE4294967295ELNS1_3gpuE0ELNS1_3repE0EEENS1_47radix_sort_onesweep_sort_config_static_selectorELNS0_4arch9wavefront6targetE1EEEvSG_
	.globl	_ZN7rocprim17ROCPRIM_400000_NS6detail17trampoline_kernelINS0_14default_configENS1_35radix_sort_onesweep_config_selectorIslEEZZNS1_29radix_sort_onesweep_iterationIS3_Lb0EPsS7_N6thrust23THRUST_200600_302600_NS10device_ptrIlEESB_jNS0_19identity_decomposerENS1_16block_id_wrapperIjLb0EEEEE10hipError_tT1_PNSt15iterator_traitsISG_E10value_typeET2_T3_PNSH_ISM_E10value_typeET4_T5_PSR_SS_PNS1_23onesweep_lookback_stateEbbT6_jjT7_P12ihipStream_tbENKUlT_T0_SG_SL_E_clIS7_S7_PlSB_EEDaSZ_S10_SG_SL_EUlSZ_E_NS1_11comp_targetILNS1_3genE0ELNS1_11target_archE4294967295ELNS1_3gpuE0ELNS1_3repE0EEENS1_47radix_sort_onesweep_sort_config_static_selectorELNS0_4arch9wavefront6targetE1EEEvSG_
	.p2align	8
	.type	_ZN7rocprim17ROCPRIM_400000_NS6detail17trampoline_kernelINS0_14default_configENS1_35radix_sort_onesweep_config_selectorIslEEZZNS1_29radix_sort_onesweep_iterationIS3_Lb0EPsS7_N6thrust23THRUST_200600_302600_NS10device_ptrIlEESB_jNS0_19identity_decomposerENS1_16block_id_wrapperIjLb0EEEEE10hipError_tT1_PNSt15iterator_traitsISG_E10value_typeET2_T3_PNSH_ISM_E10value_typeET4_T5_PSR_SS_PNS1_23onesweep_lookback_stateEbbT6_jjT7_P12ihipStream_tbENKUlT_T0_SG_SL_E_clIS7_S7_PlSB_EEDaSZ_S10_SG_SL_EUlSZ_E_NS1_11comp_targetILNS1_3genE0ELNS1_11target_archE4294967295ELNS1_3gpuE0ELNS1_3repE0EEENS1_47radix_sort_onesweep_sort_config_static_selectorELNS0_4arch9wavefront6targetE1EEEvSG_,@function
_ZN7rocprim17ROCPRIM_400000_NS6detail17trampoline_kernelINS0_14default_configENS1_35radix_sort_onesweep_config_selectorIslEEZZNS1_29radix_sort_onesweep_iterationIS3_Lb0EPsS7_N6thrust23THRUST_200600_302600_NS10device_ptrIlEESB_jNS0_19identity_decomposerENS1_16block_id_wrapperIjLb0EEEEE10hipError_tT1_PNSt15iterator_traitsISG_E10value_typeET2_T3_PNSH_ISM_E10value_typeET4_T5_PSR_SS_PNS1_23onesweep_lookback_stateEbbT6_jjT7_P12ihipStream_tbENKUlT_T0_SG_SL_E_clIS7_S7_PlSB_EEDaSZ_S10_SG_SL_EUlSZ_E_NS1_11comp_targetILNS1_3genE0ELNS1_11target_archE4294967295ELNS1_3gpuE0ELNS1_3repE0EEENS1_47radix_sort_onesweep_sort_config_static_selectorELNS0_4arch9wavefront6targetE1EEEvSG_: ; @_ZN7rocprim17ROCPRIM_400000_NS6detail17trampoline_kernelINS0_14default_configENS1_35radix_sort_onesweep_config_selectorIslEEZZNS1_29radix_sort_onesweep_iterationIS3_Lb0EPsS7_N6thrust23THRUST_200600_302600_NS10device_ptrIlEESB_jNS0_19identity_decomposerENS1_16block_id_wrapperIjLb0EEEEE10hipError_tT1_PNSt15iterator_traitsISG_E10value_typeET2_T3_PNSH_ISM_E10value_typeET4_T5_PSR_SS_PNS1_23onesweep_lookback_stateEbbT6_jjT7_P12ihipStream_tbENKUlT_T0_SG_SL_E_clIS7_S7_PlSB_EEDaSZ_S10_SG_SL_EUlSZ_E_NS1_11comp_targetILNS1_3genE0ELNS1_11target_archE4294967295ELNS1_3gpuE0ELNS1_3repE0EEENS1_47radix_sort_onesweep_sort_config_static_selectorELNS0_4arch9wavefront6targetE1EEEvSG_
; %bb.0:
	.section	.rodata,"a",@progbits
	.p2align	6, 0x0
	.amdhsa_kernel _ZN7rocprim17ROCPRIM_400000_NS6detail17trampoline_kernelINS0_14default_configENS1_35radix_sort_onesweep_config_selectorIslEEZZNS1_29radix_sort_onesweep_iterationIS3_Lb0EPsS7_N6thrust23THRUST_200600_302600_NS10device_ptrIlEESB_jNS0_19identity_decomposerENS1_16block_id_wrapperIjLb0EEEEE10hipError_tT1_PNSt15iterator_traitsISG_E10value_typeET2_T3_PNSH_ISM_E10value_typeET4_T5_PSR_SS_PNS1_23onesweep_lookback_stateEbbT6_jjT7_P12ihipStream_tbENKUlT_T0_SG_SL_E_clIS7_S7_PlSB_EEDaSZ_S10_SG_SL_EUlSZ_E_NS1_11comp_targetILNS1_3genE0ELNS1_11target_archE4294967295ELNS1_3gpuE0ELNS1_3repE0EEENS1_47radix_sort_onesweep_sort_config_static_selectorELNS0_4arch9wavefront6targetE1EEEvSG_
		.amdhsa_group_segment_fixed_size 0
		.amdhsa_private_segment_fixed_size 0
		.amdhsa_kernarg_size 88
		.amdhsa_user_sgpr_count 6
		.amdhsa_user_sgpr_private_segment_buffer 1
		.amdhsa_user_sgpr_dispatch_ptr 0
		.amdhsa_user_sgpr_queue_ptr 0
		.amdhsa_user_sgpr_kernarg_segment_ptr 1
		.amdhsa_user_sgpr_dispatch_id 0
		.amdhsa_user_sgpr_flat_scratch_init 0
		.amdhsa_user_sgpr_kernarg_preload_length 0
		.amdhsa_user_sgpr_kernarg_preload_offset 0
		.amdhsa_user_sgpr_private_segment_size 0
		.amdhsa_uses_dynamic_stack 0
		.amdhsa_system_sgpr_private_segment_wavefront_offset 0
		.amdhsa_system_sgpr_workgroup_id_x 1
		.amdhsa_system_sgpr_workgroup_id_y 0
		.amdhsa_system_sgpr_workgroup_id_z 0
		.amdhsa_system_sgpr_workgroup_info 0
		.amdhsa_system_vgpr_workitem_id 0
		.amdhsa_next_free_vgpr 1
		.amdhsa_next_free_sgpr 0
		.amdhsa_accum_offset 4
		.amdhsa_reserve_vcc 0
		.amdhsa_reserve_flat_scratch 0
		.amdhsa_float_round_mode_32 0
		.amdhsa_float_round_mode_16_64 0
		.amdhsa_float_denorm_mode_32 3
		.amdhsa_float_denorm_mode_16_64 3
		.amdhsa_dx10_clamp 1
		.amdhsa_ieee_mode 1
		.amdhsa_fp16_overflow 0
		.amdhsa_tg_split 0
		.amdhsa_exception_fp_ieee_invalid_op 0
		.amdhsa_exception_fp_denorm_src 0
		.amdhsa_exception_fp_ieee_div_zero 0
		.amdhsa_exception_fp_ieee_overflow 0
		.amdhsa_exception_fp_ieee_underflow 0
		.amdhsa_exception_fp_ieee_inexact 0
		.amdhsa_exception_int_div_zero 0
	.end_amdhsa_kernel
	.section	.text._ZN7rocprim17ROCPRIM_400000_NS6detail17trampoline_kernelINS0_14default_configENS1_35radix_sort_onesweep_config_selectorIslEEZZNS1_29radix_sort_onesweep_iterationIS3_Lb0EPsS7_N6thrust23THRUST_200600_302600_NS10device_ptrIlEESB_jNS0_19identity_decomposerENS1_16block_id_wrapperIjLb0EEEEE10hipError_tT1_PNSt15iterator_traitsISG_E10value_typeET2_T3_PNSH_ISM_E10value_typeET4_T5_PSR_SS_PNS1_23onesweep_lookback_stateEbbT6_jjT7_P12ihipStream_tbENKUlT_T0_SG_SL_E_clIS7_S7_PlSB_EEDaSZ_S10_SG_SL_EUlSZ_E_NS1_11comp_targetILNS1_3genE0ELNS1_11target_archE4294967295ELNS1_3gpuE0ELNS1_3repE0EEENS1_47radix_sort_onesweep_sort_config_static_selectorELNS0_4arch9wavefront6targetE1EEEvSG_,"axG",@progbits,_ZN7rocprim17ROCPRIM_400000_NS6detail17trampoline_kernelINS0_14default_configENS1_35radix_sort_onesweep_config_selectorIslEEZZNS1_29radix_sort_onesweep_iterationIS3_Lb0EPsS7_N6thrust23THRUST_200600_302600_NS10device_ptrIlEESB_jNS0_19identity_decomposerENS1_16block_id_wrapperIjLb0EEEEE10hipError_tT1_PNSt15iterator_traitsISG_E10value_typeET2_T3_PNSH_ISM_E10value_typeET4_T5_PSR_SS_PNS1_23onesweep_lookback_stateEbbT6_jjT7_P12ihipStream_tbENKUlT_T0_SG_SL_E_clIS7_S7_PlSB_EEDaSZ_S10_SG_SL_EUlSZ_E_NS1_11comp_targetILNS1_3genE0ELNS1_11target_archE4294967295ELNS1_3gpuE0ELNS1_3repE0EEENS1_47radix_sort_onesweep_sort_config_static_selectorELNS0_4arch9wavefront6targetE1EEEvSG_,comdat
.Lfunc_end1443:
	.size	_ZN7rocprim17ROCPRIM_400000_NS6detail17trampoline_kernelINS0_14default_configENS1_35radix_sort_onesweep_config_selectorIslEEZZNS1_29radix_sort_onesweep_iterationIS3_Lb0EPsS7_N6thrust23THRUST_200600_302600_NS10device_ptrIlEESB_jNS0_19identity_decomposerENS1_16block_id_wrapperIjLb0EEEEE10hipError_tT1_PNSt15iterator_traitsISG_E10value_typeET2_T3_PNSH_ISM_E10value_typeET4_T5_PSR_SS_PNS1_23onesweep_lookback_stateEbbT6_jjT7_P12ihipStream_tbENKUlT_T0_SG_SL_E_clIS7_S7_PlSB_EEDaSZ_S10_SG_SL_EUlSZ_E_NS1_11comp_targetILNS1_3genE0ELNS1_11target_archE4294967295ELNS1_3gpuE0ELNS1_3repE0EEENS1_47radix_sort_onesweep_sort_config_static_selectorELNS0_4arch9wavefront6targetE1EEEvSG_, .Lfunc_end1443-_ZN7rocprim17ROCPRIM_400000_NS6detail17trampoline_kernelINS0_14default_configENS1_35radix_sort_onesweep_config_selectorIslEEZZNS1_29radix_sort_onesweep_iterationIS3_Lb0EPsS7_N6thrust23THRUST_200600_302600_NS10device_ptrIlEESB_jNS0_19identity_decomposerENS1_16block_id_wrapperIjLb0EEEEE10hipError_tT1_PNSt15iterator_traitsISG_E10value_typeET2_T3_PNSH_ISM_E10value_typeET4_T5_PSR_SS_PNS1_23onesweep_lookback_stateEbbT6_jjT7_P12ihipStream_tbENKUlT_T0_SG_SL_E_clIS7_S7_PlSB_EEDaSZ_S10_SG_SL_EUlSZ_E_NS1_11comp_targetILNS1_3genE0ELNS1_11target_archE4294967295ELNS1_3gpuE0ELNS1_3repE0EEENS1_47radix_sort_onesweep_sort_config_static_selectorELNS0_4arch9wavefront6targetE1EEEvSG_
                                        ; -- End function
	.section	.AMDGPU.csdata,"",@progbits
; Kernel info:
; codeLenInByte = 0
; NumSgprs: 4
; NumVgprs: 0
; NumAgprs: 0
; TotalNumVgprs: 0
; ScratchSize: 0
; MemoryBound: 0
; FloatMode: 240
; IeeeMode: 1
; LDSByteSize: 0 bytes/workgroup (compile time only)
; SGPRBlocks: 0
; VGPRBlocks: 0
; NumSGPRsForWavesPerEU: 4
; NumVGPRsForWavesPerEU: 1
; AccumOffset: 4
; Occupancy: 8
; WaveLimiterHint : 0
; COMPUTE_PGM_RSRC2:SCRATCH_EN: 0
; COMPUTE_PGM_RSRC2:USER_SGPR: 6
; COMPUTE_PGM_RSRC2:TRAP_HANDLER: 0
; COMPUTE_PGM_RSRC2:TGID_X_EN: 1
; COMPUTE_PGM_RSRC2:TGID_Y_EN: 0
; COMPUTE_PGM_RSRC2:TGID_Z_EN: 0
; COMPUTE_PGM_RSRC2:TIDIG_COMP_CNT: 0
; COMPUTE_PGM_RSRC3_GFX90A:ACCUM_OFFSET: 0
; COMPUTE_PGM_RSRC3_GFX90A:TG_SPLIT: 0
	.section	.text._ZN7rocprim17ROCPRIM_400000_NS6detail17trampoline_kernelINS0_14default_configENS1_35radix_sort_onesweep_config_selectorIslEEZZNS1_29radix_sort_onesweep_iterationIS3_Lb0EPsS7_N6thrust23THRUST_200600_302600_NS10device_ptrIlEESB_jNS0_19identity_decomposerENS1_16block_id_wrapperIjLb0EEEEE10hipError_tT1_PNSt15iterator_traitsISG_E10value_typeET2_T3_PNSH_ISM_E10value_typeET4_T5_PSR_SS_PNS1_23onesweep_lookback_stateEbbT6_jjT7_P12ihipStream_tbENKUlT_T0_SG_SL_E_clIS7_S7_PlSB_EEDaSZ_S10_SG_SL_EUlSZ_E_NS1_11comp_targetILNS1_3genE6ELNS1_11target_archE950ELNS1_3gpuE13ELNS1_3repE0EEENS1_47radix_sort_onesweep_sort_config_static_selectorELNS0_4arch9wavefront6targetE1EEEvSG_,"axG",@progbits,_ZN7rocprim17ROCPRIM_400000_NS6detail17trampoline_kernelINS0_14default_configENS1_35radix_sort_onesweep_config_selectorIslEEZZNS1_29radix_sort_onesweep_iterationIS3_Lb0EPsS7_N6thrust23THRUST_200600_302600_NS10device_ptrIlEESB_jNS0_19identity_decomposerENS1_16block_id_wrapperIjLb0EEEEE10hipError_tT1_PNSt15iterator_traitsISG_E10value_typeET2_T3_PNSH_ISM_E10value_typeET4_T5_PSR_SS_PNS1_23onesweep_lookback_stateEbbT6_jjT7_P12ihipStream_tbENKUlT_T0_SG_SL_E_clIS7_S7_PlSB_EEDaSZ_S10_SG_SL_EUlSZ_E_NS1_11comp_targetILNS1_3genE6ELNS1_11target_archE950ELNS1_3gpuE13ELNS1_3repE0EEENS1_47radix_sort_onesweep_sort_config_static_selectorELNS0_4arch9wavefront6targetE1EEEvSG_,comdat
	.protected	_ZN7rocprim17ROCPRIM_400000_NS6detail17trampoline_kernelINS0_14default_configENS1_35radix_sort_onesweep_config_selectorIslEEZZNS1_29radix_sort_onesweep_iterationIS3_Lb0EPsS7_N6thrust23THRUST_200600_302600_NS10device_ptrIlEESB_jNS0_19identity_decomposerENS1_16block_id_wrapperIjLb0EEEEE10hipError_tT1_PNSt15iterator_traitsISG_E10value_typeET2_T3_PNSH_ISM_E10value_typeET4_T5_PSR_SS_PNS1_23onesweep_lookback_stateEbbT6_jjT7_P12ihipStream_tbENKUlT_T0_SG_SL_E_clIS7_S7_PlSB_EEDaSZ_S10_SG_SL_EUlSZ_E_NS1_11comp_targetILNS1_3genE6ELNS1_11target_archE950ELNS1_3gpuE13ELNS1_3repE0EEENS1_47radix_sort_onesweep_sort_config_static_selectorELNS0_4arch9wavefront6targetE1EEEvSG_ ; -- Begin function _ZN7rocprim17ROCPRIM_400000_NS6detail17trampoline_kernelINS0_14default_configENS1_35radix_sort_onesweep_config_selectorIslEEZZNS1_29radix_sort_onesweep_iterationIS3_Lb0EPsS7_N6thrust23THRUST_200600_302600_NS10device_ptrIlEESB_jNS0_19identity_decomposerENS1_16block_id_wrapperIjLb0EEEEE10hipError_tT1_PNSt15iterator_traitsISG_E10value_typeET2_T3_PNSH_ISM_E10value_typeET4_T5_PSR_SS_PNS1_23onesweep_lookback_stateEbbT6_jjT7_P12ihipStream_tbENKUlT_T0_SG_SL_E_clIS7_S7_PlSB_EEDaSZ_S10_SG_SL_EUlSZ_E_NS1_11comp_targetILNS1_3genE6ELNS1_11target_archE950ELNS1_3gpuE13ELNS1_3repE0EEENS1_47radix_sort_onesweep_sort_config_static_selectorELNS0_4arch9wavefront6targetE1EEEvSG_
	.globl	_ZN7rocprim17ROCPRIM_400000_NS6detail17trampoline_kernelINS0_14default_configENS1_35radix_sort_onesweep_config_selectorIslEEZZNS1_29radix_sort_onesweep_iterationIS3_Lb0EPsS7_N6thrust23THRUST_200600_302600_NS10device_ptrIlEESB_jNS0_19identity_decomposerENS1_16block_id_wrapperIjLb0EEEEE10hipError_tT1_PNSt15iterator_traitsISG_E10value_typeET2_T3_PNSH_ISM_E10value_typeET4_T5_PSR_SS_PNS1_23onesweep_lookback_stateEbbT6_jjT7_P12ihipStream_tbENKUlT_T0_SG_SL_E_clIS7_S7_PlSB_EEDaSZ_S10_SG_SL_EUlSZ_E_NS1_11comp_targetILNS1_3genE6ELNS1_11target_archE950ELNS1_3gpuE13ELNS1_3repE0EEENS1_47radix_sort_onesweep_sort_config_static_selectorELNS0_4arch9wavefront6targetE1EEEvSG_
	.p2align	8
	.type	_ZN7rocprim17ROCPRIM_400000_NS6detail17trampoline_kernelINS0_14default_configENS1_35radix_sort_onesweep_config_selectorIslEEZZNS1_29radix_sort_onesweep_iterationIS3_Lb0EPsS7_N6thrust23THRUST_200600_302600_NS10device_ptrIlEESB_jNS0_19identity_decomposerENS1_16block_id_wrapperIjLb0EEEEE10hipError_tT1_PNSt15iterator_traitsISG_E10value_typeET2_T3_PNSH_ISM_E10value_typeET4_T5_PSR_SS_PNS1_23onesweep_lookback_stateEbbT6_jjT7_P12ihipStream_tbENKUlT_T0_SG_SL_E_clIS7_S7_PlSB_EEDaSZ_S10_SG_SL_EUlSZ_E_NS1_11comp_targetILNS1_3genE6ELNS1_11target_archE950ELNS1_3gpuE13ELNS1_3repE0EEENS1_47radix_sort_onesweep_sort_config_static_selectorELNS0_4arch9wavefront6targetE1EEEvSG_,@function
_ZN7rocprim17ROCPRIM_400000_NS6detail17trampoline_kernelINS0_14default_configENS1_35radix_sort_onesweep_config_selectorIslEEZZNS1_29radix_sort_onesweep_iterationIS3_Lb0EPsS7_N6thrust23THRUST_200600_302600_NS10device_ptrIlEESB_jNS0_19identity_decomposerENS1_16block_id_wrapperIjLb0EEEEE10hipError_tT1_PNSt15iterator_traitsISG_E10value_typeET2_T3_PNSH_ISM_E10value_typeET4_T5_PSR_SS_PNS1_23onesweep_lookback_stateEbbT6_jjT7_P12ihipStream_tbENKUlT_T0_SG_SL_E_clIS7_S7_PlSB_EEDaSZ_S10_SG_SL_EUlSZ_E_NS1_11comp_targetILNS1_3genE6ELNS1_11target_archE950ELNS1_3gpuE13ELNS1_3repE0EEENS1_47radix_sort_onesweep_sort_config_static_selectorELNS0_4arch9wavefront6targetE1EEEvSG_: ; @_ZN7rocprim17ROCPRIM_400000_NS6detail17trampoline_kernelINS0_14default_configENS1_35radix_sort_onesweep_config_selectorIslEEZZNS1_29radix_sort_onesweep_iterationIS3_Lb0EPsS7_N6thrust23THRUST_200600_302600_NS10device_ptrIlEESB_jNS0_19identity_decomposerENS1_16block_id_wrapperIjLb0EEEEE10hipError_tT1_PNSt15iterator_traitsISG_E10value_typeET2_T3_PNSH_ISM_E10value_typeET4_T5_PSR_SS_PNS1_23onesweep_lookback_stateEbbT6_jjT7_P12ihipStream_tbENKUlT_T0_SG_SL_E_clIS7_S7_PlSB_EEDaSZ_S10_SG_SL_EUlSZ_E_NS1_11comp_targetILNS1_3genE6ELNS1_11target_archE950ELNS1_3gpuE13ELNS1_3repE0EEENS1_47radix_sort_onesweep_sort_config_static_selectorELNS0_4arch9wavefront6targetE1EEEvSG_
; %bb.0:
	.section	.rodata,"a",@progbits
	.p2align	6, 0x0
	.amdhsa_kernel _ZN7rocprim17ROCPRIM_400000_NS6detail17trampoline_kernelINS0_14default_configENS1_35radix_sort_onesweep_config_selectorIslEEZZNS1_29radix_sort_onesweep_iterationIS3_Lb0EPsS7_N6thrust23THRUST_200600_302600_NS10device_ptrIlEESB_jNS0_19identity_decomposerENS1_16block_id_wrapperIjLb0EEEEE10hipError_tT1_PNSt15iterator_traitsISG_E10value_typeET2_T3_PNSH_ISM_E10value_typeET4_T5_PSR_SS_PNS1_23onesweep_lookback_stateEbbT6_jjT7_P12ihipStream_tbENKUlT_T0_SG_SL_E_clIS7_S7_PlSB_EEDaSZ_S10_SG_SL_EUlSZ_E_NS1_11comp_targetILNS1_3genE6ELNS1_11target_archE950ELNS1_3gpuE13ELNS1_3repE0EEENS1_47radix_sort_onesweep_sort_config_static_selectorELNS0_4arch9wavefront6targetE1EEEvSG_
		.amdhsa_group_segment_fixed_size 0
		.amdhsa_private_segment_fixed_size 0
		.amdhsa_kernarg_size 88
		.amdhsa_user_sgpr_count 6
		.amdhsa_user_sgpr_private_segment_buffer 1
		.amdhsa_user_sgpr_dispatch_ptr 0
		.amdhsa_user_sgpr_queue_ptr 0
		.amdhsa_user_sgpr_kernarg_segment_ptr 1
		.amdhsa_user_sgpr_dispatch_id 0
		.amdhsa_user_sgpr_flat_scratch_init 0
		.amdhsa_user_sgpr_kernarg_preload_length 0
		.amdhsa_user_sgpr_kernarg_preload_offset 0
		.amdhsa_user_sgpr_private_segment_size 0
		.amdhsa_uses_dynamic_stack 0
		.amdhsa_system_sgpr_private_segment_wavefront_offset 0
		.amdhsa_system_sgpr_workgroup_id_x 1
		.amdhsa_system_sgpr_workgroup_id_y 0
		.amdhsa_system_sgpr_workgroup_id_z 0
		.amdhsa_system_sgpr_workgroup_info 0
		.amdhsa_system_vgpr_workitem_id 0
		.amdhsa_next_free_vgpr 1
		.amdhsa_next_free_sgpr 0
		.amdhsa_accum_offset 4
		.amdhsa_reserve_vcc 0
		.amdhsa_reserve_flat_scratch 0
		.amdhsa_float_round_mode_32 0
		.amdhsa_float_round_mode_16_64 0
		.amdhsa_float_denorm_mode_32 3
		.amdhsa_float_denorm_mode_16_64 3
		.amdhsa_dx10_clamp 1
		.amdhsa_ieee_mode 1
		.amdhsa_fp16_overflow 0
		.amdhsa_tg_split 0
		.amdhsa_exception_fp_ieee_invalid_op 0
		.amdhsa_exception_fp_denorm_src 0
		.amdhsa_exception_fp_ieee_div_zero 0
		.amdhsa_exception_fp_ieee_overflow 0
		.amdhsa_exception_fp_ieee_underflow 0
		.amdhsa_exception_fp_ieee_inexact 0
		.amdhsa_exception_int_div_zero 0
	.end_amdhsa_kernel
	.section	.text._ZN7rocprim17ROCPRIM_400000_NS6detail17trampoline_kernelINS0_14default_configENS1_35radix_sort_onesweep_config_selectorIslEEZZNS1_29radix_sort_onesweep_iterationIS3_Lb0EPsS7_N6thrust23THRUST_200600_302600_NS10device_ptrIlEESB_jNS0_19identity_decomposerENS1_16block_id_wrapperIjLb0EEEEE10hipError_tT1_PNSt15iterator_traitsISG_E10value_typeET2_T3_PNSH_ISM_E10value_typeET4_T5_PSR_SS_PNS1_23onesweep_lookback_stateEbbT6_jjT7_P12ihipStream_tbENKUlT_T0_SG_SL_E_clIS7_S7_PlSB_EEDaSZ_S10_SG_SL_EUlSZ_E_NS1_11comp_targetILNS1_3genE6ELNS1_11target_archE950ELNS1_3gpuE13ELNS1_3repE0EEENS1_47radix_sort_onesweep_sort_config_static_selectorELNS0_4arch9wavefront6targetE1EEEvSG_,"axG",@progbits,_ZN7rocprim17ROCPRIM_400000_NS6detail17trampoline_kernelINS0_14default_configENS1_35radix_sort_onesweep_config_selectorIslEEZZNS1_29radix_sort_onesweep_iterationIS3_Lb0EPsS7_N6thrust23THRUST_200600_302600_NS10device_ptrIlEESB_jNS0_19identity_decomposerENS1_16block_id_wrapperIjLb0EEEEE10hipError_tT1_PNSt15iterator_traitsISG_E10value_typeET2_T3_PNSH_ISM_E10value_typeET4_T5_PSR_SS_PNS1_23onesweep_lookback_stateEbbT6_jjT7_P12ihipStream_tbENKUlT_T0_SG_SL_E_clIS7_S7_PlSB_EEDaSZ_S10_SG_SL_EUlSZ_E_NS1_11comp_targetILNS1_3genE6ELNS1_11target_archE950ELNS1_3gpuE13ELNS1_3repE0EEENS1_47radix_sort_onesweep_sort_config_static_selectorELNS0_4arch9wavefront6targetE1EEEvSG_,comdat
.Lfunc_end1444:
	.size	_ZN7rocprim17ROCPRIM_400000_NS6detail17trampoline_kernelINS0_14default_configENS1_35radix_sort_onesweep_config_selectorIslEEZZNS1_29radix_sort_onesweep_iterationIS3_Lb0EPsS7_N6thrust23THRUST_200600_302600_NS10device_ptrIlEESB_jNS0_19identity_decomposerENS1_16block_id_wrapperIjLb0EEEEE10hipError_tT1_PNSt15iterator_traitsISG_E10value_typeET2_T3_PNSH_ISM_E10value_typeET4_T5_PSR_SS_PNS1_23onesweep_lookback_stateEbbT6_jjT7_P12ihipStream_tbENKUlT_T0_SG_SL_E_clIS7_S7_PlSB_EEDaSZ_S10_SG_SL_EUlSZ_E_NS1_11comp_targetILNS1_3genE6ELNS1_11target_archE950ELNS1_3gpuE13ELNS1_3repE0EEENS1_47radix_sort_onesweep_sort_config_static_selectorELNS0_4arch9wavefront6targetE1EEEvSG_, .Lfunc_end1444-_ZN7rocprim17ROCPRIM_400000_NS6detail17trampoline_kernelINS0_14default_configENS1_35radix_sort_onesweep_config_selectorIslEEZZNS1_29radix_sort_onesweep_iterationIS3_Lb0EPsS7_N6thrust23THRUST_200600_302600_NS10device_ptrIlEESB_jNS0_19identity_decomposerENS1_16block_id_wrapperIjLb0EEEEE10hipError_tT1_PNSt15iterator_traitsISG_E10value_typeET2_T3_PNSH_ISM_E10value_typeET4_T5_PSR_SS_PNS1_23onesweep_lookback_stateEbbT6_jjT7_P12ihipStream_tbENKUlT_T0_SG_SL_E_clIS7_S7_PlSB_EEDaSZ_S10_SG_SL_EUlSZ_E_NS1_11comp_targetILNS1_3genE6ELNS1_11target_archE950ELNS1_3gpuE13ELNS1_3repE0EEENS1_47radix_sort_onesweep_sort_config_static_selectorELNS0_4arch9wavefront6targetE1EEEvSG_
                                        ; -- End function
	.section	.AMDGPU.csdata,"",@progbits
; Kernel info:
; codeLenInByte = 0
; NumSgprs: 4
; NumVgprs: 0
; NumAgprs: 0
; TotalNumVgprs: 0
; ScratchSize: 0
; MemoryBound: 0
; FloatMode: 240
; IeeeMode: 1
; LDSByteSize: 0 bytes/workgroup (compile time only)
; SGPRBlocks: 0
; VGPRBlocks: 0
; NumSGPRsForWavesPerEU: 4
; NumVGPRsForWavesPerEU: 1
; AccumOffset: 4
; Occupancy: 8
; WaveLimiterHint : 0
; COMPUTE_PGM_RSRC2:SCRATCH_EN: 0
; COMPUTE_PGM_RSRC2:USER_SGPR: 6
; COMPUTE_PGM_RSRC2:TRAP_HANDLER: 0
; COMPUTE_PGM_RSRC2:TGID_X_EN: 1
; COMPUTE_PGM_RSRC2:TGID_Y_EN: 0
; COMPUTE_PGM_RSRC2:TGID_Z_EN: 0
; COMPUTE_PGM_RSRC2:TIDIG_COMP_CNT: 0
; COMPUTE_PGM_RSRC3_GFX90A:ACCUM_OFFSET: 0
; COMPUTE_PGM_RSRC3_GFX90A:TG_SPLIT: 0
	.section	.text._ZN7rocprim17ROCPRIM_400000_NS6detail17trampoline_kernelINS0_14default_configENS1_35radix_sort_onesweep_config_selectorIslEEZZNS1_29radix_sort_onesweep_iterationIS3_Lb0EPsS7_N6thrust23THRUST_200600_302600_NS10device_ptrIlEESB_jNS0_19identity_decomposerENS1_16block_id_wrapperIjLb0EEEEE10hipError_tT1_PNSt15iterator_traitsISG_E10value_typeET2_T3_PNSH_ISM_E10value_typeET4_T5_PSR_SS_PNS1_23onesweep_lookback_stateEbbT6_jjT7_P12ihipStream_tbENKUlT_T0_SG_SL_E_clIS7_S7_PlSB_EEDaSZ_S10_SG_SL_EUlSZ_E_NS1_11comp_targetILNS1_3genE5ELNS1_11target_archE942ELNS1_3gpuE9ELNS1_3repE0EEENS1_47radix_sort_onesweep_sort_config_static_selectorELNS0_4arch9wavefront6targetE1EEEvSG_,"axG",@progbits,_ZN7rocprim17ROCPRIM_400000_NS6detail17trampoline_kernelINS0_14default_configENS1_35radix_sort_onesweep_config_selectorIslEEZZNS1_29radix_sort_onesweep_iterationIS3_Lb0EPsS7_N6thrust23THRUST_200600_302600_NS10device_ptrIlEESB_jNS0_19identity_decomposerENS1_16block_id_wrapperIjLb0EEEEE10hipError_tT1_PNSt15iterator_traitsISG_E10value_typeET2_T3_PNSH_ISM_E10value_typeET4_T5_PSR_SS_PNS1_23onesweep_lookback_stateEbbT6_jjT7_P12ihipStream_tbENKUlT_T0_SG_SL_E_clIS7_S7_PlSB_EEDaSZ_S10_SG_SL_EUlSZ_E_NS1_11comp_targetILNS1_3genE5ELNS1_11target_archE942ELNS1_3gpuE9ELNS1_3repE0EEENS1_47radix_sort_onesweep_sort_config_static_selectorELNS0_4arch9wavefront6targetE1EEEvSG_,comdat
	.protected	_ZN7rocprim17ROCPRIM_400000_NS6detail17trampoline_kernelINS0_14default_configENS1_35radix_sort_onesweep_config_selectorIslEEZZNS1_29radix_sort_onesweep_iterationIS3_Lb0EPsS7_N6thrust23THRUST_200600_302600_NS10device_ptrIlEESB_jNS0_19identity_decomposerENS1_16block_id_wrapperIjLb0EEEEE10hipError_tT1_PNSt15iterator_traitsISG_E10value_typeET2_T3_PNSH_ISM_E10value_typeET4_T5_PSR_SS_PNS1_23onesweep_lookback_stateEbbT6_jjT7_P12ihipStream_tbENKUlT_T0_SG_SL_E_clIS7_S7_PlSB_EEDaSZ_S10_SG_SL_EUlSZ_E_NS1_11comp_targetILNS1_3genE5ELNS1_11target_archE942ELNS1_3gpuE9ELNS1_3repE0EEENS1_47radix_sort_onesweep_sort_config_static_selectorELNS0_4arch9wavefront6targetE1EEEvSG_ ; -- Begin function _ZN7rocprim17ROCPRIM_400000_NS6detail17trampoline_kernelINS0_14default_configENS1_35radix_sort_onesweep_config_selectorIslEEZZNS1_29radix_sort_onesweep_iterationIS3_Lb0EPsS7_N6thrust23THRUST_200600_302600_NS10device_ptrIlEESB_jNS0_19identity_decomposerENS1_16block_id_wrapperIjLb0EEEEE10hipError_tT1_PNSt15iterator_traitsISG_E10value_typeET2_T3_PNSH_ISM_E10value_typeET4_T5_PSR_SS_PNS1_23onesweep_lookback_stateEbbT6_jjT7_P12ihipStream_tbENKUlT_T0_SG_SL_E_clIS7_S7_PlSB_EEDaSZ_S10_SG_SL_EUlSZ_E_NS1_11comp_targetILNS1_3genE5ELNS1_11target_archE942ELNS1_3gpuE9ELNS1_3repE0EEENS1_47radix_sort_onesweep_sort_config_static_selectorELNS0_4arch9wavefront6targetE1EEEvSG_
	.globl	_ZN7rocprim17ROCPRIM_400000_NS6detail17trampoline_kernelINS0_14default_configENS1_35radix_sort_onesweep_config_selectorIslEEZZNS1_29radix_sort_onesweep_iterationIS3_Lb0EPsS7_N6thrust23THRUST_200600_302600_NS10device_ptrIlEESB_jNS0_19identity_decomposerENS1_16block_id_wrapperIjLb0EEEEE10hipError_tT1_PNSt15iterator_traitsISG_E10value_typeET2_T3_PNSH_ISM_E10value_typeET4_T5_PSR_SS_PNS1_23onesweep_lookback_stateEbbT6_jjT7_P12ihipStream_tbENKUlT_T0_SG_SL_E_clIS7_S7_PlSB_EEDaSZ_S10_SG_SL_EUlSZ_E_NS1_11comp_targetILNS1_3genE5ELNS1_11target_archE942ELNS1_3gpuE9ELNS1_3repE0EEENS1_47radix_sort_onesweep_sort_config_static_selectorELNS0_4arch9wavefront6targetE1EEEvSG_
	.p2align	8
	.type	_ZN7rocprim17ROCPRIM_400000_NS6detail17trampoline_kernelINS0_14default_configENS1_35radix_sort_onesweep_config_selectorIslEEZZNS1_29radix_sort_onesweep_iterationIS3_Lb0EPsS7_N6thrust23THRUST_200600_302600_NS10device_ptrIlEESB_jNS0_19identity_decomposerENS1_16block_id_wrapperIjLb0EEEEE10hipError_tT1_PNSt15iterator_traitsISG_E10value_typeET2_T3_PNSH_ISM_E10value_typeET4_T5_PSR_SS_PNS1_23onesweep_lookback_stateEbbT6_jjT7_P12ihipStream_tbENKUlT_T0_SG_SL_E_clIS7_S7_PlSB_EEDaSZ_S10_SG_SL_EUlSZ_E_NS1_11comp_targetILNS1_3genE5ELNS1_11target_archE942ELNS1_3gpuE9ELNS1_3repE0EEENS1_47radix_sort_onesweep_sort_config_static_selectorELNS0_4arch9wavefront6targetE1EEEvSG_,@function
_ZN7rocprim17ROCPRIM_400000_NS6detail17trampoline_kernelINS0_14default_configENS1_35radix_sort_onesweep_config_selectorIslEEZZNS1_29radix_sort_onesweep_iterationIS3_Lb0EPsS7_N6thrust23THRUST_200600_302600_NS10device_ptrIlEESB_jNS0_19identity_decomposerENS1_16block_id_wrapperIjLb0EEEEE10hipError_tT1_PNSt15iterator_traitsISG_E10value_typeET2_T3_PNSH_ISM_E10value_typeET4_T5_PSR_SS_PNS1_23onesweep_lookback_stateEbbT6_jjT7_P12ihipStream_tbENKUlT_T0_SG_SL_E_clIS7_S7_PlSB_EEDaSZ_S10_SG_SL_EUlSZ_E_NS1_11comp_targetILNS1_3genE5ELNS1_11target_archE942ELNS1_3gpuE9ELNS1_3repE0EEENS1_47radix_sort_onesweep_sort_config_static_selectorELNS0_4arch9wavefront6targetE1EEEvSG_: ; @_ZN7rocprim17ROCPRIM_400000_NS6detail17trampoline_kernelINS0_14default_configENS1_35radix_sort_onesweep_config_selectorIslEEZZNS1_29radix_sort_onesweep_iterationIS3_Lb0EPsS7_N6thrust23THRUST_200600_302600_NS10device_ptrIlEESB_jNS0_19identity_decomposerENS1_16block_id_wrapperIjLb0EEEEE10hipError_tT1_PNSt15iterator_traitsISG_E10value_typeET2_T3_PNSH_ISM_E10value_typeET4_T5_PSR_SS_PNS1_23onesweep_lookback_stateEbbT6_jjT7_P12ihipStream_tbENKUlT_T0_SG_SL_E_clIS7_S7_PlSB_EEDaSZ_S10_SG_SL_EUlSZ_E_NS1_11comp_targetILNS1_3genE5ELNS1_11target_archE942ELNS1_3gpuE9ELNS1_3repE0EEENS1_47radix_sort_onesweep_sort_config_static_selectorELNS0_4arch9wavefront6targetE1EEEvSG_
; %bb.0:
	.section	.rodata,"a",@progbits
	.p2align	6, 0x0
	.amdhsa_kernel _ZN7rocprim17ROCPRIM_400000_NS6detail17trampoline_kernelINS0_14default_configENS1_35radix_sort_onesweep_config_selectorIslEEZZNS1_29radix_sort_onesweep_iterationIS3_Lb0EPsS7_N6thrust23THRUST_200600_302600_NS10device_ptrIlEESB_jNS0_19identity_decomposerENS1_16block_id_wrapperIjLb0EEEEE10hipError_tT1_PNSt15iterator_traitsISG_E10value_typeET2_T3_PNSH_ISM_E10value_typeET4_T5_PSR_SS_PNS1_23onesweep_lookback_stateEbbT6_jjT7_P12ihipStream_tbENKUlT_T0_SG_SL_E_clIS7_S7_PlSB_EEDaSZ_S10_SG_SL_EUlSZ_E_NS1_11comp_targetILNS1_3genE5ELNS1_11target_archE942ELNS1_3gpuE9ELNS1_3repE0EEENS1_47radix_sort_onesweep_sort_config_static_selectorELNS0_4arch9wavefront6targetE1EEEvSG_
		.amdhsa_group_segment_fixed_size 0
		.amdhsa_private_segment_fixed_size 0
		.amdhsa_kernarg_size 88
		.amdhsa_user_sgpr_count 6
		.amdhsa_user_sgpr_private_segment_buffer 1
		.amdhsa_user_sgpr_dispatch_ptr 0
		.amdhsa_user_sgpr_queue_ptr 0
		.amdhsa_user_sgpr_kernarg_segment_ptr 1
		.amdhsa_user_sgpr_dispatch_id 0
		.amdhsa_user_sgpr_flat_scratch_init 0
		.amdhsa_user_sgpr_kernarg_preload_length 0
		.amdhsa_user_sgpr_kernarg_preload_offset 0
		.amdhsa_user_sgpr_private_segment_size 0
		.amdhsa_uses_dynamic_stack 0
		.amdhsa_system_sgpr_private_segment_wavefront_offset 0
		.amdhsa_system_sgpr_workgroup_id_x 1
		.amdhsa_system_sgpr_workgroup_id_y 0
		.amdhsa_system_sgpr_workgroup_id_z 0
		.amdhsa_system_sgpr_workgroup_info 0
		.amdhsa_system_vgpr_workitem_id 0
		.amdhsa_next_free_vgpr 1
		.amdhsa_next_free_sgpr 0
		.amdhsa_accum_offset 4
		.amdhsa_reserve_vcc 0
		.amdhsa_reserve_flat_scratch 0
		.amdhsa_float_round_mode_32 0
		.amdhsa_float_round_mode_16_64 0
		.amdhsa_float_denorm_mode_32 3
		.amdhsa_float_denorm_mode_16_64 3
		.amdhsa_dx10_clamp 1
		.amdhsa_ieee_mode 1
		.amdhsa_fp16_overflow 0
		.amdhsa_tg_split 0
		.amdhsa_exception_fp_ieee_invalid_op 0
		.amdhsa_exception_fp_denorm_src 0
		.amdhsa_exception_fp_ieee_div_zero 0
		.amdhsa_exception_fp_ieee_overflow 0
		.amdhsa_exception_fp_ieee_underflow 0
		.amdhsa_exception_fp_ieee_inexact 0
		.amdhsa_exception_int_div_zero 0
	.end_amdhsa_kernel
	.section	.text._ZN7rocprim17ROCPRIM_400000_NS6detail17trampoline_kernelINS0_14default_configENS1_35radix_sort_onesweep_config_selectorIslEEZZNS1_29radix_sort_onesweep_iterationIS3_Lb0EPsS7_N6thrust23THRUST_200600_302600_NS10device_ptrIlEESB_jNS0_19identity_decomposerENS1_16block_id_wrapperIjLb0EEEEE10hipError_tT1_PNSt15iterator_traitsISG_E10value_typeET2_T3_PNSH_ISM_E10value_typeET4_T5_PSR_SS_PNS1_23onesweep_lookback_stateEbbT6_jjT7_P12ihipStream_tbENKUlT_T0_SG_SL_E_clIS7_S7_PlSB_EEDaSZ_S10_SG_SL_EUlSZ_E_NS1_11comp_targetILNS1_3genE5ELNS1_11target_archE942ELNS1_3gpuE9ELNS1_3repE0EEENS1_47radix_sort_onesweep_sort_config_static_selectorELNS0_4arch9wavefront6targetE1EEEvSG_,"axG",@progbits,_ZN7rocprim17ROCPRIM_400000_NS6detail17trampoline_kernelINS0_14default_configENS1_35radix_sort_onesweep_config_selectorIslEEZZNS1_29radix_sort_onesweep_iterationIS3_Lb0EPsS7_N6thrust23THRUST_200600_302600_NS10device_ptrIlEESB_jNS0_19identity_decomposerENS1_16block_id_wrapperIjLb0EEEEE10hipError_tT1_PNSt15iterator_traitsISG_E10value_typeET2_T3_PNSH_ISM_E10value_typeET4_T5_PSR_SS_PNS1_23onesweep_lookback_stateEbbT6_jjT7_P12ihipStream_tbENKUlT_T0_SG_SL_E_clIS7_S7_PlSB_EEDaSZ_S10_SG_SL_EUlSZ_E_NS1_11comp_targetILNS1_3genE5ELNS1_11target_archE942ELNS1_3gpuE9ELNS1_3repE0EEENS1_47radix_sort_onesweep_sort_config_static_selectorELNS0_4arch9wavefront6targetE1EEEvSG_,comdat
.Lfunc_end1445:
	.size	_ZN7rocprim17ROCPRIM_400000_NS6detail17trampoline_kernelINS0_14default_configENS1_35radix_sort_onesweep_config_selectorIslEEZZNS1_29radix_sort_onesweep_iterationIS3_Lb0EPsS7_N6thrust23THRUST_200600_302600_NS10device_ptrIlEESB_jNS0_19identity_decomposerENS1_16block_id_wrapperIjLb0EEEEE10hipError_tT1_PNSt15iterator_traitsISG_E10value_typeET2_T3_PNSH_ISM_E10value_typeET4_T5_PSR_SS_PNS1_23onesweep_lookback_stateEbbT6_jjT7_P12ihipStream_tbENKUlT_T0_SG_SL_E_clIS7_S7_PlSB_EEDaSZ_S10_SG_SL_EUlSZ_E_NS1_11comp_targetILNS1_3genE5ELNS1_11target_archE942ELNS1_3gpuE9ELNS1_3repE0EEENS1_47radix_sort_onesweep_sort_config_static_selectorELNS0_4arch9wavefront6targetE1EEEvSG_, .Lfunc_end1445-_ZN7rocprim17ROCPRIM_400000_NS6detail17trampoline_kernelINS0_14default_configENS1_35radix_sort_onesweep_config_selectorIslEEZZNS1_29radix_sort_onesweep_iterationIS3_Lb0EPsS7_N6thrust23THRUST_200600_302600_NS10device_ptrIlEESB_jNS0_19identity_decomposerENS1_16block_id_wrapperIjLb0EEEEE10hipError_tT1_PNSt15iterator_traitsISG_E10value_typeET2_T3_PNSH_ISM_E10value_typeET4_T5_PSR_SS_PNS1_23onesweep_lookback_stateEbbT6_jjT7_P12ihipStream_tbENKUlT_T0_SG_SL_E_clIS7_S7_PlSB_EEDaSZ_S10_SG_SL_EUlSZ_E_NS1_11comp_targetILNS1_3genE5ELNS1_11target_archE942ELNS1_3gpuE9ELNS1_3repE0EEENS1_47radix_sort_onesweep_sort_config_static_selectorELNS0_4arch9wavefront6targetE1EEEvSG_
                                        ; -- End function
	.section	.AMDGPU.csdata,"",@progbits
; Kernel info:
; codeLenInByte = 0
; NumSgprs: 4
; NumVgprs: 0
; NumAgprs: 0
; TotalNumVgprs: 0
; ScratchSize: 0
; MemoryBound: 0
; FloatMode: 240
; IeeeMode: 1
; LDSByteSize: 0 bytes/workgroup (compile time only)
; SGPRBlocks: 0
; VGPRBlocks: 0
; NumSGPRsForWavesPerEU: 4
; NumVGPRsForWavesPerEU: 1
; AccumOffset: 4
; Occupancy: 8
; WaveLimiterHint : 0
; COMPUTE_PGM_RSRC2:SCRATCH_EN: 0
; COMPUTE_PGM_RSRC2:USER_SGPR: 6
; COMPUTE_PGM_RSRC2:TRAP_HANDLER: 0
; COMPUTE_PGM_RSRC2:TGID_X_EN: 1
; COMPUTE_PGM_RSRC2:TGID_Y_EN: 0
; COMPUTE_PGM_RSRC2:TGID_Z_EN: 0
; COMPUTE_PGM_RSRC2:TIDIG_COMP_CNT: 0
; COMPUTE_PGM_RSRC3_GFX90A:ACCUM_OFFSET: 0
; COMPUTE_PGM_RSRC3_GFX90A:TG_SPLIT: 0
	.section	.text._ZN7rocprim17ROCPRIM_400000_NS6detail17trampoline_kernelINS0_14default_configENS1_35radix_sort_onesweep_config_selectorIslEEZZNS1_29radix_sort_onesweep_iterationIS3_Lb0EPsS7_N6thrust23THRUST_200600_302600_NS10device_ptrIlEESB_jNS0_19identity_decomposerENS1_16block_id_wrapperIjLb0EEEEE10hipError_tT1_PNSt15iterator_traitsISG_E10value_typeET2_T3_PNSH_ISM_E10value_typeET4_T5_PSR_SS_PNS1_23onesweep_lookback_stateEbbT6_jjT7_P12ihipStream_tbENKUlT_T0_SG_SL_E_clIS7_S7_PlSB_EEDaSZ_S10_SG_SL_EUlSZ_E_NS1_11comp_targetILNS1_3genE2ELNS1_11target_archE906ELNS1_3gpuE6ELNS1_3repE0EEENS1_47radix_sort_onesweep_sort_config_static_selectorELNS0_4arch9wavefront6targetE1EEEvSG_,"axG",@progbits,_ZN7rocprim17ROCPRIM_400000_NS6detail17trampoline_kernelINS0_14default_configENS1_35radix_sort_onesweep_config_selectorIslEEZZNS1_29radix_sort_onesweep_iterationIS3_Lb0EPsS7_N6thrust23THRUST_200600_302600_NS10device_ptrIlEESB_jNS0_19identity_decomposerENS1_16block_id_wrapperIjLb0EEEEE10hipError_tT1_PNSt15iterator_traitsISG_E10value_typeET2_T3_PNSH_ISM_E10value_typeET4_T5_PSR_SS_PNS1_23onesweep_lookback_stateEbbT6_jjT7_P12ihipStream_tbENKUlT_T0_SG_SL_E_clIS7_S7_PlSB_EEDaSZ_S10_SG_SL_EUlSZ_E_NS1_11comp_targetILNS1_3genE2ELNS1_11target_archE906ELNS1_3gpuE6ELNS1_3repE0EEENS1_47radix_sort_onesweep_sort_config_static_selectorELNS0_4arch9wavefront6targetE1EEEvSG_,comdat
	.protected	_ZN7rocprim17ROCPRIM_400000_NS6detail17trampoline_kernelINS0_14default_configENS1_35radix_sort_onesweep_config_selectorIslEEZZNS1_29radix_sort_onesweep_iterationIS3_Lb0EPsS7_N6thrust23THRUST_200600_302600_NS10device_ptrIlEESB_jNS0_19identity_decomposerENS1_16block_id_wrapperIjLb0EEEEE10hipError_tT1_PNSt15iterator_traitsISG_E10value_typeET2_T3_PNSH_ISM_E10value_typeET4_T5_PSR_SS_PNS1_23onesweep_lookback_stateEbbT6_jjT7_P12ihipStream_tbENKUlT_T0_SG_SL_E_clIS7_S7_PlSB_EEDaSZ_S10_SG_SL_EUlSZ_E_NS1_11comp_targetILNS1_3genE2ELNS1_11target_archE906ELNS1_3gpuE6ELNS1_3repE0EEENS1_47radix_sort_onesweep_sort_config_static_selectorELNS0_4arch9wavefront6targetE1EEEvSG_ ; -- Begin function _ZN7rocprim17ROCPRIM_400000_NS6detail17trampoline_kernelINS0_14default_configENS1_35radix_sort_onesweep_config_selectorIslEEZZNS1_29radix_sort_onesweep_iterationIS3_Lb0EPsS7_N6thrust23THRUST_200600_302600_NS10device_ptrIlEESB_jNS0_19identity_decomposerENS1_16block_id_wrapperIjLb0EEEEE10hipError_tT1_PNSt15iterator_traitsISG_E10value_typeET2_T3_PNSH_ISM_E10value_typeET4_T5_PSR_SS_PNS1_23onesweep_lookback_stateEbbT6_jjT7_P12ihipStream_tbENKUlT_T0_SG_SL_E_clIS7_S7_PlSB_EEDaSZ_S10_SG_SL_EUlSZ_E_NS1_11comp_targetILNS1_3genE2ELNS1_11target_archE906ELNS1_3gpuE6ELNS1_3repE0EEENS1_47radix_sort_onesweep_sort_config_static_selectorELNS0_4arch9wavefront6targetE1EEEvSG_
	.globl	_ZN7rocprim17ROCPRIM_400000_NS6detail17trampoline_kernelINS0_14default_configENS1_35radix_sort_onesweep_config_selectorIslEEZZNS1_29radix_sort_onesweep_iterationIS3_Lb0EPsS7_N6thrust23THRUST_200600_302600_NS10device_ptrIlEESB_jNS0_19identity_decomposerENS1_16block_id_wrapperIjLb0EEEEE10hipError_tT1_PNSt15iterator_traitsISG_E10value_typeET2_T3_PNSH_ISM_E10value_typeET4_T5_PSR_SS_PNS1_23onesweep_lookback_stateEbbT6_jjT7_P12ihipStream_tbENKUlT_T0_SG_SL_E_clIS7_S7_PlSB_EEDaSZ_S10_SG_SL_EUlSZ_E_NS1_11comp_targetILNS1_3genE2ELNS1_11target_archE906ELNS1_3gpuE6ELNS1_3repE0EEENS1_47radix_sort_onesweep_sort_config_static_selectorELNS0_4arch9wavefront6targetE1EEEvSG_
	.p2align	8
	.type	_ZN7rocprim17ROCPRIM_400000_NS6detail17trampoline_kernelINS0_14default_configENS1_35radix_sort_onesweep_config_selectorIslEEZZNS1_29radix_sort_onesweep_iterationIS3_Lb0EPsS7_N6thrust23THRUST_200600_302600_NS10device_ptrIlEESB_jNS0_19identity_decomposerENS1_16block_id_wrapperIjLb0EEEEE10hipError_tT1_PNSt15iterator_traitsISG_E10value_typeET2_T3_PNSH_ISM_E10value_typeET4_T5_PSR_SS_PNS1_23onesweep_lookback_stateEbbT6_jjT7_P12ihipStream_tbENKUlT_T0_SG_SL_E_clIS7_S7_PlSB_EEDaSZ_S10_SG_SL_EUlSZ_E_NS1_11comp_targetILNS1_3genE2ELNS1_11target_archE906ELNS1_3gpuE6ELNS1_3repE0EEENS1_47radix_sort_onesweep_sort_config_static_selectorELNS0_4arch9wavefront6targetE1EEEvSG_,@function
_ZN7rocprim17ROCPRIM_400000_NS6detail17trampoline_kernelINS0_14default_configENS1_35radix_sort_onesweep_config_selectorIslEEZZNS1_29radix_sort_onesweep_iterationIS3_Lb0EPsS7_N6thrust23THRUST_200600_302600_NS10device_ptrIlEESB_jNS0_19identity_decomposerENS1_16block_id_wrapperIjLb0EEEEE10hipError_tT1_PNSt15iterator_traitsISG_E10value_typeET2_T3_PNSH_ISM_E10value_typeET4_T5_PSR_SS_PNS1_23onesweep_lookback_stateEbbT6_jjT7_P12ihipStream_tbENKUlT_T0_SG_SL_E_clIS7_S7_PlSB_EEDaSZ_S10_SG_SL_EUlSZ_E_NS1_11comp_targetILNS1_3genE2ELNS1_11target_archE906ELNS1_3gpuE6ELNS1_3repE0EEENS1_47radix_sort_onesweep_sort_config_static_selectorELNS0_4arch9wavefront6targetE1EEEvSG_: ; @_ZN7rocprim17ROCPRIM_400000_NS6detail17trampoline_kernelINS0_14default_configENS1_35radix_sort_onesweep_config_selectorIslEEZZNS1_29radix_sort_onesweep_iterationIS3_Lb0EPsS7_N6thrust23THRUST_200600_302600_NS10device_ptrIlEESB_jNS0_19identity_decomposerENS1_16block_id_wrapperIjLb0EEEEE10hipError_tT1_PNSt15iterator_traitsISG_E10value_typeET2_T3_PNSH_ISM_E10value_typeET4_T5_PSR_SS_PNS1_23onesweep_lookback_stateEbbT6_jjT7_P12ihipStream_tbENKUlT_T0_SG_SL_E_clIS7_S7_PlSB_EEDaSZ_S10_SG_SL_EUlSZ_E_NS1_11comp_targetILNS1_3genE2ELNS1_11target_archE906ELNS1_3gpuE6ELNS1_3repE0EEENS1_47radix_sort_onesweep_sort_config_static_selectorELNS0_4arch9wavefront6targetE1EEEvSG_
; %bb.0:
	.section	.rodata,"a",@progbits
	.p2align	6, 0x0
	.amdhsa_kernel _ZN7rocprim17ROCPRIM_400000_NS6detail17trampoline_kernelINS0_14default_configENS1_35radix_sort_onesweep_config_selectorIslEEZZNS1_29radix_sort_onesweep_iterationIS3_Lb0EPsS7_N6thrust23THRUST_200600_302600_NS10device_ptrIlEESB_jNS0_19identity_decomposerENS1_16block_id_wrapperIjLb0EEEEE10hipError_tT1_PNSt15iterator_traitsISG_E10value_typeET2_T3_PNSH_ISM_E10value_typeET4_T5_PSR_SS_PNS1_23onesweep_lookback_stateEbbT6_jjT7_P12ihipStream_tbENKUlT_T0_SG_SL_E_clIS7_S7_PlSB_EEDaSZ_S10_SG_SL_EUlSZ_E_NS1_11comp_targetILNS1_3genE2ELNS1_11target_archE906ELNS1_3gpuE6ELNS1_3repE0EEENS1_47radix_sort_onesweep_sort_config_static_selectorELNS0_4arch9wavefront6targetE1EEEvSG_
		.amdhsa_group_segment_fixed_size 0
		.amdhsa_private_segment_fixed_size 0
		.amdhsa_kernarg_size 88
		.amdhsa_user_sgpr_count 6
		.amdhsa_user_sgpr_private_segment_buffer 1
		.amdhsa_user_sgpr_dispatch_ptr 0
		.amdhsa_user_sgpr_queue_ptr 0
		.amdhsa_user_sgpr_kernarg_segment_ptr 1
		.amdhsa_user_sgpr_dispatch_id 0
		.amdhsa_user_sgpr_flat_scratch_init 0
		.amdhsa_user_sgpr_kernarg_preload_length 0
		.amdhsa_user_sgpr_kernarg_preload_offset 0
		.amdhsa_user_sgpr_private_segment_size 0
		.amdhsa_uses_dynamic_stack 0
		.amdhsa_system_sgpr_private_segment_wavefront_offset 0
		.amdhsa_system_sgpr_workgroup_id_x 1
		.amdhsa_system_sgpr_workgroup_id_y 0
		.amdhsa_system_sgpr_workgroup_id_z 0
		.amdhsa_system_sgpr_workgroup_info 0
		.amdhsa_system_vgpr_workitem_id 0
		.amdhsa_next_free_vgpr 1
		.amdhsa_next_free_sgpr 0
		.amdhsa_accum_offset 4
		.amdhsa_reserve_vcc 0
		.amdhsa_reserve_flat_scratch 0
		.amdhsa_float_round_mode_32 0
		.amdhsa_float_round_mode_16_64 0
		.amdhsa_float_denorm_mode_32 3
		.amdhsa_float_denorm_mode_16_64 3
		.amdhsa_dx10_clamp 1
		.amdhsa_ieee_mode 1
		.amdhsa_fp16_overflow 0
		.amdhsa_tg_split 0
		.amdhsa_exception_fp_ieee_invalid_op 0
		.amdhsa_exception_fp_denorm_src 0
		.amdhsa_exception_fp_ieee_div_zero 0
		.amdhsa_exception_fp_ieee_overflow 0
		.amdhsa_exception_fp_ieee_underflow 0
		.amdhsa_exception_fp_ieee_inexact 0
		.amdhsa_exception_int_div_zero 0
	.end_amdhsa_kernel
	.section	.text._ZN7rocprim17ROCPRIM_400000_NS6detail17trampoline_kernelINS0_14default_configENS1_35radix_sort_onesweep_config_selectorIslEEZZNS1_29radix_sort_onesweep_iterationIS3_Lb0EPsS7_N6thrust23THRUST_200600_302600_NS10device_ptrIlEESB_jNS0_19identity_decomposerENS1_16block_id_wrapperIjLb0EEEEE10hipError_tT1_PNSt15iterator_traitsISG_E10value_typeET2_T3_PNSH_ISM_E10value_typeET4_T5_PSR_SS_PNS1_23onesweep_lookback_stateEbbT6_jjT7_P12ihipStream_tbENKUlT_T0_SG_SL_E_clIS7_S7_PlSB_EEDaSZ_S10_SG_SL_EUlSZ_E_NS1_11comp_targetILNS1_3genE2ELNS1_11target_archE906ELNS1_3gpuE6ELNS1_3repE0EEENS1_47radix_sort_onesweep_sort_config_static_selectorELNS0_4arch9wavefront6targetE1EEEvSG_,"axG",@progbits,_ZN7rocprim17ROCPRIM_400000_NS6detail17trampoline_kernelINS0_14default_configENS1_35radix_sort_onesweep_config_selectorIslEEZZNS1_29radix_sort_onesweep_iterationIS3_Lb0EPsS7_N6thrust23THRUST_200600_302600_NS10device_ptrIlEESB_jNS0_19identity_decomposerENS1_16block_id_wrapperIjLb0EEEEE10hipError_tT1_PNSt15iterator_traitsISG_E10value_typeET2_T3_PNSH_ISM_E10value_typeET4_T5_PSR_SS_PNS1_23onesweep_lookback_stateEbbT6_jjT7_P12ihipStream_tbENKUlT_T0_SG_SL_E_clIS7_S7_PlSB_EEDaSZ_S10_SG_SL_EUlSZ_E_NS1_11comp_targetILNS1_3genE2ELNS1_11target_archE906ELNS1_3gpuE6ELNS1_3repE0EEENS1_47radix_sort_onesweep_sort_config_static_selectorELNS0_4arch9wavefront6targetE1EEEvSG_,comdat
.Lfunc_end1446:
	.size	_ZN7rocprim17ROCPRIM_400000_NS6detail17trampoline_kernelINS0_14default_configENS1_35radix_sort_onesweep_config_selectorIslEEZZNS1_29radix_sort_onesweep_iterationIS3_Lb0EPsS7_N6thrust23THRUST_200600_302600_NS10device_ptrIlEESB_jNS0_19identity_decomposerENS1_16block_id_wrapperIjLb0EEEEE10hipError_tT1_PNSt15iterator_traitsISG_E10value_typeET2_T3_PNSH_ISM_E10value_typeET4_T5_PSR_SS_PNS1_23onesweep_lookback_stateEbbT6_jjT7_P12ihipStream_tbENKUlT_T0_SG_SL_E_clIS7_S7_PlSB_EEDaSZ_S10_SG_SL_EUlSZ_E_NS1_11comp_targetILNS1_3genE2ELNS1_11target_archE906ELNS1_3gpuE6ELNS1_3repE0EEENS1_47radix_sort_onesweep_sort_config_static_selectorELNS0_4arch9wavefront6targetE1EEEvSG_, .Lfunc_end1446-_ZN7rocprim17ROCPRIM_400000_NS6detail17trampoline_kernelINS0_14default_configENS1_35radix_sort_onesweep_config_selectorIslEEZZNS1_29radix_sort_onesweep_iterationIS3_Lb0EPsS7_N6thrust23THRUST_200600_302600_NS10device_ptrIlEESB_jNS0_19identity_decomposerENS1_16block_id_wrapperIjLb0EEEEE10hipError_tT1_PNSt15iterator_traitsISG_E10value_typeET2_T3_PNSH_ISM_E10value_typeET4_T5_PSR_SS_PNS1_23onesweep_lookback_stateEbbT6_jjT7_P12ihipStream_tbENKUlT_T0_SG_SL_E_clIS7_S7_PlSB_EEDaSZ_S10_SG_SL_EUlSZ_E_NS1_11comp_targetILNS1_3genE2ELNS1_11target_archE906ELNS1_3gpuE6ELNS1_3repE0EEENS1_47radix_sort_onesweep_sort_config_static_selectorELNS0_4arch9wavefront6targetE1EEEvSG_
                                        ; -- End function
	.section	.AMDGPU.csdata,"",@progbits
; Kernel info:
; codeLenInByte = 0
; NumSgprs: 4
; NumVgprs: 0
; NumAgprs: 0
; TotalNumVgprs: 0
; ScratchSize: 0
; MemoryBound: 0
; FloatMode: 240
; IeeeMode: 1
; LDSByteSize: 0 bytes/workgroup (compile time only)
; SGPRBlocks: 0
; VGPRBlocks: 0
; NumSGPRsForWavesPerEU: 4
; NumVGPRsForWavesPerEU: 1
; AccumOffset: 4
; Occupancy: 8
; WaveLimiterHint : 0
; COMPUTE_PGM_RSRC2:SCRATCH_EN: 0
; COMPUTE_PGM_RSRC2:USER_SGPR: 6
; COMPUTE_PGM_RSRC2:TRAP_HANDLER: 0
; COMPUTE_PGM_RSRC2:TGID_X_EN: 1
; COMPUTE_PGM_RSRC2:TGID_Y_EN: 0
; COMPUTE_PGM_RSRC2:TGID_Z_EN: 0
; COMPUTE_PGM_RSRC2:TIDIG_COMP_CNT: 0
; COMPUTE_PGM_RSRC3_GFX90A:ACCUM_OFFSET: 0
; COMPUTE_PGM_RSRC3_GFX90A:TG_SPLIT: 0
	.section	.text._ZN7rocprim17ROCPRIM_400000_NS6detail17trampoline_kernelINS0_14default_configENS1_35radix_sort_onesweep_config_selectorIslEEZZNS1_29radix_sort_onesweep_iterationIS3_Lb0EPsS7_N6thrust23THRUST_200600_302600_NS10device_ptrIlEESB_jNS0_19identity_decomposerENS1_16block_id_wrapperIjLb0EEEEE10hipError_tT1_PNSt15iterator_traitsISG_E10value_typeET2_T3_PNSH_ISM_E10value_typeET4_T5_PSR_SS_PNS1_23onesweep_lookback_stateEbbT6_jjT7_P12ihipStream_tbENKUlT_T0_SG_SL_E_clIS7_S7_PlSB_EEDaSZ_S10_SG_SL_EUlSZ_E_NS1_11comp_targetILNS1_3genE4ELNS1_11target_archE910ELNS1_3gpuE8ELNS1_3repE0EEENS1_47radix_sort_onesweep_sort_config_static_selectorELNS0_4arch9wavefront6targetE1EEEvSG_,"axG",@progbits,_ZN7rocprim17ROCPRIM_400000_NS6detail17trampoline_kernelINS0_14default_configENS1_35radix_sort_onesweep_config_selectorIslEEZZNS1_29radix_sort_onesweep_iterationIS3_Lb0EPsS7_N6thrust23THRUST_200600_302600_NS10device_ptrIlEESB_jNS0_19identity_decomposerENS1_16block_id_wrapperIjLb0EEEEE10hipError_tT1_PNSt15iterator_traitsISG_E10value_typeET2_T3_PNSH_ISM_E10value_typeET4_T5_PSR_SS_PNS1_23onesweep_lookback_stateEbbT6_jjT7_P12ihipStream_tbENKUlT_T0_SG_SL_E_clIS7_S7_PlSB_EEDaSZ_S10_SG_SL_EUlSZ_E_NS1_11comp_targetILNS1_3genE4ELNS1_11target_archE910ELNS1_3gpuE8ELNS1_3repE0EEENS1_47radix_sort_onesweep_sort_config_static_selectorELNS0_4arch9wavefront6targetE1EEEvSG_,comdat
	.protected	_ZN7rocprim17ROCPRIM_400000_NS6detail17trampoline_kernelINS0_14default_configENS1_35radix_sort_onesweep_config_selectorIslEEZZNS1_29radix_sort_onesweep_iterationIS3_Lb0EPsS7_N6thrust23THRUST_200600_302600_NS10device_ptrIlEESB_jNS0_19identity_decomposerENS1_16block_id_wrapperIjLb0EEEEE10hipError_tT1_PNSt15iterator_traitsISG_E10value_typeET2_T3_PNSH_ISM_E10value_typeET4_T5_PSR_SS_PNS1_23onesweep_lookback_stateEbbT6_jjT7_P12ihipStream_tbENKUlT_T0_SG_SL_E_clIS7_S7_PlSB_EEDaSZ_S10_SG_SL_EUlSZ_E_NS1_11comp_targetILNS1_3genE4ELNS1_11target_archE910ELNS1_3gpuE8ELNS1_3repE0EEENS1_47radix_sort_onesweep_sort_config_static_selectorELNS0_4arch9wavefront6targetE1EEEvSG_ ; -- Begin function _ZN7rocprim17ROCPRIM_400000_NS6detail17trampoline_kernelINS0_14default_configENS1_35radix_sort_onesweep_config_selectorIslEEZZNS1_29radix_sort_onesweep_iterationIS3_Lb0EPsS7_N6thrust23THRUST_200600_302600_NS10device_ptrIlEESB_jNS0_19identity_decomposerENS1_16block_id_wrapperIjLb0EEEEE10hipError_tT1_PNSt15iterator_traitsISG_E10value_typeET2_T3_PNSH_ISM_E10value_typeET4_T5_PSR_SS_PNS1_23onesweep_lookback_stateEbbT6_jjT7_P12ihipStream_tbENKUlT_T0_SG_SL_E_clIS7_S7_PlSB_EEDaSZ_S10_SG_SL_EUlSZ_E_NS1_11comp_targetILNS1_3genE4ELNS1_11target_archE910ELNS1_3gpuE8ELNS1_3repE0EEENS1_47radix_sort_onesweep_sort_config_static_selectorELNS0_4arch9wavefront6targetE1EEEvSG_
	.globl	_ZN7rocprim17ROCPRIM_400000_NS6detail17trampoline_kernelINS0_14default_configENS1_35radix_sort_onesweep_config_selectorIslEEZZNS1_29radix_sort_onesweep_iterationIS3_Lb0EPsS7_N6thrust23THRUST_200600_302600_NS10device_ptrIlEESB_jNS0_19identity_decomposerENS1_16block_id_wrapperIjLb0EEEEE10hipError_tT1_PNSt15iterator_traitsISG_E10value_typeET2_T3_PNSH_ISM_E10value_typeET4_T5_PSR_SS_PNS1_23onesweep_lookback_stateEbbT6_jjT7_P12ihipStream_tbENKUlT_T0_SG_SL_E_clIS7_S7_PlSB_EEDaSZ_S10_SG_SL_EUlSZ_E_NS1_11comp_targetILNS1_3genE4ELNS1_11target_archE910ELNS1_3gpuE8ELNS1_3repE0EEENS1_47radix_sort_onesweep_sort_config_static_selectorELNS0_4arch9wavefront6targetE1EEEvSG_
	.p2align	8
	.type	_ZN7rocprim17ROCPRIM_400000_NS6detail17trampoline_kernelINS0_14default_configENS1_35radix_sort_onesweep_config_selectorIslEEZZNS1_29radix_sort_onesweep_iterationIS3_Lb0EPsS7_N6thrust23THRUST_200600_302600_NS10device_ptrIlEESB_jNS0_19identity_decomposerENS1_16block_id_wrapperIjLb0EEEEE10hipError_tT1_PNSt15iterator_traitsISG_E10value_typeET2_T3_PNSH_ISM_E10value_typeET4_T5_PSR_SS_PNS1_23onesweep_lookback_stateEbbT6_jjT7_P12ihipStream_tbENKUlT_T0_SG_SL_E_clIS7_S7_PlSB_EEDaSZ_S10_SG_SL_EUlSZ_E_NS1_11comp_targetILNS1_3genE4ELNS1_11target_archE910ELNS1_3gpuE8ELNS1_3repE0EEENS1_47radix_sort_onesweep_sort_config_static_selectorELNS0_4arch9wavefront6targetE1EEEvSG_,@function
_ZN7rocprim17ROCPRIM_400000_NS6detail17trampoline_kernelINS0_14default_configENS1_35radix_sort_onesweep_config_selectorIslEEZZNS1_29radix_sort_onesweep_iterationIS3_Lb0EPsS7_N6thrust23THRUST_200600_302600_NS10device_ptrIlEESB_jNS0_19identity_decomposerENS1_16block_id_wrapperIjLb0EEEEE10hipError_tT1_PNSt15iterator_traitsISG_E10value_typeET2_T3_PNSH_ISM_E10value_typeET4_T5_PSR_SS_PNS1_23onesweep_lookback_stateEbbT6_jjT7_P12ihipStream_tbENKUlT_T0_SG_SL_E_clIS7_S7_PlSB_EEDaSZ_S10_SG_SL_EUlSZ_E_NS1_11comp_targetILNS1_3genE4ELNS1_11target_archE910ELNS1_3gpuE8ELNS1_3repE0EEENS1_47radix_sort_onesweep_sort_config_static_selectorELNS0_4arch9wavefront6targetE1EEEvSG_: ; @_ZN7rocprim17ROCPRIM_400000_NS6detail17trampoline_kernelINS0_14default_configENS1_35radix_sort_onesweep_config_selectorIslEEZZNS1_29radix_sort_onesweep_iterationIS3_Lb0EPsS7_N6thrust23THRUST_200600_302600_NS10device_ptrIlEESB_jNS0_19identity_decomposerENS1_16block_id_wrapperIjLb0EEEEE10hipError_tT1_PNSt15iterator_traitsISG_E10value_typeET2_T3_PNSH_ISM_E10value_typeET4_T5_PSR_SS_PNS1_23onesweep_lookback_stateEbbT6_jjT7_P12ihipStream_tbENKUlT_T0_SG_SL_E_clIS7_S7_PlSB_EEDaSZ_S10_SG_SL_EUlSZ_E_NS1_11comp_targetILNS1_3genE4ELNS1_11target_archE910ELNS1_3gpuE8ELNS1_3repE0EEENS1_47radix_sort_onesweep_sort_config_static_selectorELNS0_4arch9wavefront6targetE1EEEvSG_
; %bb.0:
	s_load_dwordx8 s[36:43], s[4:5], 0x0
	s_load_dwordx4 s[44:47], s[4:5], 0x44
	s_load_dwordx4 s[28:31], s[4:5], 0x28
	s_load_dwordx2 s[34:35], s[4:5], 0x38
	v_mbcnt_lo_u32_b32 v1, -1, 0
	s_waitcnt lgkmcnt(0)
	s_cmp_ge_u32 s6, s46
	s_cbranch_scc0 .LBB1447_84
; %bb.1:
	s_load_dword s0, s[4:5], 0x20
	s_lshl_b32 s1, s46, 13
	s_lshl_b32 s46, s6, 13
	s_mov_b32 s47, 0
	v_mbcnt_hi_u32_b32 v14, -1, v1
	s_waitcnt lgkmcnt(0)
	s_sub_i32 s7, s0, s1
	s_lshl_b64 s[0:1], s[46:47], 1
	v_and_b32_e32 v10, 0x3ff, v0
	s_add_u32 s0, s36, s0
	v_and_b32_e32 v13, 63, v14
	s_addc_u32 s1, s37, s1
	v_lshlrev_b32_e32 v11, 3, v10
	v_lshlrev_b32_e32 v2, 1, v13
	v_and_b32_e32 v12, 0x1e00, v11
	v_mov_b32_e32 v3, s1
	v_add_co_u32_e32 v2, vcc, s0, v2
	v_addc_co_u32_e32 v3, vcc, 0, v3, vcc
	v_lshlrev_b32_e32 v4, 1, v12
	s_mov_b32 s0, 0x7fff7fff
	v_add_co_u32_e32 v6, vcc, v2, v4
	s_mov_b32 s2, s0
	s_mov_b32 s3, s0
	v_addc_co_u32_e32 v7, vcc, 0, v3, vcc
	v_or_b32_e32 v8, v13, v12
	s_mov_b32 s1, s0
	v_pk_mov_b32 v[4:5], s[2:3], s[2:3] op_sel:[0,1]
	v_cmp_gt_u32_e32 vcc, s7, v8
	v_pk_mov_b32 v[2:3], s[0:1], s[0:1] op_sel:[0,1]
	s_and_saveexec_b64 s[0:1], vcc
	s_cbranch_execz .LBB1447_3
; %bb.2:
	global_load_ushort v2, v[6:7], off
	s_movk_i32 s2, 0x7fff
	v_mov_b32_e32 v5, 0x5040100
	v_mov_b32_e32 v3, 0x7fff7fff
	;; [unrolled: 1-line block ×3, first 2 shown]
	s_waitcnt vmcnt(0)
	v_perm_b32 v2, s2, v2, v5
	v_mov_b32_e32 v5, v3
.LBB1447_3:
	s_or_b64 exec, exec, s[0:1]
	v_or_b32_e32 v9, 64, v8
	v_cmp_gt_u32_e64 s[0:1], s7, v9
	s_and_saveexec_b64 s[2:3], s[0:1]
	s_cbranch_execz .LBB1447_5
; %bb.4:
	global_load_ushort v9, v[6:7], off offset:128
	s_mov_b32 s8, 0x5040100
	s_waitcnt vmcnt(0)
	v_perm_b32 v2, v9, v2, s8
.LBB1447_5:
	s_or_b64 exec, exec, s[2:3]
	v_or_b32_e32 v9, 0x80, v8
	v_cmp_gt_u32_e64 s[2:3], s7, v9
	s_and_saveexec_b64 s[8:9], s[2:3]
	s_cbranch_execz .LBB1447_7
; %bb.6:
	global_load_ushort v9, v[6:7], off offset:256
	s_mov_b32 s10, 0xffff
	s_waitcnt vmcnt(0)
	v_bfi_b32 v3, s10, v9, v3
.LBB1447_7:
	s_or_b64 exec, exec, s[8:9]
	v_or_b32_e32 v9, 0xc0, v8
	v_cmp_gt_u32_e64 s[24:25], s7, v9
	s_and_saveexec_b64 s[8:9], s[24:25]
	s_cbranch_execz .LBB1447_9
; %bb.8:
	global_load_ushort v9, v[6:7], off offset:384
	s_mov_b32 s10, 0x5040100
	s_waitcnt vmcnt(0)
	v_perm_b32 v3, v9, v3, s10
.LBB1447_9:
	s_or_b64 exec, exec, s[8:9]
	v_or_b32_e32 v9, 0x100, v8
	v_cmp_gt_u32_e64 s[8:9], s7, v9
	s_and_saveexec_b64 s[10:11], s[8:9]
	s_cbranch_execz .LBB1447_11
; %bb.10:
	global_load_ushort v9, v[6:7], off offset:512
	s_mov_b32 s12, 0xffff
	s_waitcnt vmcnt(0)
	v_bfi_b32 v4, s12, v9, v4
.LBB1447_11:
	;; [unrolled: 22-line block ×3, first 2 shown]
	s_or_b64 exec, exec, s[14:15]
	v_or_b32_e32 v8, 0x1c0, v8
	v_cmp_gt_u32_e64 s[14:15], s7, v8
	s_and_saveexec_b64 s[16:17], s[14:15]
	s_cbranch_execz .LBB1447_17
; %bb.16:
	global_load_ushort v6, v[6:7], off offset:896
	s_mov_b32 s18, 0x5040100
	s_waitcnt vmcnt(0)
	v_perm_b32 v5, v6, v5, s18
.LBB1447_17:
	s_or_b64 exec, exec, s[16:17]
	s_load_dword s16, s[4:5], 0x64
	s_load_dword s33, s[4:5], 0x58
	s_add_u32 s17, s4, 0x58
	s_addc_u32 s18, s5, 0
	v_mov_b32_e32 v6, 0
	s_waitcnt lgkmcnt(0)
	s_lshr_b32 s19, s16, 16
	s_cmp_lt_u32 s6, s33
	s_cselect_b32 s16, 12, 18
	s_add_u32 s16, s17, s16
	s_addc_u32 s17, s18, 0
	global_load_ushort v8, v6, s[16:17]
	v_xor_b32_e32 v15, 0xffff8000, v2
	s_lshl_b32 s16, -1, s45
	v_lshrrev_b32_sdwa v17, s44, v15 dst_sel:DWORD dst_unused:UNUSED_PAD src0_sel:DWORD src1_sel:WORD_0
	s_not_b32 s50, s16
	v_and_b32_e32 v17, s50, v17
	v_and_b32_e32 v19, 1, v17
	v_bfe_u32 v7, v0, 10, 10
	v_bfe_u32 v9, v0, 20, 10
	v_add_co_u32_e64 v20, s[16:17], -1, v19
	v_mad_u32_u24 v9, v9, s19, v7
	v_lshlrev_b32_e32 v7, 30, v17
	v_addc_co_u32_e64 v21, s[16:17], 0, -1, s[16:17]
	v_cmp_ne_u32_e64 s[16:17], 0, v19
	v_cmp_gt_i64_e64 s[18:19], 0, v[6:7]
	v_not_b32_e32 v19, v7
	v_lshlrev_b32_e32 v7, 29, v17
	v_xor_b32_e32 v21, s17, v21
	v_xor_b32_e32 v20, s16, v20
	v_ashrrev_i32_e32 v19, 31, v19
	v_cmp_gt_i64_e64 s[16:17], 0, v[6:7]
	v_not_b32_e32 v22, v7
	v_lshlrev_b32_e32 v7, 28, v17
	v_and_b32_e32 v21, exec_hi, v21
	v_and_b32_e32 v20, exec_lo, v20
	v_xor_b32_e32 v23, s19, v19
	v_xor_b32_e32 v19, s18, v19
	v_ashrrev_i32_e32 v22, 31, v22
	v_cmp_gt_i64_e64 s[18:19], 0, v[6:7]
	v_not_b32_e32 v24, v7
	v_lshlrev_b32_e32 v7, 27, v17
	v_and_b32_e32 v21, v21, v23
	v_and_b32_e32 v19, v20, v19
	v_xor_b32_e32 v20, s17, v22
	v_xor_b32_e32 v22, s16, v22
	v_ashrrev_i32_e32 v23, 31, v24
	v_cmp_gt_i64_e64 s[16:17], 0, v[6:7]
	v_not_b32_e32 v24, v7
	v_lshlrev_b32_e32 v7, 26, v17
	v_and_b32_e32 v20, v21, v20
	v_and_b32_e32 v19, v19, v22
	;; [unrolled: 8-line block ×3, first 2 shown]
	v_xor_b32_e32 v21, s17, v23
	v_xor_b32_e32 v22, s16, v23
	v_ashrrev_i32_e32 v23, 31, v24
	v_cmp_gt_i64_e64 s[16:17], 0, v[6:7]
	v_not_b32_e32 v24, v7
	v_lshlrev_b32_e32 v7, 24, v17
	v_mul_u32_u24_e32 v18, 17, v17
	v_and_b32_e32 v17, v20, v21
	v_and_b32_e32 v19, v19, v22
	v_xor_b32_e32 v20, s19, v23
	v_xor_b32_e32 v21, s18, v23
	v_ashrrev_i32_e32 v22, 31, v24
	v_cmp_gt_i64_e64 s[18:19], 0, v[6:7]
	v_not_b32_e32 v7, v7
	v_and_b32_e32 v17, v17, v20
	v_and_b32_e32 v19, v19, v21
	v_xor_b32_e32 v20, s17, v22
	v_xor_b32_e32 v21, s16, v22
	v_ashrrev_i32_e32 v7, 31, v7
	v_and_b32_e32 v17, v17, v20
	v_and_b32_e32 v20, v19, v21
	v_mul_u32_u24_e32 v16, 5, v10
	s_movk_i32 s20, 0x8000
	v_lshlrev_b32_e32 v16, 2, v16
	ds_write2_b32 v16, v6, v6 offset0:16 offset1:17
	ds_write2_b32 v16, v6, v6 offset0:18 offset1:19
	ds_write_b32 v16, v6 offset:80
	s_waitcnt lgkmcnt(0)
	s_barrier
	s_waitcnt vmcnt(0)
	v_mad_u64_u32 v[8:9], s[16:17], v9, v8, v[10:11]
	v_lshrrev_b32_e32 v23, 6, v8
	v_xor_b32_e32 v8, s19, v7
	v_xor_b32_e32 v7, s18, v7
	v_and_b32_e32 v9, v17, v8
	v_and_b32_e32 v8, v20, v7
	v_mbcnt_lo_u32_b32 v7, v8, 0
	v_mbcnt_hi_u32_b32 v17, v9, v7
	v_cmp_eq_u32_e64 s[16:17], 0, v17
	v_cmp_ne_u64_e64 s[18:19], 0, v[8:9]
	v_add_lshl_u32 v19, v23, v18, 2
	s_and_b64 s[18:19], s[18:19], s[16:17]
	; wave barrier
	s_and_saveexec_b64 s[16:17], s[18:19]
	s_cbranch_execz .LBB1447_19
; %bb.18:
	v_bcnt_u32_b32 v7, v8, 0
	v_bcnt_u32_b32 v7, v9, v7
	ds_write_b32 v19, v7 offset:64
.LBB1447_19:
	s_or_b64 exec, exec, s[16:17]
	v_xor_b32_sdwa v18, v2, s20 dst_sel:DWORD dst_unused:UNUSED_PAD src0_sel:WORD_1 src1_sel:DWORD
	v_lshrrev_b32_sdwa v2, s44, v18 dst_sel:DWORD dst_unused:UNUSED_PAD src0_sel:DWORD src1_sel:WORD_0
	v_and_b32_e32 v2, s50, v2
	v_mul_u32_u24_e32 v7, 17, v2
	v_add_lshl_u32 v20, v23, v7, 2
	v_and_b32_e32 v7, 1, v2
	v_add_co_u32_e64 v8, s[16:17], -1, v7
	v_addc_co_u32_e64 v9, s[16:17], 0, -1, s[16:17]
	v_cmp_ne_u32_e64 s[16:17], 0, v7
	v_xor_b32_e32 v7, s17, v9
	v_and_b32_e32 v9, exec_hi, v7
	v_lshlrev_b32_e32 v7, 30, v2
	v_xor_b32_e32 v8, s16, v8
	v_cmp_gt_i64_e64 s[16:17], 0, v[6:7]
	v_not_b32_e32 v7, v7
	v_ashrrev_i32_e32 v7, 31, v7
	v_and_b32_e32 v8, exec_lo, v8
	v_xor_b32_e32 v21, s17, v7
	v_xor_b32_e32 v7, s16, v7
	v_and_b32_e32 v8, v8, v7
	v_lshlrev_b32_e32 v7, 29, v2
	v_cmp_gt_i64_e64 s[16:17], 0, v[6:7]
	v_not_b32_e32 v7, v7
	v_ashrrev_i32_e32 v7, 31, v7
	v_and_b32_e32 v9, v9, v21
	v_xor_b32_e32 v21, s17, v7
	v_xor_b32_e32 v7, s16, v7
	v_and_b32_e32 v8, v8, v7
	v_lshlrev_b32_e32 v7, 28, v2
	v_cmp_gt_i64_e64 s[16:17], 0, v[6:7]
	v_not_b32_e32 v7, v7
	v_ashrrev_i32_e32 v7, 31, v7
	v_and_b32_e32 v9, v9, v21
	;; [unrolled: 8-line block ×5, first 2 shown]
	v_xor_b32_e32 v21, s17, v7
	v_xor_b32_e32 v7, s16, v7
	v_and_b32_e32 v8, v8, v7
	v_lshlrev_b32_e32 v7, 24, v2
	v_not_b32_e32 v2, v7
	v_cmp_gt_i64_e64 s[16:17], 0, v[6:7]
	v_ashrrev_i32_e32 v2, 31, v2
	v_and_b32_e32 v9, v9, v21
	v_xor_b32_e32 v6, s17, v2
	v_xor_b32_e32 v2, s16, v2
	; wave barrier
	ds_read_b32 v30, v20 offset:64
	v_and_b32_e32 v7, v9, v6
	v_and_b32_e32 v6, v8, v2
	v_mbcnt_lo_u32_b32 v2, v6, 0
	v_mbcnt_hi_u32_b32 v31, v7, v2
	v_cmp_eq_u32_e64 s[16:17], 0, v31
	v_cmp_ne_u64_e64 s[18:19], 0, v[6:7]
	s_and_b64 s[18:19], s[18:19], s[16:17]
	; wave barrier
	s_and_saveexec_b64 s[16:17], s[18:19]
	s_cbranch_execz .LBB1447_21
; %bb.20:
	v_bcnt_u32_b32 v2, v6, 0
	v_bcnt_u32_b32 v2, v7, v2
	s_waitcnt lgkmcnt(0)
	v_add_u32_e32 v2, v30, v2
	ds_write_b32 v20, v2 offset:64
.LBB1447_21:
	s_or_b64 exec, exec, s[16:17]
	v_xor_b32_e32 v21, 0xffff8000, v3
	v_lshrrev_b32_sdwa v2, s44, v21 dst_sel:DWORD dst_unused:UNUSED_PAD src0_sel:DWORD src1_sel:WORD_0
	v_and_b32_e32 v2, s50, v2
	v_and_b32_e32 v7, 1, v2
	v_add_co_u32_e64 v8, s[16:17], -1, v7
	v_addc_co_u32_e64 v9, s[16:17], 0, -1, s[16:17]
	v_cmp_ne_u32_e64 s[16:17], 0, v7
	v_mul_u32_u24_e32 v6, 17, v2
	v_xor_b32_e32 v7, s17, v9
	v_add_lshl_u32 v22, v23, v6, 2
	v_mov_b32_e32 v6, 0
	v_and_b32_e32 v9, exec_hi, v7
	v_lshlrev_b32_e32 v7, 30, v2
	v_xor_b32_e32 v8, s16, v8
	v_cmp_gt_i64_e64 s[16:17], 0, v[6:7]
	v_not_b32_e32 v7, v7
	v_ashrrev_i32_e32 v7, 31, v7
	v_and_b32_e32 v8, exec_lo, v8
	v_xor_b32_e32 v24, s17, v7
	v_xor_b32_e32 v7, s16, v7
	v_and_b32_e32 v8, v8, v7
	v_lshlrev_b32_e32 v7, 29, v2
	v_cmp_gt_i64_e64 s[16:17], 0, v[6:7]
	v_not_b32_e32 v7, v7
	v_ashrrev_i32_e32 v7, 31, v7
	v_and_b32_e32 v9, v9, v24
	v_xor_b32_e32 v24, s17, v7
	v_xor_b32_e32 v7, s16, v7
	v_and_b32_e32 v8, v8, v7
	v_lshlrev_b32_e32 v7, 28, v2
	v_cmp_gt_i64_e64 s[16:17], 0, v[6:7]
	v_not_b32_e32 v7, v7
	v_ashrrev_i32_e32 v7, 31, v7
	v_and_b32_e32 v9, v9, v24
	;; [unrolled: 8-line block ×5, first 2 shown]
	v_xor_b32_e32 v24, s17, v7
	v_xor_b32_e32 v7, s16, v7
	v_and_b32_e32 v8, v8, v7
	v_lshlrev_b32_e32 v7, 24, v2
	v_not_b32_e32 v2, v7
	v_cmp_gt_i64_e64 s[16:17], 0, v[6:7]
	v_ashrrev_i32_e32 v2, 31, v2
	v_xor_b32_e32 v7, s17, v2
	v_xor_b32_e32 v2, s16, v2
	; wave barrier
	ds_read_b32 v32, v22 offset:64
	v_and_b32_e32 v9, v9, v24
	v_and_b32_e32 v8, v8, v2
	;; [unrolled: 1-line block ×3, first 2 shown]
	v_mbcnt_lo_u32_b32 v2, v8, 0
	v_mbcnt_hi_u32_b32 v33, v9, v2
	v_cmp_eq_u32_e64 s[16:17], 0, v33
	v_cmp_ne_u64_e64 s[18:19], 0, v[8:9]
	s_and_b64 s[18:19], s[18:19], s[16:17]
	; wave barrier
	s_and_saveexec_b64 s[16:17], s[18:19]
	s_cbranch_execz .LBB1447_23
; %bb.22:
	v_bcnt_u32_b32 v2, v8, 0
	v_bcnt_u32_b32 v2, v9, v2
	s_waitcnt lgkmcnt(0)
	v_add_u32_e32 v2, v32, v2
	ds_write_b32 v22, v2 offset:64
.LBB1447_23:
	s_or_b64 exec, exec, s[16:17]
	v_xor_b32_sdwa v8, v3, s20 dst_sel:DWORD dst_unused:UNUSED_PAD src0_sel:WORD_1 src1_sel:DWORD
	v_lshrrev_b32_sdwa v2, s44, v8 dst_sel:DWORD dst_unused:UNUSED_PAD src0_sel:DWORD src1_sel:WORD_0
	v_and_b32_e32 v2, s50, v2
	v_mul_u32_u24_e32 v3, 17, v2
	v_add_lshl_u32 v9, v23, v3, 2
	v_and_b32_e32 v3, 1, v2
	v_add_co_u32_e64 v7, s[16:17], -1, v3
	v_addc_co_u32_e64 v24, s[16:17], 0, -1, s[16:17]
	v_cmp_ne_u32_e64 s[16:17], 0, v3
	v_xor_b32_e32 v7, s16, v7
	v_xor_b32_e32 v3, s17, v24
	v_and_b32_e32 v24, exec_lo, v7
	v_lshlrev_b32_e32 v7, 30, v2
	v_cmp_gt_i64_e64 s[16:17], 0, v[6:7]
	v_not_b32_e32 v7, v7
	v_ashrrev_i32_e32 v7, 31, v7
	v_xor_b32_e32 v25, s17, v7
	v_xor_b32_e32 v7, s16, v7
	v_and_b32_e32 v24, v24, v7
	v_lshlrev_b32_e32 v7, 29, v2
	v_cmp_gt_i64_e64 s[16:17], 0, v[6:7]
	v_not_b32_e32 v7, v7
	v_and_b32_e32 v3, exec_hi, v3
	v_ashrrev_i32_e32 v7, 31, v7
	v_and_b32_e32 v3, v3, v25
	v_xor_b32_e32 v25, s17, v7
	v_xor_b32_e32 v7, s16, v7
	v_and_b32_e32 v24, v24, v7
	v_lshlrev_b32_e32 v7, 28, v2
	v_cmp_gt_i64_e64 s[16:17], 0, v[6:7]
	v_not_b32_e32 v7, v7
	v_ashrrev_i32_e32 v7, 31, v7
	v_and_b32_e32 v3, v3, v25
	v_xor_b32_e32 v25, s17, v7
	v_xor_b32_e32 v7, s16, v7
	v_and_b32_e32 v24, v24, v7
	v_lshlrev_b32_e32 v7, 27, v2
	v_cmp_gt_i64_e64 s[16:17], 0, v[6:7]
	v_not_b32_e32 v7, v7
	;; [unrolled: 8-line block ×4, first 2 shown]
	v_ashrrev_i32_e32 v7, 31, v7
	v_and_b32_e32 v3, v3, v25
	v_xor_b32_e32 v25, s17, v7
	v_xor_b32_e32 v7, s16, v7
	v_and_b32_e32 v24, v24, v7
	v_lshlrev_b32_e32 v7, 24, v2
	v_not_b32_e32 v2, v7
	v_cmp_gt_i64_e64 s[16:17], 0, v[6:7]
	v_ashrrev_i32_e32 v2, 31, v2
	v_xor_b32_e32 v6, s17, v2
	v_xor_b32_e32 v2, s16, v2
	; wave barrier
	ds_read_b32 v34, v9 offset:64
	v_and_b32_e32 v3, v3, v25
	v_and_b32_e32 v2, v24, v2
	;; [unrolled: 1-line block ×3, first 2 shown]
	v_mbcnt_lo_u32_b32 v6, v2, 0
	v_mbcnt_hi_u32_b32 v35, v3, v6
	v_cmp_eq_u32_e64 s[16:17], 0, v35
	v_cmp_ne_u64_e64 s[18:19], 0, v[2:3]
	s_and_b64 s[18:19], s[18:19], s[16:17]
	; wave barrier
	s_and_saveexec_b64 s[16:17], s[18:19]
	s_cbranch_execz .LBB1447_25
; %bb.24:
	v_bcnt_u32_b32 v2, v2, 0
	v_bcnt_u32_b32 v2, v3, v2
	s_waitcnt lgkmcnt(0)
	v_add_u32_e32 v2, v34, v2
	ds_write_b32 v9, v2 offset:64
.LBB1447_25:
	s_or_b64 exec, exec, s[16:17]
	v_xor_b32_e32 v24, 0xffff8000, v4
	v_lshrrev_b32_sdwa v2, s44, v24 dst_sel:DWORD dst_unused:UNUSED_PAD src0_sel:DWORD src1_sel:WORD_0
	v_and_b32_e32 v6, s50, v2
	v_and_b32_e32 v3, 1, v6
	v_add_co_u32_e64 v7, s[16:17], -1, v3
	v_addc_co_u32_e64 v26, s[16:17], 0, -1, s[16:17]
	v_cmp_ne_u32_e64 s[16:17], 0, v3
	v_mul_u32_u24_e32 v2, 17, v6
	v_xor_b32_e32 v3, s17, v26
	v_add_lshl_u32 v25, v23, v2, 2
	v_mov_b32_e32 v2, 0
	v_and_b32_e32 v26, exec_hi, v3
	v_lshlrev_b32_e32 v3, 30, v6
	v_xor_b32_e32 v7, s16, v7
	v_cmp_gt_i64_e64 s[16:17], 0, v[2:3]
	v_not_b32_e32 v3, v3
	v_ashrrev_i32_e32 v3, 31, v3
	v_and_b32_e32 v7, exec_lo, v7
	v_xor_b32_e32 v27, s17, v3
	v_xor_b32_e32 v3, s16, v3
	v_and_b32_e32 v7, v7, v3
	v_lshlrev_b32_e32 v3, 29, v6
	v_cmp_gt_i64_e64 s[16:17], 0, v[2:3]
	v_not_b32_e32 v3, v3
	v_ashrrev_i32_e32 v3, 31, v3
	v_and_b32_e32 v26, v26, v27
	v_xor_b32_e32 v27, s17, v3
	v_xor_b32_e32 v3, s16, v3
	v_and_b32_e32 v7, v7, v3
	v_lshlrev_b32_e32 v3, 28, v6
	v_cmp_gt_i64_e64 s[16:17], 0, v[2:3]
	v_not_b32_e32 v3, v3
	v_ashrrev_i32_e32 v3, 31, v3
	v_and_b32_e32 v26, v26, v27
	;; [unrolled: 8-line block ×5, first 2 shown]
	v_xor_b32_e32 v27, s17, v3
	v_xor_b32_e32 v3, s16, v3
	v_and_b32_e32 v26, v26, v27
	v_and_b32_e32 v27, v7, v3
	v_lshlrev_b32_e32 v3, 24, v6
	v_cmp_gt_i64_e64 s[16:17], 0, v[2:3]
	v_not_b32_e32 v3, v3
	v_ashrrev_i32_e32 v3, 31, v3
	v_xor_b32_e32 v6, s17, v3
	v_xor_b32_e32 v3, s16, v3
	; wave barrier
	ds_read_b32 v36, v25 offset:64
	v_and_b32_e32 v7, v26, v6
	v_and_b32_e32 v6, v27, v3
	v_mbcnt_lo_u32_b32 v3, v6, 0
	v_mbcnt_hi_u32_b32 v37, v7, v3
	v_cmp_eq_u32_e64 s[16:17], 0, v37
	v_cmp_ne_u64_e64 s[18:19], 0, v[6:7]
	s_and_b64 s[18:19], s[18:19], s[16:17]
	; wave barrier
	s_and_saveexec_b64 s[16:17], s[18:19]
	s_cbranch_execz .LBB1447_27
; %bb.26:
	v_bcnt_u32_b32 v3, v6, 0
	v_bcnt_u32_b32 v3, v7, v3
	s_waitcnt lgkmcnt(0)
	v_add_u32_e32 v3, v36, v3
	ds_write_b32 v25, v3 offset:64
.LBB1447_27:
	s_or_b64 exec, exec, s[16:17]
	v_xor_b32_sdwa v26, v4, s20 dst_sel:DWORD dst_unused:UNUSED_PAD src0_sel:WORD_1 src1_sel:DWORD
	v_lshrrev_b32_sdwa v3, s44, v26 dst_sel:DWORD dst_unused:UNUSED_PAD src0_sel:DWORD src1_sel:WORD_0
	v_and_b32_e32 v4, s50, v3
	v_mul_u32_u24_e32 v3, 17, v4
	v_add_lshl_u32 v27, v23, v3, 2
	v_and_b32_e32 v3, 1, v4
	v_add_co_u32_e64 v6, s[16:17], -1, v3
	v_addc_co_u32_e64 v7, s[16:17], 0, -1, s[16:17]
	v_cmp_ne_u32_e64 s[16:17], 0, v3
	v_xor_b32_e32 v3, s17, v7
	v_and_b32_e32 v7, exec_hi, v3
	v_lshlrev_b32_e32 v3, 30, v4
	v_xor_b32_e32 v6, s16, v6
	v_cmp_gt_i64_e64 s[16:17], 0, v[2:3]
	v_not_b32_e32 v3, v3
	v_ashrrev_i32_e32 v3, 31, v3
	v_and_b32_e32 v6, exec_lo, v6
	v_xor_b32_e32 v28, s17, v3
	v_xor_b32_e32 v3, s16, v3
	v_and_b32_e32 v6, v6, v3
	v_lshlrev_b32_e32 v3, 29, v4
	v_cmp_gt_i64_e64 s[16:17], 0, v[2:3]
	v_not_b32_e32 v3, v3
	v_ashrrev_i32_e32 v3, 31, v3
	v_and_b32_e32 v7, v7, v28
	v_xor_b32_e32 v28, s17, v3
	v_xor_b32_e32 v3, s16, v3
	v_and_b32_e32 v6, v6, v3
	v_lshlrev_b32_e32 v3, 28, v4
	v_cmp_gt_i64_e64 s[16:17], 0, v[2:3]
	v_not_b32_e32 v3, v3
	v_ashrrev_i32_e32 v3, 31, v3
	v_and_b32_e32 v7, v7, v28
	;; [unrolled: 8-line block ×5, first 2 shown]
	v_xor_b32_e32 v28, s17, v3
	v_xor_b32_e32 v3, s16, v3
	v_and_b32_e32 v6, v6, v3
	v_lshlrev_b32_e32 v3, 24, v4
	v_cmp_gt_i64_e64 s[16:17], 0, v[2:3]
	v_not_b32_e32 v2, v3
	v_ashrrev_i32_e32 v2, 31, v2
	v_xor_b32_e32 v3, s17, v2
	v_xor_b32_e32 v2, s16, v2
	; wave barrier
	ds_read_b32 v38, v27 offset:64
	v_and_b32_e32 v7, v7, v28
	v_and_b32_e32 v2, v6, v2
	;; [unrolled: 1-line block ×3, first 2 shown]
	v_mbcnt_lo_u32_b32 v4, v2, 0
	v_mbcnt_hi_u32_b32 v39, v3, v4
	v_cmp_eq_u32_e64 s[16:17], 0, v39
	v_cmp_ne_u64_e64 s[18:19], 0, v[2:3]
	s_and_b64 s[18:19], s[18:19], s[16:17]
	; wave barrier
	s_and_saveexec_b64 s[16:17], s[18:19]
	s_cbranch_execz .LBB1447_29
; %bb.28:
	v_bcnt_u32_b32 v2, v2, 0
	v_bcnt_u32_b32 v2, v3, v2
	s_waitcnt lgkmcnt(0)
	v_add_u32_e32 v2, v38, v2
	ds_write_b32 v27, v2 offset:64
.LBB1447_29:
	s_or_b64 exec, exec, s[16:17]
	v_xor_b32_e32 v28, 0xffff8000, v5
	v_lshrrev_b32_sdwa v2, s44, v28 dst_sel:DWORD dst_unused:UNUSED_PAD src0_sel:DWORD src1_sel:WORD_0
	v_and_b32_e32 v4, s50, v2
	v_and_b32_e32 v3, 1, v4
	v_add_co_u32_e64 v6, s[16:17], -1, v3
	v_addc_co_u32_e64 v7, s[16:17], 0, -1, s[16:17]
	v_cmp_ne_u32_e64 s[16:17], 0, v3
	v_mul_u32_u24_e32 v2, 17, v4
	v_xor_b32_e32 v3, s17, v7
	v_add_lshl_u32 v29, v23, v2, 2
	v_mov_b32_e32 v2, 0
	v_and_b32_e32 v7, exec_hi, v3
	v_lshlrev_b32_e32 v3, 30, v4
	v_xor_b32_e32 v6, s16, v6
	v_cmp_gt_i64_e64 s[16:17], 0, v[2:3]
	v_not_b32_e32 v3, v3
	v_ashrrev_i32_e32 v3, 31, v3
	v_and_b32_e32 v6, exec_lo, v6
	v_xor_b32_e32 v41, s17, v3
	v_xor_b32_e32 v3, s16, v3
	v_and_b32_e32 v6, v6, v3
	v_lshlrev_b32_e32 v3, 29, v4
	v_cmp_gt_i64_e64 s[16:17], 0, v[2:3]
	v_not_b32_e32 v3, v3
	v_ashrrev_i32_e32 v3, 31, v3
	v_and_b32_e32 v7, v7, v41
	v_xor_b32_e32 v41, s17, v3
	v_xor_b32_e32 v3, s16, v3
	v_and_b32_e32 v6, v6, v3
	v_lshlrev_b32_e32 v3, 28, v4
	v_cmp_gt_i64_e64 s[16:17], 0, v[2:3]
	v_not_b32_e32 v3, v3
	v_ashrrev_i32_e32 v3, 31, v3
	v_and_b32_e32 v7, v7, v41
	;; [unrolled: 8-line block ×5, first 2 shown]
	v_xor_b32_e32 v41, s17, v3
	v_xor_b32_e32 v3, s16, v3
	v_and_b32_e32 v6, v6, v3
	v_lshlrev_b32_e32 v3, 24, v4
	v_cmp_gt_i64_e64 s[16:17], 0, v[2:3]
	v_not_b32_e32 v3, v3
	v_ashrrev_i32_e32 v3, 31, v3
	v_xor_b32_e32 v4, s17, v3
	v_xor_b32_e32 v3, s16, v3
	; wave barrier
	ds_read_b32 v40, v29 offset:64
	v_and_b32_e32 v7, v7, v41
	v_and_b32_e32 v6, v6, v3
	;; [unrolled: 1-line block ×3, first 2 shown]
	v_mbcnt_lo_u32_b32 v3, v6, 0
	v_mbcnt_hi_u32_b32 v41, v7, v3
	v_cmp_eq_u32_e64 s[16:17], 0, v41
	v_cmp_ne_u64_e64 s[18:19], 0, v[6:7]
	s_and_b64 s[18:19], s[18:19], s[16:17]
	; wave barrier
	s_and_saveexec_b64 s[16:17], s[18:19]
	s_cbranch_execz .LBB1447_31
; %bb.30:
	v_bcnt_u32_b32 v3, v6, 0
	v_bcnt_u32_b32 v3, v7, v3
	s_waitcnt lgkmcnt(0)
	v_add_u32_e32 v3, v40, v3
	ds_write_b32 v29, v3 offset:64
.LBB1447_31:
	s_or_b64 exec, exec, s[16:17]
	v_xor_b32_sdwa v6, v5, s20 dst_sel:DWORD dst_unused:UNUSED_PAD src0_sel:WORD_1 src1_sel:DWORD
	v_lshrrev_b32_sdwa v3, s44, v6 dst_sel:DWORD dst_unused:UNUSED_PAD src0_sel:DWORD src1_sel:WORD_0
	v_and_b32_e32 v4, s50, v3
	v_mul_u32_u24_e32 v3, 17, v4
	v_add_lshl_u32 v7, v23, v3, 2
	v_and_b32_e32 v3, 1, v4
	v_add_co_u32_e64 v5, s[16:17], -1, v3
	v_addc_co_u32_e64 v23, s[16:17], 0, -1, s[16:17]
	v_cmp_ne_u32_e64 s[16:17], 0, v3
	v_xor_b32_e32 v3, s17, v23
	v_and_b32_e32 v23, exec_hi, v3
	v_lshlrev_b32_e32 v3, 30, v4
	v_xor_b32_e32 v5, s16, v5
	v_cmp_gt_i64_e64 s[16:17], 0, v[2:3]
	v_not_b32_e32 v3, v3
	v_ashrrev_i32_e32 v3, 31, v3
	v_and_b32_e32 v5, exec_lo, v5
	v_xor_b32_e32 v44, s17, v3
	v_xor_b32_e32 v3, s16, v3
	v_and_b32_e32 v5, v5, v3
	v_lshlrev_b32_e32 v3, 29, v4
	v_cmp_gt_i64_e64 s[16:17], 0, v[2:3]
	v_not_b32_e32 v3, v3
	v_ashrrev_i32_e32 v3, 31, v3
	v_and_b32_e32 v23, v23, v44
	v_xor_b32_e32 v44, s17, v3
	v_xor_b32_e32 v3, s16, v3
	v_and_b32_e32 v5, v5, v3
	v_lshlrev_b32_e32 v3, 28, v4
	v_cmp_gt_i64_e64 s[16:17], 0, v[2:3]
	v_not_b32_e32 v3, v3
	v_ashrrev_i32_e32 v3, 31, v3
	v_and_b32_e32 v23, v23, v44
	v_xor_b32_e32 v44, s17, v3
	v_xor_b32_e32 v3, s16, v3
	v_and_b32_e32 v5, v5, v3
	v_lshlrev_b32_e32 v3, 27, v4
	v_cmp_gt_i64_e64 s[16:17], 0, v[2:3]
	v_not_b32_e32 v3, v3
	v_ashrrev_i32_e32 v3, 31, v3
	v_and_b32_e32 v23, v23, v44
	v_xor_b32_e32 v44, s17, v3
	v_xor_b32_e32 v3, s16, v3
	v_and_b32_e32 v5, v5, v3
	v_lshlrev_b32_e32 v3, 26, v4
	v_cmp_gt_i64_e64 s[16:17], 0, v[2:3]
	v_not_b32_e32 v3, v3
	v_ashrrev_i32_e32 v3, 31, v3
	v_and_b32_e32 v23, v23, v44
	v_xor_b32_e32 v44, s17, v3
	v_xor_b32_e32 v3, s16, v3
	v_and_b32_e32 v5, v5, v3
	v_lshlrev_b32_e32 v3, 25, v4
	v_cmp_gt_i64_e64 s[16:17], 0, v[2:3]
	v_not_b32_e32 v3, v3
	v_ashrrev_i32_e32 v3, 31, v3
	v_and_b32_e32 v23, v23, v44
	v_xor_b32_e32 v44, s17, v3
	v_xor_b32_e32 v3, s16, v3
	v_and_b32_e32 v5, v5, v3
	v_lshlrev_b32_e32 v3, 24, v4
	v_cmp_gt_i64_e64 s[16:17], 0, v[2:3]
	v_not_b32_e32 v2, v3
	v_ashrrev_i32_e32 v2, 31, v2
	v_xor_b32_e32 v3, s17, v2
	v_xor_b32_e32 v2, s16, v2
	; wave barrier
	ds_read_b32 v42, v7 offset:64
	v_and_b32_e32 v23, v23, v44
	v_and_b32_e32 v2, v5, v2
	;; [unrolled: 1-line block ×3, first 2 shown]
	v_mbcnt_lo_u32_b32 v4, v2, 0
	v_mbcnt_hi_u32_b32 v45, v3, v4
	v_cmp_eq_u32_e64 s[16:17], 0, v45
	v_cmp_ne_u64_e64 s[18:19], 0, v[2:3]
	v_add_u32_e32 v43, 64, v16
	s_and_b64 s[18:19], s[18:19], s[16:17]
	; wave barrier
	s_and_saveexec_b64 s[16:17], s[18:19]
	s_cbranch_execz .LBB1447_33
; %bb.32:
	v_bcnt_u32_b32 v2, v2, 0
	v_bcnt_u32_b32 v2, v3, v2
	s_waitcnt lgkmcnt(0)
	v_add_u32_e32 v2, v42, v2
	ds_write_b32 v7, v2 offset:64
.LBB1447_33:
	s_or_b64 exec, exec, s[16:17]
	; wave barrier
	s_waitcnt lgkmcnt(0)
	s_barrier
	ds_read2_b32 v[4:5], v16 offset0:16 offset1:17
	ds_read2_b32 v[2:3], v43 offset0:2 offset1:3
	ds_read_b32 v23, v43 offset:16
	v_cmp_lt_u32_e64 s[26:27], 31, v14
	s_waitcnt lgkmcnt(1)
	v_add3_u32 v44, v5, v4, v2
	s_waitcnt lgkmcnt(0)
	v_add3_u32 v23, v44, v3, v23
	v_and_b32_e32 v44, 15, v14
	v_cmp_eq_u32_e64 s[16:17], 0, v44
	v_mov_b32_dpp v46, v23 row_shr:1 row_mask:0xf bank_mask:0xf
	v_cndmask_b32_e64 v46, v46, 0, s[16:17]
	v_add_u32_e32 v23, v46, v23
	v_cmp_lt_u32_e64 s[18:19], 1, v44
	v_cmp_lt_u32_e64 s[20:21], 3, v44
	v_mov_b32_dpp v46, v23 row_shr:2 row_mask:0xf bank_mask:0xf
	v_cndmask_b32_e64 v46, 0, v46, s[18:19]
	v_add_u32_e32 v23, v23, v46
	v_cmp_lt_u32_e64 s[22:23], 7, v44
	s_nop 0
	v_mov_b32_dpp v46, v23 row_shr:4 row_mask:0xf bank_mask:0xf
	v_cndmask_b32_e64 v46, 0, v46, s[20:21]
	v_add_u32_e32 v23, v23, v46
	s_nop 1
	v_mov_b32_dpp v46, v23 row_shr:8 row_mask:0xf bank_mask:0xf
	v_cndmask_b32_e64 v44, 0, v46, s[22:23]
	v_add_u32_e32 v23, v23, v44
	v_bfe_i32 v46, v14, 4, 1
	s_nop 0
	v_mov_b32_dpp v44, v23 row_bcast:15 row_mask:0xf bank_mask:0xf
	v_and_b32_e32 v44, v46, v44
	v_add_u32_e32 v23, v23, v44
	v_lshrrev_b32_e32 v46, 6, v10
	s_nop 0
	v_mov_b32_dpp v44, v23 row_bcast:31 row_mask:0xf bank_mask:0xf
	v_cndmask_b32_e64 v44, 0, v44, s[26:27]
	v_add_u32_e32 v44, v23, v44
	v_and_b32_e32 v23, 63, v10
	v_cmp_eq_u32_e64 s[26:27], 63, v23
	s_and_saveexec_b64 s[48:49], s[26:27]
	s_cbranch_execz .LBB1447_35
; %bb.34:
	v_lshlrev_b32_e32 v23, 2, v46
	ds_write_b32 v23, v44
.LBB1447_35:
	s_or_b64 exec, exec, s[48:49]
	v_cmp_gt_u32_e64 s[26:27], 16, v10
	v_lshlrev_b32_e32 v23, 2, v10
	s_waitcnt lgkmcnt(0)
	s_barrier
	s_and_saveexec_b64 s[48:49], s[26:27]
	s_cbranch_execz .LBB1447_37
; %bb.36:
	ds_read_b32 v47, v23
	s_waitcnt lgkmcnt(0)
	s_nop 0
	v_mov_b32_dpp v48, v47 row_shr:1 row_mask:0xf bank_mask:0xf
	v_cndmask_b32_e64 v48, v48, 0, s[16:17]
	v_add_u32_e32 v47, v48, v47
	s_nop 1
	v_mov_b32_dpp v48, v47 row_shr:2 row_mask:0xf bank_mask:0xf
	v_cndmask_b32_e64 v48, 0, v48, s[18:19]
	v_add_u32_e32 v47, v47, v48
	;; [unrolled: 4-line block ×4, first 2 shown]
	ds_write_b32 v23, v47
.LBB1447_37:
	s_or_b64 exec, exec, s[48:49]
	v_cmp_lt_u32_e64 s[16:17], 63, v10
	v_mov_b32_e32 v47, 0
	s_waitcnt lgkmcnt(0)
	s_barrier
	s_and_saveexec_b64 s[18:19], s[16:17]
	s_cbranch_execz .LBB1447_39
; %bb.38:
	v_lshl_add_u32 v46, v46, 2, -4
	ds_read_b32 v47, v46
.LBB1447_39:
	s_or_b64 exec, exec, s[18:19]
	v_add_u32_e32 v46, -1, v14
	v_and_b32_e32 v48, 64, v14
	v_cmp_lt_i32_e64 s[16:17], v46, v48
	v_cndmask_b32_e64 v46, v46, v14, s[16:17]
	s_waitcnt lgkmcnt(0)
	v_add_u32_e32 v44, v47, v44
	v_lshlrev_b32_e32 v46, 2, v46
	ds_bpermute_b32 v44, v46, v44
	v_cmp_eq_u32_e64 s[16:17], 0, v14
	s_waitcnt lgkmcnt(0)
	v_cndmask_b32_e64 v14, v44, v47, s[16:17]
	v_cmp_ne_u32_e64 s[16:17], 0, v10
	v_cndmask_b32_e64 v14, 0, v14, s[16:17]
	v_add_u32_e32 v4, v14, v4
	v_add_u32_e32 v5, v4, v5
	v_add_u32_e32 v2, v5, v2
	v_add_u32_e32 v3, v2, v3
	ds_write2_b32 v16, v14, v4 offset0:16 offset1:17
	ds_write2_b32 v43, v5, v2 offset0:2 offset1:3
	ds_write_b32 v43, v3 offset:16
	s_waitcnt lgkmcnt(0)
	s_barrier
	ds_read_b32 v2, v19 offset:64
	ds_read_b32 v47, v20 offset:64
	;; [unrolled: 1-line block ×8, first 2 shown]
	s_movk_i32 s16, 0x100
	v_cmp_gt_u32_e64 s[16:17], s16, v10
                                        ; implicit-def: $vgpr43
                                        ; implicit-def: $vgpr44
	s_and_saveexec_b64 s[20:21], s[16:17]
	s_cbranch_execz .LBB1447_43
; %bb.40:
	v_mul_u32_u24_e32 v3, 17, v10
	v_lshlrev_b32_e32 v4, 2, v3
	ds_read_b32 v43, v4 offset:64
	s_movk_i32 s18, 0xff
	v_cmp_ne_u32_e64 s[18:19], s18, v10
	v_mov_b32_e32 v3, 0x2000
	s_and_saveexec_b64 s[22:23], s[18:19]
	s_cbranch_execz .LBB1447_42
; %bb.41:
	ds_read_b32 v3, v4 offset:132
.LBB1447_42:
	s_or_b64 exec, exec, s[22:23]
	s_waitcnt lgkmcnt(0)
	v_sub_u32_e32 v44, v3, v43
.LBB1447_43:
	s_or_b64 exec, exec, s[20:21]
	s_waitcnt lgkmcnt(7)
	v_add_u32_e32 v46, v2, v17
	v_add_u32_e32 v16, v31, v30
	v_lshlrev_b32_e32 v2, 1, v46
	v_add_u32_e32 v14, v33, v32
	s_waitcnt lgkmcnt(0)
	s_barrier
	ds_write_b16 v2, v15 offset:1024
	v_add_lshl_u32 v2, v16, v47, 1
	v_add_u32_e32 v9, v35, v34
	ds_write_b16 v2, v18 offset:1024
	v_add_lshl_u32 v2, v14, v48, 1
	v_add_u32_e32 v7, v37, v36
	;; [unrolled: 3-line block ×5, first 2 shown]
	ds_write_b16 v2, v26 offset:1024
	v_add_lshl_u32 v2, v4, v52, 1
	ds_write_b16 v2, v28 offset:1024
	v_add_lshl_u32 v2, v3, v53, 1
	ds_write_b16 v2, v6 offset:1024
	s_and_saveexec_b64 s[20:21], s[16:17]
	s_cbranch_execz .LBB1447_53
; %bb.44:
	v_lshl_or_b32 v2, s6, 8, v10
	v_mov_b32_e32 v3, 0
	v_lshlrev_b64 v[4:5], 2, v[2:3]
	v_mov_b32_e32 v8, s35
	v_add_co_u32_e64 v4, s[18:19], s34, v4
	v_addc_co_u32_e64 v5, s[18:19], v8, v5, s[18:19]
	v_or_b32_e32 v2, 2.0, v44
	s_mov_b64 s[22:23], 0
	s_brev_b32 s51, 1
	s_mov_b32 s52, s6
	v_mov_b32_e32 v9, 0
	global_store_dword v[4:5], v2, off
                                        ; implicit-def: $sgpr18_sgpr19
	s_branch .LBB1447_46
.LBB1447_45:                            ;   in Loop: Header=BB1447_46 Depth=1
	s_or_b64 exec, exec, s[26:27]
	v_and_b32_e32 v6, 0x3fffffff, v14
	v_add_u32_e32 v9, v6, v9
	v_cmp_eq_u32_e64 s[18:19], s51, v2
	s_and_b64 s[26:27], exec, s[18:19]
	s_or_b64 s[22:23], s[26:27], s[22:23]
	s_andn2_b64 exec, exec, s[22:23]
	s_cbranch_execz .LBB1447_52
.LBB1447_46:                            ; =>This Loop Header: Depth=1
                                        ;     Child Loop BB1447_49 Depth 2
	s_or_b64 s[18:19], s[18:19], exec
	s_cmp_eq_u32 s52, 0
	s_cbranch_scc1 .LBB1447_51
; %bb.47:                               ;   in Loop: Header=BB1447_46 Depth=1
	s_add_i32 s52, s52, -1
	v_lshl_or_b32 v2, s52, 8, v10
	v_lshlrev_b64 v[6:7], 2, v[2:3]
	v_add_co_u32_e64 v6, s[18:19], s34, v6
	v_addc_co_u32_e64 v7, s[18:19], v8, v7, s[18:19]
	global_load_dword v14, v[6:7], off glc
	s_waitcnt vmcnt(0)
	v_and_b32_e32 v2, -2.0, v14
	v_cmp_eq_u32_e64 s[18:19], 0, v2
	s_and_saveexec_b64 s[26:27], s[18:19]
	s_cbranch_execz .LBB1447_45
; %bb.48:                               ;   in Loop: Header=BB1447_46 Depth=1
	s_mov_b64 s[48:49], 0
.LBB1447_49:                            ;   Parent Loop BB1447_46 Depth=1
                                        ; =>  This Inner Loop Header: Depth=2
	global_load_dword v14, v[6:7], off glc
	s_waitcnt vmcnt(0)
	v_and_b32_e32 v2, -2.0, v14
	v_cmp_ne_u32_e64 s[18:19], 0, v2
	s_or_b64 s[48:49], s[18:19], s[48:49]
	s_andn2_b64 exec, exec, s[48:49]
	s_cbranch_execnz .LBB1447_49
; %bb.50:                               ;   in Loop: Header=BB1447_46 Depth=1
	s_or_b64 exec, exec, s[48:49]
	s_branch .LBB1447_45
.LBB1447_51:                            ;   in Loop: Header=BB1447_46 Depth=1
                                        ; implicit-def: $sgpr52
	s_and_b64 s[26:27], exec, s[18:19]
	s_or_b64 s[22:23], s[26:27], s[22:23]
	s_andn2_b64 exec, exec, s[22:23]
	s_cbranch_execnz .LBB1447_46
.LBB1447_52:
	s_or_b64 exec, exec, s[22:23]
	v_add_u32_e32 v2, v9, v44
	v_or_b32_e32 v2, 0x80000000, v2
	global_store_dword v[4:5], v2, off
	global_load_dword v2, v23, s[28:29]
	v_sub_u32_e32 v3, v9, v43
	s_waitcnt vmcnt(0)
	v_add_u32_e32 v2, v3, v2
	ds_write_b32 v23, v2
.LBB1447_53:
	s_or_b64 exec, exec, s[20:21]
	v_cmp_gt_u32_e64 s[18:19], s7, v10
	v_lshlrev_b32_e32 v14, 1, v10
	s_waitcnt lgkmcnt(0)
	s_barrier
	s_waitcnt lgkmcnt(0)
                                        ; implicit-def: $vgpr2_vgpr3_vgpr4_vgpr5_vgpr6_vgpr7_vgpr8_vgpr9
	s_and_saveexec_b64 s[20:21], s[18:19]
	s_cbranch_execz .LBB1447_55
; %bb.54:
	ds_read_u16 v3, v14 offset:1024
	v_mov_b32_e32 v5, 0
	v_mov_b32_e32 v6, s39
	s_waitcnt lgkmcnt(0)
	v_lshrrev_b32_sdwa v2, s44, v3 dst_sel:DWORD dst_unused:UNUSED_PAD src0_sel:DWORD src1_sel:WORD_0
	v_and_b32_e32 v2, s50, v2
	v_lshlrev_b32_e32 v4, 2, v2
	ds_read_b32 v4, v4
	v_xor_b32_e32 v3, 0xffff8000, v3
	s_waitcnt lgkmcnt(0)
	v_add_u32_e32 v4, v4, v10
	v_lshlrev_b64 v[4:5], 1, v[4:5]
	v_add_co_u32_e64 v4, s[18:19], s38, v4
	v_addc_co_u32_e64 v5, s[18:19], v6, v5, s[18:19]
	global_store_short v[4:5], v3, off
.LBB1447_55:
	s_or_b64 exec, exec, s[20:21]
	v_or_b32_e32 v15, 0x400, v10
	v_cmp_gt_u32_e64 s[18:19], s7, v15
	s_and_saveexec_b64 s[20:21], s[18:19]
	s_cbranch_execz .LBB1447_57
; %bb.56:
	ds_read_u16 v16, v14 offset:3072
	v_mov_b32_e32 v19, s39
	s_waitcnt lgkmcnt(0)
	v_lshrrev_b32_sdwa v3, s44, v16 dst_sel:DWORD dst_unused:UNUSED_PAD src0_sel:DWORD src1_sel:WORD_0
	v_and_b32_e32 v3, s50, v3
	v_lshlrev_b32_e32 v17, 2, v3
	ds_read_b32 v18, v17
	v_mov_b32_e32 v17, 0
	v_xor_b32_e32 v20, 0xffff8000, v16
	s_waitcnt lgkmcnt(0)
	v_add_u32_e32 v16, v18, v15
	v_lshlrev_b64 v[16:17], 1, v[16:17]
	v_add_co_u32_e64 v16, s[18:19], s38, v16
	v_addc_co_u32_e64 v17, s[18:19], v19, v17, s[18:19]
	global_store_short v[16:17], v20, off
.LBB1447_57:
	s_or_b64 exec, exec, s[20:21]
	v_or_b32_e32 v15, 0x800, v10
	v_cmp_gt_u32_e64 s[18:19], s7, v15
	s_and_saveexec_b64 s[20:21], s[18:19]
	s_cbranch_execz .LBB1447_59
; %bb.58:
	ds_read_u16 v16, v14 offset:5120
	v_mov_b32_e32 v19, s39
	s_waitcnt lgkmcnt(0)
	v_lshrrev_b32_sdwa v4, s44, v16 dst_sel:DWORD dst_unused:UNUSED_PAD src0_sel:DWORD src1_sel:WORD_0
	v_and_b32_e32 v4, s50, v4
	v_lshlrev_b32_e32 v17, 2, v4
	ds_read_b32 v18, v17
	v_mov_b32_e32 v17, 0
	v_xor_b32_e32 v20, 0xffff8000, v16
	s_waitcnt lgkmcnt(0)
	v_add_u32_e32 v16, v18, v15
	v_lshlrev_b64 v[16:17], 1, v[16:17]
	v_add_co_u32_e64 v16, s[18:19], s38, v16
	v_addc_co_u32_e64 v17, s[18:19], v19, v17, s[18:19]
	global_store_short v[16:17], v20, off
.LBB1447_59:
	;; [unrolled: 22-line block ×6, first 2 shown]
	s_or_b64 exec, exec, s[20:21]
	v_or_b32_e32 v15, 0x1c00, v10
	v_cmp_gt_u32_e64 s[18:19], s7, v15
	s_and_saveexec_b64 s[20:21], s[18:19]
	s_cbranch_execz .LBB1447_69
; %bb.68:
	ds_read_u16 v14, v14 offset:15360
	v_mov_b32_e32 v17, 0
	v_mov_b32_e32 v18, s39
	s_waitcnt lgkmcnt(0)
	v_lshrrev_b32_sdwa v9, s44, v14 dst_sel:DWORD dst_unused:UNUSED_PAD src0_sel:DWORD src1_sel:WORD_0
	v_and_b32_e32 v9, s50, v9
	v_lshlrev_b32_e32 v16, 2, v9
	ds_read_b32 v16, v16
	v_xor_b32_e32 v19, 0xffff8000, v14
	s_waitcnt lgkmcnt(0)
	v_add_u32_e32 v16, v16, v15
	v_lshlrev_b64 v[14:15], 1, v[16:17]
	v_add_co_u32_e64 v14, s[18:19], s38, v14
	v_addc_co_u32_e64 v15, s[18:19], v18, v15, s[18:19]
	global_store_short v[14:15], v19, off
.LBB1447_69:
	s_or_b64 exec, exec, s[20:21]
	s_lshl_b64 s[18:19], s[46:47], 3
	s_add_u32 s18, s40, s18
	s_addc_u32 s19, s41, s19
	v_lshlrev_b32_e32 v13, 3, v13
	v_mov_b32_e32 v14, s19
	v_add_co_u32_e64 v13, s[18:19], s18, v13
	v_addc_co_u32_e64 v14, s[18:19], 0, v14, s[18:19]
	v_lshlrev_b32_e32 v12, 3, v12
	v_add_co_u32_e64 v28, s[18:19], v13, v12
	v_addc_co_u32_e64 v29, s[18:19], 0, v14, s[18:19]
                                        ; implicit-def: $vgpr12_vgpr13
	s_and_saveexec_b64 s[18:19], vcc
	s_xor_b64 s[18:19], exec, s[18:19]
	s_cbranch_execnz .LBB1447_134
; %bb.70:
	s_or_b64 exec, exec, s[18:19]
                                        ; implicit-def: $vgpr14_vgpr15
	s_and_saveexec_b64 s[18:19], s[0:1]
	s_cbranch_execnz .LBB1447_135
.LBB1447_71:
	s_or_b64 exec, exec, s[18:19]
                                        ; implicit-def: $vgpr16_vgpr17
	s_and_saveexec_b64 s[0:1], s[2:3]
	s_cbranch_execnz .LBB1447_136
.LBB1447_72:
	s_or_b64 exec, exec, s[0:1]
                                        ; implicit-def: $vgpr18_vgpr19
	s_and_saveexec_b64 s[0:1], s[24:25]
	s_cbranch_execnz .LBB1447_137
.LBB1447_73:
	s_or_b64 exec, exec, s[0:1]
                                        ; implicit-def: $vgpr20_vgpr21
	s_and_saveexec_b64 s[0:1], s[8:9]
	s_cbranch_execnz .LBB1447_138
.LBB1447_74:
	s_or_b64 exec, exec, s[0:1]
                                        ; implicit-def: $vgpr22_vgpr23
	s_and_saveexec_b64 s[0:1], s[10:11]
	s_cbranch_execnz .LBB1447_139
.LBB1447_75:
	s_or_b64 exec, exec, s[0:1]
                                        ; implicit-def: $vgpr24_vgpr25
	s_and_saveexec_b64 s[0:1], s[12:13]
	s_cbranch_execnz .LBB1447_140
.LBB1447_76:
	s_or_b64 exec, exec, s[0:1]
                                        ; implicit-def: $vgpr26_vgpr27
	s_and_saveexec_b64 s[0:1], s[14:15]
	s_cbranch_execz .LBB1447_78
.LBB1447_77:
	global_load_dwordx2 v[26:27], v[28:29], off offset:3584
.LBB1447_78:
	s_or_b64 exec, exec, s[0:1]
	s_movk_i32 s2, 0x400
	v_add_u32_e32 v54, 0x400, v11
	v_add3_u32 v42, v45, v53, v42
	v_add3_u32 v40, v41, v52, v40
	;; [unrolled: 1-line block ×7, first 2 shown]
	s_mov_b32 s3, 0
	v_mov_b32_e32 v29, 0
	s_mov_b32 s8, 0
	v_mov_b32_e32 v31, v10
	s_barrier
	s_waitcnt vmcnt(0)
	s_branch .LBB1447_80
.LBB1447_79:                            ;   in Loop: Header=BB1447_80 Depth=1
	s_or_b64 exec, exec, s[0:1]
	s_addk_i32 s8, 0xf800
	s_add_i32 s3, s3, 2
	s_cmpk_eq_i32 s8, 0xe000
	v_add_u32_e32 v31, 0x800, v31
	s_barrier
	s_cbranch_scc1 .LBB1447_85
.LBB1447_80:                            ; =>This Inner Loop Header: Depth=1
	v_add_u32_e32 v28, s8, v46
	v_min_u32_e32 v28, 0x800, v28
	v_lshlrev_b32_e32 v28, 3, v28
	ds_write_b64 v28, v[12:13] offset:1024
	v_add_u32_e32 v28, s8, v30
	v_min_u32_e32 v28, 0x800, v28
	v_lshlrev_b32_e32 v28, 3, v28
	ds_write_b64 v28, v[14:15] offset:1024
	;; [unrolled: 4-line block ×7, first 2 shown]
	v_add_u32_e32 v28, s8, v42
	v_min_u32_e32 v28, 0x800, v28
	v_lshlrev_b32_e32 v28, 3, v28
	v_cmp_gt_u32_e32 vcc, s7, v31
	ds_write_b64 v28, v[26:27] offset:1024
	s_waitcnt lgkmcnt(0)
	s_barrier
	s_and_saveexec_b64 s[0:1], vcc
	s_cbranch_execz .LBB1447_82
; %bb.81:                               ;   in Loop: Header=BB1447_80 Depth=1
	s_cmp_eq_u32 s3, 1
	s_cselect_b64 vcc, -1, 0
	s_cmp_eq_u32 s3, 2
	v_cndmask_b32_e32 v28, v2, v3, vcc
	s_cselect_b64 vcc, -1, 0
	s_cmp_eq_u32 s3, 3
	v_cndmask_b32_e32 v28, v28, v4, vcc
	;; [unrolled: 3-line block ×6, first 2 shown]
	s_cselect_b64 vcc, -1, 0
	v_cndmask_b32_e32 v28, v28, v9, vcc
	v_lshlrev_b32_e32 v28, 2, v28
	ds_read_b32 v28, v28
	ds_read_b64 v[48:49], v11 offset:1024
	s_waitcnt lgkmcnt(1)
	v_add_u32_e32 v28, v31, v28
	v_lshlrev_b64 v[50:51], 3, v[28:29]
	v_mov_b32_e32 v28, s43
	v_add_co_u32_e32 v50, vcc, s42, v50
	v_addc_co_u32_e32 v51, vcc, v28, v51, vcc
	s_waitcnt lgkmcnt(0)
	global_store_dwordx2 v[50:51], v[48:49], off
.LBB1447_82:                            ;   in Loop: Header=BB1447_80 Depth=1
	s_or_b64 exec, exec, s[0:1]
	v_add_u32_e32 v28, 0x400, v31
	v_cmp_gt_u32_e32 vcc, s7, v28
	s_and_saveexec_b64 s[0:1], vcc
	s_cbranch_execz .LBB1447_79
; %bb.83:                               ;   in Loop: Header=BB1447_80 Depth=1
	s_add_i32 s9, s3, 1
	s_cmp_eq_u32 s9, 1
	s_cselect_b64 vcc, -1, 0
	s_cmp_eq_u32 s9, 2
	v_cndmask_b32_e32 v28, v2, v3, vcc
	s_cselect_b64 vcc, -1, 0
	s_cmp_eq_u32 s9, 3
	v_cndmask_b32_e32 v28, v28, v4, vcc
	;; [unrolled: 3-line block ×6, first 2 shown]
	s_cselect_b64 vcc, -1, 0
	v_cndmask_b32_e32 v28, v28, v9, vcc
	v_lshlrev_b32_e32 v28, 2, v28
	ds_read_b32 v28, v28
	ds_read_b64 v[48:49], v54 offset:8192
	s_waitcnt lgkmcnt(1)
	v_add3_u32 v28, v31, v28, s2
	v_lshlrev_b64 v[50:51], 3, v[28:29]
	v_mov_b32_e32 v28, s43
	v_add_co_u32_e32 v50, vcc, s42, v50
	v_addc_co_u32_e32 v51, vcc, v28, v51, vcc
	s_waitcnt lgkmcnt(0)
	global_store_dwordx2 v[50:51], v[48:49], off
	s_branch .LBB1447_79
.LBB1447_84:
	s_mov_b64 s[10:11], 0
                                        ; implicit-def: $vgpr2
                                        ; implicit-def: $vgpr10_vgpr11
	s_cbranch_execnz .LBB1447_88
	s_branch .LBB1447_131
.LBB1447_85:
	s_add_i32 s33, s33, -1
	s_cmp_eq_u32 s33, s6
	s_cselect_b64 s[0:1], -1, 0
	s_and_b64 s[2:3], s[16:17], s[0:1]
	s_mov_b64 s[0:1], 0
	s_mov_b64 s[10:11], 0
                                        ; implicit-def: $vgpr2
	s_and_saveexec_b64 s[8:9], s[2:3]
	s_xor_b64 s[2:3], exec, s[8:9]
; %bb.86:
	s_mov_b64 s[10:11], exec
	v_mov_b32_e32 v11, 0
	v_add_u32_e32 v2, v43, v44
; %bb.87:
	s_or_b64 exec, exec, s[2:3]
	s_and_b64 vcc, exec, s[0:1]
	s_cbranch_vccz .LBB1447_131
.LBB1447_88:
	v_and_b32_e32 v8, 0x3ff, v0
	s_lshl_b32 s12, s6, 13
	s_mov_b32 s13, 0
	v_mbcnt_hi_u32_b32 v5, -1, v1
	s_lshl_b64 s[0:1], s[12:13], 1
	v_and_b32_e32 v15, 63, v5
	v_lshlrev_b32_e32 v1, 3, v8
	s_add_u32 s0, s36, s0
	v_and_b32_e32 v14, 0x1e00, v1
	v_lshlrev_b32_e32 v1, 1, v15
	v_add_co_u32_e32 v1, vcc, s0, v1
	s_load_dword s7, s[4:5], 0x58
	s_load_dword s0, s[4:5], 0x64
	s_addc_u32 s1, s37, s1
	v_mov_b32_e32 v3, s1
	v_addc_co_u32_e32 v3, vcc, 0, v3, vcc
	v_lshlrev_b32_e32 v4, 1, v14
	s_add_u32 s1, s4, 0x58
	v_add_co_u32_e32 v16, vcc, v1, v4
	s_addc_u32 s2, s5, 0
	s_waitcnt lgkmcnt(0)
	s_lshr_b32 s3, s0, 16
	v_addc_co_u32_e32 v17, vcc, 0, v3, vcc
	s_cmp_lt_u32 s6, s7
	global_load_ushort v1, v[16:17], off
	s_cselect_b32 s0, 12, 18
	s_add_u32 s0, s1, s0
	v_mov_b32_e32 v2, 0
	s_addc_u32 s1, s2, 0
	global_load_ushort v3, v2, s[0:1]
	v_mul_u32_u24_e32 v6, 5, v8
	v_lshlrev_b32_e32 v6, 2, v6
	ds_write2_b32 v6, v2, v2 offset0:16 offset1:17
	ds_write2_b32 v6, v2, v2 offset0:18 offset1:19
	ds_write_b32 v6, v2 offset:80
	global_load_ushort v10, v[16:17], off offset:128
	global_load_ushort v12, v[16:17], off offset:256
	;; [unrolled: 1-line block ×7, first 2 shown]
	v_bfe_u32 v4, v0, 10, 10
	v_bfe_u32 v0, v0, 20, 10
	v_mad_u32_u24 v0, v0, s3, v4
	s_lshl_b32 s0, -1, s45
	s_not_b32 s16, s0
	s_waitcnt lgkmcnt(0)
	s_barrier
	s_waitcnt lgkmcnt(0)
	; wave barrier
	s_waitcnt vmcnt(8)
	v_xor_b32_e32 v4, 0xffff8000, v1
	v_lshrrev_b32_sdwa v1, s44, v4 dst_sel:DWORD dst_unused:UNUSED_PAD src0_sel:DWORD src1_sel:WORD_0
	v_and_b32_e32 v9, s16, v1
	v_and_b32_e32 v7, 1, v9
	s_waitcnt vmcnt(7)
	v_mad_u64_u32 v[0:1], s[0:1], v0, v3, v[8:9]
	v_lshrrev_b32_e32 v27, 6, v0
	v_add_co_u32_e32 v0, vcc, -1, v7
	v_lshlrev_b32_e32 v3, 30, v9
	v_addc_co_u32_e64 v11, s[0:1], 0, -1, vcc
	v_mul_u32_u24_e32 v1, 17, v9
	v_cmp_ne_u32_e32 vcc, 0, v7
	v_cmp_gt_i64_e64 s[0:1], 0, v[2:3]
	v_not_b32_e32 v16, v3
	v_lshlrev_b32_e32 v3, 29, v9
	v_add_lshl_u32 v7, v27, v1, 2
	v_xor_b32_e32 v1, vcc_hi, v11
	v_xor_b32_e32 v0, vcc_lo, v0
	v_ashrrev_i32_e32 v11, 31, v16
	v_cmp_gt_i64_e32 vcc, 0, v[2:3]
	v_not_b32_e32 v16, v3
	v_lshlrev_b32_e32 v3, 28, v9
	v_and_b32_e32 v1, exec_hi, v1
	v_and_b32_e32 v0, exec_lo, v0
	v_xor_b32_e32 v17, s1, v11
	v_xor_b32_e32 v11, s0, v11
	v_ashrrev_i32_e32 v16, 31, v16
	v_cmp_gt_i64_e64 s[0:1], 0, v[2:3]
	v_not_b32_e32 v18, v3
	v_lshlrev_b32_e32 v3, 27, v9
	v_and_b32_e32 v1, v1, v17
	v_and_b32_e32 v0, v0, v11
	v_xor_b32_e32 v11, vcc_hi, v16
	v_xor_b32_e32 v16, vcc_lo, v16
	v_ashrrev_i32_e32 v17, 31, v18
	v_cmp_gt_i64_e32 vcc, 0, v[2:3]
	v_not_b32_e32 v3, v3
	v_and_b32_e32 v1, v1, v11
	v_and_b32_e32 v0, v0, v16
	v_xor_b32_e32 v11, s1, v17
	v_xor_b32_e32 v16, s0, v17
	v_ashrrev_i32_e32 v3, 31, v3
	v_and_b32_e32 v1, v1, v11
	v_and_b32_e32 v0, v0, v16
	v_xor_b32_e32 v11, vcc_hi, v3
	v_xor_b32_e32 v3, vcc_lo, v3
	v_and_b32_e32 v0, v0, v3
	v_lshlrev_b32_e32 v3, 26, v9
	v_cmp_gt_i64_e32 vcc, 0, v[2:3]
	v_not_b32_e32 v3, v3
	v_ashrrev_i32_e32 v3, 31, v3
	v_and_b32_e32 v1, v1, v11
	v_xor_b32_e32 v11, vcc_hi, v3
	v_xor_b32_e32 v3, vcc_lo, v3
	v_and_b32_e32 v0, v0, v3
	v_lshlrev_b32_e32 v3, 25, v9
	v_cmp_gt_i64_e32 vcc, 0, v[2:3]
	v_not_b32_e32 v3, v3
	v_ashrrev_i32_e32 v3, 31, v3
	;; [unrolled: 8-line block ×3, first 2 shown]
	v_xor_b32_e32 v9, vcc_hi, v3
	v_xor_b32_e32 v3, vcc_lo, v3
	v_and_b32_e32 v1, v1, v11
	v_and_b32_e32 v0, v0, v3
	;; [unrolled: 1-line block ×3, first 2 shown]
	v_mbcnt_lo_u32_b32 v3, v0, 0
	v_mbcnt_hi_u32_b32 v9, v1, v3
	v_cmp_eq_u32_e32 vcc, 0, v9
	v_cmp_ne_u64_e64 s[0:1], 0, v[0:1]
	s_and_b64 s[2:3], s[0:1], vcc
	s_and_saveexec_b64 s[0:1], s[2:3]
	s_cbranch_execz .LBB1447_90
; %bb.89:
	v_bcnt_u32_b32 v0, v0, 0
	v_bcnt_u32_b32 v0, v1, v0
	ds_write_b32 v7, v0 offset:64
.LBB1447_90:
	s_or_b64 exec, exec, s[0:1]
	s_waitcnt vmcnt(6)
	v_xor_b32_e32 v10, 0xffff8000, v10
	v_lshrrev_b32_sdwa v0, s44, v10 dst_sel:DWORD dst_unused:UNUSED_PAD src0_sel:DWORD src1_sel:WORD_0
	v_and_b32_e32 v0, s16, v0
	v_mul_u32_u24_e32 v1, 17, v0
	v_add_lshl_u32 v11, v27, v1, 2
	v_and_b32_e32 v1, 1, v0
	v_add_co_u32_e32 v3, vcc, -1, v1
	v_addc_co_u32_e64 v17, s[0:1], 0, -1, vcc
	v_cmp_ne_u32_e32 vcc, 0, v1
	v_xor_b32_e32 v3, vcc_lo, v3
	v_xor_b32_e32 v1, vcc_hi, v17
	v_and_b32_e32 v17, exec_lo, v3
	v_lshlrev_b32_e32 v3, 30, v0
	v_cmp_gt_i64_e32 vcc, 0, v[2:3]
	v_not_b32_e32 v3, v3
	v_ashrrev_i32_e32 v3, 31, v3
	v_xor_b32_e32 v18, vcc_hi, v3
	v_xor_b32_e32 v3, vcc_lo, v3
	v_and_b32_e32 v17, v17, v3
	v_lshlrev_b32_e32 v3, 29, v0
	v_cmp_gt_i64_e32 vcc, 0, v[2:3]
	v_not_b32_e32 v3, v3
	v_and_b32_e32 v1, exec_hi, v1
	v_ashrrev_i32_e32 v3, 31, v3
	v_and_b32_e32 v1, v1, v18
	v_xor_b32_e32 v18, vcc_hi, v3
	v_xor_b32_e32 v3, vcc_lo, v3
	v_and_b32_e32 v17, v17, v3
	v_lshlrev_b32_e32 v3, 28, v0
	v_cmp_gt_i64_e32 vcc, 0, v[2:3]
	v_not_b32_e32 v3, v3
	v_ashrrev_i32_e32 v3, 31, v3
	v_and_b32_e32 v1, v1, v18
	v_xor_b32_e32 v18, vcc_hi, v3
	v_xor_b32_e32 v3, vcc_lo, v3
	v_and_b32_e32 v17, v17, v3
	v_lshlrev_b32_e32 v3, 27, v0
	v_cmp_gt_i64_e32 vcc, 0, v[2:3]
	v_not_b32_e32 v3, v3
	;; [unrolled: 8-line block ×4, first 2 shown]
	v_ashrrev_i32_e32 v3, 31, v3
	v_and_b32_e32 v1, v1, v18
	v_xor_b32_e32 v18, vcc_hi, v3
	v_xor_b32_e32 v3, vcc_lo, v3
	v_and_b32_e32 v17, v17, v3
	v_lshlrev_b32_e32 v3, 24, v0
	v_not_b32_e32 v0, v3
	v_cmp_gt_i64_e32 vcc, 0, v[2:3]
	v_ashrrev_i32_e32 v0, 31, v0
	v_xor_b32_e32 v2, vcc_hi, v0
	v_xor_b32_e32 v0, vcc_lo, v0
	; wave barrier
	ds_read_b32 v16, v11 offset:64
	v_and_b32_e32 v1, v1, v18
	v_and_b32_e32 v0, v17, v0
	;; [unrolled: 1-line block ×3, first 2 shown]
	v_mbcnt_lo_u32_b32 v2, v0, 0
	v_mbcnt_hi_u32_b32 v17, v1, v2
	v_cmp_eq_u32_e32 vcc, 0, v17
	v_cmp_ne_u64_e64 s[0:1], 0, v[0:1]
	s_and_b64 s[2:3], s[0:1], vcc
	; wave barrier
	s_and_saveexec_b64 s[0:1], s[2:3]
	s_cbranch_execz .LBB1447_92
; %bb.91:
	v_bcnt_u32_b32 v0, v0, 0
	v_bcnt_u32_b32 v0, v1, v0
	s_waitcnt lgkmcnt(0)
	v_add_u32_e32 v0, v16, v0
	ds_write_b32 v11, v0 offset:64
.LBB1447_92:
	s_or_b64 exec, exec, s[0:1]
	s_waitcnt vmcnt(5)
	v_xor_b32_e32 v12, 0xffff8000, v12
	v_lshrrev_b32_sdwa v0, s44, v12 dst_sel:DWORD dst_unused:UNUSED_PAD src0_sel:DWORD src1_sel:WORD_0
	v_and_b32_e32 v2, s16, v0
	v_and_b32_e32 v1, 1, v2
	v_add_co_u32_e32 v3, vcc, -1, v1
	v_addc_co_u32_e64 v19, s[0:1], 0, -1, vcc
	v_cmp_ne_u32_e32 vcc, 0, v1
	v_mul_u32_u24_e32 v0, 17, v2
	v_xor_b32_e32 v1, vcc_hi, v19
	v_add_lshl_u32 v28, v27, v0, 2
	v_mov_b32_e32 v0, 0
	v_and_b32_e32 v19, exec_hi, v1
	v_lshlrev_b32_e32 v1, 30, v2
	v_xor_b32_e32 v3, vcc_lo, v3
	v_cmp_gt_i64_e32 vcc, 0, v[0:1]
	v_not_b32_e32 v1, v1
	v_ashrrev_i32_e32 v1, 31, v1
	v_and_b32_e32 v3, exec_lo, v3
	v_xor_b32_e32 v21, vcc_hi, v1
	v_xor_b32_e32 v1, vcc_lo, v1
	v_and_b32_e32 v3, v3, v1
	v_lshlrev_b32_e32 v1, 29, v2
	v_cmp_gt_i64_e32 vcc, 0, v[0:1]
	v_not_b32_e32 v1, v1
	v_ashrrev_i32_e32 v1, 31, v1
	v_and_b32_e32 v19, v19, v21
	v_xor_b32_e32 v21, vcc_hi, v1
	v_xor_b32_e32 v1, vcc_lo, v1
	v_and_b32_e32 v3, v3, v1
	v_lshlrev_b32_e32 v1, 28, v2
	v_cmp_gt_i64_e32 vcc, 0, v[0:1]
	v_not_b32_e32 v1, v1
	v_ashrrev_i32_e32 v1, 31, v1
	v_and_b32_e32 v19, v19, v21
	;; [unrolled: 8-line block ×5, first 2 shown]
	v_xor_b32_e32 v21, vcc_hi, v1
	v_xor_b32_e32 v1, vcc_lo, v1
	v_and_b32_e32 v19, v19, v21
	v_and_b32_e32 v21, v3, v1
	v_lshlrev_b32_e32 v1, 24, v2
	v_cmp_gt_i64_e32 vcc, 0, v[0:1]
	v_not_b32_e32 v1, v1
	v_ashrrev_i32_e32 v1, 31, v1
	v_xor_b32_e32 v2, vcc_hi, v1
	v_xor_b32_e32 v1, vcc_lo, v1
	; wave barrier
	ds_read_b32 v18, v28 offset:64
	v_and_b32_e32 v3, v19, v2
	v_and_b32_e32 v2, v21, v1
	v_mbcnt_lo_u32_b32 v1, v2, 0
	v_mbcnt_hi_u32_b32 v19, v3, v1
	v_cmp_eq_u32_e32 vcc, 0, v19
	v_cmp_ne_u64_e64 s[0:1], 0, v[2:3]
	s_and_b64 s[2:3], s[0:1], vcc
	; wave barrier
	s_and_saveexec_b64 s[0:1], s[2:3]
	s_cbranch_execz .LBB1447_94
; %bb.93:
	v_bcnt_u32_b32 v1, v2, 0
	v_bcnt_u32_b32 v1, v3, v1
	s_waitcnt lgkmcnt(0)
	v_add_u32_e32 v1, v18, v1
	ds_write_b32 v28, v1 offset:64
.LBB1447_94:
	s_or_b64 exec, exec, s[0:1]
	s_waitcnt vmcnt(4)
	v_xor_b32_e32 v29, 0xffff8000, v20
	v_lshrrev_b32_sdwa v1, s44, v29 dst_sel:DWORD dst_unused:UNUSED_PAD src0_sel:DWORD src1_sel:WORD_0
	v_and_b32_e32 v2, s16, v1
	v_mul_u32_u24_e32 v1, 17, v2
	v_add_lshl_u32 v31, v27, v1, 2
	v_and_b32_e32 v1, 1, v2
	v_add_co_u32_e32 v3, vcc, -1, v1
	v_addc_co_u32_e64 v21, s[0:1], 0, -1, vcc
	v_cmp_ne_u32_e32 vcc, 0, v1
	v_xor_b32_e32 v1, vcc_hi, v21
	v_and_b32_e32 v21, exec_hi, v1
	v_lshlrev_b32_e32 v1, 30, v2
	v_xor_b32_e32 v3, vcc_lo, v3
	v_cmp_gt_i64_e32 vcc, 0, v[0:1]
	v_not_b32_e32 v1, v1
	v_ashrrev_i32_e32 v1, 31, v1
	v_and_b32_e32 v3, exec_lo, v3
	v_xor_b32_e32 v23, vcc_hi, v1
	v_xor_b32_e32 v1, vcc_lo, v1
	v_and_b32_e32 v3, v3, v1
	v_lshlrev_b32_e32 v1, 29, v2
	v_cmp_gt_i64_e32 vcc, 0, v[0:1]
	v_not_b32_e32 v1, v1
	v_ashrrev_i32_e32 v1, 31, v1
	v_and_b32_e32 v21, v21, v23
	v_xor_b32_e32 v23, vcc_hi, v1
	v_xor_b32_e32 v1, vcc_lo, v1
	v_and_b32_e32 v3, v3, v1
	v_lshlrev_b32_e32 v1, 28, v2
	v_cmp_gt_i64_e32 vcc, 0, v[0:1]
	v_not_b32_e32 v1, v1
	v_ashrrev_i32_e32 v1, 31, v1
	v_and_b32_e32 v21, v21, v23
	;; [unrolled: 8-line block ×5, first 2 shown]
	v_xor_b32_e32 v23, vcc_hi, v1
	v_xor_b32_e32 v1, vcc_lo, v1
	v_and_b32_e32 v3, v3, v1
	v_lshlrev_b32_e32 v1, 24, v2
	v_cmp_gt_i64_e32 vcc, 0, v[0:1]
	v_not_b32_e32 v0, v1
	v_ashrrev_i32_e32 v0, 31, v0
	v_xor_b32_e32 v1, vcc_hi, v0
	v_xor_b32_e32 v0, vcc_lo, v0
	; wave barrier
	ds_read_b32 v20, v31 offset:64
	v_and_b32_e32 v21, v21, v23
	v_and_b32_e32 v0, v3, v0
	;; [unrolled: 1-line block ×3, first 2 shown]
	v_mbcnt_lo_u32_b32 v2, v0, 0
	v_mbcnt_hi_u32_b32 v21, v1, v2
	v_cmp_eq_u32_e32 vcc, 0, v21
	v_cmp_ne_u64_e64 s[0:1], 0, v[0:1]
	s_and_b64 s[2:3], s[0:1], vcc
	; wave barrier
	s_and_saveexec_b64 s[0:1], s[2:3]
	s_cbranch_execz .LBB1447_96
; %bb.95:
	v_bcnt_u32_b32 v0, v0, 0
	v_bcnt_u32_b32 v0, v1, v0
	s_waitcnt lgkmcnt(0)
	v_add_u32_e32 v0, v20, v0
	ds_write_b32 v31, v0 offset:64
.LBB1447_96:
	s_or_b64 exec, exec, s[0:1]
	s_waitcnt vmcnt(3)
	v_xor_b32_e32 v33, 0xffff8000, v22
	v_lshrrev_b32_sdwa v0, s44, v33 dst_sel:DWORD dst_unused:UNUSED_PAD src0_sel:DWORD src1_sel:WORD_0
	v_and_b32_e32 v2, s16, v0
	v_and_b32_e32 v1, 1, v2
	v_add_co_u32_e32 v3, vcc, -1, v1
	v_addc_co_u32_e64 v23, s[0:1], 0, -1, vcc
	v_cmp_ne_u32_e32 vcc, 0, v1
	v_mul_u32_u24_e32 v0, 17, v2
	v_xor_b32_e32 v1, vcc_hi, v23
	v_add_lshl_u32 v32, v27, v0, 2
	v_mov_b32_e32 v0, 0
	v_and_b32_e32 v23, exec_hi, v1
	v_lshlrev_b32_e32 v1, 30, v2
	v_xor_b32_e32 v3, vcc_lo, v3
	v_cmp_gt_i64_e32 vcc, 0, v[0:1]
	v_not_b32_e32 v1, v1
	v_ashrrev_i32_e32 v1, 31, v1
	v_and_b32_e32 v3, exec_lo, v3
	v_xor_b32_e32 v25, vcc_hi, v1
	v_xor_b32_e32 v1, vcc_lo, v1
	v_and_b32_e32 v3, v3, v1
	v_lshlrev_b32_e32 v1, 29, v2
	v_cmp_gt_i64_e32 vcc, 0, v[0:1]
	v_not_b32_e32 v1, v1
	v_ashrrev_i32_e32 v1, 31, v1
	v_and_b32_e32 v23, v23, v25
	v_xor_b32_e32 v25, vcc_hi, v1
	v_xor_b32_e32 v1, vcc_lo, v1
	v_and_b32_e32 v3, v3, v1
	v_lshlrev_b32_e32 v1, 28, v2
	v_cmp_gt_i64_e32 vcc, 0, v[0:1]
	v_not_b32_e32 v1, v1
	v_ashrrev_i32_e32 v1, 31, v1
	v_and_b32_e32 v23, v23, v25
	v_xor_b32_e32 v25, vcc_hi, v1
	v_xor_b32_e32 v1, vcc_lo, v1
	v_and_b32_e32 v3, v3, v1
	v_lshlrev_b32_e32 v1, 27, v2
	v_cmp_gt_i64_e32 vcc, 0, v[0:1]
	v_not_b32_e32 v1, v1
	v_ashrrev_i32_e32 v1, 31, v1
	v_and_b32_e32 v23, v23, v25
	v_xor_b32_e32 v25, vcc_hi, v1
	v_xor_b32_e32 v1, vcc_lo, v1
	v_and_b32_e32 v3, v3, v1
	v_lshlrev_b32_e32 v1, 26, v2
	v_cmp_gt_i64_e32 vcc, 0, v[0:1]
	v_not_b32_e32 v1, v1
	v_ashrrev_i32_e32 v1, 31, v1
	v_and_b32_e32 v23, v23, v25
	v_xor_b32_e32 v25, vcc_hi, v1
	v_xor_b32_e32 v1, vcc_lo, v1
	v_and_b32_e32 v3, v3, v1
	v_lshlrev_b32_e32 v1, 25, v2
	v_cmp_gt_i64_e32 vcc, 0, v[0:1]
	v_not_b32_e32 v1, v1
	v_ashrrev_i32_e32 v1, 31, v1
	v_and_b32_e32 v23, v23, v25
	v_xor_b32_e32 v25, vcc_hi, v1
	v_xor_b32_e32 v1, vcc_lo, v1
	v_and_b32_e32 v23, v23, v25
	v_and_b32_e32 v25, v3, v1
	v_lshlrev_b32_e32 v1, 24, v2
	v_cmp_gt_i64_e32 vcc, 0, v[0:1]
	v_not_b32_e32 v1, v1
	v_ashrrev_i32_e32 v1, 31, v1
	v_xor_b32_e32 v2, vcc_hi, v1
	v_xor_b32_e32 v1, vcc_lo, v1
	; wave barrier
	ds_read_b32 v22, v32 offset:64
	v_and_b32_e32 v3, v23, v2
	v_and_b32_e32 v2, v25, v1
	v_mbcnt_lo_u32_b32 v1, v2, 0
	v_mbcnt_hi_u32_b32 v23, v3, v1
	v_cmp_eq_u32_e32 vcc, 0, v23
	v_cmp_ne_u64_e64 s[0:1], 0, v[2:3]
	s_and_b64 s[2:3], s[0:1], vcc
	; wave barrier
	s_and_saveexec_b64 s[0:1], s[2:3]
	s_cbranch_execz .LBB1447_98
; %bb.97:
	v_bcnt_u32_b32 v1, v2, 0
	v_bcnt_u32_b32 v1, v3, v1
	s_waitcnt lgkmcnt(0)
	v_add_u32_e32 v1, v22, v1
	ds_write_b32 v32, v1 offset:64
.LBB1447_98:
	s_or_b64 exec, exec, s[0:1]
	s_waitcnt vmcnt(2)
	v_xor_b32_e32 v36, 0xffff8000, v24
	v_lshrrev_b32_sdwa v1, s44, v36 dst_sel:DWORD dst_unused:UNUSED_PAD src0_sel:DWORD src1_sel:WORD_0
	v_and_b32_e32 v2, s16, v1
	v_mul_u32_u24_e32 v1, 17, v2
	v_add_lshl_u32 v35, v27, v1, 2
	v_and_b32_e32 v1, 1, v2
	v_add_co_u32_e32 v3, vcc, -1, v1
	v_addc_co_u32_e64 v25, s[0:1], 0, -1, vcc
	v_cmp_ne_u32_e32 vcc, 0, v1
	v_xor_b32_e32 v1, vcc_hi, v25
	v_and_b32_e32 v25, exec_hi, v1
	v_lshlrev_b32_e32 v1, 30, v2
	v_xor_b32_e32 v3, vcc_lo, v3
	v_cmp_gt_i64_e32 vcc, 0, v[0:1]
	v_not_b32_e32 v1, v1
	v_ashrrev_i32_e32 v1, 31, v1
	v_and_b32_e32 v3, exec_lo, v3
	v_xor_b32_e32 v30, vcc_hi, v1
	v_xor_b32_e32 v1, vcc_lo, v1
	v_and_b32_e32 v3, v3, v1
	v_lshlrev_b32_e32 v1, 29, v2
	v_cmp_gt_i64_e32 vcc, 0, v[0:1]
	v_not_b32_e32 v1, v1
	v_ashrrev_i32_e32 v1, 31, v1
	v_and_b32_e32 v25, v25, v30
	v_xor_b32_e32 v30, vcc_hi, v1
	v_xor_b32_e32 v1, vcc_lo, v1
	v_and_b32_e32 v3, v3, v1
	v_lshlrev_b32_e32 v1, 28, v2
	v_cmp_gt_i64_e32 vcc, 0, v[0:1]
	v_not_b32_e32 v1, v1
	v_ashrrev_i32_e32 v1, 31, v1
	v_and_b32_e32 v25, v25, v30
	v_xor_b32_e32 v30, vcc_hi, v1
	v_xor_b32_e32 v1, vcc_lo, v1
	v_and_b32_e32 v3, v3, v1
	v_lshlrev_b32_e32 v1, 27, v2
	v_cmp_gt_i64_e32 vcc, 0, v[0:1]
	v_not_b32_e32 v1, v1
	v_ashrrev_i32_e32 v1, 31, v1
	v_and_b32_e32 v25, v25, v30
	v_xor_b32_e32 v30, vcc_hi, v1
	v_xor_b32_e32 v1, vcc_lo, v1
	v_and_b32_e32 v3, v3, v1
	v_lshlrev_b32_e32 v1, 26, v2
	v_cmp_gt_i64_e32 vcc, 0, v[0:1]
	v_not_b32_e32 v1, v1
	v_ashrrev_i32_e32 v1, 31, v1
	v_and_b32_e32 v25, v25, v30
	v_xor_b32_e32 v30, vcc_hi, v1
	v_xor_b32_e32 v1, vcc_lo, v1
	v_and_b32_e32 v3, v3, v1
	v_lshlrev_b32_e32 v1, 25, v2
	v_cmp_gt_i64_e32 vcc, 0, v[0:1]
	v_not_b32_e32 v1, v1
	v_ashrrev_i32_e32 v1, 31, v1
	v_and_b32_e32 v25, v25, v30
	v_xor_b32_e32 v30, vcc_hi, v1
	v_xor_b32_e32 v1, vcc_lo, v1
	v_and_b32_e32 v3, v3, v1
	v_lshlrev_b32_e32 v1, 24, v2
	v_cmp_gt_i64_e32 vcc, 0, v[0:1]
	v_not_b32_e32 v0, v1
	v_ashrrev_i32_e32 v0, 31, v0
	v_xor_b32_e32 v1, vcc_hi, v0
	v_xor_b32_e32 v0, vcc_lo, v0
	; wave barrier
	ds_read_b32 v24, v35 offset:64
	v_and_b32_e32 v25, v25, v30
	v_and_b32_e32 v0, v3, v0
	;; [unrolled: 1-line block ×3, first 2 shown]
	v_mbcnt_lo_u32_b32 v2, v0, 0
	v_mbcnt_hi_u32_b32 v25, v1, v2
	v_cmp_eq_u32_e32 vcc, 0, v25
	v_cmp_ne_u64_e64 s[0:1], 0, v[0:1]
	s_and_b64 s[2:3], s[0:1], vcc
	; wave barrier
	s_and_saveexec_b64 s[0:1], s[2:3]
	s_cbranch_execz .LBB1447_100
; %bb.99:
	v_bcnt_u32_b32 v0, v0, 0
	v_bcnt_u32_b32 v0, v1, v0
	s_waitcnt lgkmcnt(0)
	v_add_u32_e32 v0, v24, v0
	ds_write_b32 v35, v0 offset:64
.LBB1447_100:
	s_or_b64 exec, exec, s[0:1]
	s_waitcnt vmcnt(1)
	v_xor_b32_e32 v43, 0xffff8000, v26
	v_lshrrev_b32_sdwa v0, s44, v43 dst_sel:DWORD dst_unused:UNUSED_PAD src0_sel:DWORD src1_sel:WORD_0
	v_and_b32_e32 v2, s16, v0
	v_and_b32_e32 v1, 1, v2
	v_add_co_u32_e32 v3, vcc, -1, v1
	v_addc_co_u32_e64 v30, s[0:1], 0, -1, vcc
	v_cmp_ne_u32_e32 vcc, 0, v1
	v_mul_u32_u24_e32 v0, 17, v2
	v_xor_b32_e32 v1, vcc_hi, v30
	v_add_lshl_u32 v41, v27, v0, 2
	v_mov_b32_e32 v0, 0
	v_and_b32_e32 v30, exec_hi, v1
	v_lshlrev_b32_e32 v1, 30, v2
	v_xor_b32_e32 v3, vcc_lo, v3
	v_cmp_gt_i64_e32 vcc, 0, v[0:1]
	v_not_b32_e32 v1, v1
	v_ashrrev_i32_e32 v1, 31, v1
	v_and_b32_e32 v3, exec_lo, v3
	v_xor_b32_e32 v34, vcc_hi, v1
	v_xor_b32_e32 v1, vcc_lo, v1
	v_and_b32_e32 v3, v3, v1
	v_lshlrev_b32_e32 v1, 29, v2
	v_cmp_gt_i64_e32 vcc, 0, v[0:1]
	v_not_b32_e32 v1, v1
	v_ashrrev_i32_e32 v1, 31, v1
	v_and_b32_e32 v30, v30, v34
	v_xor_b32_e32 v34, vcc_hi, v1
	v_xor_b32_e32 v1, vcc_lo, v1
	v_and_b32_e32 v3, v3, v1
	v_lshlrev_b32_e32 v1, 28, v2
	v_cmp_gt_i64_e32 vcc, 0, v[0:1]
	v_not_b32_e32 v1, v1
	v_ashrrev_i32_e32 v1, 31, v1
	v_and_b32_e32 v30, v30, v34
	;; [unrolled: 8-line block ×5, first 2 shown]
	v_xor_b32_e32 v34, vcc_hi, v1
	v_xor_b32_e32 v1, vcc_lo, v1
	v_and_b32_e32 v30, v30, v34
	v_and_b32_e32 v34, v3, v1
	v_lshlrev_b32_e32 v1, 24, v2
	v_cmp_gt_i64_e32 vcc, 0, v[0:1]
	v_not_b32_e32 v1, v1
	v_ashrrev_i32_e32 v1, 31, v1
	v_xor_b32_e32 v2, vcc_hi, v1
	v_xor_b32_e32 v1, vcc_lo, v1
	; wave barrier
	ds_read_b32 v26, v41 offset:64
	v_and_b32_e32 v3, v30, v2
	v_and_b32_e32 v2, v34, v1
	v_mbcnt_lo_u32_b32 v1, v2, 0
	v_mbcnt_hi_u32_b32 v30, v3, v1
	v_cmp_eq_u32_e32 vcc, 0, v30
	v_cmp_ne_u64_e64 s[0:1], 0, v[2:3]
	s_and_b64 s[2:3], s[0:1], vcc
	; wave barrier
	s_and_saveexec_b64 s[0:1], s[2:3]
	s_cbranch_execz .LBB1447_102
; %bb.101:
	v_bcnt_u32_b32 v1, v2, 0
	v_bcnt_u32_b32 v1, v3, v1
	s_waitcnt lgkmcnt(0)
	v_add_u32_e32 v1, v26, v1
	ds_write_b32 v41, v1 offset:64
.LBB1447_102:
	s_or_b64 exec, exec, s[0:1]
	s_waitcnt vmcnt(0)
	v_xor_b32_e32 v13, 0xffff8000, v13
	v_lshrrev_b32_sdwa v1, s44, v13 dst_sel:DWORD dst_unused:UNUSED_PAD src0_sel:DWORD src1_sel:WORD_0
	v_and_b32_e32 v2, s16, v1
	v_mul_u32_u24_e32 v1, 17, v2
	v_add_lshl_u32 v42, v27, v1, 2
	v_and_b32_e32 v1, 1, v2
	v_add_co_u32_e32 v3, vcc, -1, v1
	v_addc_co_u32_e64 v34, s[0:1], 0, -1, vcc
	v_cmp_ne_u32_e32 vcc, 0, v1
	v_xor_b32_e32 v1, vcc_hi, v34
	v_and_b32_e32 v34, exec_hi, v1
	v_lshlrev_b32_e32 v1, 30, v2
	v_xor_b32_e32 v3, vcc_lo, v3
	v_cmp_gt_i64_e32 vcc, 0, v[0:1]
	v_not_b32_e32 v1, v1
	v_ashrrev_i32_e32 v1, 31, v1
	v_and_b32_e32 v3, exec_lo, v3
	v_xor_b32_e32 v38, vcc_hi, v1
	v_xor_b32_e32 v1, vcc_lo, v1
	v_and_b32_e32 v3, v3, v1
	v_lshlrev_b32_e32 v1, 29, v2
	v_cmp_gt_i64_e32 vcc, 0, v[0:1]
	v_not_b32_e32 v1, v1
	v_ashrrev_i32_e32 v1, 31, v1
	v_and_b32_e32 v34, v34, v38
	v_xor_b32_e32 v38, vcc_hi, v1
	v_xor_b32_e32 v1, vcc_lo, v1
	v_and_b32_e32 v3, v3, v1
	v_lshlrev_b32_e32 v1, 28, v2
	v_cmp_gt_i64_e32 vcc, 0, v[0:1]
	v_not_b32_e32 v1, v1
	v_ashrrev_i32_e32 v1, 31, v1
	v_and_b32_e32 v34, v34, v38
	;; [unrolled: 8-line block ×5, first 2 shown]
	v_xor_b32_e32 v38, vcc_hi, v1
	v_xor_b32_e32 v1, vcc_lo, v1
	v_and_b32_e32 v3, v3, v1
	v_lshlrev_b32_e32 v1, 24, v2
	v_cmp_gt_i64_e32 vcc, 0, v[0:1]
	v_not_b32_e32 v0, v1
	v_ashrrev_i32_e32 v0, 31, v0
	v_xor_b32_e32 v1, vcc_hi, v0
	v_xor_b32_e32 v0, vcc_lo, v0
	; wave barrier
	ds_read_b32 v27, v42 offset:64
	v_and_b32_e32 v34, v34, v38
	v_and_b32_e32 v0, v3, v0
	;; [unrolled: 1-line block ×3, first 2 shown]
	v_mbcnt_lo_u32_b32 v2, v0, 0
	v_mbcnt_hi_u32_b32 v34, v1, v2
	v_cmp_eq_u32_e32 vcc, 0, v34
	v_cmp_ne_u64_e64 s[0:1], 0, v[0:1]
	v_add_u32_e32 v37, 64, v6
	s_and_b64 s[2:3], s[0:1], vcc
	; wave barrier
	s_and_saveexec_b64 s[0:1], s[2:3]
	s_cbranch_execz .LBB1447_104
; %bb.103:
	v_bcnt_u32_b32 v0, v0, 0
	v_bcnt_u32_b32 v0, v1, v0
	s_waitcnt lgkmcnt(0)
	v_add_u32_e32 v0, v27, v0
	ds_write_b32 v42, v0 offset:64
.LBB1447_104:
	s_or_b64 exec, exec, s[0:1]
	; wave barrier
	s_waitcnt lgkmcnt(0)
	s_barrier
	ds_read2_b32 v[2:3], v6 offset0:16 offset1:17
	ds_read2_b32 v[0:1], v37 offset0:2 offset1:3
	ds_read_b32 v38, v37 offset:16
	v_cmp_lt_u32_e64 s[8:9], 31, v5
	s_waitcnt lgkmcnt(1)
	v_add3_u32 v39, v3, v2, v0
	s_waitcnt lgkmcnt(0)
	v_add3_u32 v38, v39, v1, v38
	v_and_b32_e32 v39, 15, v5
	v_cmp_eq_u32_e32 vcc, 0, v39
	v_mov_b32_dpp v40, v38 row_shr:1 row_mask:0xf bank_mask:0xf
	v_cndmask_b32_e64 v40, v40, 0, vcc
	v_add_u32_e32 v38, v40, v38
	v_cmp_lt_u32_e64 s[0:1], 1, v39
	v_cmp_lt_u32_e64 s[2:3], 3, v39
	v_mov_b32_dpp v40, v38 row_shr:2 row_mask:0xf bank_mask:0xf
	v_cndmask_b32_e64 v40, 0, v40, s[0:1]
	v_add_u32_e32 v38, v38, v40
	v_cmp_lt_u32_e64 s[4:5], 7, v39
	s_nop 0
	v_mov_b32_dpp v40, v38 row_shr:4 row_mask:0xf bank_mask:0xf
	v_cndmask_b32_e64 v40, 0, v40, s[2:3]
	v_add_u32_e32 v38, v38, v40
	s_nop 1
	v_mov_b32_dpp v40, v38 row_shr:8 row_mask:0xf bank_mask:0xf
	v_cndmask_b32_e64 v39, 0, v40, s[4:5]
	v_add_u32_e32 v38, v38, v39
	v_bfe_i32 v40, v5, 4, 1
	s_nop 0
	v_mov_b32_dpp v39, v38 row_bcast:15 row_mask:0xf bank_mask:0xf
	v_and_b32_e32 v39, v40, v39
	v_add_u32_e32 v38, v38, v39
	v_and_b32_e32 v40, 63, v8
	s_nop 0
	v_mov_b32_dpp v39, v38 row_bcast:31 row_mask:0xf bank_mask:0xf
	v_cndmask_b32_e64 v39, 0, v39, s[8:9]
	v_add_u32_e32 v38, v38, v39
	v_lshrrev_b32_e32 v39, 6, v8
	v_cmp_eq_u32_e64 s[8:9], 63, v40
	s_and_saveexec_b64 s[14:15], s[8:9]
	s_cbranch_execz .LBB1447_106
; %bb.105:
	v_lshlrev_b32_e32 v40, 2, v39
	ds_write_b32 v40, v38
.LBB1447_106:
	s_or_b64 exec, exec, s[14:15]
	v_cmp_gt_u32_e64 s[8:9], 16, v8
	v_lshlrev_b32_e32 v44, 2, v8
	s_waitcnt lgkmcnt(0)
	s_barrier
	s_and_saveexec_b64 s[14:15], s[8:9]
	s_cbranch_execz .LBB1447_108
; %bb.107:
	ds_read_b32 v40, v44
	s_waitcnt lgkmcnt(0)
	s_nop 0
	v_mov_b32_dpp v45, v40 row_shr:1 row_mask:0xf bank_mask:0xf
	v_cndmask_b32_e64 v45, v45, 0, vcc
	v_add_u32_e32 v40, v45, v40
	s_nop 1
	v_mov_b32_dpp v45, v40 row_shr:2 row_mask:0xf bank_mask:0xf
	v_cndmask_b32_e64 v45, 0, v45, s[0:1]
	v_add_u32_e32 v40, v40, v45
	s_nop 1
	v_mov_b32_dpp v45, v40 row_shr:4 row_mask:0xf bank_mask:0xf
	v_cndmask_b32_e64 v45, 0, v45, s[2:3]
	;; [unrolled: 4-line block ×3, first 2 shown]
	v_add_u32_e32 v40, v40, v45
	ds_write_b32 v44, v40
.LBB1447_108:
	s_or_b64 exec, exec, s[14:15]
	v_cmp_lt_u32_e32 vcc, 63, v8
	v_mov_b32_e32 v40, 0
	s_waitcnt lgkmcnt(0)
	s_barrier
	s_and_saveexec_b64 s[0:1], vcc
	s_cbranch_execz .LBB1447_110
; %bb.109:
	v_lshl_add_u32 v39, v39, 2, -4
	ds_read_b32 v40, v39
.LBB1447_110:
	s_or_b64 exec, exec, s[0:1]
	v_add_u32_e32 v39, -1, v5
	v_and_b32_e32 v45, 64, v5
	v_cmp_lt_i32_e32 vcc, v39, v45
	v_cndmask_b32_e32 v39, v39, v5, vcc
	s_waitcnt lgkmcnt(0)
	v_add_u32_e32 v38, v40, v38
	v_lshlrev_b32_e32 v39, 2, v39
	ds_bpermute_b32 v38, v39, v38
	v_cmp_eq_u32_e32 vcc, 0, v5
	s_movk_i32 s2, 0xff
	s_movk_i32 s3, 0x100
	v_cmp_lt_u32_e64 s[0:1], s2, v8
	s_waitcnt lgkmcnt(0)
	v_cndmask_b32_e32 v5, v38, v40, vcc
	v_cmp_ne_u32_e32 vcc, 0, v8
	v_cndmask_b32_e32 v5, 0, v5, vcc
	v_add_u32_e32 v2, v5, v2
	v_add_u32_e32 v3, v2, v3
	;; [unrolled: 1-line block ×4, first 2 shown]
	ds_write2_b32 v6, v5, v2 offset0:16 offset1:17
	ds_write2_b32 v37, v3, v0 offset0:2 offset1:3
	ds_write_b32 v37, v1 offset:16
	s_waitcnt lgkmcnt(0)
	s_barrier
	ds_read_b32 v0, v7 offset:64
	ds_read_b32 v37, v11 offset:64
	;; [unrolled: 1-line block ×8, first 2 shown]
	v_cmp_gt_u32_e32 vcc, s3, v8
                                        ; implicit-def: $vgpr31
                                        ; implicit-def: $vgpr32
	s_and_saveexec_b64 s[4:5], vcc
	s_cbranch_execz .LBB1447_114
; %bb.111:
	v_mul_u32_u24_e32 v1, 17, v8
	v_lshlrev_b32_e32 v2, 2, v1
	ds_read_b32 v31, v2 offset:64
	v_cmp_ne_u32_e64 s[2:3], s2, v8
	v_mov_b32_e32 v1, 0x2000
	s_and_saveexec_b64 s[8:9], s[2:3]
	s_cbranch_execz .LBB1447_113
; %bb.112:
	ds_read_b32 v1, v2 offset:132
.LBB1447_113:
	s_or_b64 exec, exec, s[8:9]
	s_waitcnt lgkmcnt(0)
	v_sub_u32_e32 v32, v1, v31
.LBB1447_114:
	s_or_b64 exec, exec, s[4:5]
	s_waitcnt lgkmcnt(7)
	v_add_u32_e32 v35, v0, v9
	v_add_u32_e32 v11, v17, v16
	v_lshlrev_b32_e32 v0, 1, v35
	v_add_u32_e32 v7, v19, v18
	s_waitcnt lgkmcnt(0)
	s_barrier
	ds_write_b16 v0, v4 offset:1024
	v_add_lshl_u32 v0, v11, v37, 1
	v_add_u32_e32 v6, v21, v20
	ds_write_b16 v0, v10 offset:1024
	v_add_lshl_u32 v0, v7, v28, 1
	v_add_u32_e32 v5, v23, v22
	;; [unrolled: 3-line block ×5, first 2 shown]
	ds_write_b16 v0, v36 offset:1024
	v_add_lshl_u32 v0, v2, v41, 1
	ds_write_b16 v0, v43 offset:1024
	v_add_lshl_u32 v0, v1, v42, 1
	ds_write_b16 v0, v13 offset:1024
                                        ; implicit-def: $vgpr10_vgpr11
	s_and_saveexec_b64 s[2:3], s[0:1]
	s_xor_b64 s[0:1], exec, s[2:3]
; %bb.115:
	v_mov_b32_e32 v9, 0
	v_pk_mov_b32 v[10:11], v[8:9], v[8:9] op_sel:[0,1]
                                        ; implicit-def: $vgpr44
; %bb.116:
	s_andn2_saveexec_b64 s[2:3], s[0:1]
	s_cbranch_execz .LBB1447_126
; %bb.117:
	v_lshl_or_b32 v0, s6, 8, v8
	v_mov_b32_e32 v1, 0
	v_lshlrev_b64 v[2:3], 2, v[0:1]
	v_mov_b32_e32 v6, s35
	v_add_co_u32_e64 v2, s[0:1], s34, v2
	v_addc_co_u32_e64 v3, s[0:1], v6, v3, s[0:1]
	v_or_b32_e32 v0, 2.0, v32
	s_mov_b64 s[4:5], 0
	s_brev_b32 s17, 1
	s_mov_b32 s18, s6
	v_mov_b32_e32 v7, 0
	global_store_dword v[2:3], v0, off
                                        ; implicit-def: $sgpr0_sgpr1
	s_branch .LBB1447_120
.LBB1447_118:                           ;   in Loop: Header=BB1447_120 Depth=1
	s_or_b64 exec, exec, s[14:15]
.LBB1447_119:                           ;   in Loop: Header=BB1447_120 Depth=1
	s_or_b64 exec, exec, s[8:9]
	v_and_b32_e32 v4, 0x3fffffff, v9
	v_add_u32_e32 v7, v4, v7
	v_cmp_eq_u32_e64 s[0:1], s17, v0
	s_and_b64 s[8:9], exec, s[0:1]
	s_or_b64 s[4:5], s[8:9], s[4:5]
	s_andn2_b64 exec, exec, s[4:5]
	s_cbranch_execz .LBB1447_125
.LBB1447_120:                           ; =>This Loop Header: Depth=1
                                        ;     Child Loop BB1447_123 Depth 2
	s_or_b64 s[0:1], s[0:1], exec
	s_cmp_eq_u32 s18, 0
	s_cbranch_scc1 .LBB1447_124
; %bb.121:                              ;   in Loop: Header=BB1447_120 Depth=1
	s_add_i32 s18, s18, -1
	v_lshl_or_b32 v0, s18, 8, v8
	v_lshlrev_b64 v[4:5], 2, v[0:1]
	v_add_co_u32_e64 v4, s[0:1], s34, v4
	v_addc_co_u32_e64 v5, s[0:1], v6, v5, s[0:1]
	global_load_dword v9, v[4:5], off glc
	s_waitcnt vmcnt(0)
	v_and_b32_e32 v0, -2.0, v9
	v_cmp_eq_u32_e64 s[0:1], 0, v0
	s_and_saveexec_b64 s[8:9], s[0:1]
	s_cbranch_execz .LBB1447_119
; %bb.122:                              ;   in Loop: Header=BB1447_120 Depth=1
	s_mov_b64 s[14:15], 0
.LBB1447_123:                           ;   Parent Loop BB1447_120 Depth=1
                                        ; =>  This Inner Loop Header: Depth=2
	global_load_dword v9, v[4:5], off glc
	s_waitcnt vmcnt(0)
	v_and_b32_e32 v0, -2.0, v9
	v_cmp_ne_u32_e64 s[0:1], 0, v0
	s_or_b64 s[14:15], s[0:1], s[14:15]
	s_andn2_b64 exec, exec, s[14:15]
	s_cbranch_execnz .LBB1447_123
	s_branch .LBB1447_118
.LBB1447_124:                           ;   in Loop: Header=BB1447_120 Depth=1
                                        ; implicit-def: $sgpr18
	s_and_b64 s[8:9], exec, s[0:1]
	s_or_b64 s[4:5], s[8:9], s[4:5]
	s_andn2_b64 exec, exec, s[4:5]
	s_cbranch_execnz .LBB1447_120
.LBB1447_125:
	s_or_b64 exec, exec, s[4:5]
	v_add_u32_e32 v0, v7, v32
	v_or_b32_e32 v0, 0x80000000, v0
	global_store_dword v[2:3], v0, off
	global_load_dword v0, v44, s[28:29]
	v_mov_b32_e32 v9, 0
	v_sub_u32_e32 v1, v7, v31
	v_pk_mov_b32 v[10:11], v[8:9], v[8:9] op_sel:[0,1]
	s_waitcnt vmcnt(0)
	v_add_u32_e32 v0, v1, v0
	ds_write_b32 v44, v0
.LBB1447_126:
	s_or_b64 exec, exec, s[2:3]
	v_lshlrev_b32_e32 v0, 1, v10
	s_waitcnt lgkmcnt(0)
	s_barrier
	v_lshlrev_b32_e32 v9, 1, v8
	ds_read_u16 v1, v0 offset:1024
	ds_read_u16 v2, v9 offset:3072
	ds_read_u16 v29, v9 offset:7168
	ds_read_u16 v33, v9 offset:11264
	ds_read_u16 v36, v9 offset:15360
	s_waitcnt lgkmcnt(4)
	v_lshrrev_b32_sdwa v0, s44, v1 dst_sel:DWORD dst_unused:UNUSED_PAD src0_sel:DWORD src1_sel:WORD_0
	v_and_b32_e32 v0, s16, v0
	v_lshlrev_b32_e32 v3, 2, v0
	ds_read_b32 v4, v3
	s_waitcnt lgkmcnt(3)
	v_lshrrev_b32_sdwa v3, s44, v29 dst_sel:DWORD dst_unused:UNUSED_PAD src0_sel:DWORD src1_sel:WORD_0
	v_and_b32_e32 v3, s16, v3
	s_waitcnt lgkmcnt(2)
	v_lshrrev_b32_sdwa v5, s44, v33 dst_sel:DWORD dst_unused:UNUSED_PAD src0_sel:DWORD src1_sel:WORD_0
	v_lshlrev_b32_e32 v6, 2, v3
	v_and_b32_e32 v5, s16, v5
	s_waitcnt lgkmcnt(0)
	v_add_u32_e32 v12, v4, v8
	v_mov_b32_e32 v13, 0
	v_lshlrev_b32_e32 v7, 2, v5
	ds_read_b32 v43, v6
	ds_read_b32 v46, v7
	v_lshrrev_b32_sdwa v6, s44, v36 dst_sel:DWORD dst_unused:UNUSED_PAD src0_sel:DWORD src1_sel:WORD_0
	v_lshlrev_b64 v[44:45], 1, v[12:13]
	v_and_b32_e32 v7, s16, v6
	v_mov_b32_e32 v4, s39
	v_add_co_u32_e64 v44, s[0:1], s38, v44
	v_lshlrev_b32_e32 v6, 2, v7
	v_addc_co_u32_e64 v45, s[0:1], v4, v45, s[0:1]
	v_xor_b32_e32 v1, 0xffff8000, v1
	ds_read_b32 v47, v6
	ds_read_u16 v48, v9 offset:5120
	ds_read_u16 v49, v9 offset:9216
	;; [unrolled: 1-line block ×3, first 2 shown]
	global_store_short v[44:45], v1, off
	v_lshrrev_b32_sdwa v1, s44, v2 dst_sel:DWORD dst_unused:UNUSED_PAD src0_sel:DWORD src1_sel:WORD_0
	v_and_b32_e32 v1, s16, v1
	v_lshlrev_b32_e32 v4, 2, v1
	ds_read_b32 v4, v4
	s_movk_i32 s2, 0x400
	v_xor_b32_e32 v2, 0xffff8000, v2
	v_mov_b32_e32 v53, s39
	v_lshlrev_b32_e32 v14, 3, v14
	s_waitcnt lgkmcnt(0)
	v_add3_u32 v12, v4, v8, s2
	v_lshlrev_b64 v[44:45], 1, v[12:13]
	v_mov_b32_e32 v4, s39
	v_add_co_u32_e64 v44, s[0:1], s38, v44
	v_addc_co_u32_e64 v45, s[0:1], v4, v45, s[0:1]
	global_store_short v[44:45], v2, off
	v_lshrrev_b32_sdwa v2, s44, v48 dst_sel:DWORD dst_unused:UNUSED_PAD src0_sel:DWORD src1_sel:WORD_0
	v_and_b32_e32 v2, s16, v2
	v_lshlrev_b32_e32 v4, 2, v2
	ds_read_b32 v12, v4
	v_lshrrev_b32_sdwa v4, s44, v49 dst_sel:DWORD dst_unused:UNUSED_PAD src0_sel:DWORD src1_sel:WORD_0
	v_and_b32_e32 v4, s16, v4
	v_lshlrev_b32_e32 v6, 2, v4
	ds_read_b32 v51, v6
	v_lshrrev_b32_sdwa v6, s44, v50 dst_sel:DWORD dst_unused:UNUSED_PAD src0_sel:DWORD src1_sel:WORD_0
	s_movk_i32 s0, 0x800
	v_and_b32_e32 v6, s16, v6
	v_lshlrev_b32_e32 v44, 2, v6
	s_waitcnt lgkmcnt(1)
	v_add3_u32 v12, v12, v8, s0
	ds_read_b32 v52, v44
	v_lshlrev_b64 v[44:45], 1, v[12:13]
	v_add_co_u32_e64 v44, s[0:1], s38, v44
	v_addc_co_u32_e64 v45, s[0:1], v53, v45, s[0:1]
	v_xor_b32_e32 v12, 0xffff8000, v48
	s_movk_i32 s0, 0xc00
	global_store_short v[44:45], v12, off
	v_add3_u32 v12, v43, v8, s0
	v_lshlrev_b64 v[44:45], 1, v[12:13]
	v_mov_b32_e32 v43, s39
	v_add_co_u32_e64 v44, s[0:1], s38, v44
	v_addc_co_u32_e64 v45, s[0:1], v43, v45, s[0:1]
	v_xor_b32_e32 v12, 0xffff8000, v29
	s_movk_i32 s0, 0x1000
	global_store_short v[44:45], v12, off
	s_waitcnt lgkmcnt(1)
	v_add3_u32 v12, v51, v8, s0
	v_lshlrev_b64 v[44:45], 1, v[12:13]
	v_mov_b32_e32 v29, s39
	v_add_co_u32_e64 v44, s[0:1], s38, v44
	v_addc_co_u32_e64 v45, s[0:1], v29, v45, s[0:1]
	v_xor_b32_e32 v12, 0xffff8000, v49
	s_movk_i32 s0, 0x1400
	global_store_short v[44:45], v12, off
	v_add3_u32 v12, v46, v8, s0
	v_lshlrev_b64 v[44:45], 1, v[12:13]
	v_add_co_u32_e64 v44, s[0:1], s38, v44
	v_addc_co_u32_e64 v45, s[0:1], v29, v45, s[0:1]
	v_xor_b32_e32 v12, 0xffff8000, v33
	s_movk_i32 s0, 0x1800
	global_store_short v[44:45], v12, off
	s_waitcnt lgkmcnt(0)
	v_add3_u32 v12, v52, v8, s0
	v_lshlrev_b64 v[44:45], 1, v[12:13]
	v_add_co_u32_e64 v44, s[0:1], s38, v44
	v_addc_co_u32_e64 v45, s[0:1], v29, v45, s[0:1]
	v_xor_b32_e32 v12, 0xffff8000, v50
	s_movk_i32 s0, 0x1c00
	global_store_short v[44:45], v12, off
	v_add3_u32 v12, v47, v8, s0
	v_lshlrev_b64 v[44:45], 1, v[12:13]
	v_add_co_u32_e64 v44, s[0:1], s38, v44
	v_addc_co_u32_e64 v45, s[0:1], v29, v45, s[0:1]
	s_lshl_b64 s[0:1], s[12:13], 3
	v_xor_b32_e32 v12, 0xffff8000, v36
	s_add_u32 s0, s40, s0
	global_store_short v[44:45], v12, off
	s_addc_u32 s1, s41, s1
	v_lshlrev_b32_e32 v12, 3, v15
	v_mov_b32_e32 v15, s1
	v_add_co_u32_e64 v12, s[0:1], s0, v12
	v_addc_co_u32_e64 v15, s[0:1], 0, v15, s[0:1]
	v_add3_u32 v33, v34, v42, v27
	v_add3_u32 v34, v25, v40, v24
	v_add_co_u32_e64 v40, s[0:1], v12, v14
	v_add3_u32 v30, v30, v41, v26
	v_addc_co_u32_e64 v41, s[0:1], 0, v15, s[0:1]
	v_add3_u32 v36, v23, v39, v22
	v_add3_u32 v38, v21, v38, v20
	;; [unrolled: 1-line block ×4, first 2 shown]
	global_load_dwordx2 v[14:15], v[40:41], off
	global_load_dwordx2 v[16:17], v[40:41], off offset:512
	global_load_dwordx2 v[18:19], v[40:41], off offset:1024
	;; [unrolled: 1-line block ×7, first 2 shown]
	v_add_u32_e32 v9, 0x400, v9
	v_mul_u32_u24_e32 v12, 6, v8
	v_add_u32_e32 v9, v9, v12
	s_mov_b32 s3, 1
	s_mov_b32 s4, 0
	v_lshlrev_b32_e32 v40, 3, v10
	s_barrier
	s_waitcnt vmcnt(0)
.LBB1447_127:                           ; =>This Inner Loop Header: Depth=1
	v_add_u32_e32 v12, s4, v35
	v_min_u32_e32 v12, 0x800, v12
	v_lshlrev_b32_e32 v12, 3, v12
	ds_write_b64 v12, v[14:15] offset:1024
	v_add_u32_e32 v12, s4, v37
	v_min_u32_e32 v12, 0x800, v12
	v_lshlrev_b32_e32 v12, 3, v12
	ds_write_b64 v12, v[16:17] offset:1024
	;; [unrolled: 4-line block ×7, first 2 shown]
	v_add_u32_e32 v12, s4, v33
	s_add_i32 s5, s3, -1
	v_min_u32_e32 v12, 0x800, v12
	s_cmp_eq_u32 s5, 1
	v_lshlrev_b32_e32 v12, 3, v12
	s_cselect_b64 s[0:1], -1, 0
	s_cmp_eq_u32 s5, 2
	ds_write_b64 v12, v[28:29] offset:1024
	v_cndmask_b32_e64 v12, v0, v1, s[0:1]
	s_cselect_b64 s[0:1], -1, 0
	s_cmp_eq_u32 s5, 3
	v_cndmask_b32_e64 v12, v12, v2, s[0:1]
	s_cselect_b64 s[0:1], -1, 0
	s_cmp_eq_u32 s5, 4
	;; [unrolled: 3-line block ×10, first 2 shown]
	v_lshlrev_b32_e32 v12, 2, v12
	v_cndmask_b32_e64 v41, v41, v4, s[0:1]
	s_cselect_b64 s[0:1], -1, 0
	s_cmp_eq_u32 s3, 6
	s_waitcnt lgkmcnt(0)
	s_barrier
	ds_read_b32 v12, v12
	v_cndmask_b32_e64 v41, v41, v5, s[0:1]
	s_cselect_b64 s[0:1], -1, 0
	s_cmp_eq_u32 s3, 7
	v_cndmask_b32_e64 v41, v41, v6, s[0:1]
	s_cselect_b64 s[0:1], -1, 0
	v_cndmask_b32_e64 v41, v41, v7, s[0:1]
	v_lshlrev_b32_e32 v41, 2, v41
	ds_read_b32 v41, v41
	ds_read_b64 v[42:43], v9 offset:8192
	ds_read_b64 v[46:47], v40 offset:1024
	s_waitcnt lgkmcnt(3)
	v_add_u32_e32 v12, v8, v12
	v_lshlrev_b64 v[44:45], 3, v[12:13]
	v_mov_b32_e32 v48, s43
	v_add_co_u32_e64 v44, s[0:1], s42, v44
	v_addc_co_u32_e64 v45, s[0:1], v48, v45, s[0:1]
	s_waitcnt lgkmcnt(2)
	v_add3_u32 v12, v8, v41, s2
	s_waitcnt lgkmcnt(0)
	global_store_dwordx2 v[44:45], v[46:47], off
	v_lshlrev_b64 v[44:45], 3, v[12:13]
	v_add_co_u32_e64 v44, s[0:1], s42, v44
	s_addk_i32 s4, 0xf800
	s_add_i32 s3, s3, 2
	v_addc_co_u32_e64 v45, s[0:1], v48, v45, s[0:1]
	s_cmpk_lg_i32 s4, 0xe000
	v_add_u32_e32 v8, 0x800, v8
	global_store_dwordx2 v[44:45], v[42:43], off
	s_barrier
	s_cbranch_scc1 .LBB1447_127
; %bb.128:
	s_add_i32 s7, s7, -1
	s_cmp_eq_u32 s7, s6
	s_cselect_b64 s[0:1], -1, 0
	s_and_b64 s[2:3], vcc, s[0:1]
                                        ; implicit-def: $vgpr2
	s_and_saveexec_b64 s[0:1], s[2:3]
; %bb.129:
	v_add_u32_e32 v2, v31, v32
	s_or_b64 s[10:11], s[10:11], exec
; %bb.130:
	s_or_b64 exec, exec, s[0:1]
.LBB1447_131:
	s_and_saveexec_b64 s[0:1], s[10:11]
	s_cbranch_execnz .LBB1447_133
; %bb.132:
	s_endpgm
.LBB1447_133:
	v_lshlrev_b32_e32 v3, 2, v10
	ds_read_b32 v3, v3
	v_lshlrev_b64 v[0:1], 2, v[10:11]
	v_mov_b32_e32 v4, s31
	v_add_co_u32_e32 v0, vcc, s30, v0
	v_addc_co_u32_e32 v1, vcc, v4, v1, vcc
	s_waitcnt lgkmcnt(0)
	v_add_u32_e32 v2, v3, v2
	global_store_dword v[0:1], v2, off
	s_endpgm
.LBB1447_134:
	global_load_dwordx2 v[12:13], v[28:29], off
	s_or_b64 exec, exec, s[18:19]
                                        ; implicit-def: $vgpr14_vgpr15
	s_and_saveexec_b64 s[18:19], s[0:1]
	s_cbranch_execz .LBB1447_71
.LBB1447_135:
	global_load_dwordx2 v[14:15], v[28:29], off offset:512
	s_or_b64 exec, exec, s[18:19]
                                        ; implicit-def: $vgpr16_vgpr17
	s_and_saveexec_b64 s[0:1], s[2:3]
	s_cbranch_execz .LBB1447_72
.LBB1447_136:
	global_load_dwordx2 v[16:17], v[28:29], off offset:1024
	s_or_b64 exec, exec, s[0:1]
                                        ; implicit-def: $vgpr18_vgpr19
	s_and_saveexec_b64 s[0:1], s[24:25]
	s_cbranch_execz .LBB1447_73
.LBB1447_137:
	global_load_dwordx2 v[18:19], v[28:29], off offset:1536
	s_or_b64 exec, exec, s[0:1]
                                        ; implicit-def: $vgpr20_vgpr21
	s_and_saveexec_b64 s[0:1], s[8:9]
	s_cbranch_execz .LBB1447_74
.LBB1447_138:
	global_load_dwordx2 v[20:21], v[28:29], off offset:2048
	s_or_b64 exec, exec, s[0:1]
                                        ; implicit-def: $vgpr22_vgpr23
	s_and_saveexec_b64 s[0:1], s[10:11]
	s_cbranch_execz .LBB1447_75
.LBB1447_139:
	global_load_dwordx2 v[22:23], v[28:29], off offset:2560
	s_or_b64 exec, exec, s[0:1]
                                        ; implicit-def: $vgpr24_vgpr25
	s_and_saveexec_b64 s[0:1], s[12:13]
	s_cbranch_execz .LBB1447_76
.LBB1447_140:
	global_load_dwordx2 v[24:25], v[28:29], off offset:3072
	s_or_b64 exec, exec, s[0:1]
                                        ; implicit-def: $vgpr26_vgpr27
	s_and_saveexec_b64 s[0:1], s[14:15]
	s_cbranch_execnz .LBB1447_77
	s_branch .LBB1447_78
	.section	.rodata,"a",@progbits
	.p2align	6, 0x0
	.amdhsa_kernel _ZN7rocprim17ROCPRIM_400000_NS6detail17trampoline_kernelINS0_14default_configENS1_35radix_sort_onesweep_config_selectorIslEEZZNS1_29radix_sort_onesweep_iterationIS3_Lb0EPsS7_N6thrust23THRUST_200600_302600_NS10device_ptrIlEESB_jNS0_19identity_decomposerENS1_16block_id_wrapperIjLb0EEEEE10hipError_tT1_PNSt15iterator_traitsISG_E10value_typeET2_T3_PNSH_ISM_E10value_typeET4_T5_PSR_SS_PNS1_23onesweep_lookback_stateEbbT6_jjT7_P12ihipStream_tbENKUlT_T0_SG_SL_E_clIS7_S7_PlSB_EEDaSZ_S10_SG_SL_EUlSZ_E_NS1_11comp_targetILNS1_3genE4ELNS1_11target_archE910ELNS1_3gpuE8ELNS1_3repE0EEENS1_47radix_sort_onesweep_sort_config_static_selectorELNS0_4arch9wavefront6targetE1EEEvSG_
		.amdhsa_group_segment_fixed_size 20552
		.amdhsa_private_segment_fixed_size 0
		.amdhsa_kernarg_size 344
		.amdhsa_user_sgpr_count 6
		.amdhsa_user_sgpr_private_segment_buffer 1
		.amdhsa_user_sgpr_dispatch_ptr 0
		.amdhsa_user_sgpr_queue_ptr 0
		.amdhsa_user_sgpr_kernarg_segment_ptr 1
		.amdhsa_user_sgpr_dispatch_id 0
		.amdhsa_user_sgpr_flat_scratch_init 0
		.amdhsa_user_sgpr_kernarg_preload_length 0
		.amdhsa_user_sgpr_kernarg_preload_offset 0
		.amdhsa_user_sgpr_private_segment_size 0
		.amdhsa_uses_dynamic_stack 0
		.amdhsa_system_sgpr_private_segment_wavefront_offset 0
		.amdhsa_system_sgpr_workgroup_id_x 1
		.amdhsa_system_sgpr_workgroup_id_y 0
		.amdhsa_system_sgpr_workgroup_id_z 0
		.amdhsa_system_sgpr_workgroup_info 0
		.amdhsa_system_vgpr_workitem_id 2
		.amdhsa_next_free_vgpr 55
		.amdhsa_next_free_sgpr 53
		.amdhsa_accum_offset 56
		.amdhsa_reserve_vcc 1
		.amdhsa_reserve_flat_scratch 0
		.amdhsa_float_round_mode_32 0
		.amdhsa_float_round_mode_16_64 0
		.amdhsa_float_denorm_mode_32 3
		.amdhsa_float_denorm_mode_16_64 3
		.amdhsa_dx10_clamp 1
		.amdhsa_ieee_mode 1
		.amdhsa_fp16_overflow 0
		.amdhsa_tg_split 0
		.amdhsa_exception_fp_ieee_invalid_op 0
		.amdhsa_exception_fp_denorm_src 0
		.amdhsa_exception_fp_ieee_div_zero 0
		.amdhsa_exception_fp_ieee_overflow 0
		.amdhsa_exception_fp_ieee_underflow 0
		.amdhsa_exception_fp_ieee_inexact 0
		.amdhsa_exception_int_div_zero 0
	.end_amdhsa_kernel
	.section	.text._ZN7rocprim17ROCPRIM_400000_NS6detail17trampoline_kernelINS0_14default_configENS1_35radix_sort_onesweep_config_selectorIslEEZZNS1_29radix_sort_onesweep_iterationIS3_Lb0EPsS7_N6thrust23THRUST_200600_302600_NS10device_ptrIlEESB_jNS0_19identity_decomposerENS1_16block_id_wrapperIjLb0EEEEE10hipError_tT1_PNSt15iterator_traitsISG_E10value_typeET2_T3_PNSH_ISM_E10value_typeET4_T5_PSR_SS_PNS1_23onesweep_lookback_stateEbbT6_jjT7_P12ihipStream_tbENKUlT_T0_SG_SL_E_clIS7_S7_PlSB_EEDaSZ_S10_SG_SL_EUlSZ_E_NS1_11comp_targetILNS1_3genE4ELNS1_11target_archE910ELNS1_3gpuE8ELNS1_3repE0EEENS1_47radix_sort_onesweep_sort_config_static_selectorELNS0_4arch9wavefront6targetE1EEEvSG_,"axG",@progbits,_ZN7rocprim17ROCPRIM_400000_NS6detail17trampoline_kernelINS0_14default_configENS1_35radix_sort_onesweep_config_selectorIslEEZZNS1_29radix_sort_onesweep_iterationIS3_Lb0EPsS7_N6thrust23THRUST_200600_302600_NS10device_ptrIlEESB_jNS0_19identity_decomposerENS1_16block_id_wrapperIjLb0EEEEE10hipError_tT1_PNSt15iterator_traitsISG_E10value_typeET2_T3_PNSH_ISM_E10value_typeET4_T5_PSR_SS_PNS1_23onesweep_lookback_stateEbbT6_jjT7_P12ihipStream_tbENKUlT_T0_SG_SL_E_clIS7_S7_PlSB_EEDaSZ_S10_SG_SL_EUlSZ_E_NS1_11comp_targetILNS1_3genE4ELNS1_11target_archE910ELNS1_3gpuE8ELNS1_3repE0EEENS1_47radix_sort_onesweep_sort_config_static_selectorELNS0_4arch9wavefront6targetE1EEEvSG_,comdat
.Lfunc_end1447:
	.size	_ZN7rocprim17ROCPRIM_400000_NS6detail17trampoline_kernelINS0_14default_configENS1_35radix_sort_onesweep_config_selectorIslEEZZNS1_29radix_sort_onesweep_iterationIS3_Lb0EPsS7_N6thrust23THRUST_200600_302600_NS10device_ptrIlEESB_jNS0_19identity_decomposerENS1_16block_id_wrapperIjLb0EEEEE10hipError_tT1_PNSt15iterator_traitsISG_E10value_typeET2_T3_PNSH_ISM_E10value_typeET4_T5_PSR_SS_PNS1_23onesweep_lookback_stateEbbT6_jjT7_P12ihipStream_tbENKUlT_T0_SG_SL_E_clIS7_S7_PlSB_EEDaSZ_S10_SG_SL_EUlSZ_E_NS1_11comp_targetILNS1_3genE4ELNS1_11target_archE910ELNS1_3gpuE8ELNS1_3repE0EEENS1_47radix_sort_onesweep_sort_config_static_selectorELNS0_4arch9wavefront6targetE1EEEvSG_, .Lfunc_end1447-_ZN7rocprim17ROCPRIM_400000_NS6detail17trampoline_kernelINS0_14default_configENS1_35radix_sort_onesweep_config_selectorIslEEZZNS1_29radix_sort_onesweep_iterationIS3_Lb0EPsS7_N6thrust23THRUST_200600_302600_NS10device_ptrIlEESB_jNS0_19identity_decomposerENS1_16block_id_wrapperIjLb0EEEEE10hipError_tT1_PNSt15iterator_traitsISG_E10value_typeET2_T3_PNSH_ISM_E10value_typeET4_T5_PSR_SS_PNS1_23onesweep_lookback_stateEbbT6_jjT7_P12ihipStream_tbENKUlT_T0_SG_SL_E_clIS7_S7_PlSB_EEDaSZ_S10_SG_SL_EUlSZ_E_NS1_11comp_targetILNS1_3genE4ELNS1_11target_archE910ELNS1_3gpuE8ELNS1_3repE0EEENS1_47radix_sort_onesweep_sort_config_static_selectorELNS0_4arch9wavefront6targetE1EEEvSG_
                                        ; -- End function
	.section	.AMDGPU.csdata,"",@progbits
; Kernel info:
; codeLenInByte = 13608
; NumSgprs: 57
; NumVgprs: 55
; NumAgprs: 0
; TotalNumVgprs: 55
; ScratchSize: 0
; MemoryBound: 0
; FloatMode: 240
; IeeeMode: 1
; LDSByteSize: 20552 bytes/workgroup (compile time only)
; SGPRBlocks: 7
; VGPRBlocks: 6
; NumSGPRsForWavesPerEU: 57
; NumVGPRsForWavesPerEU: 55
; AccumOffset: 56
; Occupancy: 8
; WaveLimiterHint : 1
; COMPUTE_PGM_RSRC2:SCRATCH_EN: 0
; COMPUTE_PGM_RSRC2:USER_SGPR: 6
; COMPUTE_PGM_RSRC2:TRAP_HANDLER: 0
; COMPUTE_PGM_RSRC2:TGID_X_EN: 1
; COMPUTE_PGM_RSRC2:TGID_Y_EN: 0
; COMPUTE_PGM_RSRC2:TGID_Z_EN: 0
; COMPUTE_PGM_RSRC2:TIDIG_COMP_CNT: 2
; COMPUTE_PGM_RSRC3_GFX90A:ACCUM_OFFSET: 13
; COMPUTE_PGM_RSRC3_GFX90A:TG_SPLIT: 0
	.section	.text._ZN7rocprim17ROCPRIM_400000_NS6detail17trampoline_kernelINS0_14default_configENS1_35radix_sort_onesweep_config_selectorIslEEZZNS1_29radix_sort_onesweep_iterationIS3_Lb0EPsS7_N6thrust23THRUST_200600_302600_NS10device_ptrIlEESB_jNS0_19identity_decomposerENS1_16block_id_wrapperIjLb0EEEEE10hipError_tT1_PNSt15iterator_traitsISG_E10value_typeET2_T3_PNSH_ISM_E10value_typeET4_T5_PSR_SS_PNS1_23onesweep_lookback_stateEbbT6_jjT7_P12ihipStream_tbENKUlT_T0_SG_SL_E_clIS7_S7_PlSB_EEDaSZ_S10_SG_SL_EUlSZ_E_NS1_11comp_targetILNS1_3genE3ELNS1_11target_archE908ELNS1_3gpuE7ELNS1_3repE0EEENS1_47radix_sort_onesweep_sort_config_static_selectorELNS0_4arch9wavefront6targetE1EEEvSG_,"axG",@progbits,_ZN7rocprim17ROCPRIM_400000_NS6detail17trampoline_kernelINS0_14default_configENS1_35radix_sort_onesweep_config_selectorIslEEZZNS1_29radix_sort_onesweep_iterationIS3_Lb0EPsS7_N6thrust23THRUST_200600_302600_NS10device_ptrIlEESB_jNS0_19identity_decomposerENS1_16block_id_wrapperIjLb0EEEEE10hipError_tT1_PNSt15iterator_traitsISG_E10value_typeET2_T3_PNSH_ISM_E10value_typeET4_T5_PSR_SS_PNS1_23onesweep_lookback_stateEbbT6_jjT7_P12ihipStream_tbENKUlT_T0_SG_SL_E_clIS7_S7_PlSB_EEDaSZ_S10_SG_SL_EUlSZ_E_NS1_11comp_targetILNS1_3genE3ELNS1_11target_archE908ELNS1_3gpuE7ELNS1_3repE0EEENS1_47radix_sort_onesweep_sort_config_static_selectorELNS0_4arch9wavefront6targetE1EEEvSG_,comdat
	.protected	_ZN7rocprim17ROCPRIM_400000_NS6detail17trampoline_kernelINS0_14default_configENS1_35radix_sort_onesweep_config_selectorIslEEZZNS1_29radix_sort_onesweep_iterationIS3_Lb0EPsS7_N6thrust23THRUST_200600_302600_NS10device_ptrIlEESB_jNS0_19identity_decomposerENS1_16block_id_wrapperIjLb0EEEEE10hipError_tT1_PNSt15iterator_traitsISG_E10value_typeET2_T3_PNSH_ISM_E10value_typeET4_T5_PSR_SS_PNS1_23onesweep_lookback_stateEbbT6_jjT7_P12ihipStream_tbENKUlT_T0_SG_SL_E_clIS7_S7_PlSB_EEDaSZ_S10_SG_SL_EUlSZ_E_NS1_11comp_targetILNS1_3genE3ELNS1_11target_archE908ELNS1_3gpuE7ELNS1_3repE0EEENS1_47radix_sort_onesweep_sort_config_static_selectorELNS0_4arch9wavefront6targetE1EEEvSG_ ; -- Begin function _ZN7rocprim17ROCPRIM_400000_NS6detail17trampoline_kernelINS0_14default_configENS1_35radix_sort_onesweep_config_selectorIslEEZZNS1_29radix_sort_onesweep_iterationIS3_Lb0EPsS7_N6thrust23THRUST_200600_302600_NS10device_ptrIlEESB_jNS0_19identity_decomposerENS1_16block_id_wrapperIjLb0EEEEE10hipError_tT1_PNSt15iterator_traitsISG_E10value_typeET2_T3_PNSH_ISM_E10value_typeET4_T5_PSR_SS_PNS1_23onesweep_lookback_stateEbbT6_jjT7_P12ihipStream_tbENKUlT_T0_SG_SL_E_clIS7_S7_PlSB_EEDaSZ_S10_SG_SL_EUlSZ_E_NS1_11comp_targetILNS1_3genE3ELNS1_11target_archE908ELNS1_3gpuE7ELNS1_3repE0EEENS1_47radix_sort_onesweep_sort_config_static_selectorELNS0_4arch9wavefront6targetE1EEEvSG_
	.globl	_ZN7rocprim17ROCPRIM_400000_NS6detail17trampoline_kernelINS0_14default_configENS1_35radix_sort_onesweep_config_selectorIslEEZZNS1_29radix_sort_onesweep_iterationIS3_Lb0EPsS7_N6thrust23THRUST_200600_302600_NS10device_ptrIlEESB_jNS0_19identity_decomposerENS1_16block_id_wrapperIjLb0EEEEE10hipError_tT1_PNSt15iterator_traitsISG_E10value_typeET2_T3_PNSH_ISM_E10value_typeET4_T5_PSR_SS_PNS1_23onesweep_lookback_stateEbbT6_jjT7_P12ihipStream_tbENKUlT_T0_SG_SL_E_clIS7_S7_PlSB_EEDaSZ_S10_SG_SL_EUlSZ_E_NS1_11comp_targetILNS1_3genE3ELNS1_11target_archE908ELNS1_3gpuE7ELNS1_3repE0EEENS1_47radix_sort_onesweep_sort_config_static_selectorELNS0_4arch9wavefront6targetE1EEEvSG_
	.p2align	8
	.type	_ZN7rocprim17ROCPRIM_400000_NS6detail17trampoline_kernelINS0_14default_configENS1_35radix_sort_onesweep_config_selectorIslEEZZNS1_29radix_sort_onesweep_iterationIS3_Lb0EPsS7_N6thrust23THRUST_200600_302600_NS10device_ptrIlEESB_jNS0_19identity_decomposerENS1_16block_id_wrapperIjLb0EEEEE10hipError_tT1_PNSt15iterator_traitsISG_E10value_typeET2_T3_PNSH_ISM_E10value_typeET4_T5_PSR_SS_PNS1_23onesweep_lookback_stateEbbT6_jjT7_P12ihipStream_tbENKUlT_T0_SG_SL_E_clIS7_S7_PlSB_EEDaSZ_S10_SG_SL_EUlSZ_E_NS1_11comp_targetILNS1_3genE3ELNS1_11target_archE908ELNS1_3gpuE7ELNS1_3repE0EEENS1_47radix_sort_onesweep_sort_config_static_selectorELNS0_4arch9wavefront6targetE1EEEvSG_,@function
_ZN7rocprim17ROCPRIM_400000_NS6detail17trampoline_kernelINS0_14default_configENS1_35radix_sort_onesweep_config_selectorIslEEZZNS1_29radix_sort_onesweep_iterationIS3_Lb0EPsS7_N6thrust23THRUST_200600_302600_NS10device_ptrIlEESB_jNS0_19identity_decomposerENS1_16block_id_wrapperIjLb0EEEEE10hipError_tT1_PNSt15iterator_traitsISG_E10value_typeET2_T3_PNSH_ISM_E10value_typeET4_T5_PSR_SS_PNS1_23onesweep_lookback_stateEbbT6_jjT7_P12ihipStream_tbENKUlT_T0_SG_SL_E_clIS7_S7_PlSB_EEDaSZ_S10_SG_SL_EUlSZ_E_NS1_11comp_targetILNS1_3genE3ELNS1_11target_archE908ELNS1_3gpuE7ELNS1_3repE0EEENS1_47radix_sort_onesweep_sort_config_static_selectorELNS0_4arch9wavefront6targetE1EEEvSG_: ; @_ZN7rocprim17ROCPRIM_400000_NS6detail17trampoline_kernelINS0_14default_configENS1_35radix_sort_onesweep_config_selectorIslEEZZNS1_29radix_sort_onesweep_iterationIS3_Lb0EPsS7_N6thrust23THRUST_200600_302600_NS10device_ptrIlEESB_jNS0_19identity_decomposerENS1_16block_id_wrapperIjLb0EEEEE10hipError_tT1_PNSt15iterator_traitsISG_E10value_typeET2_T3_PNSH_ISM_E10value_typeET4_T5_PSR_SS_PNS1_23onesweep_lookback_stateEbbT6_jjT7_P12ihipStream_tbENKUlT_T0_SG_SL_E_clIS7_S7_PlSB_EEDaSZ_S10_SG_SL_EUlSZ_E_NS1_11comp_targetILNS1_3genE3ELNS1_11target_archE908ELNS1_3gpuE7ELNS1_3repE0EEENS1_47radix_sort_onesweep_sort_config_static_selectorELNS0_4arch9wavefront6targetE1EEEvSG_
; %bb.0:
	.section	.rodata,"a",@progbits
	.p2align	6, 0x0
	.amdhsa_kernel _ZN7rocprim17ROCPRIM_400000_NS6detail17trampoline_kernelINS0_14default_configENS1_35radix_sort_onesweep_config_selectorIslEEZZNS1_29radix_sort_onesweep_iterationIS3_Lb0EPsS7_N6thrust23THRUST_200600_302600_NS10device_ptrIlEESB_jNS0_19identity_decomposerENS1_16block_id_wrapperIjLb0EEEEE10hipError_tT1_PNSt15iterator_traitsISG_E10value_typeET2_T3_PNSH_ISM_E10value_typeET4_T5_PSR_SS_PNS1_23onesweep_lookback_stateEbbT6_jjT7_P12ihipStream_tbENKUlT_T0_SG_SL_E_clIS7_S7_PlSB_EEDaSZ_S10_SG_SL_EUlSZ_E_NS1_11comp_targetILNS1_3genE3ELNS1_11target_archE908ELNS1_3gpuE7ELNS1_3repE0EEENS1_47radix_sort_onesweep_sort_config_static_selectorELNS0_4arch9wavefront6targetE1EEEvSG_
		.amdhsa_group_segment_fixed_size 0
		.amdhsa_private_segment_fixed_size 0
		.amdhsa_kernarg_size 88
		.amdhsa_user_sgpr_count 6
		.amdhsa_user_sgpr_private_segment_buffer 1
		.amdhsa_user_sgpr_dispatch_ptr 0
		.amdhsa_user_sgpr_queue_ptr 0
		.amdhsa_user_sgpr_kernarg_segment_ptr 1
		.amdhsa_user_sgpr_dispatch_id 0
		.amdhsa_user_sgpr_flat_scratch_init 0
		.amdhsa_user_sgpr_kernarg_preload_length 0
		.amdhsa_user_sgpr_kernarg_preload_offset 0
		.amdhsa_user_sgpr_private_segment_size 0
		.amdhsa_uses_dynamic_stack 0
		.amdhsa_system_sgpr_private_segment_wavefront_offset 0
		.amdhsa_system_sgpr_workgroup_id_x 1
		.amdhsa_system_sgpr_workgroup_id_y 0
		.amdhsa_system_sgpr_workgroup_id_z 0
		.amdhsa_system_sgpr_workgroup_info 0
		.amdhsa_system_vgpr_workitem_id 0
		.amdhsa_next_free_vgpr 1
		.amdhsa_next_free_sgpr 0
		.amdhsa_accum_offset 4
		.amdhsa_reserve_vcc 0
		.amdhsa_reserve_flat_scratch 0
		.amdhsa_float_round_mode_32 0
		.amdhsa_float_round_mode_16_64 0
		.amdhsa_float_denorm_mode_32 3
		.amdhsa_float_denorm_mode_16_64 3
		.amdhsa_dx10_clamp 1
		.amdhsa_ieee_mode 1
		.amdhsa_fp16_overflow 0
		.amdhsa_tg_split 0
		.amdhsa_exception_fp_ieee_invalid_op 0
		.amdhsa_exception_fp_denorm_src 0
		.amdhsa_exception_fp_ieee_div_zero 0
		.amdhsa_exception_fp_ieee_overflow 0
		.amdhsa_exception_fp_ieee_underflow 0
		.amdhsa_exception_fp_ieee_inexact 0
		.amdhsa_exception_int_div_zero 0
	.end_amdhsa_kernel
	.section	.text._ZN7rocprim17ROCPRIM_400000_NS6detail17trampoline_kernelINS0_14default_configENS1_35radix_sort_onesweep_config_selectorIslEEZZNS1_29radix_sort_onesweep_iterationIS3_Lb0EPsS7_N6thrust23THRUST_200600_302600_NS10device_ptrIlEESB_jNS0_19identity_decomposerENS1_16block_id_wrapperIjLb0EEEEE10hipError_tT1_PNSt15iterator_traitsISG_E10value_typeET2_T3_PNSH_ISM_E10value_typeET4_T5_PSR_SS_PNS1_23onesweep_lookback_stateEbbT6_jjT7_P12ihipStream_tbENKUlT_T0_SG_SL_E_clIS7_S7_PlSB_EEDaSZ_S10_SG_SL_EUlSZ_E_NS1_11comp_targetILNS1_3genE3ELNS1_11target_archE908ELNS1_3gpuE7ELNS1_3repE0EEENS1_47radix_sort_onesweep_sort_config_static_selectorELNS0_4arch9wavefront6targetE1EEEvSG_,"axG",@progbits,_ZN7rocprim17ROCPRIM_400000_NS6detail17trampoline_kernelINS0_14default_configENS1_35radix_sort_onesweep_config_selectorIslEEZZNS1_29radix_sort_onesweep_iterationIS3_Lb0EPsS7_N6thrust23THRUST_200600_302600_NS10device_ptrIlEESB_jNS0_19identity_decomposerENS1_16block_id_wrapperIjLb0EEEEE10hipError_tT1_PNSt15iterator_traitsISG_E10value_typeET2_T3_PNSH_ISM_E10value_typeET4_T5_PSR_SS_PNS1_23onesweep_lookback_stateEbbT6_jjT7_P12ihipStream_tbENKUlT_T0_SG_SL_E_clIS7_S7_PlSB_EEDaSZ_S10_SG_SL_EUlSZ_E_NS1_11comp_targetILNS1_3genE3ELNS1_11target_archE908ELNS1_3gpuE7ELNS1_3repE0EEENS1_47radix_sort_onesweep_sort_config_static_selectorELNS0_4arch9wavefront6targetE1EEEvSG_,comdat
.Lfunc_end1448:
	.size	_ZN7rocprim17ROCPRIM_400000_NS6detail17trampoline_kernelINS0_14default_configENS1_35radix_sort_onesweep_config_selectorIslEEZZNS1_29radix_sort_onesweep_iterationIS3_Lb0EPsS7_N6thrust23THRUST_200600_302600_NS10device_ptrIlEESB_jNS0_19identity_decomposerENS1_16block_id_wrapperIjLb0EEEEE10hipError_tT1_PNSt15iterator_traitsISG_E10value_typeET2_T3_PNSH_ISM_E10value_typeET4_T5_PSR_SS_PNS1_23onesweep_lookback_stateEbbT6_jjT7_P12ihipStream_tbENKUlT_T0_SG_SL_E_clIS7_S7_PlSB_EEDaSZ_S10_SG_SL_EUlSZ_E_NS1_11comp_targetILNS1_3genE3ELNS1_11target_archE908ELNS1_3gpuE7ELNS1_3repE0EEENS1_47radix_sort_onesweep_sort_config_static_selectorELNS0_4arch9wavefront6targetE1EEEvSG_, .Lfunc_end1448-_ZN7rocprim17ROCPRIM_400000_NS6detail17trampoline_kernelINS0_14default_configENS1_35radix_sort_onesweep_config_selectorIslEEZZNS1_29radix_sort_onesweep_iterationIS3_Lb0EPsS7_N6thrust23THRUST_200600_302600_NS10device_ptrIlEESB_jNS0_19identity_decomposerENS1_16block_id_wrapperIjLb0EEEEE10hipError_tT1_PNSt15iterator_traitsISG_E10value_typeET2_T3_PNSH_ISM_E10value_typeET4_T5_PSR_SS_PNS1_23onesweep_lookback_stateEbbT6_jjT7_P12ihipStream_tbENKUlT_T0_SG_SL_E_clIS7_S7_PlSB_EEDaSZ_S10_SG_SL_EUlSZ_E_NS1_11comp_targetILNS1_3genE3ELNS1_11target_archE908ELNS1_3gpuE7ELNS1_3repE0EEENS1_47radix_sort_onesweep_sort_config_static_selectorELNS0_4arch9wavefront6targetE1EEEvSG_
                                        ; -- End function
	.section	.AMDGPU.csdata,"",@progbits
; Kernel info:
; codeLenInByte = 0
; NumSgprs: 4
; NumVgprs: 0
; NumAgprs: 0
; TotalNumVgprs: 0
; ScratchSize: 0
; MemoryBound: 0
; FloatMode: 240
; IeeeMode: 1
; LDSByteSize: 0 bytes/workgroup (compile time only)
; SGPRBlocks: 0
; VGPRBlocks: 0
; NumSGPRsForWavesPerEU: 4
; NumVGPRsForWavesPerEU: 1
; AccumOffset: 4
; Occupancy: 8
; WaveLimiterHint : 0
; COMPUTE_PGM_RSRC2:SCRATCH_EN: 0
; COMPUTE_PGM_RSRC2:USER_SGPR: 6
; COMPUTE_PGM_RSRC2:TRAP_HANDLER: 0
; COMPUTE_PGM_RSRC2:TGID_X_EN: 1
; COMPUTE_PGM_RSRC2:TGID_Y_EN: 0
; COMPUTE_PGM_RSRC2:TGID_Z_EN: 0
; COMPUTE_PGM_RSRC2:TIDIG_COMP_CNT: 0
; COMPUTE_PGM_RSRC3_GFX90A:ACCUM_OFFSET: 0
; COMPUTE_PGM_RSRC3_GFX90A:TG_SPLIT: 0
	.section	.text._ZN7rocprim17ROCPRIM_400000_NS6detail17trampoline_kernelINS0_14default_configENS1_35radix_sort_onesweep_config_selectorIslEEZZNS1_29radix_sort_onesweep_iterationIS3_Lb0EPsS7_N6thrust23THRUST_200600_302600_NS10device_ptrIlEESB_jNS0_19identity_decomposerENS1_16block_id_wrapperIjLb0EEEEE10hipError_tT1_PNSt15iterator_traitsISG_E10value_typeET2_T3_PNSH_ISM_E10value_typeET4_T5_PSR_SS_PNS1_23onesweep_lookback_stateEbbT6_jjT7_P12ihipStream_tbENKUlT_T0_SG_SL_E_clIS7_S7_PlSB_EEDaSZ_S10_SG_SL_EUlSZ_E_NS1_11comp_targetILNS1_3genE10ELNS1_11target_archE1201ELNS1_3gpuE5ELNS1_3repE0EEENS1_47radix_sort_onesweep_sort_config_static_selectorELNS0_4arch9wavefront6targetE1EEEvSG_,"axG",@progbits,_ZN7rocprim17ROCPRIM_400000_NS6detail17trampoline_kernelINS0_14default_configENS1_35radix_sort_onesweep_config_selectorIslEEZZNS1_29radix_sort_onesweep_iterationIS3_Lb0EPsS7_N6thrust23THRUST_200600_302600_NS10device_ptrIlEESB_jNS0_19identity_decomposerENS1_16block_id_wrapperIjLb0EEEEE10hipError_tT1_PNSt15iterator_traitsISG_E10value_typeET2_T3_PNSH_ISM_E10value_typeET4_T5_PSR_SS_PNS1_23onesweep_lookback_stateEbbT6_jjT7_P12ihipStream_tbENKUlT_T0_SG_SL_E_clIS7_S7_PlSB_EEDaSZ_S10_SG_SL_EUlSZ_E_NS1_11comp_targetILNS1_3genE10ELNS1_11target_archE1201ELNS1_3gpuE5ELNS1_3repE0EEENS1_47radix_sort_onesweep_sort_config_static_selectorELNS0_4arch9wavefront6targetE1EEEvSG_,comdat
	.protected	_ZN7rocprim17ROCPRIM_400000_NS6detail17trampoline_kernelINS0_14default_configENS1_35radix_sort_onesweep_config_selectorIslEEZZNS1_29radix_sort_onesweep_iterationIS3_Lb0EPsS7_N6thrust23THRUST_200600_302600_NS10device_ptrIlEESB_jNS0_19identity_decomposerENS1_16block_id_wrapperIjLb0EEEEE10hipError_tT1_PNSt15iterator_traitsISG_E10value_typeET2_T3_PNSH_ISM_E10value_typeET4_T5_PSR_SS_PNS1_23onesweep_lookback_stateEbbT6_jjT7_P12ihipStream_tbENKUlT_T0_SG_SL_E_clIS7_S7_PlSB_EEDaSZ_S10_SG_SL_EUlSZ_E_NS1_11comp_targetILNS1_3genE10ELNS1_11target_archE1201ELNS1_3gpuE5ELNS1_3repE0EEENS1_47radix_sort_onesweep_sort_config_static_selectorELNS0_4arch9wavefront6targetE1EEEvSG_ ; -- Begin function _ZN7rocprim17ROCPRIM_400000_NS6detail17trampoline_kernelINS0_14default_configENS1_35radix_sort_onesweep_config_selectorIslEEZZNS1_29radix_sort_onesweep_iterationIS3_Lb0EPsS7_N6thrust23THRUST_200600_302600_NS10device_ptrIlEESB_jNS0_19identity_decomposerENS1_16block_id_wrapperIjLb0EEEEE10hipError_tT1_PNSt15iterator_traitsISG_E10value_typeET2_T3_PNSH_ISM_E10value_typeET4_T5_PSR_SS_PNS1_23onesweep_lookback_stateEbbT6_jjT7_P12ihipStream_tbENKUlT_T0_SG_SL_E_clIS7_S7_PlSB_EEDaSZ_S10_SG_SL_EUlSZ_E_NS1_11comp_targetILNS1_3genE10ELNS1_11target_archE1201ELNS1_3gpuE5ELNS1_3repE0EEENS1_47radix_sort_onesweep_sort_config_static_selectorELNS0_4arch9wavefront6targetE1EEEvSG_
	.globl	_ZN7rocprim17ROCPRIM_400000_NS6detail17trampoline_kernelINS0_14default_configENS1_35radix_sort_onesweep_config_selectorIslEEZZNS1_29radix_sort_onesweep_iterationIS3_Lb0EPsS7_N6thrust23THRUST_200600_302600_NS10device_ptrIlEESB_jNS0_19identity_decomposerENS1_16block_id_wrapperIjLb0EEEEE10hipError_tT1_PNSt15iterator_traitsISG_E10value_typeET2_T3_PNSH_ISM_E10value_typeET4_T5_PSR_SS_PNS1_23onesweep_lookback_stateEbbT6_jjT7_P12ihipStream_tbENKUlT_T0_SG_SL_E_clIS7_S7_PlSB_EEDaSZ_S10_SG_SL_EUlSZ_E_NS1_11comp_targetILNS1_3genE10ELNS1_11target_archE1201ELNS1_3gpuE5ELNS1_3repE0EEENS1_47radix_sort_onesweep_sort_config_static_selectorELNS0_4arch9wavefront6targetE1EEEvSG_
	.p2align	8
	.type	_ZN7rocprim17ROCPRIM_400000_NS6detail17trampoline_kernelINS0_14default_configENS1_35radix_sort_onesweep_config_selectorIslEEZZNS1_29radix_sort_onesweep_iterationIS3_Lb0EPsS7_N6thrust23THRUST_200600_302600_NS10device_ptrIlEESB_jNS0_19identity_decomposerENS1_16block_id_wrapperIjLb0EEEEE10hipError_tT1_PNSt15iterator_traitsISG_E10value_typeET2_T3_PNSH_ISM_E10value_typeET4_T5_PSR_SS_PNS1_23onesweep_lookback_stateEbbT6_jjT7_P12ihipStream_tbENKUlT_T0_SG_SL_E_clIS7_S7_PlSB_EEDaSZ_S10_SG_SL_EUlSZ_E_NS1_11comp_targetILNS1_3genE10ELNS1_11target_archE1201ELNS1_3gpuE5ELNS1_3repE0EEENS1_47radix_sort_onesweep_sort_config_static_selectorELNS0_4arch9wavefront6targetE1EEEvSG_,@function
_ZN7rocprim17ROCPRIM_400000_NS6detail17trampoline_kernelINS0_14default_configENS1_35radix_sort_onesweep_config_selectorIslEEZZNS1_29radix_sort_onesweep_iterationIS3_Lb0EPsS7_N6thrust23THRUST_200600_302600_NS10device_ptrIlEESB_jNS0_19identity_decomposerENS1_16block_id_wrapperIjLb0EEEEE10hipError_tT1_PNSt15iterator_traitsISG_E10value_typeET2_T3_PNSH_ISM_E10value_typeET4_T5_PSR_SS_PNS1_23onesweep_lookback_stateEbbT6_jjT7_P12ihipStream_tbENKUlT_T0_SG_SL_E_clIS7_S7_PlSB_EEDaSZ_S10_SG_SL_EUlSZ_E_NS1_11comp_targetILNS1_3genE10ELNS1_11target_archE1201ELNS1_3gpuE5ELNS1_3repE0EEENS1_47radix_sort_onesweep_sort_config_static_selectorELNS0_4arch9wavefront6targetE1EEEvSG_: ; @_ZN7rocprim17ROCPRIM_400000_NS6detail17trampoline_kernelINS0_14default_configENS1_35radix_sort_onesweep_config_selectorIslEEZZNS1_29radix_sort_onesweep_iterationIS3_Lb0EPsS7_N6thrust23THRUST_200600_302600_NS10device_ptrIlEESB_jNS0_19identity_decomposerENS1_16block_id_wrapperIjLb0EEEEE10hipError_tT1_PNSt15iterator_traitsISG_E10value_typeET2_T3_PNSH_ISM_E10value_typeET4_T5_PSR_SS_PNS1_23onesweep_lookback_stateEbbT6_jjT7_P12ihipStream_tbENKUlT_T0_SG_SL_E_clIS7_S7_PlSB_EEDaSZ_S10_SG_SL_EUlSZ_E_NS1_11comp_targetILNS1_3genE10ELNS1_11target_archE1201ELNS1_3gpuE5ELNS1_3repE0EEENS1_47radix_sort_onesweep_sort_config_static_selectorELNS0_4arch9wavefront6targetE1EEEvSG_
; %bb.0:
	.section	.rodata,"a",@progbits
	.p2align	6, 0x0
	.amdhsa_kernel _ZN7rocprim17ROCPRIM_400000_NS6detail17trampoline_kernelINS0_14default_configENS1_35radix_sort_onesweep_config_selectorIslEEZZNS1_29radix_sort_onesweep_iterationIS3_Lb0EPsS7_N6thrust23THRUST_200600_302600_NS10device_ptrIlEESB_jNS0_19identity_decomposerENS1_16block_id_wrapperIjLb0EEEEE10hipError_tT1_PNSt15iterator_traitsISG_E10value_typeET2_T3_PNSH_ISM_E10value_typeET4_T5_PSR_SS_PNS1_23onesweep_lookback_stateEbbT6_jjT7_P12ihipStream_tbENKUlT_T0_SG_SL_E_clIS7_S7_PlSB_EEDaSZ_S10_SG_SL_EUlSZ_E_NS1_11comp_targetILNS1_3genE10ELNS1_11target_archE1201ELNS1_3gpuE5ELNS1_3repE0EEENS1_47radix_sort_onesweep_sort_config_static_selectorELNS0_4arch9wavefront6targetE1EEEvSG_
		.amdhsa_group_segment_fixed_size 0
		.amdhsa_private_segment_fixed_size 0
		.amdhsa_kernarg_size 88
		.amdhsa_user_sgpr_count 6
		.amdhsa_user_sgpr_private_segment_buffer 1
		.amdhsa_user_sgpr_dispatch_ptr 0
		.amdhsa_user_sgpr_queue_ptr 0
		.amdhsa_user_sgpr_kernarg_segment_ptr 1
		.amdhsa_user_sgpr_dispatch_id 0
		.amdhsa_user_sgpr_flat_scratch_init 0
		.amdhsa_user_sgpr_kernarg_preload_length 0
		.amdhsa_user_sgpr_kernarg_preload_offset 0
		.amdhsa_user_sgpr_private_segment_size 0
		.amdhsa_uses_dynamic_stack 0
		.amdhsa_system_sgpr_private_segment_wavefront_offset 0
		.amdhsa_system_sgpr_workgroup_id_x 1
		.amdhsa_system_sgpr_workgroup_id_y 0
		.amdhsa_system_sgpr_workgroup_id_z 0
		.amdhsa_system_sgpr_workgroup_info 0
		.amdhsa_system_vgpr_workitem_id 0
		.amdhsa_next_free_vgpr 1
		.amdhsa_next_free_sgpr 0
		.amdhsa_accum_offset 4
		.amdhsa_reserve_vcc 0
		.amdhsa_reserve_flat_scratch 0
		.amdhsa_float_round_mode_32 0
		.amdhsa_float_round_mode_16_64 0
		.amdhsa_float_denorm_mode_32 3
		.amdhsa_float_denorm_mode_16_64 3
		.amdhsa_dx10_clamp 1
		.amdhsa_ieee_mode 1
		.amdhsa_fp16_overflow 0
		.amdhsa_tg_split 0
		.amdhsa_exception_fp_ieee_invalid_op 0
		.amdhsa_exception_fp_denorm_src 0
		.amdhsa_exception_fp_ieee_div_zero 0
		.amdhsa_exception_fp_ieee_overflow 0
		.amdhsa_exception_fp_ieee_underflow 0
		.amdhsa_exception_fp_ieee_inexact 0
		.amdhsa_exception_int_div_zero 0
	.end_amdhsa_kernel
	.section	.text._ZN7rocprim17ROCPRIM_400000_NS6detail17trampoline_kernelINS0_14default_configENS1_35radix_sort_onesweep_config_selectorIslEEZZNS1_29radix_sort_onesweep_iterationIS3_Lb0EPsS7_N6thrust23THRUST_200600_302600_NS10device_ptrIlEESB_jNS0_19identity_decomposerENS1_16block_id_wrapperIjLb0EEEEE10hipError_tT1_PNSt15iterator_traitsISG_E10value_typeET2_T3_PNSH_ISM_E10value_typeET4_T5_PSR_SS_PNS1_23onesweep_lookback_stateEbbT6_jjT7_P12ihipStream_tbENKUlT_T0_SG_SL_E_clIS7_S7_PlSB_EEDaSZ_S10_SG_SL_EUlSZ_E_NS1_11comp_targetILNS1_3genE10ELNS1_11target_archE1201ELNS1_3gpuE5ELNS1_3repE0EEENS1_47radix_sort_onesweep_sort_config_static_selectorELNS0_4arch9wavefront6targetE1EEEvSG_,"axG",@progbits,_ZN7rocprim17ROCPRIM_400000_NS6detail17trampoline_kernelINS0_14default_configENS1_35radix_sort_onesweep_config_selectorIslEEZZNS1_29radix_sort_onesweep_iterationIS3_Lb0EPsS7_N6thrust23THRUST_200600_302600_NS10device_ptrIlEESB_jNS0_19identity_decomposerENS1_16block_id_wrapperIjLb0EEEEE10hipError_tT1_PNSt15iterator_traitsISG_E10value_typeET2_T3_PNSH_ISM_E10value_typeET4_T5_PSR_SS_PNS1_23onesweep_lookback_stateEbbT6_jjT7_P12ihipStream_tbENKUlT_T0_SG_SL_E_clIS7_S7_PlSB_EEDaSZ_S10_SG_SL_EUlSZ_E_NS1_11comp_targetILNS1_3genE10ELNS1_11target_archE1201ELNS1_3gpuE5ELNS1_3repE0EEENS1_47radix_sort_onesweep_sort_config_static_selectorELNS0_4arch9wavefront6targetE1EEEvSG_,comdat
.Lfunc_end1449:
	.size	_ZN7rocprim17ROCPRIM_400000_NS6detail17trampoline_kernelINS0_14default_configENS1_35radix_sort_onesweep_config_selectorIslEEZZNS1_29radix_sort_onesweep_iterationIS3_Lb0EPsS7_N6thrust23THRUST_200600_302600_NS10device_ptrIlEESB_jNS0_19identity_decomposerENS1_16block_id_wrapperIjLb0EEEEE10hipError_tT1_PNSt15iterator_traitsISG_E10value_typeET2_T3_PNSH_ISM_E10value_typeET4_T5_PSR_SS_PNS1_23onesweep_lookback_stateEbbT6_jjT7_P12ihipStream_tbENKUlT_T0_SG_SL_E_clIS7_S7_PlSB_EEDaSZ_S10_SG_SL_EUlSZ_E_NS1_11comp_targetILNS1_3genE10ELNS1_11target_archE1201ELNS1_3gpuE5ELNS1_3repE0EEENS1_47radix_sort_onesweep_sort_config_static_selectorELNS0_4arch9wavefront6targetE1EEEvSG_, .Lfunc_end1449-_ZN7rocprim17ROCPRIM_400000_NS6detail17trampoline_kernelINS0_14default_configENS1_35radix_sort_onesweep_config_selectorIslEEZZNS1_29radix_sort_onesweep_iterationIS3_Lb0EPsS7_N6thrust23THRUST_200600_302600_NS10device_ptrIlEESB_jNS0_19identity_decomposerENS1_16block_id_wrapperIjLb0EEEEE10hipError_tT1_PNSt15iterator_traitsISG_E10value_typeET2_T3_PNSH_ISM_E10value_typeET4_T5_PSR_SS_PNS1_23onesweep_lookback_stateEbbT6_jjT7_P12ihipStream_tbENKUlT_T0_SG_SL_E_clIS7_S7_PlSB_EEDaSZ_S10_SG_SL_EUlSZ_E_NS1_11comp_targetILNS1_3genE10ELNS1_11target_archE1201ELNS1_3gpuE5ELNS1_3repE0EEENS1_47radix_sort_onesweep_sort_config_static_selectorELNS0_4arch9wavefront6targetE1EEEvSG_
                                        ; -- End function
	.section	.AMDGPU.csdata,"",@progbits
; Kernel info:
; codeLenInByte = 0
; NumSgprs: 4
; NumVgprs: 0
; NumAgprs: 0
; TotalNumVgprs: 0
; ScratchSize: 0
; MemoryBound: 0
; FloatMode: 240
; IeeeMode: 1
; LDSByteSize: 0 bytes/workgroup (compile time only)
; SGPRBlocks: 0
; VGPRBlocks: 0
; NumSGPRsForWavesPerEU: 4
; NumVGPRsForWavesPerEU: 1
; AccumOffset: 4
; Occupancy: 8
; WaveLimiterHint : 0
; COMPUTE_PGM_RSRC2:SCRATCH_EN: 0
; COMPUTE_PGM_RSRC2:USER_SGPR: 6
; COMPUTE_PGM_RSRC2:TRAP_HANDLER: 0
; COMPUTE_PGM_RSRC2:TGID_X_EN: 1
; COMPUTE_PGM_RSRC2:TGID_Y_EN: 0
; COMPUTE_PGM_RSRC2:TGID_Z_EN: 0
; COMPUTE_PGM_RSRC2:TIDIG_COMP_CNT: 0
; COMPUTE_PGM_RSRC3_GFX90A:ACCUM_OFFSET: 0
; COMPUTE_PGM_RSRC3_GFX90A:TG_SPLIT: 0
	.section	.text._ZN7rocprim17ROCPRIM_400000_NS6detail17trampoline_kernelINS0_14default_configENS1_35radix_sort_onesweep_config_selectorIslEEZZNS1_29radix_sort_onesweep_iterationIS3_Lb0EPsS7_N6thrust23THRUST_200600_302600_NS10device_ptrIlEESB_jNS0_19identity_decomposerENS1_16block_id_wrapperIjLb0EEEEE10hipError_tT1_PNSt15iterator_traitsISG_E10value_typeET2_T3_PNSH_ISM_E10value_typeET4_T5_PSR_SS_PNS1_23onesweep_lookback_stateEbbT6_jjT7_P12ihipStream_tbENKUlT_T0_SG_SL_E_clIS7_S7_PlSB_EEDaSZ_S10_SG_SL_EUlSZ_E_NS1_11comp_targetILNS1_3genE9ELNS1_11target_archE1100ELNS1_3gpuE3ELNS1_3repE0EEENS1_47radix_sort_onesweep_sort_config_static_selectorELNS0_4arch9wavefront6targetE1EEEvSG_,"axG",@progbits,_ZN7rocprim17ROCPRIM_400000_NS6detail17trampoline_kernelINS0_14default_configENS1_35radix_sort_onesweep_config_selectorIslEEZZNS1_29radix_sort_onesweep_iterationIS3_Lb0EPsS7_N6thrust23THRUST_200600_302600_NS10device_ptrIlEESB_jNS0_19identity_decomposerENS1_16block_id_wrapperIjLb0EEEEE10hipError_tT1_PNSt15iterator_traitsISG_E10value_typeET2_T3_PNSH_ISM_E10value_typeET4_T5_PSR_SS_PNS1_23onesweep_lookback_stateEbbT6_jjT7_P12ihipStream_tbENKUlT_T0_SG_SL_E_clIS7_S7_PlSB_EEDaSZ_S10_SG_SL_EUlSZ_E_NS1_11comp_targetILNS1_3genE9ELNS1_11target_archE1100ELNS1_3gpuE3ELNS1_3repE0EEENS1_47radix_sort_onesweep_sort_config_static_selectorELNS0_4arch9wavefront6targetE1EEEvSG_,comdat
	.protected	_ZN7rocprim17ROCPRIM_400000_NS6detail17trampoline_kernelINS0_14default_configENS1_35radix_sort_onesweep_config_selectorIslEEZZNS1_29radix_sort_onesweep_iterationIS3_Lb0EPsS7_N6thrust23THRUST_200600_302600_NS10device_ptrIlEESB_jNS0_19identity_decomposerENS1_16block_id_wrapperIjLb0EEEEE10hipError_tT1_PNSt15iterator_traitsISG_E10value_typeET2_T3_PNSH_ISM_E10value_typeET4_T5_PSR_SS_PNS1_23onesweep_lookback_stateEbbT6_jjT7_P12ihipStream_tbENKUlT_T0_SG_SL_E_clIS7_S7_PlSB_EEDaSZ_S10_SG_SL_EUlSZ_E_NS1_11comp_targetILNS1_3genE9ELNS1_11target_archE1100ELNS1_3gpuE3ELNS1_3repE0EEENS1_47radix_sort_onesweep_sort_config_static_selectorELNS0_4arch9wavefront6targetE1EEEvSG_ ; -- Begin function _ZN7rocprim17ROCPRIM_400000_NS6detail17trampoline_kernelINS0_14default_configENS1_35radix_sort_onesweep_config_selectorIslEEZZNS1_29radix_sort_onesweep_iterationIS3_Lb0EPsS7_N6thrust23THRUST_200600_302600_NS10device_ptrIlEESB_jNS0_19identity_decomposerENS1_16block_id_wrapperIjLb0EEEEE10hipError_tT1_PNSt15iterator_traitsISG_E10value_typeET2_T3_PNSH_ISM_E10value_typeET4_T5_PSR_SS_PNS1_23onesweep_lookback_stateEbbT6_jjT7_P12ihipStream_tbENKUlT_T0_SG_SL_E_clIS7_S7_PlSB_EEDaSZ_S10_SG_SL_EUlSZ_E_NS1_11comp_targetILNS1_3genE9ELNS1_11target_archE1100ELNS1_3gpuE3ELNS1_3repE0EEENS1_47radix_sort_onesweep_sort_config_static_selectorELNS0_4arch9wavefront6targetE1EEEvSG_
	.globl	_ZN7rocprim17ROCPRIM_400000_NS6detail17trampoline_kernelINS0_14default_configENS1_35radix_sort_onesweep_config_selectorIslEEZZNS1_29radix_sort_onesweep_iterationIS3_Lb0EPsS7_N6thrust23THRUST_200600_302600_NS10device_ptrIlEESB_jNS0_19identity_decomposerENS1_16block_id_wrapperIjLb0EEEEE10hipError_tT1_PNSt15iterator_traitsISG_E10value_typeET2_T3_PNSH_ISM_E10value_typeET4_T5_PSR_SS_PNS1_23onesweep_lookback_stateEbbT6_jjT7_P12ihipStream_tbENKUlT_T0_SG_SL_E_clIS7_S7_PlSB_EEDaSZ_S10_SG_SL_EUlSZ_E_NS1_11comp_targetILNS1_3genE9ELNS1_11target_archE1100ELNS1_3gpuE3ELNS1_3repE0EEENS1_47radix_sort_onesweep_sort_config_static_selectorELNS0_4arch9wavefront6targetE1EEEvSG_
	.p2align	8
	.type	_ZN7rocprim17ROCPRIM_400000_NS6detail17trampoline_kernelINS0_14default_configENS1_35radix_sort_onesweep_config_selectorIslEEZZNS1_29radix_sort_onesweep_iterationIS3_Lb0EPsS7_N6thrust23THRUST_200600_302600_NS10device_ptrIlEESB_jNS0_19identity_decomposerENS1_16block_id_wrapperIjLb0EEEEE10hipError_tT1_PNSt15iterator_traitsISG_E10value_typeET2_T3_PNSH_ISM_E10value_typeET4_T5_PSR_SS_PNS1_23onesweep_lookback_stateEbbT6_jjT7_P12ihipStream_tbENKUlT_T0_SG_SL_E_clIS7_S7_PlSB_EEDaSZ_S10_SG_SL_EUlSZ_E_NS1_11comp_targetILNS1_3genE9ELNS1_11target_archE1100ELNS1_3gpuE3ELNS1_3repE0EEENS1_47radix_sort_onesweep_sort_config_static_selectorELNS0_4arch9wavefront6targetE1EEEvSG_,@function
_ZN7rocprim17ROCPRIM_400000_NS6detail17trampoline_kernelINS0_14default_configENS1_35radix_sort_onesweep_config_selectorIslEEZZNS1_29radix_sort_onesweep_iterationIS3_Lb0EPsS7_N6thrust23THRUST_200600_302600_NS10device_ptrIlEESB_jNS0_19identity_decomposerENS1_16block_id_wrapperIjLb0EEEEE10hipError_tT1_PNSt15iterator_traitsISG_E10value_typeET2_T3_PNSH_ISM_E10value_typeET4_T5_PSR_SS_PNS1_23onesweep_lookback_stateEbbT6_jjT7_P12ihipStream_tbENKUlT_T0_SG_SL_E_clIS7_S7_PlSB_EEDaSZ_S10_SG_SL_EUlSZ_E_NS1_11comp_targetILNS1_3genE9ELNS1_11target_archE1100ELNS1_3gpuE3ELNS1_3repE0EEENS1_47radix_sort_onesweep_sort_config_static_selectorELNS0_4arch9wavefront6targetE1EEEvSG_: ; @_ZN7rocprim17ROCPRIM_400000_NS6detail17trampoline_kernelINS0_14default_configENS1_35radix_sort_onesweep_config_selectorIslEEZZNS1_29radix_sort_onesweep_iterationIS3_Lb0EPsS7_N6thrust23THRUST_200600_302600_NS10device_ptrIlEESB_jNS0_19identity_decomposerENS1_16block_id_wrapperIjLb0EEEEE10hipError_tT1_PNSt15iterator_traitsISG_E10value_typeET2_T3_PNSH_ISM_E10value_typeET4_T5_PSR_SS_PNS1_23onesweep_lookback_stateEbbT6_jjT7_P12ihipStream_tbENKUlT_T0_SG_SL_E_clIS7_S7_PlSB_EEDaSZ_S10_SG_SL_EUlSZ_E_NS1_11comp_targetILNS1_3genE9ELNS1_11target_archE1100ELNS1_3gpuE3ELNS1_3repE0EEENS1_47radix_sort_onesweep_sort_config_static_selectorELNS0_4arch9wavefront6targetE1EEEvSG_
; %bb.0:
	.section	.rodata,"a",@progbits
	.p2align	6, 0x0
	.amdhsa_kernel _ZN7rocprim17ROCPRIM_400000_NS6detail17trampoline_kernelINS0_14default_configENS1_35radix_sort_onesweep_config_selectorIslEEZZNS1_29radix_sort_onesweep_iterationIS3_Lb0EPsS7_N6thrust23THRUST_200600_302600_NS10device_ptrIlEESB_jNS0_19identity_decomposerENS1_16block_id_wrapperIjLb0EEEEE10hipError_tT1_PNSt15iterator_traitsISG_E10value_typeET2_T3_PNSH_ISM_E10value_typeET4_T5_PSR_SS_PNS1_23onesweep_lookback_stateEbbT6_jjT7_P12ihipStream_tbENKUlT_T0_SG_SL_E_clIS7_S7_PlSB_EEDaSZ_S10_SG_SL_EUlSZ_E_NS1_11comp_targetILNS1_3genE9ELNS1_11target_archE1100ELNS1_3gpuE3ELNS1_3repE0EEENS1_47radix_sort_onesweep_sort_config_static_selectorELNS0_4arch9wavefront6targetE1EEEvSG_
		.amdhsa_group_segment_fixed_size 0
		.amdhsa_private_segment_fixed_size 0
		.amdhsa_kernarg_size 88
		.amdhsa_user_sgpr_count 6
		.amdhsa_user_sgpr_private_segment_buffer 1
		.amdhsa_user_sgpr_dispatch_ptr 0
		.amdhsa_user_sgpr_queue_ptr 0
		.amdhsa_user_sgpr_kernarg_segment_ptr 1
		.amdhsa_user_sgpr_dispatch_id 0
		.amdhsa_user_sgpr_flat_scratch_init 0
		.amdhsa_user_sgpr_kernarg_preload_length 0
		.amdhsa_user_sgpr_kernarg_preload_offset 0
		.amdhsa_user_sgpr_private_segment_size 0
		.amdhsa_uses_dynamic_stack 0
		.amdhsa_system_sgpr_private_segment_wavefront_offset 0
		.amdhsa_system_sgpr_workgroup_id_x 1
		.amdhsa_system_sgpr_workgroup_id_y 0
		.amdhsa_system_sgpr_workgroup_id_z 0
		.amdhsa_system_sgpr_workgroup_info 0
		.amdhsa_system_vgpr_workitem_id 0
		.amdhsa_next_free_vgpr 1
		.amdhsa_next_free_sgpr 0
		.amdhsa_accum_offset 4
		.amdhsa_reserve_vcc 0
		.amdhsa_reserve_flat_scratch 0
		.amdhsa_float_round_mode_32 0
		.amdhsa_float_round_mode_16_64 0
		.amdhsa_float_denorm_mode_32 3
		.amdhsa_float_denorm_mode_16_64 3
		.amdhsa_dx10_clamp 1
		.amdhsa_ieee_mode 1
		.amdhsa_fp16_overflow 0
		.amdhsa_tg_split 0
		.amdhsa_exception_fp_ieee_invalid_op 0
		.amdhsa_exception_fp_denorm_src 0
		.amdhsa_exception_fp_ieee_div_zero 0
		.amdhsa_exception_fp_ieee_overflow 0
		.amdhsa_exception_fp_ieee_underflow 0
		.amdhsa_exception_fp_ieee_inexact 0
		.amdhsa_exception_int_div_zero 0
	.end_amdhsa_kernel
	.section	.text._ZN7rocprim17ROCPRIM_400000_NS6detail17trampoline_kernelINS0_14default_configENS1_35radix_sort_onesweep_config_selectorIslEEZZNS1_29radix_sort_onesweep_iterationIS3_Lb0EPsS7_N6thrust23THRUST_200600_302600_NS10device_ptrIlEESB_jNS0_19identity_decomposerENS1_16block_id_wrapperIjLb0EEEEE10hipError_tT1_PNSt15iterator_traitsISG_E10value_typeET2_T3_PNSH_ISM_E10value_typeET4_T5_PSR_SS_PNS1_23onesweep_lookback_stateEbbT6_jjT7_P12ihipStream_tbENKUlT_T0_SG_SL_E_clIS7_S7_PlSB_EEDaSZ_S10_SG_SL_EUlSZ_E_NS1_11comp_targetILNS1_3genE9ELNS1_11target_archE1100ELNS1_3gpuE3ELNS1_3repE0EEENS1_47radix_sort_onesweep_sort_config_static_selectorELNS0_4arch9wavefront6targetE1EEEvSG_,"axG",@progbits,_ZN7rocprim17ROCPRIM_400000_NS6detail17trampoline_kernelINS0_14default_configENS1_35radix_sort_onesweep_config_selectorIslEEZZNS1_29radix_sort_onesweep_iterationIS3_Lb0EPsS7_N6thrust23THRUST_200600_302600_NS10device_ptrIlEESB_jNS0_19identity_decomposerENS1_16block_id_wrapperIjLb0EEEEE10hipError_tT1_PNSt15iterator_traitsISG_E10value_typeET2_T3_PNSH_ISM_E10value_typeET4_T5_PSR_SS_PNS1_23onesweep_lookback_stateEbbT6_jjT7_P12ihipStream_tbENKUlT_T0_SG_SL_E_clIS7_S7_PlSB_EEDaSZ_S10_SG_SL_EUlSZ_E_NS1_11comp_targetILNS1_3genE9ELNS1_11target_archE1100ELNS1_3gpuE3ELNS1_3repE0EEENS1_47radix_sort_onesweep_sort_config_static_selectorELNS0_4arch9wavefront6targetE1EEEvSG_,comdat
.Lfunc_end1450:
	.size	_ZN7rocprim17ROCPRIM_400000_NS6detail17trampoline_kernelINS0_14default_configENS1_35radix_sort_onesweep_config_selectorIslEEZZNS1_29radix_sort_onesweep_iterationIS3_Lb0EPsS7_N6thrust23THRUST_200600_302600_NS10device_ptrIlEESB_jNS0_19identity_decomposerENS1_16block_id_wrapperIjLb0EEEEE10hipError_tT1_PNSt15iterator_traitsISG_E10value_typeET2_T3_PNSH_ISM_E10value_typeET4_T5_PSR_SS_PNS1_23onesweep_lookback_stateEbbT6_jjT7_P12ihipStream_tbENKUlT_T0_SG_SL_E_clIS7_S7_PlSB_EEDaSZ_S10_SG_SL_EUlSZ_E_NS1_11comp_targetILNS1_3genE9ELNS1_11target_archE1100ELNS1_3gpuE3ELNS1_3repE0EEENS1_47radix_sort_onesweep_sort_config_static_selectorELNS0_4arch9wavefront6targetE1EEEvSG_, .Lfunc_end1450-_ZN7rocprim17ROCPRIM_400000_NS6detail17trampoline_kernelINS0_14default_configENS1_35radix_sort_onesweep_config_selectorIslEEZZNS1_29radix_sort_onesweep_iterationIS3_Lb0EPsS7_N6thrust23THRUST_200600_302600_NS10device_ptrIlEESB_jNS0_19identity_decomposerENS1_16block_id_wrapperIjLb0EEEEE10hipError_tT1_PNSt15iterator_traitsISG_E10value_typeET2_T3_PNSH_ISM_E10value_typeET4_T5_PSR_SS_PNS1_23onesweep_lookback_stateEbbT6_jjT7_P12ihipStream_tbENKUlT_T0_SG_SL_E_clIS7_S7_PlSB_EEDaSZ_S10_SG_SL_EUlSZ_E_NS1_11comp_targetILNS1_3genE9ELNS1_11target_archE1100ELNS1_3gpuE3ELNS1_3repE0EEENS1_47radix_sort_onesweep_sort_config_static_selectorELNS0_4arch9wavefront6targetE1EEEvSG_
                                        ; -- End function
	.section	.AMDGPU.csdata,"",@progbits
; Kernel info:
; codeLenInByte = 0
; NumSgprs: 4
; NumVgprs: 0
; NumAgprs: 0
; TotalNumVgprs: 0
; ScratchSize: 0
; MemoryBound: 0
; FloatMode: 240
; IeeeMode: 1
; LDSByteSize: 0 bytes/workgroup (compile time only)
; SGPRBlocks: 0
; VGPRBlocks: 0
; NumSGPRsForWavesPerEU: 4
; NumVGPRsForWavesPerEU: 1
; AccumOffset: 4
; Occupancy: 8
; WaveLimiterHint : 0
; COMPUTE_PGM_RSRC2:SCRATCH_EN: 0
; COMPUTE_PGM_RSRC2:USER_SGPR: 6
; COMPUTE_PGM_RSRC2:TRAP_HANDLER: 0
; COMPUTE_PGM_RSRC2:TGID_X_EN: 1
; COMPUTE_PGM_RSRC2:TGID_Y_EN: 0
; COMPUTE_PGM_RSRC2:TGID_Z_EN: 0
; COMPUTE_PGM_RSRC2:TIDIG_COMP_CNT: 0
; COMPUTE_PGM_RSRC3_GFX90A:ACCUM_OFFSET: 0
; COMPUTE_PGM_RSRC3_GFX90A:TG_SPLIT: 0
	.section	.text._ZN7rocprim17ROCPRIM_400000_NS6detail17trampoline_kernelINS0_14default_configENS1_35radix_sort_onesweep_config_selectorIslEEZZNS1_29radix_sort_onesweep_iterationIS3_Lb0EPsS7_N6thrust23THRUST_200600_302600_NS10device_ptrIlEESB_jNS0_19identity_decomposerENS1_16block_id_wrapperIjLb0EEEEE10hipError_tT1_PNSt15iterator_traitsISG_E10value_typeET2_T3_PNSH_ISM_E10value_typeET4_T5_PSR_SS_PNS1_23onesweep_lookback_stateEbbT6_jjT7_P12ihipStream_tbENKUlT_T0_SG_SL_E_clIS7_S7_PlSB_EEDaSZ_S10_SG_SL_EUlSZ_E_NS1_11comp_targetILNS1_3genE8ELNS1_11target_archE1030ELNS1_3gpuE2ELNS1_3repE0EEENS1_47radix_sort_onesweep_sort_config_static_selectorELNS0_4arch9wavefront6targetE1EEEvSG_,"axG",@progbits,_ZN7rocprim17ROCPRIM_400000_NS6detail17trampoline_kernelINS0_14default_configENS1_35radix_sort_onesweep_config_selectorIslEEZZNS1_29radix_sort_onesweep_iterationIS3_Lb0EPsS7_N6thrust23THRUST_200600_302600_NS10device_ptrIlEESB_jNS0_19identity_decomposerENS1_16block_id_wrapperIjLb0EEEEE10hipError_tT1_PNSt15iterator_traitsISG_E10value_typeET2_T3_PNSH_ISM_E10value_typeET4_T5_PSR_SS_PNS1_23onesweep_lookback_stateEbbT6_jjT7_P12ihipStream_tbENKUlT_T0_SG_SL_E_clIS7_S7_PlSB_EEDaSZ_S10_SG_SL_EUlSZ_E_NS1_11comp_targetILNS1_3genE8ELNS1_11target_archE1030ELNS1_3gpuE2ELNS1_3repE0EEENS1_47radix_sort_onesweep_sort_config_static_selectorELNS0_4arch9wavefront6targetE1EEEvSG_,comdat
	.protected	_ZN7rocprim17ROCPRIM_400000_NS6detail17trampoline_kernelINS0_14default_configENS1_35radix_sort_onesweep_config_selectorIslEEZZNS1_29radix_sort_onesweep_iterationIS3_Lb0EPsS7_N6thrust23THRUST_200600_302600_NS10device_ptrIlEESB_jNS0_19identity_decomposerENS1_16block_id_wrapperIjLb0EEEEE10hipError_tT1_PNSt15iterator_traitsISG_E10value_typeET2_T3_PNSH_ISM_E10value_typeET4_T5_PSR_SS_PNS1_23onesweep_lookback_stateEbbT6_jjT7_P12ihipStream_tbENKUlT_T0_SG_SL_E_clIS7_S7_PlSB_EEDaSZ_S10_SG_SL_EUlSZ_E_NS1_11comp_targetILNS1_3genE8ELNS1_11target_archE1030ELNS1_3gpuE2ELNS1_3repE0EEENS1_47radix_sort_onesweep_sort_config_static_selectorELNS0_4arch9wavefront6targetE1EEEvSG_ ; -- Begin function _ZN7rocprim17ROCPRIM_400000_NS6detail17trampoline_kernelINS0_14default_configENS1_35radix_sort_onesweep_config_selectorIslEEZZNS1_29radix_sort_onesweep_iterationIS3_Lb0EPsS7_N6thrust23THRUST_200600_302600_NS10device_ptrIlEESB_jNS0_19identity_decomposerENS1_16block_id_wrapperIjLb0EEEEE10hipError_tT1_PNSt15iterator_traitsISG_E10value_typeET2_T3_PNSH_ISM_E10value_typeET4_T5_PSR_SS_PNS1_23onesweep_lookback_stateEbbT6_jjT7_P12ihipStream_tbENKUlT_T0_SG_SL_E_clIS7_S7_PlSB_EEDaSZ_S10_SG_SL_EUlSZ_E_NS1_11comp_targetILNS1_3genE8ELNS1_11target_archE1030ELNS1_3gpuE2ELNS1_3repE0EEENS1_47radix_sort_onesweep_sort_config_static_selectorELNS0_4arch9wavefront6targetE1EEEvSG_
	.globl	_ZN7rocprim17ROCPRIM_400000_NS6detail17trampoline_kernelINS0_14default_configENS1_35radix_sort_onesweep_config_selectorIslEEZZNS1_29radix_sort_onesweep_iterationIS3_Lb0EPsS7_N6thrust23THRUST_200600_302600_NS10device_ptrIlEESB_jNS0_19identity_decomposerENS1_16block_id_wrapperIjLb0EEEEE10hipError_tT1_PNSt15iterator_traitsISG_E10value_typeET2_T3_PNSH_ISM_E10value_typeET4_T5_PSR_SS_PNS1_23onesweep_lookback_stateEbbT6_jjT7_P12ihipStream_tbENKUlT_T0_SG_SL_E_clIS7_S7_PlSB_EEDaSZ_S10_SG_SL_EUlSZ_E_NS1_11comp_targetILNS1_3genE8ELNS1_11target_archE1030ELNS1_3gpuE2ELNS1_3repE0EEENS1_47radix_sort_onesweep_sort_config_static_selectorELNS0_4arch9wavefront6targetE1EEEvSG_
	.p2align	8
	.type	_ZN7rocprim17ROCPRIM_400000_NS6detail17trampoline_kernelINS0_14default_configENS1_35radix_sort_onesweep_config_selectorIslEEZZNS1_29radix_sort_onesweep_iterationIS3_Lb0EPsS7_N6thrust23THRUST_200600_302600_NS10device_ptrIlEESB_jNS0_19identity_decomposerENS1_16block_id_wrapperIjLb0EEEEE10hipError_tT1_PNSt15iterator_traitsISG_E10value_typeET2_T3_PNSH_ISM_E10value_typeET4_T5_PSR_SS_PNS1_23onesweep_lookback_stateEbbT6_jjT7_P12ihipStream_tbENKUlT_T0_SG_SL_E_clIS7_S7_PlSB_EEDaSZ_S10_SG_SL_EUlSZ_E_NS1_11comp_targetILNS1_3genE8ELNS1_11target_archE1030ELNS1_3gpuE2ELNS1_3repE0EEENS1_47radix_sort_onesweep_sort_config_static_selectorELNS0_4arch9wavefront6targetE1EEEvSG_,@function
_ZN7rocprim17ROCPRIM_400000_NS6detail17trampoline_kernelINS0_14default_configENS1_35radix_sort_onesweep_config_selectorIslEEZZNS1_29radix_sort_onesweep_iterationIS3_Lb0EPsS7_N6thrust23THRUST_200600_302600_NS10device_ptrIlEESB_jNS0_19identity_decomposerENS1_16block_id_wrapperIjLb0EEEEE10hipError_tT1_PNSt15iterator_traitsISG_E10value_typeET2_T3_PNSH_ISM_E10value_typeET4_T5_PSR_SS_PNS1_23onesweep_lookback_stateEbbT6_jjT7_P12ihipStream_tbENKUlT_T0_SG_SL_E_clIS7_S7_PlSB_EEDaSZ_S10_SG_SL_EUlSZ_E_NS1_11comp_targetILNS1_3genE8ELNS1_11target_archE1030ELNS1_3gpuE2ELNS1_3repE0EEENS1_47radix_sort_onesweep_sort_config_static_selectorELNS0_4arch9wavefront6targetE1EEEvSG_: ; @_ZN7rocprim17ROCPRIM_400000_NS6detail17trampoline_kernelINS0_14default_configENS1_35radix_sort_onesweep_config_selectorIslEEZZNS1_29radix_sort_onesweep_iterationIS3_Lb0EPsS7_N6thrust23THRUST_200600_302600_NS10device_ptrIlEESB_jNS0_19identity_decomposerENS1_16block_id_wrapperIjLb0EEEEE10hipError_tT1_PNSt15iterator_traitsISG_E10value_typeET2_T3_PNSH_ISM_E10value_typeET4_T5_PSR_SS_PNS1_23onesweep_lookback_stateEbbT6_jjT7_P12ihipStream_tbENKUlT_T0_SG_SL_E_clIS7_S7_PlSB_EEDaSZ_S10_SG_SL_EUlSZ_E_NS1_11comp_targetILNS1_3genE8ELNS1_11target_archE1030ELNS1_3gpuE2ELNS1_3repE0EEENS1_47radix_sort_onesweep_sort_config_static_selectorELNS0_4arch9wavefront6targetE1EEEvSG_
; %bb.0:
	.section	.rodata,"a",@progbits
	.p2align	6, 0x0
	.amdhsa_kernel _ZN7rocprim17ROCPRIM_400000_NS6detail17trampoline_kernelINS0_14default_configENS1_35radix_sort_onesweep_config_selectorIslEEZZNS1_29radix_sort_onesweep_iterationIS3_Lb0EPsS7_N6thrust23THRUST_200600_302600_NS10device_ptrIlEESB_jNS0_19identity_decomposerENS1_16block_id_wrapperIjLb0EEEEE10hipError_tT1_PNSt15iterator_traitsISG_E10value_typeET2_T3_PNSH_ISM_E10value_typeET4_T5_PSR_SS_PNS1_23onesweep_lookback_stateEbbT6_jjT7_P12ihipStream_tbENKUlT_T0_SG_SL_E_clIS7_S7_PlSB_EEDaSZ_S10_SG_SL_EUlSZ_E_NS1_11comp_targetILNS1_3genE8ELNS1_11target_archE1030ELNS1_3gpuE2ELNS1_3repE0EEENS1_47radix_sort_onesweep_sort_config_static_selectorELNS0_4arch9wavefront6targetE1EEEvSG_
		.amdhsa_group_segment_fixed_size 0
		.amdhsa_private_segment_fixed_size 0
		.amdhsa_kernarg_size 88
		.amdhsa_user_sgpr_count 6
		.amdhsa_user_sgpr_private_segment_buffer 1
		.amdhsa_user_sgpr_dispatch_ptr 0
		.amdhsa_user_sgpr_queue_ptr 0
		.amdhsa_user_sgpr_kernarg_segment_ptr 1
		.amdhsa_user_sgpr_dispatch_id 0
		.amdhsa_user_sgpr_flat_scratch_init 0
		.amdhsa_user_sgpr_kernarg_preload_length 0
		.amdhsa_user_sgpr_kernarg_preload_offset 0
		.amdhsa_user_sgpr_private_segment_size 0
		.amdhsa_uses_dynamic_stack 0
		.amdhsa_system_sgpr_private_segment_wavefront_offset 0
		.amdhsa_system_sgpr_workgroup_id_x 1
		.amdhsa_system_sgpr_workgroup_id_y 0
		.amdhsa_system_sgpr_workgroup_id_z 0
		.amdhsa_system_sgpr_workgroup_info 0
		.amdhsa_system_vgpr_workitem_id 0
		.amdhsa_next_free_vgpr 1
		.amdhsa_next_free_sgpr 0
		.amdhsa_accum_offset 4
		.amdhsa_reserve_vcc 0
		.amdhsa_reserve_flat_scratch 0
		.amdhsa_float_round_mode_32 0
		.amdhsa_float_round_mode_16_64 0
		.amdhsa_float_denorm_mode_32 3
		.amdhsa_float_denorm_mode_16_64 3
		.amdhsa_dx10_clamp 1
		.amdhsa_ieee_mode 1
		.amdhsa_fp16_overflow 0
		.amdhsa_tg_split 0
		.amdhsa_exception_fp_ieee_invalid_op 0
		.amdhsa_exception_fp_denorm_src 0
		.amdhsa_exception_fp_ieee_div_zero 0
		.amdhsa_exception_fp_ieee_overflow 0
		.amdhsa_exception_fp_ieee_underflow 0
		.amdhsa_exception_fp_ieee_inexact 0
		.amdhsa_exception_int_div_zero 0
	.end_amdhsa_kernel
	.section	.text._ZN7rocprim17ROCPRIM_400000_NS6detail17trampoline_kernelINS0_14default_configENS1_35radix_sort_onesweep_config_selectorIslEEZZNS1_29radix_sort_onesweep_iterationIS3_Lb0EPsS7_N6thrust23THRUST_200600_302600_NS10device_ptrIlEESB_jNS0_19identity_decomposerENS1_16block_id_wrapperIjLb0EEEEE10hipError_tT1_PNSt15iterator_traitsISG_E10value_typeET2_T3_PNSH_ISM_E10value_typeET4_T5_PSR_SS_PNS1_23onesweep_lookback_stateEbbT6_jjT7_P12ihipStream_tbENKUlT_T0_SG_SL_E_clIS7_S7_PlSB_EEDaSZ_S10_SG_SL_EUlSZ_E_NS1_11comp_targetILNS1_3genE8ELNS1_11target_archE1030ELNS1_3gpuE2ELNS1_3repE0EEENS1_47radix_sort_onesweep_sort_config_static_selectorELNS0_4arch9wavefront6targetE1EEEvSG_,"axG",@progbits,_ZN7rocprim17ROCPRIM_400000_NS6detail17trampoline_kernelINS0_14default_configENS1_35radix_sort_onesweep_config_selectorIslEEZZNS1_29radix_sort_onesweep_iterationIS3_Lb0EPsS7_N6thrust23THRUST_200600_302600_NS10device_ptrIlEESB_jNS0_19identity_decomposerENS1_16block_id_wrapperIjLb0EEEEE10hipError_tT1_PNSt15iterator_traitsISG_E10value_typeET2_T3_PNSH_ISM_E10value_typeET4_T5_PSR_SS_PNS1_23onesweep_lookback_stateEbbT6_jjT7_P12ihipStream_tbENKUlT_T0_SG_SL_E_clIS7_S7_PlSB_EEDaSZ_S10_SG_SL_EUlSZ_E_NS1_11comp_targetILNS1_3genE8ELNS1_11target_archE1030ELNS1_3gpuE2ELNS1_3repE0EEENS1_47radix_sort_onesweep_sort_config_static_selectorELNS0_4arch9wavefront6targetE1EEEvSG_,comdat
.Lfunc_end1451:
	.size	_ZN7rocprim17ROCPRIM_400000_NS6detail17trampoline_kernelINS0_14default_configENS1_35radix_sort_onesweep_config_selectorIslEEZZNS1_29radix_sort_onesweep_iterationIS3_Lb0EPsS7_N6thrust23THRUST_200600_302600_NS10device_ptrIlEESB_jNS0_19identity_decomposerENS1_16block_id_wrapperIjLb0EEEEE10hipError_tT1_PNSt15iterator_traitsISG_E10value_typeET2_T3_PNSH_ISM_E10value_typeET4_T5_PSR_SS_PNS1_23onesweep_lookback_stateEbbT6_jjT7_P12ihipStream_tbENKUlT_T0_SG_SL_E_clIS7_S7_PlSB_EEDaSZ_S10_SG_SL_EUlSZ_E_NS1_11comp_targetILNS1_3genE8ELNS1_11target_archE1030ELNS1_3gpuE2ELNS1_3repE0EEENS1_47radix_sort_onesweep_sort_config_static_selectorELNS0_4arch9wavefront6targetE1EEEvSG_, .Lfunc_end1451-_ZN7rocprim17ROCPRIM_400000_NS6detail17trampoline_kernelINS0_14default_configENS1_35radix_sort_onesweep_config_selectorIslEEZZNS1_29radix_sort_onesweep_iterationIS3_Lb0EPsS7_N6thrust23THRUST_200600_302600_NS10device_ptrIlEESB_jNS0_19identity_decomposerENS1_16block_id_wrapperIjLb0EEEEE10hipError_tT1_PNSt15iterator_traitsISG_E10value_typeET2_T3_PNSH_ISM_E10value_typeET4_T5_PSR_SS_PNS1_23onesweep_lookback_stateEbbT6_jjT7_P12ihipStream_tbENKUlT_T0_SG_SL_E_clIS7_S7_PlSB_EEDaSZ_S10_SG_SL_EUlSZ_E_NS1_11comp_targetILNS1_3genE8ELNS1_11target_archE1030ELNS1_3gpuE2ELNS1_3repE0EEENS1_47radix_sort_onesweep_sort_config_static_selectorELNS0_4arch9wavefront6targetE1EEEvSG_
                                        ; -- End function
	.section	.AMDGPU.csdata,"",@progbits
; Kernel info:
; codeLenInByte = 0
; NumSgprs: 4
; NumVgprs: 0
; NumAgprs: 0
; TotalNumVgprs: 0
; ScratchSize: 0
; MemoryBound: 0
; FloatMode: 240
; IeeeMode: 1
; LDSByteSize: 0 bytes/workgroup (compile time only)
; SGPRBlocks: 0
; VGPRBlocks: 0
; NumSGPRsForWavesPerEU: 4
; NumVGPRsForWavesPerEU: 1
; AccumOffset: 4
; Occupancy: 8
; WaveLimiterHint : 0
; COMPUTE_PGM_RSRC2:SCRATCH_EN: 0
; COMPUTE_PGM_RSRC2:USER_SGPR: 6
; COMPUTE_PGM_RSRC2:TRAP_HANDLER: 0
; COMPUTE_PGM_RSRC2:TGID_X_EN: 1
; COMPUTE_PGM_RSRC2:TGID_Y_EN: 0
; COMPUTE_PGM_RSRC2:TGID_Z_EN: 0
; COMPUTE_PGM_RSRC2:TIDIG_COMP_CNT: 0
; COMPUTE_PGM_RSRC3_GFX90A:ACCUM_OFFSET: 0
; COMPUTE_PGM_RSRC3_GFX90A:TG_SPLIT: 0
	.section	.text._ZN7rocprim17ROCPRIM_400000_NS6detail17trampoline_kernelINS0_14default_configENS1_22reduce_config_selectorIiEEZNS1_11reduce_implILb1ES3_N6thrust23THRUST_200600_302600_NS11hip_rocprim35transform_pair_of_input_iterators_tIiPsSB_NS8_12not_equal_toIsEEEEPiiNS8_4plusIiEEEE10hipError_tPvRmT1_T2_T3_mT4_P12ihipStream_tbEUlT_E0_NS1_11comp_targetILNS1_3genE0ELNS1_11target_archE4294967295ELNS1_3gpuE0ELNS1_3repE0EEENS1_30default_config_static_selectorELNS0_4arch9wavefront6targetE1EEEvSL_,"axG",@progbits,_ZN7rocprim17ROCPRIM_400000_NS6detail17trampoline_kernelINS0_14default_configENS1_22reduce_config_selectorIiEEZNS1_11reduce_implILb1ES3_N6thrust23THRUST_200600_302600_NS11hip_rocprim35transform_pair_of_input_iterators_tIiPsSB_NS8_12not_equal_toIsEEEEPiiNS8_4plusIiEEEE10hipError_tPvRmT1_T2_T3_mT4_P12ihipStream_tbEUlT_E0_NS1_11comp_targetILNS1_3genE0ELNS1_11target_archE4294967295ELNS1_3gpuE0ELNS1_3repE0EEENS1_30default_config_static_selectorELNS0_4arch9wavefront6targetE1EEEvSL_,comdat
	.protected	_ZN7rocprim17ROCPRIM_400000_NS6detail17trampoline_kernelINS0_14default_configENS1_22reduce_config_selectorIiEEZNS1_11reduce_implILb1ES3_N6thrust23THRUST_200600_302600_NS11hip_rocprim35transform_pair_of_input_iterators_tIiPsSB_NS8_12not_equal_toIsEEEEPiiNS8_4plusIiEEEE10hipError_tPvRmT1_T2_T3_mT4_P12ihipStream_tbEUlT_E0_NS1_11comp_targetILNS1_3genE0ELNS1_11target_archE4294967295ELNS1_3gpuE0ELNS1_3repE0EEENS1_30default_config_static_selectorELNS0_4arch9wavefront6targetE1EEEvSL_ ; -- Begin function _ZN7rocprim17ROCPRIM_400000_NS6detail17trampoline_kernelINS0_14default_configENS1_22reduce_config_selectorIiEEZNS1_11reduce_implILb1ES3_N6thrust23THRUST_200600_302600_NS11hip_rocprim35transform_pair_of_input_iterators_tIiPsSB_NS8_12not_equal_toIsEEEEPiiNS8_4plusIiEEEE10hipError_tPvRmT1_T2_T3_mT4_P12ihipStream_tbEUlT_E0_NS1_11comp_targetILNS1_3genE0ELNS1_11target_archE4294967295ELNS1_3gpuE0ELNS1_3repE0EEENS1_30default_config_static_selectorELNS0_4arch9wavefront6targetE1EEEvSL_
	.globl	_ZN7rocprim17ROCPRIM_400000_NS6detail17trampoline_kernelINS0_14default_configENS1_22reduce_config_selectorIiEEZNS1_11reduce_implILb1ES3_N6thrust23THRUST_200600_302600_NS11hip_rocprim35transform_pair_of_input_iterators_tIiPsSB_NS8_12not_equal_toIsEEEEPiiNS8_4plusIiEEEE10hipError_tPvRmT1_T2_T3_mT4_P12ihipStream_tbEUlT_E0_NS1_11comp_targetILNS1_3genE0ELNS1_11target_archE4294967295ELNS1_3gpuE0ELNS1_3repE0EEENS1_30default_config_static_selectorELNS0_4arch9wavefront6targetE1EEEvSL_
	.p2align	8
	.type	_ZN7rocprim17ROCPRIM_400000_NS6detail17trampoline_kernelINS0_14default_configENS1_22reduce_config_selectorIiEEZNS1_11reduce_implILb1ES3_N6thrust23THRUST_200600_302600_NS11hip_rocprim35transform_pair_of_input_iterators_tIiPsSB_NS8_12not_equal_toIsEEEEPiiNS8_4plusIiEEEE10hipError_tPvRmT1_T2_T3_mT4_P12ihipStream_tbEUlT_E0_NS1_11comp_targetILNS1_3genE0ELNS1_11target_archE4294967295ELNS1_3gpuE0ELNS1_3repE0EEENS1_30default_config_static_selectorELNS0_4arch9wavefront6targetE1EEEvSL_,@function
_ZN7rocprim17ROCPRIM_400000_NS6detail17trampoline_kernelINS0_14default_configENS1_22reduce_config_selectorIiEEZNS1_11reduce_implILb1ES3_N6thrust23THRUST_200600_302600_NS11hip_rocprim35transform_pair_of_input_iterators_tIiPsSB_NS8_12not_equal_toIsEEEEPiiNS8_4plusIiEEEE10hipError_tPvRmT1_T2_T3_mT4_P12ihipStream_tbEUlT_E0_NS1_11comp_targetILNS1_3genE0ELNS1_11target_archE4294967295ELNS1_3gpuE0ELNS1_3repE0EEENS1_30default_config_static_selectorELNS0_4arch9wavefront6targetE1EEEvSL_: ; @_ZN7rocprim17ROCPRIM_400000_NS6detail17trampoline_kernelINS0_14default_configENS1_22reduce_config_selectorIiEEZNS1_11reduce_implILb1ES3_N6thrust23THRUST_200600_302600_NS11hip_rocprim35transform_pair_of_input_iterators_tIiPsSB_NS8_12not_equal_toIsEEEEPiiNS8_4plusIiEEEE10hipError_tPvRmT1_T2_T3_mT4_P12ihipStream_tbEUlT_E0_NS1_11comp_targetILNS1_3genE0ELNS1_11target_archE4294967295ELNS1_3gpuE0ELNS1_3repE0EEENS1_30default_config_static_selectorELNS0_4arch9wavefront6targetE1EEEvSL_
; %bb.0:
	.section	.rodata,"a",@progbits
	.p2align	6, 0x0
	.amdhsa_kernel _ZN7rocprim17ROCPRIM_400000_NS6detail17trampoline_kernelINS0_14default_configENS1_22reduce_config_selectorIiEEZNS1_11reduce_implILb1ES3_N6thrust23THRUST_200600_302600_NS11hip_rocprim35transform_pair_of_input_iterators_tIiPsSB_NS8_12not_equal_toIsEEEEPiiNS8_4plusIiEEEE10hipError_tPvRmT1_T2_T3_mT4_P12ihipStream_tbEUlT_E0_NS1_11comp_targetILNS1_3genE0ELNS1_11target_archE4294967295ELNS1_3gpuE0ELNS1_3repE0EEENS1_30default_config_static_selectorELNS0_4arch9wavefront6targetE1EEEvSL_
		.amdhsa_group_segment_fixed_size 0
		.amdhsa_private_segment_fixed_size 0
		.amdhsa_kernarg_size 72
		.amdhsa_user_sgpr_count 6
		.amdhsa_user_sgpr_private_segment_buffer 1
		.amdhsa_user_sgpr_dispatch_ptr 0
		.amdhsa_user_sgpr_queue_ptr 0
		.amdhsa_user_sgpr_kernarg_segment_ptr 1
		.amdhsa_user_sgpr_dispatch_id 0
		.amdhsa_user_sgpr_flat_scratch_init 0
		.amdhsa_user_sgpr_kernarg_preload_length 0
		.amdhsa_user_sgpr_kernarg_preload_offset 0
		.amdhsa_user_sgpr_private_segment_size 0
		.amdhsa_uses_dynamic_stack 0
		.amdhsa_system_sgpr_private_segment_wavefront_offset 0
		.amdhsa_system_sgpr_workgroup_id_x 1
		.amdhsa_system_sgpr_workgroup_id_y 0
		.amdhsa_system_sgpr_workgroup_id_z 0
		.amdhsa_system_sgpr_workgroup_info 0
		.amdhsa_system_vgpr_workitem_id 0
		.amdhsa_next_free_vgpr 1
		.amdhsa_next_free_sgpr 0
		.amdhsa_accum_offset 4
		.amdhsa_reserve_vcc 0
		.amdhsa_reserve_flat_scratch 0
		.amdhsa_float_round_mode_32 0
		.amdhsa_float_round_mode_16_64 0
		.amdhsa_float_denorm_mode_32 3
		.amdhsa_float_denorm_mode_16_64 3
		.amdhsa_dx10_clamp 1
		.amdhsa_ieee_mode 1
		.amdhsa_fp16_overflow 0
		.amdhsa_tg_split 0
		.amdhsa_exception_fp_ieee_invalid_op 0
		.amdhsa_exception_fp_denorm_src 0
		.amdhsa_exception_fp_ieee_div_zero 0
		.amdhsa_exception_fp_ieee_overflow 0
		.amdhsa_exception_fp_ieee_underflow 0
		.amdhsa_exception_fp_ieee_inexact 0
		.amdhsa_exception_int_div_zero 0
	.end_amdhsa_kernel
	.section	.text._ZN7rocprim17ROCPRIM_400000_NS6detail17trampoline_kernelINS0_14default_configENS1_22reduce_config_selectorIiEEZNS1_11reduce_implILb1ES3_N6thrust23THRUST_200600_302600_NS11hip_rocprim35transform_pair_of_input_iterators_tIiPsSB_NS8_12not_equal_toIsEEEEPiiNS8_4plusIiEEEE10hipError_tPvRmT1_T2_T3_mT4_P12ihipStream_tbEUlT_E0_NS1_11comp_targetILNS1_3genE0ELNS1_11target_archE4294967295ELNS1_3gpuE0ELNS1_3repE0EEENS1_30default_config_static_selectorELNS0_4arch9wavefront6targetE1EEEvSL_,"axG",@progbits,_ZN7rocprim17ROCPRIM_400000_NS6detail17trampoline_kernelINS0_14default_configENS1_22reduce_config_selectorIiEEZNS1_11reduce_implILb1ES3_N6thrust23THRUST_200600_302600_NS11hip_rocprim35transform_pair_of_input_iterators_tIiPsSB_NS8_12not_equal_toIsEEEEPiiNS8_4plusIiEEEE10hipError_tPvRmT1_T2_T3_mT4_P12ihipStream_tbEUlT_E0_NS1_11comp_targetILNS1_3genE0ELNS1_11target_archE4294967295ELNS1_3gpuE0ELNS1_3repE0EEENS1_30default_config_static_selectorELNS0_4arch9wavefront6targetE1EEEvSL_,comdat
.Lfunc_end1452:
	.size	_ZN7rocprim17ROCPRIM_400000_NS6detail17trampoline_kernelINS0_14default_configENS1_22reduce_config_selectorIiEEZNS1_11reduce_implILb1ES3_N6thrust23THRUST_200600_302600_NS11hip_rocprim35transform_pair_of_input_iterators_tIiPsSB_NS8_12not_equal_toIsEEEEPiiNS8_4plusIiEEEE10hipError_tPvRmT1_T2_T3_mT4_P12ihipStream_tbEUlT_E0_NS1_11comp_targetILNS1_3genE0ELNS1_11target_archE4294967295ELNS1_3gpuE0ELNS1_3repE0EEENS1_30default_config_static_selectorELNS0_4arch9wavefront6targetE1EEEvSL_, .Lfunc_end1452-_ZN7rocprim17ROCPRIM_400000_NS6detail17trampoline_kernelINS0_14default_configENS1_22reduce_config_selectorIiEEZNS1_11reduce_implILb1ES3_N6thrust23THRUST_200600_302600_NS11hip_rocprim35transform_pair_of_input_iterators_tIiPsSB_NS8_12not_equal_toIsEEEEPiiNS8_4plusIiEEEE10hipError_tPvRmT1_T2_T3_mT4_P12ihipStream_tbEUlT_E0_NS1_11comp_targetILNS1_3genE0ELNS1_11target_archE4294967295ELNS1_3gpuE0ELNS1_3repE0EEENS1_30default_config_static_selectorELNS0_4arch9wavefront6targetE1EEEvSL_
                                        ; -- End function
	.section	.AMDGPU.csdata,"",@progbits
; Kernel info:
; codeLenInByte = 0
; NumSgprs: 4
; NumVgprs: 0
; NumAgprs: 0
; TotalNumVgprs: 0
; ScratchSize: 0
; MemoryBound: 0
; FloatMode: 240
; IeeeMode: 1
; LDSByteSize: 0 bytes/workgroup (compile time only)
; SGPRBlocks: 0
; VGPRBlocks: 0
; NumSGPRsForWavesPerEU: 4
; NumVGPRsForWavesPerEU: 1
; AccumOffset: 4
; Occupancy: 8
; WaveLimiterHint : 0
; COMPUTE_PGM_RSRC2:SCRATCH_EN: 0
; COMPUTE_PGM_RSRC2:USER_SGPR: 6
; COMPUTE_PGM_RSRC2:TRAP_HANDLER: 0
; COMPUTE_PGM_RSRC2:TGID_X_EN: 1
; COMPUTE_PGM_RSRC2:TGID_Y_EN: 0
; COMPUTE_PGM_RSRC2:TGID_Z_EN: 0
; COMPUTE_PGM_RSRC2:TIDIG_COMP_CNT: 0
; COMPUTE_PGM_RSRC3_GFX90A:ACCUM_OFFSET: 0
; COMPUTE_PGM_RSRC3_GFX90A:TG_SPLIT: 0
	.section	.text._ZN7rocprim17ROCPRIM_400000_NS6detail17trampoline_kernelINS0_14default_configENS1_22reduce_config_selectorIiEEZNS1_11reduce_implILb1ES3_N6thrust23THRUST_200600_302600_NS11hip_rocprim35transform_pair_of_input_iterators_tIiPsSB_NS8_12not_equal_toIsEEEEPiiNS8_4plusIiEEEE10hipError_tPvRmT1_T2_T3_mT4_P12ihipStream_tbEUlT_E0_NS1_11comp_targetILNS1_3genE5ELNS1_11target_archE942ELNS1_3gpuE9ELNS1_3repE0EEENS1_30default_config_static_selectorELNS0_4arch9wavefront6targetE1EEEvSL_,"axG",@progbits,_ZN7rocprim17ROCPRIM_400000_NS6detail17trampoline_kernelINS0_14default_configENS1_22reduce_config_selectorIiEEZNS1_11reduce_implILb1ES3_N6thrust23THRUST_200600_302600_NS11hip_rocprim35transform_pair_of_input_iterators_tIiPsSB_NS8_12not_equal_toIsEEEEPiiNS8_4plusIiEEEE10hipError_tPvRmT1_T2_T3_mT4_P12ihipStream_tbEUlT_E0_NS1_11comp_targetILNS1_3genE5ELNS1_11target_archE942ELNS1_3gpuE9ELNS1_3repE0EEENS1_30default_config_static_selectorELNS0_4arch9wavefront6targetE1EEEvSL_,comdat
	.protected	_ZN7rocprim17ROCPRIM_400000_NS6detail17trampoline_kernelINS0_14default_configENS1_22reduce_config_selectorIiEEZNS1_11reduce_implILb1ES3_N6thrust23THRUST_200600_302600_NS11hip_rocprim35transform_pair_of_input_iterators_tIiPsSB_NS8_12not_equal_toIsEEEEPiiNS8_4plusIiEEEE10hipError_tPvRmT1_T2_T3_mT4_P12ihipStream_tbEUlT_E0_NS1_11comp_targetILNS1_3genE5ELNS1_11target_archE942ELNS1_3gpuE9ELNS1_3repE0EEENS1_30default_config_static_selectorELNS0_4arch9wavefront6targetE1EEEvSL_ ; -- Begin function _ZN7rocprim17ROCPRIM_400000_NS6detail17trampoline_kernelINS0_14default_configENS1_22reduce_config_selectorIiEEZNS1_11reduce_implILb1ES3_N6thrust23THRUST_200600_302600_NS11hip_rocprim35transform_pair_of_input_iterators_tIiPsSB_NS8_12not_equal_toIsEEEEPiiNS8_4plusIiEEEE10hipError_tPvRmT1_T2_T3_mT4_P12ihipStream_tbEUlT_E0_NS1_11comp_targetILNS1_3genE5ELNS1_11target_archE942ELNS1_3gpuE9ELNS1_3repE0EEENS1_30default_config_static_selectorELNS0_4arch9wavefront6targetE1EEEvSL_
	.globl	_ZN7rocprim17ROCPRIM_400000_NS6detail17trampoline_kernelINS0_14default_configENS1_22reduce_config_selectorIiEEZNS1_11reduce_implILb1ES3_N6thrust23THRUST_200600_302600_NS11hip_rocprim35transform_pair_of_input_iterators_tIiPsSB_NS8_12not_equal_toIsEEEEPiiNS8_4plusIiEEEE10hipError_tPvRmT1_T2_T3_mT4_P12ihipStream_tbEUlT_E0_NS1_11comp_targetILNS1_3genE5ELNS1_11target_archE942ELNS1_3gpuE9ELNS1_3repE0EEENS1_30default_config_static_selectorELNS0_4arch9wavefront6targetE1EEEvSL_
	.p2align	8
	.type	_ZN7rocprim17ROCPRIM_400000_NS6detail17trampoline_kernelINS0_14default_configENS1_22reduce_config_selectorIiEEZNS1_11reduce_implILb1ES3_N6thrust23THRUST_200600_302600_NS11hip_rocprim35transform_pair_of_input_iterators_tIiPsSB_NS8_12not_equal_toIsEEEEPiiNS8_4plusIiEEEE10hipError_tPvRmT1_T2_T3_mT4_P12ihipStream_tbEUlT_E0_NS1_11comp_targetILNS1_3genE5ELNS1_11target_archE942ELNS1_3gpuE9ELNS1_3repE0EEENS1_30default_config_static_selectorELNS0_4arch9wavefront6targetE1EEEvSL_,@function
_ZN7rocprim17ROCPRIM_400000_NS6detail17trampoline_kernelINS0_14default_configENS1_22reduce_config_selectorIiEEZNS1_11reduce_implILb1ES3_N6thrust23THRUST_200600_302600_NS11hip_rocprim35transform_pair_of_input_iterators_tIiPsSB_NS8_12not_equal_toIsEEEEPiiNS8_4plusIiEEEE10hipError_tPvRmT1_T2_T3_mT4_P12ihipStream_tbEUlT_E0_NS1_11comp_targetILNS1_3genE5ELNS1_11target_archE942ELNS1_3gpuE9ELNS1_3repE0EEENS1_30default_config_static_selectorELNS0_4arch9wavefront6targetE1EEEvSL_: ; @_ZN7rocprim17ROCPRIM_400000_NS6detail17trampoline_kernelINS0_14default_configENS1_22reduce_config_selectorIiEEZNS1_11reduce_implILb1ES3_N6thrust23THRUST_200600_302600_NS11hip_rocprim35transform_pair_of_input_iterators_tIiPsSB_NS8_12not_equal_toIsEEEEPiiNS8_4plusIiEEEE10hipError_tPvRmT1_T2_T3_mT4_P12ihipStream_tbEUlT_E0_NS1_11comp_targetILNS1_3genE5ELNS1_11target_archE942ELNS1_3gpuE9ELNS1_3repE0EEENS1_30default_config_static_selectorELNS0_4arch9wavefront6targetE1EEEvSL_
; %bb.0:
	.section	.rodata,"a",@progbits
	.p2align	6, 0x0
	.amdhsa_kernel _ZN7rocprim17ROCPRIM_400000_NS6detail17trampoline_kernelINS0_14default_configENS1_22reduce_config_selectorIiEEZNS1_11reduce_implILb1ES3_N6thrust23THRUST_200600_302600_NS11hip_rocprim35transform_pair_of_input_iterators_tIiPsSB_NS8_12not_equal_toIsEEEEPiiNS8_4plusIiEEEE10hipError_tPvRmT1_T2_T3_mT4_P12ihipStream_tbEUlT_E0_NS1_11comp_targetILNS1_3genE5ELNS1_11target_archE942ELNS1_3gpuE9ELNS1_3repE0EEENS1_30default_config_static_selectorELNS0_4arch9wavefront6targetE1EEEvSL_
		.amdhsa_group_segment_fixed_size 0
		.amdhsa_private_segment_fixed_size 0
		.amdhsa_kernarg_size 72
		.amdhsa_user_sgpr_count 6
		.amdhsa_user_sgpr_private_segment_buffer 1
		.amdhsa_user_sgpr_dispatch_ptr 0
		.amdhsa_user_sgpr_queue_ptr 0
		.amdhsa_user_sgpr_kernarg_segment_ptr 1
		.amdhsa_user_sgpr_dispatch_id 0
		.amdhsa_user_sgpr_flat_scratch_init 0
		.amdhsa_user_sgpr_kernarg_preload_length 0
		.amdhsa_user_sgpr_kernarg_preload_offset 0
		.amdhsa_user_sgpr_private_segment_size 0
		.amdhsa_uses_dynamic_stack 0
		.amdhsa_system_sgpr_private_segment_wavefront_offset 0
		.amdhsa_system_sgpr_workgroup_id_x 1
		.amdhsa_system_sgpr_workgroup_id_y 0
		.amdhsa_system_sgpr_workgroup_id_z 0
		.amdhsa_system_sgpr_workgroup_info 0
		.amdhsa_system_vgpr_workitem_id 0
		.amdhsa_next_free_vgpr 1
		.amdhsa_next_free_sgpr 0
		.amdhsa_accum_offset 4
		.amdhsa_reserve_vcc 0
		.amdhsa_reserve_flat_scratch 0
		.amdhsa_float_round_mode_32 0
		.amdhsa_float_round_mode_16_64 0
		.amdhsa_float_denorm_mode_32 3
		.amdhsa_float_denorm_mode_16_64 3
		.amdhsa_dx10_clamp 1
		.amdhsa_ieee_mode 1
		.amdhsa_fp16_overflow 0
		.amdhsa_tg_split 0
		.amdhsa_exception_fp_ieee_invalid_op 0
		.amdhsa_exception_fp_denorm_src 0
		.amdhsa_exception_fp_ieee_div_zero 0
		.amdhsa_exception_fp_ieee_overflow 0
		.amdhsa_exception_fp_ieee_underflow 0
		.amdhsa_exception_fp_ieee_inexact 0
		.amdhsa_exception_int_div_zero 0
	.end_amdhsa_kernel
	.section	.text._ZN7rocprim17ROCPRIM_400000_NS6detail17trampoline_kernelINS0_14default_configENS1_22reduce_config_selectorIiEEZNS1_11reduce_implILb1ES3_N6thrust23THRUST_200600_302600_NS11hip_rocprim35transform_pair_of_input_iterators_tIiPsSB_NS8_12not_equal_toIsEEEEPiiNS8_4plusIiEEEE10hipError_tPvRmT1_T2_T3_mT4_P12ihipStream_tbEUlT_E0_NS1_11comp_targetILNS1_3genE5ELNS1_11target_archE942ELNS1_3gpuE9ELNS1_3repE0EEENS1_30default_config_static_selectorELNS0_4arch9wavefront6targetE1EEEvSL_,"axG",@progbits,_ZN7rocprim17ROCPRIM_400000_NS6detail17trampoline_kernelINS0_14default_configENS1_22reduce_config_selectorIiEEZNS1_11reduce_implILb1ES3_N6thrust23THRUST_200600_302600_NS11hip_rocprim35transform_pair_of_input_iterators_tIiPsSB_NS8_12not_equal_toIsEEEEPiiNS8_4plusIiEEEE10hipError_tPvRmT1_T2_T3_mT4_P12ihipStream_tbEUlT_E0_NS1_11comp_targetILNS1_3genE5ELNS1_11target_archE942ELNS1_3gpuE9ELNS1_3repE0EEENS1_30default_config_static_selectorELNS0_4arch9wavefront6targetE1EEEvSL_,comdat
.Lfunc_end1453:
	.size	_ZN7rocprim17ROCPRIM_400000_NS6detail17trampoline_kernelINS0_14default_configENS1_22reduce_config_selectorIiEEZNS1_11reduce_implILb1ES3_N6thrust23THRUST_200600_302600_NS11hip_rocprim35transform_pair_of_input_iterators_tIiPsSB_NS8_12not_equal_toIsEEEEPiiNS8_4plusIiEEEE10hipError_tPvRmT1_T2_T3_mT4_P12ihipStream_tbEUlT_E0_NS1_11comp_targetILNS1_3genE5ELNS1_11target_archE942ELNS1_3gpuE9ELNS1_3repE0EEENS1_30default_config_static_selectorELNS0_4arch9wavefront6targetE1EEEvSL_, .Lfunc_end1453-_ZN7rocprim17ROCPRIM_400000_NS6detail17trampoline_kernelINS0_14default_configENS1_22reduce_config_selectorIiEEZNS1_11reduce_implILb1ES3_N6thrust23THRUST_200600_302600_NS11hip_rocprim35transform_pair_of_input_iterators_tIiPsSB_NS8_12not_equal_toIsEEEEPiiNS8_4plusIiEEEE10hipError_tPvRmT1_T2_T3_mT4_P12ihipStream_tbEUlT_E0_NS1_11comp_targetILNS1_3genE5ELNS1_11target_archE942ELNS1_3gpuE9ELNS1_3repE0EEENS1_30default_config_static_selectorELNS0_4arch9wavefront6targetE1EEEvSL_
                                        ; -- End function
	.section	.AMDGPU.csdata,"",@progbits
; Kernel info:
; codeLenInByte = 0
; NumSgprs: 4
; NumVgprs: 0
; NumAgprs: 0
; TotalNumVgprs: 0
; ScratchSize: 0
; MemoryBound: 0
; FloatMode: 240
; IeeeMode: 1
; LDSByteSize: 0 bytes/workgroup (compile time only)
; SGPRBlocks: 0
; VGPRBlocks: 0
; NumSGPRsForWavesPerEU: 4
; NumVGPRsForWavesPerEU: 1
; AccumOffset: 4
; Occupancy: 8
; WaveLimiterHint : 0
; COMPUTE_PGM_RSRC2:SCRATCH_EN: 0
; COMPUTE_PGM_RSRC2:USER_SGPR: 6
; COMPUTE_PGM_RSRC2:TRAP_HANDLER: 0
; COMPUTE_PGM_RSRC2:TGID_X_EN: 1
; COMPUTE_PGM_RSRC2:TGID_Y_EN: 0
; COMPUTE_PGM_RSRC2:TGID_Z_EN: 0
; COMPUTE_PGM_RSRC2:TIDIG_COMP_CNT: 0
; COMPUTE_PGM_RSRC3_GFX90A:ACCUM_OFFSET: 0
; COMPUTE_PGM_RSRC3_GFX90A:TG_SPLIT: 0
	.section	.text._ZN7rocprim17ROCPRIM_400000_NS6detail17trampoline_kernelINS0_14default_configENS1_22reduce_config_selectorIiEEZNS1_11reduce_implILb1ES3_N6thrust23THRUST_200600_302600_NS11hip_rocprim35transform_pair_of_input_iterators_tIiPsSB_NS8_12not_equal_toIsEEEEPiiNS8_4plusIiEEEE10hipError_tPvRmT1_T2_T3_mT4_P12ihipStream_tbEUlT_E0_NS1_11comp_targetILNS1_3genE4ELNS1_11target_archE910ELNS1_3gpuE8ELNS1_3repE0EEENS1_30default_config_static_selectorELNS0_4arch9wavefront6targetE1EEEvSL_,"axG",@progbits,_ZN7rocprim17ROCPRIM_400000_NS6detail17trampoline_kernelINS0_14default_configENS1_22reduce_config_selectorIiEEZNS1_11reduce_implILb1ES3_N6thrust23THRUST_200600_302600_NS11hip_rocprim35transform_pair_of_input_iterators_tIiPsSB_NS8_12not_equal_toIsEEEEPiiNS8_4plusIiEEEE10hipError_tPvRmT1_T2_T3_mT4_P12ihipStream_tbEUlT_E0_NS1_11comp_targetILNS1_3genE4ELNS1_11target_archE910ELNS1_3gpuE8ELNS1_3repE0EEENS1_30default_config_static_selectorELNS0_4arch9wavefront6targetE1EEEvSL_,comdat
	.protected	_ZN7rocprim17ROCPRIM_400000_NS6detail17trampoline_kernelINS0_14default_configENS1_22reduce_config_selectorIiEEZNS1_11reduce_implILb1ES3_N6thrust23THRUST_200600_302600_NS11hip_rocprim35transform_pair_of_input_iterators_tIiPsSB_NS8_12not_equal_toIsEEEEPiiNS8_4plusIiEEEE10hipError_tPvRmT1_T2_T3_mT4_P12ihipStream_tbEUlT_E0_NS1_11comp_targetILNS1_3genE4ELNS1_11target_archE910ELNS1_3gpuE8ELNS1_3repE0EEENS1_30default_config_static_selectorELNS0_4arch9wavefront6targetE1EEEvSL_ ; -- Begin function _ZN7rocprim17ROCPRIM_400000_NS6detail17trampoline_kernelINS0_14default_configENS1_22reduce_config_selectorIiEEZNS1_11reduce_implILb1ES3_N6thrust23THRUST_200600_302600_NS11hip_rocprim35transform_pair_of_input_iterators_tIiPsSB_NS8_12not_equal_toIsEEEEPiiNS8_4plusIiEEEE10hipError_tPvRmT1_T2_T3_mT4_P12ihipStream_tbEUlT_E0_NS1_11comp_targetILNS1_3genE4ELNS1_11target_archE910ELNS1_3gpuE8ELNS1_3repE0EEENS1_30default_config_static_selectorELNS0_4arch9wavefront6targetE1EEEvSL_
	.globl	_ZN7rocprim17ROCPRIM_400000_NS6detail17trampoline_kernelINS0_14default_configENS1_22reduce_config_selectorIiEEZNS1_11reduce_implILb1ES3_N6thrust23THRUST_200600_302600_NS11hip_rocprim35transform_pair_of_input_iterators_tIiPsSB_NS8_12not_equal_toIsEEEEPiiNS8_4plusIiEEEE10hipError_tPvRmT1_T2_T3_mT4_P12ihipStream_tbEUlT_E0_NS1_11comp_targetILNS1_3genE4ELNS1_11target_archE910ELNS1_3gpuE8ELNS1_3repE0EEENS1_30default_config_static_selectorELNS0_4arch9wavefront6targetE1EEEvSL_
	.p2align	8
	.type	_ZN7rocprim17ROCPRIM_400000_NS6detail17trampoline_kernelINS0_14default_configENS1_22reduce_config_selectorIiEEZNS1_11reduce_implILb1ES3_N6thrust23THRUST_200600_302600_NS11hip_rocprim35transform_pair_of_input_iterators_tIiPsSB_NS8_12not_equal_toIsEEEEPiiNS8_4plusIiEEEE10hipError_tPvRmT1_T2_T3_mT4_P12ihipStream_tbEUlT_E0_NS1_11comp_targetILNS1_3genE4ELNS1_11target_archE910ELNS1_3gpuE8ELNS1_3repE0EEENS1_30default_config_static_selectorELNS0_4arch9wavefront6targetE1EEEvSL_,@function
_ZN7rocprim17ROCPRIM_400000_NS6detail17trampoline_kernelINS0_14default_configENS1_22reduce_config_selectorIiEEZNS1_11reduce_implILb1ES3_N6thrust23THRUST_200600_302600_NS11hip_rocprim35transform_pair_of_input_iterators_tIiPsSB_NS8_12not_equal_toIsEEEEPiiNS8_4plusIiEEEE10hipError_tPvRmT1_T2_T3_mT4_P12ihipStream_tbEUlT_E0_NS1_11comp_targetILNS1_3genE4ELNS1_11target_archE910ELNS1_3gpuE8ELNS1_3repE0EEENS1_30default_config_static_selectorELNS0_4arch9wavefront6targetE1EEEvSL_: ; @_ZN7rocprim17ROCPRIM_400000_NS6detail17trampoline_kernelINS0_14default_configENS1_22reduce_config_selectorIiEEZNS1_11reduce_implILb1ES3_N6thrust23THRUST_200600_302600_NS11hip_rocprim35transform_pair_of_input_iterators_tIiPsSB_NS8_12not_equal_toIsEEEEPiiNS8_4plusIiEEEE10hipError_tPvRmT1_T2_T3_mT4_P12ihipStream_tbEUlT_E0_NS1_11comp_targetILNS1_3genE4ELNS1_11target_archE910ELNS1_3gpuE8ELNS1_3repE0EEENS1_30default_config_static_selectorELNS0_4arch9wavefront6targetE1EEEvSL_
; %bb.0:
	s_load_dwordx8 s[16:23], s[4:5], 0x18
	s_load_dwordx4 s[0:3], s[4:5], 0x0
	s_load_dwordx2 s[24:25], s[4:5], 0x38
	v_lshlrev_b32_e32 v10, 1, v0
	v_mbcnt_lo_u32_b32 v1, -1, 0
	s_waitcnt lgkmcnt(0)
	s_lshl_b64 s[8:9], s[16:17], 1
	s_add_u32 s10, s0, s8
	s_addc_u32 s11, s1, s9
	s_add_u32 s12, s2, s8
	s_addc_u32 s13, s3, s9
	s_lshl_b32 s0, s6, 10
	s_mov_b32 s1, 0
	s_lshr_b64 s[2:3], s[18:19], 10
	s_lshl_b64 s[8:9], s[0:1], 1
	s_add_u32 s14, s10, s8
	s_addc_u32 s15, s11, s9
	s_add_u32 s16, s12, s8
	s_mov_b32 s7, s1
	s_addc_u32 s17, s13, s9
	s_cmp_lg_u64 s[2:3], s[6:7]
	s_cbranch_scc0 .LBB1454_6
; %bb.1:
	global_load_ushort v2, v10, s[14:15]
	global_load_ushort v5, v10, s[16:17]
	global_load_ushort v6, v10, s[14:15] offset:512
	global_load_ushort v7, v10, s[16:17] offset:512
	;; [unrolled: 1-line block ×14, first 2 shown]
	v_mbcnt_hi_u32_b32 v3, -1, v1
	v_lshlrev_b32_e32 v4, 2, v3
	s_waitcnt vmcnt(14)
	v_cmp_ne_u16_e32 vcc, v2, v5
	v_cndmask_b32_e64 v2, 0, 1, vcc
	s_waitcnt vmcnt(12)
	v_cmp_ne_u16_e32 vcc, v6, v7
	v_cndmask_b32_e64 v5, 0, 1, vcc
	;; [unrolled: 3-line block ×4, first 2 shown]
	s_waitcnt vmcnt(6)
	v_cmp_ne_u16_e32 vcc, v13, v14
	v_addc_co_u32_e32 v2, vcc, 0, v2, vcc
	s_waitcnt vmcnt(4)
	v_cmp_ne_u16_e32 vcc, v15, v16
	v_addc_co_u32_e32 v2, vcc, v2, v5, vcc
	;; [unrolled: 3-line block ×4, first 2 shown]
	v_or_b32_e32 v5, 0xfc, v4
	s_nop 0
	v_add_u32_dpp v2, v2, v2 quad_perm:[1,0,3,2] row_mask:0xf bank_mask:0xf bound_ctrl:1
	v_cmp_eq_u32_e32 vcc, 0, v3
	s_nop 0
	v_add_u32_dpp v2, v2, v2 quad_perm:[2,3,0,1] row_mask:0xf bank_mask:0xf bound_ctrl:1
	s_nop 1
	v_add_u32_dpp v2, v2, v2 row_ror:4 row_mask:0xf bank_mask:0xf bound_ctrl:1
	s_nop 1
	v_add_u32_dpp v2, v2, v2 row_ror:8 row_mask:0xf bank_mask:0xf bound_ctrl:1
	s_nop 1
	v_add_u32_dpp v2, v2, v2 row_bcast:15 row_mask:0xf bank_mask:0xf bound_ctrl:1
	s_nop 1
	v_add_u32_dpp v2, v2, v2 row_bcast:31 row_mask:0xf bank_mask:0xf bound_ctrl:1
	ds_bpermute_b32 v2, v5, v2
	s_and_saveexec_b64 s[2:3], vcc
	s_cbranch_execz .LBB1454_3
; %bb.2:
	v_lshrrev_b32_e32 v5, 4, v0
	v_and_b32_e32 v5, 4, v5
	s_waitcnt lgkmcnt(0)
	ds_write_b32 v5, v2
.LBB1454_3:
	s_or_b64 exec, exec, s[2:3]
	v_cmp_gt_u32_e32 vcc, 64, v0
	s_waitcnt lgkmcnt(0)
	s_barrier
	s_and_saveexec_b64 s[2:3], vcc
	s_cbranch_execz .LBB1454_5
; %bb.4:
	v_and_b32_e32 v2, 1, v3
	v_lshlrev_b32_e32 v2, 2, v2
	ds_read_b32 v2, v2
	v_or_b32_e32 v3, 4, v4
	s_waitcnt lgkmcnt(0)
	ds_bpermute_b32 v3, v3, v2
	s_waitcnt lgkmcnt(0)
	v_add_u32_e32 v2, v3, v2
.LBB1454_5:
	s_or_b64 exec, exec, s[2:3]
	s_load_dword s28, s[4:5], 0x40
	s_branch .LBB1454_28
.LBB1454_6:
                                        ; implicit-def: $vgpr2
	s_load_dword s28, s[4:5], 0x40
	s_cbranch_execz .LBB1454_28
; %bb.7:
	s_sub_i32 s29, s18, s0
	v_cmp_gt_u32_e32 vcc, s29, v0
                                        ; implicit-def: $vgpr2_vgpr3_vgpr4_vgpr5_vgpr6_vgpr7_vgpr8_vgpr9
	s_and_saveexec_b64 s[0:1], vcc
	s_cbranch_execz .LBB1454_9
; %bb.8:
	global_load_ushort v2, v10, s[14:15]
	global_load_ushort v3, v10, s[16:17]
	s_waitcnt vmcnt(0)
	v_cmp_ne_u16_e32 vcc, v2, v3
	v_cndmask_b32_e64 v2, 0, 1, vcc
.LBB1454_9:
	s_or_b64 exec, exec, s[0:1]
	v_or_b32_e32 v11, 0x80, v0
	v_cmp_gt_u32_e32 vcc, s29, v11
	s_and_saveexec_b64 s[2:3], vcc
	s_cbranch_execz .LBB1454_11
; %bb.10:
	global_load_ushort v3, v10, s[14:15] offset:256
	global_load_ushort v11, v10, s[16:17] offset:256
	s_waitcnt vmcnt(0)
	v_cmp_ne_u16_e64 s[0:1], v3, v11
	v_cndmask_b32_e64 v3, 0, 1, s[0:1]
.LBB1454_11:
	s_or_b64 exec, exec, s[2:3]
	v_or_b32_e32 v11, 0x100, v0
	v_cmp_gt_u32_e64 s[0:1], s29, v11
	s_and_saveexec_b64 s[4:5], s[0:1]
	s_cbranch_execz .LBB1454_13
; %bb.12:
	global_load_ushort v4, v10, s[14:15] offset:512
	global_load_ushort v11, v10, s[16:17] offset:512
	s_waitcnt vmcnt(0)
	v_cmp_ne_u16_e64 s[2:3], v4, v11
	v_cndmask_b32_e64 v4, 0, 1, s[2:3]
.LBB1454_13:
	s_or_b64 exec, exec, s[4:5]
	v_or_b32_e32 v11, 0x180, v0
	v_cmp_gt_u32_e64 s[2:3], s29, v11
	s_and_saveexec_b64 s[8:9], s[2:3]
	;; [unrolled: 12-line block ×6, first 2 shown]
	s_cbranch_execz .LBB1454_23
; %bb.22:
	global_load_ushort v9, v10, s[14:15] offset:1792
	global_load_ushort v11, v10, s[16:17] offset:1792
	s_waitcnt vmcnt(0)
	v_cmp_ne_u16_e64 s[14:15], v9, v11
	v_cndmask_b32_e64 v9, 0, 1, s[14:15]
.LBB1454_23:
	s_or_b64 exec, exec, s[26:27]
	v_cndmask_b32_e32 v3, 0, v3, vcc
	v_add_u32_e32 v2, v3, v2
	v_cndmask_b32_e64 v3, 0, v4, s[0:1]
	v_cndmask_b32_e64 v4, 0, v5, s[2:3]
	v_add3_u32 v2, v2, v3, v4
	v_cndmask_b32_e64 v3, 0, v6, s[4:5]
	v_cndmask_b32_e64 v4, 0, v7, s[8:9]
	v_add3_u32 v2, v2, v3, v4
	v_cndmask_b32_e64 v3, 0, v8, s[10:11]
	v_cndmask_b32_e64 v4, 0, v9, s[12:13]
	v_mbcnt_hi_u32_b32 v1, -1, v1
	v_add3_u32 v2, v2, v3, v4
	v_and_b32_e32 v3, 63, v1
	v_cmp_ne_u32_e32 vcc, 63, v3
	v_addc_co_u32_e32 v4, vcc, 0, v1, vcc
	v_lshlrev_b32_e32 v4, 2, v4
	ds_bpermute_b32 v4, v4, v2
	s_min_u32 s2, s29, 0x80
	v_and_b32_e32 v5, 64, v0
	v_sub_u32_e64 v5, s2, v5 clamp
	v_add_u32_e32 v6, 1, v3
	v_cmp_lt_u32_e32 vcc, v6, v5
	s_waitcnt lgkmcnt(0)
	v_cndmask_b32_e32 v4, 0, v4, vcc
	v_cmp_gt_u32_e32 vcc, 62, v3
	v_add_u32_e32 v2, v2, v4
	v_cndmask_b32_e64 v4, 0, 1, vcc
	v_lshlrev_b32_e32 v4, 1, v4
	v_add_lshl_u32 v4, v4, v1, 2
	ds_bpermute_b32 v4, v4, v2
	v_add_u32_e32 v6, 2, v3
	v_cmp_lt_u32_e32 vcc, v6, v5
	v_add_u32_e32 v6, 4, v3
	s_waitcnt lgkmcnt(0)
	v_cndmask_b32_e32 v4, 0, v4, vcc
	v_cmp_gt_u32_e32 vcc, 60, v3
	v_add_u32_e32 v2, v2, v4
	v_cndmask_b32_e64 v4, 0, 1, vcc
	v_lshlrev_b32_e32 v4, 2, v4
	v_add_lshl_u32 v4, v4, v1, 2
	ds_bpermute_b32 v4, v4, v2
	v_cmp_lt_u32_e32 vcc, v6, v5
	v_add_u32_e32 v6, 8, v3
	s_waitcnt lgkmcnt(0)
	v_cndmask_b32_e32 v4, 0, v4, vcc
	v_cmp_gt_u32_e32 vcc, 56, v3
	v_add_u32_e32 v2, v2, v4
	v_cndmask_b32_e64 v4, 0, 1, vcc
	v_lshlrev_b32_e32 v4, 3, v4
	v_add_lshl_u32 v4, v4, v1, 2
	ds_bpermute_b32 v4, v4, v2
	;; [unrolled: 10-line block ×3, first 2 shown]
	v_cmp_lt_u32_e32 vcc, v6, v5
	s_waitcnt lgkmcnt(0)
	v_cndmask_b32_e32 v4, 0, v4, vcc
	v_cmp_gt_u32_e32 vcc, 32, v3
	v_add_u32_e32 v2, v2, v4
	v_cndmask_b32_e64 v4, 0, 1, vcc
	v_lshlrev_b32_e32 v4, 5, v4
	v_add_lshl_u32 v4, v4, v1, 2
	ds_bpermute_b32 v4, v4, v2
	v_add_u32_e32 v3, 32, v3
	v_cmp_lt_u32_e32 vcc, v3, v5
	s_waitcnt lgkmcnt(0)
	v_cndmask_b32_e32 v3, 0, v4, vcc
	v_add_u32_e32 v2, v2, v3
	v_cmp_eq_u32_e32 vcc, 0, v1
	s_and_saveexec_b64 s[0:1], vcc
	s_cbranch_execz .LBB1454_25
; %bb.24:
	v_lshrrev_b32_e32 v3, 4, v0
	v_and_b32_e32 v3, 4, v3
	ds_write_b32 v3, v2 offset:8
.LBB1454_25:
	s_or_b64 exec, exec, s[0:1]
	v_cmp_gt_u32_e32 vcc, 2, v0
	s_waitcnt lgkmcnt(0)
	s_barrier
	s_and_saveexec_b64 s[0:1], vcc
	s_cbranch_execz .LBB1454_27
; %bb.26:
	v_lshlrev_b32_e32 v2, 2, v1
	ds_read_b32 v3, v2 offset:8
	v_or_b32_e32 v2, 4, v2
	s_add_i32 s2, s2, 63
	v_and_b32_e32 v1, 1, v1
	s_lshr_b32 s2, s2, 6
	s_waitcnt lgkmcnt(0)
	ds_bpermute_b32 v2, v2, v3
	v_add_u32_e32 v1, 1, v1
	v_cmp_gt_u32_e32 vcc, s2, v1
	s_waitcnt lgkmcnt(0)
	v_cndmask_b32_e32 v1, 0, v2, vcc
	v_add_u32_e32 v2, v1, v3
.LBB1454_27:
	s_or_b64 exec, exec, s[0:1]
.LBB1454_28:
	v_cmp_eq_u32_e32 vcc, 0, v0
	s_and_saveexec_b64 s[0:1], vcc
	s_cbranch_execnz .LBB1454_30
; %bb.29:
	s_endpgm
.LBB1454_30:
	s_mul_i32 s0, s24, s23
	s_mul_hi_u32 s1, s24, s22
	s_add_i32 s0, s1, s0
	s_mul_i32 s1, s25, s22
	s_add_i32 s1, s0, s1
	s_mul_i32 s0, s24, s22
	s_lshl_b64 s[0:1], s[0:1], 2
	s_add_u32 s2, s20, s0
	s_addc_u32 s3, s21, s1
	s_cmp_eq_u64 s[18:19], 0
	s_cselect_b64 vcc, -1, 0
	s_lshl_b64 s[0:1], s[6:7], 2
	s_waitcnt lgkmcnt(0)
	v_mov_b32_e32 v0, s28
	s_add_u32 s0, s2, s0
	v_cndmask_b32_e32 v0, v2, v0, vcc
	s_addc_u32 s1, s3, s1
	v_mov_b32_e32 v1, 0
	global_store_dword v1, v0, s[0:1]
	s_endpgm
	.section	.rodata,"a",@progbits
	.p2align	6, 0x0
	.amdhsa_kernel _ZN7rocprim17ROCPRIM_400000_NS6detail17trampoline_kernelINS0_14default_configENS1_22reduce_config_selectorIiEEZNS1_11reduce_implILb1ES3_N6thrust23THRUST_200600_302600_NS11hip_rocprim35transform_pair_of_input_iterators_tIiPsSB_NS8_12not_equal_toIsEEEEPiiNS8_4plusIiEEEE10hipError_tPvRmT1_T2_T3_mT4_P12ihipStream_tbEUlT_E0_NS1_11comp_targetILNS1_3genE4ELNS1_11target_archE910ELNS1_3gpuE8ELNS1_3repE0EEENS1_30default_config_static_selectorELNS0_4arch9wavefront6targetE1EEEvSL_
		.amdhsa_group_segment_fixed_size 16
		.amdhsa_private_segment_fixed_size 0
		.amdhsa_kernarg_size 72
		.amdhsa_user_sgpr_count 6
		.amdhsa_user_sgpr_private_segment_buffer 1
		.amdhsa_user_sgpr_dispatch_ptr 0
		.amdhsa_user_sgpr_queue_ptr 0
		.amdhsa_user_sgpr_kernarg_segment_ptr 1
		.amdhsa_user_sgpr_dispatch_id 0
		.amdhsa_user_sgpr_flat_scratch_init 0
		.amdhsa_user_sgpr_kernarg_preload_length 0
		.amdhsa_user_sgpr_kernarg_preload_offset 0
		.amdhsa_user_sgpr_private_segment_size 0
		.amdhsa_uses_dynamic_stack 0
		.amdhsa_system_sgpr_private_segment_wavefront_offset 0
		.amdhsa_system_sgpr_workgroup_id_x 1
		.amdhsa_system_sgpr_workgroup_id_y 0
		.amdhsa_system_sgpr_workgroup_id_z 0
		.amdhsa_system_sgpr_workgroup_info 0
		.amdhsa_system_vgpr_workitem_id 0
		.amdhsa_next_free_vgpr 21
		.amdhsa_next_free_sgpr 30
		.amdhsa_accum_offset 24
		.amdhsa_reserve_vcc 1
		.amdhsa_reserve_flat_scratch 0
		.amdhsa_float_round_mode_32 0
		.amdhsa_float_round_mode_16_64 0
		.amdhsa_float_denorm_mode_32 3
		.amdhsa_float_denorm_mode_16_64 3
		.amdhsa_dx10_clamp 1
		.amdhsa_ieee_mode 1
		.amdhsa_fp16_overflow 0
		.amdhsa_tg_split 0
		.amdhsa_exception_fp_ieee_invalid_op 0
		.amdhsa_exception_fp_denorm_src 0
		.amdhsa_exception_fp_ieee_div_zero 0
		.amdhsa_exception_fp_ieee_overflow 0
		.amdhsa_exception_fp_ieee_underflow 0
		.amdhsa_exception_fp_ieee_inexact 0
		.amdhsa_exception_int_div_zero 0
	.end_amdhsa_kernel
	.section	.text._ZN7rocprim17ROCPRIM_400000_NS6detail17trampoline_kernelINS0_14default_configENS1_22reduce_config_selectorIiEEZNS1_11reduce_implILb1ES3_N6thrust23THRUST_200600_302600_NS11hip_rocprim35transform_pair_of_input_iterators_tIiPsSB_NS8_12not_equal_toIsEEEEPiiNS8_4plusIiEEEE10hipError_tPvRmT1_T2_T3_mT4_P12ihipStream_tbEUlT_E0_NS1_11comp_targetILNS1_3genE4ELNS1_11target_archE910ELNS1_3gpuE8ELNS1_3repE0EEENS1_30default_config_static_selectorELNS0_4arch9wavefront6targetE1EEEvSL_,"axG",@progbits,_ZN7rocprim17ROCPRIM_400000_NS6detail17trampoline_kernelINS0_14default_configENS1_22reduce_config_selectorIiEEZNS1_11reduce_implILb1ES3_N6thrust23THRUST_200600_302600_NS11hip_rocprim35transform_pair_of_input_iterators_tIiPsSB_NS8_12not_equal_toIsEEEEPiiNS8_4plusIiEEEE10hipError_tPvRmT1_T2_T3_mT4_P12ihipStream_tbEUlT_E0_NS1_11comp_targetILNS1_3genE4ELNS1_11target_archE910ELNS1_3gpuE8ELNS1_3repE0EEENS1_30default_config_static_selectorELNS0_4arch9wavefront6targetE1EEEvSL_,comdat
.Lfunc_end1454:
	.size	_ZN7rocprim17ROCPRIM_400000_NS6detail17trampoline_kernelINS0_14default_configENS1_22reduce_config_selectorIiEEZNS1_11reduce_implILb1ES3_N6thrust23THRUST_200600_302600_NS11hip_rocprim35transform_pair_of_input_iterators_tIiPsSB_NS8_12not_equal_toIsEEEEPiiNS8_4plusIiEEEE10hipError_tPvRmT1_T2_T3_mT4_P12ihipStream_tbEUlT_E0_NS1_11comp_targetILNS1_3genE4ELNS1_11target_archE910ELNS1_3gpuE8ELNS1_3repE0EEENS1_30default_config_static_selectorELNS0_4arch9wavefront6targetE1EEEvSL_, .Lfunc_end1454-_ZN7rocprim17ROCPRIM_400000_NS6detail17trampoline_kernelINS0_14default_configENS1_22reduce_config_selectorIiEEZNS1_11reduce_implILb1ES3_N6thrust23THRUST_200600_302600_NS11hip_rocprim35transform_pair_of_input_iterators_tIiPsSB_NS8_12not_equal_toIsEEEEPiiNS8_4plusIiEEEE10hipError_tPvRmT1_T2_T3_mT4_P12ihipStream_tbEUlT_E0_NS1_11comp_targetILNS1_3genE4ELNS1_11target_archE910ELNS1_3gpuE8ELNS1_3repE0EEENS1_30default_config_static_selectorELNS0_4arch9wavefront6targetE1EEEvSL_
                                        ; -- End function
	.section	.AMDGPU.csdata,"",@progbits
; Kernel info:
; codeLenInByte = 1692
; NumSgprs: 34
; NumVgprs: 21
; NumAgprs: 0
; TotalNumVgprs: 21
; ScratchSize: 0
; MemoryBound: 0
; FloatMode: 240
; IeeeMode: 1
; LDSByteSize: 16 bytes/workgroup (compile time only)
; SGPRBlocks: 4
; VGPRBlocks: 2
; NumSGPRsForWavesPerEU: 34
; NumVGPRsForWavesPerEU: 21
; AccumOffset: 24
; Occupancy: 8
; WaveLimiterHint : 0
; COMPUTE_PGM_RSRC2:SCRATCH_EN: 0
; COMPUTE_PGM_RSRC2:USER_SGPR: 6
; COMPUTE_PGM_RSRC2:TRAP_HANDLER: 0
; COMPUTE_PGM_RSRC2:TGID_X_EN: 1
; COMPUTE_PGM_RSRC2:TGID_Y_EN: 0
; COMPUTE_PGM_RSRC2:TGID_Z_EN: 0
; COMPUTE_PGM_RSRC2:TIDIG_COMP_CNT: 0
; COMPUTE_PGM_RSRC3_GFX90A:ACCUM_OFFSET: 5
; COMPUTE_PGM_RSRC3_GFX90A:TG_SPLIT: 0
	.section	.text._ZN7rocprim17ROCPRIM_400000_NS6detail17trampoline_kernelINS0_14default_configENS1_22reduce_config_selectorIiEEZNS1_11reduce_implILb1ES3_N6thrust23THRUST_200600_302600_NS11hip_rocprim35transform_pair_of_input_iterators_tIiPsSB_NS8_12not_equal_toIsEEEEPiiNS8_4plusIiEEEE10hipError_tPvRmT1_T2_T3_mT4_P12ihipStream_tbEUlT_E0_NS1_11comp_targetILNS1_3genE3ELNS1_11target_archE908ELNS1_3gpuE7ELNS1_3repE0EEENS1_30default_config_static_selectorELNS0_4arch9wavefront6targetE1EEEvSL_,"axG",@progbits,_ZN7rocprim17ROCPRIM_400000_NS6detail17trampoline_kernelINS0_14default_configENS1_22reduce_config_selectorIiEEZNS1_11reduce_implILb1ES3_N6thrust23THRUST_200600_302600_NS11hip_rocprim35transform_pair_of_input_iterators_tIiPsSB_NS8_12not_equal_toIsEEEEPiiNS8_4plusIiEEEE10hipError_tPvRmT1_T2_T3_mT4_P12ihipStream_tbEUlT_E0_NS1_11comp_targetILNS1_3genE3ELNS1_11target_archE908ELNS1_3gpuE7ELNS1_3repE0EEENS1_30default_config_static_selectorELNS0_4arch9wavefront6targetE1EEEvSL_,comdat
	.protected	_ZN7rocprim17ROCPRIM_400000_NS6detail17trampoline_kernelINS0_14default_configENS1_22reduce_config_selectorIiEEZNS1_11reduce_implILb1ES3_N6thrust23THRUST_200600_302600_NS11hip_rocprim35transform_pair_of_input_iterators_tIiPsSB_NS8_12not_equal_toIsEEEEPiiNS8_4plusIiEEEE10hipError_tPvRmT1_T2_T3_mT4_P12ihipStream_tbEUlT_E0_NS1_11comp_targetILNS1_3genE3ELNS1_11target_archE908ELNS1_3gpuE7ELNS1_3repE0EEENS1_30default_config_static_selectorELNS0_4arch9wavefront6targetE1EEEvSL_ ; -- Begin function _ZN7rocprim17ROCPRIM_400000_NS6detail17trampoline_kernelINS0_14default_configENS1_22reduce_config_selectorIiEEZNS1_11reduce_implILb1ES3_N6thrust23THRUST_200600_302600_NS11hip_rocprim35transform_pair_of_input_iterators_tIiPsSB_NS8_12not_equal_toIsEEEEPiiNS8_4plusIiEEEE10hipError_tPvRmT1_T2_T3_mT4_P12ihipStream_tbEUlT_E0_NS1_11comp_targetILNS1_3genE3ELNS1_11target_archE908ELNS1_3gpuE7ELNS1_3repE0EEENS1_30default_config_static_selectorELNS0_4arch9wavefront6targetE1EEEvSL_
	.globl	_ZN7rocprim17ROCPRIM_400000_NS6detail17trampoline_kernelINS0_14default_configENS1_22reduce_config_selectorIiEEZNS1_11reduce_implILb1ES3_N6thrust23THRUST_200600_302600_NS11hip_rocprim35transform_pair_of_input_iterators_tIiPsSB_NS8_12not_equal_toIsEEEEPiiNS8_4plusIiEEEE10hipError_tPvRmT1_T2_T3_mT4_P12ihipStream_tbEUlT_E0_NS1_11comp_targetILNS1_3genE3ELNS1_11target_archE908ELNS1_3gpuE7ELNS1_3repE0EEENS1_30default_config_static_selectorELNS0_4arch9wavefront6targetE1EEEvSL_
	.p2align	8
	.type	_ZN7rocprim17ROCPRIM_400000_NS6detail17trampoline_kernelINS0_14default_configENS1_22reduce_config_selectorIiEEZNS1_11reduce_implILb1ES3_N6thrust23THRUST_200600_302600_NS11hip_rocprim35transform_pair_of_input_iterators_tIiPsSB_NS8_12not_equal_toIsEEEEPiiNS8_4plusIiEEEE10hipError_tPvRmT1_T2_T3_mT4_P12ihipStream_tbEUlT_E0_NS1_11comp_targetILNS1_3genE3ELNS1_11target_archE908ELNS1_3gpuE7ELNS1_3repE0EEENS1_30default_config_static_selectorELNS0_4arch9wavefront6targetE1EEEvSL_,@function
_ZN7rocprim17ROCPRIM_400000_NS6detail17trampoline_kernelINS0_14default_configENS1_22reduce_config_selectorIiEEZNS1_11reduce_implILb1ES3_N6thrust23THRUST_200600_302600_NS11hip_rocprim35transform_pair_of_input_iterators_tIiPsSB_NS8_12not_equal_toIsEEEEPiiNS8_4plusIiEEEE10hipError_tPvRmT1_T2_T3_mT4_P12ihipStream_tbEUlT_E0_NS1_11comp_targetILNS1_3genE3ELNS1_11target_archE908ELNS1_3gpuE7ELNS1_3repE0EEENS1_30default_config_static_selectorELNS0_4arch9wavefront6targetE1EEEvSL_: ; @_ZN7rocprim17ROCPRIM_400000_NS6detail17trampoline_kernelINS0_14default_configENS1_22reduce_config_selectorIiEEZNS1_11reduce_implILb1ES3_N6thrust23THRUST_200600_302600_NS11hip_rocprim35transform_pair_of_input_iterators_tIiPsSB_NS8_12not_equal_toIsEEEEPiiNS8_4plusIiEEEE10hipError_tPvRmT1_T2_T3_mT4_P12ihipStream_tbEUlT_E0_NS1_11comp_targetILNS1_3genE3ELNS1_11target_archE908ELNS1_3gpuE7ELNS1_3repE0EEENS1_30default_config_static_selectorELNS0_4arch9wavefront6targetE1EEEvSL_
; %bb.0:
	.section	.rodata,"a",@progbits
	.p2align	6, 0x0
	.amdhsa_kernel _ZN7rocprim17ROCPRIM_400000_NS6detail17trampoline_kernelINS0_14default_configENS1_22reduce_config_selectorIiEEZNS1_11reduce_implILb1ES3_N6thrust23THRUST_200600_302600_NS11hip_rocprim35transform_pair_of_input_iterators_tIiPsSB_NS8_12not_equal_toIsEEEEPiiNS8_4plusIiEEEE10hipError_tPvRmT1_T2_T3_mT4_P12ihipStream_tbEUlT_E0_NS1_11comp_targetILNS1_3genE3ELNS1_11target_archE908ELNS1_3gpuE7ELNS1_3repE0EEENS1_30default_config_static_selectorELNS0_4arch9wavefront6targetE1EEEvSL_
		.amdhsa_group_segment_fixed_size 0
		.amdhsa_private_segment_fixed_size 0
		.amdhsa_kernarg_size 72
		.amdhsa_user_sgpr_count 6
		.amdhsa_user_sgpr_private_segment_buffer 1
		.amdhsa_user_sgpr_dispatch_ptr 0
		.amdhsa_user_sgpr_queue_ptr 0
		.amdhsa_user_sgpr_kernarg_segment_ptr 1
		.amdhsa_user_sgpr_dispatch_id 0
		.amdhsa_user_sgpr_flat_scratch_init 0
		.amdhsa_user_sgpr_kernarg_preload_length 0
		.amdhsa_user_sgpr_kernarg_preload_offset 0
		.amdhsa_user_sgpr_private_segment_size 0
		.amdhsa_uses_dynamic_stack 0
		.amdhsa_system_sgpr_private_segment_wavefront_offset 0
		.amdhsa_system_sgpr_workgroup_id_x 1
		.amdhsa_system_sgpr_workgroup_id_y 0
		.amdhsa_system_sgpr_workgroup_id_z 0
		.amdhsa_system_sgpr_workgroup_info 0
		.amdhsa_system_vgpr_workitem_id 0
		.amdhsa_next_free_vgpr 1
		.amdhsa_next_free_sgpr 0
		.amdhsa_accum_offset 4
		.amdhsa_reserve_vcc 0
		.amdhsa_reserve_flat_scratch 0
		.amdhsa_float_round_mode_32 0
		.amdhsa_float_round_mode_16_64 0
		.amdhsa_float_denorm_mode_32 3
		.amdhsa_float_denorm_mode_16_64 3
		.amdhsa_dx10_clamp 1
		.amdhsa_ieee_mode 1
		.amdhsa_fp16_overflow 0
		.amdhsa_tg_split 0
		.amdhsa_exception_fp_ieee_invalid_op 0
		.amdhsa_exception_fp_denorm_src 0
		.amdhsa_exception_fp_ieee_div_zero 0
		.amdhsa_exception_fp_ieee_overflow 0
		.amdhsa_exception_fp_ieee_underflow 0
		.amdhsa_exception_fp_ieee_inexact 0
		.amdhsa_exception_int_div_zero 0
	.end_amdhsa_kernel
	.section	.text._ZN7rocprim17ROCPRIM_400000_NS6detail17trampoline_kernelINS0_14default_configENS1_22reduce_config_selectorIiEEZNS1_11reduce_implILb1ES3_N6thrust23THRUST_200600_302600_NS11hip_rocprim35transform_pair_of_input_iterators_tIiPsSB_NS8_12not_equal_toIsEEEEPiiNS8_4plusIiEEEE10hipError_tPvRmT1_T2_T3_mT4_P12ihipStream_tbEUlT_E0_NS1_11comp_targetILNS1_3genE3ELNS1_11target_archE908ELNS1_3gpuE7ELNS1_3repE0EEENS1_30default_config_static_selectorELNS0_4arch9wavefront6targetE1EEEvSL_,"axG",@progbits,_ZN7rocprim17ROCPRIM_400000_NS6detail17trampoline_kernelINS0_14default_configENS1_22reduce_config_selectorIiEEZNS1_11reduce_implILb1ES3_N6thrust23THRUST_200600_302600_NS11hip_rocprim35transform_pair_of_input_iterators_tIiPsSB_NS8_12not_equal_toIsEEEEPiiNS8_4plusIiEEEE10hipError_tPvRmT1_T2_T3_mT4_P12ihipStream_tbEUlT_E0_NS1_11comp_targetILNS1_3genE3ELNS1_11target_archE908ELNS1_3gpuE7ELNS1_3repE0EEENS1_30default_config_static_selectorELNS0_4arch9wavefront6targetE1EEEvSL_,comdat
.Lfunc_end1455:
	.size	_ZN7rocprim17ROCPRIM_400000_NS6detail17trampoline_kernelINS0_14default_configENS1_22reduce_config_selectorIiEEZNS1_11reduce_implILb1ES3_N6thrust23THRUST_200600_302600_NS11hip_rocprim35transform_pair_of_input_iterators_tIiPsSB_NS8_12not_equal_toIsEEEEPiiNS8_4plusIiEEEE10hipError_tPvRmT1_T2_T3_mT4_P12ihipStream_tbEUlT_E0_NS1_11comp_targetILNS1_3genE3ELNS1_11target_archE908ELNS1_3gpuE7ELNS1_3repE0EEENS1_30default_config_static_selectorELNS0_4arch9wavefront6targetE1EEEvSL_, .Lfunc_end1455-_ZN7rocprim17ROCPRIM_400000_NS6detail17trampoline_kernelINS0_14default_configENS1_22reduce_config_selectorIiEEZNS1_11reduce_implILb1ES3_N6thrust23THRUST_200600_302600_NS11hip_rocprim35transform_pair_of_input_iterators_tIiPsSB_NS8_12not_equal_toIsEEEEPiiNS8_4plusIiEEEE10hipError_tPvRmT1_T2_T3_mT4_P12ihipStream_tbEUlT_E0_NS1_11comp_targetILNS1_3genE3ELNS1_11target_archE908ELNS1_3gpuE7ELNS1_3repE0EEENS1_30default_config_static_selectorELNS0_4arch9wavefront6targetE1EEEvSL_
                                        ; -- End function
	.section	.AMDGPU.csdata,"",@progbits
; Kernel info:
; codeLenInByte = 0
; NumSgprs: 4
; NumVgprs: 0
; NumAgprs: 0
; TotalNumVgprs: 0
; ScratchSize: 0
; MemoryBound: 0
; FloatMode: 240
; IeeeMode: 1
; LDSByteSize: 0 bytes/workgroup (compile time only)
; SGPRBlocks: 0
; VGPRBlocks: 0
; NumSGPRsForWavesPerEU: 4
; NumVGPRsForWavesPerEU: 1
; AccumOffset: 4
; Occupancy: 8
; WaveLimiterHint : 0
; COMPUTE_PGM_RSRC2:SCRATCH_EN: 0
; COMPUTE_PGM_RSRC2:USER_SGPR: 6
; COMPUTE_PGM_RSRC2:TRAP_HANDLER: 0
; COMPUTE_PGM_RSRC2:TGID_X_EN: 1
; COMPUTE_PGM_RSRC2:TGID_Y_EN: 0
; COMPUTE_PGM_RSRC2:TGID_Z_EN: 0
; COMPUTE_PGM_RSRC2:TIDIG_COMP_CNT: 0
; COMPUTE_PGM_RSRC3_GFX90A:ACCUM_OFFSET: 0
; COMPUTE_PGM_RSRC3_GFX90A:TG_SPLIT: 0
	.section	.text._ZN7rocprim17ROCPRIM_400000_NS6detail17trampoline_kernelINS0_14default_configENS1_22reduce_config_selectorIiEEZNS1_11reduce_implILb1ES3_N6thrust23THRUST_200600_302600_NS11hip_rocprim35transform_pair_of_input_iterators_tIiPsSB_NS8_12not_equal_toIsEEEEPiiNS8_4plusIiEEEE10hipError_tPvRmT1_T2_T3_mT4_P12ihipStream_tbEUlT_E0_NS1_11comp_targetILNS1_3genE2ELNS1_11target_archE906ELNS1_3gpuE6ELNS1_3repE0EEENS1_30default_config_static_selectorELNS0_4arch9wavefront6targetE1EEEvSL_,"axG",@progbits,_ZN7rocprim17ROCPRIM_400000_NS6detail17trampoline_kernelINS0_14default_configENS1_22reduce_config_selectorIiEEZNS1_11reduce_implILb1ES3_N6thrust23THRUST_200600_302600_NS11hip_rocprim35transform_pair_of_input_iterators_tIiPsSB_NS8_12not_equal_toIsEEEEPiiNS8_4plusIiEEEE10hipError_tPvRmT1_T2_T3_mT4_P12ihipStream_tbEUlT_E0_NS1_11comp_targetILNS1_3genE2ELNS1_11target_archE906ELNS1_3gpuE6ELNS1_3repE0EEENS1_30default_config_static_selectorELNS0_4arch9wavefront6targetE1EEEvSL_,comdat
	.protected	_ZN7rocprim17ROCPRIM_400000_NS6detail17trampoline_kernelINS0_14default_configENS1_22reduce_config_selectorIiEEZNS1_11reduce_implILb1ES3_N6thrust23THRUST_200600_302600_NS11hip_rocprim35transform_pair_of_input_iterators_tIiPsSB_NS8_12not_equal_toIsEEEEPiiNS8_4plusIiEEEE10hipError_tPvRmT1_T2_T3_mT4_P12ihipStream_tbEUlT_E0_NS1_11comp_targetILNS1_3genE2ELNS1_11target_archE906ELNS1_3gpuE6ELNS1_3repE0EEENS1_30default_config_static_selectorELNS0_4arch9wavefront6targetE1EEEvSL_ ; -- Begin function _ZN7rocprim17ROCPRIM_400000_NS6detail17trampoline_kernelINS0_14default_configENS1_22reduce_config_selectorIiEEZNS1_11reduce_implILb1ES3_N6thrust23THRUST_200600_302600_NS11hip_rocprim35transform_pair_of_input_iterators_tIiPsSB_NS8_12not_equal_toIsEEEEPiiNS8_4plusIiEEEE10hipError_tPvRmT1_T2_T3_mT4_P12ihipStream_tbEUlT_E0_NS1_11comp_targetILNS1_3genE2ELNS1_11target_archE906ELNS1_3gpuE6ELNS1_3repE0EEENS1_30default_config_static_selectorELNS0_4arch9wavefront6targetE1EEEvSL_
	.globl	_ZN7rocprim17ROCPRIM_400000_NS6detail17trampoline_kernelINS0_14default_configENS1_22reduce_config_selectorIiEEZNS1_11reduce_implILb1ES3_N6thrust23THRUST_200600_302600_NS11hip_rocprim35transform_pair_of_input_iterators_tIiPsSB_NS8_12not_equal_toIsEEEEPiiNS8_4plusIiEEEE10hipError_tPvRmT1_T2_T3_mT4_P12ihipStream_tbEUlT_E0_NS1_11comp_targetILNS1_3genE2ELNS1_11target_archE906ELNS1_3gpuE6ELNS1_3repE0EEENS1_30default_config_static_selectorELNS0_4arch9wavefront6targetE1EEEvSL_
	.p2align	8
	.type	_ZN7rocprim17ROCPRIM_400000_NS6detail17trampoline_kernelINS0_14default_configENS1_22reduce_config_selectorIiEEZNS1_11reduce_implILb1ES3_N6thrust23THRUST_200600_302600_NS11hip_rocprim35transform_pair_of_input_iterators_tIiPsSB_NS8_12not_equal_toIsEEEEPiiNS8_4plusIiEEEE10hipError_tPvRmT1_T2_T3_mT4_P12ihipStream_tbEUlT_E0_NS1_11comp_targetILNS1_3genE2ELNS1_11target_archE906ELNS1_3gpuE6ELNS1_3repE0EEENS1_30default_config_static_selectorELNS0_4arch9wavefront6targetE1EEEvSL_,@function
_ZN7rocprim17ROCPRIM_400000_NS6detail17trampoline_kernelINS0_14default_configENS1_22reduce_config_selectorIiEEZNS1_11reduce_implILb1ES3_N6thrust23THRUST_200600_302600_NS11hip_rocprim35transform_pair_of_input_iterators_tIiPsSB_NS8_12not_equal_toIsEEEEPiiNS8_4plusIiEEEE10hipError_tPvRmT1_T2_T3_mT4_P12ihipStream_tbEUlT_E0_NS1_11comp_targetILNS1_3genE2ELNS1_11target_archE906ELNS1_3gpuE6ELNS1_3repE0EEENS1_30default_config_static_selectorELNS0_4arch9wavefront6targetE1EEEvSL_: ; @_ZN7rocprim17ROCPRIM_400000_NS6detail17trampoline_kernelINS0_14default_configENS1_22reduce_config_selectorIiEEZNS1_11reduce_implILb1ES3_N6thrust23THRUST_200600_302600_NS11hip_rocprim35transform_pair_of_input_iterators_tIiPsSB_NS8_12not_equal_toIsEEEEPiiNS8_4plusIiEEEE10hipError_tPvRmT1_T2_T3_mT4_P12ihipStream_tbEUlT_E0_NS1_11comp_targetILNS1_3genE2ELNS1_11target_archE906ELNS1_3gpuE6ELNS1_3repE0EEENS1_30default_config_static_selectorELNS0_4arch9wavefront6targetE1EEEvSL_
; %bb.0:
	.section	.rodata,"a",@progbits
	.p2align	6, 0x0
	.amdhsa_kernel _ZN7rocprim17ROCPRIM_400000_NS6detail17trampoline_kernelINS0_14default_configENS1_22reduce_config_selectorIiEEZNS1_11reduce_implILb1ES3_N6thrust23THRUST_200600_302600_NS11hip_rocprim35transform_pair_of_input_iterators_tIiPsSB_NS8_12not_equal_toIsEEEEPiiNS8_4plusIiEEEE10hipError_tPvRmT1_T2_T3_mT4_P12ihipStream_tbEUlT_E0_NS1_11comp_targetILNS1_3genE2ELNS1_11target_archE906ELNS1_3gpuE6ELNS1_3repE0EEENS1_30default_config_static_selectorELNS0_4arch9wavefront6targetE1EEEvSL_
		.amdhsa_group_segment_fixed_size 0
		.amdhsa_private_segment_fixed_size 0
		.amdhsa_kernarg_size 72
		.amdhsa_user_sgpr_count 6
		.amdhsa_user_sgpr_private_segment_buffer 1
		.amdhsa_user_sgpr_dispatch_ptr 0
		.amdhsa_user_sgpr_queue_ptr 0
		.amdhsa_user_sgpr_kernarg_segment_ptr 1
		.amdhsa_user_sgpr_dispatch_id 0
		.amdhsa_user_sgpr_flat_scratch_init 0
		.amdhsa_user_sgpr_kernarg_preload_length 0
		.amdhsa_user_sgpr_kernarg_preload_offset 0
		.amdhsa_user_sgpr_private_segment_size 0
		.amdhsa_uses_dynamic_stack 0
		.amdhsa_system_sgpr_private_segment_wavefront_offset 0
		.amdhsa_system_sgpr_workgroup_id_x 1
		.amdhsa_system_sgpr_workgroup_id_y 0
		.amdhsa_system_sgpr_workgroup_id_z 0
		.amdhsa_system_sgpr_workgroup_info 0
		.amdhsa_system_vgpr_workitem_id 0
		.amdhsa_next_free_vgpr 1
		.amdhsa_next_free_sgpr 0
		.amdhsa_accum_offset 4
		.amdhsa_reserve_vcc 0
		.amdhsa_reserve_flat_scratch 0
		.amdhsa_float_round_mode_32 0
		.amdhsa_float_round_mode_16_64 0
		.amdhsa_float_denorm_mode_32 3
		.amdhsa_float_denorm_mode_16_64 3
		.amdhsa_dx10_clamp 1
		.amdhsa_ieee_mode 1
		.amdhsa_fp16_overflow 0
		.amdhsa_tg_split 0
		.amdhsa_exception_fp_ieee_invalid_op 0
		.amdhsa_exception_fp_denorm_src 0
		.amdhsa_exception_fp_ieee_div_zero 0
		.amdhsa_exception_fp_ieee_overflow 0
		.amdhsa_exception_fp_ieee_underflow 0
		.amdhsa_exception_fp_ieee_inexact 0
		.amdhsa_exception_int_div_zero 0
	.end_amdhsa_kernel
	.section	.text._ZN7rocprim17ROCPRIM_400000_NS6detail17trampoline_kernelINS0_14default_configENS1_22reduce_config_selectorIiEEZNS1_11reduce_implILb1ES3_N6thrust23THRUST_200600_302600_NS11hip_rocprim35transform_pair_of_input_iterators_tIiPsSB_NS8_12not_equal_toIsEEEEPiiNS8_4plusIiEEEE10hipError_tPvRmT1_T2_T3_mT4_P12ihipStream_tbEUlT_E0_NS1_11comp_targetILNS1_3genE2ELNS1_11target_archE906ELNS1_3gpuE6ELNS1_3repE0EEENS1_30default_config_static_selectorELNS0_4arch9wavefront6targetE1EEEvSL_,"axG",@progbits,_ZN7rocprim17ROCPRIM_400000_NS6detail17trampoline_kernelINS0_14default_configENS1_22reduce_config_selectorIiEEZNS1_11reduce_implILb1ES3_N6thrust23THRUST_200600_302600_NS11hip_rocprim35transform_pair_of_input_iterators_tIiPsSB_NS8_12not_equal_toIsEEEEPiiNS8_4plusIiEEEE10hipError_tPvRmT1_T2_T3_mT4_P12ihipStream_tbEUlT_E0_NS1_11comp_targetILNS1_3genE2ELNS1_11target_archE906ELNS1_3gpuE6ELNS1_3repE0EEENS1_30default_config_static_selectorELNS0_4arch9wavefront6targetE1EEEvSL_,comdat
.Lfunc_end1456:
	.size	_ZN7rocprim17ROCPRIM_400000_NS6detail17trampoline_kernelINS0_14default_configENS1_22reduce_config_selectorIiEEZNS1_11reduce_implILb1ES3_N6thrust23THRUST_200600_302600_NS11hip_rocprim35transform_pair_of_input_iterators_tIiPsSB_NS8_12not_equal_toIsEEEEPiiNS8_4plusIiEEEE10hipError_tPvRmT1_T2_T3_mT4_P12ihipStream_tbEUlT_E0_NS1_11comp_targetILNS1_3genE2ELNS1_11target_archE906ELNS1_3gpuE6ELNS1_3repE0EEENS1_30default_config_static_selectorELNS0_4arch9wavefront6targetE1EEEvSL_, .Lfunc_end1456-_ZN7rocprim17ROCPRIM_400000_NS6detail17trampoline_kernelINS0_14default_configENS1_22reduce_config_selectorIiEEZNS1_11reduce_implILb1ES3_N6thrust23THRUST_200600_302600_NS11hip_rocprim35transform_pair_of_input_iterators_tIiPsSB_NS8_12not_equal_toIsEEEEPiiNS8_4plusIiEEEE10hipError_tPvRmT1_T2_T3_mT4_P12ihipStream_tbEUlT_E0_NS1_11comp_targetILNS1_3genE2ELNS1_11target_archE906ELNS1_3gpuE6ELNS1_3repE0EEENS1_30default_config_static_selectorELNS0_4arch9wavefront6targetE1EEEvSL_
                                        ; -- End function
	.section	.AMDGPU.csdata,"",@progbits
; Kernel info:
; codeLenInByte = 0
; NumSgprs: 4
; NumVgprs: 0
; NumAgprs: 0
; TotalNumVgprs: 0
; ScratchSize: 0
; MemoryBound: 0
; FloatMode: 240
; IeeeMode: 1
; LDSByteSize: 0 bytes/workgroup (compile time only)
; SGPRBlocks: 0
; VGPRBlocks: 0
; NumSGPRsForWavesPerEU: 4
; NumVGPRsForWavesPerEU: 1
; AccumOffset: 4
; Occupancy: 8
; WaveLimiterHint : 0
; COMPUTE_PGM_RSRC2:SCRATCH_EN: 0
; COMPUTE_PGM_RSRC2:USER_SGPR: 6
; COMPUTE_PGM_RSRC2:TRAP_HANDLER: 0
; COMPUTE_PGM_RSRC2:TGID_X_EN: 1
; COMPUTE_PGM_RSRC2:TGID_Y_EN: 0
; COMPUTE_PGM_RSRC2:TGID_Z_EN: 0
; COMPUTE_PGM_RSRC2:TIDIG_COMP_CNT: 0
; COMPUTE_PGM_RSRC3_GFX90A:ACCUM_OFFSET: 0
; COMPUTE_PGM_RSRC3_GFX90A:TG_SPLIT: 0
	.section	.text._ZN7rocprim17ROCPRIM_400000_NS6detail17trampoline_kernelINS0_14default_configENS1_22reduce_config_selectorIiEEZNS1_11reduce_implILb1ES3_N6thrust23THRUST_200600_302600_NS11hip_rocprim35transform_pair_of_input_iterators_tIiPsSB_NS8_12not_equal_toIsEEEEPiiNS8_4plusIiEEEE10hipError_tPvRmT1_T2_T3_mT4_P12ihipStream_tbEUlT_E0_NS1_11comp_targetILNS1_3genE10ELNS1_11target_archE1201ELNS1_3gpuE5ELNS1_3repE0EEENS1_30default_config_static_selectorELNS0_4arch9wavefront6targetE1EEEvSL_,"axG",@progbits,_ZN7rocprim17ROCPRIM_400000_NS6detail17trampoline_kernelINS0_14default_configENS1_22reduce_config_selectorIiEEZNS1_11reduce_implILb1ES3_N6thrust23THRUST_200600_302600_NS11hip_rocprim35transform_pair_of_input_iterators_tIiPsSB_NS8_12not_equal_toIsEEEEPiiNS8_4plusIiEEEE10hipError_tPvRmT1_T2_T3_mT4_P12ihipStream_tbEUlT_E0_NS1_11comp_targetILNS1_3genE10ELNS1_11target_archE1201ELNS1_3gpuE5ELNS1_3repE0EEENS1_30default_config_static_selectorELNS0_4arch9wavefront6targetE1EEEvSL_,comdat
	.protected	_ZN7rocprim17ROCPRIM_400000_NS6detail17trampoline_kernelINS0_14default_configENS1_22reduce_config_selectorIiEEZNS1_11reduce_implILb1ES3_N6thrust23THRUST_200600_302600_NS11hip_rocprim35transform_pair_of_input_iterators_tIiPsSB_NS8_12not_equal_toIsEEEEPiiNS8_4plusIiEEEE10hipError_tPvRmT1_T2_T3_mT4_P12ihipStream_tbEUlT_E0_NS1_11comp_targetILNS1_3genE10ELNS1_11target_archE1201ELNS1_3gpuE5ELNS1_3repE0EEENS1_30default_config_static_selectorELNS0_4arch9wavefront6targetE1EEEvSL_ ; -- Begin function _ZN7rocprim17ROCPRIM_400000_NS6detail17trampoline_kernelINS0_14default_configENS1_22reduce_config_selectorIiEEZNS1_11reduce_implILb1ES3_N6thrust23THRUST_200600_302600_NS11hip_rocprim35transform_pair_of_input_iterators_tIiPsSB_NS8_12not_equal_toIsEEEEPiiNS8_4plusIiEEEE10hipError_tPvRmT1_T2_T3_mT4_P12ihipStream_tbEUlT_E0_NS1_11comp_targetILNS1_3genE10ELNS1_11target_archE1201ELNS1_3gpuE5ELNS1_3repE0EEENS1_30default_config_static_selectorELNS0_4arch9wavefront6targetE1EEEvSL_
	.globl	_ZN7rocprim17ROCPRIM_400000_NS6detail17trampoline_kernelINS0_14default_configENS1_22reduce_config_selectorIiEEZNS1_11reduce_implILb1ES3_N6thrust23THRUST_200600_302600_NS11hip_rocprim35transform_pair_of_input_iterators_tIiPsSB_NS8_12not_equal_toIsEEEEPiiNS8_4plusIiEEEE10hipError_tPvRmT1_T2_T3_mT4_P12ihipStream_tbEUlT_E0_NS1_11comp_targetILNS1_3genE10ELNS1_11target_archE1201ELNS1_3gpuE5ELNS1_3repE0EEENS1_30default_config_static_selectorELNS0_4arch9wavefront6targetE1EEEvSL_
	.p2align	8
	.type	_ZN7rocprim17ROCPRIM_400000_NS6detail17trampoline_kernelINS0_14default_configENS1_22reduce_config_selectorIiEEZNS1_11reduce_implILb1ES3_N6thrust23THRUST_200600_302600_NS11hip_rocprim35transform_pair_of_input_iterators_tIiPsSB_NS8_12not_equal_toIsEEEEPiiNS8_4plusIiEEEE10hipError_tPvRmT1_T2_T3_mT4_P12ihipStream_tbEUlT_E0_NS1_11comp_targetILNS1_3genE10ELNS1_11target_archE1201ELNS1_3gpuE5ELNS1_3repE0EEENS1_30default_config_static_selectorELNS0_4arch9wavefront6targetE1EEEvSL_,@function
_ZN7rocprim17ROCPRIM_400000_NS6detail17trampoline_kernelINS0_14default_configENS1_22reduce_config_selectorIiEEZNS1_11reduce_implILb1ES3_N6thrust23THRUST_200600_302600_NS11hip_rocprim35transform_pair_of_input_iterators_tIiPsSB_NS8_12not_equal_toIsEEEEPiiNS8_4plusIiEEEE10hipError_tPvRmT1_T2_T3_mT4_P12ihipStream_tbEUlT_E0_NS1_11comp_targetILNS1_3genE10ELNS1_11target_archE1201ELNS1_3gpuE5ELNS1_3repE0EEENS1_30default_config_static_selectorELNS0_4arch9wavefront6targetE1EEEvSL_: ; @_ZN7rocprim17ROCPRIM_400000_NS6detail17trampoline_kernelINS0_14default_configENS1_22reduce_config_selectorIiEEZNS1_11reduce_implILb1ES3_N6thrust23THRUST_200600_302600_NS11hip_rocprim35transform_pair_of_input_iterators_tIiPsSB_NS8_12not_equal_toIsEEEEPiiNS8_4plusIiEEEE10hipError_tPvRmT1_T2_T3_mT4_P12ihipStream_tbEUlT_E0_NS1_11comp_targetILNS1_3genE10ELNS1_11target_archE1201ELNS1_3gpuE5ELNS1_3repE0EEENS1_30default_config_static_selectorELNS0_4arch9wavefront6targetE1EEEvSL_
; %bb.0:
	.section	.rodata,"a",@progbits
	.p2align	6, 0x0
	.amdhsa_kernel _ZN7rocprim17ROCPRIM_400000_NS6detail17trampoline_kernelINS0_14default_configENS1_22reduce_config_selectorIiEEZNS1_11reduce_implILb1ES3_N6thrust23THRUST_200600_302600_NS11hip_rocprim35transform_pair_of_input_iterators_tIiPsSB_NS8_12not_equal_toIsEEEEPiiNS8_4plusIiEEEE10hipError_tPvRmT1_T2_T3_mT4_P12ihipStream_tbEUlT_E0_NS1_11comp_targetILNS1_3genE10ELNS1_11target_archE1201ELNS1_3gpuE5ELNS1_3repE0EEENS1_30default_config_static_selectorELNS0_4arch9wavefront6targetE1EEEvSL_
		.amdhsa_group_segment_fixed_size 0
		.amdhsa_private_segment_fixed_size 0
		.amdhsa_kernarg_size 72
		.amdhsa_user_sgpr_count 6
		.amdhsa_user_sgpr_private_segment_buffer 1
		.amdhsa_user_sgpr_dispatch_ptr 0
		.amdhsa_user_sgpr_queue_ptr 0
		.amdhsa_user_sgpr_kernarg_segment_ptr 1
		.amdhsa_user_sgpr_dispatch_id 0
		.amdhsa_user_sgpr_flat_scratch_init 0
		.amdhsa_user_sgpr_kernarg_preload_length 0
		.amdhsa_user_sgpr_kernarg_preload_offset 0
		.amdhsa_user_sgpr_private_segment_size 0
		.amdhsa_uses_dynamic_stack 0
		.amdhsa_system_sgpr_private_segment_wavefront_offset 0
		.amdhsa_system_sgpr_workgroup_id_x 1
		.amdhsa_system_sgpr_workgroup_id_y 0
		.amdhsa_system_sgpr_workgroup_id_z 0
		.amdhsa_system_sgpr_workgroup_info 0
		.amdhsa_system_vgpr_workitem_id 0
		.amdhsa_next_free_vgpr 1
		.amdhsa_next_free_sgpr 0
		.amdhsa_accum_offset 4
		.amdhsa_reserve_vcc 0
		.amdhsa_reserve_flat_scratch 0
		.amdhsa_float_round_mode_32 0
		.amdhsa_float_round_mode_16_64 0
		.amdhsa_float_denorm_mode_32 3
		.amdhsa_float_denorm_mode_16_64 3
		.amdhsa_dx10_clamp 1
		.amdhsa_ieee_mode 1
		.amdhsa_fp16_overflow 0
		.amdhsa_tg_split 0
		.amdhsa_exception_fp_ieee_invalid_op 0
		.amdhsa_exception_fp_denorm_src 0
		.amdhsa_exception_fp_ieee_div_zero 0
		.amdhsa_exception_fp_ieee_overflow 0
		.amdhsa_exception_fp_ieee_underflow 0
		.amdhsa_exception_fp_ieee_inexact 0
		.amdhsa_exception_int_div_zero 0
	.end_amdhsa_kernel
	.section	.text._ZN7rocprim17ROCPRIM_400000_NS6detail17trampoline_kernelINS0_14default_configENS1_22reduce_config_selectorIiEEZNS1_11reduce_implILb1ES3_N6thrust23THRUST_200600_302600_NS11hip_rocprim35transform_pair_of_input_iterators_tIiPsSB_NS8_12not_equal_toIsEEEEPiiNS8_4plusIiEEEE10hipError_tPvRmT1_T2_T3_mT4_P12ihipStream_tbEUlT_E0_NS1_11comp_targetILNS1_3genE10ELNS1_11target_archE1201ELNS1_3gpuE5ELNS1_3repE0EEENS1_30default_config_static_selectorELNS0_4arch9wavefront6targetE1EEEvSL_,"axG",@progbits,_ZN7rocprim17ROCPRIM_400000_NS6detail17trampoline_kernelINS0_14default_configENS1_22reduce_config_selectorIiEEZNS1_11reduce_implILb1ES3_N6thrust23THRUST_200600_302600_NS11hip_rocprim35transform_pair_of_input_iterators_tIiPsSB_NS8_12not_equal_toIsEEEEPiiNS8_4plusIiEEEE10hipError_tPvRmT1_T2_T3_mT4_P12ihipStream_tbEUlT_E0_NS1_11comp_targetILNS1_3genE10ELNS1_11target_archE1201ELNS1_3gpuE5ELNS1_3repE0EEENS1_30default_config_static_selectorELNS0_4arch9wavefront6targetE1EEEvSL_,comdat
.Lfunc_end1457:
	.size	_ZN7rocprim17ROCPRIM_400000_NS6detail17trampoline_kernelINS0_14default_configENS1_22reduce_config_selectorIiEEZNS1_11reduce_implILb1ES3_N6thrust23THRUST_200600_302600_NS11hip_rocprim35transform_pair_of_input_iterators_tIiPsSB_NS8_12not_equal_toIsEEEEPiiNS8_4plusIiEEEE10hipError_tPvRmT1_T2_T3_mT4_P12ihipStream_tbEUlT_E0_NS1_11comp_targetILNS1_3genE10ELNS1_11target_archE1201ELNS1_3gpuE5ELNS1_3repE0EEENS1_30default_config_static_selectorELNS0_4arch9wavefront6targetE1EEEvSL_, .Lfunc_end1457-_ZN7rocprim17ROCPRIM_400000_NS6detail17trampoline_kernelINS0_14default_configENS1_22reduce_config_selectorIiEEZNS1_11reduce_implILb1ES3_N6thrust23THRUST_200600_302600_NS11hip_rocprim35transform_pair_of_input_iterators_tIiPsSB_NS8_12not_equal_toIsEEEEPiiNS8_4plusIiEEEE10hipError_tPvRmT1_T2_T3_mT4_P12ihipStream_tbEUlT_E0_NS1_11comp_targetILNS1_3genE10ELNS1_11target_archE1201ELNS1_3gpuE5ELNS1_3repE0EEENS1_30default_config_static_selectorELNS0_4arch9wavefront6targetE1EEEvSL_
                                        ; -- End function
	.section	.AMDGPU.csdata,"",@progbits
; Kernel info:
; codeLenInByte = 0
; NumSgprs: 4
; NumVgprs: 0
; NumAgprs: 0
; TotalNumVgprs: 0
; ScratchSize: 0
; MemoryBound: 0
; FloatMode: 240
; IeeeMode: 1
; LDSByteSize: 0 bytes/workgroup (compile time only)
; SGPRBlocks: 0
; VGPRBlocks: 0
; NumSGPRsForWavesPerEU: 4
; NumVGPRsForWavesPerEU: 1
; AccumOffset: 4
; Occupancy: 8
; WaveLimiterHint : 0
; COMPUTE_PGM_RSRC2:SCRATCH_EN: 0
; COMPUTE_PGM_RSRC2:USER_SGPR: 6
; COMPUTE_PGM_RSRC2:TRAP_HANDLER: 0
; COMPUTE_PGM_RSRC2:TGID_X_EN: 1
; COMPUTE_PGM_RSRC2:TGID_Y_EN: 0
; COMPUTE_PGM_RSRC2:TGID_Z_EN: 0
; COMPUTE_PGM_RSRC2:TIDIG_COMP_CNT: 0
; COMPUTE_PGM_RSRC3_GFX90A:ACCUM_OFFSET: 0
; COMPUTE_PGM_RSRC3_GFX90A:TG_SPLIT: 0
	.section	.text._ZN7rocprim17ROCPRIM_400000_NS6detail17trampoline_kernelINS0_14default_configENS1_22reduce_config_selectorIiEEZNS1_11reduce_implILb1ES3_N6thrust23THRUST_200600_302600_NS11hip_rocprim35transform_pair_of_input_iterators_tIiPsSB_NS8_12not_equal_toIsEEEEPiiNS8_4plusIiEEEE10hipError_tPvRmT1_T2_T3_mT4_P12ihipStream_tbEUlT_E0_NS1_11comp_targetILNS1_3genE10ELNS1_11target_archE1200ELNS1_3gpuE4ELNS1_3repE0EEENS1_30default_config_static_selectorELNS0_4arch9wavefront6targetE1EEEvSL_,"axG",@progbits,_ZN7rocprim17ROCPRIM_400000_NS6detail17trampoline_kernelINS0_14default_configENS1_22reduce_config_selectorIiEEZNS1_11reduce_implILb1ES3_N6thrust23THRUST_200600_302600_NS11hip_rocprim35transform_pair_of_input_iterators_tIiPsSB_NS8_12not_equal_toIsEEEEPiiNS8_4plusIiEEEE10hipError_tPvRmT1_T2_T3_mT4_P12ihipStream_tbEUlT_E0_NS1_11comp_targetILNS1_3genE10ELNS1_11target_archE1200ELNS1_3gpuE4ELNS1_3repE0EEENS1_30default_config_static_selectorELNS0_4arch9wavefront6targetE1EEEvSL_,comdat
	.protected	_ZN7rocprim17ROCPRIM_400000_NS6detail17trampoline_kernelINS0_14default_configENS1_22reduce_config_selectorIiEEZNS1_11reduce_implILb1ES3_N6thrust23THRUST_200600_302600_NS11hip_rocprim35transform_pair_of_input_iterators_tIiPsSB_NS8_12not_equal_toIsEEEEPiiNS8_4plusIiEEEE10hipError_tPvRmT1_T2_T3_mT4_P12ihipStream_tbEUlT_E0_NS1_11comp_targetILNS1_3genE10ELNS1_11target_archE1200ELNS1_3gpuE4ELNS1_3repE0EEENS1_30default_config_static_selectorELNS0_4arch9wavefront6targetE1EEEvSL_ ; -- Begin function _ZN7rocprim17ROCPRIM_400000_NS6detail17trampoline_kernelINS0_14default_configENS1_22reduce_config_selectorIiEEZNS1_11reduce_implILb1ES3_N6thrust23THRUST_200600_302600_NS11hip_rocprim35transform_pair_of_input_iterators_tIiPsSB_NS8_12not_equal_toIsEEEEPiiNS8_4plusIiEEEE10hipError_tPvRmT1_T2_T3_mT4_P12ihipStream_tbEUlT_E0_NS1_11comp_targetILNS1_3genE10ELNS1_11target_archE1200ELNS1_3gpuE4ELNS1_3repE0EEENS1_30default_config_static_selectorELNS0_4arch9wavefront6targetE1EEEvSL_
	.globl	_ZN7rocprim17ROCPRIM_400000_NS6detail17trampoline_kernelINS0_14default_configENS1_22reduce_config_selectorIiEEZNS1_11reduce_implILb1ES3_N6thrust23THRUST_200600_302600_NS11hip_rocprim35transform_pair_of_input_iterators_tIiPsSB_NS8_12not_equal_toIsEEEEPiiNS8_4plusIiEEEE10hipError_tPvRmT1_T2_T3_mT4_P12ihipStream_tbEUlT_E0_NS1_11comp_targetILNS1_3genE10ELNS1_11target_archE1200ELNS1_3gpuE4ELNS1_3repE0EEENS1_30default_config_static_selectorELNS0_4arch9wavefront6targetE1EEEvSL_
	.p2align	8
	.type	_ZN7rocprim17ROCPRIM_400000_NS6detail17trampoline_kernelINS0_14default_configENS1_22reduce_config_selectorIiEEZNS1_11reduce_implILb1ES3_N6thrust23THRUST_200600_302600_NS11hip_rocprim35transform_pair_of_input_iterators_tIiPsSB_NS8_12not_equal_toIsEEEEPiiNS8_4plusIiEEEE10hipError_tPvRmT1_T2_T3_mT4_P12ihipStream_tbEUlT_E0_NS1_11comp_targetILNS1_3genE10ELNS1_11target_archE1200ELNS1_3gpuE4ELNS1_3repE0EEENS1_30default_config_static_selectorELNS0_4arch9wavefront6targetE1EEEvSL_,@function
_ZN7rocprim17ROCPRIM_400000_NS6detail17trampoline_kernelINS0_14default_configENS1_22reduce_config_selectorIiEEZNS1_11reduce_implILb1ES3_N6thrust23THRUST_200600_302600_NS11hip_rocprim35transform_pair_of_input_iterators_tIiPsSB_NS8_12not_equal_toIsEEEEPiiNS8_4plusIiEEEE10hipError_tPvRmT1_T2_T3_mT4_P12ihipStream_tbEUlT_E0_NS1_11comp_targetILNS1_3genE10ELNS1_11target_archE1200ELNS1_3gpuE4ELNS1_3repE0EEENS1_30default_config_static_selectorELNS0_4arch9wavefront6targetE1EEEvSL_: ; @_ZN7rocprim17ROCPRIM_400000_NS6detail17trampoline_kernelINS0_14default_configENS1_22reduce_config_selectorIiEEZNS1_11reduce_implILb1ES3_N6thrust23THRUST_200600_302600_NS11hip_rocprim35transform_pair_of_input_iterators_tIiPsSB_NS8_12not_equal_toIsEEEEPiiNS8_4plusIiEEEE10hipError_tPvRmT1_T2_T3_mT4_P12ihipStream_tbEUlT_E0_NS1_11comp_targetILNS1_3genE10ELNS1_11target_archE1200ELNS1_3gpuE4ELNS1_3repE0EEENS1_30default_config_static_selectorELNS0_4arch9wavefront6targetE1EEEvSL_
; %bb.0:
	.section	.rodata,"a",@progbits
	.p2align	6, 0x0
	.amdhsa_kernel _ZN7rocprim17ROCPRIM_400000_NS6detail17trampoline_kernelINS0_14default_configENS1_22reduce_config_selectorIiEEZNS1_11reduce_implILb1ES3_N6thrust23THRUST_200600_302600_NS11hip_rocprim35transform_pair_of_input_iterators_tIiPsSB_NS8_12not_equal_toIsEEEEPiiNS8_4plusIiEEEE10hipError_tPvRmT1_T2_T3_mT4_P12ihipStream_tbEUlT_E0_NS1_11comp_targetILNS1_3genE10ELNS1_11target_archE1200ELNS1_3gpuE4ELNS1_3repE0EEENS1_30default_config_static_selectorELNS0_4arch9wavefront6targetE1EEEvSL_
		.amdhsa_group_segment_fixed_size 0
		.amdhsa_private_segment_fixed_size 0
		.amdhsa_kernarg_size 72
		.amdhsa_user_sgpr_count 6
		.amdhsa_user_sgpr_private_segment_buffer 1
		.amdhsa_user_sgpr_dispatch_ptr 0
		.amdhsa_user_sgpr_queue_ptr 0
		.amdhsa_user_sgpr_kernarg_segment_ptr 1
		.amdhsa_user_sgpr_dispatch_id 0
		.amdhsa_user_sgpr_flat_scratch_init 0
		.amdhsa_user_sgpr_kernarg_preload_length 0
		.amdhsa_user_sgpr_kernarg_preload_offset 0
		.amdhsa_user_sgpr_private_segment_size 0
		.amdhsa_uses_dynamic_stack 0
		.amdhsa_system_sgpr_private_segment_wavefront_offset 0
		.amdhsa_system_sgpr_workgroup_id_x 1
		.amdhsa_system_sgpr_workgroup_id_y 0
		.amdhsa_system_sgpr_workgroup_id_z 0
		.amdhsa_system_sgpr_workgroup_info 0
		.amdhsa_system_vgpr_workitem_id 0
		.amdhsa_next_free_vgpr 1
		.amdhsa_next_free_sgpr 0
		.amdhsa_accum_offset 4
		.amdhsa_reserve_vcc 0
		.amdhsa_reserve_flat_scratch 0
		.amdhsa_float_round_mode_32 0
		.amdhsa_float_round_mode_16_64 0
		.amdhsa_float_denorm_mode_32 3
		.amdhsa_float_denorm_mode_16_64 3
		.amdhsa_dx10_clamp 1
		.amdhsa_ieee_mode 1
		.amdhsa_fp16_overflow 0
		.amdhsa_tg_split 0
		.amdhsa_exception_fp_ieee_invalid_op 0
		.amdhsa_exception_fp_denorm_src 0
		.amdhsa_exception_fp_ieee_div_zero 0
		.amdhsa_exception_fp_ieee_overflow 0
		.amdhsa_exception_fp_ieee_underflow 0
		.amdhsa_exception_fp_ieee_inexact 0
		.amdhsa_exception_int_div_zero 0
	.end_amdhsa_kernel
	.section	.text._ZN7rocprim17ROCPRIM_400000_NS6detail17trampoline_kernelINS0_14default_configENS1_22reduce_config_selectorIiEEZNS1_11reduce_implILb1ES3_N6thrust23THRUST_200600_302600_NS11hip_rocprim35transform_pair_of_input_iterators_tIiPsSB_NS8_12not_equal_toIsEEEEPiiNS8_4plusIiEEEE10hipError_tPvRmT1_T2_T3_mT4_P12ihipStream_tbEUlT_E0_NS1_11comp_targetILNS1_3genE10ELNS1_11target_archE1200ELNS1_3gpuE4ELNS1_3repE0EEENS1_30default_config_static_selectorELNS0_4arch9wavefront6targetE1EEEvSL_,"axG",@progbits,_ZN7rocprim17ROCPRIM_400000_NS6detail17trampoline_kernelINS0_14default_configENS1_22reduce_config_selectorIiEEZNS1_11reduce_implILb1ES3_N6thrust23THRUST_200600_302600_NS11hip_rocprim35transform_pair_of_input_iterators_tIiPsSB_NS8_12not_equal_toIsEEEEPiiNS8_4plusIiEEEE10hipError_tPvRmT1_T2_T3_mT4_P12ihipStream_tbEUlT_E0_NS1_11comp_targetILNS1_3genE10ELNS1_11target_archE1200ELNS1_3gpuE4ELNS1_3repE0EEENS1_30default_config_static_selectorELNS0_4arch9wavefront6targetE1EEEvSL_,comdat
.Lfunc_end1458:
	.size	_ZN7rocprim17ROCPRIM_400000_NS6detail17trampoline_kernelINS0_14default_configENS1_22reduce_config_selectorIiEEZNS1_11reduce_implILb1ES3_N6thrust23THRUST_200600_302600_NS11hip_rocprim35transform_pair_of_input_iterators_tIiPsSB_NS8_12not_equal_toIsEEEEPiiNS8_4plusIiEEEE10hipError_tPvRmT1_T2_T3_mT4_P12ihipStream_tbEUlT_E0_NS1_11comp_targetILNS1_3genE10ELNS1_11target_archE1200ELNS1_3gpuE4ELNS1_3repE0EEENS1_30default_config_static_selectorELNS0_4arch9wavefront6targetE1EEEvSL_, .Lfunc_end1458-_ZN7rocprim17ROCPRIM_400000_NS6detail17trampoline_kernelINS0_14default_configENS1_22reduce_config_selectorIiEEZNS1_11reduce_implILb1ES3_N6thrust23THRUST_200600_302600_NS11hip_rocprim35transform_pair_of_input_iterators_tIiPsSB_NS8_12not_equal_toIsEEEEPiiNS8_4plusIiEEEE10hipError_tPvRmT1_T2_T3_mT4_P12ihipStream_tbEUlT_E0_NS1_11comp_targetILNS1_3genE10ELNS1_11target_archE1200ELNS1_3gpuE4ELNS1_3repE0EEENS1_30default_config_static_selectorELNS0_4arch9wavefront6targetE1EEEvSL_
                                        ; -- End function
	.section	.AMDGPU.csdata,"",@progbits
; Kernel info:
; codeLenInByte = 0
; NumSgprs: 4
; NumVgprs: 0
; NumAgprs: 0
; TotalNumVgprs: 0
; ScratchSize: 0
; MemoryBound: 0
; FloatMode: 240
; IeeeMode: 1
; LDSByteSize: 0 bytes/workgroup (compile time only)
; SGPRBlocks: 0
; VGPRBlocks: 0
; NumSGPRsForWavesPerEU: 4
; NumVGPRsForWavesPerEU: 1
; AccumOffset: 4
; Occupancy: 8
; WaveLimiterHint : 0
; COMPUTE_PGM_RSRC2:SCRATCH_EN: 0
; COMPUTE_PGM_RSRC2:USER_SGPR: 6
; COMPUTE_PGM_RSRC2:TRAP_HANDLER: 0
; COMPUTE_PGM_RSRC2:TGID_X_EN: 1
; COMPUTE_PGM_RSRC2:TGID_Y_EN: 0
; COMPUTE_PGM_RSRC2:TGID_Z_EN: 0
; COMPUTE_PGM_RSRC2:TIDIG_COMP_CNT: 0
; COMPUTE_PGM_RSRC3_GFX90A:ACCUM_OFFSET: 0
; COMPUTE_PGM_RSRC3_GFX90A:TG_SPLIT: 0
	.section	.text._ZN7rocprim17ROCPRIM_400000_NS6detail17trampoline_kernelINS0_14default_configENS1_22reduce_config_selectorIiEEZNS1_11reduce_implILb1ES3_N6thrust23THRUST_200600_302600_NS11hip_rocprim35transform_pair_of_input_iterators_tIiPsSB_NS8_12not_equal_toIsEEEEPiiNS8_4plusIiEEEE10hipError_tPvRmT1_T2_T3_mT4_P12ihipStream_tbEUlT_E0_NS1_11comp_targetILNS1_3genE9ELNS1_11target_archE1100ELNS1_3gpuE3ELNS1_3repE0EEENS1_30default_config_static_selectorELNS0_4arch9wavefront6targetE1EEEvSL_,"axG",@progbits,_ZN7rocprim17ROCPRIM_400000_NS6detail17trampoline_kernelINS0_14default_configENS1_22reduce_config_selectorIiEEZNS1_11reduce_implILb1ES3_N6thrust23THRUST_200600_302600_NS11hip_rocprim35transform_pair_of_input_iterators_tIiPsSB_NS8_12not_equal_toIsEEEEPiiNS8_4plusIiEEEE10hipError_tPvRmT1_T2_T3_mT4_P12ihipStream_tbEUlT_E0_NS1_11comp_targetILNS1_3genE9ELNS1_11target_archE1100ELNS1_3gpuE3ELNS1_3repE0EEENS1_30default_config_static_selectorELNS0_4arch9wavefront6targetE1EEEvSL_,comdat
	.protected	_ZN7rocprim17ROCPRIM_400000_NS6detail17trampoline_kernelINS0_14default_configENS1_22reduce_config_selectorIiEEZNS1_11reduce_implILb1ES3_N6thrust23THRUST_200600_302600_NS11hip_rocprim35transform_pair_of_input_iterators_tIiPsSB_NS8_12not_equal_toIsEEEEPiiNS8_4plusIiEEEE10hipError_tPvRmT1_T2_T3_mT4_P12ihipStream_tbEUlT_E0_NS1_11comp_targetILNS1_3genE9ELNS1_11target_archE1100ELNS1_3gpuE3ELNS1_3repE0EEENS1_30default_config_static_selectorELNS0_4arch9wavefront6targetE1EEEvSL_ ; -- Begin function _ZN7rocprim17ROCPRIM_400000_NS6detail17trampoline_kernelINS0_14default_configENS1_22reduce_config_selectorIiEEZNS1_11reduce_implILb1ES3_N6thrust23THRUST_200600_302600_NS11hip_rocprim35transform_pair_of_input_iterators_tIiPsSB_NS8_12not_equal_toIsEEEEPiiNS8_4plusIiEEEE10hipError_tPvRmT1_T2_T3_mT4_P12ihipStream_tbEUlT_E0_NS1_11comp_targetILNS1_3genE9ELNS1_11target_archE1100ELNS1_3gpuE3ELNS1_3repE0EEENS1_30default_config_static_selectorELNS0_4arch9wavefront6targetE1EEEvSL_
	.globl	_ZN7rocprim17ROCPRIM_400000_NS6detail17trampoline_kernelINS0_14default_configENS1_22reduce_config_selectorIiEEZNS1_11reduce_implILb1ES3_N6thrust23THRUST_200600_302600_NS11hip_rocprim35transform_pair_of_input_iterators_tIiPsSB_NS8_12not_equal_toIsEEEEPiiNS8_4plusIiEEEE10hipError_tPvRmT1_T2_T3_mT4_P12ihipStream_tbEUlT_E0_NS1_11comp_targetILNS1_3genE9ELNS1_11target_archE1100ELNS1_3gpuE3ELNS1_3repE0EEENS1_30default_config_static_selectorELNS0_4arch9wavefront6targetE1EEEvSL_
	.p2align	8
	.type	_ZN7rocprim17ROCPRIM_400000_NS6detail17trampoline_kernelINS0_14default_configENS1_22reduce_config_selectorIiEEZNS1_11reduce_implILb1ES3_N6thrust23THRUST_200600_302600_NS11hip_rocprim35transform_pair_of_input_iterators_tIiPsSB_NS8_12not_equal_toIsEEEEPiiNS8_4plusIiEEEE10hipError_tPvRmT1_T2_T3_mT4_P12ihipStream_tbEUlT_E0_NS1_11comp_targetILNS1_3genE9ELNS1_11target_archE1100ELNS1_3gpuE3ELNS1_3repE0EEENS1_30default_config_static_selectorELNS0_4arch9wavefront6targetE1EEEvSL_,@function
_ZN7rocprim17ROCPRIM_400000_NS6detail17trampoline_kernelINS0_14default_configENS1_22reduce_config_selectorIiEEZNS1_11reduce_implILb1ES3_N6thrust23THRUST_200600_302600_NS11hip_rocprim35transform_pair_of_input_iterators_tIiPsSB_NS8_12not_equal_toIsEEEEPiiNS8_4plusIiEEEE10hipError_tPvRmT1_T2_T3_mT4_P12ihipStream_tbEUlT_E0_NS1_11comp_targetILNS1_3genE9ELNS1_11target_archE1100ELNS1_3gpuE3ELNS1_3repE0EEENS1_30default_config_static_selectorELNS0_4arch9wavefront6targetE1EEEvSL_: ; @_ZN7rocprim17ROCPRIM_400000_NS6detail17trampoline_kernelINS0_14default_configENS1_22reduce_config_selectorIiEEZNS1_11reduce_implILb1ES3_N6thrust23THRUST_200600_302600_NS11hip_rocprim35transform_pair_of_input_iterators_tIiPsSB_NS8_12not_equal_toIsEEEEPiiNS8_4plusIiEEEE10hipError_tPvRmT1_T2_T3_mT4_P12ihipStream_tbEUlT_E0_NS1_11comp_targetILNS1_3genE9ELNS1_11target_archE1100ELNS1_3gpuE3ELNS1_3repE0EEENS1_30default_config_static_selectorELNS0_4arch9wavefront6targetE1EEEvSL_
; %bb.0:
	.section	.rodata,"a",@progbits
	.p2align	6, 0x0
	.amdhsa_kernel _ZN7rocprim17ROCPRIM_400000_NS6detail17trampoline_kernelINS0_14default_configENS1_22reduce_config_selectorIiEEZNS1_11reduce_implILb1ES3_N6thrust23THRUST_200600_302600_NS11hip_rocprim35transform_pair_of_input_iterators_tIiPsSB_NS8_12not_equal_toIsEEEEPiiNS8_4plusIiEEEE10hipError_tPvRmT1_T2_T3_mT4_P12ihipStream_tbEUlT_E0_NS1_11comp_targetILNS1_3genE9ELNS1_11target_archE1100ELNS1_3gpuE3ELNS1_3repE0EEENS1_30default_config_static_selectorELNS0_4arch9wavefront6targetE1EEEvSL_
		.amdhsa_group_segment_fixed_size 0
		.amdhsa_private_segment_fixed_size 0
		.amdhsa_kernarg_size 72
		.amdhsa_user_sgpr_count 6
		.amdhsa_user_sgpr_private_segment_buffer 1
		.amdhsa_user_sgpr_dispatch_ptr 0
		.amdhsa_user_sgpr_queue_ptr 0
		.amdhsa_user_sgpr_kernarg_segment_ptr 1
		.amdhsa_user_sgpr_dispatch_id 0
		.amdhsa_user_sgpr_flat_scratch_init 0
		.amdhsa_user_sgpr_kernarg_preload_length 0
		.amdhsa_user_sgpr_kernarg_preload_offset 0
		.amdhsa_user_sgpr_private_segment_size 0
		.amdhsa_uses_dynamic_stack 0
		.amdhsa_system_sgpr_private_segment_wavefront_offset 0
		.amdhsa_system_sgpr_workgroup_id_x 1
		.amdhsa_system_sgpr_workgroup_id_y 0
		.amdhsa_system_sgpr_workgroup_id_z 0
		.amdhsa_system_sgpr_workgroup_info 0
		.amdhsa_system_vgpr_workitem_id 0
		.amdhsa_next_free_vgpr 1
		.amdhsa_next_free_sgpr 0
		.amdhsa_accum_offset 4
		.amdhsa_reserve_vcc 0
		.amdhsa_reserve_flat_scratch 0
		.amdhsa_float_round_mode_32 0
		.amdhsa_float_round_mode_16_64 0
		.amdhsa_float_denorm_mode_32 3
		.amdhsa_float_denorm_mode_16_64 3
		.amdhsa_dx10_clamp 1
		.amdhsa_ieee_mode 1
		.amdhsa_fp16_overflow 0
		.amdhsa_tg_split 0
		.amdhsa_exception_fp_ieee_invalid_op 0
		.amdhsa_exception_fp_denorm_src 0
		.amdhsa_exception_fp_ieee_div_zero 0
		.amdhsa_exception_fp_ieee_overflow 0
		.amdhsa_exception_fp_ieee_underflow 0
		.amdhsa_exception_fp_ieee_inexact 0
		.amdhsa_exception_int_div_zero 0
	.end_amdhsa_kernel
	.section	.text._ZN7rocprim17ROCPRIM_400000_NS6detail17trampoline_kernelINS0_14default_configENS1_22reduce_config_selectorIiEEZNS1_11reduce_implILb1ES3_N6thrust23THRUST_200600_302600_NS11hip_rocprim35transform_pair_of_input_iterators_tIiPsSB_NS8_12not_equal_toIsEEEEPiiNS8_4plusIiEEEE10hipError_tPvRmT1_T2_T3_mT4_P12ihipStream_tbEUlT_E0_NS1_11comp_targetILNS1_3genE9ELNS1_11target_archE1100ELNS1_3gpuE3ELNS1_3repE0EEENS1_30default_config_static_selectorELNS0_4arch9wavefront6targetE1EEEvSL_,"axG",@progbits,_ZN7rocprim17ROCPRIM_400000_NS6detail17trampoline_kernelINS0_14default_configENS1_22reduce_config_selectorIiEEZNS1_11reduce_implILb1ES3_N6thrust23THRUST_200600_302600_NS11hip_rocprim35transform_pair_of_input_iterators_tIiPsSB_NS8_12not_equal_toIsEEEEPiiNS8_4plusIiEEEE10hipError_tPvRmT1_T2_T3_mT4_P12ihipStream_tbEUlT_E0_NS1_11comp_targetILNS1_3genE9ELNS1_11target_archE1100ELNS1_3gpuE3ELNS1_3repE0EEENS1_30default_config_static_selectorELNS0_4arch9wavefront6targetE1EEEvSL_,comdat
.Lfunc_end1459:
	.size	_ZN7rocprim17ROCPRIM_400000_NS6detail17trampoline_kernelINS0_14default_configENS1_22reduce_config_selectorIiEEZNS1_11reduce_implILb1ES3_N6thrust23THRUST_200600_302600_NS11hip_rocprim35transform_pair_of_input_iterators_tIiPsSB_NS8_12not_equal_toIsEEEEPiiNS8_4plusIiEEEE10hipError_tPvRmT1_T2_T3_mT4_P12ihipStream_tbEUlT_E0_NS1_11comp_targetILNS1_3genE9ELNS1_11target_archE1100ELNS1_3gpuE3ELNS1_3repE0EEENS1_30default_config_static_selectorELNS0_4arch9wavefront6targetE1EEEvSL_, .Lfunc_end1459-_ZN7rocprim17ROCPRIM_400000_NS6detail17trampoline_kernelINS0_14default_configENS1_22reduce_config_selectorIiEEZNS1_11reduce_implILb1ES3_N6thrust23THRUST_200600_302600_NS11hip_rocprim35transform_pair_of_input_iterators_tIiPsSB_NS8_12not_equal_toIsEEEEPiiNS8_4plusIiEEEE10hipError_tPvRmT1_T2_T3_mT4_P12ihipStream_tbEUlT_E0_NS1_11comp_targetILNS1_3genE9ELNS1_11target_archE1100ELNS1_3gpuE3ELNS1_3repE0EEENS1_30default_config_static_selectorELNS0_4arch9wavefront6targetE1EEEvSL_
                                        ; -- End function
	.section	.AMDGPU.csdata,"",@progbits
; Kernel info:
; codeLenInByte = 0
; NumSgprs: 4
; NumVgprs: 0
; NumAgprs: 0
; TotalNumVgprs: 0
; ScratchSize: 0
; MemoryBound: 0
; FloatMode: 240
; IeeeMode: 1
; LDSByteSize: 0 bytes/workgroup (compile time only)
; SGPRBlocks: 0
; VGPRBlocks: 0
; NumSGPRsForWavesPerEU: 4
; NumVGPRsForWavesPerEU: 1
; AccumOffset: 4
; Occupancy: 8
; WaveLimiterHint : 0
; COMPUTE_PGM_RSRC2:SCRATCH_EN: 0
; COMPUTE_PGM_RSRC2:USER_SGPR: 6
; COMPUTE_PGM_RSRC2:TRAP_HANDLER: 0
; COMPUTE_PGM_RSRC2:TGID_X_EN: 1
; COMPUTE_PGM_RSRC2:TGID_Y_EN: 0
; COMPUTE_PGM_RSRC2:TGID_Z_EN: 0
; COMPUTE_PGM_RSRC2:TIDIG_COMP_CNT: 0
; COMPUTE_PGM_RSRC3_GFX90A:ACCUM_OFFSET: 0
; COMPUTE_PGM_RSRC3_GFX90A:TG_SPLIT: 0
	.section	.text._ZN7rocprim17ROCPRIM_400000_NS6detail17trampoline_kernelINS0_14default_configENS1_22reduce_config_selectorIiEEZNS1_11reduce_implILb1ES3_N6thrust23THRUST_200600_302600_NS11hip_rocprim35transform_pair_of_input_iterators_tIiPsSB_NS8_12not_equal_toIsEEEEPiiNS8_4plusIiEEEE10hipError_tPvRmT1_T2_T3_mT4_P12ihipStream_tbEUlT_E0_NS1_11comp_targetILNS1_3genE8ELNS1_11target_archE1030ELNS1_3gpuE2ELNS1_3repE0EEENS1_30default_config_static_selectorELNS0_4arch9wavefront6targetE1EEEvSL_,"axG",@progbits,_ZN7rocprim17ROCPRIM_400000_NS6detail17trampoline_kernelINS0_14default_configENS1_22reduce_config_selectorIiEEZNS1_11reduce_implILb1ES3_N6thrust23THRUST_200600_302600_NS11hip_rocprim35transform_pair_of_input_iterators_tIiPsSB_NS8_12not_equal_toIsEEEEPiiNS8_4plusIiEEEE10hipError_tPvRmT1_T2_T3_mT4_P12ihipStream_tbEUlT_E0_NS1_11comp_targetILNS1_3genE8ELNS1_11target_archE1030ELNS1_3gpuE2ELNS1_3repE0EEENS1_30default_config_static_selectorELNS0_4arch9wavefront6targetE1EEEvSL_,comdat
	.protected	_ZN7rocprim17ROCPRIM_400000_NS6detail17trampoline_kernelINS0_14default_configENS1_22reduce_config_selectorIiEEZNS1_11reduce_implILb1ES3_N6thrust23THRUST_200600_302600_NS11hip_rocprim35transform_pair_of_input_iterators_tIiPsSB_NS8_12not_equal_toIsEEEEPiiNS8_4plusIiEEEE10hipError_tPvRmT1_T2_T3_mT4_P12ihipStream_tbEUlT_E0_NS1_11comp_targetILNS1_3genE8ELNS1_11target_archE1030ELNS1_3gpuE2ELNS1_3repE0EEENS1_30default_config_static_selectorELNS0_4arch9wavefront6targetE1EEEvSL_ ; -- Begin function _ZN7rocprim17ROCPRIM_400000_NS6detail17trampoline_kernelINS0_14default_configENS1_22reduce_config_selectorIiEEZNS1_11reduce_implILb1ES3_N6thrust23THRUST_200600_302600_NS11hip_rocprim35transform_pair_of_input_iterators_tIiPsSB_NS8_12not_equal_toIsEEEEPiiNS8_4plusIiEEEE10hipError_tPvRmT1_T2_T3_mT4_P12ihipStream_tbEUlT_E0_NS1_11comp_targetILNS1_3genE8ELNS1_11target_archE1030ELNS1_3gpuE2ELNS1_3repE0EEENS1_30default_config_static_selectorELNS0_4arch9wavefront6targetE1EEEvSL_
	.globl	_ZN7rocprim17ROCPRIM_400000_NS6detail17trampoline_kernelINS0_14default_configENS1_22reduce_config_selectorIiEEZNS1_11reduce_implILb1ES3_N6thrust23THRUST_200600_302600_NS11hip_rocprim35transform_pair_of_input_iterators_tIiPsSB_NS8_12not_equal_toIsEEEEPiiNS8_4plusIiEEEE10hipError_tPvRmT1_T2_T3_mT4_P12ihipStream_tbEUlT_E0_NS1_11comp_targetILNS1_3genE8ELNS1_11target_archE1030ELNS1_3gpuE2ELNS1_3repE0EEENS1_30default_config_static_selectorELNS0_4arch9wavefront6targetE1EEEvSL_
	.p2align	8
	.type	_ZN7rocprim17ROCPRIM_400000_NS6detail17trampoline_kernelINS0_14default_configENS1_22reduce_config_selectorIiEEZNS1_11reduce_implILb1ES3_N6thrust23THRUST_200600_302600_NS11hip_rocprim35transform_pair_of_input_iterators_tIiPsSB_NS8_12not_equal_toIsEEEEPiiNS8_4plusIiEEEE10hipError_tPvRmT1_T2_T3_mT4_P12ihipStream_tbEUlT_E0_NS1_11comp_targetILNS1_3genE8ELNS1_11target_archE1030ELNS1_3gpuE2ELNS1_3repE0EEENS1_30default_config_static_selectorELNS0_4arch9wavefront6targetE1EEEvSL_,@function
_ZN7rocprim17ROCPRIM_400000_NS6detail17trampoline_kernelINS0_14default_configENS1_22reduce_config_selectorIiEEZNS1_11reduce_implILb1ES3_N6thrust23THRUST_200600_302600_NS11hip_rocprim35transform_pair_of_input_iterators_tIiPsSB_NS8_12not_equal_toIsEEEEPiiNS8_4plusIiEEEE10hipError_tPvRmT1_T2_T3_mT4_P12ihipStream_tbEUlT_E0_NS1_11comp_targetILNS1_3genE8ELNS1_11target_archE1030ELNS1_3gpuE2ELNS1_3repE0EEENS1_30default_config_static_selectorELNS0_4arch9wavefront6targetE1EEEvSL_: ; @_ZN7rocprim17ROCPRIM_400000_NS6detail17trampoline_kernelINS0_14default_configENS1_22reduce_config_selectorIiEEZNS1_11reduce_implILb1ES3_N6thrust23THRUST_200600_302600_NS11hip_rocprim35transform_pair_of_input_iterators_tIiPsSB_NS8_12not_equal_toIsEEEEPiiNS8_4plusIiEEEE10hipError_tPvRmT1_T2_T3_mT4_P12ihipStream_tbEUlT_E0_NS1_11comp_targetILNS1_3genE8ELNS1_11target_archE1030ELNS1_3gpuE2ELNS1_3repE0EEENS1_30default_config_static_selectorELNS0_4arch9wavefront6targetE1EEEvSL_
; %bb.0:
	.section	.rodata,"a",@progbits
	.p2align	6, 0x0
	.amdhsa_kernel _ZN7rocprim17ROCPRIM_400000_NS6detail17trampoline_kernelINS0_14default_configENS1_22reduce_config_selectorIiEEZNS1_11reduce_implILb1ES3_N6thrust23THRUST_200600_302600_NS11hip_rocprim35transform_pair_of_input_iterators_tIiPsSB_NS8_12not_equal_toIsEEEEPiiNS8_4plusIiEEEE10hipError_tPvRmT1_T2_T3_mT4_P12ihipStream_tbEUlT_E0_NS1_11comp_targetILNS1_3genE8ELNS1_11target_archE1030ELNS1_3gpuE2ELNS1_3repE0EEENS1_30default_config_static_selectorELNS0_4arch9wavefront6targetE1EEEvSL_
		.amdhsa_group_segment_fixed_size 0
		.amdhsa_private_segment_fixed_size 0
		.amdhsa_kernarg_size 72
		.amdhsa_user_sgpr_count 6
		.amdhsa_user_sgpr_private_segment_buffer 1
		.amdhsa_user_sgpr_dispatch_ptr 0
		.amdhsa_user_sgpr_queue_ptr 0
		.amdhsa_user_sgpr_kernarg_segment_ptr 1
		.amdhsa_user_sgpr_dispatch_id 0
		.amdhsa_user_sgpr_flat_scratch_init 0
		.amdhsa_user_sgpr_kernarg_preload_length 0
		.amdhsa_user_sgpr_kernarg_preload_offset 0
		.amdhsa_user_sgpr_private_segment_size 0
		.amdhsa_uses_dynamic_stack 0
		.amdhsa_system_sgpr_private_segment_wavefront_offset 0
		.amdhsa_system_sgpr_workgroup_id_x 1
		.amdhsa_system_sgpr_workgroup_id_y 0
		.amdhsa_system_sgpr_workgroup_id_z 0
		.amdhsa_system_sgpr_workgroup_info 0
		.amdhsa_system_vgpr_workitem_id 0
		.amdhsa_next_free_vgpr 1
		.amdhsa_next_free_sgpr 0
		.amdhsa_accum_offset 4
		.amdhsa_reserve_vcc 0
		.amdhsa_reserve_flat_scratch 0
		.amdhsa_float_round_mode_32 0
		.amdhsa_float_round_mode_16_64 0
		.amdhsa_float_denorm_mode_32 3
		.amdhsa_float_denorm_mode_16_64 3
		.amdhsa_dx10_clamp 1
		.amdhsa_ieee_mode 1
		.amdhsa_fp16_overflow 0
		.amdhsa_tg_split 0
		.amdhsa_exception_fp_ieee_invalid_op 0
		.amdhsa_exception_fp_denorm_src 0
		.amdhsa_exception_fp_ieee_div_zero 0
		.amdhsa_exception_fp_ieee_overflow 0
		.amdhsa_exception_fp_ieee_underflow 0
		.amdhsa_exception_fp_ieee_inexact 0
		.amdhsa_exception_int_div_zero 0
	.end_amdhsa_kernel
	.section	.text._ZN7rocprim17ROCPRIM_400000_NS6detail17trampoline_kernelINS0_14default_configENS1_22reduce_config_selectorIiEEZNS1_11reduce_implILb1ES3_N6thrust23THRUST_200600_302600_NS11hip_rocprim35transform_pair_of_input_iterators_tIiPsSB_NS8_12not_equal_toIsEEEEPiiNS8_4plusIiEEEE10hipError_tPvRmT1_T2_T3_mT4_P12ihipStream_tbEUlT_E0_NS1_11comp_targetILNS1_3genE8ELNS1_11target_archE1030ELNS1_3gpuE2ELNS1_3repE0EEENS1_30default_config_static_selectorELNS0_4arch9wavefront6targetE1EEEvSL_,"axG",@progbits,_ZN7rocprim17ROCPRIM_400000_NS6detail17trampoline_kernelINS0_14default_configENS1_22reduce_config_selectorIiEEZNS1_11reduce_implILb1ES3_N6thrust23THRUST_200600_302600_NS11hip_rocprim35transform_pair_of_input_iterators_tIiPsSB_NS8_12not_equal_toIsEEEEPiiNS8_4plusIiEEEE10hipError_tPvRmT1_T2_T3_mT4_P12ihipStream_tbEUlT_E0_NS1_11comp_targetILNS1_3genE8ELNS1_11target_archE1030ELNS1_3gpuE2ELNS1_3repE0EEENS1_30default_config_static_selectorELNS0_4arch9wavefront6targetE1EEEvSL_,comdat
.Lfunc_end1460:
	.size	_ZN7rocprim17ROCPRIM_400000_NS6detail17trampoline_kernelINS0_14default_configENS1_22reduce_config_selectorIiEEZNS1_11reduce_implILb1ES3_N6thrust23THRUST_200600_302600_NS11hip_rocprim35transform_pair_of_input_iterators_tIiPsSB_NS8_12not_equal_toIsEEEEPiiNS8_4plusIiEEEE10hipError_tPvRmT1_T2_T3_mT4_P12ihipStream_tbEUlT_E0_NS1_11comp_targetILNS1_3genE8ELNS1_11target_archE1030ELNS1_3gpuE2ELNS1_3repE0EEENS1_30default_config_static_selectorELNS0_4arch9wavefront6targetE1EEEvSL_, .Lfunc_end1460-_ZN7rocprim17ROCPRIM_400000_NS6detail17trampoline_kernelINS0_14default_configENS1_22reduce_config_selectorIiEEZNS1_11reduce_implILb1ES3_N6thrust23THRUST_200600_302600_NS11hip_rocprim35transform_pair_of_input_iterators_tIiPsSB_NS8_12not_equal_toIsEEEEPiiNS8_4plusIiEEEE10hipError_tPvRmT1_T2_T3_mT4_P12ihipStream_tbEUlT_E0_NS1_11comp_targetILNS1_3genE8ELNS1_11target_archE1030ELNS1_3gpuE2ELNS1_3repE0EEENS1_30default_config_static_selectorELNS0_4arch9wavefront6targetE1EEEvSL_
                                        ; -- End function
	.section	.AMDGPU.csdata,"",@progbits
; Kernel info:
; codeLenInByte = 0
; NumSgprs: 4
; NumVgprs: 0
; NumAgprs: 0
; TotalNumVgprs: 0
; ScratchSize: 0
; MemoryBound: 0
; FloatMode: 240
; IeeeMode: 1
; LDSByteSize: 0 bytes/workgroup (compile time only)
; SGPRBlocks: 0
; VGPRBlocks: 0
; NumSGPRsForWavesPerEU: 4
; NumVGPRsForWavesPerEU: 1
; AccumOffset: 4
; Occupancy: 8
; WaveLimiterHint : 0
; COMPUTE_PGM_RSRC2:SCRATCH_EN: 0
; COMPUTE_PGM_RSRC2:USER_SGPR: 6
; COMPUTE_PGM_RSRC2:TRAP_HANDLER: 0
; COMPUTE_PGM_RSRC2:TGID_X_EN: 1
; COMPUTE_PGM_RSRC2:TGID_Y_EN: 0
; COMPUTE_PGM_RSRC2:TGID_Z_EN: 0
; COMPUTE_PGM_RSRC2:TIDIG_COMP_CNT: 0
; COMPUTE_PGM_RSRC3_GFX90A:ACCUM_OFFSET: 0
; COMPUTE_PGM_RSRC3_GFX90A:TG_SPLIT: 0
	.section	.text._ZN7rocprim17ROCPRIM_400000_NS6detail17trampoline_kernelINS0_14default_configENS1_22reduce_config_selectorIiEEZNS1_11reduce_implILb1ES3_N6thrust23THRUST_200600_302600_NS11hip_rocprim35transform_pair_of_input_iterators_tIiPsSB_NS8_12not_equal_toIsEEEEPiiNS8_4plusIiEEEE10hipError_tPvRmT1_T2_T3_mT4_P12ihipStream_tbEUlT_E1_NS1_11comp_targetILNS1_3genE0ELNS1_11target_archE4294967295ELNS1_3gpuE0ELNS1_3repE0EEENS1_30default_config_static_selectorELNS0_4arch9wavefront6targetE1EEEvSL_,"axG",@progbits,_ZN7rocprim17ROCPRIM_400000_NS6detail17trampoline_kernelINS0_14default_configENS1_22reduce_config_selectorIiEEZNS1_11reduce_implILb1ES3_N6thrust23THRUST_200600_302600_NS11hip_rocprim35transform_pair_of_input_iterators_tIiPsSB_NS8_12not_equal_toIsEEEEPiiNS8_4plusIiEEEE10hipError_tPvRmT1_T2_T3_mT4_P12ihipStream_tbEUlT_E1_NS1_11comp_targetILNS1_3genE0ELNS1_11target_archE4294967295ELNS1_3gpuE0ELNS1_3repE0EEENS1_30default_config_static_selectorELNS0_4arch9wavefront6targetE1EEEvSL_,comdat
	.protected	_ZN7rocprim17ROCPRIM_400000_NS6detail17trampoline_kernelINS0_14default_configENS1_22reduce_config_selectorIiEEZNS1_11reduce_implILb1ES3_N6thrust23THRUST_200600_302600_NS11hip_rocprim35transform_pair_of_input_iterators_tIiPsSB_NS8_12not_equal_toIsEEEEPiiNS8_4plusIiEEEE10hipError_tPvRmT1_T2_T3_mT4_P12ihipStream_tbEUlT_E1_NS1_11comp_targetILNS1_3genE0ELNS1_11target_archE4294967295ELNS1_3gpuE0ELNS1_3repE0EEENS1_30default_config_static_selectorELNS0_4arch9wavefront6targetE1EEEvSL_ ; -- Begin function _ZN7rocprim17ROCPRIM_400000_NS6detail17trampoline_kernelINS0_14default_configENS1_22reduce_config_selectorIiEEZNS1_11reduce_implILb1ES3_N6thrust23THRUST_200600_302600_NS11hip_rocprim35transform_pair_of_input_iterators_tIiPsSB_NS8_12not_equal_toIsEEEEPiiNS8_4plusIiEEEE10hipError_tPvRmT1_T2_T3_mT4_P12ihipStream_tbEUlT_E1_NS1_11comp_targetILNS1_3genE0ELNS1_11target_archE4294967295ELNS1_3gpuE0ELNS1_3repE0EEENS1_30default_config_static_selectorELNS0_4arch9wavefront6targetE1EEEvSL_
	.globl	_ZN7rocprim17ROCPRIM_400000_NS6detail17trampoline_kernelINS0_14default_configENS1_22reduce_config_selectorIiEEZNS1_11reduce_implILb1ES3_N6thrust23THRUST_200600_302600_NS11hip_rocprim35transform_pair_of_input_iterators_tIiPsSB_NS8_12not_equal_toIsEEEEPiiNS8_4plusIiEEEE10hipError_tPvRmT1_T2_T3_mT4_P12ihipStream_tbEUlT_E1_NS1_11comp_targetILNS1_3genE0ELNS1_11target_archE4294967295ELNS1_3gpuE0ELNS1_3repE0EEENS1_30default_config_static_selectorELNS0_4arch9wavefront6targetE1EEEvSL_
	.p2align	8
	.type	_ZN7rocprim17ROCPRIM_400000_NS6detail17trampoline_kernelINS0_14default_configENS1_22reduce_config_selectorIiEEZNS1_11reduce_implILb1ES3_N6thrust23THRUST_200600_302600_NS11hip_rocprim35transform_pair_of_input_iterators_tIiPsSB_NS8_12not_equal_toIsEEEEPiiNS8_4plusIiEEEE10hipError_tPvRmT1_T2_T3_mT4_P12ihipStream_tbEUlT_E1_NS1_11comp_targetILNS1_3genE0ELNS1_11target_archE4294967295ELNS1_3gpuE0ELNS1_3repE0EEENS1_30default_config_static_selectorELNS0_4arch9wavefront6targetE1EEEvSL_,@function
_ZN7rocprim17ROCPRIM_400000_NS6detail17trampoline_kernelINS0_14default_configENS1_22reduce_config_selectorIiEEZNS1_11reduce_implILb1ES3_N6thrust23THRUST_200600_302600_NS11hip_rocprim35transform_pair_of_input_iterators_tIiPsSB_NS8_12not_equal_toIsEEEEPiiNS8_4plusIiEEEE10hipError_tPvRmT1_T2_T3_mT4_P12ihipStream_tbEUlT_E1_NS1_11comp_targetILNS1_3genE0ELNS1_11target_archE4294967295ELNS1_3gpuE0ELNS1_3repE0EEENS1_30default_config_static_selectorELNS0_4arch9wavefront6targetE1EEEvSL_: ; @_ZN7rocprim17ROCPRIM_400000_NS6detail17trampoline_kernelINS0_14default_configENS1_22reduce_config_selectorIiEEZNS1_11reduce_implILb1ES3_N6thrust23THRUST_200600_302600_NS11hip_rocprim35transform_pair_of_input_iterators_tIiPsSB_NS8_12not_equal_toIsEEEEPiiNS8_4plusIiEEEE10hipError_tPvRmT1_T2_T3_mT4_P12ihipStream_tbEUlT_E1_NS1_11comp_targetILNS1_3genE0ELNS1_11target_archE4294967295ELNS1_3gpuE0ELNS1_3repE0EEENS1_30default_config_static_selectorELNS0_4arch9wavefront6targetE1EEEvSL_
; %bb.0:
	.section	.rodata,"a",@progbits
	.p2align	6, 0x0
	.amdhsa_kernel _ZN7rocprim17ROCPRIM_400000_NS6detail17trampoline_kernelINS0_14default_configENS1_22reduce_config_selectorIiEEZNS1_11reduce_implILb1ES3_N6thrust23THRUST_200600_302600_NS11hip_rocprim35transform_pair_of_input_iterators_tIiPsSB_NS8_12not_equal_toIsEEEEPiiNS8_4plusIiEEEE10hipError_tPvRmT1_T2_T3_mT4_P12ihipStream_tbEUlT_E1_NS1_11comp_targetILNS1_3genE0ELNS1_11target_archE4294967295ELNS1_3gpuE0ELNS1_3repE0EEENS1_30default_config_static_selectorELNS0_4arch9wavefront6targetE1EEEvSL_
		.amdhsa_group_segment_fixed_size 0
		.amdhsa_private_segment_fixed_size 0
		.amdhsa_kernarg_size 56
		.amdhsa_user_sgpr_count 6
		.amdhsa_user_sgpr_private_segment_buffer 1
		.amdhsa_user_sgpr_dispatch_ptr 0
		.amdhsa_user_sgpr_queue_ptr 0
		.amdhsa_user_sgpr_kernarg_segment_ptr 1
		.amdhsa_user_sgpr_dispatch_id 0
		.amdhsa_user_sgpr_flat_scratch_init 0
		.amdhsa_user_sgpr_kernarg_preload_length 0
		.amdhsa_user_sgpr_kernarg_preload_offset 0
		.amdhsa_user_sgpr_private_segment_size 0
		.amdhsa_uses_dynamic_stack 0
		.amdhsa_system_sgpr_private_segment_wavefront_offset 0
		.amdhsa_system_sgpr_workgroup_id_x 1
		.amdhsa_system_sgpr_workgroup_id_y 0
		.amdhsa_system_sgpr_workgroup_id_z 0
		.amdhsa_system_sgpr_workgroup_info 0
		.amdhsa_system_vgpr_workitem_id 0
		.amdhsa_next_free_vgpr 1
		.amdhsa_next_free_sgpr 0
		.amdhsa_accum_offset 4
		.amdhsa_reserve_vcc 0
		.amdhsa_reserve_flat_scratch 0
		.amdhsa_float_round_mode_32 0
		.amdhsa_float_round_mode_16_64 0
		.amdhsa_float_denorm_mode_32 3
		.amdhsa_float_denorm_mode_16_64 3
		.amdhsa_dx10_clamp 1
		.amdhsa_ieee_mode 1
		.amdhsa_fp16_overflow 0
		.amdhsa_tg_split 0
		.amdhsa_exception_fp_ieee_invalid_op 0
		.amdhsa_exception_fp_denorm_src 0
		.amdhsa_exception_fp_ieee_div_zero 0
		.amdhsa_exception_fp_ieee_overflow 0
		.amdhsa_exception_fp_ieee_underflow 0
		.amdhsa_exception_fp_ieee_inexact 0
		.amdhsa_exception_int_div_zero 0
	.end_amdhsa_kernel
	.section	.text._ZN7rocprim17ROCPRIM_400000_NS6detail17trampoline_kernelINS0_14default_configENS1_22reduce_config_selectorIiEEZNS1_11reduce_implILb1ES3_N6thrust23THRUST_200600_302600_NS11hip_rocprim35transform_pair_of_input_iterators_tIiPsSB_NS8_12not_equal_toIsEEEEPiiNS8_4plusIiEEEE10hipError_tPvRmT1_T2_T3_mT4_P12ihipStream_tbEUlT_E1_NS1_11comp_targetILNS1_3genE0ELNS1_11target_archE4294967295ELNS1_3gpuE0ELNS1_3repE0EEENS1_30default_config_static_selectorELNS0_4arch9wavefront6targetE1EEEvSL_,"axG",@progbits,_ZN7rocprim17ROCPRIM_400000_NS6detail17trampoline_kernelINS0_14default_configENS1_22reduce_config_selectorIiEEZNS1_11reduce_implILb1ES3_N6thrust23THRUST_200600_302600_NS11hip_rocprim35transform_pair_of_input_iterators_tIiPsSB_NS8_12not_equal_toIsEEEEPiiNS8_4plusIiEEEE10hipError_tPvRmT1_T2_T3_mT4_P12ihipStream_tbEUlT_E1_NS1_11comp_targetILNS1_3genE0ELNS1_11target_archE4294967295ELNS1_3gpuE0ELNS1_3repE0EEENS1_30default_config_static_selectorELNS0_4arch9wavefront6targetE1EEEvSL_,comdat
.Lfunc_end1461:
	.size	_ZN7rocprim17ROCPRIM_400000_NS6detail17trampoline_kernelINS0_14default_configENS1_22reduce_config_selectorIiEEZNS1_11reduce_implILb1ES3_N6thrust23THRUST_200600_302600_NS11hip_rocprim35transform_pair_of_input_iterators_tIiPsSB_NS8_12not_equal_toIsEEEEPiiNS8_4plusIiEEEE10hipError_tPvRmT1_T2_T3_mT4_P12ihipStream_tbEUlT_E1_NS1_11comp_targetILNS1_3genE0ELNS1_11target_archE4294967295ELNS1_3gpuE0ELNS1_3repE0EEENS1_30default_config_static_selectorELNS0_4arch9wavefront6targetE1EEEvSL_, .Lfunc_end1461-_ZN7rocprim17ROCPRIM_400000_NS6detail17trampoline_kernelINS0_14default_configENS1_22reduce_config_selectorIiEEZNS1_11reduce_implILb1ES3_N6thrust23THRUST_200600_302600_NS11hip_rocprim35transform_pair_of_input_iterators_tIiPsSB_NS8_12not_equal_toIsEEEEPiiNS8_4plusIiEEEE10hipError_tPvRmT1_T2_T3_mT4_P12ihipStream_tbEUlT_E1_NS1_11comp_targetILNS1_3genE0ELNS1_11target_archE4294967295ELNS1_3gpuE0ELNS1_3repE0EEENS1_30default_config_static_selectorELNS0_4arch9wavefront6targetE1EEEvSL_
                                        ; -- End function
	.section	.AMDGPU.csdata,"",@progbits
; Kernel info:
; codeLenInByte = 0
; NumSgprs: 4
; NumVgprs: 0
; NumAgprs: 0
; TotalNumVgprs: 0
; ScratchSize: 0
; MemoryBound: 0
; FloatMode: 240
; IeeeMode: 1
; LDSByteSize: 0 bytes/workgroup (compile time only)
; SGPRBlocks: 0
; VGPRBlocks: 0
; NumSGPRsForWavesPerEU: 4
; NumVGPRsForWavesPerEU: 1
; AccumOffset: 4
; Occupancy: 8
; WaveLimiterHint : 0
; COMPUTE_PGM_RSRC2:SCRATCH_EN: 0
; COMPUTE_PGM_RSRC2:USER_SGPR: 6
; COMPUTE_PGM_RSRC2:TRAP_HANDLER: 0
; COMPUTE_PGM_RSRC2:TGID_X_EN: 1
; COMPUTE_PGM_RSRC2:TGID_Y_EN: 0
; COMPUTE_PGM_RSRC2:TGID_Z_EN: 0
; COMPUTE_PGM_RSRC2:TIDIG_COMP_CNT: 0
; COMPUTE_PGM_RSRC3_GFX90A:ACCUM_OFFSET: 0
; COMPUTE_PGM_RSRC3_GFX90A:TG_SPLIT: 0
	.section	.text._ZN7rocprim17ROCPRIM_400000_NS6detail17trampoline_kernelINS0_14default_configENS1_22reduce_config_selectorIiEEZNS1_11reduce_implILb1ES3_N6thrust23THRUST_200600_302600_NS11hip_rocprim35transform_pair_of_input_iterators_tIiPsSB_NS8_12not_equal_toIsEEEEPiiNS8_4plusIiEEEE10hipError_tPvRmT1_T2_T3_mT4_P12ihipStream_tbEUlT_E1_NS1_11comp_targetILNS1_3genE5ELNS1_11target_archE942ELNS1_3gpuE9ELNS1_3repE0EEENS1_30default_config_static_selectorELNS0_4arch9wavefront6targetE1EEEvSL_,"axG",@progbits,_ZN7rocprim17ROCPRIM_400000_NS6detail17trampoline_kernelINS0_14default_configENS1_22reduce_config_selectorIiEEZNS1_11reduce_implILb1ES3_N6thrust23THRUST_200600_302600_NS11hip_rocprim35transform_pair_of_input_iterators_tIiPsSB_NS8_12not_equal_toIsEEEEPiiNS8_4plusIiEEEE10hipError_tPvRmT1_T2_T3_mT4_P12ihipStream_tbEUlT_E1_NS1_11comp_targetILNS1_3genE5ELNS1_11target_archE942ELNS1_3gpuE9ELNS1_3repE0EEENS1_30default_config_static_selectorELNS0_4arch9wavefront6targetE1EEEvSL_,comdat
	.protected	_ZN7rocprim17ROCPRIM_400000_NS6detail17trampoline_kernelINS0_14default_configENS1_22reduce_config_selectorIiEEZNS1_11reduce_implILb1ES3_N6thrust23THRUST_200600_302600_NS11hip_rocprim35transform_pair_of_input_iterators_tIiPsSB_NS8_12not_equal_toIsEEEEPiiNS8_4plusIiEEEE10hipError_tPvRmT1_T2_T3_mT4_P12ihipStream_tbEUlT_E1_NS1_11comp_targetILNS1_3genE5ELNS1_11target_archE942ELNS1_3gpuE9ELNS1_3repE0EEENS1_30default_config_static_selectorELNS0_4arch9wavefront6targetE1EEEvSL_ ; -- Begin function _ZN7rocprim17ROCPRIM_400000_NS6detail17trampoline_kernelINS0_14default_configENS1_22reduce_config_selectorIiEEZNS1_11reduce_implILb1ES3_N6thrust23THRUST_200600_302600_NS11hip_rocprim35transform_pair_of_input_iterators_tIiPsSB_NS8_12not_equal_toIsEEEEPiiNS8_4plusIiEEEE10hipError_tPvRmT1_T2_T3_mT4_P12ihipStream_tbEUlT_E1_NS1_11comp_targetILNS1_3genE5ELNS1_11target_archE942ELNS1_3gpuE9ELNS1_3repE0EEENS1_30default_config_static_selectorELNS0_4arch9wavefront6targetE1EEEvSL_
	.globl	_ZN7rocprim17ROCPRIM_400000_NS6detail17trampoline_kernelINS0_14default_configENS1_22reduce_config_selectorIiEEZNS1_11reduce_implILb1ES3_N6thrust23THRUST_200600_302600_NS11hip_rocprim35transform_pair_of_input_iterators_tIiPsSB_NS8_12not_equal_toIsEEEEPiiNS8_4plusIiEEEE10hipError_tPvRmT1_T2_T3_mT4_P12ihipStream_tbEUlT_E1_NS1_11comp_targetILNS1_3genE5ELNS1_11target_archE942ELNS1_3gpuE9ELNS1_3repE0EEENS1_30default_config_static_selectorELNS0_4arch9wavefront6targetE1EEEvSL_
	.p2align	8
	.type	_ZN7rocprim17ROCPRIM_400000_NS6detail17trampoline_kernelINS0_14default_configENS1_22reduce_config_selectorIiEEZNS1_11reduce_implILb1ES3_N6thrust23THRUST_200600_302600_NS11hip_rocprim35transform_pair_of_input_iterators_tIiPsSB_NS8_12not_equal_toIsEEEEPiiNS8_4plusIiEEEE10hipError_tPvRmT1_T2_T3_mT4_P12ihipStream_tbEUlT_E1_NS1_11comp_targetILNS1_3genE5ELNS1_11target_archE942ELNS1_3gpuE9ELNS1_3repE0EEENS1_30default_config_static_selectorELNS0_4arch9wavefront6targetE1EEEvSL_,@function
_ZN7rocprim17ROCPRIM_400000_NS6detail17trampoline_kernelINS0_14default_configENS1_22reduce_config_selectorIiEEZNS1_11reduce_implILb1ES3_N6thrust23THRUST_200600_302600_NS11hip_rocprim35transform_pair_of_input_iterators_tIiPsSB_NS8_12not_equal_toIsEEEEPiiNS8_4plusIiEEEE10hipError_tPvRmT1_T2_T3_mT4_P12ihipStream_tbEUlT_E1_NS1_11comp_targetILNS1_3genE5ELNS1_11target_archE942ELNS1_3gpuE9ELNS1_3repE0EEENS1_30default_config_static_selectorELNS0_4arch9wavefront6targetE1EEEvSL_: ; @_ZN7rocprim17ROCPRIM_400000_NS6detail17trampoline_kernelINS0_14default_configENS1_22reduce_config_selectorIiEEZNS1_11reduce_implILb1ES3_N6thrust23THRUST_200600_302600_NS11hip_rocprim35transform_pair_of_input_iterators_tIiPsSB_NS8_12not_equal_toIsEEEEPiiNS8_4plusIiEEEE10hipError_tPvRmT1_T2_T3_mT4_P12ihipStream_tbEUlT_E1_NS1_11comp_targetILNS1_3genE5ELNS1_11target_archE942ELNS1_3gpuE9ELNS1_3repE0EEENS1_30default_config_static_selectorELNS0_4arch9wavefront6targetE1EEEvSL_
; %bb.0:
	.section	.rodata,"a",@progbits
	.p2align	6, 0x0
	.amdhsa_kernel _ZN7rocprim17ROCPRIM_400000_NS6detail17trampoline_kernelINS0_14default_configENS1_22reduce_config_selectorIiEEZNS1_11reduce_implILb1ES3_N6thrust23THRUST_200600_302600_NS11hip_rocprim35transform_pair_of_input_iterators_tIiPsSB_NS8_12not_equal_toIsEEEEPiiNS8_4plusIiEEEE10hipError_tPvRmT1_T2_T3_mT4_P12ihipStream_tbEUlT_E1_NS1_11comp_targetILNS1_3genE5ELNS1_11target_archE942ELNS1_3gpuE9ELNS1_3repE0EEENS1_30default_config_static_selectorELNS0_4arch9wavefront6targetE1EEEvSL_
		.amdhsa_group_segment_fixed_size 0
		.amdhsa_private_segment_fixed_size 0
		.amdhsa_kernarg_size 56
		.amdhsa_user_sgpr_count 6
		.amdhsa_user_sgpr_private_segment_buffer 1
		.amdhsa_user_sgpr_dispatch_ptr 0
		.amdhsa_user_sgpr_queue_ptr 0
		.amdhsa_user_sgpr_kernarg_segment_ptr 1
		.amdhsa_user_sgpr_dispatch_id 0
		.amdhsa_user_sgpr_flat_scratch_init 0
		.amdhsa_user_sgpr_kernarg_preload_length 0
		.amdhsa_user_sgpr_kernarg_preload_offset 0
		.amdhsa_user_sgpr_private_segment_size 0
		.amdhsa_uses_dynamic_stack 0
		.amdhsa_system_sgpr_private_segment_wavefront_offset 0
		.amdhsa_system_sgpr_workgroup_id_x 1
		.amdhsa_system_sgpr_workgroup_id_y 0
		.amdhsa_system_sgpr_workgroup_id_z 0
		.amdhsa_system_sgpr_workgroup_info 0
		.amdhsa_system_vgpr_workitem_id 0
		.amdhsa_next_free_vgpr 1
		.amdhsa_next_free_sgpr 0
		.amdhsa_accum_offset 4
		.amdhsa_reserve_vcc 0
		.amdhsa_reserve_flat_scratch 0
		.amdhsa_float_round_mode_32 0
		.amdhsa_float_round_mode_16_64 0
		.amdhsa_float_denorm_mode_32 3
		.amdhsa_float_denorm_mode_16_64 3
		.amdhsa_dx10_clamp 1
		.amdhsa_ieee_mode 1
		.amdhsa_fp16_overflow 0
		.amdhsa_tg_split 0
		.amdhsa_exception_fp_ieee_invalid_op 0
		.amdhsa_exception_fp_denorm_src 0
		.amdhsa_exception_fp_ieee_div_zero 0
		.amdhsa_exception_fp_ieee_overflow 0
		.amdhsa_exception_fp_ieee_underflow 0
		.amdhsa_exception_fp_ieee_inexact 0
		.amdhsa_exception_int_div_zero 0
	.end_amdhsa_kernel
	.section	.text._ZN7rocprim17ROCPRIM_400000_NS6detail17trampoline_kernelINS0_14default_configENS1_22reduce_config_selectorIiEEZNS1_11reduce_implILb1ES3_N6thrust23THRUST_200600_302600_NS11hip_rocprim35transform_pair_of_input_iterators_tIiPsSB_NS8_12not_equal_toIsEEEEPiiNS8_4plusIiEEEE10hipError_tPvRmT1_T2_T3_mT4_P12ihipStream_tbEUlT_E1_NS1_11comp_targetILNS1_3genE5ELNS1_11target_archE942ELNS1_3gpuE9ELNS1_3repE0EEENS1_30default_config_static_selectorELNS0_4arch9wavefront6targetE1EEEvSL_,"axG",@progbits,_ZN7rocprim17ROCPRIM_400000_NS6detail17trampoline_kernelINS0_14default_configENS1_22reduce_config_selectorIiEEZNS1_11reduce_implILb1ES3_N6thrust23THRUST_200600_302600_NS11hip_rocprim35transform_pair_of_input_iterators_tIiPsSB_NS8_12not_equal_toIsEEEEPiiNS8_4plusIiEEEE10hipError_tPvRmT1_T2_T3_mT4_P12ihipStream_tbEUlT_E1_NS1_11comp_targetILNS1_3genE5ELNS1_11target_archE942ELNS1_3gpuE9ELNS1_3repE0EEENS1_30default_config_static_selectorELNS0_4arch9wavefront6targetE1EEEvSL_,comdat
.Lfunc_end1462:
	.size	_ZN7rocprim17ROCPRIM_400000_NS6detail17trampoline_kernelINS0_14default_configENS1_22reduce_config_selectorIiEEZNS1_11reduce_implILb1ES3_N6thrust23THRUST_200600_302600_NS11hip_rocprim35transform_pair_of_input_iterators_tIiPsSB_NS8_12not_equal_toIsEEEEPiiNS8_4plusIiEEEE10hipError_tPvRmT1_T2_T3_mT4_P12ihipStream_tbEUlT_E1_NS1_11comp_targetILNS1_3genE5ELNS1_11target_archE942ELNS1_3gpuE9ELNS1_3repE0EEENS1_30default_config_static_selectorELNS0_4arch9wavefront6targetE1EEEvSL_, .Lfunc_end1462-_ZN7rocprim17ROCPRIM_400000_NS6detail17trampoline_kernelINS0_14default_configENS1_22reduce_config_selectorIiEEZNS1_11reduce_implILb1ES3_N6thrust23THRUST_200600_302600_NS11hip_rocprim35transform_pair_of_input_iterators_tIiPsSB_NS8_12not_equal_toIsEEEEPiiNS8_4plusIiEEEE10hipError_tPvRmT1_T2_T3_mT4_P12ihipStream_tbEUlT_E1_NS1_11comp_targetILNS1_3genE5ELNS1_11target_archE942ELNS1_3gpuE9ELNS1_3repE0EEENS1_30default_config_static_selectorELNS0_4arch9wavefront6targetE1EEEvSL_
                                        ; -- End function
	.section	.AMDGPU.csdata,"",@progbits
; Kernel info:
; codeLenInByte = 0
; NumSgprs: 4
; NumVgprs: 0
; NumAgprs: 0
; TotalNumVgprs: 0
; ScratchSize: 0
; MemoryBound: 0
; FloatMode: 240
; IeeeMode: 1
; LDSByteSize: 0 bytes/workgroup (compile time only)
; SGPRBlocks: 0
; VGPRBlocks: 0
; NumSGPRsForWavesPerEU: 4
; NumVGPRsForWavesPerEU: 1
; AccumOffset: 4
; Occupancy: 8
; WaveLimiterHint : 0
; COMPUTE_PGM_RSRC2:SCRATCH_EN: 0
; COMPUTE_PGM_RSRC2:USER_SGPR: 6
; COMPUTE_PGM_RSRC2:TRAP_HANDLER: 0
; COMPUTE_PGM_RSRC2:TGID_X_EN: 1
; COMPUTE_PGM_RSRC2:TGID_Y_EN: 0
; COMPUTE_PGM_RSRC2:TGID_Z_EN: 0
; COMPUTE_PGM_RSRC2:TIDIG_COMP_CNT: 0
; COMPUTE_PGM_RSRC3_GFX90A:ACCUM_OFFSET: 0
; COMPUTE_PGM_RSRC3_GFX90A:TG_SPLIT: 0
	.section	.text._ZN7rocprim17ROCPRIM_400000_NS6detail17trampoline_kernelINS0_14default_configENS1_22reduce_config_selectorIiEEZNS1_11reduce_implILb1ES3_N6thrust23THRUST_200600_302600_NS11hip_rocprim35transform_pair_of_input_iterators_tIiPsSB_NS8_12not_equal_toIsEEEEPiiNS8_4plusIiEEEE10hipError_tPvRmT1_T2_T3_mT4_P12ihipStream_tbEUlT_E1_NS1_11comp_targetILNS1_3genE4ELNS1_11target_archE910ELNS1_3gpuE8ELNS1_3repE0EEENS1_30default_config_static_selectorELNS0_4arch9wavefront6targetE1EEEvSL_,"axG",@progbits,_ZN7rocprim17ROCPRIM_400000_NS6detail17trampoline_kernelINS0_14default_configENS1_22reduce_config_selectorIiEEZNS1_11reduce_implILb1ES3_N6thrust23THRUST_200600_302600_NS11hip_rocprim35transform_pair_of_input_iterators_tIiPsSB_NS8_12not_equal_toIsEEEEPiiNS8_4plusIiEEEE10hipError_tPvRmT1_T2_T3_mT4_P12ihipStream_tbEUlT_E1_NS1_11comp_targetILNS1_3genE4ELNS1_11target_archE910ELNS1_3gpuE8ELNS1_3repE0EEENS1_30default_config_static_selectorELNS0_4arch9wavefront6targetE1EEEvSL_,comdat
	.protected	_ZN7rocprim17ROCPRIM_400000_NS6detail17trampoline_kernelINS0_14default_configENS1_22reduce_config_selectorIiEEZNS1_11reduce_implILb1ES3_N6thrust23THRUST_200600_302600_NS11hip_rocprim35transform_pair_of_input_iterators_tIiPsSB_NS8_12not_equal_toIsEEEEPiiNS8_4plusIiEEEE10hipError_tPvRmT1_T2_T3_mT4_P12ihipStream_tbEUlT_E1_NS1_11comp_targetILNS1_3genE4ELNS1_11target_archE910ELNS1_3gpuE8ELNS1_3repE0EEENS1_30default_config_static_selectorELNS0_4arch9wavefront6targetE1EEEvSL_ ; -- Begin function _ZN7rocprim17ROCPRIM_400000_NS6detail17trampoline_kernelINS0_14default_configENS1_22reduce_config_selectorIiEEZNS1_11reduce_implILb1ES3_N6thrust23THRUST_200600_302600_NS11hip_rocprim35transform_pair_of_input_iterators_tIiPsSB_NS8_12not_equal_toIsEEEEPiiNS8_4plusIiEEEE10hipError_tPvRmT1_T2_T3_mT4_P12ihipStream_tbEUlT_E1_NS1_11comp_targetILNS1_3genE4ELNS1_11target_archE910ELNS1_3gpuE8ELNS1_3repE0EEENS1_30default_config_static_selectorELNS0_4arch9wavefront6targetE1EEEvSL_
	.globl	_ZN7rocprim17ROCPRIM_400000_NS6detail17trampoline_kernelINS0_14default_configENS1_22reduce_config_selectorIiEEZNS1_11reduce_implILb1ES3_N6thrust23THRUST_200600_302600_NS11hip_rocprim35transform_pair_of_input_iterators_tIiPsSB_NS8_12not_equal_toIsEEEEPiiNS8_4plusIiEEEE10hipError_tPvRmT1_T2_T3_mT4_P12ihipStream_tbEUlT_E1_NS1_11comp_targetILNS1_3genE4ELNS1_11target_archE910ELNS1_3gpuE8ELNS1_3repE0EEENS1_30default_config_static_selectorELNS0_4arch9wavefront6targetE1EEEvSL_
	.p2align	8
	.type	_ZN7rocprim17ROCPRIM_400000_NS6detail17trampoline_kernelINS0_14default_configENS1_22reduce_config_selectorIiEEZNS1_11reduce_implILb1ES3_N6thrust23THRUST_200600_302600_NS11hip_rocprim35transform_pair_of_input_iterators_tIiPsSB_NS8_12not_equal_toIsEEEEPiiNS8_4plusIiEEEE10hipError_tPvRmT1_T2_T3_mT4_P12ihipStream_tbEUlT_E1_NS1_11comp_targetILNS1_3genE4ELNS1_11target_archE910ELNS1_3gpuE8ELNS1_3repE0EEENS1_30default_config_static_selectorELNS0_4arch9wavefront6targetE1EEEvSL_,@function
_ZN7rocprim17ROCPRIM_400000_NS6detail17trampoline_kernelINS0_14default_configENS1_22reduce_config_selectorIiEEZNS1_11reduce_implILb1ES3_N6thrust23THRUST_200600_302600_NS11hip_rocprim35transform_pair_of_input_iterators_tIiPsSB_NS8_12not_equal_toIsEEEEPiiNS8_4plusIiEEEE10hipError_tPvRmT1_T2_T3_mT4_P12ihipStream_tbEUlT_E1_NS1_11comp_targetILNS1_3genE4ELNS1_11target_archE910ELNS1_3gpuE8ELNS1_3repE0EEENS1_30default_config_static_selectorELNS0_4arch9wavefront6targetE1EEEvSL_: ; @_ZN7rocprim17ROCPRIM_400000_NS6detail17trampoline_kernelINS0_14default_configENS1_22reduce_config_selectorIiEEZNS1_11reduce_implILb1ES3_N6thrust23THRUST_200600_302600_NS11hip_rocprim35transform_pair_of_input_iterators_tIiPsSB_NS8_12not_equal_toIsEEEEPiiNS8_4plusIiEEEE10hipError_tPvRmT1_T2_T3_mT4_P12ihipStream_tbEUlT_E1_NS1_11comp_targetILNS1_3genE4ELNS1_11target_archE910ELNS1_3gpuE8ELNS1_3repE0EEENS1_30default_config_static_selectorELNS0_4arch9wavefront6targetE1EEEvSL_
; %bb.0:
	s_load_dword s33, s[4:5], 0x4
	s_load_dwordx4 s[40:43], s[4:5], 0x8
	s_load_dwordx4 s[36:39], s[4:5], 0x20
	s_waitcnt lgkmcnt(0)
	s_cmp_lt_i32 s33, 8
	s_cbranch_scc1 .LBB1463_11
; %bb.1:
	s_cmp_gt_i32 s33, 15
	s_cbranch_scc0 .LBB1463_12
; %bb.2:
	s_cmp_gt_i32 s33, 31
	s_cbranch_scc0 .LBB1463_13
; %bb.3:
	s_cmp_eq_u32 s33, 32
	s_mov_b64 s[8:9], 0
	s_cbranch_scc0 .LBB1463_14
; %bb.4:
	s_mov_b32 s7, 0
	s_lshl_b32 s14, s6, 12
	s_mov_b32 s15, s7
	s_lshr_b64 s[0:1], s[36:37], 12
	s_lshl_b64 s[2:3], s[14:15], 1
	s_add_u32 s10, s40, s2
	s_addc_u32 s11, s41, s3
	s_add_u32 s12, s42, s2
	s_addc_u32 s13, s43, s3
	s_cmp_lg_u64 s[0:1], s[6:7]
	s_cbranch_scc0 .LBB1463_23
; %bb.5:
	v_lshlrev_b32_e32 v1, 1, v0
	global_load_ushort v6, v1, s[10:11]
	global_load_ushort v7, v1, s[12:13]
	global_load_ushort v8, v1, s[10:11] offset:1024
	global_load_ushort v9, v1, s[12:13] offset:1024
	;; [unrolled: 1-line block ×4, first 2 shown]
	v_mov_b32_e32 v2, s11
	v_add_co_u32_e32 v3, vcc, s10, v1
	v_addc_co_u32_e32 v4, vcc, 0, v2, vcc
	v_mov_b32_e32 v2, s13
	v_add_co_u32_e32 v5, vcc, s12, v1
	v_addc_co_u32_e32 v12, vcc, 0, v2, vcc
	s_movk_i32 s0, 0x1000
	v_add_co_u32_e32 v2, vcc, s0, v3
	global_load_ushort v13, v1, s[10:11] offset:512
	global_load_ushort v14, v1, s[12:13] offset:512
	;; [unrolled: 1-line block ×10, first 2 shown]
	v_addc_co_u32_e32 v3, vcc, 0, v4, vcc
	global_load_ushort v23, v[2:3], off
	v_add_co_u32_e32 v4, vcc, s0, v5
	v_addc_co_u32_e32 v5, vcc, 0, v12, vcc
	global_load_ushort v12, v[4:5], off
	global_load_ushort v24, v[2:3], off offset:512
	global_load_ushort v25, v[4:5], off offset:512
	;; [unrolled: 1-line block ×14, first 2 shown]
	global_load_ushort v38, v1, s[10:11] offset:256
	global_load_ushort v39, v1, s[12:13] offset:256
	;; [unrolled: 1-line block ×16, first 2 shown]
	global_load_ushort v54, v[2:3], off offset:256
	global_load_ushort v55, v[4:5], off offset:256
	;; [unrolled: 1-line block ×7, first 2 shown]
	s_waitcnt vmcnt(53)
	v_cmp_ne_u16_e32 vcc, v6, v7
	global_load_ushort v1, v[4:5], off offset:1792
	global_load_ushort v6, v[2:3], off offset:2304
	s_waitcnt vmcnt(53)
	v_cmp_ne_u16_e64 s[0:1], v8, v9
	global_load_ushort v7, v[4:5], off offset:2304
	global_load_ushort v8, v[2:3], off offset:2816
	s_waitcnt vmcnt(53)
	v_cmp_ne_u16_e64 s[2:3], v10, v11
	global_load_ushort v9, v[4:5], off offset:2816
	global_load_ushort v10, v[2:3], off offset:3328
	global_load_ushort v11, v[2:3], off offset:3840
	global_load_ushort v61, v[4:5], off offset:3328
	global_load_ushort v62, v[4:5], off offset:3840
	v_cndmask_b32_e64 v2, 0, 1, vcc
	v_cndmask_b32_e64 v4, 0, 1, s[0:1]
	s_waitcnt vmcnt(56)
	v_cmp_ne_u16_e32 vcc, v13, v14
	v_cndmask_b32_e64 v3, 0, 1, vcc
	s_waitcnt vmcnt(54)
	v_cmp_ne_u16_e32 vcc, v15, v16
	v_cndmask_b32_e64 v5, 0, 1, vcc
	s_waitcnt vmcnt(52)
	v_cmp_ne_u16_e32 vcc, v17, v18
	v_cndmask_b32_e64 v14, 0, 1, vcc
	s_waitcnt vmcnt(50)
	v_cmp_ne_u16_e32 vcc, v19, v20
	v_cndmask_b32_e64 v15, 0, 1, vcc
	s_waitcnt vmcnt(48)
	v_cmp_ne_u16_e32 vcc, v21, v22
	v_cndmask_b32_e64 v16, 0, 1, vcc
	v_cndmask_b32_e64 v13, 0, 1, s[2:3]
	s_waitcnt vmcnt(46)
	v_cmp_ne_u16_e32 vcc, v23, v12
	v_cndmask_b32_e64 v12, 0, 1, vcc
	s_waitcnt vmcnt(44)
	v_cmp_ne_u16_e32 vcc, v24, v25
	v_cndmask_b32_e64 v17, 0, 1, vcc
	;; [unrolled: 3-line block ×8, first 2 shown]
	s_waitcnt vmcnt(30)
	v_cmp_ne_u16_e32 vcc, v38, v39
	v_addc_co_u32_e32 v2, vcc, 0, v2, vcc
	s_waitcnt vmcnt(28)
	v_cmp_ne_u16_e32 vcc, v40, v41
	v_addc_co_u32_e32 v2, vcc, v2, v3, vcc
	;; [unrolled: 3-line block ×16, first 2 shown]
	v_mbcnt_lo_u32_b32 v2, -1, 0
	s_nop 0
	v_add_u32_dpp v1, v1, v1 quad_perm:[1,0,3,2] row_mask:0xf bank_mask:0xf bound_ctrl:1
	v_mbcnt_hi_u32_b32 v2, -1, v2
	v_lshlrev_b32_e32 v3, 2, v2
	v_add_u32_dpp v1, v1, v1 quad_perm:[2,3,0,1] row_mask:0xf bank_mask:0xf bound_ctrl:1
	v_or_b32_e32 v4, 0xfc, v3
	v_cmp_eq_u32_e32 vcc, 0, v2
	v_add_u32_dpp v1, v1, v1 row_ror:4 row_mask:0xf bank_mask:0xf bound_ctrl:1
	s_nop 1
	v_add_u32_dpp v1, v1, v1 row_ror:8 row_mask:0xf bank_mask:0xf bound_ctrl:1
	s_nop 1
	v_add_u32_dpp v1, v1, v1 row_bcast:15 row_mask:0xf bank_mask:0xf bound_ctrl:1
	s_nop 1
	v_add_u32_dpp v1, v1, v1 row_bcast:31 row_mask:0xf bank_mask:0xf bound_ctrl:1
	ds_bpermute_b32 v1, v4, v1
	s_and_saveexec_b64 s[0:1], vcc
	s_cbranch_execz .LBB1463_7
; %bb.6:
	v_lshrrev_b32_e32 v4, 4, v0
	v_and_b32_e32 v4, 4, v4
	s_waitcnt lgkmcnt(0)
	ds_write_b32 v4, v1 offset:24
.LBB1463_7:
	s_or_b64 exec, exec, s[0:1]
	v_cmp_gt_u32_e32 vcc, 64, v0
	s_waitcnt lgkmcnt(0)
	s_barrier
	s_and_saveexec_b64 s[0:1], vcc
	s_cbranch_execz .LBB1463_9
; %bb.8:
	v_and_b32_e32 v1, 1, v2
	v_lshlrev_b32_e32 v1, 2, v1
	ds_read_b32 v1, v1 offset:24
	v_or_b32_e32 v2, 4, v3
	s_waitcnt lgkmcnt(0)
	ds_bpermute_b32 v2, v2, v1
	s_waitcnt lgkmcnt(0)
	v_add_u32_e32 v1, v2, v1
.LBB1463_9:
	s_or_b64 exec, exec, s[0:1]
.LBB1463_10:
	v_cmp_eq_u32_e64 s[0:1], 0, v0
	s_and_b64 vcc, exec, s[8:9]
	s_cbranch_vccnz .LBB1463_15
	s_branch .LBB1463_93
.LBB1463_11:
	s_mov_b64 s[0:1], 0
                                        ; implicit-def: $vgpr1
	s_cbranch_execnz .LBB1463_166
	s_branch .LBB1463_224
.LBB1463_12:
	s_mov_b64 s[0:1], 0
                                        ; implicit-def: $vgpr1
	s_cbranch_execnz .LBB1463_134
	s_branch .LBB1463_142
.LBB1463_13:
	s_mov_b64 s[8:9], -1
.LBB1463_14:
	s_mov_b64 s[0:1], 0
                                        ; implicit-def: $vgpr1
	s_and_b64 vcc, exec, s[8:9]
	s_cbranch_vccz .LBB1463_93
.LBB1463_15:
	s_cmp_eq_u32 s33, 16
	s_cbranch_scc0 .LBB1463_22
; %bb.16:
	s_mov_b32 s7, 0
	s_lshl_b32 s0, s6, 11
	s_mov_b32 s1, s7
	s_lshr_b64 s[2:3], s[36:37], 11
	s_lshl_b64 s[8:9], s[0:1], 1
	s_add_u32 s34, s40, s8
	s_addc_u32 s35, s41, s9
	s_add_u32 s44, s42, s8
	s_addc_u32 s45, s43, s9
	s_cmp_lg_u64 s[2:3], s[6:7]
	s_cbranch_scc0 .LBB1463_94
; %bb.17:
	v_lshlrev_b32_e32 v1, 1, v0
	global_load_ushort v4, v1, s[34:35]
	global_load_ushort v5, v1, s[44:45]
	global_load_ushort v6, v1, s[34:35] offset:512
	global_load_ushort v7, v1, s[44:45] offset:512
	;; [unrolled: 1-line block ×30, first 2 shown]
	v_mbcnt_lo_u32_b32 v1, -1, 0
	v_mbcnt_hi_u32_b32 v2, -1, v1
	v_lshlrev_b32_e32 v3, 2, v2
	s_waitcnt vmcnt(30)
	v_cmp_ne_u16_e32 vcc, v4, v5
	v_cndmask_b32_e64 v1, 0, 1, vcc
	s_waitcnt vmcnt(28)
	v_cmp_ne_u16_e32 vcc, v6, v7
	v_cndmask_b32_e64 v4, 0, 1, vcc
	;; [unrolled: 3-line block ×8, first 2 shown]
	s_waitcnt vmcnt(14)
	v_cmp_ne_u16_e32 vcc, v20, v21
	v_addc_co_u32_e32 v1, vcc, 0, v1, vcc
	s_waitcnt vmcnt(12)
	v_cmp_ne_u16_e32 vcc, v22, v23
	v_addc_co_u32_e32 v1, vcc, v1, v4, vcc
	;; [unrolled: 3-line block ×8, first 2 shown]
	v_or_b32_e32 v4, 0xfc, v3
	s_nop 0
	v_add_u32_dpp v1, v1, v1 quad_perm:[1,0,3,2] row_mask:0xf bank_mask:0xf bound_ctrl:1
	v_cmp_eq_u32_e32 vcc, 0, v2
	s_nop 0
	v_add_u32_dpp v1, v1, v1 quad_perm:[2,3,0,1] row_mask:0xf bank_mask:0xf bound_ctrl:1
	s_nop 1
	v_add_u32_dpp v1, v1, v1 row_ror:4 row_mask:0xf bank_mask:0xf bound_ctrl:1
	s_nop 1
	v_add_u32_dpp v1, v1, v1 row_ror:8 row_mask:0xf bank_mask:0xf bound_ctrl:1
	s_nop 1
	v_add_u32_dpp v1, v1, v1 row_bcast:15 row_mask:0xf bank_mask:0xf bound_ctrl:1
	s_nop 1
	v_add_u32_dpp v1, v1, v1 row_bcast:31 row_mask:0xf bank_mask:0xf bound_ctrl:1
	ds_bpermute_b32 v1, v4, v1
	s_and_saveexec_b64 s[2:3], vcc
	s_cbranch_execz .LBB1463_19
; %bb.18:
	v_lshrrev_b32_e32 v4, 4, v0
	v_and_b32_e32 v4, 4, v4
	s_waitcnt lgkmcnt(0)
	ds_write_b32 v4, v1
.LBB1463_19:
	s_or_b64 exec, exec, s[2:3]
	v_cmp_gt_u32_e32 vcc, 64, v0
	s_waitcnt lgkmcnt(0)
	s_barrier
	s_and_saveexec_b64 s[2:3], vcc
	s_cbranch_execz .LBB1463_21
; %bb.20:
	v_and_b32_e32 v1, 1, v2
	v_lshlrev_b32_e32 v1, 2, v1
	ds_read_b32 v1, v1
	v_or_b32_e32 v2, 4, v3
	s_waitcnt lgkmcnt(0)
	ds_bpermute_b32 v2, v2, v1
	s_waitcnt lgkmcnt(0)
	v_add_u32_e32 v1, v2, v1
.LBB1463_21:
	s_or_b64 exec, exec, s[2:3]
	s_mov_b64 s[2:3], 0
	s_branch .LBB1463_95
.LBB1463_22:
                                        ; implicit-def: $vgpr1
	s_branch .LBB1463_142
.LBB1463_23:
                                        ; implicit-def: $vgpr1
	s_cbranch_execz .LBB1463_10
; %bb.24:
	s_sub_i32 s2, s36, s14
	v_cmp_gt_u32_e32 vcc, s2, v0
                                        ; implicit-def: $vgpr1
	s_and_saveexec_b64 s[0:1], vcc
	s_cbranch_execz .LBB1463_26
; %bb.25:
	v_lshlrev_b32_e32 v1, 1, v0
	global_load_ushort v2, v1, s[10:11]
	global_load_ushort v3, v1, s[12:13]
	s_waitcnt vmcnt(0)
	v_cmp_ne_u16_e32 vcc, v2, v3
	v_cndmask_b32_e64 v1, 0, 1, vcc
.LBB1463_26:
	s_or_b64 exec, exec, s[0:1]
	v_or_b32_e32 v2, 0x80, v0
	v_cmp_gt_u32_e32 vcc, s2, v2
	v_mov_b32_e32 v2, 0
	v_mov_b32_e32 v3, 0
	s_and_saveexec_b64 s[0:1], vcc
	s_cbranch_execz .LBB1463_28
; %bb.27:
	v_lshlrev_b32_e32 v3, 1, v0
	global_load_ushort v4, v3, s[10:11] offset:256
	global_load_ushort v5, v3, s[12:13] offset:256
	s_waitcnt vmcnt(0)
	v_cmp_ne_u16_e32 vcc, v4, v5
	v_cndmask_b32_e64 v3, 0, 1, vcc
.LBB1463_28:
	s_or_b64 exec, exec, s[0:1]
	v_or_b32_e32 v4, 0x100, v0
	v_cmp_gt_u32_e32 vcc, s2, v4
	s_and_saveexec_b64 s[0:1], vcc
	s_cbranch_execz .LBB1463_30
; %bb.29:
	v_lshlrev_b32_e32 v2, 1, v0
	global_load_ushort v4, v2, s[10:11] offset:512
	global_load_ushort v5, v2, s[12:13] offset:512
	s_waitcnt vmcnt(0)
	v_cmp_ne_u16_e32 vcc, v4, v5
	v_cndmask_b32_e64 v2, 0, 1, vcc
.LBB1463_30:
	s_or_b64 exec, exec, s[0:1]
	v_or_b32_e32 v4, 0x180, v0
	v_cmp_gt_u32_e32 vcc, s2, v4
	v_mov_b32_e32 v4, 0
	v_mov_b32_e32 v5, 0
	s_and_saveexec_b64 s[0:1], vcc
	s_cbranch_execz .LBB1463_32
; %bb.31:
	v_lshlrev_b32_e32 v5, 1, v0
	global_load_ushort v6, v5, s[10:11] offset:768
	global_load_ushort v7, v5, s[12:13] offset:768
	s_waitcnt vmcnt(0)
	v_cmp_ne_u16_e32 vcc, v6, v7
	v_cndmask_b32_e64 v5, 0, 1, vcc
.LBB1463_32:
	s_or_b64 exec, exec, s[0:1]
	v_or_b32_e32 v6, 0x200, v0
	v_cmp_gt_u32_e32 vcc, s2, v6
	s_and_saveexec_b64 s[0:1], vcc
	s_cbranch_execz .LBB1463_34
; %bb.33:
	v_lshlrev_b32_e32 v4, 1, v0
	global_load_ushort v6, v4, s[10:11] offset:1024
	global_load_ushort v7, v4, s[12:13] offset:1024
	s_waitcnt vmcnt(0)
	v_cmp_ne_u16_e32 vcc, v6, v7
	v_cndmask_b32_e64 v4, 0, 1, vcc
.LBB1463_34:
	;; [unrolled: 28-line block ×7, first 2 shown]
	s_or_b64 exec, exec, s[0:1]
	v_or_b32_e32 v16, 0x780, v0
	v_cmp_gt_u32_e32 vcc, s2, v16
	v_mov_b32_e32 v16, 0
	v_mov_b32_e32 v17, 0
	s_and_saveexec_b64 s[0:1], vcc
	s_cbranch_execz .LBB1463_56
; %bb.55:
	v_lshlrev_b32_e32 v17, 1, v0
	global_load_ushort v18, v17, s[10:11] offset:3840
	global_load_ushort v19, v17, s[12:13] offset:3840
	s_waitcnt vmcnt(0)
	v_cmp_ne_u16_e32 vcc, v18, v19
	v_cndmask_b32_e64 v17, 0, 1, vcc
.LBB1463_56:
	s_or_b64 exec, exec, s[0:1]
	v_or_b32_e32 v18, 0x800, v0
	v_cmp_gt_u32_e32 vcc, s2, v18
	s_and_saveexec_b64 s[0:1], vcc
	s_cbranch_execz .LBB1463_58
; %bb.57:
	v_lshlrev_b32_e32 v16, 1, v18
	global_load_ushort v18, v16, s[10:11]
	global_load_ushort v19, v16, s[12:13]
	s_waitcnt vmcnt(0)
	v_cmp_ne_u16_e32 vcc, v18, v19
	v_cndmask_b32_e64 v16, 0, 1, vcc
.LBB1463_58:
	s_or_b64 exec, exec, s[0:1]
	v_or_b32_e32 v20, 0x880, v0
	v_cmp_gt_u32_e32 vcc, s2, v20
	v_mov_b32_e32 v18, 0
	v_mov_b32_e32 v19, 0
	s_and_saveexec_b64 s[0:1], vcc
	s_cbranch_execz .LBB1463_60
; %bb.59:
	v_lshlrev_b32_e32 v19, 1, v20
	global_load_ushort v20, v19, s[10:11]
	global_load_ushort v21, v19, s[12:13]
	s_waitcnt vmcnt(0)
	v_cmp_ne_u16_e32 vcc, v20, v21
	v_cndmask_b32_e64 v19, 0, 1, vcc
.LBB1463_60:
	s_or_b64 exec, exec, s[0:1]
	v_or_b32_e32 v20, 0x900, v0
	v_cmp_gt_u32_e32 vcc, s2, v20
	s_and_saveexec_b64 s[0:1], vcc
	s_cbranch_execz .LBB1463_62
; %bb.61:
	v_lshlrev_b32_e32 v18, 1, v20
	global_load_ushort v20, v18, s[10:11]
	global_load_ushort v21, v18, s[12:13]
	s_waitcnt vmcnt(0)
	v_cmp_ne_u16_e32 vcc, v20, v21
	v_cndmask_b32_e64 v18, 0, 1, vcc
.LBB1463_62:
	s_or_b64 exec, exec, s[0:1]
	v_or_b32_e32 v22, 0x980, v0
	v_cmp_gt_u32_e32 vcc, s2, v22
	v_mov_b32_e32 v20, 0
	v_mov_b32_e32 v21, 0
	s_and_saveexec_b64 s[0:1], vcc
	s_cbranch_execz .LBB1463_64
; %bb.63:
	v_lshlrev_b32_e32 v21, 1, v22
	global_load_ushort v22, v21, s[10:11]
	global_load_ushort v23, v21, s[12:13]
	s_waitcnt vmcnt(0)
	v_cmp_ne_u16_e32 vcc, v22, v23
	v_cndmask_b32_e64 v21, 0, 1, vcc
.LBB1463_64:
	;; [unrolled: 28-line block ×7, first 2 shown]
	s_or_b64 exec, exec, s[0:1]
	v_or_b32_e32 v32, 0xf00, v0
	v_cmp_gt_u32_e32 vcc, s2, v32
	s_and_saveexec_b64 s[0:1], vcc
	s_cbranch_execz .LBB1463_86
; %bb.85:
	v_lshlrev_b32_e32 v30, 1, v32
	global_load_ushort v32, v30, s[10:11]
	global_load_ushort v33, v30, s[12:13]
	s_waitcnt vmcnt(0)
	v_cmp_ne_u16_e32 vcc, v32, v33
	v_cndmask_b32_e64 v30, 0, 1, vcc
.LBB1463_86:
	s_or_b64 exec, exec, s[0:1]
	v_or_b32_e32 v33, 0xf80, v0
	v_cmp_gt_u32_e32 vcc, s2, v33
	v_mov_b32_e32 v32, 0
	s_and_saveexec_b64 s[0:1], vcc
	s_cbranch_execz .LBB1463_88
; %bb.87:
	v_lshlrev_b32_e32 v32, 1, v33
	global_load_ushort v33, v32, s[10:11]
	global_load_ushort v34, v32, s[12:13]
	s_waitcnt vmcnt(0)
	v_cmp_ne_u16_e32 vcc, v33, v34
	v_cndmask_b32_e64 v32, 0, 1, vcc
.LBB1463_88:
	s_or_b64 exec, exec, s[0:1]
	v_add_u32_e32 v1, v3, v1
	v_add3_u32 v1, v1, v2, v5
	v_add3_u32 v1, v1, v4, v7
	;; [unrolled: 1-line block ×10, first 2 shown]
	v_mbcnt_lo_u32_b32 v2, -1, 0
	v_add3_u32 v1, v1, v22, v25
	v_mbcnt_hi_u32_b32 v2, -1, v2
	v_add3_u32 v1, v1, v24, v27
	v_and_b32_e32 v3, 63, v2
	v_add3_u32 v1, v1, v26, v29
	v_cmp_ne_u32_e32 vcc, 63, v3
	v_add3_u32 v1, v1, v28, v31
	v_addc_co_u32_e32 v4, vcc, 0, v2, vcc
	v_add3_u32 v1, v1, v30, v32
	v_lshlrev_b32_e32 v4, 2, v4
	ds_bpermute_b32 v4, v4, v1
	s_min_u32 s2, s2, 0x80
	v_and_b32_e32 v5, 64, v0
	v_sub_u32_e64 v5, s2, v5 clamp
	v_add_u32_e32 v6, 1, v3
	v_cmp_lt_u32_e32 vcc, v6, v5
	s_waitcnt lgkmcnt(0)
	v_cndmask_b32_e32 v4, 0, v4, vcc
	v_cmp_gt_u32_e32 vcc, 62, v3
	v_add_u32_e32 v1, v4, v1
	v_cndmask_b32_e64 v4, 0, 1, vcc
	v_lshlrev_b32_e32 v4, 1, v4
	v_add_lshl_u32 v4, v4, v2, 2
	ds_bpermute_b32 v4, v4, v1
	v_add_u32_e32 v6, 2, v3
	v_cmp_lt_u32_e32 vcc, v6, v5
	v_add_u32_e32 v6, 4, v3
	s_waitcnt lgkmcnt(0)
	v_cndmask_b32_e32 v4, 0, v4, vcc
	v_cmp_gt_u32_e32 vcc, 60, v3
	v_add_u32_e32 v1, v1, v4
	v_cndmask_b32_e64 v4, 0, 1, vcc
	v_lshlrev_b32_e32 v4, 2, v4
	v_add_lshl_u32 v4, v4, v2, 2
	ds_bpermute_b32 v4, v4, v1
	v_cmp_lt_u32_e32 vcc, v6, v5
	v_add_u32_e32 v6, 8, v3
	s_waitcnt lgkmcnt(0)
	v_cndmask_b32_e32 v4, 0, v4, vcc
	v_cmp_gt_u32_e32 vcc, 56, v3
	v_add_u32_e32 v1, v1, v4
	v_cndmask_b32_e64 v4, 0, 1, vcc
	v_lshlrev_b32_e32 v4, 3, v4
	v_add_lshl_u32 v4, v4, v2, 2
	ds_bpermute_b32 v4, v4, v1
	;; [unrolled: 10-line block ×3, first 2 shown]
	v_cmp_lt_u32_e32 vcc, v6, v5
	s_waitcnt lgkmcnt(0)
	v_cndmask_b32_e32 v4, 0, v4, vcc
	v_cmp_gt_u32_e32 vcc, 32, v3
	v_add_u32_e32 v1, v1, v4
	v_cndmask_b32_e64 v4, 0, 1, vcc
	v_lshlrev_b32_e32 v4, 5, v4
	v_add_lshl_u32 v4, v4, v2, 2
	ds_bpermute_b32 v4, v4, v1
	v_add_u32_e32 v3, 32, v3
	v_cmp_lt_u32_e32 vcc, v3, v5
	s_waitcnt lgkmcnt(0)
	v_cndmask_b32_e32 v3, 0, v4, vcc
	v_add_u32_e32 v1, v1, v3
	v_cmp_eq_u32_e32 vcc, 0, v2
	s_and_saveexec_b64 s[0:1], vcc
	s_cbranch_execz .LBB1463_90
; %bb.89:
	v_lshrrev_b32_e32 v3, 4, v0
	v_and_b32_e32 v3, 4, v3
	ds_write_b32 v3, v1 offset:48
.LBB1463_90:
	s_or_b64 exec, exec, s[0:1]
	v_cmp_gt_u32_e32 vcc, 2, v0
	s_waitcnt lgkmcnt(0)
	s_barrier
	s_and_saveexec_b64 s[0:1], vcc
	s_cbranch_execz .LBB1463_92
; %bb.91:
	v_lshlrev_b32_e32 v1, 2, v2
	ds_read_b32 v3, v1 offset:48
	v_or_b32_e32 v1, 4, v1
	s_add_i32 s2, s2, 63
	v_and_b32_e32 v2, 1, v2
	s_lshr_b32 s2, s2, 6
	s_waitcnt lgkmcnt(0)
	ds_bpermute_b32 v1, v1, v3
	v_add_u32_e32 v2, 1, v2
	v_cmp_gt_u32_e32 vcc, s2, v2
	s_waitcnt lgkmcnt(0)
	v_cndmask_b32_e32 v1, 0, v1, vcc
	v_add_u32_e32 v1, v1, v3
.LBB1463_92:
	s_or_b64 exec, exec, s[0:1]
	v_cmp_eq_u32_e64 s[0:1], 0, v0
	s_and_b64 vcc, exec, s[8:9]
	s_cbranch_vccnz .LBB1463_15
.LBB1463_93:
	s_branch .LBB1463_142
.LBB1463_94:
	s_mov_b64 s[2:3], -1
                                        ; implicit-def: $vgpr1
.LBB1463_95:
	s_and_b64 vcc, exec, s[2:3]
	s_cbranch_vccz .LBB1463_133
; %bb.96:
	s_sub_i32 s48, s36, s0
	v_cmp_gt_u32_e32 vcc, s48, v0
                                        ; implicit-def: $vgpr2_vgpr3_vgpr4_vgpr5_vgpr6_vgpr7_vgpr8_vgpr9_vgpr10_vgpr11_vgpr12_vgpr13_vgpr14_vgpr15_vgpr16_vgpr17
	s_and_saveexec_b64 s[0:1], vcc
	s_cbranch_execz .LBB1463_98
; %bb.97:
	v_lshlrev_b32_e32 v1, 1, v0
	global_load_ushort v2, v1, s[34:35]
	global_load_ushort v3, v1, s[44:45]
	s_waitcnt vmcnt(0)
	v_cmp_ne_u16_e32 vcc, v2, v3
	v_cndmask_b32_e64 v2, 0, 1, vcc
.LBB1463_98:
	s_or_b64 exec, exec, s[0:1]
	v_or_b32_e32 v1, 0x80, v0
	v_cmp_gt_u32_e32 vcc, s48, v1
	s_and_saveexec_b64 s[2:3], vcc
	s_cbranch_execz .LBB1463_100
; %bb.99:
	v_lshlrev_b32_e32 v1, 1, v0
	global_load_ushort v3, v1, s[34:35] offset:256
	global_load_ushort v18, v1, s[44:45] offset:256
	s_waitcnt vmcnt(0)
	v_cmp_ne_u16_e64 s[0:1], v3, v18
	v_cndmask_b32_e64 v3, 0, 1, s[0:1]
.LBB1463_100:
	s_or_b64 exec, exec, s[2:3]
	v_or_b32_e32 v1, 0x100, v0
	v_cmp_gt_u32_e64 s[0:1], s48, v1
	s_and_saveexec_b64 s[8:9], s[0:1]
	s_cbranch_execz .LBB1463_102
; %bb.101:
	v_lshlrev_b32_e32 v1, 1, v0
	global_load_ushort v4, v1, s[34:35] offset:512
	global_load_ushort v18, v1, s[44:45] offset:512
	s_waitcnt vmcnt(0)
	v_cmp_ne_u16_e64 s[2:3], v4, v18
	v_cndmask_b32_e64 v4, 0, 1, s[2:3]
.LBB1463_102:
	s_or_b64 exec, exec, s[8:9]
	v_or_b32_e32 v1, 0x180, v0
	v_cmp_gt_u32_e64 s[2:3], s48, v1
	s_and_saveexec_b64 s[10:11], s[2:3]
	;; [unrolled: 13-line block ×13, first 2 shown]
	s_cbranch_execz .LBB1463_126
; %bb.125:
	v_lshlrev_b32_e32 v1, 1, v0
	global_load_ushort v16, v1, s[34:35] offset:3584
	s_nop 0
	global_load_ushort v1, v1, s[44:45] offset:3584
	s_waitcnt vmcnt(0)
	v_cmp_ne_u16_e64 s[30:31], v16, v1
	v_cndmask_b32_e64 v16, 0, 1, s[30:31]
.LBB1463_126:
	s_or_b64 exec, exec, s[46:47]
	v_or_b32_e32 v1, 0x780, v0
	v_cmp_gt_u32_e64 s[30:31], s48, v1
	s_and_saveexec_b64 s[46:47], s[30:31]
	s_cbranch_execz .LBB1463_128
; %bb.127:
	v_lshlrev_b32_e32 v1, 1, v0
	global_load_ushort v17, v1, s[34:35] offset:3840
	s_nop 0
	global_load_ushort v1, v1, s[44:45] offset:3840
	s_waitcnt vmcnt(0)
	v_cmp_ne_u16_e64 s[34:35], v17, v1
	v_cndmask_b32_e64 v17, 0, 1, s[34:35]
.LBB1463_128:
	s_or_b64 exec, exec, s[46:47]
	v_cndmask_b32_e32 v1, 0, v3, vcc
	v_add_u32_e32 v1, v1, v2
	v_cndmask_b32_e64 v2, 0, v4, s[0:1]
	v_cndmask_b32_e64 v3, 0, v5, s[2:3]
	v_add3_u32 v1, v1, v2, v3
	v_cndmask_b32_e64 v2, 0, v6, s[8:9]
	v_cndmask_b32_e64 v3, 0, v7, s[10:11]
	v_add3_u32 v1, v1, v2, v3
	;; [unrolled: 3-line block ×7, first 2 shown]
	v_mbcnt_lo_u32_b32 v2, -1, 0
	v_mbcnt_hi_u32_b32 v2, -1, v2
	v_and_b32_e32 v3, 63, v2
	v_cmp_ne_u32_e32 vcc, 63, v3
	v_addc_co_u32_e32 v4, vcc, 0, v2, vcc
	v_lshlrev_b32_e32 v4, 2, v4
	ds_bpermute_b32 v4, v4, v1
	s_min_u32 s2, s48, 0x80
	v_and_b32_e32 v5, 64, v0
	v_sub_u32_e64 v5, s2, v5 clamp
	v_add_u32_e32 v6, 1, v3
	v_cmp_lt_u32_e32 vcc, v6, v5
	s_waitcnt lgkmcnt(0)
	v_cndmask_b32_e32 v4, 0, v4, vcc
	v_cmp_gt_u32_e32 vcc, 62, v3
	v_add_u32_e32 v1, v1, v4
	v_cndmask_b32_e64 v4, 0, 1, vcc
	v_lshlrev_b32_e32 v4, 1, v4
	v_add_lshl_u32 v4, v4, v2, 2
	ds_bpermute_b32 v4, v4, v1
	v_add_u32_e32 v6, 2, v3
	v_cmp_lt_u32_e32 vcc, v6, v5
	v_add_u32_e32 v6, 4, v3
	s_waitcnt lgkmcnt(0)
	v_cndmask_b32_e32 v4, 0, v4, vcc
	v_cmp_gt_u32_e32 vcc, 60, v3
	v_add_u32_e32 v1, v1, v4
	v_cndmask_b32_e64 v4, 0, 1, vcc
	v_lshlrev_b32_e32 v4, 2, v4
	v_add_lshl_u32 v4, v4, v2, 2
	ds_bpermute_b32 v4, v4, v1
	v_cmp_lt_u32_e32 vcc, v6, v5
	v_add_u32_e32 v6, 8, v3
	s_waitcnt lgkmcnt(0)
	v_cndmask_b32_e32 v4, 0, v4, vcc
	v_cmp_gt_u32_e32 vcc, 56, v3
	v_add_u32_e32 v1, v1, v4
	v_cndmask_b32_e64 v4, 0, 1, vcc
	v_lshlrev_b32_e32 v4, 3, v4
	v_add_lshl_u32 v4, v4, v2, 2
	ds_bpermute_b32 v4, v4, v1
	;; [unrolled: 10-line block ×3, first 2 shown]
	v_cmp_lt_u32_e32 vcc, v6, v5
	s_waitcnt lgkmcnt(0)
	v_cndmask_b32_e32 v4, 0, v4, vcc
	v_cmp_gt_u32_e32 vcc, 32, v3
	v_add_u32_e32 v1, v1, v4
	v_cndmask_b32_e64 v4, 0, 1, vcc
	v_lshlrev_b32_e32 v4, 5, v4
	v_add_lshl_u32 v4, v4, v2, 2
	ds_bpermute_b32 v4, v4, v1
	v_add_u32_e32 v3, 32, v3
	v_cmp_lt_u32_e32 vcc, v3, v5
	s_waitcnt lgkmcnt(0)
	v_cndmask_b32_e32 v3, 0, v4, vcc
	v_add_u32_e32 v1, v1, v3
	v_cmp_eq_u32_e32 vcc, 0, v2
	s_and_saveexec_b64 s[0:1], vcc
	s_cbranch_execz .LBB1463_130
; %bb.129:
	v_lshrrev_b32_e32 v3, 4, v0
	v_and_b32_e32 v3, 4, v3
	ds_write_b32 v3, v1 offset:48
.LBB1463_130:
	s_or_b64 exec, exec, s[0:1]
	v_cmp_gt_u32_e32 vcc, 2, v0
	s_waitcnt lgkmcnt(0)
	s_barrier
	s_and_saveexec_b64 s[0:1], vcc
	s_cbranch_execz .LBB1463_132
; %bb.131:
	v_lshlrev_b32_e32 v1, 2, v2
	ds_read_b32 v3, v1 offset:48
	v_or_b32_e32 v1, 4, v1
	s_add_i32 s2, s2, 63
	v_and_b32_e32 v2, 1, v2
	s_lshr_b32 s2, s2, 6
	s_waitcnt lgkmcnt(0)
	ds_bpermute_b32 v1, v1, v3
	v_add_u32_e32 v2, 1, v2
	v_cmp_gt_u32_e32 vcc, s2, v2
	s_waitcnt lgkmcnt(0)
	v_cndmask_b32_e32 v1, 0, v1, vcc
	v_add_u32_e32 v1, v1, v3
.LBB1463_132:
	s_or_b64 exec, exec, s[0:1]
.LBB1463_133:
	v_cmp_eq_u32_e64 s[0:1], 0, v0
	s_branch .LBB1463_142
.LBB1463_134:
	s_cmp_eq_u32 s33, 8
	s_cbranch_scc0 .LBB1463_141
; %bb.135:
	s_mov_b32 s7, 0
	s_lshl_b32 s0, s6, 10
	s_mov_b32 s1, s7
	s_lshr_b64 s[2:3], s[36:37], 10
	s_lshl_b64 s[8:9], s[0:1], 1
	s_add_u32 s16, s40, s8
	s_addc_u32 s17, s41, s9
	s_add_u32 s18, s42, s8
	s_addc_u32 s19, s43, s9
	s_cmp_lg_u64 s[2:3], s[6:7]
	s_cbranch_scc0 .LBB1463_143
; %bb.136:
	v_lshlrev_b32_e32 v1, 1, v0
	global_load_ushort v4, v1, s[16:17]
	global_load_ushort v5, v1, s[18:19]
	global_load_ushort v6, v1, s[16:17] offset:512
	global_load_ushort v7, v1, s[18:19] offset:512
	;; [unrolled: 1-line block ×13, first 2 shown]
	s_nop 0
	global_load_ushort v1, v1, s[18:19] offset:1792
	v_mbcnt_lo_u32_b32 v2, -1, 0
	v_mbcnt_hi_u32_b32 v2, -1, v2
	v_lshlrev_b32_e32 v3, 2, v2
	s_waitcnt vmcnt(14)
	v_cmp_ne_u16_e32 vcc, v4, v5
	v_cndmask_b32_e64 v4, 0, 1, vcc
	s_waitcnt vmcnt(12)
	v_cmp_ne_u16_e32 vcc, v6, v7
	v_cndmask_b32_e64 v5, 0, 1, vcc
	;; [unrolled: 3-line block ×4, first 2 shown]
	s_waitcnt vmcnt(6)
	v_cmp_ne_u16_e32 vcc, v12, v13
	v_addc_co_u32_e32 v4, vcc, 0, v4, vcc
	s_waitcnt vmcnt(4)
	v_cmp_ne_u16_e32 vcc, v14, v15
	v_addc_co_u32_e32 v4, vcc, v4, v5, vcc
	;; [unrolled: 3-line block ×4, first 2 shown]
	v_or_b32_e32 v4, 0xfc, v3
	s_nop 0
	v_add_u32_dpp v1, v1, v1 quad_perm:[1,0,3,2] row_mask:0xf bank_mask:0xf bound_ctrl:1
	v_cmp_eq_u32_e32 vcc, 0, v2
	s_nop 0
	v_add_u32_dpp v1, v1, v1 quad_perm:[2,3,0,1] row_mask:0xf bank_mask:0xf bound_ctrl:1
	s_nop 1
	v_add_u32_dpp v1, v1, v1 row_ror:4 row_mask:0xf bank_mask:0xf bound_ctrl:1
	s_nop 1
	v_add_u32_dpp v1, v1, v1 row_ror:8 row_mask:0xf bank_mask:0xf bound_ctrl:1
	s_nop 1
	v_add_u32_dpp v1, v1, v1 row_bcast:15 row_mask:0xf bank_mask:0xf bound_ctrl:1
	s_nop 1
	v_add_u32_dpp v1, v1, v1 row_bcast:31 row_mask:0xf bank_mask:0xf bound_ctrl:1
	ds_bpermute_b32 v1, v4, v1
	s_and_saveexec_b64 s[2:3], vcc
	s_cbranch_execz .LBB1463_138
; %bb.137:
	v_lshrrev_b32_e32 v4, 4, v0
	v_and_b32_e32 v4, 4, v4
	s_waitcnt lgkmcnt(0)
	ds_write_b32 v4, v1 offset:40
.LBB1463_138:
	s_or_b64 exec, exec, s[2:3]
	v_cmp_gt_u32_e32 vcc, 64, v0
	s_waitcnt lgkmcnt(0)
	s_barrier
	s_and_saveexec_b64 s[2:3], vcc
	s_cbranch_execz .LBB1463_140
; %bb.139:
	v_and_b32_e32 v1, 1, v2
	v_lshlrev_b32_e32 v1, 2, v1
	ds_read_b32 v1, v1 offset:40
	v_or_b32_e32 v2, 4, v3
	s_waitcnt lgkmcnt(0)
	ds_bpermute_b32 v2, v2, v1
	s_waitcnt lgkmcnt(0)
	v_add_u32_e32 v1, v2, v1
.LBB1463_140:
	s_or_b64 exec, exec, s[2:3]
	s_branch .LBB1463_165
.LBB1463_141:
                                        ; implicit-def: $vgpr1
.LBB1463_142:
	s_branch .LBB1463_224
.LBB1463_143:
                                        ; implicit-def: $vgpr1
	s_cbranch_execz .LBB1463_165
; %bb.144:
	s_sub_i32 s22, s36, s0
	v_cmp_gt_u32_e32 vcc, s22, v0
                                        ; implicit-def: $vgpr2_vgpr3_vgpr4_vgpr5_vgpr6_vgpr7_vgpr8_vgpr9
	s_and_saveexec_b64 s[0:1], vcc
	s_cbranch_execz .LBB1463_146
; %bb.145:
	v_lshlrev_b32_e32 v1, 1, v0
	global_load_ushort v2, v1, s[16:17]
	global_load_ushort v3, v1, s[18:19]
	s_waitcnt vmcnt(0)
	v_cmp_ne_u16_e32 vcc, v2, v3
	v_cndmask_b32_e64 v2, 0, 1, vcc
.LBB1463_146:
	s_or_b64 exec, exec, s[0:1]
	v_or_b32_e32 v1, 0x80, v0
	v_cmp_gt_u32_e32 vcc, s22, v1
	s_and_saveexec_b64 s[2:3], vcc
	s_cbranch_execz .LBB1463_148
; %bb.147:
	v_lshlrev_b32_e32 v1, 1, v0
	global_load_ushort v3, v1, s[16:17] offset:256
	global_load_ushort v10, v1, s[18:19] offset:256
	s_waitcnt vmcnt(0)
	v_cmp_ne_u16_e64 s[0:1], v3, v10
	v_cndmask_b32_e64 v3, 0, 1, s[0:1]
.LBB1463_148:
	s_or_b64 exec, exec, s[2:3]
	v_or_b32_e32 v1, 0x100, v0
	v_cmp_gt_u32_e64 s[0:1], s22, v1
	s_and_saveexec_b64 s[8:9], s[0:1]
	s_cbranch_execz .LBB1463_150
; %bb.149:
	v_lshlrev_b32_e32 v1, 1, v0
	global_load_ushort v4, v1, s[16:17] offset:512
	global_load_ushort v10, v1, s[18:19] offset:512
	s_waitcnt vmcnt(0)
	v_cmp_ne_u16_e64 s[2:3], v4, v10
	v_cndmask_b32_e64 v4, 0, 1, s[2:3]
.LBB1463_150:
	s_or_b64 exec, exec, s[8:9]
	v_or_b32_e32 v1, 0x180, v0
	v_cmp_gt_u32_e64 s[2:3], s22, v1
	s_and_saveexec_b64 s[10:11], s[2:3]
	;; [unrolled: 13-line block ×6, first 2 shown]
	s_cbranch_execz .LBB1463_160
; %bb.159:
	v_lshlrev_b32_e32 v1, 1, v0
	global_load_ushort v9, v1, s[16:17] offset:1792
	global_load_ushort v10, v1, s[18:19] offset:1792
	s_waitcnt vmcnt(0)
	v_cmp_ne_u16_e64 s[16:17], v9, v10
	v_cndmask_b32_e64 v9, 0, 1, s[16:17]
.LBB1463_160:
	s_or_b64 exec, exec, s[20:21]
	v_cndmask_b32_e32 v1, 0, v3, vcc
	v_add_u32_e32 v1, v1, v2
	v_cndmask_b32_e64 v2, 0, v4, s[0:1]
	v_cndmask_b32_e64 v3, 0, v5, s[2:3]
	v_add3_u32 v1, v1, v2, v3
	v_cndmask_b32_e64 v2, 0, v6, s[8:9]
	v_cndmask_b32_e64 v3, 0, v7, s[10:11]
	v_add3_u32 v1, v1, v2, v3
	;; [unrolled: 3-line block ×3, first 2 shown]
	v_mbcnt_lo_u32_b32 v2, -1, 0
	v_mbcnt_hi_u32_b32 v2, -1, v2
	v_and_b32_e32 v3, 63, v2
	v_cmp_ne_u32_e32 vcc, 63, v3
	v_addc_co_u32_e32 v4, vcc, 0, v2, vcc
	v_lshlrev_b32_e32 v4, 2, v4
	ds_bpermute_b32 v4, v4, v1
	s_min_u32 s2, s22, 0x80
	v_and_b32_e32 v5, 64, v0
	v_sub_u32_e64 v5, s2, v5 clamp
	v_add_u32_e32 v6, 1, v3
	v_cmp_lt_u32_e32 vcc, v6, v5
	s_waitcnt lgkmcnt(0)
	v_cndmask_b32_e32 v4, 0, v4, vcc
	v_cmp_gt_u32_e32 vcc, 62, v3
	v_add_u32_e32 v1, v1, v4
	v_cndmask_b32_e64 v4, 0, 1, vcc
	v_lshlrev_b32_e32 v4, 1, v4
	v_add_lshl_u32 v4, v4, v2, 2
	ds_bpermute_b32 v4, v4, v1
	v_add_u32_e32 v6, 2, v3
	v_cmp_lt_u32_e32 vcc, v6, v5
	v_add_u32_e32 v6, 4, v3
	s_waitcnt lgkmcnt(0)
	v_cndmask_b32_e32 v4, 0, v4, vcc
	v_cmp_gt_u32_e32 vcc, 60, v3
	v_add_u32_e32 v1, v1, v4
	v_cndmask_b32_e64 v4, 0, 1, vcc
	v_lshlrev_b32_e32 v4, 2, v4
	v_add_lshl_u32 v4, v4, v2, 2
	ds_bpermute_b32 v4, v4, v1
	v_cmp_lt_u32_e32 vcc, v6, v5
	v_add_u32_e32 v6, 8, v3
	s_waitcnt lgkmcnt(0)
	v_cndmask_b32_e32 v4, 0, v4, vcc
	v_cmp_gt_u32_e32 vcc, 56, v3
	v_add_u32_e32 v1, v1, v4
	v_cndmask_b32_e64 v4, 0, 1, vcc
	v_lshlrev_b32_e32 v4, 3, v4
	v_add_lshl_u32 v4, v4, v2, 2
	ds_bpermute_b32 v4, v4, v1
	;; [unrolled: 10-line block ×3, first 2 shown]
	v_cmp_lt_u32_e32 vcc, v6, v5
	s_waitcnt lgkmcnt(0)
	v_cndmask_b32_e32 v4, 0, v4, vcc
	v_cmp_gt_u32_e32 vcc, 32, v3
	v_add_u32_e32 v1, v1, v4
	v_cndmask_b32_e64 v4, 0, 1, vcc
	v_lshlrev_b32_e32 v4, 5, v4
	v_add_lshl_u32 v4, v4, v2, 2
	ds_bpermute_b32 v4, v4, v1
	v_add_u32_e32 v3, 32, v3
	v_cmp_lt_u32_e32 vcc, v3, v5
	s_waitcnt lgkmcnt(0)
	v_cndmask_b32_e32 v3, 0, v4, vcc
	v_add_u32_e32 v1, v1, v3
	v_cmp_eq_u32_e32 vcc, 0, v2
	s_and_saveexec_b64 s[0:1], vcc
	s_cbranch_execz .LBB1463_162
; %bb.161:
	v_lshrrev_b32_e32 v3, 4, v0
	v_and_b32_e32 v3, 4, v3
	ds_write_b32 v3, v1 offset:48
.LBB1463_162:
	s_or_b64 exec, exec, s[0:1]
	v_cmp_gt_u32_e32 vcc, 2, v0
	s_waitcnt lgkmcnt(0)
	s_barrier
	s_and_saveexec_b64 s[0:1], vcc
	s_cbranch_execz .LBB1463_164
; %bb.163:
	v_lshlrev_b32_e32 v1, 2, v2
	ds_read_b32 v3, v1 offset:48
	v_or_b32_e32 v1, 4, v1
	s_add_i32 s2, s2, 63
	v_and_b32_e32 v2, 1, v2
	s_lshr_b32 s2, s2, 6
	s_waitcnt lgkmcnt(0)
	ds_bpermute_b32 v1, v1, v3
	v_add_u32_e32 v2, 1, v2
	v_cmp_gt_u32_e32 vcc, s2, v2
	s_waitcnt lgkmcnt(0)
	v_cndmask_b32_e32 v1, 0, v1, vcc
	v_add_u32_e32 v1, v1, v3
.LBB1463_164:
	s_or_b64 exec, exec, s[0:1]
.LBB1463_165:
	v_cmp_eq_u32_e64 s[0:1], 0, v0
	s_branch .LBB1463_224
.LBB1463_166:
	s_cmp_gt_i32 s33, 1
	s_cbranch_scc0 .LBB1463_175
; %bb.167:
	s_cmp_gt_i32 s33, 3
	s_cbranch_scc0 .LBB1463_176
; %bb.168:
	s_cmp_eq_u32 s33, 4
	s_cbranch_scc0 .LBB1463_177
; %bb.169:
	s_mov_b32 s7, 0
	s_lshl_b32 s0, s6, 9
	s_mov_b32 s1, s7
	s_lshr_b64 s[2:3], s[36:37], 9
	s_lshl_b64 s[10:11], s[0:1], 1
	s_add_u32 s8, s40, s10
	s_addc_u32 s9, s41, s11
	s_add_u32 s10, s42, s10
	s_addc_u32 s11, s43, s11
	s_cmp_lg_u64 s[2:3], s[6:7]
	s_cbranch_scc0 .LBB1463_179
; %bb.170:
	v_lshlrev_b32_e32 v1, 1, v0
	global_load_ushort v4, v1, s[8:9]
	global_load_ushort v5, v1, s[10:11]
	global_load_ushort v6, v1, s[8:9] offset:512
	global_load_ushort v7, v1, s[10:11] offset:512
	;; [unrolled: 1-line block ×6, first 2 shown]
	v_mbcnt_lo_u32_b32 v1, -1, 0
	v_mbcnt_hi_u32_b32 v2, -1, v1
	v_lshlrev_b32_e32 v3, 2, v2
	s_waitcnt vmcnt(6)
	v_cmp_ne_u16_e32 vcc, v4, v5
	v_cndmask_b32_e64 v1, 0, 1, vcc
	s_waitcnt vmcnt(4)
	v_cmp_ne_u16_e32 vcc, v6, v7
	v_cndmask_b32_e64 v4, 0, 1, vcc
	s_waitcnt vmcnt(2)
	v_cmp_ne_u16_e32 vcc, v8, v9
	v_addc_co_u32_e32 v1, vcc, 0, v1, vcc
	s_waitcnt vmcnt(0)
	v_cmp_ne_u16_e32 vcc, v11, v10
	v_addc_co_u32_e32 v1, vcc, v1, v4, vcc
	v_or_b32_e32 v4, 0xfc, v3
	s_nop 0
	v_add_u32_dpp v1, v1, v1 quad_perm:[1,0,3,2] row_mask:0xf bank_mask:0xf bound_ctrl:1
	v_cmp_eq_u32_e32 vcc, 0, v2
	s_nop 0
	v_add_u32_dpp v1, v1, v1 quad_perm:[2,3,0,1] row_mask:0xf bank_mask:0xf bound_ctrl:1
	s_nop 1
	v_add_u32_dpp v1, v1, v1 row_ror:4 row_mask:0xf bank_mask:0xf bound_ctrl:1
	s_nop 1
	v_add_u32_dpp v1, v1, v1 row_ror:8 row_mask:0xf bank_mask:0xf bound_ctrl:1
	s_nop 1
	v_add_u32_dpp v1, v1, v1 row_bcast:15 row_mask:0xf bank_mask:0xf bound_ctrl:1
	s_nop 1
	v_add_u32_dpp v1, v1, v1 row_bcast:31 row_mask:0xf bank_mask:0xf bound_ctrl:1
	ds_bpermute_b32 v1, v4, v1
	s_and_saveexec_b64 s[2:3], vcc
	s_cbranch_execz .LBB1463_172
; %bb.171:
	v_lshrrev_b32_e32 v4, 4, v0
	v_and_b32_e32 v4, 4, v4
	s_waitcnt lgkmcnt(0)
	ds_write_b32 v4, v1 offset:32
.LBB1463_172:
	s_or_b64 exec, exec, s[2:3]
	v_cmp_gt_u32_e32 vcc, 64, v0
	s_waitcnt lgkmcnt(0)
	s_barrier
	s_and_saveexec_b64 s[2:3], vcc
	s_cbranch_execz .LBB1463_174
; %bb.173:
	v_and_b32_e32 v1, 1, v2
	v_lshlrev_b32_e32 v1, 2, v1
	ds_read_b32 v1, v1 offset:32
	v_or_b32_e32 v2, 4, v3
	s_waitcnt lgkmcnt(0)
	ds_bpermute_b32 v2, v2, v1
	s_waitcnt lgkmcnt(0)
	v_add_u32_e32 v1, v2, v1
.LBB1463_174:
	s_or_b64 exec, exec, s[2:3]
	s_mov_b64 s[2:3], 0
	s_branch .LBB1463_180
.LBB1463_175:
                                        ; implicit-def: $vgpr1
	s_cbranch_execnz .LBB1463_215
	s_branch .LBB1463_224
.LBB1463_176:
                                        ; implicit-def: $vgpr1
	s_cbranch_execz .LBB1463_178
	s_branch .LBB1463_195
.LBB1463_177:
                                        ; implicit-def: $vgpr1
.LBB1463_178:
	s_branch .LBB1463_224
.LBB1463_179:
	s_mov_b64 s[2:3], -1
                                        ; implicit-def: $vgpr1
.LBB1463_180:
	s_and_b64 vcc, exec, s[2:3]
	s_cbranch_vccz .LBB1463_194
; %bb.181:
	s_sub_i32 s14, s36, s0
	v_cmp_gt_u32_e32 vcc, s14, v0
                                        ; implicit-def: $vgpr2_vgpr3_vgpr4_vgpr5
	s_and_saveexec_b64 s[0:1], vcc
	s_cbranch_execz .LBB1463_183
; %bb.182:
	v_lshlrev_b32_e32 v1, 1, v0
	global_load_ushort v2, v1, s[8:9]
	global_load_ushort v3, v1, s[10:11]
	s_waitcnt vmcnt(0)
	v_cmp_ne_u16_e32 vcc, v2, v3
	v_cndmask_b32_e64 v2, 0, 1, vcc
.LBB1463_183:
	s_or_b64 exec, exec, s[0:1]
	v_or_b32_e32 v1, 0x80, v0
	v_cmp_gt_u32_e32 vcc, s14, v1
	s_and_saveexec_b64 s[2:3], vcc
	s_cbranch_execz .LBB1463_185
; %bb.184:
	v_lshlrev_b32_e32 v1, 1, v0
	global_load_ushort v3, v1, s[8:9] offset:256
	global_load_ushort v6, v1, s[10:11] offset:256
	s_waitcnt vmcnt(0)
	v_cmp_ne_u16_e64 s[0:1], v3, v6
	v_cndmask_b32_e64 v3, 0, 1, s[0:1]
.LBB1463_185:
	s_or_b64 exec, exec, s[2:3]
	v_or_b32_e32 v1, 0x100, v0
	v_cmp_gt_u32_e64 s[0:1], s14, v1
	s_and_saveexec_b64 s[12:13], s[0:1]
	s_cbranch_execz .LBB1463_187
; %bb.186:
	v_lshlrev_b32_e32 v1, 1, v0
	global_load_ushort v4, v1, s[8:9] offset:512
	global_load_ushort v6, v1, s[10:11] offset:512
	s_waitcnt vmcnt(0)
	v_cmp_ne_u16_e64 s[2:3], v4, v6
	v_cndmask_b32_e64 v4, 0, 1, s[2:3]
.LBB1463_187:
	s_or_b64 exec, exec, s[12:13]
	v_or_b32_e32 v1, 0x180, v0
	v_cmp_gt_u32_e64 s[2:3], s14, v1
	s_and_saveexec_b64 s[12:13], s[2:3]
	s_cbranch_execz .LBB1463_189
; %bb.188:
	v_lshlrev_b32_e32 v1, 1, v0
	global_load_ushort v5, v1, s[8:9] offset:768
	global_load_ushort v6, v1, s[10:11] offset:768
	s_waitcnt vmcnt(0)
	v_cmp_ne_u16_e64 s[8:9], v5, v6
	v_cndmask_b32_e64 v5, 0, 1, s[8:9]
.LBB1463_189:
	s_or_b64 exec, exec, s[12:13]
	v_cndmask_b32_e32 v1, 0, v3, vcc
	v_add_u32_e32 v1, v1, v2
	v_cndmask_b32_e64 v2, 0, v4, s[0:1]
	v_cndmask_b32_e64 v3, 0, v5, s[2:3]
	v_add3_u32 v1, v1, v2, v3
	v_mbcnt_lo_u32_b32 v2, -1, 0
	v_mbcnt_hi_u32_b32 v2, -1, v2
	v_and_b32_e32 v3, 63, v2
	v_cmp_ne_u32_e32 vcc, 63, v3
	v_addc_co_u32_e32 v4, vcc, 0, v2, vcc
	v_lshlrev_b32_e32 v4, 2, v4
	ds_bpermute_b32 v4, v4, v1
	s_min_u32 s2, s14, 0x80
	v_and_b32_e32 v5, 64, v0
	v_sub_u32_e64 v5, s2, v5 clamp
	v_add_u32_e32 v6, 1, v3
	v_cmp_lt_u32_e32 vcc, v6, v5
	s_waitcnt lgkmcnt(0)
	v_cndmask_b32_e32 v4, 0, v4, vcc
	v_cmp_gt_u32_e32 vcc, 62, v3
	v_add_u32_e32 v1, v4, v1
	v_cndmask_b32_e64 v4, 0, 1, vcc
	v_lshlrev_b32_e32 v4, 1, v4
	v_add_lshl_u32 v4, v4, v2, 2
	ds_bpermute_b32 v4, v4, v1
	v_add_u32_e32 v6, 2, v3
	v_cmp_lt_u32_e32 vcc, v6, v5
	v_add_u32_e32 v6, 4, v3
	s_waitcnt lgkmcnt(0)
	v_cndmask_b32_e32 v4, 0, v4, vcc
	v_cmp_gt_u32_e32 vcc, 60, v3
	v_add_u32_e32 v1, v1, v4
	v_cndmask_b32_e64 v4, 0, 1, vcc
	v_lshlrev_b32_e32 v4, 2, v4
	v_add_lshl_u32 v4, v4, v2, 2
	ds_bpermute_b32 v4, v4, v1
	v_cmp_lt_u32_e32 vcc, v6, v5
	v_add_u32_e32 v6, 8, v3
	s_waitcnt lgkmcnt(0)
	v_cndmask_b32_e32 v4, 0, v4, vcc
	v_cmp_gt_u32_e32 vcc, 56, v3
	v_add_u32_e32 v1, v1, v4
	v_cndmask_b32_e64 v4, 0, 1, vcc
	v_lshlrev_b32_e32 v4, 3, v4
	v_add_lshl_u32 v4, v4, v2, 2
	ds_bpermute_b32 v4, v4, v1
	;; [unrolled: 10-line block ×3, first 2 shown]
	v_cmp_lt_u32_e32 vcc, v6, v5
	s_waitcnt lgkmcnt(0)
	v_cndmask_b32_e32 v4, 0, v4, vcc
	v_cmp_gt_u32_e32 vcc, 32, v3
	v_add_u32_e32 v1, v1, v4
	v_cndmask_b32_e64 v4, 0, 1, vcc
	v_lshlrev_b32_e32 v4, 5, v4
	v_add_lshl_u32 v4, v4, v2, 2
	ds_bpermute_b32 v4, v4, v1
	v_add_u32_e32 v3, 32, v3
	v_cmp_lt_u32_e32 vcc, v3, v5
	s_waitcnt lgkmcnt(0)
	v_cndmask_b32_e32 v3, 0, v4, vcc
	v_add_u32_e32 v1, v1, v3
	v_cmp_eq_u32_e32 vcc, 0, v2
	s_and_saveexec_b64 s[0:1], vcc
	s_cbranch_execz .LBB1463_191
; %bb.190:
	v_lshrrev_b32_e32 v3, 4, v0
	v_and_b32_e32 v3, 4, v3
	ds_write_b32 v3, v1 offset:48
.LBB1463_191:
	s_or_b64 exec, exec, s[0:1]
	v_cmp_gt_u32_e32 vcc, 2, v0
	s_waitcnt lgkmcnt(0)
	s_barrier
	s_and_saveexec_b64 s[0:1], vcc
	s_cbranch_execz .LBB1463_193
; %bb.192:
	v_lshlrev_b32_e32 v1, 2, v2
	ds_read_b32 v3, v1 offset:48
	v_or_b32_e32 v1, 4, v1
	s_add_i32 s2, s2, 63
	v_and_b32_e32 v2, 1, v2
	s_lshr_b32 s2, s2, 6
	s_waitcnt lgkmcnt(0)
	ds_bpermute_b32 v1, v1, v3
	v_add_u32_e32 v2, 1, v2
	v_cmp_gt_u32_e32 vcc, s2, v2
	s_waitcnt lgkmcnt(0)
	v_cndmask_b32_e32 v1, 0, v1, vcc
	v_add_u32_e32 v1, v1, v3
.LBB1463_193:
	s_or_b64 exec, exec, s[0:1]
.LBB1463_194:
	v_cmp_eq_u32_e64 s[0:1], 0, v0
	s_branch .LBB1463_178
.LBB1463_195:
	s_cmp_eq_u32 s33, 2
	s_cbranch_scc0 .LBB1463_202
; %bb.196:
	s_mov_b32 s7, 0
	s_lshl_b32 s10, s6, 8
	s_mov_b32 s11, s7
	s_lshr_b64 s[0:1], s[36:37], 8
	s_lshl_b64 s[8:9], s[10:11], 1
	s_add_u32 s2, s40, s8
	s_addc_u32 s3, s41, s9
	s_add_u32 s8, s42, s8
	s_addc_u32 s9, s43, s9
	s_cmp_lg_u64 s[0:1], s[6:7]
	s_cbranch_scc0 .LBB1463_203
; %bb.197:
	v_lshlrev_b32_e32 v1, 1, v0
	global_load_ushort v4, v1, s[2:3]
	global_load_ushort v5, v1, s[8:9]
	global_load_ushort v6, v1, s[8:9] offset:256
	global_load_ushort v7, v1, s[2:3] offset:256
	v_mbcnt_lo_u32_b32 v1, -1, 0
	v_mbcnt_hi_u32_b32 v2, -1, v1
	v_lshlrev_b32_e32 v3, 2, v2
	s_waitcnt vmcnt(2)
	v_cmp_ne_u16_e32 vcc, v4, v5
	v_cndmask_b32_e64 v1, 0, 1, vcc
	s_waitcnt vmcnt(0)
	v_cmp_ne_u16_e32 vcc, v7, v6
	v_addc_co_u32_e64 v4, s[0:1], 0, v1, vcc
	s_nop 1
	v_mov_b32_dpp v4, v4 quad_perm:[1,0,3,2] row_mask:0xf bank_mask:0xf bound_ctrl:1
	v_addc_co_u32_e32 v1, vcc, v4, v1, vcc
	v_or_b32_e32 v4, 0xfc, v3
	s_nop 0
	v_add_u32_dpp v1, v1, v1 quad_perm:[2,3,0,1] row_mask:0xf bank_mask:0xf bound_ctrl:1
	v_cmp_eq_u32_e32 vcc, 0, v2
	s_nop 0
	v_add_u32_dpp v1, v1, v1 row_ror:4 row_mask:0xf bank_mask:0xf bound_ctrl:1
	s_nop 1
	v_add_u32_dpp v1, v1, v1 row_ror:8 row_mask:0xf bank_mask:0xf bound_ctrl:1
	s_nop 1
	v_add_u32_dpp v1, v1, v1 row_bcast:15 row_mask:0xf bank_mask:0xf bound_ctrl:1
	s_nop 1
	v_add_u32_dpp v1, v1, v1 row_bcast:31 row_mask:0xf bank_mask:0xf bound_ctrl:1
	ds_bpermute_b32 v1, v4, v1
	s_and_saveexec_b64 s[0:1], vcc
	s_cbranch_execz .LBB1463_199
; %bb.198:
	v_lshrrev_b32_e32 v4, 4, v0
	v_and_b32_e32 v4, 4, v4
	s_waitcnt lgkmcnt(0)
	ds_write_b32 v4, v1 offset:16
.LBB1463_199:
	s_or_b64 exec, exec, s[0:1]
	v_cmp_gt_u32_e32 vcc, 64, v0
	s_waitcnt lgkmcnt(0)
	s_barrier
	s_and_saveexec_b64 s[0:1], vcc
	s_cbranch_execz .LBB1463_201
; %bb.200:
	v_and_b32_e32 v1, 1, v2
	v_lshlrev_b32_e32 v1, 2, v1
	ds_read_b32 v1, v1 offset:16
	v_or_b32_e32 v2, 4, v3
	s_waitcnt lgkmcnt(0)
	ds_bpermute_b32 v2, v2, v1
	s_waitcnt lgkmcnt(0)
	v_add_u32_e32 v1, v2, v1
.LBB1463_201:
	s_or_b64 exec, exec, s[0:1]
	s_mov_b64 s[0:1], 0
	s_branch .LBB1463_204
.LBB1463_202:
                                        ; implicit-def: $vgpr1
	s_branch .LBB1463_224
.LBB1463_203:
	s_mov_b64 s[0:1], -1
                                        ; implicit-def: $vgpr1
.LBB1463_204:
	s_and_b64 vcc, exec, s[0:1]
	s_cbranch_vccz .LBB1463_214
; %bb.205:
	s_sub_i32 s12, s36, s10
	v_cmp_gt_u32_e32 vcc, s12, v0
                                        ; implicit-def: $vgpr2_vgpr3
	s_and_saveexec_b64 s[0:1], vcc
	s_cbranch_execz .LBB1463_207
; %bb.206:
	v_lshlrev_b32_e32 v1, 1, v0
	global_load_ushort v2, v1, s[2:3]
	global_load_ushort v3, v1, s[8:9]
	s_waitcnt vmcnt(0)
	v_cmp_ne_u16_e32 vcc, v2, v3
	v_cndmask_b32_e64 v2, 0, 1, vcc
.LBB1463_207:
	s_or_b64 exec, exec, s[0:1]
	v_or_b32_e32 v1, 0x80, v0
	v_cmp_gt_u32_e32 vcc, s12, v1
	s_and_saveexec_b64 s[10:11], vcc
	s_cbranch_execz .LBB1463_209
; %bb.208:
	v_lshlrev_b32_e32 v1, 1, v0
	global_load_ushort v3, v1, s[2:3] offset:256
	global_load_ushort v4, v1, s[8:9] offset:256
	s_waitcnt vmcnt(0)
	v_cmp_ne_u16_e64 s[0:1], v3, v4
	v_cndmask_b32_e64 v3, 0, 1, s[0:1]
.LBB1463_209:
	s_or_b64 exec, exec, s[10:11]
	v_cndmask_b32_e32 v1, 0, v3, vcc
	v_add_u32_e32 v1, v1, v2
	v_mbcnt_lo_u32_b32 v2, -1, 0
	v_mbcnt_hi_u32_b32 v2, -1, v2
	v_and_b32_e32 v3, 63, v2
	v_cmp_ne_u32_e32 vcc, 63, v3
	v_addc_co_u32_e32 v4, vcc, 0, v2, vcc
	v_lshlrev_b32_e32 v4, 2, v4
	ds_bpermute_b32 v4, v4, v1
	s_min_u32 s2, s12, 0x80
	v_and_b32_e32 v5, 64, v0
	v_sub_u32_e64 v5, s2, v5 clamp
	v_add_u32_e32 v6, 1, v3
	v_cmp_lt_u32_e32 vcc, v6, v5
	s_waitcnt lgkmcnt(0)
	v_cndmask_b32_e32 v4, 0, v4, vcc
	v_cmp_gt_u32_e32 vcc, 62, v3
	v_add_u32_e32 v1, v4, v1
	v_cndmask_b32_e64 v4, 0, 1, vcc
	v_lshlrev_b32_e32 v4, 1, v4
	v_add_lshl_u32 v4, v4, v2, 2
	ds_bpermute_b32 v4, v4, v1
	v_add_u32_e32 v6, 2, v3
	v_cmp_lt_u32_e32 vcc, v6, v5
	v_add_u32_e32 v6, 4, v3
	s_waitcnt lgkmcnt(0)
	v_cndmask_b32_e32 v4, 0, v4, vcc
	v_cmp_gt_u32_e32 vcc, 60, v3
	v_add_u32_e32 v1, v1, v4
	v_cndmask_b32_e64 v4, 0, 1, vcc
	v_lshlrev_b32_e32 v4, 2, v4
	v_add_lshl_u32 v4, v4, v2, 2
	ds_bpermute_b32 v4, v4, v1
	v_cmp_lt_u32_e32 vcc, v6, v5
	v_add_u32_e32 v6, 8, v3
	s_waitcnt lgkmcnt(0)
	v_cndmask_b32_e32 v4, 0, v4, vcc
	v_cmp_gt_u32_e32 vcc, 56, v3
	v_add_u32_e32 v1, v1, v4
	v_cndmask_b32_e64 v4, 0, 1, vcc
	v_lshlrev_b32_e32 v4, 3, v4
	v_add_lshl_u32 v4, v4, v2, 2
	ds_bpermute_b32 v4, v4, v1
	;; [unrolled: 10-line block ×3, first 2 shown]
	v_cmp_lt_u32_e32 vcc, v6, v5
	s_waitcnt lgkmcnt(0)
	v_cndmask_b32_e32 v4, 0, v4, vcc
	v_cmp_gt_u32_e32 vcc, 32, v3
	v_add_u32_e32 v1, v1, v4
	v_cndmask_b32_e64 v4, 0, 1, vcc
	v_lshlrev_b32_e32 v4, 5, v4
	v_add_lshl_u32 v4, v4, v2, 2
	ds_bpermute_b32 v4, v4, v1
	v_add_u32_e32 v3, 32, v3
	v_cmp_lt_u32_e32 vcc, v3, v5
	s_waitcnt lgkmcnt(0)
	v_cndmask_b32_e32 v3, 0, v4, vcc
	v_add_u32_e32 v1, v1, v3
	v_cmp_eq_u32_e32 vcc, 0, v2
	s_and_saveexec_b64 s[0:1], vcc
	s_cbranch_execz .LBB1463_211
; %bb.210:
	v_lshrrev_b32_e32 v3, 4, v0
	v_and_b32_e32 v3, 4, v3
	ds_write_b32 v3, v1 offset:48
.LBB1463_211:
	s_or_b64 exec, exec, s[0:1]
	v_cmp_gt_u32_e32 vcc, 2, v0
	s_waitcnt lgkmcnt(0)
	s_barrier
	s_and_saveexec_b64 s[0:1], vcc
	s_cbranch_execz .LBB1463_213
; %bb.212:
	v_lshlrev_b32_e32 v1, 2, v2
	ds_read_b32 v3, v1 offset:48
	v_or_b32_e32 v1, 4, v1
	s_add_i32 s2, s2, 63
	v_and_b32_e32 v2, 1, v2
	s_lshr_b32 s2, s2, 6
	s_waitcnt lgkmcnt(0)
	ds_bpermute_b32 v1, v1, v3
	v_add_u32_e32 v2, 1, v2
	v_cmp_gt_u32_e32 vcc, s2, v2
	s_waitcnt lgkmcnt(0)
	v_cndmask_b32_e32 v1, 0, v1, vcc
	v_add_u32_e32 v1, v1, v3
.LBB1463_213:
	s_or_b64 exec, exec, s[0:1]
.LBB1463_214:
	v_cmp_eq_u32_e64 s[0:1], 0, v0
	s_branch .LBB1463_224
.LBB1463_215:
	s_cmp_eq_u32 s33, 1
	s_cbranch_scc0 .LBB1463_223
; %bb.216:
	s_mov_b32 s3, 0
	s_lshl_b32 s2, s6, 7
	s_mov_b32 s7, s3
	s_lshr_b64 s[0:1], s[36:37], 7
	s_cmp_lg_u64 s[0:1], s[6:7]
	v_mbcnt_lo_u32_b32 v2, -1, 0
	s_cbranch_scc0 .LBB1463_227
; %bb.217:
	s_lshl_b64 s[0:1], s[2:3], 1
	s_add_u32 s8, s40, s0
	s_addc_u32 s9, s41, s1
	s_add_u32 s0, s42, s0
	v_lshlrev_b32_e32 v1, 1, v0
	s_addc_u32 s1, s43, s1
	global_load_ushort v5, v1, s[8:9]
	global_load_ushort v6, v1, s[0:1]
	v_mbcnt_hi_u32_b32 v3, -1, v2
	v_lshlrev_b32_e32 v4, 2, v3
	s_waitcnt vmcnt(0)
	v_cmp_ne_u16_e32 vcc, v5, v6
	v_cndmask_b32_e64 v1, 0, 1, vcc
	s_nop 1
	v_mov_b32_dpp v1, v1 quad_perm:[1,0,3,2] row_mask:0xf bank_mask:0xf bound_ctrl:1
	v_addc_co_u32_e64 v5, s[0:1], 0, v1, vcc
	s_nop 1
	v_mov_b32_dpp v5, v5 quad_perm:[2,3,0,1] row_mask:0xf bank_mask:0xf bound_ctrl:1
	v_addc_co_u32_e32 v1, vcc, v5, v1, vcc
	v_or_b32_e32 v5, 0xfc, v4
	s_nop 0
	v_add_u32_dpp v1, v1, v1 row_ror:4 row_mask:0xf bank_mask:0xf bound_ctrl:1
	v_cmp_eq_u32_e32 vcc, 0, v3
	s_nop 0
	v_add_u32_dpp v1, v1, v1 row_ror:8 row_mask:0xf bank_mask:0xf bound_ctrl:1
	s_nop 1
	v_add_u32_dpp v1, v1, v1 row_bcast:15 row_mask:0xf bank_mask:0xf bound_ctrl:1
	s_nop 1
	v_add_u32_dpp v1, v1, v1 row_bcast:31 row_mask:0xf bank_mask:0xf bound_ctrl:1
	ds_bpermute_b32 v1, v5, v1
	s_and_saveexec_b64 s[0:1], vcc
	s_cbranch_execz .LBB1463_219
; %bb.218:
	v_lshrrev_b32_e32 v5, 4, v0
	v_and_b32_e32 v5, 4, v5
	s_waitcnt lgkmcnt(0)
	ds_write_b32 v5, v1 offset:8
.LBB1463_219:
	s_or_b64 exec, exec, s[0:1]
	v_cmp_gt_u32_e32 vcc, 64, v0
	s_waitcnt lgkmcnt(0)
	s_barrier
	s_and_saveexec_b64 s[0:1], vcc
	s_cbranch_execz .LBB1463_221
; %bb.220:
	v_and_b32_e32 v1, 1, v3
	v_lshlrev_b32_e32 v1, 2, v1
	ds_read_b32 v1, v1 offset:8
	v_or_b32_e32 v3, 4, v4
	s_waitcnt lgkmcnt(0)
	ds_bpermute_b32 v3, v3, v1
	s_waitcnt lgkmcnt(0)
	v_add_u32_e32 v1, v3, v1
.LBB1463_221:
	s_or_b64 exec, exec, s[0:1]
.LBB1463_222:
	v_cmp_eq_u32_e64 s[0:1], 0, v0
	s_and_saveexec_b64 s[2:3], s[0:1]
	s_cbranch_execnz .LBB1463_225
	s_branch .LBB1463_226
.LBB1463_223:
                                        ; implicit-def: $vgpr1
                                        ; implicit-def: $sgpr6_sgpr7
.LBB1463_224:
	s_and_saveexec_b64 s[2:3], s[0:1]
	s_cbranch_execz .LBB1463_226
.LBB1463_225:
	s_lshl_b64 s[0:1], s[6:7], 2
	s_load_dword s2, s[4:5], 0x30
	s_add_u32 s0, s38, s0
	s_addc_u32 s1, s39, s1
	s_cmp_lg_u64 s[36:37], 0
	s_cselect_b64 vcc, -1, 0
	v_cndmask_b32_e32 v1, 0, v1, vcc
	v_mov_b32_e32 v0, 0
	s_waitcnt lgkmcnt(0)
	v_add_u32_e32 v1, s2, v1
	global_store_dword v0, v1, s[0:1]
.LBB1463_226:
	s_endpgm
.LBB1463_227:
                                        ; implicit-def: $vgpr1
	s_cbranch_execz .LBB1463_222
; %bb.228:
	s_sub_i32 s8, s36, s2
	v_cmp_gt_u32_e32 vcc, s8, v0
                                        ; implicit-def: $vgpr1
	s_and_saveexec_b64 s[0:1], vcc
	s_cbranch_execz .LBB1463_230
; %bb.229:
	s_lshl_b64 s[2:3], s[2:3], 1
	s_add_u32 s10, s40, s2
	s_addc_u32 s11, s41, s3
	v_lshlrev_b32_e32 v1, 1, v0
	s_add_u32 s2, s42, s2
	s_addc_u32 s3, s43, s3
	global_load_ushort v3, v1, s[10:11]
	global_load_ushort v4, v1, s[2:3]
	s_waitcnt vmcnt(0)
	v_cmp_ne_u16_e32 vcc, v3, v4
	v_cndmask_b32_e64 v1, 0, 1, vcc
.LBB1463_230:
	s_or_b64 exec, exec, s[0:1]
	v_mbcnt_hi_u32_b32 v2, -1, v2
	v_and_b32_e32 v3, 63, v2
	v_cmp_ne_u32_e32 vcc, 63, v3
	v_addc_co_u32_e32 v4, vcc, 0, v2, vcc
	v_lshlrev_b32_e32 v4, 2, v4
	ds_bpermute_b32 v4, v4, v1
	s_min_u32 s2, s8, 0x80
	v_and_b32_e32 v5, 64, v0
	v_sub_u32_e64 v5, s2, v5 clamp
	v_add_u32_e32 v6, 1, v3
	v_cmp_lt_u32_e32 vcc, v6, v5
	s_waitcnt lgkmcnt(0)
	v_cndmask_b32_e32 v4, 0, v4, vcc
	v_cmp_gt_u32_e32 vcc, 62, v3
	v_add_u32_e32 v1, v4, v1
	v_cndmask_b32_e64 v4, 0, 1, vcc
	v_lshlrev_b32_e32 v4, 1, v4
	v_add_lshl_u32 v4, v4, v2, 2
	ds_bpermute_b32 v4, v4, v1
	v_add_u32_e32 v6, 2, v3
	v_cmp_lt_u32_e32 vcc, v6, v5
	v_add_u32_e32 v6, 4, v3
	s_waitcnt lgkmcnt(0)
	v_cndmask_b32_e32 v4, 0, v4, vcc
	v_cmp_gt_u32_e32 vcc, 60, v3
	v_add_u32_e32 v1, v1, v4
	v_cndmask_b32_e64 v4, 0, 1, vcc
	v_lshlrev_b32_e32 v4, 2, v4
	v_add_lshl_u32 v4, v4, v2, 2
	ds_bpermute_b32 v4, v4, v1
	v_cmp_lt_u32_e32 vcc, v6, v5
	v_add_u32_e32 v6, 8, v3
	s_waitcnt lgkmcnt(0)
	v_cndmask_b32_e32 v4, 0, v4, vcc
	v_cmp_gt_u32_e32 vcc, 56, v3
	v_add_u32_e32 v1, v1, v4
	v_cndmask_b32_e64 v4, 0, 1, vcc
	v_lshlrev_b32_e32 v4, 3, v4
	v_add_lshl_u32 v4, v4, v2, 2
	ds_bpermute_b32 v4, v4, v1
	;; [unrolled: 10-line block ×3, first 2 shown]
	v_cmp_lt_u32_e32 vcc, v6, v5
	s_waitcnt lgkmcnt(0)
	v_cndmask_b32_e32 v4, 0, v4, vcc
	v_cmp_gt_u32_e32 vcc, 32, v3
	v_add_u32_e32 v1, v1, v4
	v_cndmask_b32_e64 v4, 0, 1, vcc
	v_lshlrev_b32_e32 v4, 5, v4
	v_add_lshl_u32 v4, v4, v2, 2
	ds_bpermute_b32 v4, v4, v1
	v_add_u32_e32 v3, 32, v3
	v_cmp_lt_u32_e32 vcc, v3, v5
	s_waitcnt lgkmcnt(0)
	v_cndmask_b32_e32 v3, 0, v4, vcc
	v_add_u32_e32 v1, v1, v3
	v_cmp_eq_u32_e32 vcc, 0, v2
	s_and_saveexec_b64 s[0:1], vcc
	s_cbranch_execz .LBB1463_232
; %bb.231:
	v_lshrrev_b32_e32 v3, 4, v0
	v_and_b32_e32 v3, 4, v3
	ds_write_b32 v3, v1 offset:48
.LBB1463_232:
	s_or_b64 exec, exec, s[0:1]
	v_cmp_gt_u32_e32 vcc, 2, v0
	s_waitcnt lgkmcnt(0)
	s_barrier
	s_and_saveexec_b64 s[0:1], vcc
	s_cbranch_execz .LBB1463_234
; %bb.233:
	v_lshlrev_b32_e32 v1, 2, v2
	ds_read_b32 v3, v1 offset:48
	v_or_b32_e32 v1, 4, v1
	s_add_i32 s2, s2, 63
	v_and_b32_e32 v2, 1, v2
	s_lshr_b32 s2, s2, 6
	s_waitcnt lgkmcnt(0)
	ds_bpermute_b32 v1, v1, v3
	v_add_u32_e32 v2, 1, v2
	v_cmp_gt_u32_e32 vcc, s2, v2
	s_waitcnt lgkmcnt(0)
	v_cndmask_b32_e32 v1, 0, v1, vcc
	v_add_u32_e32 v1, v1, v3
.LBB1463_234:
	s_or_b64 exec, exec, s[0:1]
	v_cmp_eq_u32_e64 s[0:1], 0, v0
	s_and_saveexec_b64 s[2:3], s[0:1]
	s_cbranch_execnz .LBB1463_225
	s_branch .LBB1463_226
	.section	.rodata,"a",@progbits
	.p2align	6, 0x0
	.amdhsa_kernel _ZN7rocprim17ROCPRIM_400000_NS6detail17trampoline_kernelINS0_14default_configENS1_22reduce_config_selectorIiEEZNS1_11reduce_implILb1ES3_N6thrust23THRUST_200600_302600_NS11hip_rocprim35transform_pair_of_input_iterators_tIiPsSB_NS8_12not_equal_toIsEEEEPiiNS8_4plusIiEEEE10hipError_tPvRmT1_T2_T3_mT4_P12ihipStream_tbEUlT_E1_NS1_11comp_targetILNS1_3genE4ELNS1_11target_archE910ELNS1_3gpuE8ELNS1_3repE0EEENS1_30default_config_static_selectorELNS0_4arch9wavefront6targetE1EEEvSL_
		.amdhsa_group_segment_fixed_size 56
		.amdhsa_private_segment_fixed_size 0
		.amdhsa_kernarg_size 56
		.amdhsa_user_sgpr_count 6
		.amdhsa_user_sgpr_private_segment_buffer 1
		.amdhsa_user_sgpr_dispatch_ptr 0
		.amdhsa_user_sgpr_queue_ptr 0
		.amdhsa_user_sgpr_kernarg_segment_ptr 1
		.amdhsa_user_sgpr_dispatch_id 0
		.amdhsa_user_sgpr_flat_scratch_init 0
		.amdhsa_user_sgpr_kernarg_preload_length 0
		.amdhsa_user_sgpr_kernarg_preload_offset 0
		.amdhsa_user_sgpr_private_segment_size 0
		.amdhsa_uses_dynamic_stack 0
		.amdhsa_system_sgpr_private_segment_wavefront_offset 0
		.amdhsa_system_sgpr_workgroup_id_x 1
		.amdhsa_system_sgpr_workgroup_id_y 0
		.amdhsa_system_sgpr_workgroup_id_z 0
		.amdhsa_system_sgpr_workgroup_info 0
		.amdhsa_system_vgpr_workitem_id 0
		.amdhsa_next_free_vgpr 63
		.amdhsa_next_free_sgpr 49
		.amdhsa_accum_offset 64
		.amdhsa_reserve_vcc 1
		.amdhsa_reserve_flat_scratch 0
		.amdhsa_float_round_mode_32 0
		.amdhsa_float_round_mode_16_64 0
		.amdhsa_float_denorm_mode_32 3
		.amdhsa_float_denorm_mode_16_64 3
		.amdhsa_dx10_clamp 1
		.amdhsa_ieee_mode 1
		.amdhsa_fp16_overflow 0
		.amdhsa_tg_split 0
		.amdhsa_exception_fp_ieee_invalid_op 0
		.amdhsa_exception_fp_denorm_src 0
		.amdhsa_exception_fp_ieee_div_zero 0
		.amdhsa_exception_fp_ieee_overflow 0
		.amdhsa_exception_fp_ieee_underflow 0
		.amdhsa_exception_fp_ieee_inexact 0
		.amdhsa_exception_int_div_zero 0
	.end_amdhsa_kernel
	.section	.text._ZN7rocprim17ROCPRIM_400000_NS6detail17trampoline_kernelINS0_14default_configENS1_22reduce_config_selectorIiEEZNS1_11reduce_implILb1ES3_N6thrust23THRUST_200600_302600_NS11hip_rocprim35transform_pair_of_input_iterators_tIiPsSB_NS8_12not_equal_toIsEEEEPiiNS8_4plusIiEEEE10hipError_tPvRmT1_T2_T3_mT4_P12ihipStream_tbEUlT_E1_NS1_11comp_targetILNS1_3genE4ELNS1_11target_archE910ELNS1_3gpuE8ELNS1_3repE0EEENS1_30default_config_static_selectorELNS0_4arch9wavefront6targetE1EEEvSL_,"axG",@progbits,_ZN7rocprim17ROCPRIM_400000_NS6detail17trampoline_kernelINS0_14default_configENS1_22reduce_config_selectorIiEEZNS1_11reduce_implILb1ES3_N6thrust23THRUST_200600_302600_NS11hip_rocprim35transform_pair_of_input_iterators_tIiPsSB_NS8_12not_equal_toIsEEEEPiiNS8_4plusIiEEEE10hipError_tPvRmT1_T2_T3_mT4_P12ihipStream_tbEUlT_E1_NS1_11comp_targetILNS1_3genE4ELNS1_11target_archE910ELNS1_3gpuE8ELNS1_3repE0EEENS1_30default_config_static_selectorELNS0_4arch9wavefront6targetE1EEEvSL_,comdat
.Lfunc_end1463:
	.size	_ZN7rocprim17ROCPRIM_400000_NS6detail17trampoline_kernelINS0_14default_configENS1_22reduce_config_selectorIiEEZNS1_11reduce_implILb1ES3_N6thrust23THRUST_200600_302600_NS11hip_rocprim35transform_pair_of_input_iterators_tIiPsSB_NS8_12not_equal_toIsEEEEPiiNS8_4plusIiEEEE10hipError_tPvRmT1_T2_T3_mT4_P12ihipStream_tbEUlT_E1_NS1_11comp_targetILNS1_3genE4ELNS1_11target_archE910ELNS1_3gpuE8ELNS1_3repE0EEENS1_30default_config_static_selectorELNS0_4arch9wavefront6targetE1EEEvSL_, .Lfunc_end1463-_ZN7rocprim17ROCPRIM_400000_NS6detail17trampoline_kernelINS0_14default_configENS1_22reduce_config_selectorIiEEZNS1_11reduce_implILb1ES3_N6thrust23THRUST_200600_302600_NS11hip_rocprim35transform_pair_of_input_iterators_tIiPsSB_NS8_12not_equal_toIsEEEEPiiNS8_4plusIiEEEE10hipError_tPvRmT1_T2_T3_mT4_P12ihipStream_tbEUlT_E1_NS1_11comp_targetILNS1_3genE4ELNS1_11target_archE910ELNS1_3gpuE8ELNS1_3repE0EEENS1_30default_config_static_selectorELNS0_4arch9wavefront6targetE1EEEvSL_
                                        ; -- End function
	.section	.AMDGPU.csdata,"",@progbits
; Kernel info:
; codeLenInByte = 11204
; NumSgprs: 53
; NumVgprs: 63
; NumAgprs: 0
; TotalNumVgprs: 63
; ScratchSize: 0
; MemoryBound: 0
; FloatMode: 240
; IeeeMode: 1
; LDSByteSize: 56 bytes/workgroup (compile time only)
; SGPRBlocks: 6
; VGPRBlocks: 7
; NumSGPRsForWavesPerEU: 53
; NumVGPRsForWavesPerEU: 63
; AccumOffset: 64
; Occupancy: 8
; WaveLimiterHint : 0
; COMPUTE_PGM_RSRC2:SCRATCH_EN: 0
; COMPUTE_PGM_RSRC2:USER_SGPR: 6
; COMPUTE_PGM_RSRC2:TRAP_HANDLER: 0
; COMPUTE_PGM_RSRC2:TGID_X_EN: 1
; COMPUTE_PGM_RSRC2:TGID_Y_EN: 0
; COMPUTE_PGM_RSRC2:TGID_Z_EN: 0
; COMPUTE_PGM_RSRC2:TIDIG_COMP_CNT: 0
; COMPUTE_PGM_RSRC3_GFX90A:ACCUM_OFFSET: 15
; COMPUTE_PGM_RSRC3_GFX90A:TG_SPLIT: 0
	.section	.text._ZN7rocprim17ROCPRIM_400000_NS6detail17trampoline_kernelINS0_14default_configENS1_22reduce_config_selectorIiEEZNS1_11reduce_implILb1ES3_N6thrust23THRUST_200600_302600_NS11hip_rocprim35transform_pair_of_input_iterators_tIiPsSB_NS8_12not_equal_toIsEEEEPiiNS8_4plusIiEEEE10hipError_tPvRmT1_T2_T3_mT4_P12ihipStream_tbEUlT_E1_NS1_11comp_targetILNS1_3genE3ELNS1_11target_archE908ELNS1_3gpuE7ELNS1_3repE0EEENS1_30default_config_static_selectorELNS0_4arch9wavefront6targetE1EEEvSL_,"axG",@progbits,_ZN7rocprim17ROCPRIM_400000_NS6detail17trampoline_kernelINS0_14default_configENS1_22reduce_config_selectorIiEEZNS1_11reduce_implILb1ES3_N6thrust23THRUST_200600_302600_NS11hip_rocprim35transform_pair_of_input_iterators_tIiPsSB_NS8_12not_equal_toIsEEEEPiiNS8_4plusIiEEEE10hipError_tPvRmT1_T2_T3_mT4_P12ihipStream_tbEUlT_E1_NS1_11comp_targetILNS1_3genE3ELNS1_11target_archE908ELNS1_3gpuE7ELNS1_3repE0EEENS1_30default_config_static_selectorELNS0_4arch9wavefront6targetE1EEEvSL_,comdat
	.protected	_ZN7rocprim17ROCPRIM_400000_NS6detail17trampoline_kernelINS0_14default_configENS1_22reduce_config_selectorIiEEZNS1_11reduce_implILb1ES3_N6thrust23THRUST_200600_302600_NS11hip_rocprim35transform_pair_of_input_iterators_tIiPsSB_NS8_12not_equal_toIsEEEEPiiNS8_4plusIiEEEE10hipError_tPvRmT1_T2_T3_mT4_P12ihipStream_tbEUlT_E1_NS1_11comp_targetILNS1_3genE3ELNS1_11target_archE908ELNS1_3gpuE7ELNS1_3repE0EEENS1_30default_config_static_selectorELNS0_4arch9wavefront6targetE1EEEvSL_ ; -- Begin function _ZN7rocprim17ROCPRIM_400000_NS6detail17trampoline_kernelINS0_14default_configENS1_22reduce_config_selectorIiEEZNS1_11reduce_implILb1ES3_N6thrust23THRUST_200600_302600_NS11hip_rocprim35transform_pair_of_input_iterators_tIiPsSB_NS8_12not_equal_toIsEEEEPiiNS8_4plusIiEEEE10hipError_tPvRmT1_T2_T3_mT4_P12ihipStream_tbEUlT_E1_NS1_11comp_targetILNS1_3genE3ELNS1_11target_archE908ELNS1_3gpuE7ELNS1_3repE0EEENS1_30default_config_static_selectorELNS0_4arch9wavefront6targetE1EEEvSL_
	.globl	_ZN7rocprim17ROCPRIM_400000_NS6detail17trampoline_kernelINS0_14default_configENS1_22reduce_config_selectorIiEEZNS1_11reduce_implILb1ES3_N6thrust23THRUST_200600_302600_NS11hip_rocprim35transform_pair_of_input_iterators_tIiPsSB_NS8_12not_equal_toIsEEEEPiiNS8_4plusIiEEEE10hipError_tPvRmT1_T2_T3_mT4_P12ihipStream_tbEUlT_E1_NS1_11comp_targetILNS1_3genE3ELNS1_11target_archE908ELNS1_3gpuE7ELNS1_3repE0EEENS1_30default_config_static_selectorELNS0_4arch9wavefront6targetE1EEEvSL_
	.p2align	8
	.type	_ZN7rocprim17ROCPRIM_400000_NS6detail17trampoline_kernelINS0_14default_configENS1_22reduce_config_selectorIiEEZNS1_11reduce_implILb1ES3_N6thrust23THRUST_200600_302600_NS11hip_rocprim35transform_pair_of_input_iterators_tIiPsSB_NS8_12not_equal_toIsEEEEPiiNS8_4plusIiEEEE10hipError_tPvRmT1_T2_T3_mT4_P12ihipStream_tbEUlT_E1_NS1_11comp_targetILNS1_3genE3ELNS1_11target_archE908ELNS1_3gpuE7ELNS1_3repE0EEENS1_30default_config_static_selectorELNS0_4arch9wavefront6targetE1EEEvSL_,@function
_ZN7rocprim17ROCPRIM_400000_NS6detail17trampoline_kernelINS0_14default_configENS1_22reduce_config_selectorIiEEZNS1_11reduce_implILb1ES3_N6thrust23THRUST_200600_302600_NS11hip_rocprim35transform_pair_of_input_iterators_tIiPsSB_NS8_12not_equal_toIsEEEEPiiNS8_4plusIiEEEE10hipError_tPvRmT1_T2_T3_mT4_P12ihipStream_tbEUlT_E1_NS1_11comp_targetILNS1_3genE3ELNS1_11target_archE908ELNS1_3gpuE7ELNS1_3repE0EEENS1_30default_config_static_selectorELNS0_4arch9wavefront6targetE1EEEvSL_: ; @_ZN7rocprim17ROCPRIM_400000_NS6detail17trampoline_kernelINS0_14default_configENS1_22reduce_config_selectorIiEEZNS1_11reduce_implILb1ES3_N6thrust23THRUST_200600_302600_NS11hip_rocprim35transform_pair_of_input_iterators_tIiPsSB_NS8_12not_equal_toIsEEEEPiiNS8_4plusIiEEEE10hipError_tPvRmT1_T2_T3_mT4_P12ihipStream_tbEUlT_E1_NS1_11comp_targetILNS1_3genE3ELNS1_11target_archE908ELNS1_3gpuE7ELNS1_3repE0EEENS1_30default_config_static_selectorELNS0_4arch9wavefront6targetE1EEEvSL_
; %bb.0:
	.section	.rodata,"a",@progbits
	.p2align	6, 0x0
	.amdhsa_kernel _ZN7rocprim17ROCPRIM_400000_NS6detail17trampoline_kernelINS0_14default_configENS1_22reduce_config_selectorIiEEZNS1_11reduce_implILb1ES3_N6thrust23THRUST_200600_302600_NS11hip_rocprim35transform_pair_of_input_iterators_tIiPsSB_NS8_12not_equal_toIsEEEEPiiNS8_4plusIiEEEE10hipError_tPvRmT1_T2_T3_mT4_P12ihipStream_tbEUlT_E1_NS1_11comp_targetILNS1_3genE3ELNS1_11target_archE908ELNS1_3gpuE7ELNS1_3repE0EEENS1_30default_config_static_selectorELNS0_4arch9wavefront6targetE1EEEvSL_
		.amdhsa_group_segment_fixed_size 0
		.amdhsa_private_segment_fixed_size 0
		.amdhsa_kernarg_size 56
		.amdhsa_user_sgpr_count 6
		.amdhsa_user_sgpr_private_segment_buffer 1
		.amdhsa_user_sgpr_dispatch_ptr 0
		.amdhsa_user_sgpr_queue_ptr 0
		.amdhsa_user_sgpr_kernarg_segment_ptr 1
		.amdhsa_user_sgpr_dispatch_id 0
		.amdhsa_user_sgpr_flat_scratch_init 0
		.amdhsa_user_sgpr_kernarg_preload_length 0
		.amdhsa_user_sgpr_kernarg_preload_offset 0
		.amdhsa_user_sgpr_private_segment_size 0
		.amdhsa_uses_dynamic_stack 0
		.amdhsa_system_sgpr_private_segment_wavefront_offset 0
		.amdhsa_system_sgpr_workgroup_id_x 1
		.amdhsa_system_sgpr_workgroup_id_y 0
		.amdhsa_system_sgpr_workgroup_id_z 0
		.amdhsa_system_sgpr_workgroup_info 0
		.amdhsa_system_vgpr_workitem_id 0
		.amdhsa_next_free_vgpr 1
		.amdhsa_next_free_sgpr 0
		.amdhsa_accum_offset 4
		.amdhsa_reserve_vcc 0
		.amdhsa_reserve_flat_scratch 0
		.amdhsa_float_round_mode_32 0
		.amdhsa_float_round_mode_16_64 0
		.amdhsa_float_denorm_mode_32 3
		.amdhsa_float_denorm_mode_16_64 3
		.amdhsa_dx10_clamp 1
		.amdhsa_ieee_mode 1
		.amdhsa_fp16_overflow 0
		.amdhsa_tg_split 0
		.amdhsa_exception_fp_ieee_invalid_op 0
		.amdhsa_exception_fp_denorm_src 0
		.amdhsa_exception_fp_ieee_div_zero 0
		.amdhsa_exception_fp_ieee_overflow 0
		.amdhsa_exception_fp_ieee_underflow 0
		.amdhsa_exception_fp_ieee_inexact 0
		.amdhsa_exception_int_div_zero 0
	.end_amdhsa_kernel
	.section	.text._ZN7rocprim17ROCPRIM_400000_NS6detail17trampoline_kernelINS0_14default_configENS1_22reduce_config_selectorIiEEZNS1_11reduce_implILb1ES3_N6thrust23THRUST_200600_302600_NS11hip_rocprim35transform_pair_of_input_iterators_tIiPsSB_NS8_12not_equal_toIsEEEEPiiNS8_4plusIiEEEE10hipError_tPvRmT1_T2_T3_mT4_P12ihipStream_tbEUlT_E1_NS1_11comp_targetILNS1_3genE3ELNS1_11target_archE908ELNS1_3gpuE7ELNS1_3repE0EEENS1_30default_config_static_selectorELNS0_4arch9wavefront6targetE1EEEvSL_,"axG",@progbits,_ZN7rocprim17ROCPRIM_400000_NS6detail17trampoline_kernelINS0_14default_configENS1_22reduce_config_selectorIiEEZNS1_11reduce_implILb1ES3_N6thrust23THRUST_200600_302600_NS11hip_rocprim35transform_pair_of_input_iterators_tIiPsSB_NS8_12not_equal_toIsEEEEPiiNS8_4plusIiEEEE10hipError_tPvRmT1_T2_T3_mT4_P12ihipStream_tbEUlT_E1_NS1_11comp_targetILNS1_3genE3ELNS1_11target_archE908ELNS1_3gpuE7ELNS1_3repE0EEENS1_30default_config_static_selectorELNS0_4arch9wavefront6targetE1EEEvSL_,comdat
.Lfunc_end1464:
	.size	_ZN7rocprim17ROCPRIM_400000_NS6detail17trampoline_kernelINS0_14default_configENS1_22reduce_config_selectorIiEEZNS1_11reduce_implILb1ES3_N6thrust23THRUST_200600_302600_NS11hip_rocprim35transform_pair_of_input_iterators_tIiPsSB_NS8_12not_equal_toIsEEEEPiiNS8_4plusIiEEEE10hipError_tPvRmT1_T2_T3_mT4_P12ihipStream_tbEUlT_E1_NS1_11comp_targetILNS1_3genE3ELNS1_11target_archE908ELNS1_3gpuE7ELNS1_3repE0EEENS1_30default_config_static_selectorELNS0_4arch9wavefront6targetE1EEEvSL_, .Lfunc_end1464-_ZN7rocprim17ROCPRIM_400000_NS6detail17trampoline_kernelINS0_14default_configENS1_22reduce_config_selectorIiEEZNS1_11reduce_implILb1ES3_N6thrust23THRUST_200600_302600_NS11hip_rocprim35transform_pair_of_input_iterators_tIiPsSB_NS8_12not_equal_toIsEEEEPiiNS8_4plusIiEEEE10hipError_tPvRmT1_T2_T3_mT4_P12ihipStream_tbEUlT_E1_NS1_11comp_targetILNS1_3genE3ELNS1_11target_archE908ELNS1_3gpuE7ELNS1_3repE0EEENS1_30default_config_static_selectorELNS0_4arch9wavefront6targetE1EEEvSL_
                                        ; -- End function
	.section	.AMDGPU.csdata,"",@progbits
; Kernel info:
; codeLenInByte = 0
; NumSgprs: 4
; NumVgprs: 0
; NumAgprs: 0
; TotalNumVgprs: 0
; ScratchSize: 0
; MemoryBound: 0
; FloatMode: 240
; IeeeMode: 1
; LDSByteSize: 0 bytes/workgroup (compile time only)
; SGPRBlocks: 0
; VGPRBlocks: 0
; NumSGPRsForWavesPerEU: 4
; NumVGPRsForWavesPerEU: 1
; AccumOffset: 4
; Occupancy: 8
; WaveLimiterHint : 0
; COMPUTE_PGM_RSRC2:SCRATCH_EN: 0
; COMPUTE_PGM_RSRC2:USER_SGPR: 6
; COMPUTE_PGM_RSRC2:TRAP_HANDLER: 0
; COMPUTE_PGM_RSRC2:TGID_X_EN: 1
; COMPUTE_PGM_RSRC2:TGID_Y_EN: 0
; COMPUTE_PGM_RSRC2:TGID_Z_EN: 0
; COMPUTE_PGM_RSRC2:TIDIG_COMP_CNT: 0
; COMPUTE_PGM_RSRC3_GFX90A:ACCUM_OFFSET: 0
; COMPUTE_PGM_RSRC3_GFX90A:TG_SPLIT: 0
	.section	.text._ZN7rocprim17ROCPRIM_400000_NS6detail17trampoline_kernelINS0_14default_configENS1_22reduce_config_selectorIiEEZNS1_11reduce_implILb1ES3_N6thrust23THRUST_200600_302600_NS11hip_rocprim35transform_pair_of_input_iterators_tIiPsSB_NS8_12not_equal_toIsEEEEPiiNS8_4plusIiEEEE10hipError_tPvRmT1_T2_T3_mT4_P12ihipStream_tbEUlT_E1_NS1_11comp_targetILNS1_3genE2ELNS1_11target_archE906ELNS1_3gpuE6ELNS1_3repE0EEENS1_30default_config_static_selectorELNS0_4arch9wavefront6targetE1EEEvSL_,"axG",@progbits,_ZN7rocprim17ROCPRIM_400000_NS6detail17trampoline_kernelINS0_14default_configENS1_22reduce_config_selectorIiEEZNS1_11reduce_implILb1ES3_N6thrust23THRUST_200600_302600_NS11hip_rocprim35transform_pair_of_input_iterators_tIiPsSB_NS8_12not_equal_toIsEEEEPiiNS8_4plusIiEEEE10hipError_tPvRmT1_T2_T3_mT4_P12ihipStream_tbEUlT_E1_NS1_11comp_targetILNS1_3genE2ELNS1_11target_archE906ELNS1_3gpuE6ELNS1_3repE0EEENS1_30default_config_static_selectorELNS0_4arch9wavefront6targetE1EEEvSL_,comdat
	.protected	_ZN7rocprim17ROCPRIM_400000_NS6detail17trampoline_kernelINS0_14default_configENS1_22reduce_config_selectorIiEEZNS1_11reduce_implILb1ES3_N6thrust23THRUST_200600_302600_NS11hip_rocprim35transform_pair_of_input_iterators_tIiPsSB_NS8_12not_equal_toIsEEEEPiiNS8_4plusIiEEEE10hipError_tPvRmT1_T2_T3_mT4_P12ihipStream_tbEUlT_E1_NS1_11comp_targetILNS1_3genE2ELNS1_11target_archE906ELNS1_3gpuE6ELNS1_3repE0EEENS1_30default_config_static_selectorELNS0_4arch9wavefront6targetE1EEEvSL_ ; -- Begin function _ZN7rocprim17ROCPRIM_400000_NS6detail17trampoline_kernelINS0_14default_configENS1_22reduce_config_selectorIiEEZNS1_11reduce_implILb1ES3_N6thrust23THRUST_200600_302600_NS11hip_rocprim35transform_pair_of_input_iterators_tIiPsSB_NS8_12not_equal_toIsEEEEPiiNS8_4plusIiEEEE10hipError_tPvRmT1_T2_T3_mT4_P12ihipStream_tbEUlT_E1_NS1_11comp_targetILNS1_3genE2ELNS1_11target_archE906ELNS1_3gpuE6ELNS1_3repE0EEENS1_30default_config_static_selectorELNS0_4arch9wavefront6targetE1EEEvSL_
	.globl	_ZN7rocprim17ROCPRIM_400000_NS6detail17trampoline_kernelINS0_14default_configENS1_22reduce_config_selectorIiEEZNS1_11reduce_implILb1ES3_N6thrust23THRUST_200600_302600_NS11hip_rocprim35transform_pair_of_input_iterators_tIiPsSB_NS8_12not_equal_toIsEEEEPiiNS8_4plusIiEEEE10hipError_tPvRmT1_T2_T3_mT4_P12ihipStream_tbEUlT_E1_NS1_11comp_targetILNS1_3genE2ELNS1_11target_archE906ELNS1_3gpuE6ELNS1_3repE0EEENS1_30default_config_static_selectorELNS0_4arch9wavefront6targetE1EEEvSL_
	.p2align	8
	.type	_ZN7rocprim17ROCPRIM_400000_NS6detail17trampoline_kernelINS0_14default_configENS1_22reduce_config_selectorIiEEZNS1_11reduce_implILb1ES3_N6thrust23THRUST_200600_302600_NS11hip_rocprim35transform_pair_of_input_iterators_tIiPsSB_NS8_12not_equal_toIsEEEEPiiNS8_4plusIiEEEE10hipError_tPvRmT1_T2_T3_mT4_P12ihipStream_tbEUlT_E1_NS1_11comp_targetILNS1_3genE2ELNS1_11target_archE906ELNS1_3gpuE6ELNS1_3repE0EEENS1_30default_config_static_selectorELNS0_4arch9wavefront6targetE1EEEvSL_,@function
_ZN7rocprim17ROCPRIM_400000_NS6detail17trampoline_kernelINS0_14default_configENS1_22reduce_config_selectorIiEEZNS1_11reduce_implILb1ES3_N6thrust23THRUST_200600_302600_NS11hip_rocprim35transform_pair_of_input_iterators_tIiPsSB_NS8_12not_equal_toIsEEEEPiiNS8_4plusIiEEEE10hipError_tPvRmT1_T2_T3_mT4_P12ihipStream_tbEUlT_E1_NS1_11comp_targetILNS1_3genE2ELNS1_11target_archE906ELNS1_3gpuE6ELNS1_3repE0EEENS1_30default_config_static_selectorELNS0_4arch9wavefront6targetE1EEEvSL_: ; @_ZN7rocprim17ROCPRIM_400000_NS6detail17trampoline_kernelINS0_14default_configENS1_22reduce_config_selectorIiEEZNS1_11reduce_implILb1ES3_N6thrust23THRUST_200600_302600_NS11hip_rocprim35transform_pair_of_input_iterators_tIiPsSB_NS8_12not_equal_toIsEEEEPiiNS8_4plusIiEEEE10hipError_tPvRmT1_T2_T3_mT4_P12ihipStream_tbEUlT_E1_NS1_11comp_targetILNS1_3genE2ELNS1_11target_archE906ELNS1_3gpuE6ELNS1_3repE0EEENS1_30default_config_static_selectorELNS0_4arch9wavefront6targetE1EEEvSL_
; %bb.0:
	.section	.rodata,"a",@progbits
	.p2align	6, 0x0
	.amdhsa_kernel _ZN7rocprim17ROCPRIM_400000_NS6detail17trampoline_kernelINS0_14default_configENS1_22reduce_config_selectorIiEEZNS1_11reduce_implILb1ES3_N6thrust23THRUST_200600_302600_NS11hip_rocprim35transform_pair_of_input_iterators_tIiPsSB_NS8_12not_equal_toIsEEEEPiiNS8_4plusIiEEEE10hipError_tPvRmT1_T2_T3_mT4_P12ihipStream_tbEUlT_E1_NS1_11comp_targetILNS1_3genE2ELNS1_11target_archE906ELNS1_3gpuE6ELNS1_3repE0EEENS1_30default_config_static_selectorELNS0_4arch9wavefront6targetE1EEEvSL_
		.amdhsa_group_segment_fixed_size 0
		.amdhsa_private_segment_fixed_size 0
		.amdhsa_kernarg_size 56
		.amdhsa_user_sgpr_count 6
		.amdhsa_user_sgpr_private_segment_buffer 1
		.amdhsa_user_sgpr_dispatch_ptr 0
		.amdhsa_user_sgpr_queue_ptr 0
		.amdhsa_user_sgpr_kernarg_segment_ptr 1
		.amdhsa_user_sgpr_dispatch_id 0
		.amdhsa_user_sgpr_flat_scratch_init 0
		.amdhsa_user_sgpr_kernarg_preload_length 0
		.amdhsa_user_sgpr_kernarg_preload_offset 0
		.amdhsa_user_sgpr_private_segment_size 0
		.amdhsa_uses_dynamic_stack 0
		.amdhsa_system_sgpr_private_segment_wavefront_offset 0
		.amdhsa_system_sgpr_workgroup_id_x 1
		.amdhsa_system_sgpr_workgroup_id_y 0
		.amdhsa_system_sgpr_workgroup_id_z 0
		.amdhsa_system_sgpr_workgroup_info 0
		.amdhsa_system_vgpr_workitem_id 0
		.amdhsa_next_free_vgpr 1
		.amdhsa_next_free_sgpr 0
		.amdhsa_accum_offset 4
		.amdhsa_reserve_vcc 0
		.amdhsa_reserve_flat_scratch 0
		.amdhsa_float_round_mode_32 0
		.amdhsa_float_round_mode_16_64 0
		.amdhsa_float_denorm_mode_32 3
		.amdhsa_float_denorm_mode_16_64 3
		.amdhsa_dx10_clamp 1
		.amdhsa_ieee_mode 1
		.amdhsa_fp16_overflow 0
		.amdhsa_tg_split 0
		.amdhsa_exception_fp_ieee_invalid_op 0
		.amdhsa_exception_fp_denorm_src 0
		.amdhsa_exception_fp_ieee_div_zero 0
		.amdhsa_exception_fp_ieee_overflow 0
		.amdhsa_exception_fp_ieee_underflow 0
		.amdhsa_exception_fp_ieee_inexact 0
		.amdhsa_exception_int_div_zero 0
	.end_amdhsa_kernel
	.section	.text._ZN7rocprim17ROCPRIM_400000_NS6detail17trampoline_kernelINS0_14default_configENS1_22reduce_config_selectorIiEEZNS1_11reduce_implILb1ES3_N6thrust23THRUST_200600_302600_NS11hip_rocprim35transform_pair_of_input_iterators_tIiPsSB_NS8_12not_equal_toIsEEEEPiiNS8_4plusIiEEEE10hipError_tPvRmT1_T2_T3_mT4_P12ihipStream_tbEUlT_E1_NS1_11comp_targetILNS1_3genE2ELNS1_11target_archE906ELNS1_3gpuE6ELNS1_3repE0EEENS1_30default_config_static_selectorELNS0_4arch9wavefront6targetE1EEEvSL_,"axG",@progbits,_ZN7rocprim17ROCPRIM_400000_NS6detail17trampoline_kernelINS0_14default_configENS1_22reduce_config_selectorIiEEZNS1_11reduce_implILb1ES3_N6thrust23THRUST_200600_302600_NS11hip_rocprim35transform_pair_of_input_iterators_tIiPsSB_NS8_12not_equal_toIsEEEEPiiNS8_4plusIiEEEE10hipError_tPvRmT1_T2_T3_mT4_P12ihipStream_tbEUlT_E1_NS1_11comp_targetILNS1_3genE2ELNS1_11target_archE906ELNS1_3gpuE6ELNS1_3repE0EEENS1_30default_config_static_selectorELNS0_4arch9wavefront6targetE1EEEvSL_,comdat
.Lfunc_end1465:
	.size	_ZN7rocprim17ROCPRIM_400000_NS6detail17trampoline_kernelINS0_14default_configENS1_22reduce_config_selectorIiEEZNS1_11reduce_implILb1ES3_N6thrust23THRUST_200600_302600_NS11hip_rocprim35transform_pair_of_input_iterators_tIiPsSB_NS8_12not_equal_toIsEEEEPiiNS8_4plusIiEEEE10hipError_tPvRmT1_T2_T3_mT4_P12ihipStream_tbEUlT_E1_NS1_11comp_targetILNS1_3genE2ELNS1_11target_archE906ELNS1_3gpuE6ELNS1_3repE0EEENS1_30default_config_static_selectorELNS0_4arch9wavefront6targetE1EEEvSL_, .Lfunc_end1465-_ZN7rocprim17ROCPRIM_400000_NS6detail17trampoline_kernelINS0_14default_configENS1_22reduce_config_selectorIiEEZNS1_11reduce_implILb1ES3_N6thrust23THRUST_200600_302600_NS11hip_rocprim35transform_pair_of_input_iterators_tIiPsSB_NS8_12not_equal_toIsEEEEPiiNS8_4plusIiEEEE10hipError_tPvRmT1_T2_T3_mT4_P12ihipStream_tbEUlT_E1_NS1_11comp_targetILNS1_3genE2ELNS1_11target_archE906ELNS1_3gpuE6ELNS1_3repE0EEENS1_30default_config_static_selectorELNS0_4arch9wavefront6targetE1EEEvSL_
                                        ; -- End function
	.section	.AMDGPU.csdata,"",@progbits
; Kernel info:
; codeLenInByte = 0
; NumSgprs: 4
; NumVgprs: 0
; NumAgprs: 0
; TotalNumVgprs: 0
; ScratchSize: 0
; MemoryBound: 0
; FloatMode: 240
; IeeeMode: 1
; LDSByteSize: 0 bytes/workgroup (compile time only)
; SGPRBlocks: 0
; VGPRBlocks: 0
; NumSGPRsForWavesPerEU: 4
; NumVGPRsForWavesPerEU: 1
; AccumOffset: 4
; Occupancy: 8
; WaveLimiterHint : 0
; COMPUTE_PGM_RSRC2:SCRATCH_EN: 0
; COMPUTE_PGM_RSRC2:USER_SGPR: 6
; COMPUTE_PGM_RSRC2:TRAP_HANDLER: 0
; COMPUTE_PGM_RSRC2:TGID_X_EN: 1
; COMPUTE_PGM_RSRC2:TGID_Y_EN: 0
; COMPUTE_PGM_RSRC2:TGID_Z_EN: 0
; COMPUTE_PGM_RSRC2:TIDIG_COMP_CNT: 0
; COMPUTE_PGM_RSRC3_GFX90A:ACCUM_OFFSET: 0
; COMPUTE_PGM_RSRC3_GFX90A:TG_SPLIT: 0
	.section	.text._ZN7rocprim17ROCPRIM_400000_NS6detail17trampoline_kernelINS0_14default_configENS1_22reduce_config_selectorIiEEZNS1_11reduce_implILb1ES3_N6thrust23THRUST_200600_302600_NS11hip_rocprim35transform_pair_of_input_iterators_tIiPsSB_NS8_12not_equal_toIsEEEEPiiNS8_4plusIiEEEE10hipError_tPvRmT1_T2_T3_mT4_P12ihipStream_tbEUlT_E1_NS1_11comp_targetILNS1_3genE10ELNS1_11target_archE1201ELNS1_3gpuE5ELNS1_3repE0EEENS1_30default_config_static_selectorELNS0_4arch9wavefront6targetE1EEEvSL_,"axG",@progbits,_ZN7rocprim17ROCPRIM_400000_NS6detail17trampoline_kernelINS0_14default_configENS1_22reduce_config_selectorIiEEZNS1_11reduce_implILb1ES3_N6thrust23THRUST_200600_302600_NS11hip_rocprim35transform_pair_of_input_iterators_tIiPsSB_NS8_12not_equal_toIsEEEEPiiNS8_4plusIiEEEE10hipError_tPvRmT1_T2_T3_mT4_P12ihipStream_tbEUlT_E1_NS1_11comp_targetILNS1_3genE10ELNS1_11target_archE1201ELNS1_3gpuE5ELNS1_3repE0EEENS1_30default_config_static_selectorELNS0_4arch9wavefront6targetE1EEEvSL_,comdat
	.protected	_ZN7rocprim17ROCPRIM_400000_NS6detail17trampoline_kernelINS0_14default_configENS1_22reduce_config_selectorIiEEZNS1_11reduce_implILb1ES3_N6thrust23THRUST_200600_302600_NS11hip_rocprim35transform_pair_of_input_iterators_tIiPsSB_NS8_12not_equal_toIsEEEEPiiNS8_4plusIiEEEE10hipError_tPvRmT1_T2_T3_mT4_P12ihipStream_tbEUlT_E1_NS1_11comp_targetILNS1_3genE10ELNS1_11target_archE1201ELNS1_3gpuE5ELNS1_3repE0EEENS1_30default_config_static_selectorELNS0_4arch9wavefront6targetE1EEEvSL_ ; -- Begin function _ZN7rocprim17ROCPRIM_400000_NS6detail17trampoline_kernelINS0_14default_configENS1_22reduce_config_selectorIiEEZNS1_11reduce_implILb1ES3_N6thrust23THRUST_200600_302600_NS11hip_rocprim35transform_pair_of_input_iterators_tIiPsSB_NS8_12not_equal_toIsEEEEPiiNS8_4plusIiEEEE10hipError_tPvRmT1_T2_T3_mT4_P12ihipStream_tbEUlT_E1_NS1_11comp_targetILNS1_3genE10ELNS1_11target_archE1201ELNS1_3gpuE5ELNS1_3repE0EEENS1_30default_config_static_selectorELNS0_4arch9wavefront6targetE1EEEvSL_
	.globl	_ZN7rocprim17ROCPRIM_400000_NS6detail17trampoline_kernelINS0_14default_configENS1_22reduce_config_selectorIiEEZNS1_11reduce_implILb1ES3_N6thrust23THRUST_200600_302600_NS11hip_rocprim35transform_pair_of_input_iterators_tIiPsSB_NS8_12not_equal_toIsEEEEPiiNS8_4plusIiEEEE10hipError_tPvRmT1_T2_T3_mT4_P12ihipStream_tbEUlT_E1_NS1_11comp_targetILNS1_3genE10ELNS1_11target_archE1201ELNS1_3gpuE5ELNS1_3repE0EEENS1_30default_config_static_selectorELNS0_4arch9wavefront6targetE1EEEvSL_
	.p2align	8
	.type	_ZN7rocprim17ROCPRIM_400000_NS6detail17trampoline_kernelINS0_14default_configENS1_22reduce_config_selectorIiEEZNS1_11reduce_implILb1ES3_N6thrust23THRUST_200600_302600_NS11hip_rocprim35transform_pair_of_input_iterators_tIiPsSB_NS8_12not_equal_toIsEEEEPiiNS8_4plusIiEEEE10hipError_tPvRmT1_T2_T3_mT4_P12ihipStream_tbEUlT_E1_NS1_11comp_targetILNS1_3genE10ELNS1_11target_archE1201ELNS1_3gpuE5ELNS1_3repE0EEENS1_30default_config_static_selectorELNS0_4arch9wavefront6targetE1EEEvSL_,@function
_ZN7rocprim17ROCPRIM_400000_NS6detail17trampoline_kernelINS0_14default_configENS1_22reduce_config_selectorIiEEZNS1_11reduce_implILb1ES3_N6thrust23THRUST_200600_302600_NS11hip_rocprim35transform_pair_of_input_iterators_tIiPsSB_NS8_12not_equal_toIsEEEEPiiNS8_4plusIiEEEE10hipError_tPvRmT1_T2_T3_mT4_P12ihipStream_tbEUlT_E1_NS1_11comp_targetILNS1_3genE10ELNS1_11target_archE1201ELNS1_3gpuE5ELNS1_3repE0EEENS1_30default_config_static_selectorELNS0_4arch9wavefront6targetE1EEEvSL_: ; @_ZN7rocprim17ROCPRIM_400000_NS6detail17trampoline_kernelINS0_14default_configENS1_22reduce_config_selectorIiEEZNS1_11reduce_implILb1ES3_N6thrust23THRUST_200600_302600_NS11hip_rocprim35transform_pair_of_input_iterators_tIiPsSB_NS8_12not_equal_toIsEEEEPiiNS8_4plusIiEEEE10hipError_tPvRmT1_T2_T3_mT4_P12ihipStream_tbEUlT_E1_NS1_11comp_targetILNS1_3genE10ELNS1_11target_archE1201ELNS1_3gpuE5ELNS1_3repE0EEENS1_30default_config_static_selectorELNS0_4arch9wavefront6targetE1EEEvSL_
; %bb.0:
	.section	.rodata,"a",@progbits
	.p2align	6, 0x0
	.amdhsa_kernel _ZN7rocprim17ROCPRIM_400000_NS6detail17trampoline_kernelINS0_14default_configENS1_22reduce_config_selectorIiEEZNS1_11reduce_implILb1ES3_N6thrust23THRUST_200600_302600_NS11hip_rocprim35transform_pair_of_input_iterators_tIiPsSB_NS8_12not_equal_toIsEEEEPiiNS8_4plusIiEEEE10hipError_tPvRmT1_T2_T3_mT4_P12ihipStream_tbEUlT_E1_NS1_11comp_targetILNS1_3genE10ELNS1_11target_archE1201ELNS1_3gpuE5ELNS1_3repE0EEENS1_30default_config_static_selectorELNS0_4arch9wavefront6targetE1EEEvSL_
		.amdhsa_group_segment_fixed_size 0
		.amdhsa_private_segment_fixed_size 0
		.amdhsa_kernarg_size 56
		.amdhsa_user_sgpr_count 6
		.amdhsa_user_sgpr_private_segment_buffer 1
		.amdhsa_user_sgpr_dispatch_ptr 0
		.amdhsa_user_sgpr_queue_ptr 0
		.amdhsa_user_sgpr_kernarg_segment_ptr 1
		.amdhsa_user_sgpr_dispatch_id 0
		.amdhsa_user_sgpr_flat_scratch_init 0
		.amdhsa_user_sgpr_kernarg_preload_length 0
		.amdhsa_user_sgpr_kernarg_preload_offset 0
		.amdhsa_user_sgpr_private_segment_size 0
		.amdhsa_uses_dynamic_stack 0
		.amdhsa_system_sgpr_private_segment_wavefront_offset 0
		.amdhsa_system_sgpr_workgroup_id_x 1
		.amdhsa_system_sgpr_workgroup_id_y 0
		.amdhsa_system_sgpr_workgroup_id_z 0
		.amdhsa_system_sgpr_workgroup_info 0
		.amdhsa_system_vgpr_workitem_id 0
		.amdhsa_next_free_vgpr 1
		.amdhsa_next_free_sgpr 0
		.amdhsa_accum_offset 4
		.amdhsa_reserve_vcc 0
		.amdhsa_reserve_flat_scratch 0
		.amdhsa_float_round_mode_32 0
		.amdhsa_float_round_mode_16_64 0
		.amdhsa_float_denorm_mode_32 3
		.amdhsa_float_denorm_mode_16_64 3
		.amdhsa_dx10_clamp 1
		.amdhsa_ieee_mode 1
		.amdhsa_fp16_overflow 0
		.amdhsa_tg_split 0
		.amdhsa_exception_fp_ieee_invalid_op 0
		.amdhsa_exception_fp_denorm_src 0
		.amdhsa_exception_fp_ieee_div_zero 0
		.amdhsa_exception_fp_ieee_overflow 0
		.amdhsa_exception_fp_ieee_underflow 0
		.amdhsa_exception_fp_ieee_inexact 0
		.amdhsa_exception_int_div_zero 0
	.end_amdhsa_kernel
	.section	.text._ZN7rocprim17ROCPRIM_400000_NS6detail17trampoline_kernelINS0_14default_configENS1_22reduce_config_selectorIiEEZNS1_11reduce_implILb1ES3_N6thrust23THRUST_200600_302600_NS11hip_rocprim35transform_pair_of_input_iterators_tIiPsSB_NS8_12not_equal_toIsEEEEPiiNS8_4plusIiEEEE10hipError_tPvRmT1_T2_T3_mT4_P12ihipStream_tbEUlT_E1_NS1_11comp_targetILNS1_3genE10ELNS1_11target_archE1201ELNS1_3gpuE5ELNS1_3repE0EEENS1_30default_config_static_selectorELNS0_4arch9wavefront6targetE1EEEvSL_,"axG",@progbits,_ZN7rocprim17ROCPRIM_400000_NS6detail17trampoline_kernelINS0_14default_configENS1_22reduce_config_selectorIiEEZNS1_11reduce_implILb1ES3_N6thrust23THRUST_200600_302600_NS11hip_rocprim35transform_pair_of_input_iterators_tIiPsSB_NS8_12not_equal_toIsEEEEPiiNS8_4plusIiEEEE10hipError_tPvRmT1_T2_T3_mT4_P12ihipStream_tbEUlT_E1_NS1_11comp_targetILNS1_3genE10ELNS1_11target_archE1201ELNS1_3gpuE5ELNS1_3repE0EEENS1_30default_config_static_selectorELNS0_4arch9wavefront6targetE1EEEvSL_,comdat
.Lfunc_end1466:
	.size	_ZN7rocprim17ROCPRIM_400000_NS6detail17trampoline_kernelINS0_14default_configENS1_22reduce_config_selectorIiEEZNS1_11reduce_implILb1ES3_N6thrust23THRUST_200600_302600_NS11hip_rocprim35transform_pair_of_input_iterators_tIiPsSB_NS8_12not_equal_toIsEEEEPiiNS8_4plusIiEEEE10hipError_tPvRmT1_T2_T3_mT4_P12ihipStream_tbEUlT_E1_NS1_11comp_targetILNS1_3genE10ELNS1_11target_archE1201ELNS1_3gpuE5ELNS1_3repE0EEENS1_30default_config_static_selectorELNS0_4arch9wavefront6targetE1EEEvSL_, .Lfunc_end1466-_ZN7rocprim17ROCPRIM_400000_NS6detail17trampoline_kernelINS0_14default_configENS1_22reduce_config_selectorIiEEZNS1_11reduce_implILb1ES3_N6thrust23THRUST_200600_302600_NS11hip_rocprim35transform_pair_of_input_iterators_tIiPsSB_NS8_12not_equal_toIsEEEEPiiNS8_4plusIiEEEE10hipError_tPvRmT1_T2_T3_mT4_P12ihipStream_tbEUlT_E1_NS1_11comp_targetILNS1_3genE10ELNS1_11target_archE1201ELNS1_3gpuE5ELNS1_3repE0EEENS1_30default_config_static_selectorELNS0_4arch9wavefront6targetE1EEEvSL_
                                        ; -- End function
	.section	.AMDGPU.csdata,"",@progbits
; Kernel info:
; codeLenInByte = 0
; NumSgprs: 4
; NumVgprs: 0
; NumAgprs: 0
; TotalNumVgprs: 0
; ScratchSize: 0
; MemoryBound: 0
; FloatMode: 240
; IeeeMode: 1
; LDSByteSize: 0 bytes/workgroup (compile time only)
; SGPRBlocks: 0
; VGPRBlocks: 0
; NumSGPRsForWavesPerEU: 4
; NumVGPRsForWavesPerEU: 1
; AccumOffset: 4
; Occupancy: 8
; WaveLimiterHint : 0
; COMPUTE_PGM_RSRC2:SCRATCH_EN: 0
; COMPUTE_PGM_RSRC2:USER_SGPR: 6
; COMPUTE_PGM_RSRC2:TRAP_HANDLER: 0
; COMPUTE_PGM_RSRC2:TGID_X_EN: 1
; COMPUTE_PGM_RSRC2:TGID_Y_EN: 0
; COMPUTE_PGM_RSRC2:TGID_Z_EN: 0
; COMPUTE_PGM_RSRC2:TIDIG_COMP_CNT: 0
; COMPUTE_PGM_RSRC3_GFX90A:ACCUM_OFFSET: 0
; COMPUTE_PGM_RSRC3_GFX90A:TG_SPLIT: 0
	.section	.text._ZN7rocprim17ROCPRIM_400000_NS6detail17trampoline_kernelINS0_14default_configENS1_22reduce_config_selectorIiEEZNS1_11reduce_implILb1ES3_N6thrust23THRUST_200600_302600_NS11hip_rocprim35transform_pair_of_input_iterators_tIiPsSB_NS8_12not_equal_toIsEEEEPiiNS8_4plusIiEEEE10hipError_tPvRmT1_T2_T3_mT4_P12ihipStream_tbEUlT_E1_NS1_11comp_targetILNS1_3genE10ELNS1_11target_archE1200ELNS1_3gpuE4ELNS1_3repE0EEENS1_30default_config_static_selectorELNS0_4arch9wavefront6targetE1EEEvSL_,"axG",@progbits,_ZN7rocprim17ROCPRIM_400000_NS6detail17trampoline_kernelINS0_14default_configENS1_22reduce_config_selectorIiEEZNS1_11reduce_implILb1ES3_N6thrust23THRUST_200600_302600_NS11hip_rocprim35transform_pair_of_input_iterators_tIiPsSB_NS8_12not_equal_toIsEEEEPiiNS8_4plusIiEEEE10hipError_tPvRmT1_T2_T3_mT4_P12ihipStream_tbEUlT_E1_NS1_11comp_targetILNS1_3genE10ELNS1_11target_archE1200ELNS1_3gpuE4ELNS1_3repE0EEENS1_30default_config_static_selectorELNS0_4arch9wavefront6targetE1EEEvSL_,comdat
	.protected	_ZN7rocprim17ROCPRIM_400000_NS6detail17trampoline_kernelINS0_14default_configENS1_22reduce_config_selectorIiEEZNS1_11reduce_implILb1ES3_N6thrust23THRUST_200600_302600_NS11hip_rocprim35transform_pair_of_input_iterators_tIiPsSB_NS8_12not_equal_toIsEEEEPiiNS8_4plusIiEEEE10hipError_tPvRmT1_T2_T3_mT4_P12ihipStream_tbEUlT_E1_NS1_11comp_targetILNS1_3genE10ELNS1_11target_archE1200ELNS1_3gpuE4ELNS1_3repE0EEENS1_30default_config_static_selectorELNS0_4arch9wavefront6targetE1EEEvSL_ ; -- Begin function _ZN7rocprim17ROCPRIM_400000_NS6detail17trampoline_kernelINS0_14default_configENS1_22reduce_config_selectorIiEEZNS1_11reduce_implILb1ES3_N6thrust23THRUST_200600_302600_NS11hip_rocprim35transform_pair_of_input_iterators_tIiPsSB_NS8_12not_equal_toIsEEEEPiiNS8_4plusIiEEEE10hipError_tPvRmT1_T2_T3_mT4_P12ihipStream_tbEUlT_E1_NS1_11comp_targetILNS1_3genE10ELNS1_11target_archE1200ELNS1_3gpuE4ELNS1_3repE0EEENS1_30default_config_static_selectorELNS0_4arch9wavefront6targetE1EEEvSL_
	.globl	_ZN7rocprim17ROCPRIM_400000_NS6detail17trampoline_kernelINS0_14default_configENS1_22reduce_config_selectorIiEEZNS1_11reduce_implILb1ES3_N6thrust23THRUST_200600_302600_NS11hip_rocprim35transform_pair_of_input_iterators_tIiPsSB_NS8_12not_equal_toIsEEEEPiiNS8_4plusIiEEEE10hipError_tPvRmT1_T2_T3_mT4_P12ihipStream_tbEUlT_E1_NS1_11comp_targetILNS1_3genE10ELNS1_11target_archE1200ELNS1_3gpuE4ELNS1_3repE0EEENS1_30default_config_static_selectorELNS0_4arch9wavefront6targetE1EEEvSL_
	.p2align	8
	.type	_ZN7rocprim17ROCPRIM_400000_NS6detail17trampoline_kernelINS0_14default_configENS1_22reduce_config_selectorIiEEZNS1_11reduce_implILb1ES3_N6thrust23THRUST_200600_302600_NS11hip_rocprim35transform_pair_of_input_iterators_tIiPsSB_NS8_12not_equal_toIsEEEEPiiNS8_4plusIiEEEE10hipError_tPvRmT1_T2_T3_mT4_P12ihipStream_tbEUlT_E1_NS1_11comp_targetILNS1_3genE10ELNS1_11target_archE1200ELNS1_3gpuE4ELNS1_3repE0EEENS1_30default_config_static_selectorELNS0_4arch9wavefront6targetE1EEEvSL_,@function
_ZN7rocprim17ROCPRIM_400000_NS6detail17trampoline_kernelINS0_14default_configENS1_22reduce_config_selectorIiEEZNS1_11reduce_implILb1ES3_N6thrust23THRUST_200600_302600_NS11hip_rocprim35transform_pair_of_input_iterators_tIiPsSB_NS8_12not_equal_toIsEEEEPiiNS8_4plusIiEEEE10hipError_tPvRmT1_T2_T3_mT4_P12ihipStream_tbEUlT_E1_NS1_11comp_targetILNS1_3genE10ELNS1_11target_archE1200ELNS1_3gpuE4ELNS1_3repE0EEENS1_30default_config_static_selectorELNS0_4arch9wavefront6targetE1EEEvSL_: ; @_ZN7rocprim17ROCPRIM_400000_NS6detail17trampoline_kernelINS0_14default_configENS1_22reduce_config_selectorIiEEZNS1_11reduce_implILb1ES3_N6thrust23THRUST_200600_302600_NS11hip_rocprim35transform_pair_of_input_iterators_tIiPsSB_NS8_12not_equal_toIsEEEEPiiNS8_4plusIiEEEE10hipError_tPvRmT1_T2_T3_mT4_P12ihipStream_tbEUlT_E1_NS1_11comp_targetILNS1_3genE10ELNS1_11target_archE1200ELNS1_3gpuE4ELNS1_3repE0EEENS1_30default_config_static_selectorELNS0_4arch9wavefront6targetE1EEEvSL_
; %bb.0:
	.section	.rodata,"a",@progbits
	.p2align	6, 0x0
	.amdhsa_kernel _ZN7rocprim17ROCPRIM_400000_NS6detail17trampoline_kernelINS0_14default_configENS1_22reduce_config_selectorIiEEZNS1_11reduce_implILb1ES3_N6thrust23THRUST_200600_302600_NS11hip_rocprim35transform_pair_of_input_iterators_tIiPsSB_NS8_12not_equal_toIsEEEEPiiNS8_4plusIiEEEE10hipError_tPvRmT1_T2_T3_mT4_P12ihipStream_tbEUlT_E1_NS1_11comp_targetILNS1_3genE10ELNS1_11target_archE1200ELNS1_3gpuE4ELNS1_3repE0EEENS1_30default_config_static_selectorELNS0_4arch9wavefront6targetE1EEEvSL_
		.amdhsa_group_segment_fixed_size 0
		.amdhsa_private_segment_fixed_size 0
		.amdhsa_kernarg_size 56
		.amdhsa_user_sgpr_count 6
		.amdhsa_user_sgpr_private_segment_buffer 1
		.amdhsa_user_sgpr_dispatch_ptr 0
		.amdhsa_user_sgpr_queue_ptr 0
		.amdhsa_user_sgpr_kernarg_segment_ptr 1
		.amdhsa_user_sgpr_dispatch_id 0
		.amdhsa_user_sgpr_flat_scratch_init 0
		.amdhsa_user_sgpr_kernarg_preload_length 0
		.amdhsa_user_sgpr_kernarg_preload_offset 0
		.amdhsa_user_sgpr_private_segment_size 0
		.amdhsa_uses_dynamic_stack 0
		.amdhsa_system_sgpr_private_segment_wavefront_offset 0
		.amdhsa_system_sgpr_workgroup_id_x 1
		.amdhsa_system_sgpr_workgroup_id_y 0
		.amdhsa_system_sgpr_workgroup_id_z 0
		.amdhsa_system_sgpr_workgroup_info 0
		.amdhsa_system_vgpr_workitem_id 0
		.amdhsa_next_free_vgpr 1
		.amdhsa_next_free_sgpr 0
		.amdhsa_accum_offset 4
		.amdhsa_reserve_vcc 0
		.amdhsa_reserve_flat_scratch 0
		.amdhsa_float_round_mode_32 0
		.amdhsa_float_round_mode_16_64 0
		.amdhsa_float_denorm_mode_32 3
		.amdhsa_float_denorm_mode_16_64 3
		.amdhsa_dx10_clamp 1
		.amdhsa_ieee_mode 1
		.amdhsa_fp16_overflow 0
		.amdhsa_tg_split 0
		.amdhsa_exception_fp_ieee_invalid_op 0
		.amdhsa_exception_fp_denorm_src 0
		.amdhsa_exception_fp_ieee_div_zero 0
		.amdhsa_exception_fp_ieee_overflow 0
		.amdhsa_exception_fp_ieee_underflow 0
		.amdhsa_exception_fp_ieee_inexact 0
		.amdhsa_exception_int_div_zero 0
	.end_amdhsa_kernel
	.section	.text._ZN7rocprim17ROCPRIM_400000_NS6detail17trampoline_kernelINS0_14default_configENS1_22reduce_config_selectorIiEEZNS1_11reduce_implILb1ES3_N6thrust23THRUST_200600_302600_NS11hip_rocprim35transform_pair_of_input_iterators_tIiPsSB_NS8_12not_equal_toIsEEEEPiiNS8_4plusIiEEEE10hipError_tPvRmT1_T2_T3_mT4_P12ihipStream_tbEUlT_E1_NS1_11comp_targetILNS1_3genE10ELNS1_11target_archE1200ELNS1_3gpuE4ELNS1_3repE0EEENS1_30default_config_static_selectorELNS0_4arch9wavefront6targetE1EEEvSL_,"axG",@progbits,_ZN7rocprim17ROCPRIM_400000_NS6detail17trampoline_kernelINS0_14default_configENS1_22reduce_config_selectorIiEEZNS1_11reduce_implILb1ES3_N6thrust23THRUST_200600_302600_NS11hip_rocprim35transform_pair_of_input_iterators_tIiPsSB_NS8_12not_equal_toIsEEEEPiiNS8_4plusIiEEEE10hipError_tPvRmT1_T2_T3_mT4_P12ihipStream_tbEUlT_E1_NS1_11comp_targetILNS1_3genE10ELNS1_11target_archE1200ELNS1_3gpuE4ELNS1_3repE0EEENS1_30default_config_static_selectorELNS0_4arch9wavefront6targetE1EEEvSL_,comdat
.Lfunc_end1467:
	.size	_ZN7rocprim17ROCPRIM_400000_NS6detail17trampoline_kernelINS0_14default_configENS1_22reduce_config_selectorIiEEZNS1_11reduce_implILb1ES3_N6thrust23THRUST_200600_302600_NS11hip_rocprim35transform_pair_of_input_iterators_tIiPsSB_NS8_12not_equal_toIsEEEEPiiNS8_4plusIiEEEE10hipError_tPvRmT1_T2_T3_mT4_P12ihipStream_tbEUlT_E1_NS1_11comp_targetILNS1_3genE10ELNS1_11target_archE1200ELNS1_3gpuE4ELNS1_3repE0EEENS1_30default_config_static_selectorELNS0_4arch9wavefront6targetE1EEEvSL_, .Lfunc_end1467-_ZN7rocprim17ROCPRIM_400000_NS6detail17trampoline_kernelINS0_14default_configENS1_22reduce_config_selectorIiEEZNS1_11reduce_implILb1ES3_N6thrust23THRUST_200600_302600_NS11hip_rocprim35transform_pair_of_input_iterators_tIiPsSB_NS8_12not_equal_toIsEEEEPiiNS8_4plusIiEEEE10hipError_tPvRmT1_T2_T3_mT4_P12ihipStream_tbEUlT_E1_NS1_11comp_targetILNS1_3genE10ELNS1_11target_archE1200ELNS1_3gpuE4ELNS1_3repE0EEENS1_30default_config_static_selectorELNS0_4arch9wavefront6targetE1EEEvSL_
                                        ; -- End function
	.section	.AMDGPU.csdata,"",@progbits
; Kernel info:
; codeLenInByte = 0
; NumSgprs: 4
; NumVgprs: 0
; NumAgprs: 0
; TotalNumVgprs: 0
; ScratchSize: 0
; MemoryBound: 0
; FloatMode: 240
; IeeeMode: 1
; LDSByteSize: 0 bytes/workgroup (compile time only)
; SGPRBlocks: 0
; VGPRBlocks: 0
; NumSGPRsForWavesPerEU: 4
; NumVGPRsForWavesPerEU: 1
; AccumOffset: 4
; Occupancy: 8
; WaveLimiterHint : 0
; COMPUTE_PGM_RSRC2:SCRATCH_EN: 0
; COMPUTE_PGM_RSRC2:USER_SGPR: 6
; COMPUTE_PGM_RSRC2:TRAP_HANDLER: 0
; COMPUTE_PGM_RSRC2:TGID_X_EN: 1
; COMPUTE_PGM_RSRC2:TGID_Y_EN: 0
; COMPUTE_PGM_RSRC2:TGID_Z_EN: 0
; COMPUTE_PGM_RSRC2:TIDIG_COMP_CNT: 0
; COMPUTE_PGM_RSRC3_GFX90A:ACCUM_OFFSET: 0
; COMPUTE_PGM_RSRC3_GFX90A:TG_SPLIT: 0
	.section	.text._ZN7rocprim17ROCPRIM_400000_NS6detail17trampoline_kernelINS0_14default_configENS1_22reduce_config_selectorIiEEZNS1_11reduce_implILb1ES3_N6thrust23THRUST_200600_302600_NS11hip_rocprim35transform_pair_of_input_iterators_tIiPsSB_NS8_12not_equal_toIsEEEEPiiNS8_4plusIiEEEE10hipError_tPvRmT1_T2_T3_mT4_P12ihipStream_tbEUlT_E1_NS1_11comp_targetILNS1_3genE9ELNS1_11target_archE1100ELNS1_3gpuE3ELNS1_3repE0EEENS1_30default_config_static_selectorELNS0_4arch9wavefront6targetE1EEEvSL_,"axG",@progbits,_ZN7rocprim17ROCPRIM_400000_NS6detail17trampoline_kernelINS0_14default_configENS1_22reduce_config_selectorIiEEZNS1_11reduce_implILb1ES3_N6thrust23THRUST_200600_302600_NS11hip_rocprim35transform_pair_of_input_iterators_tIiPsSB_NS8_12not_equal_toIsEEEEPiiNS8_4plusIiEEEE10hipError_tPvRmT1_T2_T3_mT4_P12ihipStream_tbEUlT_E1_NS1_11comp_targetILNS1_3genE9ELNS1_11target_archE1100ELNS1_3gpuE3ELNS1_3repE0EEENS1_30default_config_static_selectorELNS0_4arch9wavefront6targetE1EEEvSL_,comdat
	.protected	_ZN7rocprim17ROCPRIM_400000_NS6detail17trampoline_kernelINS0_14default_configENS1_22reduce_config_selectorIiEEZNS1_11reduce_implILb1ES3_N6thrust23THRUST_200600_302600_NS11hip_rocprim35transform_pair_of_input_iterators_tIiPsSB_NS8_12not_equal_toIsEEEEPiiNS8_4plusIiEEEE10hipError_tPvRmT1_T2_T3_mT4_P12ihipStream_tbEUlT_E1_NS1_11comp_targetILNS1_3genE9ELNS1_11target_archE1100ELNS1_3gpuE3ELNS1_3repE0EEENS1_30default_config_static_selectorELNS0_4arch9wavefront6targetE1EEEvSL_ ; -- Begin function _ZN7rocprim17ROCPRIM_400000_NS6detail17trampoline_kernelINS0_14default_configENS1_22reduce_config_selectorIiEEZNS1_11reduce_implILb1ES3_N6thrust23THRUST_200600_302600_NS11hip_rocprim35transform_pair_of_input_iterators_tIiPsSB_NS8_12not_equal_toIsEEEEPiiNS8_4plusIiEEEE10hipError_tPvRmT1_T2_T3_mT4_P12ihipStream_tbEUlT_E1_NS1_11comp_targetILNS1_3genE9ELNS1_11target_archE1100ELNS1_3gpuE3ELNS1_3repE0EEENS1_30default_config_static_selectorELNS0_4arch9wavefront6targetE1EEEvSL_
	.globl	_ZN7rocprim17ROCPRIM_400000_NS6detail17trampoline_kernelINS0_14default_configENS1_22reduce_config_selectorIiEEZNS1_11reduce_implILb1ES3_N6thrust23THRUST_200600_302600_NS11hip_rocprim35transform_pair_of_input_iterators_tIiPsSB_NS8_12not_equal_toIsEEEEPiiNS8_4plusIiEEEE10hipError_tPvRmT1_T2_T3_mT4_P12ihipStream_tbEUlT_E1_NS1_11comp_targetILNS1_3genE9ELNS1_11target_archE1100ELNS1_3gpuE3ELNS1_3repE0EEENS1_30default_config_static_selectorELNS0_4arch9wavefront6targetE1EEEvSL_
	.p2align	8
	.type	_ZN7rocprim17ROCPRIM_400000_NS6detail17trampoline_kernelINS0_14default_configENS1_22reduce_config_selectorIiEEZNS1_11reduce_implILb1ES3_N6thrust23THRUST_200600_302600_NS11hip_rocprim35transform_pair_of_input_iterators_tIiPsSB_NS8_12not_equal_toIsEEEEPiiNS8_4plusIiEEEE10hipError_tPvRmT1_T2_T3_mT4_P12ihipStream_tbEUlT_E1_NS1_11comp_targetILNS1_3genE9ELNS1_11target_archE1100ELNS1_3gpuE3ELNS1_3repE0EEENS1_30default_config_static_selectorELNS0_4arch9wavefront6targetE1EEEvSL_,@function
_ZN7rocprim17ROCPRIM_400000_NS6detail17trampoline_kernelINS0_14default_configENS1_22reduce_config_selectorIiEEZNS1_11reduce_implILb1ES3_N6thrust23THRUST_200600_302600_NS11hip_rocprim35transform_pair_of_input_iterators_tIiPsSB_NS8_12not_equal_toIsEEEEPiiNS8_4plusIiEEEE10hipError_tPvRmT1_T2_T3_mT4_P12ihipStream_tbEUlT_E1_NS1_11comp_targetILNS1_3genE9ELNS1_11target_archE1100ELNS1_3gpuE3ELNS1_3repE0EEENS1_30default_config_static_selectorELNS0_4arch9wavefront6targetE1EEEvSL_: ; @_ZN7rocprim17ROCPRIM_400000_NS6detail17trampoline_kernelINS0_14default_configENS1_22reduce_config_selectorIiEEZNS1_11reduce_implILb1ES3_N6thrust23THRUST_200600_302600_NS11hip_rocprim35transform_pair_of_input_iterators_tIiPsSB_NS8_12not_equal_toIsEEEEPiiNS8_4plusIiEEEE10hipError_tPvRmT1_T2_T3_mT4_P12ihipStream_tbEUlT_E1_NS1_11comp_targetILNS1_3genE9ELNS1_11target_archE1100ELNS1_3gpuE3ELNS1_3repE0EEENS1_30default_config_static_selectorELNS0_4arch9wavefront6targetE1EEEvSL_
; %bb.0:
	.section	.rodata,"a",@progbits
	.p2align	6, 0x0
	.amdhsa_kernel _ZN7rocprim17ROCPRIM_400000_NS6detail17trampoline_kernelINS0_14default_configENS1_22reduce_config_selectorIiEEZNS1_11reduce_implILb1ES3_N6thrust23THRUST_200600_302600_NS11hip_rocprim35transform_pair_of_input_iterators_tIiPsSB_NS8_12not_equal_toIsEEEEPiiNS8_4plusIiEEEE10hipError_tPvRmT1_T2_T3_mT4_P12ihipStream_tbEUlT_E1_NS1_11comp_targetILNS1_3genE9ELNS1_11target_archE1100ELNS1_3gpuE3ELNS1_3repE0EEENS1_30default_config_static_selectorELNS0_4arch9wavefront6targetE1EEEvSL_
		.amdhsa_group_segment_fixed_size 0
		.amdhsa_private_segment_fixed_size 0
		.amdhsa_kernarg_size 56
		.amdhsa_user_sgpr_count 6
		.amdhsa_user_sgpr_private_segment_buffer 1
		.amdhsa_user_sgpr_dispatch_ptr 0
		.amdhsa_user_sgpr_queue_ptr 0
		.amdhsa_user_sgpr_kernarg_segment_ptr 1
		.amdhsa_user_sgpr_dispatch_id 0
		.amdhsa_user_sgpr_flat_scratch_init 0
		.amdhsa_user_sgpr_kernarg_preload_length 0
		.amdhsa_user_sgpr_kernarg_preload_offset 0
		.amdhsa_user_sgpr_private_segment_size 0
		.amdhsa_uses_dynamic_stack 0
		.amdhsa_system_sgpr_private_segment_wavefront_offset 0
		.amdhsa_system_sgpr_workgroup_id_x 1
		.amdhsa_system_sgpr_workgroup_id_y 0
		.amdhsa_system_sgpr_workgroup_id_z 0
		.amdhsa_system_sgpr_workgroup_info 0
		.amdhsa_system_vgpr_workitem_id 0
		.amdhsa_next_free_vgpr 1
		.amdhsa_next_free_sgpr 0
		.amdhsa_accum_offset 4
		.amdhsa_reserve_vcc 0
		.amdhsa_reserve_flat_scratch 0
		.amdhsa_float_round_mode_32 0
		.amdhsa_float_round_mode_16_64 0
		.amdhsa_float_denorm_mode_32 3
		.amdhsa_float_denorm_mode_16_64 3
		.amdhsa_dx10_clamp 1
		.amdhsa_ieee_mode 1
		.amdhsa_fp16_overflow 0
		.amdhsa_tg_split 0
		.amdhsa_exception_fp_ieee_invalid_op 0
		.amdhsa_exception_fp_denorm_src 0
		.amdhsa_exception_fp_ieee_div_zero 0
		.amdhsa_exception_fp_ieee_overflow 0
		.amdhsa_exception_fp_ieee_underflow 0
		.amdhsa_exception_fp_ieee_inexact 0
		.amdhsa_exception_int_div_zero 0
	.end_amdhsa_kernel
	.section	.text._ZN7rocprim17ROCPRIM_400000_NS6detail17trampoline_kernelINS0_14default_configENS1_22reduce_config_selectorIiEEZNS1_11reduce_implILb1ES3_N6thrust23THRUST_200600_302600_NS11hip_rocprim35transform_pair_of_input_iterators_tIiPsSB_NS8_12not_equal_toIsEEEEPiiNS8_4plusIiEEEE10hipError_tPvRmT1_T2_T3_mT4_P12ihipStream_tbEUlT_E1_NS1_11comp_targetILNS1_3genE9ELNS1_11target_archE1100ELNS1_3gpuE3ELNS1_3repE0EEENS1_30default_config_static_selectorELNS0_4arch9wavefront6targetE1EEEvSL_,"axG",@progbits,_ZN7rocprim17ROCPRIM_400000_NS6detail17trampoline_kernelINS0_14default_configENS1_22reduce_config_selectorIiEEZNS1_11reduce_implILb1ES3_N6thrust23THRUST_200600_302600_NS11hip_rocprim35transform_pair_of_input_iterators_tIiPsSB_NS8_12not_equal_toIsEEEEPiiNS8_4plusIiEEEE10hipError_tPvRmT1_T2_T3_mT4_P12ihipStream_tbEUlT_E1_NS1_11comp_targetILNS1_3genE9ELNS1_11target_archE1100ELNS1_3gpuE3ELNS1_3repE0EEENS1_30default_config_static_selectorELNS0_4arch9wavefront6targetE1EEEvSL_,comdat
.Lfunc_end1468:
	.size	_ZN7rocprim17ROCPRIM_400000_NS6detail17trampoline_kernelINS0_14default_configENS1_22reduce_config_selectorIiEEZNS1_11reduce_implILb1ES3_N6thrust23THRUST_200600_302600_NS11hip_rocprim35transform_pair_of_input_iterators_tIiPsSB_NS8_12not_equal_toIsEEEEPiiNS8_4plusIiEEEE10hipError_tPvRmT1_T2_T3_mT4_P12ihipStream_tbEUlT_E1_NS1_11comp_targetILNS1_3genE9ELNS1_11target_archE1100ELNS1_3gpuE3ELNS1_3repE0EEENS1_30default_config_static_selectorELNS0_4arch9wavefront6targetE1EEEvSL_, .Lfunc_end1468-_ZN7rocprim17ROCPRIM_400000_NS6detail17trampoline_kernelINS0_14default_configENS1_22reduce_config_selectorIiEEZNS1_11reduce_implILb1ES3_N6thrust23THRUST_200600_302600_NS11hip_rocprim35transform_pair_of_input_iterators_tIiPsSB_NS8_12not_equal_toIsEEEEPiiNS8_4plusIiEEEE10hipError_tPvRmT1_T2_T3_mT4_P12ihipStream_tbEUlT_E1_NS1_11comp_targetILNS1_3genE9ELNS1_11target_archE1100ELNS1_3gpuE3ELNS1_3repE0EEENS1_30default_config_static_selectorELNS0_4arch9wavefront6targetE1EEEvSL_
                                        ; -- End function
	.section	.AMDGPU.csdata,"",@progbits
; Kernel info:
; codeLenInByte = 0
; NumSgprs: 4
; NumVgprs: 0
; NumAgprs: 0
; TotalNumVgprs: 0
; ScratchSize: 0
; MemoryBound: 0
; FloatMode: 240
; IeeeMode: 1
; LDSByteSize: 0 bytes/workgroup (compile time only)
; SGPRBlocks: 0
; VGPRBlocks: 0
; NumSGPRsForWavesPerEU: 4
; NumVGPRsForWavesPerEU: 1
; AccumOffset: 4
; Occupancy: 8
; WaveLimiterHint : 0
; COMPUTE_PGM_RSRC2:SCRATCH_EN: 0
; COMPUTE_PGM_RSRC2:USER_SGPR: 6
; COMPUTE_PGM_RSRC2:TRAP_HANDLER: 0
; COMPUTE_PGM_RSRC2:TGID_X_EN: 1
; COMPUTE_PGM_RSRC2:TGID_Y_EN: 0
; COMPUTE_PGM_RSRC2:TGID_Z_EN: 0
; COMPUTE_PGM_RSRC2:TIDIG_COMP_CNT: 0
; COMPUTE_PGM_RSRC3_GFX90A:ACCUM_OFFSET: 0
; COMPUTE_PGM_RSRC3_GFX90A:TG_SPLIT: 0
	.section	.text._ZN7rocprim17ROCPRIM_400000_NS6detail17trampoline_kernelINS0_14default_configENS1_22reduce_config_selectorIiEEZNS1_11reduce_implILb1ES3_N6thrust23THRUST_200600_302600_NS11hip_rocprim35transform_pair_of_input_iterators_tIiPsSB_NS8_12not_equal_toIsEEEEPiiNS8_4plusIiEEEE10hipError_tPvRmT1_T2_T3_mT4_P12ihipStream_tbEUlT_E1_NS1_11comp_targetILNS1_3genE8ELNS1_11target_archE1030ELNS1_3gpuE2ELNS1_3repE0EEENS1_30default_config_static_selectorELNS0_4arch9wavefront6targetE1EEEvSL_,"axG",@progbits,_ZN7rocprim17ROCPRIM_400000_NS6detail17trampoline_kernelINS0_14default_configENS1_22reduce_config_selectorIiEEZNS1_11reduce_implILb1ES3_N6thrust23THRUST_200600_302600_NS11hip_rocprim35transform_pair_of_input_iterators_tIiPsSB_NS8_12not_equal_toIsEEEEPiiNS8_4plusIiEEEE10hipError_tPvRmT1_T2_T3_mT4_P12ihipStream_tbEUlT_E1_NS1_11comp_targetILNS1_3genE8ELNS1_11target_archE1030ELNS1_3gpuE2ELNS1_3repE0EEENS1_30default_config_static_selectorELNS0_4arch9wavefront6targetE1EEEvSL_,comdat
	.protected	_ZN7rocprim17ROCPRIM_400000_NS6detail17trampoline_kernelINS0_14default_configENS1_22reduce_config_selectorIiEEZNS1_11reduce_implILb1ES3_N6thrust23THRUST_200600_302600_NS11hip_rocprim35transform_pair_of_input_iterators_tIiPsSB_NS8_12not_equal_toIsEEEEPiiNS8_4plusIiEEEE10hipError_tPvRmT1_T2_T3_mT4_P12ihipStream_tbEUlT_E1_NS1_11comp_targetILNS1_3genE8ELNS1_11target_archE1030ELNS1_3gpuE2ELNS1_3repE0EEENS1_30default_config_static_selectorELNS0_4arch9wavefront6targetE1EEEvSL_ ; -- Begin function _ZN7rocprim17ROCPRIM_400000_NS6detail17trampoline_kernelINS0_14default_configENS1_22reduce_config_selectorIiEEZNS1_11reduce_implILb1ES3_N6thrust23THRUST_200600_302600_NS11hip_rocprim35transform_pair_of_input_iterators_tIiPsSB_NS8_12not_equal_toIsEEEEPiiNS8_4plusIiEEEE10hipError_tPvRmT1_T2_T3_mT4_P12ihipStream_tbEUlT_E1_NS1_11comp_targetILNS1_3genE8ELNS1_11target_archE1030ELNS1_3gpuE2ELNS1_3repE0EEENS1_30default_config_static_selectorELNS0_4arch9wavefront6targetE1EEEvSL_
	.globl	_ZN7rocprim17ROCPRIM_400000_NS6detail17trampoline_kernelINS0_14default_configENS1_22reduce_config_selectorIiEEZNS1_11reduce_implILb1ES3_N6thrust23THRUST_200600_302600_NS11hip_rocprim35transform_pair_of_input_iterators_tIiPsSB_NS8_12not_equal_toIsEEEEPiiNS8_4plusIiEEEE10hipError_tPvRmT1_T2_T3_mT4_P12ihipStream_tbEUlT_E1_NS1_11comp_targetILNS1_3genE8ELNS1_11target_archE1030ELNS1_3gpuE2ELNS1_3repE0EEENS1_30default_config_static_selectorELNS0_4arch9wavefront6targetE1EEEvSL_
	.p2align	8
	.type	_ZN7rocprim17ROCPRIM_400000_NS6detail17trampoline_kernelINS0_14default_configENS1_22reduce_config_selectorIiEEZNS1_11reduce_implILb1ES3_N6thrust23THRUST_200600_302600_NS11hip_rocprim35transform_pair_of_input_iterators_tIiPsSB_NS8_12not_equal_toIsEEEEPiiNS8_4plusIiEEEE10hipError_tPvRmT1_T2_T3_mT4_P12ihipStream_tbEUlT_E1_NS1_11comp_targetILNS1_3genE8ELNS1_11target_archE1030ELNS1_3gpuE2ELNS1_3repE0EEENS1_30default_config_static_selectorELNS0_4arch9wavefront6targetE1EEEvSL_,@function
_ZN7rocprim17ROCPRIM_400000_NS6detail17trampoline_kernelINS0_14default_configENS1_22reduce_config_selectorIiEEZNS1_11reduce_implILb1ES3_N6thrust23THRUST_200600_302600_NS11hip_rocprim35transform_pair_of_input_iterators_tIiPsSB_NS8_12not_equal_toIsEEEEPiiNS8_4plusIiEEEE10hipError_tPvRmT1_T2_T3_mT4_P12ihipStream_tbEUlT_E1_NS1_11comp_targetILNS1_3genE8ELNS1_11target_archE1030ELNS1_3gpuE2ELNS1_3repE0EEENS1_30default_config_static_selectorELNS0_4arch9wavefront6targetE1EEEvSL_: ; @_ZN7rocprim17ROCPRIM_400000_NS6detail17trampoline_kernelINS0_14default_configENS1_22reduce_config_selectorIiEEZNS1_11reduce_implILb1ES3_N6thrust23THRUST_200600_302600_NS11hip_rocprim35transform_pair_of_input_iterators_tIiPsSB_NS8_12not_equal_toIsEEEEPiiNS8_4plusIiEEEE10hipError_tPvRmT1_T2_T3_mT4_P12ihipStream_tbEUlT_E1_NS1_11comp_targetILNS1_3genE8ELNS1_11target_archE1030ELNS1_3gpuE2ELNS1_3repE0EEENS1_30default_config_static_selectorELNS0_4arch9wavefront6targetE1EEEvSL_
; %bb.0:
	.section	.rodata,"a",@progbits
	.p2align	6, 0x0
	.amdhsa_kernel _ZN7rocprim17ROCPRIM_400000_NS6detail17trampoline_kernelINS0_14default_configENS1_22reduce_config_selectorIiEEZNS1_11reduce_implILb1ES3_N6thrust23THRUST_200600_302600_NS11hip_rocprim35transform_pair_of_input_iterators_tIiPsSB_NS8_12not_equal_toIsEEEEPiiNS8_4plusIiEEEE10hipError_tPvRmT1_T2_T3_mT4_P12ihipStream_tbEUlT_E1_NS1_11comp_targetILNS1_3genE8ELNS1_11target_archE1030ELNS1_3gpuE2ELNS1_3repE0EEENS1_30default_config_static_selectorELNS0_4arch9wavefront6targetE1EEEvSL_
		.amdhsa_group_segment_fixed_size 0
		.amdhsa_private_segment_fixed_size 0
		.amdhsa_kernarg_size 56
		.amdhsa_user_sgpr_count 6
		.amdhsa_user_sgpr_private_segment_buffer 1
		.amdhsa_user_sgpr_dispatch_ptr 0
		.amdhsa_user_sgpr_queue_ptr 0
		.amdhsa_user_sgpr_kernarg_segment_ptr 1
		.amdhsa_user_sgpr_dispatch_id 0
		.amdhsa_user_sgpr_flat_scratch_init 0
		.amdhsa_user_sgpr_kernarg_preload_length 0
		.amdhsa_user_sgpr_kernarg_preload_offset 0
		.amdhsa_user_sgpr_private_segment_size 0
		.amdhsa_uses_dynamic_stack 0
		.amdhsa_system_sgpr_private_segment_wavefront_offset 0
		.amdhsa_system_sgpr_workgroup_id_x 1
		.amdhsa_system_sgpr_workgroup_id_y 0
		.amdhsa_system_sgpr_workgroup_id_z 0
		.amdhsa_system_sgpr_workgroup_info 0
		.amdhsa_system_vgpr_workitem_id 0
		.amdhsa_next_free_vgpr 1
		.amdhsa_next_free_sgpr 0
		.amdhsa_accum_offset 4
		.amdhsa_reserve_vcc 0
		.amdhsa_reserve_flat_scratch 0
		.amdhsa_float_round_mode_32 0
		.amdhsa_float_round_mode_16_64 0
		.amdhsa_float_denorm_mode_32 3
		.amdhsa_float_denorm_mode_16_64 3
		.amdhsa_dx10_clamp 1
		.amdhsa_ieee_mode 1
		.amdhsa_fp16_overflow 0
		.amdhsa_tg_split 0
		.amdhsa_exception_fp_ieee_invalid_op 0
		.amdhsa_exception_fp_denorm_src 0
		.amdhsa_exception_fp_ieee_div_zero 0
		.amdhsa_exception_fp_ieee_overflow 0
		.amdhsa_exception_fp_ieee_underflow 0
		.amdhsa_exception_fp_ieee_inexact 0
		.amdhsa_exception_int_div_zero 0
	.end_amdhsa_kernel
	.section	.text._ZN7rocprim17ROCPRIM_400000_NS6detail17trampoline_kernelINS0_14default_configENS1_22reduce_config_selectorIiEEZNS1_11reduce_implILb1ES3_N6thrust23THRUST_200600_302600_NS11hip_rocprim35transform_pair_of_input_iterators_tIiPsSB_NS8_12not_equal_toIsEEEEPiiNS8_4plusIiEEEE10hipError_tPvRmT1_T2_T3_mT4_P12ihipStream_tbEUlT_E1_NS1_11comp_targetILNS1_3genE8ELNS1_11target_archE1030ELNS1_3gpuE2ELNS1_3repE0EEENS1_30default_config_static_selectorELNS0_4arch9wavefront6targetE1EEEvSL_,"axG",@progbits,_ZN7rocprim17ROCPRIM_400000_NS6detail17trampoline_kernelINS0_14default_configENS1_22reduce_config_selectorIiEEZNS1_11reduce_implILb1ES3_N6thrust23THRUST_200600_302600_NS11hip_rocprim35transform_pair_of_input_iterators_tIiPsSB_NS8_12not_equal_toIsEEEEPiiNS8_4plusIiEEEE10hipError_tPvRmT1_T2_T3_mT4_P12ihipStream_tbEUlT_E1_NS1_11comp_targetILNS1_3genE8ELNS1_11target_archE1030ELNS1_3gpuE2ELNS1_3repE0EEENS1_30default_config_static_selectorELNS0_4arch9wavefront6targetE1EEEvSL_,comdat
.Lfunc_end1469:
	.size	_ZN7rocprim17ROCPRIM_400000_NS6detail17trampoline_kernelINS0_14default_configENS1_22reduce_config_selectorIiEEZNS1_11reduce_implILb1ES3_N6thrust23THRUST_200600_302600_NS11hip_rocprim35transform_pair_of_input_iterators_tIiPsSB_NS8_12not_equal_toIsEEEEPiiNS8_4plusIiEEEE10hipError_tPvRmT1_T2_T3_mT4_P12ihipStream_tbEUlT_E1_NS1_11comp_targetILNS1_3genE8ELNS1_11target_archE1030ELNS1_3gpuE2ELNS1_3repE0EEENS1_30default_config_static_selectorELNS0_4arch9wavefront6targetE1EEEvSL_, .Lfunc_end1469-_ZN7rocprim17ROCPRIM_400000_NS6detail17trampoline_kernelINS0_14default_configENS1_22reduce_config_selectorIiEEZNS1_11reduce_implILb1ES3_N6thrust23THRUST_200600_302600_NS11hip_rocprim35transform_pair_of_input_iterators_tIiPsSB_NS8_12not_equal_toIsEEEEPiiNS8_4plusIiEEEE10hipError_tPvRmT1_T2_T3_mT4_P12ihipStream_tbEUlT_E1_NS1_11comp_targetILNS1_3genE8ELNS1_11target_archE1030ELNS1_3gpuE2ELNS1_3repE0EEENS1_30default_config_static_selectorELNS0_4arch9wavefront6targetE1EEEvSL_
                                        ; -- End function
	.section	.AMDGPU.csdata,"",@progbits
; Kernel info:
; codeLenInByte = 0
; NumSgprs: 4
; NumVgprs: 0
; NumAgprs: 0
; TotalNumVgprs: 0
; ScratchSize: 0
; MemoryBound: 0
; FloatMode: 240
; IeeeMode: 1
; LDSByteSize: 0 bytes/workgroup (compile time only)
; SGPRBlocks: 0
; VGPRBlocks: 0
; NumSGPRsForWavesPerEU: 4
; NumVGPRsForWavesPerEU: 1
; AccumOffset: 4
; Occupancy: 8
; WaveLimiterHint : 0
; COMPUTE_PGM_RSRC2:SCRATCH_EN: 0
; COMPUTE_PGM_RSRC2:USER_SGPR: 6
; COMPUTE_PGM_RSRC2:TRAP_HANDLER: 0
; COMPUTE_PGM_RSRC2:TGID_X_EN: 1
; COMPUTE_PGM_RSRC2:TGID_Y_EN: 0
; COMPUTE_PGM_RSRC2:TGID_Z_EN: 0
; COMPUTE_PGM_RSRC2:TIDIG_COMP_CNT: 0
; COMPUTE_PGM_RSRC3_GFX90A:ACCUM_OFFSET: 0
; COMPUTE_PGM_RSRC3_GFX90A:TG_SPLIT: 0
	.section	.text._ZN7rocprim17ROCPRIM_400000_NS6detail17trampoline_kernelINS0_14default_configENS1_29reduce_by_key_config_selectorIslN6thrust23THRUST_200600_302600_NS4plusIlEEEEZZNS1_33reduce_by_key_impl_wrapped_configILNS1_25lookback_scan_determinismE0ES3_S9_PsNS6_17constant_iteratorIiNS6_11use_defaultESE_EENS6_10device_ptrIsEENSG_IlEEPmS8_NS6_8equal_toIsEEEE10hipError_tPvRmT2_T3_mT4_T5_T6_T7_T8_P12ihipStream_tbENKUlT_T0_E_clISt17integral_constantIbLb0EES13_EEDaSY_SZ_EUlSY_E_NS1_11comp_targetILNS1_3genE0ELNS1_11target_archE4294967295ELNS1_3gpuE0ELNS1_3repE0EEENS1_30default_config_static_selectorELNS0_4arch9wavefront6targetE1EEEvT1_,"axG",@progbits,_ZN7rocprim17ROCPRIM_400000_NS6detail17trampoline_kernelINS0_14default_configENS1_29reduce_by_key_config_selectorIslN6thrust23THRUST_200600_302600_NS4plusIlEEEEZZNS1_33reduce_by_key_impl_wrapped_configILNS1_25lookback_scan_determinismE0ES3_S9_PsNS6_17constant_iteratorIiNS6_11use_defaultESE_EENS6_10device_ptrIsEENSG_IlEEPmS8_NS6_8equal_toIsEEEE10hipError_tPvRmT2_T3_mT4_T5_T6_T7_T8_P12ihipStream_tbENKUlT_T0_E_clISt17integral_constantIbLb0EES13_EEDaSY_SZ_EUlSY_E_NS1_11comp_targetILNS1_3genE0ELNS1_11target_archE4294967295ELNS1_3gpuE0ELNS1_3repE0EEENS1_30default_config_static_selectorELNS0_4arch9wavefront6targetE1EEEvT1_,comdat
	.protected	_ZN7rocprim17ROCPRIM_400000_NS6detail17trampoline_kernelINS0_14default_configENS1_29reduce_by_key_config_selectorIslN6thrust23THRUST_200600_302600_NS4plusIlEEEEZZNS1_33reduce_by_key_impl_wrapped_configILNS1_25lookback_scan_determinismE0ES3_S9_PsNS6_17constant_iteratorIiNS6_11use_defaultESE_EENS6_10device_ptrIsEENSG_IlEEPmS8_NS6_8equal_toIsEEEE10hipError_tPvRmT2_T3_mT4_T5_T6_T7_T8_P12ihipStream_tbENKUlT_T0_E_clISt17integral_constantIbLb0EES13_EEDaSY_SZ_EUlSY_E_NS1_11comp_targetILNS1_3genE0ELNS1_11target_archE4294967295ELNS1_3gpuE0ELNS1_3repE0EEENS1_30default_config_static_selectorELNS0_4arch9wavefront6targetE1EEEvT1_ ; -- Begin function _ZN7rocprim17ROCPRIM_400000_NS6detail17trampoline_kernelINS0_14default_configENS1_29reduce_by_key_config_selectorIslN6thrust23THRUST_200600_302600_NS4plusIlEEEEZZNS1_33reduce_by_key_impl_wrapped_configILNS1_25lookback_scan_determinismE0ES3_S9_PsNS6_17constant_iteratorIiNS6_11use_defaultESE_EENS6_10device_ptrIsEENSG_IlEEPmS8_NS6_8equal_toIsEEEE10hipError_tPvRmT2_T3_mT4_T5_T6_T7_T8_P12ihipStream_tbENKUlT_T0_E_clISt17integral_constantIbLb0EES13_EEDaSY_SZ_EUlSY_E_NS1_11comp_targetILNS1_3genE0ELNS1_11target_archE4294967295ELNS1_3gpuE0ELNS1_3repE0EEENS1_30default_config_static_selectorELNS0_4arch9wavefront6targetE1EEEvT1_
	.globl	_ZN7rocprim17ROCPRIM_400000_NS6detail17trampoline_kernelINS0_14default_configENS1_29reduce_by_key_config_selectorIslN6thrust23THRUST_200600_302600_NS4plusIlEEEEZZNS1_33reduce_by_key_impl_wrapped_configILNS1_25lookback_scan_determinismE0ES3_S9_PsNS6_17constant_iteratorIiNS6_11use_defaultESE_EENS6_10device_ptrIsEENSG_IlEEPmS8_NS6_8equal_toIsEEEE10hipError_tPvRmT2_T3_mT4_T5_T6_T7_T8_P12ihipStream_tbENKUlT_T0_E_clISt17integral_constantIbLb0EES13_EEDaSY_SZ_EUlSY_E_NS1_11comp_targetILNS1_3genE0ELNS1_11target_archE4294967295ELNS1_3gpuE0ELNS1_3repE0EEENS1_30default_config_static_selectorELNS0_4arch9wavefront6targetE1EEEvT1_
	.p2align	8
	.type	_ZN7rocprim17ROCPRIM_400000_NS6detail17trampoline_kernelINS0_14default_configENS1_29reduce_by_key_config_selectorIslN6thrust23THRUST_200600_302600_NS4plusIlEEEEZZNS1_33reduce_by_key_impl_wrapped_configILNS1_25lookback_scan_determinismE0ES3_S9_PsNS6_17constant_iteratorIiNS6_11use_defaultESE_EENS6_10device_ptrIsEENSG_IlEEPmS8_NS6_8equal_toIsEEEE10hipError_tPvRmT2_T3_mT4_T5_T6_T7_T8_P12ihipStream_tbENKUlT_T0_E_clISt17integral_constantIbLb0EES13_EEDaSY_SZ_EUlSY_E_NS1_11comp_targetILNS1_3genE0ELNS1_11target_archE4294967295ELNS1_3gpuE0ELNS1_3repE0EEENS1_30default_config_static_selectorELNS0_4arch9wavefront6targetE1EEEvT1_,@function
_ZN7rocprim17ROCPRIM_400000_NS6detail17trampoline_kernelINS0_14default_configENS1_29reduce_by_key_config_selectorIslN6thrust23THRUST_200600_302600_NS4plusIlEEEEZZNS1_33reduce_by_key_impl_wrapped_configILNS1_25lookback_scan_determinismE0ES3_S9_PsNS6_17constant_iteratorIiNS6_11use_defaultESE_EENS6_10device_ptrIsEENSG_IlEEPmS8_NS6_8equal_toIsEEEE10hipError_tPvRmT2_T3_mT4_T5_T6_T7_T8_P12ihipStream_tbENKUlT_T0_E_clISt17integral_constantIbLb0EES13_EEDaSY_SZ_EUlSY_E_NS1_11comp_targetILNS1_3genE0ELNS1_11target_archE4294967295ELNS1_3gpuE0ELNS1_3repE0EEENS1_30default_config_static_selectorELNS0_4arch9wavefront6targetE1EEEvT1_: ; @_ZN7rocprim17ROCPRIM_400000_NS6detail17trampoline_kernelINS0_14default_configENS1_29reduce_by_key_config_selectorIslN6thrust23THRUST_200600_302600_NS4plusIlEEEEZZNS1_33reduce_by_key_impl_wrapped_configILNS1_25lookback_scan_determinismE0ES3_S9_PsNS6_17constant_iteratorIiNS6_11use_defaultESE_EENS6_10device_ptrIsEENSG_IlEEPmS8_NS6_8equal_toIsEEEE10hipError_tPvRmT2_T3_mT4_T5_T6_T7_T8_P12ihipStream_tbENKUlT_T0_E_clISt17integral_constantIbLb0EES13_EEDaSY_SZ_EUlSY_E_NS1_11comp_targetILNS1_3genE0ELNS1_11target_archE4294967295ELNS1_3gpuE0ELNS1_3repE0EEENS1_30default_config_static_selectorELNS0_4arch9wavefront6targetE1EEEvT1_
; %bb.0:
	.section	.rodata,"a",@progbits
	.p2align	6, 0x0
	.amdhsa_kernel _ZN7rocprim17ROCPRIM_400000_NS6detail17trampoline_kernelINS0_14default_configENS1_29reduce_by_key_config_selectorIslN6thrust23THRUST_200600_302600_NS4plusIlEEEEZZNS1_33reduce_by_key_impl_wrapped_configILNS1_25lookback_scan_determinismE0ES3_S9_PsNS6_17constant_iteratorIiNS6_11use_defaultESE_EENS6_10device_ptrIsEENSG_IlEEPmS8_NS6_8equal_toIsEEEE10hipError_tPvRmT2_T3_mT4_T5_T6_T7_T8_P12ihipStream_tbENKUlT_T0_E_clISt17integral_constantIbLb0EES13_EEDaSY_SZ_EUlSY_E_NS1_11comp_targetILNS1_3genE0ELNS1_11target_archE4294967295ELNS1_3gpuE0ELNS1_3repE0EEENS1_30default_config_static_selectorELNS0_4arch9wavefront6targetE1EEEvT1_
		.amdhsa_group_segment_fixed_size 0
		.amdhsa_private_segment_fixed_size 0
		.amdhsa_kernarg_size 144
		.amdhsa_user_sgpr_count 6
		.amdhsa_user_sgpr_private_segment_buffer 1
		.amdhsa_user_sgpr_dispatch_ptr 0
		.amdhsa_user_sgpr_queue_ptr 0
		.amdhsa_user_sgpr_kernarg_segment_ptr 1
		.amdhsa_user_sgpr_dispatch_id 0
		.amdhsa_user_sgpr_flat_scratch_init 0
		.amdhsa_user_sgpr_kernarg_preload_length 0
		.amdhsa_user_sgpr_kernarg_preload_offset 0
		.amdhsa_user_sgpr_private_segment_size 0
		.amdhsa_uses_dynamic_stack 0
		.amdhsa_system_sgpr_private_segment_wavefront_offset 0
		.amdhsa_system_sgpr_workgroup_id_x 1
		.amdhsa_system_sgpr_workgroup_id_y 0
		.amdhsa_system_sgpr_workgroup_id_z 0
		.amdhsa_system_sgpr_workgroup_info 0
		.amdhsa_system_vgpr_workitem_id 0
		.amdhsa_next_free_vgpr 1
		.amdhsa_next_free_sgpr 0
		.amdhsa_accum_offset 4
		.amdhsa_reserve_vcc 0
		.amdhsa_reserve_flat_scratch 0
		.amdhsa_float_round_mode_32 0
		.amdhsa_float_round_mode_16_64 0
		.amdhsa_float_denorm_mode_32 3
		.amdhsa_float_denorm_mode_16_64 3
		.amdhsa_dx10_clamp 1
		.amdhsa_ieee_mode 1
		.amdhsa_fp16_overflow 0
		.amdhsa_tg_split 0
		.amdhsa_exception_fp_ieee_invalid_op 0
		.amdhsa_exception_fp_denorm_src 0
		.amdhsa_exception_fp_ieee_div_zero 0
		.amdhsa_exception_fp_ieee_overflow 0
		.amdhsa_exception_fp_ieee_underflow 0
		.amdhsa_exception_fp_ieee_inexact 0
		.amdhsa_exception_int_div_zero 0
	.end_amdhsa_kernel
	.section	.text._ZN7rocprim17ROCPRIM_400000_NS6detail17trampoline_kernelINS0_14default_configENS1_29reduce_by_key_config_selectorIslN6thrust23THRUST_200600_302600_NS4plusIlEEEEZZNS1_33reduce_by_key_impl_wrapped_configILNS1_25lookback_scan_determinismE0ES3_S9_PsNS6_17constant_iteratorIiNS6_11use_defaultESE_EENS6_10device_ptrIsEENSG_IlEEPmS8_NS6_8equal_toIsEEEE10hipError_tPvRmT2_T3_mT4_T5_T6_T7_T8_P12ihipStream_tbENKUlT_T0_E_clISt17integral_constantIbLb0EES13_EEDaSY_SZ_EUlSY_E_NS1_11comp_targetILNS1_3genE0ELNS1_11target_archE4294967295ELNS1_3gpuE0ELNS1_3repE0EEENS1_30default_config_static_selectorELNS0_4arch9wavefront6targetE1EEEvT1_,"axG",@progbits,_ZN7rocprim17ROCPRIM_400000_NS6detail17trampoline_kernelINS0_14default_configENS1_29reduce_by_key_config_selectorIslN6thrust23THRUST_200600_302600_NS4plusIlEEEEZZNS1_33reduce_by_key_impl_wrapped_configILNS1_25lookback_scan_determinismE0ES3_S9_PsNS6_17constant_iteratorIiNS6_11use_defaultESE_EENS6_10device_ptrIsEENSG_IlEEPmS8_NS6_8equal_toIsEEEE10hipError_tPvRmT2_T3_mT4_T5_T6_T7_T8_P12ihipStream_tbENKUlT_T0_E_clISt17integral_constantIbLb0EES13_EEDaSY_SZ_EUlSY_E_NS1_11comp_targetILNS1_3genE0ELNS1_11target_archE4294967295ELNS1_3gpuE0ELNS1_3repE0EEENS1_30default_config_static_selectorELNS0_4arch9wavefront6targetE1EEEvT1_,comdat
.Lfunc_end1470:
	.size	_ZN7rocprim17ROCPRIM_400000_NS6detail17trampoline_kernelINS0_14default_configENS1_29reduce_by_key_config_selectorIslN6thrust23THRUST_200600_302600_NS4plusIlEEEEZZNS1_33reduce_by_key_impl_wrapped_configILNS1_25lookback_scan_determinismE0ES3_S9_PsNS6_17constant_iteratorIiNS6_11use_defaultESE_EENS6_10device_ptrIsEENSG_IlEEPmS8_NS6_8equal_toIsEEEE10hipError_tPvRmT2_T3_mT4_T5_T6_T7_T8_P12ihipStream_tbENKUlT_T0_E_clISt17integral_constantIbLb0EES13_EEDaSY_SZ_EUlSY_E_NS1_11comp_targetILNS1_3genE0ELNS1_11target_archE4294967295ELNS1_3gpuE0ELNS1_3repE0EEENS1_30default_config_static_selectorELNS0_4arch9wavefront6targetE1EEEvT1_, .Lfunc_end1470-_ZN7rocprim17ROCPRIM_400000_NS6detail17trampoline_kernelINS0_14default_configENS1_29reduce_by_key_config_selectorIslN6thrust23THRUST_200600_302600_NS4plusIlEEEEZZNS1_33reduce_by_key_impl_wrapped_configILNS1_25lookback_scan_determinismE0ES3_S9_PsNS6_17constant_iteratorIiNS6_11use_defaultESE_EENS6_10device_ptrIsEENSG_IlEEPmS8_NS6_8equal_toIsEEEE10hipError_tPvRmT2_T3_mT4_T5_T6_T7_T8_P12ihipStream_tbENKUlT_T0_E_clISt17integral_constantIbLb0EES13_EEDaSY_SZ_EUlSY_E_NS1_11comp_targetILNS1_3genE0ELNS1_11target_archE4294967295ELNS1_3gpuE0ELNS1_3repE0EEENS1_30default_config_static_selectorELNS0_4arch9wavefront6targetE1EEEvT1_
                                        ; -- End function
	.section	.AMDGPU.csdata,"",@progbits
; Kernel info:
; codeLenInByte = 0
; NumSgprs: 4
; NumVgprs: 0
; NumAgprs: 0
; TotalNumVgprs: 0
; ScratchSize: 0
; MemoryBound: 0
; FloatMode: 240
; IeeeMode: 1
; LDSByteSize: 0 bytes/workgroup (compile time only)
; SGPRBlocks: 0
; VGPRBlocks: 0
; NumSGPRsForWavesPerEU: 4
; NumVGPRsForWavesPerEU: 1
; AccumOffset: 4
; Occupancy: 8
; WaveLimiterHint : 0
; COMPUTE_PGM_RSRC2:SCRATCH_EN: 0
; COMPUTE_PGM_RSRC2:USER_SGPR: 6
; COMPUTE_PGM_RSRC2:TRAP_HANDLER: 0
; COMPUTE_PGM_RSRC2:TGID_X_EN: 1
; COMPUTE_PGM_RSRC2:TGID_Y_EN: 0
; COMPUTE_PGM_RSRC2:TGID_Z_EN: 0
; COMPUTE_PGM_RSRC2:TIDIG_COMP_CNT: 0
; COMPUTE_PGM_RSRC3_GFX90A:ACCUM_OFFSET: 0
; COMPUTE_PGM_RSRC3_GFX90A:TG_SPLIT: 0
	.section	.text._ZN7rocprim17ROCPRIM_400000_NS6detail17trampoline_kernelINS0_14default_configENS1_29reduce_by_key_config_selectorIslN6thrust23THRUST_200600_302600_NS4plusIlEEEEZZNS1_33reduce_by_key_impl_wrapped_configILNS1_25lookback_scan_determinismE0ES3_S9_PsNS6_17constant_iteratorIiNS6_11use_defaultESE_EENS6_10device_ptrIsEENSG_IlEEPmS8_NS6_8equal_toIsEEEE10hipError_tPvRmT2_T3_mT4_T5_T6_T7_T8_P12ihipStream_tbENKUlT_T0_E_clISt17integral_constantIbLb0EES13_EEDaSY_SZ_EUlSY_E_NS1_11comp_targetILNS1_3genE5ELNS1_11target_archE942ELNS1_3gpuE9ELNS1_3repE0EEENS1_30default_config_static_selectorELNS0_4arch9wavefront6targetE1EEEvT1_,"axG",@progbits,_ZN7rocprim17ROCPRIM_400000_NS6detail17trampoline_kernelINS0_14default_configENS1_29reduce_by_key_config_selectorIslN6thrust23THRUST_200600_302600_NS4plusIlEEEEZZNS1_33reduce_by_key_impl_wrapped_configILNS1_25lookback_scan_determinismE0ES3_S9_PsNS6_17constant_iteratorIiNS6_11use_defaultESE_EENS6_10device_ptrIsEENSG_IlEEPmS8_NS6_8equal_toIsEEEE10hipError_tPvRmT2_T3_mT4_T5_T6_T7_T8_P12ihipStream_tbENKUlT_T0_E_clISt17integral_constantIbLb0EES13_EEDaSY_SZ_EUlSY_E_NS1_11comp_targetILNS1_3genE5ELNS1_11target_archE942ELNS1_3gpuE9ELNS1_3repE0EEENS1_30default_config_static_selectorELNS0_4arch9wavefront6targetE1EEEvT1_,comdat
	.protected	_ZN7rocprim17ROCPRIM_400000_NS6detail17trampoline_kernelINS0_14default_configENS1_29reduce_by_key_config_selectorIslN6thrust23THRUST_200600_302600_NS4plusIlEEEEZZNS1_33reduce_by_key_impl_wrapped_configILNS1_25lookback_scan_determinismE0ES3_S9_PsNS6_17constant_iteratorIiNS6_11use_defaultESE_EENS6_10device_ptrIsEENSG_IlEEPmS8_NS6_8equal_toIsEEEE10hipError_tPvRmT2_T3_mT4_T5_T6_T7_T8_P12ihipStream_tbENKUlT_T0_E_clISt17integral_constantIbLb0EES13_EEDaSY_SZ_EUlSY_E_NS1_11comp_targetILNS1_3genE5ELNS1_11target_archE942ELNS1_3gpuE9ELNS1_3repE0EEENS1_30default_config_static_selectorELNS0_4arch9wavefront6targetE1EEEvT1_ ; -- Begin function _ZN7rocprim17ROCPRIM_400000_NS6detail17trampoline_kernelINS0_14default_configENS1_29reduce_by_key_config_selectorIslN6thrust23THRUST_200600_302600_NS4plusIlEEEEZZNS1_33reduce_by_key_impl_wrapped_configILNS1_25lookback_scan_determinismE0ES3_S9_PsNS6_17constant_iteratorIiNS6_11use_defaultESE_EENS6_10device_ptrIsEENSG_IlEEPmS8_NS6_8equal_toIsEEEE10hipError_tPvRmT2_T3_mT4_T5_T6_T7_T8_P12ihipStream_tbENKUlT_T0_E_clISt17integral_constantIbLb0EES13_EEDaSY_SZ_EUlSY_E_NS1_11comp_targetILNS1_3genE5ELNS1_11target_archE942ELNS1_3gpuE9ELNS1_3repE0EEENS1_30default_config_static_selectorELNS0_4arch9wavefront6targetE1EEEvT1_
	.globl	_ZN7rocprim17ROCPRIM_400000_NS6detail17trampoline_kernelINS0_14default_configENS1_29reduce_by_key_config_selectorIslN6thrust23THRUST_200600_302600_NS4plusIlEEEEZZNS1_33reduce_by_key_impl_wrapped_configILNS1_25lookback_scan_determinismE0ES3_S9_PsNS6_17constant_iteratorIiNS6_11use_defaultESE_EENS6_10device_ptrIsEENSG_IlEEPmS8_NS6_8equal_toIsEEEE10hipError_tPvRmT2_T3_mT4_T5_T6_T7_T8_P12ihipStream_tbENKUlT_T0_E_clISt17integral_constantIbLb0EES13_EEDaSY_SZ_EUlSY_E_NS1_11comp_targetILNS1_3genE5ELNS1_11target_archE942ELNS1_3gpuE9ELNS1_3repE0EEENS1_30default_config_static_selectorELNS0_4arch9wavefront6targetE1EEEvT1_
	.p2align	8
	.type	_ZN7rocprim17ROCPRIM_400000_NS6detail17trampoline_kernelINS0_14default_configENS1_29reduce_by_key_config_selectorIslN6thrust23THRUST_200600_302600_NS4plusIlEEEEZZNS1_33reduce_by_key_impl_wrapped_configILNS1_25lookback_scan_determinismE0ES3_S9_PsNS6_17constant_iteratorIiNS6_11use_defaultESE_EENS6_10device_ptrIsEENSG_IlEEPmS8_NS6_8equal_toIsEEEE10hipError_tPvRmT2_T3_mT4_T5_T6_T7_T8_P12ihipStream_tbENKUlT_T0_E_clISt17integral_constantIbLb0EES13_EEDaSY_SZ_EUlSY_E_NS1_11comp_targetILNS1_3genE5ELNS1_11target_archE942ELNS1_3gpuE9ELNS1_3repE0EEENS1_30default_config_static_selectorELNS0_4arch9wavefront6targetE1EEEvT1_,@function
_ZN7rocprim17ROCPRIM_400000_NS6detail17trampoline_kernelINS0_14default_configENS1_29reduce_by_key_config_selectorIslN6thrust23THRUST_200600_302600_NS4plusIlEEEEZZNS1_33reduce_by_key_impl_wrapped_configILNS1_25lookback_scan_determinismE0ES3_S9_PsNS6_17constant_iteratorIiNS6_11use_defaultESE_EENS6_10device_ptrIsEENSG_IlEEPmS8_NS6_8equal_toIsEEEE10hipError_tPvRmT2_T3_mT4_T5_T6_T7_T8_P12ihipStream_tbENKUlT_T0_E_clISt17integral_constantIbLb0EES13_EEDaSY_SZ_EUlSY_E_NS1_11comp_targetILNS1_3genE5ELNS1_11target_archE942ELNS1_3gpuE9ELNS1_3repE0EEENS1_30default_config_static_selectorELNS0_4arch9wavefront6targetE1EEEvT1_: ; @_ZN7rocprim17ROCPRIM_400000_NS6detail17trampoline_kernelINS0_14default_configENS1_29reduce_by_key_config_selectorIslN6thrust23THRUST_200600_302600_NS4plusIlEEEEZZNS1_33reduce_by_key_impl_wrapped_configILNS1_25lookback_scan_determinismE0ES3_S9_PsNS6_17constant_iteratorIiNS6_11use_defaultESE_EENS6_10device_ptrIsEENSG_IlEEPmS8_NS6_8equal_toIsEEEE10hipError_tPvRmT2_T3_mT4_T5_T6_T7_T8_P12ihipStream_tbENKUlT_T0_E_clISt17integral_constantIbLb0EES13_EEDaSY_SZ_EUlSY_E_NS1_11comp_targetILNS1_3genE5ELNS1_11target_archE942ELNS1_3gpuE9ELNS1_3repE0EEENS1_30default_config_static_selectorELNS0_4arch9wavefront6targetE1EEEvT1_
; %bb.0:
	.section	.rodata,"a",@progbits
	.p2align	6, 0x0
	.amdhsa_kernel _ZN7rocprim17ROCPRIM_400000_NS6detail17trampoline_kernelINS0_14default_configENS1_29reduce_by_key_config_selectorIslN6thrust23THRUST_200600_302600_NS4plusIlEEEEZZNS1_33reduce_by_key_impl_wrapped_configILNS1_25lookback_scan_determinismE0ES3_S9_PsNS6_17constant_iteratorIiNS6_11use_defaultESE_EENS6_10device_ptrIsEENSG_IlEEPmS8_NS6_8equal_toIsEEEE10hipError_tPvRmT2_T3_mT4_T5_T6_T7_T8_P12ihipStream_tbENKUlT_T0_E_clISt17integral_constantIbLb0EES13_EEDaSY_SZ_EUlSY_E_NS1_11comp_targetILNS1_3genE5ELNS1_11target_archE942ELNS1_3gpuE9ELNS1_3repE0EEENS1_30default_config_static_selectorELNS0_4arch9wavefront6targetE1EEEvT1_
		.amdhsa_group_segment_fixed_size 0
		.amdhsa_private_segment_fixed_size 0
		.amdhsa_kernarg_size 144
		.amdhsa_user_sgpr_count 6
		.amdhsa_user_sgpr_private_segment_buffer 1
		.amdhsa_user_sgpr_dispatch_ptr 0
		.amdhsa_user_sgpr_queue_ptr 0
		.amdhsa_user_sgpr_kernarg_segment_ptr 1
		.amdhsa_user_sgpr_dispatch_id 0
		.amdhsa_user_sgpr_flat_scratch_init 0
		.amdhsa_user_sgpr_kernarg_preload_length 0
		.amdhsa_user_sgpr_kernarg_preload_offset 0
		.amdhsa_user_sgpr_private_segment_size 0
		.amdhsa_uses_dynamic_stack 0
		.amdhsa_system_sgpr_private_segment_wavefront_offset 0
		.amdhsa_system_sgpr_workgroup_id_x 1
		.amdhsa_system_sgpr_workgroup_id_y 0
		.amdhsa_system_sgpr_workgroup_id_z 0
		.amdhsa_system_sgpr_workgroup_info 0
		.amdhsa_system_vgpr_workitem_id 0
		.amdhsa_next_free_vgpr 1
		.amdhsa_next_free_sgpr 0
		.amdhsa_accum_offset 4
		.amdhsa_reserve_vcc 0
		.amdhsa_reserve_flat_scratch 0
		.amdhsa_float_round_mode_32 0
		.amdhsa_float_round_mode_16_64 0
		.amdhsa_float_denorm_mode_32 3
		.amdhsa_float_denorm_mode_16_64 3
		.amdhsa_dx10_clamp 1
		.amdhsa_ieee_mode 1
		.amdhsa_fp16_overflow 0
		.amdhsa_tg_split 0
		.amdhsa_exception_fp_ieee_invalid_op 0
		.amdhsa_exception_fp_denorm_src 0
		.amdhsa_exception_fp_ieee_div_zero 0
		.amdhsa_exception_fp_ieee_overflow 0
		.amdhsa_exception_fp_ieee_underflow 0
		.amdhsa_exception_fp_ieee_inexact 0
		.amdhsa_exception_int_div_zero 0
	.end_amdhsa_kernel
	.section	.text._ZN7rocprim17ROCPRIM_400000_NS6detail17trampoline_kernelINS0_14default_configENS1_29reduce_by_key_config_selectorIslN6thrust23THRUST_200600_302600_NS4plusIlEEEEZZNS1_33reduce_by_key_impl_wrapped_configILNS1_25lookback_scan_determinismE0ES3_S9_PsNS6_17constant_iteratorIiNS6_11use_defaultESE_EENS6_10device_ptrIsEENSG_IlEEPmS8_NS6_8equal_toIsEEEE10hipError_tPvRmT2_T3_mT4_T5_T6_T7_T8_P12ihipStream_tbENKUlT_T0_E_clISt17integral_constantIbLb0EES13_EEDaSY_SZ_EUlSY_E_NS1_11comp_targetILNS1_3genE5ELNS1_11target_archE942ELNS1_3gpuE9ELNS1_3repE0EEENS1_30default_config_static_selectorELNS0_4arch9wavefront6targetE1EEEvT1_,"axG",@progbits,_ZN7rocprim17ROCPRIM_400000_NS6detail17trampoline_kernelINS0_14default_configENS1_29reduce_by_key_config_selectorIslN6thrust23THRUST_200600_302600_NS4plusIlEEEEZZNS1_33reduce_by_key_impl_wrapped_configILNS1_25lookback_scan_determinismE0ES3_S9_PsNS6_17constant_iteratorIiNS6_11use_defaultESE_EENS6_10device_ptrIsEENSG_IlEEPmS8_NS6_8equal_toIsEEEE10hipError_tPvRmT2_T3_mT4_T5_T6_T7_T8_P12ihipStream_tbENKUlT_T0_E_clISt17integral_constantIbLb0EES13_EEDaSY_SZ_EUlSY_E_NS1_11comp_targetILNS1_3genE5ELNS1_11target_archE942ELNS1_3gpuE9ELNS1_3repE0EEENS1_30default_config_static_selectorELNS0_4arch9wavefront6targetE1EEEvT1_,comdat
.Lfunc_end1471:
	.size	_ZN7rocprim17ROCPRIM_400000_NS6detail17trampoline_kernelINS0_14default_configENS1_29reduce_by_key_config_selectorIslN6thrust23THRUST_200600_302600_NS4plusIlEEEEZZNS1_33reduce_by_key_impl_wrapped_configILNS1_25lookback_scan_determinismE0ES3_S9_PsNS6_17constant_iteratorIiNS6_11use_defaultESE_EENS6_10device_ptrIsEENSG_IlEEPmS8_NS6_8equal_toIsEEEE10hipError_tPvRmT2_T3_mT4_T5_T6_T7_T8_P12ihipStream_tbENKUlT_T0_E_clISt17integral_constantIbLb0EES13_EEDaSY_SZ_EUlSY_E_NS1_11comp_targetILNS1_3genE5ELNS1_11target_archE942ELNS1_3gpuE9ELNS1_3repE0EEENS1_30default_config_static_selectorELNS0_4arch9wavefront6targetE1EEEvT1_, .Lfunc_end1471-_ZN7rocprim17ROCPRIM_400000_NS6detail17trampoline_kernelINS0_14default_configENS1_29reduce_by_key_config_selectorIslN6thrust23THRUST_200600_302600_NS4plusIlEEEEZZNS1_33reduce_by_key_impl_wrapped_configILNS1_25lookback_scan_determinismE0ES3_S9_PsNS6_17constant_iteratorIiNS6_11use_defaultESE_EENS6_10device_ptrIsEENSG_IlEEPmS8_NS6_8equal_toIsEEEE10hipError_tPvRmT2_T3_mT4_T5_T6_T7_T8_P12ihipStream_tbENKUlT_T0_E_clISt17integral_constantIbLb0EES13_EEDaSY_SZ_EUlSY_E_NS1_11comp_targetILNS1_3genE5ELNS1_11target_archE942ELNS1_3gpuE9ELNS1_3repE0EEENS1_30default_config_static_selectorELNS0_4arch9wavefront6targetE1EEEvT1_
                                        ; -- End function
	.section	.AMDGPU.csdata,"",@progbits
; Kernel info:
; codeLenInByte = 0
; NumSgprs: 4
; NumVgprs: 0
; NumAgprs: 0
; TotalNumVgprs: 0
; ScratchSize: 0
; MemoryBound: 0
; FloatMode: 240
; IeeeMode: 1
; LDSByteSize: 0 bytes/workgroup (compile time only)
; SGPRBlocks: 0
; VGPRBlocks: 0
; NumSGPRsForWavesPerEU: 4
; NumVGPRsForWavesPerEU: 1
; AccumOffset: 4
; Occupancy: 8
; WaveLimiterHint : 0
; COMPUTE_PGM_RSRC2:SCRATCH_EN: 0
; COMPUTE_PGM_RSRC2:USER_SGPR: 6
; COMPUTE_PGM_RSRC2:TRAP_HANDLER: 0
; COMPUTE_PGM_RSRC2:TGID_X_EN: 1
; COMPUTE_PGM_RSRC2:TGID_Y_EN: 0
; COMPUTE_PGM_RSRC2:TGID_Z_EN: 0
; COMPUTE_PGM_RSRC2:TIDIG_COMP_CNT: 0
; COMPUTE_PGM_RSRC3_GFX90A:ACCUM_OFFSET: 0
; COMPUTE_PGM_RSRC3_GFX90A:TG_SPLIT: 0
	.section	.text._ZN7rocprim17ROCPRIM_400000_NS6detail17trampoline_kernelINS0_14default_configENS1_29reduce_by_key_config_selectorIslN6thrust23THRUST_200600_302600_NS4plusIlEEEEZZNS1_33reduce_by_key_impl_wrapped_configILNS1_25lookback_scan_determinismE0ES3_S9_PsNS6_17constant_iteratorIiNS6_11use_defaultESE_EENS6_10device_ptrIsEENSG_IlEEPmS8_NS6_8equal_toIsEEEE10hipError_tPvRmT2_T3_mT4_T5_T6_T7_T8_P12ihipStream_tbENKUlT_T0_E_clISt17integral_constantIbLb0EES13_EEDaSY_SZ_EUlSY_E_NS1_11comp_targetILNS1_3genE4ELNS1_11target_archE910ELNS1_3gpuE8ELNS1_3repE0EEENS1_30default_config_static_selectorELNS0_4arch9wavefront6targetE1EEEvT1_,"axG",@progbits,_ZN7rocprim17ROCPRIM_400000_NS6detail17trampoline_kernelINS0_14default_configENS1_29reduce_by_key_config_selectorIslN6thrust23THRUST_200600_302600_NS4plusIlEEEEZZNS1_33reduce_by_key_impl_wrapped_configILNS1_25lookback_scan_determinismE0ES3_S9_PsNS6_17constant_iteratorIiNS6_11use_defaultESE_EENS6_10device_ptrIsEENSG_IlEEPmS8_NS6_8equal_toIsEEEE10hipError_tPvRmT2_T3_mT4_T5_T6_T7_T8_P12ihipStream_tbENKUlT_T0_E_clISt17integral_constantIbLb0EES13_EEDaSY_SZ_EUlSY_E_NS1_11comp_targetILNS1_3genE4ELNS1_11target_archE910ELNS1_3gpuE8ELNS1_3repE0EEENS1_30default_config_static_selectorELNS0_4arch9wavefront6targetE1EEEvT1_,comdat
	.protected	_ZN7rocprim17ROCPRIM_400000_NS6detail17trampoline_kernelINS0_14default_configENS1_29reduce_by_key_config_selectorIslN6thrust23THRUST_200600_302600_NS4plusIlEEEEZZNS1_33reduce_by_key_impl_wrapped_configILNS1_25lookback_scan_determinismE0ES3_S9_PsNS6_17constant_iteratorIiNS6_11use_defaultESE_EENS6_10device_ptrIsEENSG_IlEEPmS8_NS6_8equal_toIsEEEE10hipError_tPvRmT2_T3_mT4_T5_T6_T7_T8_P12ihipStream_tbENKUlT_T0_E_clISt17integral_constantIbLb0EES13_EEDaSY_SZ_EUlSY_E_NS1_11comp_targetILNS1_3genE4ELNS1_11target_archE910ELNS1_3gpuE8ELNS1_3repE0EEENS1_30default_config_static_selectorELNS0_4arch9wavefront6targetE1EEEvT1_ ; -- Begin function _ZN7rocprim17ROCPRIM_400000_NS6detail17trampoline_kernelINS0_14default_configENS1_29reduce_by_key_config_selectorIslN6thrust23THRUST_200600_302600_NS4plusIlEEEEZZNS1_33reduce_by_key_impl_wrapped_configILNS1_25lookback_scan_determinismE0ES3_S9_PsNS6_17constant_iteratorIiNS6_11use_defaultESE_EENS6_10device_ptrIsEENSG_IlEEPmS8_NS6_8equal_toIsEEEE10hipError_tPvRmT2_T3_mT4_T5_T6_T7_T8_P12ihipStream_tbENKUlT_T0_E_clISt17integral_constantIbLb0EES13_EEDaSY_SZ_EUlSY_E_NS1_11comp_targetILNS1_3genE4ELNS1_11target_archE910ELNS1_3gpuE8ELNS1_3repE0EEENS1_30default_config_static_selectorELNS0_4arch9wavefront6targetE1EEEvT1_
	.globl	_ZN7rocprim17ROCPRIM_400000_NS6detail17trampoline_kernelINS0_14default_configENS1_29reduce_by_key_config_selectorIslN6thrust23THRUST_200600_302600_NS4plusIlEEEEZZNS1_33reduce_by_key_impl_wrapped_configILNS1_25lookback_scan_determinismE0ES3_S9_PsNS6_17constant_iteratorIiNS6_11use_defaultESE_EENS6_10device_ptrIsEENSG_IlEEPmS8_NS6_8equal_toIsEEEE10hipError_tPvRmT2_T3_mT4_T5_T6_T7_T8_P12ihipStream_tbENKUlT_T0_E_clISt17integral_constantIbLb0EES13_EEDaSY_SZ_EUlSY_E_NS1_11comp_targetILNS1_3genE4ELNS1_11target_archE910ELNS1_3gpuE8ELNS1_3repE0EEENS1_30default_config_static_selectorELNS0_4arch9wavefront6targetE1EEEvT1_
	.p2align	8
	.type	_ZN7rocprim17ROCPRIM_400000_NS6detail17trampoline_kernelINS0_14default_configENS1_29reduce_by_key_config_selectorIslN6thrust23THRUST_200600_302600_NS4plusIlEEEEZZNS1_33reduce_by_key_impl_wrapped_configILNS1_25lookback_scan_determinismE0ES3_S9_PsNS6_17constant_iteratorIiNS6_11use_defaultESE_EENS6_10device_ptrIsEENSG_IlEEPmS8_NS6_8equal_toIsEEEE10hipError_tPvRmT2_T3_mT4_T5_T6_T7_T8_P12ihipStream_tbENKUlT_T0_E_clISt17integral_constantIbLb0EES13_EEDaSY_SZ_EUlSY_E_NS1_11comp_targetILNS1_3genE4ELNS1_11target_archE910ELNS1_3gpuE8ELNS1_3repE0EEENS1_30default_config_static_selectorELNS0_4arch9wavefront6targetE1EEEvT1_,@function
_ZN7rocprim17ROCPRIM_400000_NS6detail17trampoline_kernelINS0_14default_configENS1_29reduce_by_key_config_selectorIslN6thrust23THRUST_200600_302600_NS4plusIlEEEEZZNS1_33reduce_by_key_impl_wrapped_configILNS1_25lookback_scan_determinismE0ES3_S9_PsNS6_17constant_iteratorIiNS6_11use_defaultESE_EENS6_10device_ptrIsEENSG_IlEEPmS8_NS6_8equal_toIsEEEE10hipError_tPvRmT2_T3_mT4_T5_T6_T7_T8_P12ihipStream_tbENKUlT_T0_E_clISt17integral_constantIbLb0EES13_EEDaSY_SZ_EUlSY_E_NS1_11comp_targetILNS1_3genE4ELNS1_11target_archE910ELNS1_3gpuE8ELNS1_3repE0EEENS1_30default_config_static_selectorELNS0_4arch9wavefront6targetE1EEEvT1_: ; @_ZN7rocprim17ROCPRIM_400000_NS6detail17trampoline_kernelINS0_14default_configENS1_29reduce_by_key_config_selectorIslN6thrust23THRUST_200600_302600_NS4plusIlEEEEZZNS1_33reduce_by_key_impl_wrapped_configILNS1_25lookback_scan_determinismE0ES3_S9_PsNS6_17constant_iteratorIiNS6_11use_defaultESE_EENS6_10device_ptrIsEENSG_IlEEPmS8_NS6_8equal_toIsEEEE10hipError_tPvRmT2_T3_mT4_T5_T6_T7_T8_P12ihipStream_tbENKUlT_T0_E_clISt17integral_constantIbLb0EES13_EEDaSY_SZ_EUlSY_E_NS1_11comp_targetILNS1_3genE4ELNS1_11target_archE910ELNS1_3gpuE8ELNS1_3repE0EEENS1_30default_config_static_selectorELNS0_4arch9wavefront6targetE1EEEvT1_
; %bb.0:
	s_load_dwordx16 s[36:51], s[4:5], 0x40
	s_load_dwordx4 s[8:11], s[4:5], 0x0
	s_load_dword s2, s[4:5], 0x18
	s_load_dwordx4 s[52:55], s[4:5], 0x20
	s_load_dwordx2 s[34:35], s[4:5], 0x30
	s_waitcnt lgkmcnt(0)
	s_mul_i32 s0, s44, s43
	s_mul_hi_u32 s1, s44, s42
	s_add_i32 s0, s1, s0
	s_mul_i32 s1, s45, s42
	s_add_i32 s3, s0, s1
	s_lshl_b64 s[0:1], s[10:11], 1
	s_add_u32 s8, s8, s0
	s_addc_u32 s9, s9, s1
	s_mul_i32 s0, s6, 0xf00
	s_mov_b32 s1, 0
	s_lshl_b64 s[0:1], s[0:1], 1
	s_add_u32 s8, s8, s0
	s_mul_i32 s7, s44, s42
	s_addc_u32 s9, s9, s1
	s_add_u32 s10, s7, s6
	s_addc_u32 s11, s3, 0
	s_add_u32 s14, s46, -1
	s_addc_u32 s15, s47, -1
	s_cmp_eq_u64 s[10:11], s[14:15]
	s_cselect_b64 s[44:45], -1, 0
	s_cmp_lg_u64 s[10:11], s[14:15]
	s_mov_b64 s[12:13], -1
	s_cselect_b64 s[0:1], -1, 0
	s_mul_i32 s33, s14, 0xfffff100
	s_and_b64 vcc, exec, s[44:45]
	v_mad_u32_u24 v40, v0, 15, 1
	v_mad_u32_u24 v42, v0, 15, 3
	;; [unrolled: 1-line block ×7, first 2 shown]
	s_cbranch_vccnz .LBB1472_2
; %bb.1:
	v_lshlrev_b32_e32 v1, 1, v0
	v_mov_b32_e32 v2, s9
	v_add_co_u32_e32 v3, vcc, s8, v1
	v_addc_co_u32_e32 v4, vcc, 0, v2, vcc
	v_add_co_u32_e32 v2, vcc, 0x1000, v3
	v_addc_co_u32_e32 v3, vcc, 0, v4, vcc
	global_load_ushort v5, v1, s[8:9]
	global_load_ushort v13, v1, s[8:9] offset:512
	global_load_ushort v16, v1, s[8:9] offset:1024
	;; [unrolled: 1-line block ×7, first 2 shown]
	global_load_ushort v4, v[2:3], off
	global_load_ushort v22, v[2:3], off offset:512
	global_load_ushort v23, v[2:3], off offset:1024
	;; [unrolled: 1-line block ×6, first 2 shown]
	v_mad_u32_u24 v29, v0, 28, v1
	s_ashr_i32 s3, s2, 31
	s_movk_i32 s7, 0xffea
	v_mul_u32_u24_e32 v6, 15, v0
	v_mad_u32_u24 v11, v0, 15, 1
	v_mad_u32_u24 v12, v0, 15, 3
	;; [unrolled: 1-line block ×7, first 2 shown]
	v_pk_mov_b32 v[14:15], s[2:3], s[2:3] op_sel:[0,1]
	v_mad_i32_i24 v30, v0, s7, v29
	s_waitcnt vmcnt(14)
	ds_write_b16 v1, v5
	s_waitcnt vmcnt(13)
	ds_write_b16 v1, v13 offset:512
	s_waitcnt vmcnt(12)
	ds_write_b16 v1, v16 offset:1024
	;; [unrolled: 2-line block ×14, first 2 shown]
	s_waitcnt lgkmcnt(0)
	s_barrier
	ds_read_u16 v1, v29
	ds_read_b128 v[2:5], v29 offset:2
	ds_read_b96 v[22:24], v29 offset:18
	s_waitcnt lgkmcnt(0)
	s_barrier
	ds_write2st64_b64 v30, v[14:15], v[14:15] offset1:4
	ds_write2st64_b64 v30, v[14:15], v[14:15] offset0:8 offset1:12
	ds_write2st64_b64 v30, v[14:15], v[14:15] offset0:16 offset1:20
	;; [unrolled: 1-line block ×6, first 2 shown]
	ds_write_b64 v30, v[14:15] offset:28672
	s_waitcnt lgkmcnt(0)
	s_barrier
	s_load_dwordx2 s[30:31], s[4:5], 0x80
	s_add_i32 s33, s33, s48
	s_cbranch_execz .LBB1472_3
	s_branch .LBB1472_34
.LBB1472_2:
                                        ; implicit-def: $vgpr2
                                        ; implicit-def: $vgpr22
                                        ; implicit-def: $vgpr25
                                        ; implicit-def: $vgpr7
                                        ; implicit-def: $vgpr8
                                        ; implicit-def: $vgpr9
                                        ; implicit-def: $vgpr10
                                        ; implicit-def: $vgpr12
                                        ; implicit-def: $vgpr11
                                        ; implicit-def: $vgpr6
                                        ; implicit-def: $vgpr1
	s_load_dwordx2 s[30:31], s[4:5], 0x80
	s_andn2_b64 vcc, exec, s[12:13]
	s_add_i32 s33, s33, s48
	s_cbranch_vccnz .LBB1472_34
.LBB1472_3:
	v_cmp_gt_u32_e32 vcc, s33, v0
                                        ; implicit-def: $vgpr1
	s_and_saveexec_b64 s[4:5], vcc
	s_cbranch_execz .LBB1472_5
; %bb.4:
	v_lshlrev_b32_e32 v1, 1, v0
	global_load_ushort v1, v1, s[8:9]
.LBB1472_5:
	s_or_b64 exec, exec, s[4:5]
	v_or_b32_e32 v2, 0x100, v0
	v_cmp_gt_u32_e32 vcc, s33, v2
                                        ; implicit-def: $vgpr2
	s_and_saveexec_b64 s[4:5], vcc
	s_cbranch_execz .LBB1472_7
; %bb.6:
	v_lshlrev_b32_e32 v2, 1, v0
	global_load_ushort v2, v2, s[8:9] offset:512
.LBB1472_7:
	s_or_b64 exec, exec, s[4:5]
	v_or_b32_e32 v3, 0x200, v0
	v_cmp_gt_u32_e32 vcc, s33, v3
                                        ; implicit-def: $vgpr3
	s_and_saveexec_b64 s[4:5], vcc
	s_cbranch_execz .LBB1472_9
; %bb.8:
	v_lshlrev_b32_e32 v3, 1, v0
	global_load_ushort v3, v3, s[8:9] offset:1024
.LBB1472_9:
	s_or_b64 exec, exec, s[4:5]
	v_or_b32_e32 v4, 0x300, v0
	v_cmp_gt_u32_e32 vcc, s33, v4
                                        ; implicit-def: $vgpr4
	s_and_saveexec_b64 s[4:5], vcc
	s_cbranch_execz .LBB1472_11
; %bb.10:
	v_lshlrev_b32_e32 v4, 1, v0
	global_load_ushort v4, v4, s[8:9] offset:1536
.LBB1472_11:
	s_or_b64 exec, exec, s[4:5]
	v_or_b32_e32 v5, 0x400, v0
	v_cmp_gt_u32_e32 vcc, s33, v5
                                        ; implicit-def: $vgpr5
	s_and_saveexec_b64 s[4:5], vcc
	s_cbranch_execz .LBB1472_13
; %bb.12:
	v_lshlrev_b32_e32 v5, 1, v0
	global_load_ushort v5, v5, s[8:9] offset:2048
.LBB1472_13:
	s_or_b64 exec, exec, s[4:5]
	v_or_b32_e32 v6, 0x500, v0
	v_cmp_gt_u32_e32 vcc, s33, v6
                                        ; implicit-def: $vgpr6
	s_and_saveexec_b64 s[4:5], vcc
	s_cbranch_execz .LBB1472_15
; %bb.14:
	v_lshlrev_b32_e32 v6, 1, v0
	global_load_ushort v6, v6, s[8:9] offset:2560
.LBB1472_15:
	s_or_b64 exec, exec, s[4:5]
	v_or_b32_e32 v7, 0x600, v0
	v_cmp_gt_u32_e32 vcc, s33, v7
                                        ; implicit-def: $vgpr7
	s_and_saveexec_b64 s[4:5], vcc
	s_cbranch_execz .LBB1472_17
; %bb.16:
	v_lshlrev_b32_e32 v7, 1, v0
	global_load_ushort v7, v7, s[8:9] offset:3072
.LBB1472_17:
	s_or_b64 exec, exec, s[4:5]
	v_or_b32_e32 v8, 0x700, v0
	v_cmp_gt_u32_e32 vcc, s33, v8
                                        ; implicit-def: $vgpr8
	s_and_saveexec_b64 s[4:5], vcc
	s_cbranch_execz .LBB1472_19
; %bb.18:
	v_lshlrev_b32_e32 v8, 1, v0
	global_load_ushort v8, v8, s[8:9] offset:3584
.LBB1472_19:
	s_or_b64 exec, exec, s[4:5]
	v_or_b32_e32 v10, 0x800, v0
	v_cmp_gt_u32_e32 vcc, s33, v10
                                        ; implicit-def: $vgpr9
	s_and_saveexec_b64 s[4:5], vcc
	s_cbranch_execz .LBB1472_21
; %bb.20:
	v_lshlrev_b32_e32 v9, 1, v10
	global_load_ushort v9, v9, s[8:9]
.LBB1472_21:
	s_or_b64 exec, exec, s[4:5]
	v_or_b32_e32 v11, 0x900, v0
	v_cmp_gt_u32_e32 vcc, s33, v11
                                        ; implicit-def: $vgpr10
	s_and_saveexec_b64 s[4:5], vcc
	s_cbranch_execz .LBB1472_23
; %bb.22:
	v_lshlrev_b32_e32 v10, 1, v11
	global_load_ushort v10, v10, s[8:9]
.LBB1472_23:
	s_or_b64 exec, exec, s[4:5]
	v_or_b32_e32 v12, 0xa00, v0
	v_cmp_gt_u32_e32 vcc, s33, v12
                                        ; implicit-def: $vgpr11
	s_and_saveexec_b64 s[4:5], vcc
	s_cbranch_execz .LBB1472_25
; %bb.24:
	v_lshlrev_b32_e32 v11, 1, v12
	global_load_ushort v11, v11, s[8:9]
.LBB1472_25:
	s_or_b64 exec, exec, s[4:5]
	v_or_b32_e32 v13, 0xb00, v0
	v_cmp_gt_u32_e32 vcc, s33, v13
                                        ; implicit-def: $vgpr12
	s_and_saveexec_b64 s[4:5], vcc
	s_cbranch_execz .LBB1472_27
; %bb.26:
	v_lshlrev_b32_e32 v12, 1, v13
	global_load_ushort v12, v12, s[8:9]
.LBB1472_27:
	s_or_b64 exec, exec, s[4:5]
	v_or_b32_e32 v14, 0xc00, v0
	v_cmp_gt_u32_e32 vcc, s33, v14
                                        ; implicit-def: $vgpr13
	s_and_saveexec_b64 s[4:5], vcc
	s_cbranch_execz .LBB1472_29
; %bb.28:
	v_lshlrev_b32_e32 v13, 1, v14
	global_load_ushort v13, v13, s[8:9]
.LBB1472_29:
	s_or_b64 exec, exec, s[4:5]
	v_or_b32_e32 v15, 0xd00, v0
	v_cmp_gt_u32_e32 vcc, s33, v15
                                        ; implicit-def: $vgpr14
	s_and_saveexec_b64 s[4:5], vcc
	s_cbranch_execz .LBB1472_31
; %bb.30:
	v_lshlrev_b32_e32 v14, 1, v15
	global_load_ushort v14, v14, s[8:9]
.LBB1472_31:
	s_or_b64 exec, exec, s[4:5]
	v_or_b32_e32 v16, 0xe00, v0
	v_cmp_gt_u32_e32 vcc, s33, v16
                                        ; implicit-def: $vgpr15
	s_and_saveexec_b64 s[4:5], vcc
	s_cbranch_execz .LBB1472_33
; %bb.32:
	v_lshlrev_b32_e32 v15, 1, v16
	global_load_ushort v15, v15, s[8:9]
.LBB1472_33:
	s_or_b64 exec, exec, s[4:5]
	v_lshlrev_b32_e32 v16, 1, v0
	s_waitcnt vmcnt(0)
	ds_write_b16 v16, v1
	ds_write_b16 v16, v2 offset:512
	ds_write_b16 v16, v3 offset:1024
	;; [unrolled: 1-line block ×14, first 2 shown]
	v_mad_u32_u24 v7, v0, 28, v16
	s_waitcnt lgkmcnt(0)
	s_barrier
	ds_read_u16 v1, v7
	ds_read_b128 v[2:5], v7 offset:2
	ds_read_b96 v[22:24], v7 offset:18
	s_ashr_i32 s3, s2, 31
	s_movk_i32 s4, 0xffea
	v_mad_i32_i24 v7, v0, s4, v7
	v_pk_mov_b32 v[8:9], s[2:3], s[2:3] op_sel:[0,1]
	v_mul_u32_u24_e32 v6, 15, v0
	s_waitcnt lgkmcnt(0)
	s_barrier
	ds_write2st64_b64 v7, v[8:9], v[8:9] offset1:4
	ds_write2st64_b64 v7, v[8:9], v[8:9] offset0:8 offset1:12
	ds_write2st64_b64 v7, v[8:9], v[8:9] offset0:16 offset1:20
	ds_write2st64_b64 v7, v[8:9], v[8:9] offset0:24 offset1:28
	ds_write2st64_b64 v7, v[8:9], v[8:9] offset0:32 offset1:36
	ds_write2st64_b64 v7, v[8:9], v[8:9] offset0:40 offset1:44
	ds_write2st64_b64 v7, v[8:9], v[8:9] offset0:48 offset1:52
	ds_write_b64 v7, v[8:9] offset:28672
	v_mov_b32_e32 v25, v52
	v_mov_b32_e32 v7, v50
	v_mov_b32_e32 v8, v48
	v_mov_b32_e32 v9, v46
	v_mov_b32_e32 v10, v44
	v_mov_b32_e32 v12, v42
	v_mov_b32_e32 v11, v40
	s_waitcnt lgkmcnt(0)
	s_barrier
.LBB1472_34:
	v_lshlrev_b32_e32 v6, 3, v6
	v_lshlrev_b32_e32 v11, 3, v11
	;; [unrolled: 1-line block ×4, first 2 shown]
	s_waitcnt lgkmcnt(0)
	ds_read2_b64 v[18:21], v6 offset1:2
	ds_read2_b64 v[14:17], v6 offset0:4 offset1:6
	v_lshlrev_b32_e32 v9, 3, v9
	ds_read_b64 v[38:39], v11
	ds_read_b64 v[36:37], v12
	;; [unrolled: 1-line block ×4, first 2 shown]
	ds_read2_b64 v[10:13], v6 offset0:8 offset1:10
	v_lshlrev_b32_e32 v26, 3, v8
	v_lshlrev_b32_e32 v27, 3, v7
	ds_read2_b64 v[6:9], v6 offset0:12 offset1:14
	v_lshlrev_b32_e32 v25, 3, v25
	ds_read_b64 v[32:33], v26
	ds_read_b64 v[28:29], v27
	;; [unrolled: 1-line block ×3, first 2 shown]
	s_cmp_eq_u64 s[10:11], 0
	s_cselect_b64 s[46:47], -1, 0
	s_cmp_lg_u64 s[10:11], 0
	s_mov_b64 s[4:5], 0
	s_cselect_b64 s[12:13], -1, 0
	s_and_b64 vcc, exec, s[0:1]
	s_waitcnt lgkmcnt(0)
	s_barrier
	s_cbranch_vccz .LBB1472_40
; %bb.35:
	s_and_b64 vcc, exec, s[12:13]
	s_cbranch_vccz .LBB1472_41
; %bb.36:
	v_mov_b32_e32 v25, 0
	global_load_ushort v41, v25, s[8:9] offset:-2
	v_lshrrev_b32_e32 v43, 16, v24
	v_lshlrev_b32_e32 v25, 1, v0
	v_cmp_ne_u16_e32 vcc, v24, v43
	v_cmp_ne_u16_sdwa s[4:5], v23, v24 src0_sel:WORD_1 src1_sel:DWORD
	v_cmp_ne_u16_sdwa s[14:15], v23, v23 src0_sel:DWORD src1_sel:WORD_1
	v_cmp_ne_u16_sdwa s[16:17], v22, v23 src0_sel:WORD_1 src1_sel:DWORD
	v_cmp_ne_u16_sdwa s[18:19], v22, v22 src0_sel:DWORD src1_sel:WORD_1
	;; [unrolled: 2-line block ×6, first 2 shown]
	v_cmp_ne_u16_e64 s[0:1], v1, v2
	v_cmp_ne_u32_e64 s[2:3], 0, v0
	ds_write_b16 v25, v43
	s_waitcnt lgkmcnt(0)
	s_barrier
	s_and_saveexec_b64 s[62:63], s[2:3]
	s_cbranch_execz .LBB1472_38
; %bb.37:
	v_add_u32_e32 v25, -2, v25
	s_waitcnt vmcnt(0)
	ds_read_u16 v41, v25
.LBB1472_38:
	s_or_b64 exec, exec, s[62:63]
	v_cndmask_b32_e64 v25, 0, 1, vcc
	v_cndmask_b32_e64 v76, 0, 1, s[4:5]
	v_cndmask_b32_e64 v77, 0, 1, s[14:15]
	;; [unrolled: 1-line block ×13, first 2 shown]
	s_waitcnt vmcnt(0) lgkmcnt(0)
	v_cmp_ne_u16_e64 s[0:1], v41, v1
	s_mov_b64 s[4:5], -1
.LBB1472_39:
                                        ; implicit-def: $sgpr7
	s_branch .LBB1472_53
.LBB1472_40:
                                        ; implicit-def: $sgpr0_sgpr1
                                        ; implicit-def: $vgpr25
                                        ; implicit-def: $vgpr76
                                        ; implicit-def: $vgpr77
                                        ; implicit-def: $vgpr78
                                        ; implicit-def: $vgpr79
                                        ; implicit-def: $vgpr80
                                        ; implicit-def: $vgpr81
                                        ; implicit-def: $vgpr82
                                        ; implicit-def: $vgpr83
                                        ; implicit-def: $vgpr84
                                        ; implicit-def: $vgpr85
                                        ; implicit-def: $vgpr86
                                        ; implicit-def: $vgpr87
                                        ; implicit-def: $vgpr88
                                        ; implicit-def: $sgpr7
	s_cbranch_execnz .LBB1472_45
	s_branch .LBB1472_53
.LBB1472_41:
                                        ; implicit-def: $sgpr0_sgpr1
                                        ; implicit-def: $vgpr25
                                        ; implicit-def: $vgpr76
                                        ; implicit-def: $vgpr77
                                        ; implicit-def: $vgpr78
                                        ; implicit-def: $vgpr79
                                        ; implicit-def: $vgpr80
                                        ; implicit-def: $vgpr81
                                        ; implicit-def: $vgpr82
                                        ; implicit-def: $vgpr83
                                        ; implicit-def: $vgpr84
                                        ; implicit-def: $vgpr85
                                        ; implicit-def: $vgpr86
                                        ; implicit-def: $vgpr87
                                        ; implicit-def: $vgpr88
	s_cbranch_execz .LBB1472_39
; %bb.42:
	v_cmp_ne_u16_sdwa s[0:1], v23, v24 src0_sel:WORD_1 src1_sel:DWORD
	v_cndmask_b32_e64 v76, 0, 1, s[0:1]
	v_cmp_ne_u16_sdwa s[0:1], v23, v23 src0_sel:DWORD src1_sel:WORD_1
	v_cndmask_b32_e64 v77, 0, 1, s[0:1]
	v_cmp_ne_u16_sdwa s[0:1], v22, v23 src0_sel:WORD_1 src1_sel:DWORD
	v_cndmask_b32_e64 v78, 0, 1, s[0:1]
	v_cmp_ne_u16_sdwa s[0:1], v22, v22 src0_sel:DWORD src1_sel:WORD_1
	v_cndmask_b32_e64 v79, 0, 1, s[0:1]
	;; [unrolled: 4-line block ×4, first 2 shown]
	v_cmp_ne_u16_sdwa s[0:1], v3, v4 src0_sel:WORD_1 src1_sel:DWORD
	v_lshrrev_b32_e32 v25, 16, v24
	v_cndmask_b32_e64 v84, 0, 1, s[0:1]
	v_cmp_ne_u16_sdwa s[0:1], v3, v3 src0_sel:DWORD src1_sel:WORD_1
	v_lshlrev_b32_e32 v41, 1, v0
	v_cmp_ne_u16_e32 vcc, v24, v25
	v_cndmask_b32_e64 v85, 0, 1, s[0:1]
	v_cmp_ne_u16_sdwa s[0:1], v2, v3 src0_sel:WORD_1 src1_sel:DWORD
	ds_write_b16 v41, v25
	v_cndmask_b32_e64 v25, 0, 1, vcc
	v_cndmask_b32_e64 v86, 0, 1, s[0:1]
	v_cmp_ne_u16_sdwa s[0:1], v2, v2 src0_sel:DWORD src1_sel:WORD_1
	v_cmp_ne_u16_e32 vcc, v1, v2
	s_mov_b32 s7, 1
	v_cndmask_b32_e64 v87, 0, 1, s[0:1]
	v_cndmask_b32_e64 v88, 0, 1, vcc
	v_cmp_ne_u32_e32 vcc, 0, v0
	s_waitcnt lgkmcnt(0)
	s_barrier
	s_waitcnt lgkmcnt(0)
                                        ; implicit-def: $sgpr0_sgpr1
	s_and_saveexec_b64 s[2:3], vcc
	s_xor_b64 s[2:3], exec, s[2:3]
	s_cbranch_execz .LBB1472_44
; %bb.43:
	v_add_u32_e32 v41, -2, v41
	ds_read_u16 v41, v41
	s_or_b64 s[4:5], s[4:5], exec
	s_waitcnt lgkmcnt(0)
	v_cmp_ne_u16_e32 vcc, v41, v1
	s_and_b64 s[0:1], vcc, exec
.LBB1472_44:
	s_or_b64 exec, exec, s[2:3]
	s_branch .LBB1472_53
.LBB1472_45:
	s_mul_hi_u32 s1, s10, 0xfffff100
	s_mul_i32 s0, s11, 0xfffff100
	s_sub_i32 s1, s1, s10
	s_add_i32 s1, s1, s0
	s_mul_i32 s0, s10, 0xfffff100
	s_add_u32 s10, s0, s48
	s_addc_u32 s11, s1, s49
	s_and_b64 vcc, exec, s[12:13]
	v_lshrrev_b32_e32 v70, 16, v24
	v_mad_u32_u24 v54, v0, 15, 14
	v_cmp_ne_u16_sdwa s[58:59], v23, v24 src0_sel:WORD_1 src1_sel:DWORD
	v_mad_u32_u24 v66, v0, 15, 12
	v_cmp_ne_u16_sdwa s[12:13], v23, v23 src0_sel:DWORD src1_sel:WORD_1
	v_cmp_ne_u16_sdwa s[16:17], v22, v23 src0_sel:WORD_1 src1_sel:DWORD
	v_mad_u32_u24 v64, v0, 15, 10
	v_cmp_ne_u16_sdwa s[20:21], v22, v22 src0_sel:DWORD src1_sel:WORD_1
	;; [unrolled: 3-line block ×6, first 2 shown]
	v_cmp_ne_u16_e64 s[2:3], v1, v2
	v_cmp_ne_u32_e64 s[0:1], 0, v0
	s_cbranch_vccz .LBB1472_50
; %bb.46:
	v_mov_b32_e32 v55, 0
	global_load_ushort v71, v55, s[8:9] offset:-2
	v_cmp_gt_u64_e32 vcc, s[10:11], v[54:55]
	v_cmp_ne_u16_e64 s[4:5], v24, v70
	v_mov_b32_e32 v53, v55
	s_and_b64 s[4:5], vcc, s[4:5]
	v_cmp_gt_u64_e32 vcc, s[10:11], v[52:53]
	v_mov_b32_e32 v67, v55
	s_and_b64 s[8:9], vcc, s[58:59]
	v_cmp_gt_u64_e32 vcc, s[10:11], v[66:67]
	;; [unrolled: 3-line block ×13, first 2 shown]
	v_lshlrev_b32_e32 v25, 1, v0
	v_mul_u32_u24_e32 v68, 15, v0
	s_and_b64 s[2:3], vcc, s[2:3]
	ds_write_b16 v25, v70
	s_waitcnt lgkmcnt(0)
	s_barrier
	s_and_saveexec_b64 s[58:59], s[0:1]
	s_cbranch_execz .LBB1472_48
; %bb.47:
	v_add_u32_e32 v25, -2, v25
	s_waitcnt vmcnt(0)
	ds_read_u16 v71, v25
.LBB1472_48:
	s_or_b64 exec, exec, s[58:59]
	v_mov_b32_e32 v69, v55
	v_cmp_gt_u64_e32 vcc, s[10:11], v[68:69]
	s_waitcnt vmcnt(0) lgkmcnt(0)
	v_cmp_ne_u16_e64 s[0:1], v71, v1
	v_cndmask_b32_e64 v25, 0, 1, s[4:5]
	v_cndmask_b32_e64 v76, 0, 1, s[8:9]
	;; [unrolled: 1-line block ×14, first 2 shown]
	s_and_b64 s[0:1], vcc, s[0:1]
	s_mov_b64 s[4:5], -1
.LBB1472_49:
                                        ; implicit-def: $sgpr7
	v_mov_b32_e32 v89, s7
	s_and_saveexec_b64 s[2:3], s[4:5]
	s_cbranch_execnz .LBB1472_54
	s_branch .LBB1472_55
.LBB1472_50:
                                        ; implicit-def: $sgpr0_sgpr1
                                        ; implicit-def: $vgpr25
                                        ; implicit-def: $vgpr76
                                        ; implicit-def: $vgpr77
                                        ; implicit-def: $vgpr78
                                        ; implicit-def: $vgpr79
                                        ; implicit-def: $vgpr80
                                        ; implicit-def: $vgpr81
                                        ; implicit-def: $vgpr82
                                        ; implicit-def: $vgpr83
                                        ; implicit-def: $vgpr84
                                        ; implicit-def: $vgpr85
                                        ; implicit-def: $vgpr86
                                        ; implicit-def: $vgpr87
                                        ; implicit-def: $vgpr88
	s_cbranch_execz .LBB1472_49
; %bb.51:
	v_mov_b32_e32 v55, 0
	v_cmp_gt_u64_e32 vcc, s[10:11], v[54:55]
	v_cmp_ne_u16_e64 s[0:1], v24, v70
	s_and_b64 s[0:1], vcc, s[0:1]
	v_mov_b32_e32 v53, v55
	v_cndmask_b32_e64 v25, 0, 1, s[0:1]
	v_cmp_gt_u64_e32 vcc, s[10:11], v[52:53]
	v_cmp_ne_u16_sdwa s[0:1], v23, v24 src0_sel:WORD_1 src1_sel:DWORD
	s_and_b64 s[0:1], vcc, s[0:1]
	v_mov_b32_e32 v67, v55
	v_cndmask_b32_e64 v76, 0, 1, s[0:1]
	v_cmp_gt_u64_e32 vcc, s[10:11], v[66:67]
	v_cmp_ne_u16_sdwa s[0:1], v23, v23 src0_sel:DWORD src1_sel:WORD_1
	s_and_b64 s[0:1], vcc, s[0:1]
	v_mov_b32_e32 v51, v55
	v_cndmask_b32_e64 v77, 0, 1, s[0:1]
	v_cmp_gt_u64_e32 vcc, s[10:11], v[50:51]
	v_cmp_ne_u16_sdwa s[0:1], v22, v23 src0_sel:WORD_1 src1_sel:DWORD
	s_and_b64 s[0:1], vcc, s[0:1]
	v_mov_b32_e32 v65, v55
	v_cndmask_b32_e64 v78, 0, 1, s[0:1]
	v_cmp_gt_u64_e32 vcc, s[10:11], v[64:65]
	v_cmp_ne_u16_sdwa s[0:1], v22, v22 src0_sel:DWORD src1_sel:WORD_1
	;; [unrolled: 10-line block ×6, first 2 shown]
	s_and_b64 s[0:1], vcc, s[0:1]
	v_mov_b32_e32 v41, v55
	v_cndmask_b32_e64 v87, 0, 1, s[0:1]
	v_cmp_gt_u64_e32 vcc, s[10:11], v[40:41]
	v_cmp_ne_u16_e64 s[0:1], v1, v2
	s_and_b64 s[0:1], vcc, s[0:1]
	s_mov_b32 s7, 1
	v_lshlrev_b32_e32 v68, 1, v0
	v_cndmask_b32_e64 v88, 0, 1, s[0:1]
	v_cmp_ne_u32_e32 vcc, 0, v0
	ds_write_b16 v68, v70
	s_waitcnt lgkmcnt(0)
	s_barrier
	s_waitcnt lgkmcnt(0)
                                        ; implicit-def: $sgpr0_sgpr1
	s_and_saveexec_b64 s[2:3], vcc
	s_cbranch_execz .LBB1472_202
; %bb.52:
	v_add_u32_e32 v40, -2, v68
	ds_read_u16 v40, v40
	v_mul_u32_u24_e32 v54, 15, v0
	v_cmp_gt_u64_e32 vcc, s[10:11], v[54:55]
	s_or_b64 s[4:5], s[4:5], exec
	s_waitcnt lgkmcnt(0)
	v_cmp_ne_u16_e64 s[0:1], v40, v1
	s_and_b64 s[0:1], vcc, s[0:1]
	s_and_b64 s[0:1], s[0:1], exec
	s_or_b64 exec, exec, s[2:3]
.LBB1472_53:
	v_mov_b32_e32 v89, s7
	s_and_saveexec_b64 s[2:3], s[4:5]
.LBB1472_54:
	v_cndmask_b32_e64 v89, 0, 1, s[0:1]
.LBB1472_55:
	s_or_b64 exec, exec, s[2:3]
	s_cmp_eq_u64 s[42:43], 0
	v_add3_u32 v40, v88, v89, v87
	s_cselect_b64 s[42:43], -1, 0
	s_cmp_lg_u32 s6, 0
	v_cmp_eq_u32_e64 s[24:25], 0, v88
	v_cmp_eq_u32_e64 s[22:23], 0, v87
	;; [unrolled: 1-line block ×3, first 2 shown]
	v_add3_u32 v92, v40, v86, v85
	v_cmp_eq_u32_e64 s[18:19], 0, v85
	v_cmp_eq_u32_e64 s[16:17], 0, v84
	;; [unrolled: 1-line block ×10, first 2 shown]
	v_cmp_eq_u32_e32 vcc, 0, v25
	v_mbcnt_lo_u32_b32 v91, -1, 0
	s_cbranch_scc0 .LBB1472_122
; %bb.56:
	v_cndmask_b32_e64 v41, 0, v18, s[24:25]
	v_cndmask_b32_e64 v40, 0, v19, s[24:25]
	v_add_co_u32_e64 v41, s[26:27], v41, v38
	v_addc_co_u32_e64 v40, s[26:27], v40, v39, s[26:27]
	v_cndmask_b32_e64 v41, 0, v41, s[22:23]
	v_cndmask_b32_e64 v40, 0, v40, s[22:23]
	v_add_co_u32_e64 v41, s[26:27], v41, v20
	v_addc_co_u32_e64 v40, s[26:27], v40, v21, s[26:27]
	;; [unrolled: 4-line block ×11, first 2 shown]
	v_cndmask_b32_e64 v41, 0, v41, s[2:3]
	v_add3_u32 v42, v92, v84, v83
	v_cndmask_b32_e64 v40, 0, v40, s[2:3]
	v_add_co_u32_e64 v41, s[26:27], v41, v6
	v_add3_u32 v42, v42, v82, v81
	v_addc_co_u32_e64 v40, s[26:27], v40, v7, s[26:27]
	v_cndmask_b32_e64 v41, 0, v41, s[0:1]
	v_add3_u32 v42, v42, v80, v79
	v_cndmask_b32_e64 v40, 0, v40, s[0:1]
	v_add_co_u32_e64 v41, s[26:27], v41, v26
	v_add3_u32 v42, v42, v78, v77
	v_addc_co_u32_e64 v40, s[26:27], v40, v27, s[26:27]
	v_cndmask_b32_e32 v41, 0, v41, vcc
	v_add3_u32 v44, v42, v76, v25
	v_cndmask_b32_e32 v40, 0, v40, vcc
	v_add_co_u32_e32 v42, vcc, v41, v8
	v_mbcnt_hi_u32_b32 v45, -1, v91
	v_addc_co_u32_e32 v43, vcc, v40, v9, vcc
	v_and_b32_e32 v40, 15, v45
	v_mov_b32_dpp v46, v44 row_shr:1 row_mask:0xf bank_mask:0xf
	v_mov_b32_dpp v41, v42 row_shr:1 row_mask:0xf bank_mask:0xf
	v_mov_b32_dpp v47, v43 row_shr:1 row_mask:0xf bank_mask:0xf
	v_cmp_ne_u32_e32 vcc, 0, v40
	s_and_saveexec_b64 s[26:27], vcc
; %bb.57:
	v_cmp_eq_u32_e32 vcc, 0, v44
	v_cndmask_b32_e32 v41, 0, v41, vcc
	v_add_u32_e32 v46, v46, v44
	v_cndmask_b32_e32 v44, 0, v47, vcc
	v_add_co_u32_e32 v42, vcc, v41, v42
	v_addc_co_u32_e32 v43, vcc, v44, v43, vcc
	v_mov_b32_e32 v44, v46
; %bb.58:
	s_or_b64 exec, exec, s[26:27]
	s_nop 0
	v_mov_b32_dpp v46, v44 row_shr:2 row_mask:0xf bank_mask:0xf
	v_mov_b32_dpp v41, v42 row_shr:2 row_mask:0xf bank_mask:0xf
	v_mov_b32_dpp v47, v43 row_shr:2 row_mask:0xf bank_mask:0xf
	v_cmp_lt_u32_e32 vcc, 1, v40
	s_and_saveexec_b64 s[26:27], vcc
; %bb.59:
	v_cmp_eq_u32_e32 vcc, 0, v44
	v_cndmask_b32_e32 v41, 0, v41, vcc
	v_add_u32_e32 v46, v46, v44
	v_cndmask_b32_e32 v44, 0, v47, vcc
	v_add_co_u32_e32 v42, vcc, v41, v42
	v_addc_co_u32_e32 v43, vcc, v44, v43, vcc
	v_mov_b32_e32 v44, v46
; %bb.60:
	s_or_b64 exec, exec, s[26:27]
	s_nop 0
	v_mov_b32_dpp v46, v44 row_shr:4 row_mask:0xf bank_mask:0xf
	v_mov_b32_dpp v41, v42 row_shr:4 row_mask:0xf bank_mask:0xf
	v_mov_b32_dpp v47, v43 row_shr:4 row_mask:0xf bank_mask:0xf
	v_cmp_lt_u32_e32 vcc, 3, v40
	;; [unrolled: 16-line block ×3, first 2 shown]
	s_and_saveexec_b64 s[26:27], vcc
; %bb.63:
	v_cmp_eq_u32_e32 vcc, 0, v44
	v_cndmask_b32_e32 v41, 0, v41, vcc
	v_add_u32_e32 v40, v46, v44
	v_cndmask_b32_e32 v44, 0, v47, vcc
	v_add_co_u32_e32 v42, vcc, v41, v42
	v_addc_co_u32_e32 v43, vcc, v44, v43, vcc
	v_mov_b32_e32 v44, v40
; %bb.64:
	s_or_b64 exec, exec, s[26:27]
	v_and_b32_e32 v47, 16, v45
	v_mov_b32_dpp v41, v44 row_bcast:15 row_mask:0xf bank_mask:0xf
	v_mov_b32_dpp v40, v42 row_bcast:15 row_mask:0xf bank_mask:0xf
	;; [unrolled: 1-line block ×3, first 2 shown]
	v_cmp_ne_u32_e32 vcc, 0, v47
	s_and_saveexec_b64 s[26:27], vcc
; %bb.65:
	v_cmp_eq_u32_e32 vcc, 0, v44
	v_cndmask_b32_e32 v40, 0, v40, vcc
	v_add_u32_e32 v41, v41, v44
	v_cndmask_b32_e32 v44, 0, v46, vcc
	v_add_co_u32_e32 v42, vcc, v40, v42
	v_addc_co_u32_e32 v43, vcc, v44, v43, vcc
	v_mov_b32_e32 v44, v41
; %bb.66:
	s_or_b64 exec, exec, s[26:27]
	s_nop 0
	v_mov_b32_dpp v41, v44 row_bcast:31 row_mask:0xf bank_mask:0xf
	v_mov_b32_dpp v40, v42 row_bcast:31 row_mask:0xf bank_mask:0xf
	;; [unrolled: 1-line block ×3, first 2 shown]
	v_cmp_lt_u32_e32 vcc, 31, v45
	s_and_saveexec_b64 s[26:27], vcc
; %bb.67:
	v_cmp_eq_u32_e32 vcc, 0, v44
	v_cndmask_b32_e32 v40, 0, v40, vcc
	v_add_u32_e32 v41, v41, v44
	v_cndmask_b32_e32 v44, 0, v46, vcc
	v_add_co_u32_e32 v42, vcc, v40, v42
	v_addc_co_u32_e32 v43, vcc, v44, v43, vcc
	v_mov_b32_e32 v44, v41
; %bb.68:
	s_or_b64 exec, exec, s[26:27]
	v_lshrrev_b32_e32 v40, 6, v0
	v_or_b32_e32 v41, 63, v0
	v_cmp_eq_u32_e32 vcc, v41, v0
	v_lshlrev_b32_e32 v46, 4, v40
	s_and_saveexec_b64 s[26:27], vcc
	s_cbranch_execz .LBB1472_70
; %bb.69:
	ds_write_b32 v46, v44 offset:1056
	ds_write_b64 v46, v[42:43] offset:1064
.LBB1472_70:
	s_or_b64 exec, exec, s[26:27]
	v_cmp_gt_u32_e32 vcc, 4, v0
	s_waitcnt lgkmcnt(0)
	s_barrier
	s_and_saveexec_b64 s[26:27], vcc
	s_cbranch_execz .LBB1472_76
; %bb.71:
	v_lshlrev_b32_e32 v47, 4, v0
	ds_read_b32 v48, v47 offset:1056
	ds_read_b64 v[40:41], v47 offset:1064
	v_and_b32_e32 v49, 3, v45
	v_cmp_ne_u32_e32 vcc, 0, v49
	s_waitcnt lgkmcnt(1)
	v_mov_b32_dpp v51, v48 row_shr:1 row_mask:0xf bank_mask:0xf
	s_waitcnt lgkmcnt(0)
	v_mov_b32_dpp v50, v40 row_shr:1 row_mask:0xf bank_mask:0xf
	v_mov_b32_dpp v52, v41 row_shr:1 row_mask:0xf bank_mask:0xf
	s_and_saveexec_b64 s[48:49], vcc
; %bb.72:
	v_cmp_eq_u32_e32 vcc, 0, v48
	v_cndmask_b32_e32 v50, 0, v50, vcc
	v_add_u32_e32 v51, v51, v48
	v_cndmask_b32_e32 v48, 0, v52, vcc
	v_add_co_u32_e32 v40, vcc, v50, v40
	v_addc_co_u32_e32 v41, vcc, v48, v41, vcc
	v_mov_b32_e32 v48, v51
; %bb.73:
	s_or_b64 exec, exec, s[48:49]
	s_nop 0
	v_mov_b32_dpp v51, v48 row_shr:2 row_mask:0xf bank_mask:0xf
	v_mov_b32_dpp v50, v40 row_shr:2 row_mask:0xf bank_mask:0xf
	;; [unrolled: 1-line block ×3, first 2 shown]
	v_cmp_lt_u32_e32 vcc, 1, v49
	s_and_saveexec_b64 s[48:49], vcc
; %bb.74:
	v_cmp_eq_u32_e32 vcc, 0, v48
	v_cndmask_b32_e32 v50, 0, v50, vcc
	v_add_u32_e32 v49, v51, v48
	v_cndmask_b32_e32 v48, 0, v52, vcc
	v_add_co_u32_e32 v40, vcc, v50, v40
	v_addc_co_u32_e32 v41, vcc, v48, v41, vcc
	v_mov_b32_e32 v48, v49
; %bb.75:
	s_or_b64 exec, exec, s[48:49]
	ds_write_b32 v47, v48 offset:1056
	ds_write_b64 v47, v[40:41] offset:1064
.LBB1472_76:
	s_or_b64 exec, exec, s[26:27]
	v_cmp_gt_u32_e32 vcc, 64, v0
	v_cmp_lt_u32_e64 s[26:27], 63, v0
	v_pk_mov_b32 v[40:41], 0, 0
	v_mov_b32_e32 v52, 0
	s_waitcnt lgkmcnt(0)
	s_barrier
	s_and_saveexec_b64 s[48:49], s[26:27]
	s_cbranch_execz .LBB1472_78
; %bb.77:
	ds_read_b32 v52, v46 offset:1040
	ds_read_b64 v[40:41], v46 offset:1048
	v_cmp_eq_u32_e64 s[26:27], 0, v44
	s_waitcnt lgkmcnt(1)
	v_add_u32_e32 v46, v52, v44
	s_waitcnt lgkmcnt(0)
	v_cndmask_b32_e64 v47, 0, v40, s[26:27]
	v_cndmask_b32_e64 v44, 0, v41, s[26:27]
	v_add_co_u32_e64 v42, s[26:27], v47, v42
	v_addc_co_u32_e64 v43, s[26:27], v44, v43, s[26:27]
	v_mov_b32_e32 v44, v46
.LBB1472_78:
	s_or_b64 exec, exec, s[48:49]
	v_add_u32_e32 v46, -1, v45
	v_and_b32_e32 v47, 64, v45
	v_cmp_lt_i32_e64 s[26:27], v46, v47
	v_cndmask_b32_e64 v46, v46, v45, s[26:27]
	v_lshlrev_b32_e32 v46, 2, v46
	ds_bpermute_b32 v53, v46, v44
	ds_bpermute_b32 v54, v46, v42
	;; [unrolled: 1-line block ×3, first 2 shown]
	v_cmp_eq_u32_e64 s[26:27], 0, v45
	s_and_saveexec_b64 s[48:49], vcc
	s_cbranch_execz .LBB1472_121
; %bb.79:
	v_mov_b32_e32 v47, 0
	ds_read_b32 v56, v47 offset:1104
	ds_read_b64 v[42:43], v47 offset:1112
	s_and_saveexec_b64 s[56:57], s[26:27]
	s_cbranch_execz .LBB1472_81
; %bb.80:
	s_add_i32 s58, s6, 64
	s_mov_b32 s59, 0
	s_lshl_b64 s[60:61], s[58:59], 4
	s_add_u32 s60, s36, s60
	s_addc_u32 s61, s37, s61
	v_mov_b32_e32 v44, s58
	v_mov_b32_e32 v46, 1
	s_waitcnt lgkmcnt(1)
	global_store_dword v47, v56, s[60:61]
	s_waitcnt lgkmcnt(0)
	global_store_dwordx2 v47, v[42:43], s[60:61] offset:8
	s_waitcnt vmcnt(0)
	buffer_wbinvl1_vol
	global_store_byte v44, v46, s[40:41]
.LBB1472_81:
	s_or_b64 exec, exec, s[56:57]
	v_xad_u32 v44, v45, -1, s6
	v_add_u32_e32 v46, 64, v44
	global_load_ubyte v57, v46, s[40:41] glc
	s_waitcnt vmcnt(0)
	v_cmp_eq_u16_e32 vcc, 0, v57
	s_and_saveexec_b64 s[56:57], vcc
	s_cbranch_execz .LBB1472_85
; %bb.82:
	v_mov_b32_e32 v49, s41
	v_add_co_u32_e32 v48, vcc, s40, v46
	v_addc_co_u32_e32 v49, vcc, 0, v49, vcc
	s_mov_b64 s[58:59], 0
.LBB1472_83:                            ; =>This Inner Loop Header: Depth=1
	global_load_ubyte v57, v[48:49], off glc
	s_waitcnt vmcnt(0)
	v_cmp_ne_u16_e32 vcc, 0, v57
	s_or_b64 s[58:59], vcc, s[58:59]
	s_andn2_b64 exec, exec, s[58:59]
	s_cbranch_execnz .LBB1472_83
; %bb.84:
	s_or_b64 exec, exec, s[58:59]
.LBB1472_85:
	s_or_b64 exec, exec, s[56:57]
	v_mov_b32_e32 v48, s39
	v_mov_b32_e32 v49, s37
	v_cmp_eq_u16_e32 vcc, 1, v57
	v_cndmask_b32_e32 v48, v48, v49, vcc
	v_mov_b32_e32 v49, s38
	v_mov_b32_e32 v50, s36
	v_cndmask_b32_e32 v49, v49, v50, vcc
	v_lshlrev_b64 v[46:47], 4, v[46:47]
	v_add_co_u32_e32 v46, vcc, v49, v46
	v_addc_co_u32_e32 v47, vcc, v48, v47, vcc
	s_waitcnt lgkmcnt(0)
	buffer_wbinvl1_vol
	global_load_dword v72, v[46:47], off
	global_load_dwordx2 v[50:51], v[46:47], off offset:8
	v_cmp_eq_u16_e32 vcc, 2, v57
	v_lshlrev_b64 v[46:47], v45, -1
	v_and_b32_e32 v58, 63, v45
	v_and_b32_e32 v48, vcc_hi, v47
	v_and_b32_e32 v62, vcc_lo, v46
	v_cmp_ne_u32_e32 vcc, 63, v58
	v_addc_co_u32_e32 v49, vcc, 0, v45, vcc
	v_lshlrev_b32_e32 v59, 2, v49
	v_or_b32_e32 v48, 0x80000000, v48
	v_ffbl_b32_e32 v48, v48
	v_add_u32_e32 v48, 32, v48
	v_ffbl_b32_e32 v62, v62
	v_min_u32_e32 v48, v62, v48
	v_cmp_lt_u32_e32 vcc, v58, v48
	s_waitcnt vmcnt(1)
	ds_bpermute_b32 v60, v59, v72
	s_waitcnt vmcnt(0)
	ds_bpermute_b32 v49, v59, v50
	ds_bpermute_b32 v61, v59, v51
	s_and_saveexec_b64 s[56:57], vcc
	s_cbranch_execz .LBB1472_87
; %bb.86:
	v_cmp_eq_u32_e32 vcc, 0, v72
	s_waitcnt lgkmcnt(1)
	v_cndmask_b32_e32 v49, 0, v49, vcc
	v_add_u32_e32 v60, v60, v72
	s_waitcnt lgkmcnt(0)
	v_cndmask_b32_e32 v61, 0, v61, vcc
	v_add_co_u32_e32 v50, vcc, v49, v50
	v_addc_co_u32_e32 v51, vcc, v61, v51, vcc
	v_mov_b32_e32 v72, v60
.LBB1472_87:
	s_or_b64 exec, exec, s[56:57]
	v_cmp_gt_u32_e32 vcc, 62, v58
	s_waitcnt lgkmcnt(1)
	v_cndmask_b32_e64 v49, 0, 1, vcc
	v_lshlrev_b32_e32 v49, 1, v49
	v_add_lshl_u32 v60, v49, v45, 2
	ds_bpermute_b32 v62, v60, v72
	ds_bpermute_b32 v49, v60, v50
	ds_bpermute_b32 v63, v60, v51
	s_waitcnt lgkmcnt(3)
	v_add_u32_e32 v61, 2, v58
	v_cmp_le_u32_e32 vcc, v61, v48
	s_and_saveexec_b64 s[56:57], vcc
	s_cbranch_execz .LBB1472_89
; %bb.88:
	v_cmp_eq_u32_e32 vcc, 0, v72
	s_waitcnt lgkmcnt(1)
	v_cndmask_b32_e32 v49, 0, v49, vcc
	v_add_u32_e32 v62, v62, v72
	s_waitcnt lgkmcnt(0)
	v_cndmask_b32_e32 v63, 0, v63, vcc
	v_add_co_u32_e32 v50, vcc, v49, v50
	v_addc_co_u32_e32 v51, vcc, v63, v51, vcc
	v_mov_b32_e32 v72, v62
.LBB1472_89:
	s_or_b64 exec, exec, s[56:57]
	v_cmp_gt_u32_e32 vcc, 60, v58
	s_waitcnt lgkmcnt(1)
	v_cndmask_b32_e64 v49, 0, 1, vcc
	v_lshlrev_b32_e32 v49, 2, v49
	v_add_lshl_u32 v62, v49, v45, 2
	ds_bpermute_b32 v64, v62, v72
	ds_bpermute_b32 v49, v62, v50
	ds_bpermute_b32 v65, v62, v51
	s_waitcnt lgkmcnt(3)
	v_add_u32_e32 v63, 4, v58
	v_cmp_le_u32_e32 vcc, v63, v48
	;; [unrolled: 25-line block ×4, first 2 shown]
	s_and_saveexec_b64 s[56:57], vcc
	s_cbranch_execz .LBB1472_95
; %bb.94:
	v_cmp_eq_u32_e32 vcc, 0, v72
	s_waitcnt lgkmcnt(1)
	v_cndmask_b32_e32 v49, 0, v49, vcc
	v_add_u32_e32 v68, v68, v72
	s_waitcnt lgkmcnt(0)
	v_cndmask_b32_e32 v69, 0, v69, vcc
	v_add_co_u32_e32 v50, vcc, v49, v50
	v_addc_co_u32_e32 v51, vcc, v69, v51, vcc
	v_mov_b32_e32 v72, v68
.LBB1472_95:
	s_or_b64 exec, exec, s[56:57]
	v_cmp_gt_u32_e32 vcc, 32, v58
	s_waitcnt lgkmcnt(1)
	v_cndmask_b32_e64 v49, 0, 1, vcc
	v_lshlrev_b32_e32 v49, 5, v49
	v_add_lshl_u32 v68, v49, v45, 2
	ds_bpermute_b32 v49, v68, v72
	ds_bpermute_b32 v45, v68, v50
	s_waitcnt lgkmcnt(2)
	ds_bpermute_b32 v69, v68, v51
	v_add_u32_e32 v70, 32, v58
	v_cmp_le_u32_e32 vcc, v70, v48
	s_and_saveexec_b64 s[56:57], vcc
	s_cbranch_execz .LBB1472_97
; %bb.96:
	v_cmp_eq_u32_e32 vcc, 0, v72
	s_waitcnt lgkmcnt(1)
	v_cndmask_b32_e32 v45, 0, v45, vcc
	v_add_u32_e32 v48, v49, v72
	s_waitcnt lgkmcnt(0)
	v_cndmask_b32_e32 v49, 0, v69, vcc
	v_add_co_u32_e32 v50, vcc, v45, v50
	v_addc_co_u32_e32 v51, vcc, v49, v51, vcc
	v_mov_b32_e32 v72, v48
.LBB1472_97:
	s_or_b64 exec, exec, s[56:57]
	s_waitcnt lgkmcnt(1)
	v_mov_b32_e32 v45, 0
	v_mov_b32_e32 v71, 2
	s_branch .LBB1472_99
.LBB1472_98:                            ;   in Loop: Header=BB1472_99 Depth=1
	s_or_b64 exec, exec, s[56:57]
	v_cmp_eq_u32_e32 vcc, 0, v69
	v_cndmask_b32_e32 v50, 0, v50, vcc
	v_cndmask_b32_e32 v51, 0, v51, vcc
	v_add_co_u32_e32 v50, vcc, v50, v48
	v_subrev_u32_e32 v44, 64, v44
	v_add_u32_e32 v72, v73, v69
	v_addc_co_u32_e32 v51, vcc, v51, v49, vcc
.LBB1472_99:                            ; =>This Loop Header: Depth=1
                                        ;     Child Loop BB1472_102 Depth 2
	v_cmp_ne_u16_sdwa s[56:57], v57, v71 src0_sel:BYTE_0 src1_sel:DWORD
	v_pk_mov_b32 v[48:49], v[50:51], v[50:51] op_sel:[0,1]
	v_cndmask_b32_e64 v50, 0, 1, s[56:57]
	;;#ASMSTART
	;;#ASMEND
	v_cmp_ne_u32_e32 vcc, 0, v50
	s_cmp_lg_u64 vcc, exec
	s_waitcnt lgkmcnt(0)
	v_mov_b32_e32 v69, v72
	s_cbranch_scc1 .LBB1472_116
; %bb.100:                              ;   in Loop: Header=BB1472_99 Depth=1
	global_load_ubyte v57, v44, s[40:41] glc
	s_waitcnt vmcnt(0)
	v_cmp_eq_u16_e32 vcc, 0, v57
	s_and_saveexec_b64 s[56:57], vcc
	s_cbranch_execz .LBB1472_104
; %bb.101:                              ;   in Loop: Header=BB1472_99 Depth=1
	v_mov_b32_e32 v51, s41
	v_add_co_u32_e32 v50, vcc, s40, v44
	v_addc_co_u32_e32 v51, vcc, 0, v51, vcc
	s_mov_b64 s[58:59], 0
.LBB1472_102:                           ;   Parent Loop BB1472_99 Depth=1
                                        ; =>  This Inner Loop Header: Depth=2
	global_load_ubyte v57, v[50:51], off glc
	s_waitcnt vmcnt(0)
	v_cmp_ne_u16_e32 vcc, 0, v57
	s_or_b64 s[58:59], vcc, s[58:59]
	s_andn2_b64 exec, exec, s[58:59]
	s_cbranch_execnz .LBB1472_102
; %bb.103:                              ;   in Loop: Header=BB1472_99 Depth=1
	s_or_b64 exec, exec, s[58:59]
.LBB1472_104:                           ;   in Loop: Header=BB1472_99 Depth=1
	s_or_b64 exec, exec, s[56:57]
	v_mov_b32_e32 v50, s39
	v_mov_b32_e32 v51, s37
	v_cmp_eq_u16_e32 vcc, 1, v57
	v_cndmask_b32_e32 v72, v50, v51, vcc
	v_mov_b32_e32 v50, s38
	v_mov_b32_e32 v51, s36
	v_cndmask_b32_e32 v73, v50, v51, vcc
	v_lshlrev_b64 v[50:51], 4, v[44:45]
	v_add_co_u32_e32 v50, vcc, v73, v50
	v_addc_co_u32_e32 v51, vcc, v72, v51, vcc
	buffer_wbinvl1_vol
	global_load_dword v73, v[50:51], off
	s_nop 0
	global_load_dwordx2 v[50:51], v[50:51], off offset:8
	v_cmp_eq_u16_e32 vcc, 2, v57
	v_and_b32_e32 v72, vcc_hi, v47
	v_or_b32_e32 v72, 0x80000000, v72
	v_and_b32_e32 v93, vcc_lo, v46
	v_ffbl_b32_e32 v72, v72
	v_add_u32_e32 v72, 32, v72
	v_ffbl_b32_e32 v93, v93
	v_min_u32_e32 v72, v93, v72
	v_cmp_lt_u32_e32 vcc, v58, v72
	s_waitcnt vmcnt(1)
	ds_bpermute_b32 v75, v59, v73
	s_waitcnt vmcnt(0)
	ds_bpermute_b32 v74, v59, v50
	ds_bpermute_b32 v90, v59, v51
	s_and_saveexec_b64 s[56:57], vcc
	s_cbranch_execz .LBB1472_106
; %bb.105:                              ;   in Loop: Header=BB1472_99 Depth=1
	v_cmp_eq_u32_e32 vcc, 0, v73
	s_waitcnt lgkmcnt(1)
	v_cndmask_b32_e32 v74, 0, v74, vcc
	v_add_u32_e32 v75, v75, v73
	s_waitcnt lgkmcnt(0)
	v_cndmask_b32_e32 v73, 0, v90, vcc
	v_add_co_u32_e32 v50, vcc, v74, v50
	v_addc_co_u32_e32 v51, vcc, v73, v51, vcc
	v_mov_b32_e32 v73, v75
.LBB1472_106:                           ;   in Loop: Header=BB1472_99 Depth=1
	s_or_b64 exec, exec, s[56:57]
	s_waitcnt lgkmcnt(2)
	ds_bpermute_b32 v75, v60, v73
	s_waitcnt lgkmcnt(2)
	ds_bpermute_b32 v74, v60, v50
	s_waitcnt lgkmcnt(2)
	ds_bpermute_b32 v90, v60, v51
	v_cmp_le_u32_e32 vcc, v61, v72
	s_and_saveexec_b64 s[56:57], vcc
	s_cbranch_execz .LBB1472_108
; %bb.107:                              ;   in Loop: Header=BB1472_99 Depth=1
	v_cmp_eq_u32_e32 vcc, 0, v73
	s_waitcnt lgkmcnt(1)
	v_cndmask_b32_e32 v74, 0, v74, vcc
	v_add_u32_e32 v75, v75, v73
	s_waitcnt lgkmcnt(0)
	v_cndmask_b32_e32 v73, 0, v90, vcc
	v_add_co_u32_e32 v50, vcc, v74, v50
	v_addc_co_u32_e32 v51, vcc, v73, v51, vcc
	v_mov_b32_e32 v73, v75
.LBB1472_108:                           ;   in Loop: Header=BB1472_99 Depth=1
	s_or_b64 exec, exec, s[56:57]
	s_waitcnt lgkmcnt(2)
	ds_bpermute_b32 v75, v62, v73
	s_waitcnt lgkmcnt(2)
	ds_bpermute_b32 v74, v62, v50
	s_waitcnt lgkmcnt(2)
	ds_bpermute_b32 v90, v62, v51
	v_cmp_le_u32_e32 vcc, v63, v72
	;; [unrolled: 21-line block ×5, first 2 shown]
	s_and_saveexec_b64 s[56:57], vcc
	s_cbranch_execz .LBB1472_98
; %bb.115:                              ;   in Loop: Header=BB1472_99 Depth=1
	v_cmp_eq_u32_e32 vcc, 0, v73
	s_waitcnt lgkmcnt(1)
	v_cndmask_b32_e32 v74, 0, v74, vcc
	v_add_u32_e32 v72, v75, v73
	s_waitcnt lgkmcnt(0)
	v_cndmask_b32_e32 v73, 0, v90, vcc
	v_add_co_u32_e32 v50, vcc, v74, v50
	v_addc_co_u32_e32 v51, vcc, v73, v51, vcc
	v_mov_b32_e32 v73, v72
	s_branch .LBB1472_98
.LBB1472_116:                           ;   in Loop: Header=BB1472_99 Depth=1
                                        ; implicit-def: $vgpr50_vgpr51
                                        ; implicit-def: $vgpr72
                                        ; implicit-def: $vgpr57
	s_cbranch_execz .LBB1472_99
; %bb.117:
	s_and_saveexec_b64 s[36:37], s[26:27]
	s_cbranch_execz .LBB1472_119
; %bb.118:
	s_mov_b32 s7, 0
	v_cmp_eq_u32_e32 vcc, 0, v56
	s_add_i32 s6, s6, 64
	v_cndmask_b32_e32 v44, 0, v48, vcc
	s_lshl_b64 s[56:57], s[6:7], 4
	v_cndmask_b32_e32 v45, 0, v49, vcc
	v_add_co_u32_e32 v44, vcc, v44, v42
	s_add_u32 s56, s38, s56
	v_add_u32_e32 v46, v69, v56
	v_addc_co_u32_e32 v45, vcc, v45, v43, vcc
	s_addc_u32 s57, s39, s57
	v_mov_b32_e32 v47, 0
	global_store_dword v47, v46, s[56:57]
	global_store_dwordx2 v47, v[44:45], s[56:57] offset:8
	v_mov_b32_e32 v44, s6
	v_mov_b32_e32 v45, 2
	s_waitcnt vmcnt(0) lgkmcnt(0)
	buffer_wbinvl1_vol
	global_store_byte v44, v45, s[40:41]
	ds_write_b32 v47, v56 offset:1024
	ds_write_b64 v47, v[42:43] offset:1032
	ds_write_b32 v47, v69 offset:1040
	ds_write_b64 v47, v[48:49] offset:1048
.LBB1472_119:
	s_or_b64 exec, exec, s[36:37]
	v_cmp_eq_u32_e32 vcc, 0, v0
	s_and_b64 exec, exec, vcc
	s_cbranch_execz .LBB1472_121
; %bb.120:
	v_mov_b32_e32 v42, 0
	ds_write_b32 v42, v69 offset:1104
	ds_write_b64 v42, v[48:49] offset:1112
.LBB1472_121:
	s_or_b64 exec, exec, s[48:49]
	v_mov_b32_e32 v45, 0
	s_waitcnt lgkmcnt(0)
	s_barrier
	ds_read_b32 v44, v45 offset:1104
	ds_read_b64 v[42:43], v45 offset:1112
	v_cndmask_b32_e64 v46, v53, v52, s[26:27]
	v_cmp_eq_u32_e32 vcc, 0, v46
	v_cndmask_b32_e64 v40, v54, v40, s[26:27]
	v_cndmask_b32_e64 v41, v55, v41, s[26:27]
	s_waitcnt lgkmcnt(0)
	v_cndmask_b32_e32 v48, 0, v42, vcc
	v_cndmask_b32_e32 v47, 0, v43, vcc
	v_add_co_u32_e32 v40, vcc, v48, v40
	v_addc_co_u32_e32 v41, vcc, v47, v41, vcc
	v_cmp_eq_u32_e32 vcc, 0, v0
	v_cndmask_b32_e64 v46, v46, 0, vcc
	v_cndmask_b32_e32 v71, v41, v43, vcc
	v_cndmask_b32_e32 v70, v40, v42, vcc
	v_cmp_eq_u32_e32 vcc, 0, v89
	v_cndmask_b32_e32 v41, 0, v70, vcc
	v_add_u32_e32 v90, v44, v46
	v_cndmask_b32_e32 v40, 0, v71, vcc
	v_add_co_u32_e32 v46, vcc, v41, v18
	v_addc_co_u32_e32 v47, vcc, v40, v19, vcc
	v_cndmask_b32_e64 v41, 0, v46, s[24:25]
	v_cndmask_b32_e64 v40, 0, v47, s[24:25]
	v_add_co_u32_e32 v48, vcc, v41, v38
	v_addc_co_u32_e32 v49, vcc, v40, v39, vcc
	v_cndmask_b32_e64 v41, 0, v48, s[22:23]
	v_cndmask_b32_e64 v40, 0, v49, s[22:23]
	;; [unrolled: 4-line block ×11, first 2 shown]
	v_add_co_u32_e32 v68, vcc, v41, v28
	v_addc_co_u32_e32 v69, vcc, v40, v29, vcc
	s_barrier
	ds_read_b32 v40, v45 offset:1024
	ds_read_b64 v[42:43], v45 offset:1032
	ds_read_b32 v44, v45 offset:1040
	ds_read_b64 v[94:95], v45 offset:1048
	v_cndmask_b32_e64 v72, 0, v68, s[2:3]
	v_cndmask_b32_e64 v41, 0, v69, s[2:3]
	v_add_co_u32_e32 v72, vcc, v72, v6
	v_addc_co_u32_e32 v73, vcc, v41, v7, vcc
	s_waitcnt lgkmcnt(3)
	v_cmp_eq_u32_e32 vcc, 0, v40
	s_waitcnt lgkmcnt(0)
	v_cndmask_b32_e32 v45, 0, v94, vcc
	v_cndmask_b32_e32 v41, 0, v95, vcc
	v_add_co_u32_e32 v42, vcc, v45, v42
	v_cndmask_b32_e64 v75, 0, v73, s[0:1]
	v_cndmask_b32_e64 v74, 0, v72, s[0:1]
	v_addc_co_u32_e32 v43, vcc, v41, v43, vcc
	s_branch .LBB1472_150
.LBB1472_122:
                                        ; implicit-def: $vgpr40
                                        ; implicit-def: $vgpr42_vgpr43
                                        ; implicit-def: $vgpr44
                                        ; implicit-def: $vgpr70_vgpr71
                                        ; implicit-def: $vgpr46_vgpr47
                                        ; implicit-def: $vgpr48_vgpr49
                                        ; implicit-def: $vgpr50_vgpr51
                                        ; implicit-def: $vgpr52_vgpr53
                                        ; implicit-def: $vgpr54_vgpr55
                                        ; implicit-def: $vgpr56_vgpr57
                                        ; implicit-def: $vgpr58_vgpr59
                                        ; implicit-def: $vgpr60_vgpr61
                                        ; implicit-def: $vgpr62_vgpr63
                                        ; implicit-def: $vgpr64_vgpr65
                                        ; implicit-def: $vgpr66_vgpr67
                                        ; implicit-def: $vgpr68_vgpr69
                                        ; implicit-def: $vgpr72_vgpr73
                                        ; implicit-def: $vgpr74_vgpr75
                                        ; implicit-def: $vgpr90
	s_cbranch_execz .LBB1472_150
; %bb.123:
	s_and_b64 s[0:1], s[42:43], exec
	s_cselect_b32 s1, 0, s31
	s_cselect_b32 s0, 0, s30
	s_cmp_eq_u64 s[0:1], 0
	v_pk_mov_b32 v[44:45], v[18:19], v[18:19] op_sel:[0,1]
	s_cbranch_scc1 .LBB1472_125
; %bb.124:
	v_mov_b32_e32 v40, 0
	global_load_dwordx2 v[44:45], v40, s[0:1]
.LBB1472_125:
	v_cmp_eq_u32_e64 s[22:23], 0, v88
	v_cndmask_b32_e64 v41, 0, v18, s[22:23]
	v_cndmask_b32_e64 v40, 0, v19, s[22:23]
	v_add_co_u32_e32 v41, vcc, v41, v38
	v_cmp_eq_u32_e64 s[20:21], 0, v87
	v_addc_co_u32_e32 v40, vcc, v40, v39, vcc
	v_cndmask_b32_e64 v41, 0, v41, s[20:21]
	v_cndmask_b32_e64 v40, 0, v40, s[20:21]
	v_add_co_u32_e32 v41, vcc, v41, v20
	v_cmp_eq_u32_e64 s[18:19], 0, v86
	v_addc_co_u32_e32 v40, vcc, v40, v21, vcc
	;; [unrolled: 5-line block ×11, first 2 shown]
	v_cndmask_b32_e64 v41, 0, v41, s[2:3]
	v_cndmask_b32_e64 v40, 0, v40, s[2:3]
	v_add_co_u32_e32 v41, vcc, v41, v6
	v_addc_co_u32_e32 v40, vcc, v40, v7, vcc
	v_cmp_eq_u32_e32 vcc, 0, v76
	v_cndmask_b32_e32 v41, 0, v41, vcc
	v_add3_u32 v42, v92, v84, v83
	v_cndmask_b32_e32 v40, 0, v40, vcc
	v_add_co_u32_e64 v41, s[24:25], v41, v26
	v_add3_u32 v42, v42, v82, v81
	v_addc_co_u32_e64 v40, s[24:25], v40, v27, s[24:25]
	v_add3_u32 v42, v42, v80, v79
	v_cmp_eq_u32_e64 s[24:25], 0, v25
	v_add3_u32 v42, v42, v78, v77
	v_cndmask_b32_e64 v41, 0, v41, s[24:25]
	v_add3_u32 v43, v42, v76, v25
	v_cndmask_b32_e64 v40, 0, v40, s[24:25]
	v_add_co_u32_e64 v8, s[24:25], v41, v8
	v_mbcnt_hi_u32_b32 v42, -1, v91
	v_addc_co_u32_e64 v9, s[24:25], v40, v9, s[24:25]
	v_and_b32_e32 v40, 15, v42
	v_mov_b32_dpp v46, v43 row_shr:1 row_mask:0xf bank_mask:0xf
	v_mov_b32_dpp v41, v8 row_shr:1 row_mask:0xf bank_mask:0xf
	;; [unrolled: 1-line block ×3, first 2 shown]
	v_cmp_ne_u32_e64 s[24:25], 0, v40
	s_and_saveexec_b64 s[26:27], s[24:25]
; %bb.126:
	v_cmp_eq_u32_e64 s[24:25], 0, v43
	v_cndmask_b32_e64 v41, 0, v41, s[24:25]
	v_add_u32_e32 v46, v46, v43
	v_cndmask_b32_e64 v43, 0, v47, s[24:25]
	v_add_co_u32_e64 v8, s[24:25], v41, v8
	v_addc_co_u32_e64 v9, s[24:25], v43, v9, s[24:25]
	v_mov_b32_e32 v43, v46
; %bb.127:
	s_or_b64 exec, exec, s[26:27]
	s_nop 0
	v_mov_b32_dpp v46, v43 row_shr:2 row_mask:0xf bank_mask:0xf
	v_mov_b32_dpp v41, v8 row_shr:2 row_mask:0xf bank_mask:0xf
	v_mov_b32_dpp v47, v9 row_shr:2 row_mask:0xf bank_mask:0xf
	v_cmp_lt_u32_e64 s[24:25], 1, v40
	s_and_saveexec_b64 s[26:27], s[24:25]
; %bb.128:
	v_cmp_eq_u32_e64 s[24:25], 0, v43
	v_cndmask_b32_e64 v41, 0, v41, s[24:25]
	v_add_u32_e32 v46, v46, v43
	v_cndmask_b32_e64 v43, 0, v47, s[24:25]
	v_add_co_u32_e64 v8, s[24:25], v41, v8
	v_addc_co_u32_e64 v9, s[24:25], v43, v9, s[24:25]
	v_mov_b32_e32 v43, v46
; %bb.129:
	s_or_b64 exec, exec, s[26:27]
	s_nop 0
	v_mov_b32_dpp v46, v43 row_shr:4 row_mask:0xf bank_mask:0xf
	v_mov_b32_dpp v41, v8 row_shr:4 row_mask:0xf bank_mask:0xf
	v_mov_b32_dpp v47, v9 row_shr:4 row_mask:0xf bank_mask:0xf
	v_cmp_lt_u32_e64 s[24:25], 3, v40
	;; [unrolled: 16-line block ×3, first 2 shown]
	s_and_saveexec_b64 s[26:27], s[24:25]
; %bb.132:
	v_cmp_eq_u32_e64 s[24:25], 0, v43
	v_cndmask_b32_e64 v41, 0, v41, s[24:25]
	v_add_u32_e32 v40, v46, v43
	v_cndmask_b32_e64 v43, 0, v47, s[24:25]
	v_add_co_u32_e64 v8, s[24:25], v41, v8
	v_addc_co_u32_e64 v9, s[24:25], v43, v9, s[24:25]
	v_mov_b32_e32 v43, v40
; %bb.133:
	s_or_b64 exec, exec, s[26:27]
	v_and_b32_e32 v47, 16, v42
	v_mov_b32_dpp v41, v43 row_bcast:15 row_mask:0xf bank_mask:0xf
	v_mov_b32_dpp v40, v8 row_bcast:15 row_mask:0xf bank_mask:0xf
	;; [unrolled: 1-line block ×3, first 2 shown]
	v_cmp_ne_u32_e64 s[24:25], 0, v47
	s_and_saveexec_b64 s[26:27], s[24:25]
; %bb.134:
	v_cmp_eq_u32_e64 s[24:25], 0, v43
	v_cndmask_b32_e64 v40, 0, v40, s[24:25]
	v_add_u32_e32 v41, v41, v43
	v_cndmask_b32_e64 v43, 0, v46, s[24:25]
	v_add_co_u32_e64 v8, s[24:25], v40, v8
	v_addc_co_u32_e64 v9, s[24:25], v43, v9, s[24:25]
	v_mov_b32_e32 v43, v41
; %bb.135:
	s_or_b64 exec, exec, s[26:27]
	s_nop 0
	v_mov_b32_dpp v41, v43 row_bcast:31 row_mask:0xf bank_mask:0xf
	v_mov_b32_dpp v40, v8 row_bcast:31 row_mask:0xf bank_mask:0xf
	;; [unrolled: 1-line block ×3, first 2 shown]
	v_cmp_lt_u32_e64 s[24:25], 31, v42
	s_and_saveexec_b64 s[26:27], s[24:25]
; %bb.136:
	v_cmp_eq_u32_e64 s[24:25], 0, v43
	v_cndmask_b32_e64 v40, 0, v40, s[24:25]
	v_add_u32_e32 v41, v41, v43
	v_cndmask_b32_e64 v43, 0, v46, s[24:25]
	v_add_co_u32_e64 v8, s[24:25], v40, v8
	v_addc_co_u32_e64 v9, s[24:25], v43, v9, s[24:25]
	v_mov_b32_e32 v43, v41
; %bb.137:
	s_or_b64 exec, exec, s[26:27]
	v_lshrrev_b32_e32 v40, 6, v0
	v_or_b32_e32 v41, 63, v0
	v_cmp_eq_u32_e64 s[24:25], v41, v0
	v_lshlrev_b32_e32 v46, 4, v40
	s_and_saveexec_b64 s[26:27], s[24:25]
	s_cbranch_execz .LBB1472_139
; %bb.138:
	ds_write_b32 v46, v43 offset:1056
	ds_write_b64 v46, v[8:9] offset:1064
.LBB1472_139:
	s_or_b64 exec, exec, s[26:27]
	v_cmp_gt_u32_e64 s[24:25], 4, v0
	s_waitcnt lgkmcnt(0)
	s_barrier
	s_and_saveexec_b64 s[26:27], s[24:25]
	s_cbranch_execz .LBB1472_145
; %bb.140:
	v_lshlrev_b32_e32 v47, 4, v0
	ds_read_b32 v48, v47 offset:1056
	ds_read_b64 v[40:41], v47 offset:1064
	v_and_b32_e32 v49, 3, v42
	v_cmp_ne_u32_e64 s[24:25], 0, v49
	s_waitcnt lgkmcnt(1)
	v_mov_b32_dpp v51, v48 row_shr:1 row_mask:0xf bank_mask:0xf
	s_waitcnt lgkmcnt(0)
	v_mov_b32_dpp v50, v40 row_shr:1 row_mask:0xf bank_mask:0xf
	v_mov_b32_dpp v52, v41 row_shr:1 row_mask:0xf bank_mask:0xf
	s_and_saveexec_b64 s[28:29], s[24:25]
; %bb.141:
	v_cmp_eq_u32_e64 s[24:25], 0, v48
	v_cndmask_b32_e64 v50, 0, v50, s[24:25]
	v_add_u32_e32 v51, v51, v48
	v_cndmask_b32_e64 v48, 0, v52, s[24:25]
	v_add_co_u32_e64 v40, s[24:25], v50, v40
	v_addc_co_u32_e64 v41, s[24:25], v48, v41, s[24:25]
	v_mov_b32_e32 v48, v51
; %bb.142:
	s_or_b64 exec, exec, s[28:29]
	s_nop 0
	v_mov_b32_dpp v51, v48 row_shr:2 row_mask:0xf bank_mask:0xf
	v_mov_b32_dpp v50, v40 row_shr:2 row_mask:0xf bank_mask:0xf
	;; [unrolled: 1-line block ×3, first 2 shown]
	v_cmp_lt_u32_e64 s[24:25], 1, v49
	s_and_saveexec_b64 s[28:29], s[24:25]
; %bb.143:
	v_cmp_eq_u32_e64 s[24:25], 0, v48
	v_cndmask_b32_e64 v50, 0, v50, s[24:25]
	v_add_u32_e32 v49, v51, v48
	v_cndmask_b32_e64 v48, 0, v52, s[24:25]
	v_add_co_u32_e64 v40, s[24:25], v50, v40
	v_addc_co_u32_e64 v41, s[24:25], v48, v41, s[24:25]
	v_mov_b32_e32 v48, v49
; %bb.144:
	s_or_b64 exec, exec, s[28:29]
	ds_write_b32 v47, v48 offset:1056
	ds_write_b64 v47, v[40:41] offset:1064
.LBB1472_145:
	s_or_b64 exec, exec, s[26:27]
	v_cmp_lt_u32_e64 s[24:25], 63, v0
	v_mov_b32_e32 v91, 0
	v_mov_b32_e32 v47, 0
	s_waitcnt vmcnt(0)
	v_pk_mov_b32 v[40:41], v[44:45], v[44:45] op_sel:[0,1]
	s_waitcnt lgkmcnt(0)
	s_barrier
	s_and_saveexec_b64 s[26:27], s[24:25]
	s_cbranch_execz .LBB1472_147
; %bb.146:
	ds_read_b32 v47, v46 offset:1040
	ds_read_b64 v[40:41], v46 offset:1048
	s_waitcnt lgkmcnt(1)
	v_cmp_eq_u32_e64 s[24:25], 0, v47
	v_cndmask_b32_e64 v48, 0, v44, s[24:25]
	v_cndmask_b32_e64 v46, 0, v45, s[24:25]
	s_waitcnt lgkmcnt(0)
	v_add_co_u32_e64 v40, s[24:25], v48, v40
	v_addc_co_u32_e64 v41, s[24:25], v46, v41, s[24:25]
.LBB1472_147:
	s_or_b64 exec, exec, s[26:27]
	v_cmp_eq_u32_e64 s[24:25], 0, v43
	v_cndmask_b32_e64 v48, 0, v40, s[24:25]
	v_add_u32_e32 v46, v47, v43
	v_cndmask_b32_e64 v43, 0, v41, s[24:25]
	v_add_co_u32_e64 v8, s[24:25], v48, v8
	v_addc_co_u32_e64 v9, s[24:25], v43, v9, s[24:25]
	v_add_u32_e32 v43, -1, v42
	v_and_b32_e32 v48, 64, v42
	v_cmp_lt_i32_e64 s[24:25], v43, v48
	v_cndmask_b32_e64 v43, v43, v42, s[24:25]
	v_lshlrev_b32_e32 v43, 2, v43
	ds_bpermute_b32 v46, v43, v46
	ds_bpermute_b32 v9, v43, v9
	;; [unrolled: 1-line block ×3, first 2 shown]
	v_cmp_eq_u32_e64 s[24:25], 0, v42
	v_cmp_eq_u32_e64 s[26:27], 0, v89
	s_waitcnt lgkmcnt(2)
	v_cndmask_b32_e64 v90, v46, v47, s[24:25]
	s_waitcnt lgkmcnt(1)
	v_cndmask_b32_e64 v71, v9, v41, s[24:25]
	;; [unrolled: 2-line block ×3, first 2 shown]
	v_cmp_eq_u32_e64 s[24:25], 0, v0
	v_cndmask_b32_e64 v8, v70, v44, s[24:25]
	v_cndmask_b32_e64 v9, v71, v45, s[24:25]
	;; [unrolled: 1-line block ×4, first 2 shown]
	v_add_co_u32_e64 v46, s[26:27], v8, v18
	v_addc_co_u32_e64 v47, s[26:27], v9, v19, s[26:27]
	v_cndmask_b32_e64 v9, 0, v46, s[22:23]
	v_cndmask_b32_e64 v8, 0, v47, s[22:23]
	v_add_co_u32_e64 v48, s[22:23], v9, v38
	v_addc_co_u32_e64 v49, s[22:23], v8, v39, s[22:23]
	v_cndmask_b32_e64 v9, 0, v48, s[20:21]
	v_cndmask_b32_e64 v8, 0, v49, s[20:21]
	;; [unrolled: 4-line block ×11, first 2 shown]
	v_add_co_u32_e64 v68, s[0:1], v9, v28
	v_addc_co_u32_e64 v69, s[0:1], v8, v29, s[0:1]
	v_cndmask_b32_e64 v9, 0, v68, s[2:3]
	ds_read_b32 v40, v91 offset:1104
	v_cndmask_b32_e64 v8, 0, v69, s[2:3]
	v_add_co_u32_e64 v72, s[0:1], v9, v6
	v_addc_co_u32_e64 v73, s[0:1], v8, v7, s[0:1]
	ds_read_b64 v[6:7], v91 offset:1112
	v_cndmask_b32_e32 v75, 0, v73, vcc
	v_cndmask_b32_e32 v74, 0, v72, vcc
	s_waitcnt lgkmcnt(1)
	v_cmp_eq_u32_e32 vcc, 0, v40
	v_cndmask_b32_e32 v9, 0, v44, vcc
	v_cndmask_b32_e32 v8, 0, v45, vcc
	s_waitcnt lgkmcnt(0)
	v_add_co_u32_e32 v42, vcc, v9, v6
	v_addc_co_u32_e32 v43, vcc, v8, v7, vcc
	s_and_saveexec_b64 s[0:1], s[24:25]
	s_cbranch_execz .LBB1472_149
; %bb.148:
	v_mov_b32_e32 v90, 0
	v_mov_b32_e32 v6, 2
	v_pk_mov_b32 v[70:71], v[44:45], v[44:45] op_sel:[0,1]
	global_store_dword v90, v40, s[38:39] offset:1024
	global_store_dwordx2 v90, v[42:43], s[38:39] offset:1032
	s_waitcnt vmcnt(0)
	buffer_wbinvl1_vol
	global_store_byte v90, v6, s[40:41] offset:64
.LBB1472_149:
	s_or_b64 exec, exec, s[0:1]
	v_mov_b32_e32 v44, 0
.LBB1472_150:
	s_and_b64 s[0:1], s[42:43], exec
	s_cselect_b32 s1, 0, s51
	s_cselect_b32 s0, 0, s50
	s_cmp_eq_u64 s[0:1], 0
	v_pk_mov_b32 v[8:9], 0, 0
	s_barrier
	s_cbranch_scc1 .LBB1472_152
; %bb.151:
	v_mov_b32_e32 v6, 0
	global_load_dwordx2 v[8:9], v6, s[0:1]
.LBB1472_152:
	s_waitcnt vmcnt(0)
	v_lshlrev_b64 v[6:7], 1, v[8:9]
	v_mov_b32_e32 v10, s53
	v_add_co_u32_e32 v11, vcc, s52, v6
	v_mov_b32_e32 v45, 0
	v_addc_co_u32_e32 v10, vcc, v10, v7, vcc
	v_lshlrev_b64 v[6:7], 1, v[44:45]
	v_add_co_u32_e32 v32, vcc, v11, v6
	v_addc_co_u32_e32 v33, vcc, v10, v7, vcc
	v_cmp_eq_u32_e32 vcc, 0, v89
	v_cndmask_b32_e64 v6, 1, 2, vcc
	v_cmp_eq_u32_e32 vcc, 0, v88
	v_cndmask_b32_e64 v7, 1, 2, vcc
	v_cmp_eq_u32_e32 vcc, 0, v87
	v_and_b32_e32 v6, v7, v6
	v_cndmask_b32_e64 v7, 1, 2, vcc
	v_cmp_eq_u32_e32 vcc, 0, v86
	v_add_u32_e32 v31, v90, v89
	v_and_b32_e32 v6, v6, v7
	v_cndmask_b32_e64 v7, 1, 2, vcc
	v_cmp_eq_u32_e32 vcc, 0, v85
	v_add_u32_e32 v30, v31, v88
	;; [unrolled: 4-line block ×12, first 2 shown]
	v_and_b32_e32 v6, v6, v7
	v_cndmask_b32_e64 v7, 1, 2, vcc
	s_movk_i32 s30, 0x100
	v_add_u32_e32 v13, v14, v77
	v_and_b32_e32 v6, v6, v7
	v_cmp_gt_u32_e32 vcc, s30, v40
	v_add_u32_e32 v12, v13, v76
	v_cmp_ne_u32_e64 s[28:29], 0, v89
	v_cmp_ne_u32_e64 s[26:27], 0, v88
	;; [unrolled: 1-line block ×15, first 2 shown]
	s_mov_b64 s[36:37], -1
	v_cmp_gt_i16_e64 s[30:31], 2, v6
	s_cbranch_vccz .LBB1472_159
; %bb.153:
	s_and_saveexec_b64 s[36:37], s[30:31]
	s_cbranch_execz .LBB1472_158
; %bb.154:
	v_cmp_ne_u16_e32 vcc, 1, v6
	s_mov_b64 s[38:39], 0
	s_and_saveexec_b64 s[30:31], vcc
	s_xor_b64 s[30:31], exec, s[30:31]
	s_cbranch_execnz .LBB1472_203
; %bb.155:
	s_andn2_saveexec_b64 s[30:31], s[30:31]
	s_cbranch_execnz .LBB1472_219
.LBB1472_156:
	s_or_b64 exec, exec, s[30:31]
	s_and_b64 exec, exec, s[38:39]
	s_cbranch_execz .LBB1472_158
.LBB1472_157:
	v_sub_u32_e32 v10, v12, v44
	v_mov_b32_e32 v11, 0
	v_lshlrev_b64 v[10:11], 1, v[10:11]
	v_add_co_u32_e32 v10, vcc, v32, v10
	v_addc_co_u32_e32 v11, vcc, v33, v11, vcc
	global_store_short_d16_hi v[10:11], v24, off
.LBB1472_158:
	s_or_b64 exec, exec, s[36:37]
	s_mov_b64 s[36:37], 0
.LBB1472_159:
	s_and_b64 vcc, exec, s[36:37]
	s_cbranch_vccz .LBB1472_181
; %bb.160:
	v_cmp_gt_i16_e32 vcc, 2, v6
	s_and_saveexec_b64 s[30:31], vcc
	s_cbranch_execz .LBB1472_165
; %bb.161:
	v_cmp_ne_u16_e32 vcc, 1, v6
	s_mov_b64 s[38:39], 0
	s_and_saveexec_b64 s[36:37], vcc
	s_xor_b64 s[36:37], exec, s[36:37]
	s_cbranch_execnz .LBB1472_220
; %bb.162:
	s_andn2_saveexec_b64 s[0:1], s[36:37]
	s_cbranch_execnz .LBB1472_236
.LBB1472_163:
	s_or_b64 exec, exec, s[0:1]
	s_and_b64 exec, exec, s[38:39]
	s_cbranch_execz .LBB1472_165
.LBB1472_164:
	v_sub_u32_e32 v1, v12, v44
	v_lshlrev_b32_e32 v1, 1, v1
	ds_write_b16_d16_hi v1, v24
.LBB1472_165:
	s_or_b64 exec, exec, s[30:31]
	v_cmp_lt_u32_e32 vcc, v0, v40
	s_waitcnt lgkmcnt(0)
	s_barrier
	s_and_saveexec_b64 s[2:3], vcc
	s_cbranch_execz .LBB1472_180
; %bb.166:
	v_xad_u32 v1, v0, -1, v40
	s_movk_i32 s0, 0x1700
	v_cmp_gt_u32_e64 s[4:5], s0, v1
	s_movk_i32 s0, 0x16ff
	v_cmp_lt_u32_e32 vcc, s0, v1
	v_mov_b32_e32 v2, v0
	s_and_saveexec_b64 s[6:7], vcc
	s_cbranch_execz .LBB1472_177
; %bb.167:
	v_sub_u32_e32 v2, v0, v40
	v_or_b32_e32 v2, 0xff, v2
	v_cmp_ge_u32_e32 vcc, v2, v0
	s_mov_b64 s[0:1], -1
	v_mov_b32_e32 v2, v0
	s_and_saveexec_b64 s[8:9], vcc
	s_cbranch_execz .LBB1472_176
; %bb.168:
	v_lshrrev_b32_e32 v22, 8, v1
	v_add_u32_e32 v4, -3, v22
	v_or_b32_e32 v3, 0x300, v0
	v_or_b32_e32 v2, 0x200, v0
	v_lshrrev_b32_e32 v5, 2, v4
	v_or_b32_e32 v1, 0x100, v0
	v_add_u32_e32 v24, 1, v5
	v_cmp_lt_u32_e32 vcc, 11, v4
	v_pk_mov_b32 v[6:7], v[2:3], v[2:3] op_sel:[0,1]
	v_mov_b32_e32 v36, 0
	v_lshlrev_b32_e32 v23, 1, v0
	v_pk_mov_b32 v[4:5], v[0:1], v[0:1] op_sel:[0,1]
	s_and_saveexec_b64 s[10:11], vcc
	s_cbranch_execz .LBB1472_172
; %bb.169:
	v_pk_mov_b32 v[6:7], v[2:3], v[2:3] op_sel:[0,1]
	v_and_b32_e32 v34, 0x7ffffffc, v24
	s_mov_b32 s14, 0
	s_mov_b64 s[12:13], 0
	v_mov_b32_e32 v11, 0
	v_mov_b32_e32 v35, v23
	v_pk_mov_b32 v[4:5], v[0:1], v[0:1] op_sel:[0,1]
.LBB1472_170:                           ; =>This Inner Loop Header: Depth=1
	v_mov_b32_e32 v10, v4
	v_lshlrev_b64 v[104:105], 1, v[10:11]
	v_add_u32_e32 v38, 0x400, v5
	v_mov_b32_e32 v39, v11
	v_add_co_u32_e64 v104, s[0:1], v32, v104
	v_lshlrev_b64 v[38:39], 1, v[38:39]
	v_addc_co_u32_e64 v105, s[0:1], v33, v105, s[0:1]
	v_add_u32_e32 v36, 0x400, v6
	v_mov_b32_e32 v37, v11
	v_add_co_u32_e64 v38, s[0:1], v32, v38
	v_lshlrev_b64 v[106:107], 1, v[36:37]
	v_addc_co_u32_e64 v39, s[0:1], v33, v39, s[0:1]
	v_add_u32_e32 v2, 0x400, v7
	v_mov_b32_e32 v3, v11
	v_add_co_u32_e64 v106, s[0:1], v32, v106
	v_add_u32_e32 v34, -4, v34
	v_mov_b32_e32 v10, v5
	v_lshlrev_b64 v[2:3], 1, v[2:3]
	v_addc_co_u32_e64 v107, s[0:1], v33, v107, s[0:1]
	v_add_u32_e32 v96, 0x800, v5
	v_mov_b32_e32 v97, v11
	s_add_i32 s14, s14, 16
	v_cmp_eq_u32_e32 vcc, 0, v34
	v_lshlrev_b64 v[108:109], 1, v[10:11]
	v_add_co_u32_e64 v2, s[0:1], v32, v2
	v_lshlrev_b64 v[96:97], 1, v[96:97]
	v_mov_b32_e32 v10, v6
	v_addc_co_u32_e64 v3, s[0:1], v33, v3, s[0:1]
	s_or_b64 s[12:13], vcc, s[12:13]
	v_add_co_u32_e32 v108, vcc, v32, v108
	v_add_u32_e32 v94, 0x800, v6
	v_mov_b32_e32 v95, v11
	v_add_co_u32_e64 v96, s[0:1], v32, v96
	v_addc_co_u32_e32 v109, vcc, v33, v109, vcc
	v_lshlrev_b64 v[110:111], 1, v[10:11]
	v_lshlrev_b64 v[94:95], 1, v[94:95]
	v_addc_co_u32_e64 v97, s[0:1], v33, v97, s[0:1]
	v_mov_b32_e32 v10, v7
	v_add_co_u32_e32 v110, vcc, v32, v110
	ds_read_u16 v1, v35
	ds_read_u16 v41, v35 offset:512
	ds_read_u16 v91, v35 offset:1024
	;; [unrolled: 1-line block ×7, first 2 shown]
	v_add_u32_e32 v92, 0x800, v7
	v_mov_b32_e32 v93, v11
	v_add_co_u32_e64 v94, s[0:1], v32, v94
	v_addc_co_u32_e32 v111, vcc, v33, v111, vcc
	v_lshlrev_b64 v[112:113], 1, v[10:11]
	v_lshlrev_b64 v[92:93], 1, v[92:93]
	v_addc_co_u32_e64 v95, s[0:1], v33, v95, s[0:1]
	v_add_u32_e32 v10, 0x400, v4
	v_add_co_u32_e32 v112, vcc, v32, v112
	v_add_u32_e32 v102, 0xc00, v5
	v_mov_b32_e32 v103, v11
	ds_read_u16 v119, v35 offset:4096
	ds_read_u16 v120, v35 offset:4608
	ds_read_u16 v121, v35 offset:5120
	ds_read_u16 v122, v35 offset:5632
	ds_read_u16 v123, v35 offset:6144
	ds_read_u16 v124, v35 offset:6656
	ds_read_u16 v125, v35 offset:7168
	ds_read_u16 v126, v35 offset:7680
	v_add_co_u32_e64 v92, s[0:1], v32, v92
	v_addc_co_u32_e32 v113, vcc, v33, v113, vcc
	s_waitcnt lgkmcnt(14)
	global_store_short v[104:105], v1, off
	global_store_short v[108:109], v41, off
	s_waitcnt lgkmcnt(13)
	global_store_short v[110:111], v91, off
	v_lshlrev_b64 v[104:105], 1, v[10:11]
	v_lshlrev_b64 v[102:103], 1, v[102:103]
	v_addc_co_u32_e64 v93, s[0:1], v33, v93, s[0:1]
	v_add_u32_e32 v10, 0x800, v4
	v_add_co_u32_e32 v104, vcc, v32, v104
	v_add_u32_e32 v100, 0xc00, v6
	v_mov_b32_e32 v101, v11
	v_add_co_u32_e64 v102, s[0:1], v32, v102
	v_addc_co_u32_e32 v105, vcc, v33, v105, vcc
	v_lshlrev_b64 v[108:109], 1, v[10:11]
	v_lshlrev_b64 v[100:101], 1, v[100:101]
	v_addc_co_u32_e64 v103, s[0:1], v33, v103, s[0:1]
	s_waitcnt lgkmcnt(12)
	global_store_short v[112:113], v114, off
	v_add_u32_e32 v10, 0xc00, v4
	s_waitcnt lgkmcnt(11)
	global_store_short v[104:105], v115, off
	s_waitcnt lgkmcnt(10)
	global_store_short v[38:39], v116, off
	;; [unrolled: 2-line block ×4, first 2 shown]
	v_add_co_u32_e32 v2, vcc, v32, v108
	v_add_u32_e32 v98, 0xc00, v7
	v_mov_b32_e32 v99, v11
	v_add_co_u32_e64 v100, s[0:1], v32, v100
	v_addc_co_u32_e32 v3, vcc, v33, v109, vcc
	v_lshlrev_b64 v[38:39], 1, v[10:11]
	v_lshlrev_b64 v[98:99], 1, v[98:99]
	v_addc_co_u32_e64 v101, s[0:1], v33, v101, s[0:1]
	s_waitcnt lgkmcnt(7)
	global_store_short v[2:3], v119, off
	s_waitcnt lgkmcnt(6)
	global_store_short v[96:97], v120, off
	;; [unrolled: 2-line block ×4, first 2 shown]
	v_add_co_u32_e32 v2, vcc, v32, v38
	v_add_u32_e32 v35, 0x2000, v35
	v_add_u32_e32 v5, 0x1000, v5
	v_mov_b32_e32 v36, s14
	v_add_co_u32_e64 v98, s[0:1], v32, v98
	v_add_u32_e32 v6, 0x1000, v6
	v_add_u32_e32 v7, 0x1000, v7
	;; [unrolled: 1-line block ×3, first 2 shown]
	v_addc_co_u32_e32 v3, vcc, v33, v39, vcc
	v_addc_co_u32_e64 v99, s[0:1], v33, v99, s[0:1]
	s_waitcnt lgkmcnt(3)
	global_store_short v[2:3], v123, off
	s_waitcnt lgkmcnt(2)
	global_store_short v[102:103], v124, off
	;; [unrolled: 2-line block ×4, first 2 shown]
	s_andn2_b64 exec, exec, s[12:13]
	s_cbranch_execnz .LBB1472_170
; %bb.171:
	s_or_b64 exec, exec, s[12:13]
.LBB1472_172:
	s_or_b64 exec, exec, s[10:11]
	v_and_b32_e32 v1, 3, v24
	v_cmp_ne_u32_e32 vcc, 0, v1
	s_and_saveexec_b64 s[10:11], vcc
	s_cbranch_execz .LBB1472_175
; %bb.173:
	v_lshl_or_b32 v10, v36, 9, v23
	s_mov_b64 s[12:13], 0
	v_mov_b32_e32 v3, 0
.LBB1472_174:                           ; =>This Inner Loop Header: Depth=1
	v_mov_b32_e32 v2, v4
	v_add_u32_e32 v1, -1, v1
	v_lshlrev_b64 v[34:35], 1, v[2:3]
	v_mov_b32_e32 v2, v5
	v_cmp_eq_u32_e32 vcc, 0, v1
	v_lshlrev_b64 v[36:37], 1, v[2:3]
	ds_read_u16 v11, v10
	ds_read_u16 v23, v10 offset:512
	ds_read_u16 v24, v10 offset:1024
	;; [unrolled: 1-line block ×3, first 2 shown]
	v_mov_b32_e32 v2, v6
	s_or_b64 s[12:13], vcc, s[12:13]
	v_add_co_u32_e32 v36, vcc, v32, v36
	v_addc_co_u32_e32 v37, vcc, v33, v37, vcc
	v_lshlrev_b64 v[38:39], 1, v[2:3]
	v_mov_b32_e32 v2, v7
	v_add_co_u32_e32 v38, vcc, v32, v38
	v_add_co_u32_e64 v34, s[0:1], v32, v34
	v_addc_co_u32_e32 v39, vcc, v33, v39, vcc
	v_lshlrev_b64 v[92:93], 1, v[2:3]
	v_add_u32_e32 v4, 0x400, v4
	v_add_u32_e32 v10, 0x800, v10
	;; [unrolled: 1-line block ×3, first 2 shown]
	v_addc_co_u32_e64 v35, s[0:1], v33, v35, s[0:1]
	v_add_u32_e32 v6, 0x400, v6
	v_add_u32_e32 v7, 0x400, v7
	v_add_co_u32_e32 v92, vcc, v32, v92
	v_addc_co_u32_e32 v93, vcc, v33, v93, vcc
	s_waitcnt lgkmcnt(3)
	global_store_short v[34:35], v11, off
	s_waitcnt lgkmcnt(2)
	global_store_short v[36:37], v23, off
	;; [unrolled: 2-line block ×4, first 2 shown]
	s_andn2_b64 exec, exec, s[12:13]
	s_cbranch_execnz .LBB1472_174
.LBB1472_175:
	s_or_b64 exec, exec, s[10:11]
	v_add_u32_e32 v1, 1, v22
	v_and_b32_e32 v3, 0x1fffffc, v1
	v_cmp_ne_u32_e32 vcc, v1, v3
	v_lshl_or_b32 v2, v3, 8, v0
	s_orn2_b64 s[0:1], vcc, exec
.LBB1472_176:
	s_or_b64 exec, exec, s[8:9]
	s_andn2_b64 s[4:5], s[4:5], exec
	s_and_b64 s[0:1], s[0:1], exec
	s_or_b64 s[4:5], s[4:5], s[0:1]
.LBB1472_177:
	s_or_b64 exec, exec, s[6:7]
	s_and_b64 exec, exec, s[4:5]
	s_cbranch_execz .LBB1472_180
; %bb.178:
	v_lshlrev_b32_e32 v1, 1, v2
	s_mov_b64 s[0:1], 0
	v_mov_b32_e32 v3, 0
.LBB1472_179:                           ; =>This Inner Loop Header: Depth=1
	v_lshlrev_b64 v[4:5], 1, v[2:3]
	ds_read_u16 v6, v1
	v_add_co_u32_e32 v4, vcc, v32, v4
	v_add_u32_e32 v2, 0x100, v2
	v_addc_co_u32_e32 v5, vcc, v33, v5, vcc
	v_cmp_ge_u32_e32 vcc, v2, v40
	v_add_u32_e32 v1, 0x200, v1
	s_or_b64 s[0:1], vcc, s[0:1]
	s_waitcnt lgkmcnt(0)
	global_store_short v[4:5], v6, off
	s_andn2_b64 exec, exec, s[0:1]
	s_cbranch_execnz .LBB1472_179
.LBB1472_180:
	s_or_b64 exec, exec, s[2:3]
.LBB1472_181:
	v_add_co_u32_e32 v2, vcc, v74, v26
	s_cmpk_lg_i32 s33, 0xf00
	v_addc_co_u32_e32 v3, vcc, v75, v27, vcc
	s_cselect_b64 s[0:1], -1, 0
	v_cndmask_b32_e64 v10, 0, 1, s[46:47]
	s_and_b64 s[0:1], s[44:45], s[0:1]
	v_cmp_eq_u32_e32 vcc, 0, v0
	v_sub_u32_e32 v1, v40, v10
	v_cndmask_b32_e64 v4, 0, 1, s[0:1]
	s_and_b64 s[0:1], vcc, s[46:47]
	v_add_u32_e32 v1, v1, v4
	v_cndmask_b32_e64 v4, v89, 0, s[0:1]
	s_mul_hi_u32 s0, s33, 0x88888889
	s_lshr_b32 s0, s0, 3
	v_mad_i32_i24 v5, v0, -15, s33
	v_cmp_eq_u32_e32 vcc, s0, v0
	v_cmp_ne_u32_e64 s[0:1], 0, v5
	v_cndmask_b32_e64 v6, 1, v4, s[0:1]
	v_cmp_ne_u32_e64 s[0:1], 1, v5
	v_cndmask_b32_e64 v7, 1, v88, s[0:1]
	;; [unrolled: 2-line block ×15, first 2 shown]
	s_and_b64 vcc, s[44:45], vcc
	v_cndmask_b32_e32 v25, v25, v5, vcc
	v_cndmask_b32_e32 v39, v4, v6, vcc
	v_lshlrev_b64 v[4:5], 3, v[8:9]
	v_cndmask_b32_e32 v37, v76, v37, vcc
	v_cndmask_b32_e32 v36, v77, v36, vcc
	;; [unrolled: 1-line block ×13, first 2 shown]
	v_mov_b32_e32 v6, s55
	v_add_co_u32_e32 v7, vcc, s54, v4
	v_addc_co_u32_e32 v6, vcc, v6, v5, vcc
	v_lshlrev_b64 v[4:5], 3, v[44:45]
	v_add_co_u32_e32 v4, vcc, v7, v4
	v_addc_co_u32_e32 v5, vcc, v6, v5, vcc
	v_lshlrev_b32_e32 v6, 3, v10
	v_add_co_u32_e32 v6, vcc, v6, v4
	v_addc_co_u32_e32 v7, vcc, 0, v5, vcc
	v_add_co_u32_e32 v6, vcc, -8, v6
	v_addc_co_u32_e32 v7, vcc, -1, v7, vcc
	v_cmp_eq_u32_e32 vcc, 0, v39
	v_cmp_ne_u32_e64 s[28:29], 0, v39
	v_cndmask_b32_e64 v39, 1, 2, vcc
	v_cmp_eq_u32_e32 vcc, 0, v38
	v_cmp_ne_u32_e64 s[26:27], 0, v38
	v_cndmask_b32_e64 v38, 1, 2, vcc
	v_cmp_eq_u32_e32 vcc, 0, v11
	v_and_b32_e32 v38, v38, v39
	v_cmp_ne_u32_e64 s[24:25], 0, v11
	v_cndmask_b32_e64 v11, 1, 2, vcc
	v_cmp_eq_u32_e32 vcc, 0, v22
	v_and_b32_e32 v11, v38, v11
	;; [unrolled: 4-line block ×3, first 2 shown]
	v_cndmask_b32_e64 v22, 1, 2, vcc
	v_cmp_eq_u32_e32 vcc, 0, v24
	v_and_b32_e32 v11, v11, v22
	v_cndmask_b32_e64 v22, 1, 2, vcc
	v_cmp_eq_u32_e32 vcc, 0, v26
	v_and_b32_e32 v11, v11, v22
	;; [unrolled: 3-line block ×10, first 2 shown]
	v_cndmask_b32_e64 v22, 1, 2, vcc
	s_movk_i32 s30, 0x100
	v_and_b32_e32 v11, v11, v22
	v_cmp_gt_u32_e32 vcc, s30, v1
	v_add_u32_e32 v10, v44, v10
	v_cmp_ne_u32_e64 s[20:21], 0, v23
	v_cmp_ne_u32_e64 s[18:19], 0, v24
	v_cmp_ne_u32_e64 s[16:17], 0, v26
	v_cmp_ne_u32_e64 s[14:15], 0, v27
	v_cmp_ne_u32_e64 s[12:13], 0, v32
	v_cmp_ne_u32_e64 s[10:11], 0, v33
	v_cmp_ne_u32_e64 s[8:9], 0, v34
	v_cmp_ne_u32_e64 s[6:7], 0, v35
	v_cmp_ne_u32_e64 s[4:5], 0, v36
	v_cmp_ne_u32_e64 s[2:3], 0, v37
	v_cmp_ne_u32_e64 s[0:1], 0, v25
	s_mov_b64 s[36:37], -1
	v_cmp_gt_i16_e64 s[30:31], 2, v11
	s_barrier
	s_cbranch_vccz .LBB1472_188
; %bb.182:
	s_and_saveexec_b64 s[36:37], s[30:31]
	s_cbranch_execz .LBB1472_187
; %bb.183:
	v_cmp_ne_u16_e32 vcc, 1, v11
	s_mov_b64 s[38:39], 0
	s_and_saveexec_b64 s[30:31], vcc
	s_xor_b64 s[30:31], exec, s[30:31]
	s_cbranch_execnz .LBB1472_237
; %bb.184:
	s_andn2_saveexec_b64 s[30:31], s[30:31]
	s_cbranch_execnz .LBB1472_253
.LBB1472_185:
	s_or_b64 exec, exec, s[30:31]
	s_and_b64 exec, exec, s[38:39]
	s_cbranch_execz .LBB1472_187
.LBB1472_186:
	v_sub_u32_e32 v22, v12, v10
	v_mov_b32_e32 v23, 0
	v_lshlrev_b64 v[22:23], 3, v[22:23]
	v_add_co_u32_e32 v22, vcc, v6, v22
	v_addc_co_u32_e32 v23, vcc, v7, v23, vcc
	global_store_dwordx2 v[22:23], v[2:3], off
.LBB1472_187:
	s_or_b64 exec, exec, s[36:37]
	s_mov_b64 s[36:37], 0
.LBB1472_188:
	s_and_b64 vcc, exec, s[36:37]
	s_cbranch_vccz .LBB1472_198
; %bb.189:
	v_cmp_gt_i16_e32 vcc, 2, v11
	s_and_saveexec_b64 s[30:31], vcc
	s_cbranch_execz .LBB1472_194
; %bb.190:
	v_cmp_ne_u16_e32 vcc, 1, v11
	s_mov_b64 s[38:39], 0
	s_and_saveexec_b64 s[36:37], vcc
	s_xor_b64 s[36:37], exec, s[36:37]
	s_cbranch_execnz .LBB1472_254
; %bb.191:
	s_andn2_saveexec_b64 s[0:1], s[36:37]
	s_cbranch_execnz .LBB1472_270
.LBB1472_192:
	s_or_b64 exec, exec, s[0:1]
	s_and_b64 exec, exec, s[38:39]
	s_cbranch_execz .LBB1472_194
.LBB1472_193:
	v_sub_u32_e32 v10, v12, v10
	v_lshlrev_b32_e32 v10, 3, v10
	ds_write_b64 v10, v[2:3]
.LBB1472_194:
	s_or_b64 exec, exec, s[30:31]
	v_cmp_lt_u32_e32 vcc, v0, v1
	s_waitcnt lgkmcnt(0)
	s_barrier
	s_and_saveexec_b64 s[0:1], vcc
	s_cbranch_execz .LBB1472_197
; %bb.195:
	v_lshlrev_b32_e32 v10, 3, v0
	s_mov_b64 s[2:3], 0
	v_mov_b32_e32 v3, 0
	v_mov_b32_e32 v2, v0
.LBB1472_196:                           ; =>This Inner Loop Header: Depth=1
	v_lshlrev_b64 v[12:13], 3, v[2:3]
	ds_read_b64 v[14:15], v10
	v_add_co_u32_e32 v12, vcc, v6, v12
	v_add_u32_e32 v2, 0x100, v2
	v_addc_co_u32_e32 v13, vcc, v7, v13, vcc
	v_cmp_ge_u32_e32 vcc, v2, v1
	v_add_u32_e32 v10, 0x800, v10
	s_or_b64 s[2:3], vcc, s[2:3]
	s_waitcnt lgkmcnt(0)
	global_store_dwordx2 v[12:13], v[14:15], off
	s_andn2_b64 exec, exec, s[2:3]
	s_cbranch_execnz .LBB1472_196
.LBB1472_197:
	s_or_b64 exec, exec, s[0:1]
.LBB1472_198:
	s_movk_i32 s0, 0xff
	v_cmp_eq_u32_e32 vcc, s0, v0
	s_and_b64 s[0:1], vcc, s[44:45]
	s_and_saveexec_b64 s[2:3], s[0:1]
	s_cbranch_execz .LBB1472_201
; %bb.199:
	v_add_co_u32_e32 v0, vcc, v40, v44
	v_addc_co_u32_e64 v1, s[0:1], 0, 0, vcc
	v_add_co_u32_e32 v0, vcc, v0, v8
	v_mov_b32_e32 v41, 0
	v_addc_co_u32_e32 v1, vcc, v1, v9, vcc
	s_cmpk_lg_i32 s33, 0xf00
	global_store_dwordx2 v41, v[0:1], s[34:35]
	s_cbranch_scc1 .LBB1472_201
; %bb.200:
	v_lshlrev_b64 v[0:1], 3, v[40:41]
	v_add_co_u32_e32 v0, vcc, v4, v0
	v_addc_co_u32_e32 v1, vcc, v5, v1, vcc
	global_store_dwordx2 v[0:1], v[42:43], off offset:-8
.LBB1472_201:
	s_endpgm
.LBB1472_202:
	s_or_b64 exec, exec, s[2:3]
	v_mov_b32_e32 v89, s7
	s_and_saveexec_b64 s[2:3], s[4:5]
	s_cbranch_execnz .LBB1472_54
	s_branch .LBB1472_55
.LBB1472_203:
	s_and_saveexec_b64 s[38:39], s[28:29]
	s_cbranch_execnz .LBB1472_271
; %bb.204:
	s_or_b64 exec, exec, s[38:39]
	s_and_saveexec_b64 s[38:39], s[26:27]
	s_cbranch_execnz .LBB1472_272
.LBB1472_205:
	s_or_b64 exec, exec, s[38:39]
	s_and_saveexec_b64 s[38:39], s[24:25]
	s_cbranch_execnz .LBB1472_273
.LBB1472_206:
	s_or_b64 exec, exec, s[38:39]
	s_and_saveexec_b64 s[38:39], s[22:23]
	s_cbranch_execnz .LBB1472_274
.LBB1472_207:
	s_or_b64 exec, exec, s[38:39]
	s_and_saveexec_b64 s[38:39], s[20:21]
	s_cbranch_execnz .LBB1472_275
.LBB1472_208:
	s_or_b64 exec, exec, s[38:39]
	s_and_saveexec_b64 s[38:39], s[18:19]
	s_cbranch_execnz .LBB1472_276
.LBB1472_209:
	s_or_b64 exec, exec, s[38:39]
	s_and_saveexec_b64 s[38:39], s[16:17]
	s_cbranch_execnz .LBB1472_277
.LBB1472_210:
	s_or_b64 exec, exec, s[38:39]
	s_and_saveexec_b64 s[38:39], s[14:15]
	s_cbranch_execnz .LBB1472_278
.LBB1472_211:
	s_or_b64 exec, exec, s[38:39]
	s_and_saveexec_b64 s[38:39], s[12:13]
	s_cbranch_execnz .LBB1472_279
.LBB1472_212:
	s_or_b64 exec, exec, s[38:39]
	s_and_saveexec_b64 s[38:39], s[10:11]
	s_cbranch_execnz .LBB1472_280
.LBB1472_213:
	s_or_b64 exec, exec, s[38:39]
	s_and_saveexec_b64 s[38:39], s[8:9]
	s_cbranch_execnz .LBB1472_281
.LBB1472_214:
	s_or_b64 exec, exec, s[38:39]
	s_and_saveexec_b64 s[38:39], s[6:7]
	s_cbranch_execnz .LBB1472_282
.LBB1472_215:
	s_or_b64 exec, exec, s[38:39]
	s_and_saveexec_b64 s[38:39], s[4:5]
	s_cbranch_execnz .LBB1472_283
.LBB1472_216:
	s_or_b64 exec, exec, s[38:39]
	s_and_saveexec_b64 s[38:39], s[2:3]
	s_cbranch_execz .LBB1472_218
.LBB1472_217:
	v_sub_u32_e32 v10, v13, v44
	v_mov_b32_e32 v11, 0
	v_lshlrev_b64 v[10:11], 1, v[10:11]
	v_add_co_u32_e32 v10, vcc, v32, v10
	v_addc_co_u32_e32 v11, vcc, v33, v11, vcc
	global_store_short v[10:11], v24, off
.LBB1472_218:
	s_or_b64 exec, exec, s[38:39]
	s_and_b64 s[38:39], s[0:1], exec
	s_andn2_saveexec_b64 s[30:31], s[30:31]
	s_cbranch_execz .LBB1472_156
.LBB1472_219:
	v_sub_u32_e32 v10, v90, v44
	v_mov_b32_e32 v11, 0
	v_lshlrev_b64 v[34:35], 1, v[10:11]
	v_add_co_u32_e32 v34, vcc, v32, v34
	v_addc_co_u32_e32 v35, vcc, v33, v35, vcc
	v_sub_u32_e32 v10, v31, v44
	global_store_short v[34:35], v1, off
	v_lshlrev_b64 v[34:35], 1, v[10:11]
	v_add_co_u32_e32 v34, vcc, v32, v34
	v_addc_co_u32_e32 v35, vcc, v33, v35, vcc
	v_sub_u32_e32 v10, v30, v44
	global_store_short v[34:35], v2, off
	v_lshlrev_b64 v[34:35], 1, v[10:11]
	v_add_co_u32_e32 v34, vcc, v32, v34
	v_addc_co_u32_e32 v35, vcc, v33, v35, vcc
	v_sub_u32_e32 v10, v29, v44
	global_store_short_d16_hi v[34:35], v2, off
	v_lshlrev_b64 v[34:35], 1, v[10:11]
	v_add_co_u32_e32 v34, vcc, v32, v34
	v_addc_co_u32_e32 v35, vcc, v33, v35, vcc
	v_sub_u32_e32 v10, v28, v44
	global_store_short v[34:35], v3, off
	v_lshlrev_b64 v[34:35], 1, v[10:11]
	v_add_co_u32_e32 v34, vcc, v32, v34
	v_addc_co_u32_e32 v35, vcc, v33, v35, vcc
	v_sub_u32_e32 v10, v21, v44
	global_store_short_d16_hi v[34:35], v3, off
	;; [unrolled: 10-line block ×5, first 2 shown]
	v_lshlrev_b64 v[34:35], 1, v[10:11]
	v_add_co_u32_e32 v34, vcc, v32, v34
	v_addc_co_u32_e32 v35, vcc, v33, v35, vcc
	v_sub_u32_e32 v10, v14, v44
	global_store_short v[34:35], v23, off
	v_lshlrev_b64 v[34:35], 1, v[10:11]
	v_add_co_u32_e32 v34, vcc, v32, v34
	v_sub_u32_e32 v10, v13, v44
	v_addc_co_u32_e32 v35, vcc, v33, v35, vcc
	v_lshlrev_b64 v[10:11], 1, v[10:11]
	v_add_co_u32_e32 v10, vcc, v32, v10
	v_addc_co_u32_e32 v11, vcc, v33, v11, vcc
	s_or_b64 s[38:39], s[38:39], exec
	global_store_short_d16_hi v[34:35], v23, off
	global_store_short v[10:11], v24, off
	s_or_b64 exec, exec, s[30:31]
	s_and_b64 exec, exec, s[38:39]
	s_cbranch_execnz .LBB1472_157
	s_branch .LBB1472_158
.LBB1472_220:
	s_and_saveexec_b64 s[38:39], s[28:29]
	s_cbranch_execnz .LBB1472_284
; %bb.221:
	s_or_b64 exec, exec, s[38:39]
	s_and_saveexec_b64 s[28:29], s[26:27]
	s_cbranch_execnz .LBB1472_285
.LBB1472_222:
	s_or_b64 exec, exec, s[28:29]
	s_and_saveexec_b64 s[26:27], s[24:25]
	s_cbranch_execnz .LBB1472_286
.LBB1472_223:
	s_or_b64 exec, exec, s[26:27]
	s_and_saveexec_b64 s[24:25], s[22:23]
	s_cbranch_execnz .LBB1472_287
.LBB1472_224:
	s_or_b64 exec, exec, s[24:25]
	s_and_saveexec_b64 s[22:23], s[20:21]
	s_cbranch_execnz .LBB1472_288
.LBB1472_225:
	s_or_b64 exec, exec, s[22:23]
	s_and_saveexec_b64 s[20:21], s[18:19]
	s_cbranch_execnz .LBB1472_289
.LBB1472_226:
	s_or_b64 exec, exec, s[20:21]
	s_and_saveexec_b64 s[18:19], s[16:17]
	s_cbranch_execnz .LBB1472_290
.LBB1472_227:
	s_or_b64 exec, exec, s[18:19]
	s_and_saveexec_b64 s[16:17], s[14:15]
	s_cbranch_execnz .LBB1472_291
.LBB1472_228:
	s_or_b64 exec, exec, s[16:17]
	s_and_saveexec_b64 s[14:15], s[12:13]
	s_cbranch_execnz .LBB1472_292
.LBB1472_229:
	s_or_b64 exec, exec, s[14:15]
	s_and_saveexec_b64 s[12:13], s[10:11]
	s_cbranch_execnz .LBB1472_293
.LBB1472_230:
	s_or_b64 exec, exec, s[12:13]
	s_and_saveexec_b64 s[10:11], s[8:9]
	s_cbranch_execnz .LBB1472_294
.LBB1472_231:
	s_or_b64 exec, exec, s[10:11]
	s_and_saveexec_b64 s[8:9], s[6:7]
	s_cbranch_execnz .LBB1472_295
.LBB1472_232:
	s_or_b64 exec, exec, s[8:9]
	s_and_saveexec_b64 s[6:7], s[4:5]
	s_cbranch_execnz .LBB1472_296
.LBB1472_233:
	s_or_b64 exec, exec, s[6:7]
	s_and_saveexec_b64 s[4:5], s[2:3]
	s_cbranch_execz .LBB1472_235
.LBB1472_234:
	v_sub_u32_e32 v1, v13, v44
	v_lshlrev_b32_e32 v1, 1, v1
	ds_write_b16 v1, v24
.LBB1472_235:
	s_or_b64 exec, exec, s[4:5]
	s_and_b64 s[38:39], s[0:1], exec
                                        ; implicit-def: $vgpr1
                                        ; implicit-def: $vgpr2
	s_andn2_saveexec_b64 s[0:1], s[36:37]
	s_cbranch_execz .LBB1472_163
.LBB1472_236:
	v_sub_u32_e32 v6, v90, v44
	v_lshlrev_b32_e32 v6, 1, v6
	ds_write_b16 v6, v1
	v_sub_u32_e32 v1, v31, v44
	v_lshlrev_b32_e32 v1, 1, v1
	ds_write_b16 v1, v2
	v_sub_u32_e32 v1, v30, v44
	v_lshlrev_b32_e32 v1, 1, v1
	ds_write_b16_d16_hi v1, v2
	v_sub_u32_e32 v1, v29, v44
	v_lshlrev_b32_e32 v1, 1, v1
	ds_write_b16 v1, v3
	v_sub_u32_e32 v1, v28, v44
	v_lshlrev_b32_e32 v1, 1, v1
	ds_write_b16_d16_hi v1, v3
	v_sub_u32_e32 v1, v21, v44
	v_lshlrev_b32_e32 v1, 1, v1
	ds_write_b16 v1, v4
	v_sub_u32_e32 v1, v20, v44
	v_lshlrev_b32_e32 v1, 1, v1
	ds_write_b16_d16_hi v1, v4
	v_sub_u32_e32 v1, v19, v44
	v_lshlrev_b32_e32 v1, 1, v1
	ds_write_b16 v1, v5
	v_sub_u32_e32 v1, v18, v44
	v_lshlrev_b32_e32 v1, 1, v1
	ds_write_b16_d16_hi v1, v5
	v_sub_u32_e32 v1, v17, v44
	v_lshlrev_b32_e32 v1, 1, v1
	ds_write_b16 v1, v22
	v_sub_u32_e32 v1, v16, v44
	v_lshlrev_b32_e32 v1, 1, v1
	ds_write_b16_d16_hi v1, v22
	v_sub_u32_e32 v1, v15, v44
	v_lshlrev_b32_e32 v1, 1, v1
	ds_write_b16 v1, v23
	v_sub_u32_e32 v1, v14, v44
	v_lshlrev_b32_e32 v1, 1, v1
	ds_write_b16_d16_hi v1, v23
	v_sub_u32_e32 v1, v13, v44
	v_lshlrev_b32_e32 v1, 1, v1
	s_or_b64 s[38:39], s[38:39], exec
	ds_write_b16 v1, v24
	s_or_b64 exec, exec, s[0:1]
	s_and_b64 exec, exec, s[38:39]
	s_cbranch_execnz .LBB1472_164
	s_branch .LBB1472_165
.LBB1472_237:
	s_and_saveexec_b64 s[38:39], s[28:29]
	s_cbranch_execnz .LBB1472_297
; %bb.238:
	s_or_b64 exec, exec, s[38:39]
	s_and_saveexec_b64 s[38:39], s[26:27]
	s_cbranch_execnz .LBB1472_298
.LBB1472_239:
	s_or_b64 exec, exec, s[38:39]
	s_and_saveexec_b64 s[38:39], s[24:25]
	s_cbranch_execnz .LBB1472_299
.LBB1472_240:
	s_or_b64 exec, exec, s[38:39]
	s_and_saveexec_b64 s[38:39], s[22:23]
	s_cbranch_execnz .LBB1472_300
.LBB1472_241:
	s_or_b64 exec, exec, s[38:39]
	s_and_saveexec_b64 s[38:39], s[20:21]
	s_cbranch_execnz .LBB1472_301
.LBB1472_242:
	s_or_b64 exec, exec, s[38:39]
	s_and_saveexec_b64 s[38:39], s[18:19]
	s_cbranch_execnz .LBB1472_302
.LBB1472_243:
	s_or_b64 exec, exec, s[38:39]
	s_and_saveexec_b64 s[38:39], s[16:17]
	s_cbranch_execnz .LBB1472_303
.LBB1472_244:
	s_or_b64 exec, exec, s[38:39]
	s_and_saveexec_b64 s[38:39], s[14:15]
	s_cbranch_execnz .LBB1472_304
.LBB1472_245:
	s_or_b64 exec, exec, s[38:39]
	s_and_saveexec_b64 s[38:39], s[12:13]
	s_cbranch_execnz .LBB1472_305
.LBB1472_246:
	s_or_b64 exec, exec, s[38:39]
	s_and_saveexec_b64 s[38:39], s[10:11]
	s_cbranch_execnz .LBB1472_306
.LBB1472_247:
	s_or_b64 exec, exec, s[38:39]
	s_and_saveexec_b64 s[38:39], s[8:9]
	s_cbranch_execnz .LBB1472_307
.LBB1472_248:
	s_or_b64 exec, exec, s[38:39]
	s_and_saveexec_b64 s[38:39], s[6:7]
	s_cbranch_execnz .LBB1472_308
.LBB1472_249:
	s_or_b64 exec, exec, s[38:39]
	s_and_saveexec_b64 s[38:39], s[4:5]
	s_cbranch_execnz .LBB1472_309
.LBB1472_250:
	s_or_b64 exec, exec, s[38:39]
	s_and_saveexec_b64 s[38:39], s[2:3]
	s_cbranch_execz .LBB1472_252
.LBB1472_251:
	v_sub_u32_e32 v22, v13, v10
	v_mov_b32_e32 v23, 0
	v_lshlrev_b64 v[22:23], 3, v[22:23]
	v_add_co_u32_e32 v22, vcc, v6, v22
	v_addc_co_u32_e32 v23, vcc, v7, v23, vcc
	global_store_dwordx2 v[22:23], v[72:73], off
.LBB1472_252:
	s_or_b64 exec, exec, s[38:39]
	s_and_b64 s[38:39], s[0:1], exec
	s_andn2_saveexec_b64 s[30:31], s[30:31]
	s_cbranch_execz .LBB1472_185
.LBB1472_253:
	v_sub_u32_e32 v22, v90, v10
	v_mov_b32_e32 v23, 0
	v_lshlrev_b64 v[24:25], 3, v[22:23]
	v_add_co_u32_e32 v24, vcc, v6, v24
	v_addc_co_u32_e32 v25, vcc, v7, v25, vcc
	v_sub_u32_e32 v22, v31, v10
	global_store_dwordx2 v[24:25], v[70:71], off
	v_lshlrev_b64 v[24:25], 3, v[22:23]
	v_add_co_u32_e32 v24, vcc, v6, v24
	v_addc_co_u32_e32 v25, vcc, v7, v25, vcc
	v_sub_u32_e32 v22, v30, v10
	global_store_dwordx2 v[24:25], v[46:47], off
	;; [unrolled: 5-line block ×12, first 2 shown]
	v_lshlrev_b64 v[24:25], 3, v[22:23]
	v_add_co_u32_e32 v24, vcc, v6, v24
	v_sub_u32_e32 v22, v13, v10
	v_addc_co_u32_e32 v25, vcc, v7, v25, vcc
	v_lshlrev_b64 v[22:23], 3, v[22:23]
	v_add_co_u32_e32 v22, vcc, v6, v22
	v_addc_co_u32_e32 v23, vcc, v7, v23, vcc
	s_or_b64 s[38:39], s[38:39], exec
	global_store_dwordx2 v[24:25], v[68:69], off
	global_store_dwordx2 v[22:23], v[72:73], off
	s_or_b64 exec, exec, s[30:31]
	s_and_b64 exec, exec, s[38:39]
	s_cbranch_execnz .LBB1472_186
	s_branch .LBB1472_187
.LBB1472_254:
	s_and_saveexec_b64 s[38:39], s[28:29]
	s_cbranch_execnz .LBB1472_310
; %bb.255:
	s_or_b64 exec, exec, s[38:39]
	s_and_saveexec_b64 s[28:29], s[26:27]
	s_cbranch_execnz .LBB1472_311
.LBB1472_256:
	s_or_b64 exec, exec, s[28:29]
	s_and_saveexec_b64 s[26:27], s[24:25]
	s_cbranch_execnz .LBB1472_312
.LBB1472_257:
	s_or_b64 exec, exec, s[26:27]
	s_and_saveexec_b64 s[24:25], s[22:23]
	s_cbranch_execnz .LBB1472_313
.LBB1472_258:
	s_or_b64 exec, exec, s[24:25]
	s_and_saveexec_b64 s[22:23], s[20:21]
	s_cbranch_execnz .LBB1472_314
.LBB1472_259:
	s_or_b64 exec, exec, s[22:23]
	s_and_saveexec_b64 s[20:21], s[18:19]
	s_cbranch_execnz .LBB1472_315
.LBB1472_260:
	s_or_b64 exec, exec, s[20:21]
	s_and_saveexec_b64 s[18:19], s[16:17]
	s_cbranch_execnz .LBB1472_316
.LBB1472_261:
	s_or_b64 exec, exec, s[18:19]
	s_and_saveexec_b64 s[16:17], s[14:15]
	s_cbranch_execnz .LBB1472_317
.LBB1472_262:
	s_or_b64 exec, exec, s[16:17]
	s_and_saveexec_b64 s[14:15], s[12:13]
	s_cbranch_execnz .LBB1472_318
.LBB1472_263:
	s_or_b64 exec, exec, s[14:15]
	s_and_saveexec_b64 s[12:13], s[10:11]
	s_cbranch_execnz .LBB1472_319
.LBB1472_264:
	s_or_b64 exec, exec, s[12:13]
	s_and_saveexec_b64 s[10:11], s[8:9]
	s_cbranch_execnz .LBB1472_320
.LBB1472_265:
	s_or_b64 exec, exec, s[10:11]
	s_and_saveexec_b64 s[8:9], s[6:7]
	s_cbranch_execnz .LBB1472_321
.LBB1472_266:
	s_or_b64 exec, exec, s[8:9]
	s_and_saveexec_b64 s[6:7], s[4:5]
	s_cbranch_execnz .LBB1472_322
.LBB1472_267:
	s_or_b64 exec, exec, s[6:7]
	s_and_saveexec_b64 s[4:5], s[2:3]
	s_cbranch_execz .LBB1472_269
.LBB1472_268:
	v_sub_u32_e32 v11, v13, v10
	v_lshlrev_b32_e32 v11, 3, v11
	ds_write_b64 v11, v[72:73]
.LBB1472_269:
	s_or_b64 exec, exec, s[4:5]
	s_and_b64 s[38:39], s[0:1], exec
                                        ; implicit-def: $vgpr70_vgpr71
                                        ; implicit-def: $vgpr46_vgpr47
                                        ; implicit-def: $vgpr48_vgpr49
                                        ; implicit-def: $vgpr50_vgpr51
                                        ; implicit-def: $vgpr52_vgpr53
                                        ; implicit-def: $vgpr54_vgpr55
                                        ; implicit-def: $vgpr56_vgpr57
                                        ; implicit-def: $vgpr58_vgpr59
                                        ; implicit-def: $vgpr60_vgpr61
                                        ; implicit-def: $vgpr62_vgpr63
                                        ; implicit-def: $vgpr64_vgpr65
                                        ; implicit-def: $vgpr66_vgpr67
                                        ; implicit-def: $vgpr68_vgpr69
                                        ; implicit-def: $vgpr72_vgpr73
                                        ; implicit-def: $vgpr90
                                        ; implicit-def: $vgpr31
                                        ; implicit-def: $vgpr30
                                        ; implicit-def: $vgpr29
                                        ; implicit-def: $vgpr28
                                        ; implicit-def: $vgpr21
                                        ; implicit-def: $vgpr20
                                        ; implicit-def: $vgpr19
                                        ; implicit-def: $vgpr18
                                        ; implicit-def: $vgpr17
                                        ; implicit-def: $vgpr16
                                        ; implicit-def: $vgpr15
                                        ; implicit-def: $vgpr14
                                        ; implicit-def: $vgpr13
	s_andn2_saveexec_b64 s[0:1], s[36:37]
	s_cbranch_execz .LBB1472_192
.LBB1472_270:
	v_sub_u32_e32 v11, v90, v10
	v_lshlrev_b32_e32 v11, 3, v11
	ds_write_b64 v11, v[70:71]
	v_sub_u32_e32 v11, v31, v10
	v_lshlrev_b32_e32 v11, 3, v11
	ds_write_b64 v11, v[46:47]
	;; [unrolled: 3-line block ×13, first 2 shown]
	v_sub_u32_e32 v11, v13, v10
	v_lshlrev_b32_e32 v11, 3, v11
	s_or_b64 s[38:39], s[38:39], exec
	ds_write_b64 v11, v[72:73]
	s_or_b64 exec, exec, s[0:1]
	s_and_b64 exec, exec, s[38:39]
	s_cbranch_execnz .LBB1472_193
	s_branch .LBB1472_194
.LBB1472_271:
	v_sub_u32_e32 v10, v90, v44
	v_mov_b32_e32 v11, 0
	v_lshlrev_b64 v[10:11], 1, v[10:11]
	v_add_co_u32_e32 v10, vcc, v32, v10
	v_addc_co_u32_e32 v11, vcc, v33, v11, vcc
	global_store_short v[10:11], v1, off
	s_or_b64 exec, exec, s[38:39]
	s_and_saveexec_b64 s[38:39], s[26:27]
	s_cbranch_execz .LBB1472_205
.LBB1472_272:
	v_sub_u32_e32 v10, v31, v44
	v_mov_b32_e32 v11, 0
	v_lshlrev_b64 v[10:11], 1, v[10:11]
	v_add_co_u32_e32 v10, vcc, v32, v10
	v_addc_co_u32_e32 v11, vcc, v33, v11, vcc
	global_store_short v[10:11], v2, off
	s_or_b64 exec, exec, s[38:39]
	s_and_saveexec_b64 s[38:39], s[24:25]
	s_cbranch_execz .LBB1472_206
.LBB1472_273:
	v_sub_u32_e32 v10, v30, v44
	v_mov_b32_e32 v11, 0
	v_lshlrev_b64 v[10:11], 1, v[10:11]
	v_add_co_u32_e32 v10, vcc, v32, v10
	v_addc_co_u32_e32 v11, vcc, v33, v11, vcc
	global_store_short_d16_hi v[10:11], v2, off
	s_or_b64 exec, exec, s[38:39]
	s_and_saveexec_b64 s[38:39], s[22:23]
	s_cbranch_execz .LBB1472_207
.LBB1472_274:
	v_sub_u32_e32 v10, v29, v44
	v_mov_b32_e32 v11, 0
	v_lshlrev_b64 v[10:11], 1, v[10:11]
	v_add_co_u32_e32 v10, vcc, v32, v10
	v_addc_co_u32_e32 v11, vcc, v33, v11, vcc
	global_store_short v[10:11], v3, off
	s_or_b64 exec, exec, s[38:39]
	s_and_saveexec_b64 s[38:39], s[20:21]
	s_cbranch_execz .LBB1472_208
.LBB1472_275:
	v_sub_u32_e32 v10, v28, v44
	v_mov_b32_e32 v11, 0
	v_lshlrev_b64 v[10:11], 1, v[10:11]
	v_add_co_u32_e32 v10, vcc, v32, v10
	v_addc_co_u32_e32 v11, vcc, v33, v11, vcc
	global_store_short_d16_hi v[10:11], v3, off
	s_or_b64 exec, exec, s[38:39]
	s_and_saveexec_b64 s[38:39], s[18:19]
	s_cbranch_execz .LBB1472_209
.LBB1472_276:
	v_sub_u32_e32 v10, v21, v44
	v_mov_b32_e32 v11, 0
	v_lshlrev_b64 v[10:11], 1, v[10:11]
	v_add_co_u32_e32 v10, vcc, v32, v10
	v_addc_co_u32_e32 v11, vcc, v33, v11, vcc
	global_store_short v[10:11], v4, off
	s_or_b64 exec, exec, s[38:39]
	s_and_saveexec_b64 s[38:39], s[16:17]
	s_cbranch_execz .LBB1472_210
.LBB1472_277:
	v_sub_u32_e32 v10, v20, v44
	v_mov_b32_e32 v11, 0
	v_lshlrev_b64 v[10:11], 1, v[10:11]
	v_add_co_u32_e32 v10, vcc, v32, v10
	v_addc_co_u32_e32 v11, vcc, v33, v11, vcc
	global_store_short_d16_hi v[10:11], v4, off
	s_or_b64 exec, exec, s[38:39]
	s_and_saveexec_b64 s[38:39], s[14:15]
	s_cbranch_execz .LBB1472_211
.LBB1472_278:
	v_sub_u32_e32 v10, v19, v44
	v_mov_b32_e32 v11, 0
	v_lshlrev_b64 v[10:11], 1, v[10:11]
	v_add_co_u32_e32 v10, vcc, v32, v10
	v_addc_co_u32_e32 v11, vcc, v33, v11, vcc
	global_store_short v[10:11], v5, off
	s_or_b64 exec, exec, s[38:39]
	s_and_saveexec_b64 s[38:39], s[12:13]
	s_cbranch_execz .LBB1472_212
.LBB1472_279:
	v_sub_u32_e32 v10, v18, v44
	v_mov_b32_e32 v11, 0
	v_lshlrev_b64 v[10:11], 1, v[10:11]
	v_add_co_u32_e32 v10, vcc, v32, v10
	v_addc_co_u32_e32 v11, vcc, v33, v11, vcc
	global_store_short_d16_hi v[10:11], v5, off
	s_or_b64 exec, exec, s[38:39]
	s_and_saveexec_b64 s[38:39], s[10:11]
	s_cbranch_execz .LBB1472_213
.LBB1472_280:
	v_sub_u32_e32 v10, v17, v44
	v_mov_b32_e32 v11, 0
	v_lshlrev_b64 v[10:11], 1, v[10:11]
	v_add_co_u32_e32 v10, vcc, v32, v10
	v_addc_co_u32_e32 v11, vcc, v33, v11, vcc
	global_store_short v[10:11], v22, off
	s_or_b64 exec, exec, s[38:39]
	s_and_saveexec_b64 s[38:39], s[8:9]
	s_cbranch_execz .LBB1472_214
.LBB1472_281:
	v_sub_u32_e32 v10, v16, v44
	v_mov_b32_e32 v11, 0
	v_lshlrev_b64 v[10:11], 1, v[10:11]
	v_add_co_u32_e32 v10, vcc, v32, v10
	v_addc_co_u32_e32 v11, vcc, v33, v11, vcc
	global_store_short_d16_hi v[10:11], v22, off
	s_or_b64 exec, exec, s[38:39]
	s_and_saveexec_b64 s[38:39], s[6:7]
	s_cbranch_execz .LBB1472_215
.LBB1472_282:
	v_sub_u32_e32 v10, v15, v44
	v_mov_b32_e32 v11, 0
	v_lshlrev_b64 v[10:11], 1, v[10:11]
	v_add_co_u32_e32 v10, vcc, v32, v10
	v_addc_co_u32_e32 v11, vcc, v33, v11, vcc
	global_store_short v[10:11], v23, off
	s_or_b64 exec, exec, s[38:39]
	s_and_saveexec_b64 s[38:39], s[4:5]
	s_cbranch_execz .LBB1472_216
.LBB1472_283:
	v_sub_u32_e32 v10, v14, v44
	v_mov_b32_e32 v11, 0
	v_lshlrev_b64 v[10:11], 1, v[10:11]
	v_add_co_u32_e32 v10, vcc, v32, v10
	v_addc_co_u32_e32 v11, vcc, v33, v11, vcc
	global_store_short_d16_hi v[10:11], v23, off
	s_or_b64 exec, exec, s[38:39]
	s_and_saveexec_b64 s[38:39], s[2:3]
	s_cbranch_execnz .LBB1472_217
	s_branch .LBB1472_218
.LBB1472_284:
	v_sub_u32_e32 v6, v90, v44
	v_lshlrev_b32_e32 v6, 1, v6
	ds_write_b16 v6, v1
	s_or_b64 exec, exec, s[38:39]
	s_and_saveexec_b64 s[28:29], s[26:27]
	s_cbranch_execz .LBB1472_222
.LBB1472_285:
	v_sub_u32_e32 v1, v31, v44
	v_lshlrev_b32_e32 v1, 1, v1
	ds_write_b16 v1, v2
	s_or_b64 exec, exec, s[28:29]
	s_and_saveexec_b64 s[26:27], s[24:25]
	s_cbranch_execz .LBB1472_223
.LBB1472_286:
	v_sub_u32_e32 v1, v30, v44
	v_lshlrev_b32_e32 v1, 1, v1
	ds_write_b16_d16_hi v1, v2
	s_or_b64 exec, exec, s[26:27]
	s_and_saveexec_b64 s[24:25], s[22:23]
	s_cbranch_execz .LBB1472_224
.LBB1472_287:
	v_sub_u32_e32 v1, v29, v44
	v_lshlrev_b32_e32 v1, 1, v1
	ds_write_b16 v1, v3
	s_or_b64 exec, exec, s[24:25]
	s_and_saveexec_b64 s[22:23], s[20:21]
	s_cbranch_execz .LBB1472_225
.LBB1472_288:
	v_sub_u32_e32 v1, v28, v44
	v_lshlrev_b32_e32 v1, 1, v1
	ds_write_b16_d16_hi v1, v3
	s_or_b64 exec, exec, s[22:23]
	s_and_saveexec_b64 s[20:21], s[18:19]
	s_cbranch_execz .LBB1472_226
.LBB1472_289:
	v_sub_u32_e32 v1, v21, v44
	v_lshlrev_b32_e32 v1, 1, v1
	ds_write_b16 v1, v4
	s_or_b64 exec, exec, s[20:21]
	s_and_saveexec_b64 s[18:19], s[16:17]
	s_cbranch_execz .LBB1472_227
.LBB1472_290:
	v_sub_u32_e32 v1, v20, v44
	v_lshlrev_b32_e32 v1, 1, v1
	ds_write_b16_d16_hi v1, v4
	s_or_b64 exec, exec, s[18:19]
	s_and_saveexec_b64 s[16:17], s[14:15]
	s_cbranch_execz .LBB1472_228
.LBB1472_291:
	v_sub_u32_e32 v1, v19, v44
	v_lshlrev_b32_e32 v1, 1, v1
	ds_write_b16 v1, v5
	s_or_b64 exec, exec, s[16:17]
	s_and_saveexec_b64 s[14:15], s[12:13]
	s_cbranch_execz .LBB1472_229
.LBB1472_292:
	v_sub_u32_e32 v1, v18, v44
	v_lshlrev_b32_e32 v1, 1, v1
	ds_write_b16_d16_hi v1, v5
	s_or_b64 exec, exec, s[14:15]
	s_and_saveexec_b64 s[12:13], s[10:11]
	s_cbranch_execz .LBB1472_230
.LBB1472_293:
	v_sub_u32_e32 v1, v17, v44
	v_lshlrev_b32_e32 v1, 1, v1
	ds_write_b16 v1, v22
	s_or_b64 exec, exec, s[12:13]
	s_and_saveexec_b64 s[10:11], s[8:9]
	s_cbranch_execz .LBB1472_231
.LBB1472_294:
	v_sub_u32_e32 v1, v16, v44
	v_lshlrev_b32_e32 v1, 1, v1
	ds_write_b16_d16_hi v1, v22
	s_or_b64 exec, exec, s[10:11]
	s_and_saveexec_b64 s[8:9], s[6:7]
	s_cbranch_execz .LBB1472_232
.LBB1472_295:
	v_sub_u32_e32 v1, v15, v44
	v_lshlrev_b32_e32 v1, 1, v1
	ds_write_b16 v1, v23
	s_or_b64 exec, exec, s[8:9]
	s_and_saveexec_b64 s[6:7], s[4:5]
	s_cbranch_execz .LBB1472_233
.LBB1472_296:
	v_sub_u32_e32 v1, v14, v44
	v_lshlrev_b32_e32 v1, 1, v1
	ds_write_b16_d16_hi v1, v23
	s_or_b64 exec, exec, s[6:7]
	s_and_saveexec_b64 s[4:5], s[2:3]
	s_cbranch_execnz .LBB1472_234
	s_branch .LBB1472_235
.LBB1472_297:
	v_sub_u32_e32 v22, v90, v10
	v_mov_b32_e32 v23, 0
	v_lshlrev_b64 v[22:23], 3, v[22:23]
	v_add_co_u32_e32 v22, vcc, v6, v22
	v_addc_co_u32_e32 v23, vcc, v7, v23, vcc
	global_store_dwordx2 v[22:23], v[70:71], off
	s_or_b64 exec, exec, s[38:39]
	s_and_saveexec_b64 s[38:39], s[26:27]
	s_cbranch_execz .LBB1472_239
.LBB1472_298:
	v_sub_u32_e32 v22, v31, v10
	v_mov_b32_e32 v23, 0
	v_lshlrev_b64 v[22:23], 3, v[22:23]
	v_add_co_u32_e32 v22, vcc, v6, v22
	v_addc_co_u32_e32 v23, vcc, v7, v23, vcc
	global_store_dwordx2 v[22:23], v[46:47], off
	s_or_b64 exec, exec, s[38:39]
	s_and_saveexec_b64 s[38:39], s[24:25]
	s_cbranch_execz .LBB1472_240
.LBB1472_299:
	v_sub_u32_e32 v22, v30, v10
	v_mov_b32_e32 v23, 0
	v_lshlrev_b64 v[22:23], 3, v[22:23]
	v_add_co_u32_e32 v22, vcc, v6, v22
	v_addc_co_u32_e32 v23, vcc, v7, v23, vcc
	global_store_dwordx2 v[22:23], v[48:49], off
	s_or_b64 exec, exec, s[38:39]
	s_and_saveexec_b64 s[38:39], s[22:23]
	s_cbranch_execz .LBB1472_241
.LBB1472_300:
	v_sub_u32_e32 v22, v29, v10
	v_mov_b32_e32 v23, 0
	v_lshlrev_b64 v[22:23], 3, v[22:23]
	v_add_co_u32_e32 v22, vcc, v6, v22
	v_addc_co_u32_e32 v23, vcc, v7, v23, vcc
	global_store_dwordx2 v[22:23], v[50:51], off
	s_or_b64 exec, exec, s[38:39]
	s_and_saveexec_b64 s[38:39], s[20:21]
	s_cbranch_execz .LBB1472_242
.LBB1472_301:
	v_sub_u32_e32 v22, v28, v10
	v_mov_b32_e32 v23, 0
	v_lshlrev_b64 v[22:23], 3, v[22:23]
	v_add_co_u32_e32 v22, vcc, v6, v22
	v_addc_co_u32_e32 v23, vcc, v7, v23, vcc
	global_store_dwordx2 v[22:23], v[52:53], off
	s_or_b64 exec, exec, s[38:39]
	s_and_saveexec_b64 s[38:39], s[18:19]
	s_cbranch_execz .LBB1472_243
.LBB1472_302:
	v_sub_u32_e32 v22, v21, v10
	v_mov_b32_e32 v23, 0
	v_lshlrev_b64 v[22:23], 3, v[22:23]
	v_add_co_u32_e32 v22, vcc, v6, v22
	v_addc_co_u32_e32 v23, vcc, v7, v23, vcc
	global_store_dwordx2 v[22:23], v[54:55], off
	s_or_b64 exec, exec, s[38:39]
	s_and_saveexec_b64 s[38:39], s[16:17]
	s_cbranch_execz .LBB1472_244
.LBB1472_303:
	v_sub_u32_e32 v22, v20, v10
	v_mov_b32_e32 v23, 0
	v_lshlrev_b64 v[22:23], 3, v[22:23]
	v_add_co_u32_e32 v22, vcc, v6, v22
	v_addc_co_u32_e32 v23, vcc, v7, v23, vcc
	global_store_dwordx2 v[22:23], v[56:57], off
	s_or_b64 exec, exec, s[38:39]
	s_and_saveexec_b64 s[38:39], s[14:15]
	s_cbranch_execz .LBB1472_245
.LBB1472_304:
	v_sub_u32_e32 v22, v19, v10
	v_mov_b32_e32 v23, 0
	v_lshlrev_b64 v[22:23], 3, v[22:23]
	v_add_co_u32_e32 v22, vcc, v6, v22
	v_addc_co_u32_e32 v23, vcc, v7, v23, vcc
	global_store_dwordx2 v[22:23], v[58:59], off
	s_or_b64 exec, exec, s[38:39]
	s_and_saveexec_b64 s[38:39], s[12:13]
	s_cbranch_execz .LBB1472_246
.LBB1472_305:
	v_sub_u32_e32 v22, v18, v10
	v_mov_b32_e32 v23, 0
	v_lshlrev_b64 v[22:23], 3, v[22:23]
	v_add_co_u32_e32 v22, vcc, v6, v22
	v_addc_co_u32_e32 v23, vcc, v7, v23, vcc
	global_store_dwordx2 v[22:23], v[60:61], off
	s_or_b64 exec, exec, s[38:39]
	s_and_saveexec_b64 s[38:39], s[10:11]
	s_cbranch_execz .LBB1472_247
.LBB1472_306:
	v_sub_u32_e32 v22, v17, v10
	v_mov_b32_e32 v23, 0
	v_lshlrev_b64 v[22:23], 3, v[22:23]
	v_add_co_u32_e32 v22, vcc, v6, v22
	v_addc_co_u32_e32 v23, vcc, v7, v23, vcc
	global_store_dwordx2 v[22:23], v[62:63], off
	s_or_b64 exec, exec, s[38:39]
	s_and_saveexec_b64 s[38:39], s[8:9]
	s_cbranch_execz .LBB1472_248
.LBB1472_307:
	v_sub_u32_e32 v22, v16, v10
	v_mov_b32_e32 v23, 0
	v_lshlrev_b64 v[22:23], 3, v[22:23]
	v_add_co_u32_e32 v22, vcc, v6, v22
	v_addc_co_u32_e32 v23, vcc, v7, v23, vcc
	global_store_dwordx2 v[22:23], v[64:65], off
	s_or_b64 exec, exec, s[38:39]
	s_and_saveexec_b64 s[38:39], s[6:7]
	s_cbranch_execz .LBB1472_249
.LBB1472_308:
	v_sub_u32_e32 v22, v15, v10
	v_mov_b32_e32 v23, 0
	v_lshlrev_b64 v[22:23], 3, v[22:23]
	v_add_co_u32_e32 v22, vcc, v6, v22
	v_addc_co_u32_e32 v23, vcc, v7, v23, vcc
	global_store_dwordx2 v[22:23], v[66:67], off
	s_or_b64 exec, exec, s[38:39]
	s_and_saveexec_b64 s[38:39], s[4:5]
	s_cbranch_execz .LBB1472_250
.LBB1472_309:
	v_sub_u32_e32 v22, v14, v10
	v_mov_b32_e32 v23, 0
	v_lshlrev_b64 v[22:23], 3, v[22:23]
	v_add_co_u32_e32 v22, vcc, v6, v22
	v_addc_co_u32_e32 v23, vcc, v7, v23, vcc
	global_store_dwordx2 v[22:23], v[68:69], off
	s_or_b64 exec, exec, s[38:39]
	s_and_saveexec_b64 s[38:39], s[2:3]
	s_cbranch_execnz .LBB1472_251
	s_branch .LBB1472_252
.LBB1472_310:
	v_sub_u32_e32 v11, v90, v10
	v_lshlrev_b32_e32 v11, 3, v11
	ds_write_b64 v11, v[70:71]
	s_or_b64 exec, exec, s[38:39]
	s_and_saveexec_b64 s[28:29], s[26:27]
	s_cbranch_execz .LBB1472_256
.LBB1472_311:
	v_sub_u32_e32 v11, v31, v10
	v_lshlrev_b32_e32 v11, 3, v11
	ds_write_b64 v11, v[46:47]
	s_or_b64 exec, exec, s[28:29]
	s_and_saveexec_b64 s[26:27], s[24:25]
	s_cbranch_execz .LBB1472_257
.LBB1472_312:
	v_sub_u32_e32 v11, v30, v10
	v_lshlrev_b32_e32 v11, 3, v11
	ds_write_b64 v11, v[48:49]
	s_or_b64 exec, exec, s[26:27]
	s_and_saveexec_b64 s[24:25], s[22:23]
	s_cbranch_execz .LBB1472_258
.LBB1472_313:
	v_sub_u32_e32 v11, v29, v10
	v_lshlrev_b32_e32 v11, 3, v11
	ds_write_b64 v11, v[50:51]
	s_or_b64 exec, exec, s[24:25]
	s_and_saveexec_b64 s[22:23], s[20:21]
	s_cbranch_execz .LBB1472_259
.LBB1472_314:
	v_sub_u32_e32 v11, v28, v10
	v_lshlrev_b32_e32 v11, 3, v11
	ds_write_b64 v11, v[52:53]
	s_or_b64 exec, exec, s[22:23]
	s_and_saveexec_b64 s[20:21], s[18:19]
	s_cbranch_execz .LBB1472_260
.LBB1472_315:
	v_sub_u32_e32 v11, v21, v10
	v_lshlrev_b32_e32 v11, 3, v11
	ds_write_b64 v11, v[54:55]
	s_or_b64 exec, exec, s[20:21]
	s_and_saveexec_b64 s[18:19], s[16:17]
	s_cbranch_execz .LBB1472_261
.LBB1472_316:
	v_sub_u32_e32 v11, v20, v10
	v_lshlrev_b32_e32 v11, 3, v11
	ds_write_b64 v11, v[56:57]
	s_or_b64 exec, exec, s[18:19]
	s_and_saveexec_b64 s[16:17], s[14:15]
	s_cbranch_execz .LBB1472_262
.LBB1472_317:
	v_sub_u32_e32 v11, v19, v10
	v_lshlrev_b32_e32 v11, 3, v11
	ds_write_b64 v11, v[58:59]
	s_or_b64 exec, exec, s[16:17]
	s_and_saveexec_b64 s[14:15], s[12:13]
	s_cbranch_execz .LBB1472_263
.LBB1472_318:
	v_sub_u32_e32 v11, v18, v10
	v_lshlrev_b32_e32 v11, 3, v11
	ds_write_b64 v11, v[60:61]
	s_or_b64 exec, exec, s[14:15]
	s_and_saveexec_b64 s[12:13], s[10:11]
	s_cbranch_execz .LBB1472_264
.LBB1472_319:
	v_sub_u32_e32 v11, v17, v10
	v_lshlrev_b32_e32 v11, 3, v11
	ds_write_b64 v11, v[62:63]
	s_or_b64 exec, exec, s[12:13]
	s_and_saveexec_b64 s[10:11], s[8:9]
	s_cbranch_execz .LBB1472_265
.LBB1472_320:
	v_sub_u32_e32 v11, v16, v10
	v_lshlrev_b32_e32 v11, 3, v11
	ds_write_b64 v11, v[64:65]
	s_or_b64 exec, exec, s[10:11]
	s_and_saveexec_b64 s[8:9], s[6:7]
	s_cbranch_execz .LBB1472_266
.LBB1472_321:
	v_sub_u32_e32 v11, v15, v10
	v_lshlrev_b32_e32 v11, 3, v11
	ds_write_b64 v11, v[66:67]
	s_or_b64 exec, exec, s[8:9]
	s_and_saveexec_b64 s[6:7], s[4:5]
	s_cbranch_execz .LBB1472_267
.LBB1472_322:
	v_sub_u32_e32 v11, v14, v10
	v_lshlrev_b32_e32 v11, 3, v11
	ds_write_b64 v11, v[68:69]
	s_or_b64 exec, exec, s[6:7]
	s_and_saveexec_b64 s[4:5], s[2:3]
	s_cbranch_execnz .LBB1472_268
	s_branch .LBB1472_269
	.section	.rodata,"a",@progbits
	.p2align	6, 0x0
	.amdhsa_kernel _ZN7rocprim17ROCPRIM_400000_NS6detail17trampoline_kernelINS0_14default_configENS1_29reduce_by_key_config_selectorIslN6thrust23THRUST_200600_302600_NS4plusIlEEEEZZNS1_33reduce_by_key_impl_wrapped_configILNS1_25lookback_scan_determinismE0ES3_S9_PsNS6_17constant_iteratorIiNS6_11use_defaultESE_EENS6_10device_ptrIsEENSG_IlEEPmS8_NS6_8equal_toIsEEEE10hipError_tPvRmT2_T3_mT4_T5_T6_T7_T8_P12ihipStream_tbENKUlT_T0_E_clISt17integral_constantIbLb0EES13_EEDaSY_SZ_EUlSY_E_NS1_11comp_targetILNS1_3genE4ELNS1_11target_archE910ELNS1_3gpuE8ELNS1_3repE0EEENS1_30default_config_static_selectorELNS0_4arch9wavefront6targetE1EEEvT1_
		.amdhsa_group_segment_fixed_size 30720
		.amdhsa_private_segment_fixed_size 0
		.amdhsa_kernarg_size 144
		.amdhsa_user_sgpr_count 6
		.amdhsa_user_sgpr_private_segment_buffer 1
		.amdhsa_user_sgpr_dispatch_ptr 0
		.amdhsa_user_sgpr_queue_ptr 0
		.amdhsa_user_sgpr_kernarg_segment_ptr 1
		.amdhsa_user_sgpr_dispatch_id 0
		.amdhsa_user_sgpr_flat_scratch_init 0
		.amdhsa_user_sgpr_kernarg_preload_length 0
		.amdhsa_user_sgpr_kernarg_preload_offset 0
		.amdhsa_user_sgpr_private_segment_size 0
		.amdhsa_uses_dynamic_stack 0
		.amdhsa_system_sgpr_private_segment_wavefront_offset 0
		.amdhsa_system_sgpr_workgroup_id_x 1
		.amdhsa_system_sgpr_workgroup_id_y 0
		.amdhsa_system_sgpr_workgroup_id_z 0
		.amdhsa_system_sgpr_workgroup_info 0
		.amdhsa_system_vgpr_workitem_id 0
		.amdhsa_next_free_vgpr 127
		.amdhsa_next_free_sgpr 64
		.amdhsa_accum_offset 128
		.amdhsa_reserve_vcc 1
		.amdhsa_reserve_flat_scratch 0
		.amdhsa_float_round_mode_32 0
		.amdhsa_float_round_mode_16_64 0
		.amdhsa_float_denorm_mode_32 3
		.amdhsa_float_denorm_mode_16_64 3
		.amdhsa_dx10_clamp 1
		.amdhsa_ieee_mode 1
		.amdhsa_fp16_overflow 0
		.amdhsa_tg_split 0
		.amdhsa_exception_fp_ieee_invalid_op 0
		.amdhsa_exception_fp_denorm_src 0
		.amdhsa_exception_fp_ieee_div_zero 0
		.amdhsa_exception_fp_ieee_overflow 0
		.amdhsa_exception_fp_ieee_underflow 0
		.amdhsa_exception_fp_ieee_inexact 0
		.amdhsa_exception_int_div_zero 0
	.end_amdhsa_kernel
	.section	.text._ZN7rocprim17ROCPRIM_400000_NS6detail17trampoline_kernelINS0_14default_configENS1_29reduce_by_key_config_selectorIslN6thrust23THRUST_200600_302600_NS4plusIlEEEEZZNS1_33reduce_by_key_impl_wrapped_configILNS1_25lookback_scan_determinismE0ES3_S9_PsNS6_17constant_iteratorIiNS6_11use_defaultESE_EENS6_10device_ptrIsEENSG_IlEEPmS8_NS6_8equal_toIsEEEE10hipError_tPvRmT2_T3_mT4_T5_T6_T7_T8_P12ihipStream_tbENKUlT_T0_E_clISt17integral_constantIbLb0EES13_EEDaSY_SZ_EUlSY_E_NS1_11comp_targetILNS1_3genE4ELNS1_11target_archE910ELNS1_3gpuE8ELNS1_3repE0EEENS1_30default_config_static_selectorELNS0_4arch9wavefront6targetE1EEEvT1_,"axG",@progbits,_ZN7rocprim17ROCPRIM_400000_NS6detail17trampoline_kernelINS0_14default_configENS1_29reduce_by_key_config_selectorIslN6thrust23THRUST_200600_302600_NS4plusIlEEEEZZNS1_33reduce_by_key_impl_wrapped_configILNS1_25lookback_scan_determinismE0ES3_S9_PsNS6_17constant_iteratorIiNS6_11use_defaultESE_EENS6_10device_ptrIsEENSG_IlEEPmS8_NS6_8equal_toIsEEEE10hipError_tPvRmT2_T3_mT4_T5_T6_T7_T8_P12ihipStream_tbENKUlT_T0_E_clISt17integral_constantIbLb0EES13_EEDaSY_SZ_EUlSY_E_NS1_11comp_targetILNS1_3genE4ELNS1_11target_archE910ELNS1_3gpuE8ELNS1_3repE0EEENS1_30default_config_static_selectorELNS0_4arch9wavefront6targetE1EEEvT1_,comdat
.Lfunc_end1472:
	.size	_ZN7rocprim17ROCPRIM_400000_NS6detail17trampoline_kernelINS0_14default_configENS1_29reduce_by_key_config_selectorIslN6thrust23THRUST_200600_302600_NS4plusIlEEEEZZNS1_33reduce_by_key_impl_wrapped_configILNS1_25lookback_scan_determinismE0ES3_S9_PsNS6_17constant_iteratorIiNS6_11use_defaultESE_EENS6_10device_ptrIsEENSG_IlEEPmS8_NS6_8equal_toIsEEEE10hipError_tPvRmT2_T3_mT4_T5_T6_T7_T8_P12ihipStream_tbENKUlT_T0_E_clISt17integral_constantIbLb0EES13_EEDaSY_SZ_EUlSY_E_NS1_11comp_targetILNS1_3genE4ELNS1_11target_archE910ELNS1_3gpuE8ELNS1_3repE0EEENS1_30default_config_static_selectorELNS0_4arch9wavefront6targetE1EEEvT1_, .Lfunc_end1472-_ZN7rocprim17ROCPRIM_400000_NS6detail17trampoline_kernelINS0_14default_configENS1_29reduce_by_key_config_selectorIslN6thrust23THRUST_200600_302600_NS4plusIlEEEEZZNS1_33reduce_by_key_impl_wrapped_configILNS1_25lookback_scan_determinismE0ES3_S9_PsNS6_17constant_iteratorIiNS6_11use_defaultESE_EENS6_10device_ptrIsEENSG_IlEEPmS8_NS6_8equal_toIsEEEE10hipError_tPvRmT2_T3_mT4_T5_T6_T7_T8_P12ihipStream_tbENKUlT_T0_E_clISt17integral_constantIbLb0EES13_EEDaSY_SZ_EUlSY_E_NS1_11comp_targetILNS1_3genE4ELNS1_11target_archE910ELNS1_3gpuE8ELNS1_3repE0EEENS1_30default_config_static_selectorELNS0_4arch9wavefront6targetE1EEEvT1_
                                        ; -- End function
	.section	.AMDGPU.csdata,"",@progbits
; Kernel info:
; codeLenInByte = 17072
; NumSgprs: 68
; NumVgprs: 127
; NumAgprs: 0
; TotalNumVgprs: 127
; ScratchSize: 0
; MemoryBound: 0
; FloatMode: 240
; IeeeMode: 1
; LDSByteSize: 30720 bytes/workgroup (compile time only)
; SGPRBlocks: 8
; VGPRBlocks: 15
; NumSGPRsForWavesPerEU: 68
; NumVGPRsForWavesPerEU: 127
; AccumOffset: 128
; Occupancy: 2
; WaveLimiterHint : 1
; COMPUTE_PGM_RSRC2:SCRATCH_EN: 0
; COMPUTE_PGM_RSRC2:USER_SGPR: 6
; COMPUTE_PGM_RSRC2:TRAP_HANDLER: 0
; COMPUTE_PGM_RSRC2:TGID_X_EN: 1
; COMPUTE_PGM_RSRC2:TGID_Y_EN: 0
; COMPUTE_PGM_RSRC2:TGID_Z_EN: 0
; COMPUTE_PGM_RSRC2:TIDIG_COMP_CNT: 0
; COMPUTE_PGM_RSRC3_GFX90A:ACCUM_OFFSET: 31
; COMPUTE_PGM_RSRC3_GFX90A:TG_SPLIT: 0
	.section	.text._ZN7rocprim17ROCPRIM_400000_NS6detail17trampoline_kernelINS0_14default_configENS1_29reduce_by_key_config_selectorIslN6thrust23THRUST_200600_302600_NS4plusIlEEEEZZNS1_33reduce_by_key_impl_wrapped_configILNS1_25lookback_scan_determinismE0ES3_S9_PsNS6_17constant_iteratorIiNS6_11use_defaultESE_EENS6_10device_ptrIsEENSG_IlEEPmS8_NS6_8equal_toIsEEEE10hipError_tPvRmT2_T3_mT4_T5_T6_T7_T8_P12ihipStream_tbENKUlT_T0_E_clISt17integral_constantIbLb0EES13_EEDaSY_SZ_EUlSY_E_NS1_11comp_targetILNS1_3genE3ELNS1_11target_archE908ELNS1_3gpuE7ELNS1_3repE0EEENS1_30default_config_static_selectorELNS0_4arch9wavefront6targetE1EEEvT1_,"axG",@progbits,_ZN7rocprim17ROCPRIM_400000_NS6detail17trampoline_kernelINS0_14default_configENS1_29reduce_by_key_config_selectorIslN6thrust23THRUST_200600_302600_NS4plusIlEEEEZZNS1_33reduce_by_key_impl_wrapped_configILNS1_25lookback_scan_determinismE0ES3_S9_PsNS6_17constant_iteratorIiNS6_11use_defaultESE_EENS6_10device_ptrIsEENSG_IlEEPmS8_NS6_8equal_toIsEEEE10hipError_tPvRmT2_T3_mT4_T5_T6_T7_T8_P12ihipStream_tbENKUlT_T0_E_clISt17integral_constantIbLb0EES13_EEDaSY_SZ_EUlSY_E_NS1_11comp_targetILNS1_3genE3ELNS1_11target_archE908ELNS1_3gpuE7ELNS1_3repE0EEENS1_30default_config_static_selectorELNS0_4arch9wavefront6targetE1EEEvT1_,comdat
	.protected	_ZN7rocprim17ROCPRIM_400000_NS6detail17trampoline_kernelINS0_14default_configENS1_29reduce_by_key_config_selectorIslN6thrust23THRUST_200600_302600_NS4plusIlEEEEZZNS1_33reduce_by_key_impl_wrapped_configILNS1_25lookback_scan_determinismE0ES3_S9_PsNS6_17constant_iteratorIiNS6_11use_defaultESE_EENS6_10device_ptrIsEENSG_IlEEPmS8_NS6_8equal_toIsEEEE10hipError_tPvRmT2_T3_mT4_T5_T6_T7_T8_P12ihipStream_tbENKUlT_T0_E_clISt17integral_constantIbLb0EES13_EEDaSY_SZ_EUlSY_E_NS1_11comp_targetILNS1_3genE3ELNS1_11target_archE908ELNS1_3gpuE7ELNS1_3repE0EEENS1_30default_config_static_selectorELNS0_4arch9wavefront6targetE1EEEvT1_ ; -- Begin function _ZN7rocprim17ROCPRIM_400000_NS6detail17trampoline_kernelINS0_14default_configENS1_29reduce_by_key_config_selectorIslN6thrust23THRUST_200600_302600_NS4plusIlEEEEZZNS1_33reduce_by_key_impl_wrapped_configILNS1_25lookback_scan_determinismE0ES3_S9_PsNS6_17constant_iteratorIiNS6_11use_defaultESE_EENS6_10device_ptrIsEENSG_IlEEPmS8_NS6_8equal_toIsEEEE10hipError_tPvRmT2_T3_mT4_T5_T6_T7_T8_P12ihipStream_tbENKUlT_T0_E_clISt17integral_constantIbLb0EES13_EEDaSY_SZ_EUlSY_E_NS1_11comp_targetILNS1_3genE3ELNS1_11target_archE908ELNS1_3gpuE7ELNS1_3repE0EEENS1_30default_config_static_selectorELNS0_4arch9wavefront6targetE1EEEvT1_
	.globl	_ZN7rocprim17ROCPRIM_400000_NS6detail17trampoline_kernelINS0_14default_configENS1_29reduce_by_key_config_selectorIslN6thrust23THRUST_200600_302600_NS4plusIlEEEEZZNS1_33reduce_by_key_impl_wrapped_configILNS1_25lookback_scan_determinismE0ES3_S9_PsNS6_17constant_iteratorIiNS6_11use_defaultESE_EENS6_10device_ptrIsEENSG_IlEEPmS8_NS6_8equal_toIsEEEE10hipError_tPvRmT2_T3_mT4_T5_T6_T7_T8_P12ihipStream_tbENKUlT_T0_E_clISt17integral_constantIbLb0EES13_EEDaSY_SZ_EUlSY_E_NS1_11comp_targetILNS1_3genE3ELNS1_11target_archE908ELNS1_3gpuE7ELNS1_3repE0EEENS1_30default_config_static_selectorELNS0_4arch9wavefront6targetE1EEEvT1_
	.p2align	8
	.type	_ZN7rocprim17ROCPRIM_400000_NS6detail17trampoline_kernelINS0_14default_configENS1_29reduce_by_key_config_selectorIslN6thrust23THRUST_200600_302600_NS4plusIlEEEEZZNS1_33reduce_by_key_impl_wrapped_configILNS1_25lookback_scan_determinismE0ES3_S9_PsNS6_17constant_iteratorIiNS6_11use_defaultESE_EENS6_10device_ptrIsEENSG_IlEEPmS8_NS6_8equal_toIsEEEE10hipError_tPvRmT2_T3_mT4_T5_T6_T7_T8_P12ihipStream_tbENKUlT_T0_E_clISt17integral_constantIbLb0EES13_EEDaSY_SZ_EUlSY_E_NS1_11comp_targetILNS1_3genE3ELNS1_11target_archE908ELNS1_3gpuE7ELNS1_3repE0EEENS1_30default_config_static_selectorELNS0_4arch9wavefront6targetE1EEEvT1_,@function
_ZN7rocprim17ROCPRIM_400000_NS6detail17trampoline_kernelINS0_14default_configENS1_29reduce_by_key_config_selectorIslN6thrust23THRUST_200600_302600_NS4plusIlEEEEZZNS1_33reduce_by_key_impl_wrapped_configILNS1_25lookback_scan_determinismE0ES3_S9_PsNS6_17constant_iteratorIiNS6_11use_defaultESE_EENS6_10device_ptrIsEENSG_IlEEPmS8_NS6_8equal_toIsEEEE10hipError_tPvRmT2_T3_mT4_T5_T6_T7_T8_P12ihipStream_tbENKUlT_T0_E_clISt17integral_constantIbLb0EES13_EEDaSY_SZ_EUlSY_E_NS1_11comp_targetILNS1_3genE3ELNS1_11target_archE908ELNS1_3gpuE7ELNS1_3repE0EEENS1_30default_config_static_selectorELNS0_4arch9wavefront6targetE1EEEvT1_: ; @_ZN7rocprim17ROCPRIM_400000_NS6detail17trampoline_kernelINS0_14default_configENS1_29reduce_by_key_config_selectorIslN6thrust23THRUST_200600_302600_NS4plusIlEEEEZZNS1_33reduce_by_key_impl_wrapped_configILNS1_25lookback_scan_determinismE0ES3_S9_PsNS6_17constant_iteratorIiNS6_11use_defaultESE_EENS6_10device_ptrIsEENSG_IlEEPmS8_NS6_8equal_toIsEEEE10hipError_tPvRmT2_T3_mT4_T5_T6_T7_T8_P12ihipStream_tbENKUlT_T0_E_clISt17integral_constantIbLb0EES13_EEDaSY_SZ_EUlSY_E_NS1_11comp_targetILNS1_3genE3ELNS1_11target_archE908ELNS1_3gpuE7ELNS1_3repE0EEENS1_30default_config_static_selectorELNS0_4arch9wavefront6targetE1EEEvT1_
; %bb.0:
	.section	.rodata,"a",@progbits
	.p2align	6, 0x0
	.amdhsa_kernel _ZN7rocprim17ROCPRIM_400000_NS6detail17trampoline_kernelINS0_14default_configENS1_29reduce_by_key_config_selectorIslN6thrust23THRUST_200600_302600_NS4plusIlEEEEZZNS1_33reduce_by_key_impl_wrapped_configILNS1_25lookback_scan_determinismE0ES3_S9_PsNS6_17constant_iteratorIiNS6_11use_defaultESE_EENS6_10device_ptrIsEENSG_IlEEPmS8_NS6_8equal_toIsEEEE10hipError_tPvRmT2_T3_mT4_T5_T6_T7_T8_P12ihipStream_tbENKUlT_T0_E_clISt17integral_constantIbLb0EES13_EEDaSY_SZ_EUlSY_E_NS1_11comp_targetILNS1_3genE3ELNS1_11target_archE908ELNS1_3gpuE7ELNS1_3repE0EEENS1_30default_config_static_selectorELNS0_4arch9wavefront6targetE1EEEvT1_
		.amdhsa_group_segment_fixed_size 0
		.amdhsa_private_segment_fixed_size 0
		.amdhsa_kernarg_size 144
		.amdhsa_user_sgpr_count 6
		.amdhsa_user_sgpr_private_segment_buffer 1
		.amdhsa_user_sgpr_dispatch_ptr 0
		.amdhsa_user_sgpr_queue_ptr 0
		.amdhsa_user_sgpr_kernarg_segment_ptr 1
		.amdhsa_user_sgpr_dispatch_id 0
		.amdhsa_user_sgpr_flat_scratch_init 0
		.amdhsa_user_sgpr_kernarg_preload_length 0
		.amdhsa_user_sgpr_kernarg_preload_offset 0
		.amdhsa_user_sgpr_private_segment_size 0
		.amdhsa_uses_dynamic_stack 0
		.amdhsa_system_sgpr_private_segment_wavefront_offset 0
		.amdhsa_system_sgpr_workgroup_id_x 1
		.amdhsa_system_sgpr_workgroup_id_y 0
		.amdhsa_system_sgpr_workgroup_id_z 0
		.amdhsa_system_sgpr_workgroup_info 0
		.amdhsa_system_vgpr_workitem_id 0
		.amdhsa_next_free_vgpr 1
		.amdhsa_next_free_sgpr 0
		.amdhsa_accum_offset 4
		.amdhsa_reserve_vcc 0
		.amdhsa_reserve_flat_scratch 0
		.amdhsa_float_round_mode_32 0
		.amdhsa_float_round_mode_16_64 0
		.amdhsa_float_denorm_mode_32 3
		.amdhsa_float_denorm_mode_16_64 3
		.amdhsa_dx10_clamp 1
		.amdhsa_ieee_mode 1
		.amdhsa_fp16_overflow 0
		.amdhsa_tg_split 0
		.amdhsa_exception_fp_ieee_invalid_op 0
		.amdhsa_exception_fp_denorm_src 0
		.amdhsa_exception_fp_ieee_div_zero 0
		.amdhsa_exception_fp_ieee_overflow 0
		.amdhsa_exception_fp_ieee_underflow 0
		.amdhsa_exception_fp_ieee_inexact 0
		.amdhsa_exception_int_div_zero 0
	.end_amdhsa_kernel
	.section	.text._ZN7rocprim17ROCPRIM_400000_NS6detail17trampoline_kernelINS0_14default_configENS1_29reduce_by_key_config_selectorIslN6thrust23THRUST_200600_302600_NS4plusIlEEEEZZNS1_33reduce_by_key_impl_wrapped_configILNS1_25lookback_scan_determinismE0ES3_S9_PsNS6_17constant_iteratorIiNS6_11use_defaultESE_EENS6_10device_ptrIsEENSG_IlEEPmS8_NS6_8equal_toIsEEEE10hipError_tPvRmT2_T3_mT4_T5_T6_T7_T8_P12ihipStream_tbENKUlT_T0_E_clISt17integral_constantIbLb0EES13_EEDaSY_SZ_EUlSY_E_NS1_11comp_targetILNS1_3genE3ELNS1_11target_archE908ELNS1_3gpuE7ELNS1_3repE0EEENS1_30default_config_static_selectorELNS0_4arch9wavefront6targetE1EEEvT1_,"axG",@progbits,_ZN7rocprim17ROCPRIM_400000_NS6detail17trampoline_kernelINS0_14default_configENS1_29reduce_by_key_config_selectorIslN6thrust23THRUST_200600_302600_NS4plusIlEEEEZZNS1_33reduce_by_key_impl_wrapped_configILNS1_25lookback_scan_determinismE0ES3_S9_PsNS6_17constant_iteratorIiNS6_11use_defaultESE_EENS6_10device_ptrIsEENSG_IlEEPmS8_NS6_8equal_toIsEEEE10hipError_tPvRmT2_T3_mT4_T5_T6_T7_T8_P12ihipStream_tbENKUlT_T0_E_clISt17integral_constantIbLb0EES13_EEDaSY_SZ_EUlSY_E_NS1_11comp_targetILNS1_3genE3ELNS1_11target_archE908ELNS1_3gpuE7ELNS1_3repE0EEENS1_30default_config_static_selectorELNS0_4arch9wavefront6targetE1EEEvT1_,comdat
.Lfunc_end1473:
	.size	_ZN7rocprim17ROCPRIM_400000_NS6detail17trampoline_kernelINS0_14default_configENS1_29reduce_by_key_config_selectorIslN6thrust23THRUST_200600_302600_NS4plusIlEEEEZZNS1_33reduce_by_key_impl_wrapped_configILNS1_25lookback_scan_determinismE0ES3_S9_PsNS6_17constant_iteratorIiNS6_11use_defaultESE_EENS6_10device_ptrIsEENSG_IlEEPmS8_NS6_8equal_toIsEEEE10hipError_tPvRmT2_T3_mT4_T5_T6_T7_T8_P12ihipStream_tbENKUlT_T0_E_clISt17integral_constantIbLb0EES13_EEDaSY_SZ_EUlSY_E_NS1_11comp_targetILNS1_3genE3ELNS1_11target_archE908ELNS1_3gpuE7ELNS1_3repE0EEENS1_30default_config_static_selectorELNS0_4arch9wavefront6targetE1EEEvT1_, .Lfunc_end1473-_ZN7rocprim17ROCPRIM_400000_NS6detail17trampoline_kernelINS0_14default_configENS1_29reduce_by_key_config_selectorIslN6thrust23THRUST_200600_302600_NS4plusIlEEEEZZNS1_33reduce_by_key_impl_wrapped_configILNS1_25lookback_scan_determinismE0ES3_S9_PsNS6_17constant_iteratorIiNS6_11use_defaultESE_EENS6_10device_ptrIsEENSG_IlEEPmS8_NS6_8equal_toIsEEEE10hipError_tPvRmT2_T3_mT4_T5_T6_T7_T8_P12ihipStream_tbENKUlT_T0_E_clISt17integral_constantIbLb0EES13_EEDaSY_SZ_EUlSY_E_NS1_11comp_targetILNS1_3genE3ELNS1_11target_archE908ELNS1_3gpuE7ELNS1_3repE0EEENS1_30default_config_static_selectorELNS0_4arch9wavefront6targetE1EEEvT1_
                                        ; -- End function
	.section	.AMDGPU.csdata,"",@progbits
; Kernel info:
; codeLenInByte = 0
; NumSgprs: 4
; NumVgprs: 0
; NumAgprs: 0
; TotalNumVgprs: 0
; ScratchSize: 0
; MemoryBound: 0
; FloatMode: 240
; IeeeMode: 1
; LDSByteSize: 0 bytes/workgroup (compile time only)
; SGPRBlocks: 0
; VGPRBlocks: 0
; NumSGPRsForWavesPerEU: 4
; NumVGPRsForWavesPerEU: 1
; AccumOffset: 4
; Occupancy: 8
; WaveLimiterHint : 0
; COMPUTE_PGM_RSRC2:SCRATCH_EN: 0
; COMPUTE_PGM_RSRC2:USER_SGPR: 6
; COMPUTE_PGM_RSRC2:TRAP_HANDLER: 0
; COMPUTE_PGM_RSRC2:TGID_X_EN: 1
; COMPUTE_PGM_RSRC2:TGID_Y_EN: 0
; COMPUTE_PGM_RSRC2:TGID_Z_EN: 0
; COMPUTE_PGM_RSRC2:TIDIG_COMP_CNT: 0
; COMPUTE_PGM_RSRC3_GFX90A:ACCUM_OFFSET: 0
; COMPUTE_PGM_RSRC3_GFX90A:TG_SPLIT: 0
	.section	.text._ZN7rocprim17ROCPRIM_400000_NS6detail17trampoline_kernelINS0_14default_configENS1_29reduce_by_key_config_selectorIslN6thrust23THRUST_200600_302600_NS4plusIlEEEEZZNS1_33reduce_by_key_impl_wrapped_configILNS1_25lookback_scan_determinismE0ES3_S9_PsNS6_17constant_iteratorIiNS6_11use_defaultESE_EENS6_10device_ptrIsEENSG_IlEEPmS8_NS6_8equal_toIsEEEE10hipError_tPvRmT2_T3_mT4_T5_T6_T7_T8_P12ihipStream_tbENKUlT_T0_E_clISt17integral_constantIbLb0EES13_EEDaSY_SZ_EUlSY_E_NS1_11comp_targetILNS1_3genE2ELNS1_11target_archE906ELNS1_3gpuE6ELNS1_3repE0EEENS1_30default_config_static_selectorELNS0_4arch9wavefront6targetE1EEEvT1_,"axG",@progbits,_ZN7rocprim17ROCPRIM_400000_NS6detail17trampoline_kernelINS0_14default_configENS1_29reduce_by_key_config_selectorIslN6thrust23THRUST_200600_302600_NS4plusIlEEEEZZNS1_33reduce_by_key_impl_wrapped_configILNS1_25lookback_scan_determinismE0ES3_S9_PsNS6_17constant_iteratorIiNS6_11use_defaultESE_EENS6_10device_ptrIsEENSG_IlEEPmS8_NS6_8equal_toIsEEEE10hipError_tPvRmT2_T3_mT4_T5_T6_T7_T8_P12ihipStream_tbENKUlT_T0_E_clISt17integral_constantIbLb0EES13_EEDaSY_SZ_EUlSY_E_NS1_11comp_targetILNS1_3genE2ELNS1_11target_archE906ELNS1_3gpuE6ELNS1_3repE0EEENS1_30default_config_static_selectorELNS0_4arch9wavefront6targetE1EEEvT1_,comdat
	.protected	_ZN7rocprim17ROCPRIM_400000_NS6detail17trampoline_kernelINS0_14default_configENS1_29reduce_by_key_config_selectorIslN6thrust23THRUST_200600_302600_NS4plusIlEEEEZZNS1_33reduce_by_key_impl_wrapped_configILNS1_25lookback_scan_determinismE0ES3_S9_PsNS6_17constant_iteratorIiNS6_11use_defaultESE_EENS6_10device_ptrIsEENSG_IlEEPmS8_NS6_8equal_toIsEEEE10hipError_tPvRmT2_T3_mT4_T5_T6_T7_T8_P12ihipStream_tbENKUlT_T0_E_clISt17integral_constantIbLb0EES13_EEDaSY_SZ_EUlSY_E_NS1_11comp_targetILNS1_3genE2ELNS1_11target_archE906ELNS1_3gpuE6ELNS1_3repE0EEENS1_30default_config_static_selectorELNS0_4arch9wavefront6targetE1EEEvT1_ ; -- Begin function _ZN7rocprim17ROCPRIM_400000_NS6detail17trampoline_kernelINS0_14default_configENS1_29reduce_by_key_config_selectorIslN6thrust23THRUST_200600_302600_NS4plusIlEEEEZZNS1_33reduce_by_key_impl_wrapped_configILNS1_25lookback_scan_determinismE0ES3_S9_PsNS6_17constant_iteratorIiNS6_11use_defaultESE_EENS6_10device_ptrIsEENSG_IlEEPmS8_NS6_8equal_toIsEEEE10hipError_tPvRmT2_T3_mT4_T5_T6_T7_T8_P12ihipStream_tbENKUlT_T0_E_clISt17integral_constantIbLb0EES13_EEDaSY_SZ_EUlSY_E_NS1_11comp_targetILNS1_3genE2ELNS1_11target_archE906ELNS1_3gpuE6ELNS1_3repE0EEENS1_30default_config_static_selectorELNS0_4arch9wavefront6targetE1EEEvT1_
	.globl	_ZN7rocprim17ROCPRIM_400000_NS6detail17trampoline_kernelINS0_14default_configENS1_29reduce_by_key_config_selectorIslN6thrust23THRUST_200600_302600_NS4plusIlEEEEZZNS1_33reduce_by_key_impl_wrapped_configILNS1_25lookback_scan_determinismE0ES3_S9_PsNS6_17constant_iteratorIiNS6_11use_defaultESE_EENS6_10device_ptrIsEENSG_IlEEPmS8_NS6_8equal_toIsEEEE10hipError_tPvRmT2_T3_mT4_T5_T6_T7_T8_P12ihipStream_tbENKUlT_T0_E_clISt17integral_constantIbLb0EES13_EEDaSY_SZ_EUlSY_E_NS1_11comp_targetILNS1_3genE2ELNS1_11target_archE906ELNS1_3gpuE6ELNS1_3repE0EEENS1_30default_config_static_selectorELNS0_4arch9wavefront6targetE1EEEvT1_
	.p2align	8
	.type	_ZN7rocprim17ROCPRIM_400000_NS6detail17trampoline_kernelINS0_14default_configENS1_29reduce_by_key_config_selectorIslN6thrust23THRUST_200600_302600_NS4plusIlEEEEZZNS1_33reduce_by_key_impl_wrapped_configILNS1_25lookback_scan_determinismE0ES3_S9_PsNS6_17constant_iteratorIiNS6_11use_defaultESE_EENS6_10device_ptrIsEENSG_IlEEPmS8_NS6_8equal_toIsEEEE10hipError_tPvRmT2_T3_mT4_T5_T6_T7_T8_P12ihipStream_tbENKUlT_T0_E_clISt17integral_constantIbLb0EES13_EEDaSY_SZ_EUlSY_E_NS1_11comp_targetILNS1_3genE2ELNS1_11target_archE906ELNS1_3gpuE6ELNS1_3repE0EEENS1_30default_config_static_selectorELNS0_4arch9wavefront6targetE1EEEvT1_,@function
_ZN7rocprim17ROCPRIM_400000_NS6detail17trampoline_kernelINS0_14default_configENS1_29reduce_by_key_config_selectorIslN6thrust23THRUST_200600_302600_NS4plusIlEEEEZZNS1_33reduce_by_key_impl_wrapped_configILNS1_25lookback_scan_determinismE0ES3_S9_PsNS6_17constant_iteratorIiNS6_11use_defaultESE_EENS6_10device_ptrIsEENSG_IlEEPmS8_NS6_8equal_toIsEEEE10hipError_tPvRmT2_T3_mT4_T5_T6_T7_T8_P12ihipStream_tbENKUlT_T0_E_clISt17integral_constantIbLb0EES13_EEDaSY_SZ_EUlSY_E_NS1_11comp_targetILNS1_3genE2ELNS1_11target_archE906ELNS1_3gpuE6ELNS1_3repE0EEENS1_30default_config_static_selectorELNS0_4arch9wavefront6targetE1EEEvT1_: ; @_ZN7rocprim17ROCPRIM_400000_NS6detail17trampoline_kernelINS0_14default_configENS1_29reduce_by_key_config_selectorIslN6thrust23THRUST_200600_302600_NS4plusIlEEEEZZNS1_33reduce_by_key_impl_wrapped_configILNS1_25lookback_scan_determinismE0ES3_S9_PsNS6_17constant_iteratorIiNS6_11use_defaultESE_EENS6_10device_ptrIsEENSG_IlEEPmS8_NS6_8equal_toIsEEEE10hipError_tPvRmT2_T3_mT4_T5_T6_T7_T8_P12ihipStream_tbENKUlT_T0_E_clISt17integral_constantIbLb0EES13_EEDaSY_SZ_EUlSY_E_NS1_11comp_targetILNS1_3genE2ELNS1_11target_archE906ELNS1_3gpuE6ELNS1_3repE0EEENS1_30default_config_static_selectorELNS0_4arch9wavefront6targetE1EEEvT1_
; %bb.0:
	.section	.rodata,"a",@progbits
	.p2align	6, 0x0
	.amdhsa_kernel _ZN7rocprim17ROCPRIM_400000_NS6detail17trampoline_kernelINS0_14default_configENS1_29reduce_by_key_config_selectorIslN6thrust23THRUST_200600_302600_NS4plusIlEEEEZZNS1_33reduce_by_key_impl_wrapped_configILNS1_25lookback_scan_determinismE0ES3_S9_PsNS6_17constant_iteratorIiNS6_11use_defaultESE_EENS6_10device_ptrIsEENSG_IlEEPmS8_NS6_8equal_toIsEEEE10hipError_tPvRmT2_T3_mT4_T5_T6_T7_T8_P12ihipStream_tbENKUlT_T0_E_clISt17integral_constantIbLb0EES13_EEDaSY_SZ_EUlSY_E_NS1_11comp_targetILNS1_3genE2ELNS1_11target_archE906ELNS1_3gpuE6ELNS1_3repE0EEENS1_30default_config_static_selectorELNS0_4arch9wavefront6targetE1EEEvT1_
		.amdhsa_group_segment_fixed_size 0
		.amdhsa_private_segment_fixed_size 0
		.amdhsa_kernarg_size 144
		.amdhsa_user_sgpr_count 6
		.amdhsa_user_sgpr_private_segment_buffer 1
		.amdhsa_user_sgpr_dispatch_ptr 0
		.amdhsa_user_sgpr_queue_ptr 0
		.amdhsa_user_sgpr_kernarg_segment_ptr 1
		.amdhsa_user_sgpr_dispatch_id 0
		.amdhsa_user_sgpr_flat_scratch_init 0
		.amdhsa_user_sgpr_kernarg_preload_length 0
		.amdhsa_user_sgpr_kernarg_preload_offset 0
		.amdhsa_user_sgpr_private_segment_size 0
		.amdhsa_uses_dynamic_stack 0
		.amdhsa_system_sgpr_private_segment_wavefront_offset 0
		.amdhsa_system_sgpr_workgroup_id_x 1
		.amdhsa_system_sgpr_workgroup_id_y 0
		.amdhsa_system_sgpr_workgroup_id_z 0
		.amdhsa_system_sgpr_workgroup_info 0
		.amdhsa_system_vgpr_workitem_id 0
		.amdhsa_next_free_vgpr 1
		.amdhsa_next_free_sgpr 0
		.amdhsa_accum_offset 4
		.amdhsa_reserve_vcc 0
		.amdhsa_reserve_flat_scratch 0
		.amdhsa_float_round_mode_32 0
		.amdhsa_float_round_mode_16_64 0
		.amdhsa_float_denorm_mode_32 3
		.amdhsa_float_denorm_mode_16_64 3
		.amdhsa_dx10_clamp 1
		.amdhsa_ieee_mode 1
		.amdhsa_fp16_overflow 0
		.amdhsa_tg_split 0
		.amdhsa_exception_fp_ieee_invalid_op 0
		.amdhsa_exception_fp_denorm_src 0
		.amdhsa_exception_fp_ieee_div_zero 0
		.amdhsa_exception_fp_ieee_overflow 0
		.amdhsa_exception_fp_ieee_underflow 0
		.amdhsa_exception_fp_ieee_inexact 0
		.amdhsa_exception_int_div_zero 0
	.end_amdhsa_kernel
	.section	.text._ZN7rocprim17ROCPRIM_400000_NS6detail17trampoline_kernelINS0_14default_configENS1_29reduce_by_key_config_selectorIslN6thrust23THRUST_200600_302600_NS4plusIlEEEEZZNS1_33reduce_by_key_impl_wrapped_configILNS1_25lookback_scan_determinismE0ES3_S9_PsNS6_17constant_iteratorIiNS6_11use_defaultESE_EENS6_10device_ptrIsEENSG_IlEEPmS8_NS6_8equal_toIsEEEE10hipError_tPvRmT2_T3_mT4_T5_T6_T7_T8_P12ihipStream_tbENKUlT_T0_E_clISt17integral_constantIbLb0EES13_EEDaSY_SZ_EUlSY_E_NS1_11comp_targetILNS1_3genE2ELNS1_11target_archE906ELNS1_3gpuE6ELNS1_3repE0EEENS1_30default_config_static_selectorELNS0_4arch9wavefront6targetE1EEEvT1_,"axG",@progbits,_ZN7rocprim17ROCPRIM_400000_NS6detail17trampoline_kernelINS0_14default_configENS1_29reduce_by_key_config_selectorIslN6thrust23THRUST_200600_302600_NS4plusIlEEEEZZNS1_33reduce_by_key_impl_wrapped_configILNS1_25lookback_scan_determinismE0ES3_S9_PsNS6_17constant_iteratorIiNS6_11use_defaultESE_EENS6_10device_ptrIsEENSG_IlEEPmS8_NS6_8equal_toIsEEEE10hipError_tPvRmT2_T3_mT4_T5_T6_T7_T8_P12ihipStream_tbENKUlT_T0_E_clISt17integral_constantIbLb0EES13_EEDaSY_SZ_EUlSY_E_NS1_11comp_targetILNS1_3genE2ELNS1_11target_archE906ELNS1_3gpuE6ELNS1_3repE0EEENS1_30default_config_static_selectorELNS0_4arch9wavefront6targetE1EEEvT1_,comdat
.Lfunc_end1474:
	.size	_ZN7rocprim17ROCPRIM_400000_NS6detail17trampoline_kernelINS0_14default_configENS1_29reduce_by_key_config_selectorIslN6thrust23THRUST_200600_302600_NS4plusIlEEEEZZNS1_33reduce_by_key_impl_wrapped_configILNS1_25lookback_scan_determinismE0ES3_S9_PsNS6_17constant_iteratorIiNS6_11use_defaultESE_EENS6_10device_ptrIsEENSG_IlEEPmS8_NS6_8equal_toIsEEEE10hipError_tPvRmT2_T3_mT4_T5_T6_T7_T8_P12ihipStream_tbENKUlT_T0_E_clISt17integral_constantIbLb0EES13_EEDaSY_SZ_EUlSY_E_NS1_11comp_targetILNS1_3genE2ELNS1_11target_archE906ELNS1_3gpuE6ELNS1_3repE0EEENS1_30default_config_static_selectorELNS0_4arch9wavefront6targetE1EEEvT1_, .Lfunc_end1474-_ZN7rocprim17ROCPRIM_400000_NS6detail17trampoline_kernelINS0_14default_configENS1_29reduce_by_key_config_selectorIslN6thrust23THRUST_200600_302600_NS4plusIlEEEEZZNS1_33reduce_by_key_impl_wrapped_configILNS1_25lookback_scan_determinismE0ES3_S9_PsNS6_17constant_iteratorIiNS6_11use_defaultESE_EENS6_10device_ptrIsEENSG_IlEEPmS8_NS6_8equal_toIsEEEE10hipError_tPvRmT2_T3_mT4_T5_T6_T7_T8_P12ihipStream_tbENKUlT_T0_E_clISt17integral_constantIbLb0EES13_EEDaSY_SZ_EUlSY_E_NS1_11comp_targetILNS1_3genE2ELNS1_11target_archE906ELNS1_3gpuE6ELNS1_3repE0EEENS1_30default_config_static_selectorELNS0_4arch9wavefront6targetE1EEEvT1_
                                        ; -- End function
	.section	.AMDGPU.csdata,"",@progbits
; Kernel info:
; codeLenInByte = 0
; NumSgprs: 4
; NumVgprs: 0
; NumAgprs: 0
; TotalNumVgprs: 0
; ScratchSize: 0
; MemoryBound: 0
; FloatMode: 240
; IeeeMode: 1
; LDSByteSize: 0 bytes/workgroup (compile time only)
; SGPRBlocks: 0
; VGPRBlocks: 0
; NumSGPRsForWavesPerEU: 4
; NumVGPRsForWavesPerEU: 1
; AccumOffset: 4
; Occupancy: 8
; WaveLimiterHint : 0
; COMPUTE_PGM_RSRC2:SCRATCH_EN: 0
; COMPUTE_PGM_RSRC2:USER_SGPR: 6
; COMPUTE_PGM_RSRC2:TRAP_HANDLER: 0
; COMPUTE_PGM_RSRC2:TGID_X_EN: 1
; COMPUTE_PGM_RSRC2:TGID_Y_EN: 0
; COMPUTE_PGM_RSRC2:TGID_Z_EN: 0
; COMPUTE_PGM_RSRC2:TIDIG_COMP_CNT: 0
; COMPUTE_PGM_RSRC3_GFX90A:ACCUM_OFFSET: 0
; COMPUTE_PGM_RSRC3_GFX90A:TG_SPLIT: 0
	.section	.text._ZN7rocprim17ROCPRIM_400000_NS6detail17trampoline_kernelINS0_14default_configENS1_29reduce_by_key_config_selectorIslN6thrust23THRUST_200600_302600_NS4plusIlEEEEZZNS1_33reduce_by_key_impl_wrapped_configILNS1_25lookback_scan_determinismE0ES3_S9_PsNS6_17constant_iteratorIiNS6_11use_defaultESE_EENS6_10device_ptrIsEENSG_IlEEPmS8_NS6_8equal_toIsEEEE10hipError_tPvRmT2_T3_mT4_T5_T6_T7_T8_P12ihipStream_tbENKUlT_T0_E_clISt17integral_constantIbLb0EES13_EEDaSY_SZ_EUlSY_E_NS1_11comp_targetILNS1_3genE10ELNS1_11target_archE1201ELNS1_3gpuE5ELNS1_3repE0EEENS1_30default_config_static_selectorELNS0_4arch9wavefront6targetE1EEEvT1_,"axG",@progbits,_ZN7rocprim17ROCPRIM_400000_NS6detail17trampoline_kernelINS0_14default_configENS1_29reduce_by_key_config_selectorIslN6thrust23THRUST_200600_302600_NS4plusIlEEEEZZNS1_33reduce_by_key_impl_wrapped_configILNS1_25lookback_scan_determinismE0ES3_S9_PsNS6_17constant_iteratorIiNS6_11use_defaultESE_EENS6_10device_ptrIsEENSG_IlEEPmS8_NS6_8equal_toIsEEEE10hipError_tPvRmT2_T3_mT4_T5_T6_T7_T8_P12ihipStream_tbENKUlT_T0_E_clISt17integral_constantIbLb0EES13_EEDaSY_SZ_EUlSY_E_NS1_11comp_targetILNS1_3genE10ELNS1_11target_archE1201ELNS1_3gpuE5ELNS1_3repE0EEENS1_30default_config_static_selectorELNS0_4arch9wavefront6targetE1EEEvT1_,comdat
	.protected	_ZN7rocprim17ROCPRIM_400000_NS6detail17trampoline_kernelINS0_14default_configENS1_29reduce_by_key_config_selectorIslN6thrust23THRUST_200600_302600_NS4plusIlEEEEZZNS1_33reduce_by_key_impl_wrapped_configILNS1_25lookback_scan_determinismE0ES3_S9_PsNS6_17constant_iteratorIiNS6_11use_defaultESE_EENS6_10device_ptrIsEENSG_IlEEPmS8_NS6_8equal_toIsEEEE10hipError_tPvRmT2_T3_mT4_T5_T6_T7_T8_P12ihipStream_tbENKUlT_T0_E_clISt17integral_constantIbLb0EES13_EEDaSY_SZ_EUlSY_E_NS1_11comp_targetILNS1_3genE10ELNS1_11target_archE1201ELNS1_3gpuE5ELNS1_3repE0EEENS1_30default_config_static_selectorELNS0_4arch9wavefront6targetE1EEEvT1_ ; -- Begin function _ZN7rocprim17ROCPRIM_400000_NS6detail17trampoline_kernelINS0_14default_configENS1_29reduce_by_key_config_selectorIslN6thrust23THRUST_200600_302600_NS4plusIlEEEEZZNS1_33reduce_by_key_impl_wrapped_configILNS1_25lookback_scan_determinismE0ES3_S9_PsNS6_17constant_iteratorIiNS6_11use_defaultESE_EENS6_10device_ptrIsEENSG_IlEEPmS8_NS6_8equal_toIsEEEE10hipError_tPvRmT2_T3_mT4_T5_T6_T7_T8_P12ihipStream_tbENKUlT_T0_E_clISt17integral_constantIbLb0EES13_EEDaSY_SZ_EUlSY_E_NS1_11comp_targetILNS1_3genE10ELNS1_11target_archE1201ELNS1_3gpuE5ELNS1_3repE0EEENS1_30default_config_static_selectorELNS0_4arch9wavefront6targetE1EEEvT1_
	.globl	_ZN7rocprim17ROCPRIM_400000_NS6detail17trampoline_kernelINS0_14default_configENS1_29reduce_by_key_config_selectorIslN6thrust23THRUST_200600_302600_NS4plusIlEEEEZZNS1_33reduce_by_key_impl_wrapped_configILNS1_25lookback_scan_determinismE0ES3_S9_PsNS6_17constant_iteratorIiNS6_11use_defaultESE_EENS6_10device_ptrIsEENSG_IlEEPmS8_NS6_8equal_toIsEEEE10hipError_tPvRmT2_T3_mT4_T5_T6_T7_T8_P12ihipStream_tbENKUlT_T0_E_clISt17integral_constantIbLb0EES13_EEDaSY_SZ_EUlSY_E_NS1_11comp_targetILNS1_3genE10ELNS1_11target_archE1201ELNS1_3gpuE5ELNS1_3repE0EEENS1_30default_config_static_selectorELNS0_4arch9wavefront6targetE1EEEvT1_
	.p2align	8
	.type	_ZN7rocprim17ROCPRIM_400000_NS6detail17trampoline_kernelINS0_14default_configENS1_29reduce_by_key_config_selectorIslN6thrust23THRUST_200600_302600_NS4plusIlEEEEZZNS1_33reduce_by_key_impl_wrapped_configILNS1_25lookback_scan_determinismE0ES3_S9_PsNS6_17constant_iteratorIiNS6_11use_defaultESE_EENS6_10device_ptrIsEENSG_IlEEPmS8_NS6_8equal_toIsEEEE10hipError_tPvRmT2_T3_mT4_T5_T6_T7_T8_P12ihipStream_tbENKUlT_T0_E_clISt17integral_constantIbLb0EES13_EEDaSY_SZ_EUlSY_E_NS1_11comp_targetILNS1_3genE10ELNS1_11target_archE1201ELNS1_3gpuE5ELNS1_3repE0EEENS1_30default_config_static_selectorELNS0_4arch9wavefront6targetE1EEEvT1_,@function
_ZN7rocprim17ROCPRIM_400000_NS6detail17trampoline_kernelINS0_14default_configENS1_29reduce_by_key_config_selectorIslN6thrust23THRUST_200600_302600_NS4plusIlEEEEZZNS1_33reduce_by_key_impl_wrapped_configILNS1_25lookback_scan_determinismE0ES3_S9_PsNS6_17constant_iteratorIiNS6_11use_defaultESE_EENS6_10device_ptrIsEENSG_IlEEPmS8_NS6_8equal_toIsEEEE10hipError_tPvRmT2_T3_mT4_T5_T6_T7_T8_P12ihipStream_tbENKUlT_T0_E_clISt17integral_constantIbLb0EES13_EEDaSY_SZ_EUlSY_E_NS1_11comp_targetILNS1_3genE10ELNS1_11target_archE1201ELNS1_3gpuE5ELNS1_3repE0EEENS1_30default_config_static_selectorELNS0_4arch9wavefront6targetE1EEEvT1_: ; @_ZN7rocprim17ROCPRIM_400000_NS6detail17trampoline_kernelINS0_14default_configENS1_29reduce_by_key_config_selectorIslN6thrust23THRUST_200600_302600_NS4plusIlEEEEZZNS1_33reduce_by_key_impl_wrapped_configILNS1_25lookback_scan_determinismE0ES3_S9_PsNS6_17constant_iteratorIiNS6_11use_defaultESE_EENS6_10device_ptrIsEENSG_IlEEPmS8_NS6_8equal_toIsEEEE10hipError_tPvRmT2_T3_mT4_T5_T6_T7_T8_P12ihipStream_tbENKUlT_T0_E_clISt17integral_constantIbLb0EES13_EEDaSY_SZ_EUlSY_E_NS1_11comp_targetILNS1_3genE10ELNS1_11target_archE1201ELNS1_3gpuE5ELNS1_3repE0EEENS1_30default_config_static_selectorELNS0_4arch9wavefront6targetE1EEEvT1_
; %bb.0:
	.section	.rodata,"a",@progbits
	.p2align	6, 0x0
	.amdhsa_kernel _ZN7rocprim17ROCPRIM_400000_NS6detail17trampoline_kernelINS0_14default_configENS1_29reduce_by_key_config_selectorIslN6thrust23THRUST_200600_302600_NS4plusIlEEEEZZNS1_33reduce_by_key_impl_wrapped_configILNS1_25lookback_scan_determinismE0ES3_S9_PsNS6_17constant_iteratorIiNS6_11use_defaultESE_EENS6_10device_ptrIsEENSG_IlEEPmS8_NS6_8equal_toIsEEEE10hipError_tPvRmT2_T3_mT4_T5_T6_T7_T8_P12ihipStream_tbENKUlT_T0_E_clISt17integral_constantIbLb0EES13_EEDaSY_SZ_EUlSY_E_NS1_11comp_targetILNS1_3genE10ELNS1_11target_archE1201ELNS1_3gpuE5ELNS1_3repE0EEENS1_30default_config_static_selectorELNS0_4arch9wavefront6targetE1EEEvT1_
		.amdhsa_group_segment_fixed_size 0
		.amdhsa_private_segment_fixed_size 0
		.amdhsa_kernarg_size 144
		.amdhsa_user_sgpr_count 6
		.amdhsa_user_sgpr_private_segment_buffer 1
		.amdhsa_user_sgpr_dispatch_ptr 0
		.amdhsa_user_sgpr_queue_ptr 0
		.amdhsa_user_sgpr_kernarg_segment_ptr 1
		.amdhsa_user_sgpr_dispatch_id 0
		.amdhsa_user_sgpr_flat_scratch_init 0
		.amdhsa_user_sgpr_kernarg_preload_length 0
		.amdhsa_user_sgpr_kernarg_preload_offset 0
		.amdhsa_user_sgpr_private_segment_size 0
		.amdhsa_uses_dynamic_stack 0
		.amdhsa_system_sgpr_private_segment_wavefront_offset 0
		.amdhsa_system_sgpr_workgroup_id_x 1
		.amdhsa_system_sgpr_workgroup_id_y 0
		.amdhsa_system_sgpr_workgroup_id_z 0
		.amdhsa_system_sgpr_workgroup_info 0
		.amdhsa_system_vgpr_workitem_id 0
		.amdhsa_next_free_vgpr 1
		.amdhsa_next_free_sgpr 0
		.amdhsa_accum_offset 4
		.amdhsa_reserve_vcc 0
		.amdhsa_reserve_flat_scratch 0
		.amdhsa_float_round_mode_32 0
		.amdhsa_float_round_mode_16_64 0
		.amdhsa_float_denorm_mode_32 3
		.amdhsa_float_denorm_mode_16_64 3
		.amdhsa_dx10_clamp 1
		.amdhsa_ieee_mode 1
		.amdhsa_fp16_overflow 0
		.amdhsa_tg_split 0
		.amdhsa_exception_fp_ieee_invalid_op 0
		.amdhsa_exception_fp_denorm_src 0
		.amdhsa_exception_fp_ieee_div_zero 0
		.amdhsa_exception_fp_ieee_overflow 0
		.amdhsa_exception_fp_ieee_underflow 0
		.amdhsa_exception_fp_ieee_inexact 0
		.amdhsa_exception_int_div_zero 0
	.end_amdhsa_kernel
	.section	.text._ZN7rocprim17ROCPRIM_400000_NS6detail17trampoline_kernelINS0_14default_configENS1_29reduce_by_key_config_selectorIslN6thrust23THRUST_200600_302600_NS4plusIlEEEEZZNS1_33reduce_by_key_impl_wrapped_configILNS1_25lookback_scan_determinismE0ES3_S9_PsNS6_17constant_iteratorIiNS6_11use_defaultESE_EENS6_10device_ptrIsEENSG_IlEEPmS8_NS6_8equal_toIsEEEE10hipError_tPvRmT2_T3_mT4_T5_T6_T7_T8_P12ihipStream_tbENKUlT_T0_E_clISt17integral_constantIbLb0EES13_EEDaSY_SZ_EUlSY_E_NS1_11comp_targetILNS1_3genE10ELNS1_11target_archE1201ELNS1_3gpuE5ELNS1_3repE0EEENS1_30default_config_static_selectorELNS0_4arch9wavefront6targetE1EEEvT1_,"axG",@progbits,_ZN7rocprim17ROCPRIM_400000_NS6detail17trampoline_kernelINS0_14default_configENS1_29reduce_by_key_config_selectorIslN6thrust23THRUST_200600_302600_NS4plusIlEEEEZZNS1_33reduce_by_key_impl_wrapped_configILNS1_25lookback_scan_determinismE0ES3_S9_PsNS6_17constant_iteratorIiNS6_11use_defaultESE_EENS6_10device_ptrIsEENSG_IlEEPmS8_NS6_8equal_toIsEEEE10hipError_tPvRmT2_T3_mT4_T5_T6_T7_T8_P12ihipStream_tbENKUlT_T0_E_clISt17integral_constantIbLb0EES13_EEDaSY_SZ_EUlSY_E_NS1_11comp_targetILNS1_3genE10ELNS1_11target_archE1201ELNS1_3gpuE5ELNS1_3repE0EEENS1_30default_config_static_selectorELNS0_4arch9wavefront6targetE1EEEvT1_,comdat
.Lfunc_end1475:
	.size	_ZN7rocprim17ROCPRIM_400000_NS6detail17trampoline_kernelINS0_14default_configENS1_29reduce_by_key_config_selectorIslN6thrust23THRUST_200600_302600_NS4plusIlEEEEZZNS1_33reduce_by_key_impl_wrapped_configILNS1_25lookback_scan_determinismE0ES3_S9_PsNS6_17constant_iteratorIiNS6_11use_defaultESE_EENS6_10device_ptrIsEENSG_IlEEPmS8_NS6_8equal_toIsEEEE10hipError_tPvRmT2_T3_mT4_T5_T6_T7_T8_P12ihipStream_tbENKUlT_T0_E_clISt17integral_constantIbLb0EES13_EEDaSY_SZ_EUlSY_E_NS1_11comp_targetILNS1_3genE10ELNS1_11target_archE1201ELNS1_3gpuE5ELNS1_3repE0EEENS1_30default_config_static_selectorELNS0_4arch9wavefront6targetE1EEEvT1_, .Lfunc_end1475-_ZN7rocprim17ROCPRIM_400000_NS6detail17trampoline_kernelINS0_14default_configENS1_29reduce_by_key_config_selectorIslN6thrust23THRUST_200600_302600_NS4plusIlEEEEZZNS1_33reduce_by_key_impl_wrapped_configILNS1_25lookback_scan_determinismE0ES3_S9_PsNS6_17constant_iteratorIiNS6_11use_defaultESE_EENS6_10device_ptrIsEENSG_IlEEPmS8_NS6_8equal_toIsEEEE10hipError_tPvRmT2_T3_mT4_T5_T6_T7_T8_P12ihipStream_tbENKUlT_T0_E_clISt17integral_constantIbLb0EES13_EEDaSY_SZ_EUlSY_E_NS1_11comp_targetILNS1_3genE10ELNS1_11target_archE1201ELNS1_3gpuE5ELNS1_3repE0EEENS1_30default_config_static_selectorELNS0_4arch9wavefront6targetE1EEEvT1_
                                        ; -- End function
	.section	.AMDGPU.csdata,"",@progbits
; Kernel info:
; codeLenInByte = 0
; NumSgprs: 4
; NumVgprs: 0
; NumAgprs: 0
; TotalNumVgprs: 0
; ScratchSize: 0
; MemoryBound: 0
; FloatMode: 240
; IeeeMode: 1
; LDSByteSize: 0 bytes/workgroup (compile time only)
; SGPRBlocks: 0
; VGPRBlocks: 0
; NumSGPRsForWavesPerEU: 4
; NumVGPRsForWavesPerEU: 1
; AccumOffset: 4
; Occupancy: 8
; WaveLimiterHint : 0
; COMPUTE_PGM_RSRC2:SCRATCH_EN: 0
; COMPUTE_PGM_RSRC2:USER_SGPR: 6
; COMPUTE_PGM_RSRC2:TRAP_HANDLER: 0
; COMPUTE_PGM_RSRC2:TGID_X_EN: 1
; COMPUTE_PGM_RSRC2:TGID_Y_EN: 0
; COMPUTE_PGM_RSRC2:TGID_Z_EN: 0
; COMPUTE_PGM_RSRC2:TIDIG_COMP_CNT: 0
; COMPUTE_PGM_RSRC3_GFX90A:ACCUM_OFFSET: 0
; COMPUTE_PGM_RSRC3_GFX90A:TG_SPLIT: 0
	.section	.text._ZN7rocprim17ROCPRIM_400000_NS6detail17trampoline_kernelINS0_14default_configENS1_29reduce_by_key_config_selectorIslN6thrust23THRUST_200600_302600_NS4plusIlEEEEZZNS1_33reduce_by_key_impl_wrapped_configILNS1_25lookback_scan_determinismE0ES3_S9_PsNS6_17constant_iteratorIiNS6_11use_defaultESE_EENS6_10device_ptrIsEENSG_IlEEPmS8_NS6_8equal_toIsEEEE10hipError_tPvRmT2_T3_mT4_T5_T6_T7_T8_P12ihipStream_tbENKUlT_T0_E_clISt17integral_constantIbLb0EES13_EEDaSY_SZ_EUlSY_E_NS1_11comp_targetILNS1_3genE10ELNS1_11target_archE1200ELNS1_3gpuE4ELNS1_3repE0EEENS1_30default_config_static_selectorELNS0_4arch9wavefront6targetE1EEEvT1_,"axG",@progbits,_ZN7rocprim17ROCPRIM_400000_NS6detail17trampoline_kernelINS0_14default_configENS1_29reduce_by_key_config_selectorIslN6thrust23THRUST_200600_302600_NS4plusIlEEEEZZNS1_33reduce_by_key_impl_wrapped_configILNS1_25lookback_scan_determinismE0ES3_S9_PsNS6_17constant_iteratorIiNS6_11use_defaultESE_EENS6_10device_ptrIsEENSG_IlEEPmS8_NS6_8equal_toIsEEEE10hipError_tPvRmT2_T3_mT4_T5_T6_T7_T8_P12ihipStream_tbENKUlT_T0_E_clISt17integral_constantIbLb0EES13_EEDaSY_SZ_EUlSY_E_NS1_11comp_targetILNS1_3genE10ELNS1_11target_archE1200ELNS1_3gpuE4ELNS1_3repE0EEENS1_30default_config_static_selectorELNS0_4arch9wavefront6targetE1EEEvT1_,comdat
	.protected	_ZN7rocprim17ROCPRIM_400000_NS6detail17trampoline_kernelINS0_14default_configENS1_29reduce_by_key_config_selectorIslN6thrust23THRUST_200600_302600_NS4plusIlEEEEZZNS1_33reduce_by_key_impl_wrapped_configILNS1_25lookback_scan_determinismE0ES3_S9_PsNS6_17constant_iteratorIiNS6_11use_defaultESE_EENS6_10device_ptrIsEENSG_IlEEPmS8_NS6_8equal_toIsEEEE10hipError_tPvRmT2_T3_mT4_T5_T6_T7_T8_P12ihipStream_tbENKUlT_T0_E_clISt17integral_constantIbLb0EES13_EEDaSY_SZ_EUlSY_E_NS1_11comp_targetILNS1_3genE10ELNS1_11target_archE1200ELNS1_3gpuE4ELNS1_3repE0EEENS1_30default_config_static_selectorELNS0_4arch9wavefront6targetE1EEEvT1_ ; -- Begin function _ZN7rocprim17ROCPRIM_400000_NS6detail17trampoline_kernelINS0_14default_configENS1_29reduce_by_key_config_selectorIslN6thrust23THRUST_200600_302600_NS4plusIlEEEEZZNS1_33reduce_by_key_impl_wrapped_configILNS1_25lookback_scan_determinismE0ES3_S9_PsNS6_17constant_iteratorIiNS6_11use_defaultESE_EENS6_10device_ptrIsEENSG_IlEEPmS8_NS6_8equal_toIsEEEE10hipError_tPvRmT2_T3_mT4_T5_T6_T7_T8_P12ihipStream_tbENKUlT_T0_E_clISt17integral_constantIbLb0EES13_EEDaSY_SZ_EUlSY_E_NS1_11comp_targetILNS1_3genE10ELNS1_11target_archE1200ELNS1_3gpuE4ELNS1_3repE0EEENS1_30default_config_static_selectorELNS0_4arch9wavefront6targetE1EEEvT1_
	.globl	_ZN7rocprim17ROCPRIM_400000_NS6detail17trampoline_kernelINS0_14default_configENS1_29reduce_by_key_config_selectorIslN6thrust23THRUST_200600_302600_NS4plusIlEEEEZZNS1_33reduce_by_key_impl_wrapped_configILNS1_25lookback_scan_determinismE0ES3_S9_PsNS6_17constant_iteratorIiNS6_11use_defaultESE_EENS6_10device_ptrIsEENSG_IlEEPmS8_NS6_8equal_toIsEEEE10hipError_tPvRmT2_T3_mT4_T5_T6_T7_T8_P12ihipStream_tbENKUlT_T0_E_clISt17integral_constantIbLb0EES13_EEDaSY_SZ_EUlSY_E_NS1_11comp_targetILNS1_3genE10ELNS1_11target_archE1200ELNS1_3gpuE4ELNS1_3repE0EEENS1_30default_config_static_selectorELNS0_4arch9wavefront6targetE1EEEvT1_
	.p2align	8
	.type	_ZN7rocprim17ROCPRIM_400000_NS6detail17trampoline_kernelINS0_14default_configENS1_29reduce_by_key_config_selectorIslN6thrust23THRUST_200600_302600_NS4plusIlEEEEZZNS1_33reduce_by_key_impl_wrapped_configILNS1_25lookback_scan_determinismE0ES3_S9_PsNS6_17constant_iteratorIiNS6_11use_defaultESE_EENS6_10device_ptrIsEENSG_IlEEPmS8_NS6_8equal_toIsEEEE10hipError_tPvRmT2_T3_mT4_T5_T6_T7_T8_P12ihipStream_tbENKUlT_T0_E_clISt17integral_constantIbLb0EES13_EEDaSY_SZ_EUlSY_E_NS1_11comp_targetILNS1_3genE10ELNS1_11target_archE1200ELNS1_3gpuE4ELNS1_3repE0EEENS1_30default_config_static_selectorELNS0_4arch9wavefront6targetE1EEEvT1_,@function
_ZN7rocprim17ROCPRIM_400000_NS6detail17trampoline_kernelINS0_14default_configENS1_29reduce_by_key_config_selectorIslN6thrust23THRUST_200600_302600_NS4plusIlEEEEZZNS1_33reduce_by_key_impl_wrapped_configILNS1_25lookback_scan_determinismE0ES3_S9_PsNS6_17constant_iteratorIiNS6_11use_defaultESE_EENS6_10device_ptrIsEENSG_IlEEPmS8_NS6_8equal_toIsEEEE10hipError_tPvRmT2_T3_mT4_T5_T6_T7_T8_P12ihipStream_tbENKUlT_T0_E_clISt17integral_constantIbLb0EES13_EEDaSY_SZ_EUlSY_E_NS1_11comp_targetILNS1_3genE10ELNS1_11target_archE1200ELNS1_3gpuE4ELNS1_3repE0EEENS1_30default_config_static_selectorELNS0_4arch9wavefront6targetE1EEEvT1_: ; @_ZN7rocprim17ROCPRIM_400000_NS6detail17trampoline_kernelINS0_14default_configENS1_29reduce_by_key_config_selectorIslN6thrust23THRUST_200600_302600_NS4plusIlEEEEZZNS1_33reduce_by_key_impl_wrapped_configILNS1_25lookback_scan_determinismE0ES3_S9_PsNS6_17constant_iteratorIiNS6_11use_defaultESE_EENS6_10device_ptrIsEENSG_IlEEPmS8_NS6_8equal_toIsEEEE10hipError_tPvRmT2_T3_mT4_T5_T6_T7_T8_P12ihipStream_tbENKUlT_T0_E_clISt17integral_constantIbLb0EES13_EEDaSY_SZ_EUlSY_E_NS1_11comp_targetILNS1_3genE10ELNS1_11target_archE1200ELNS1_3gpuE4ELNS1_3repE0EEENS1_30default_config_static_selectorELNS0_4arch9wavefront6targetE1EEEvT1_
; %bb.0:
	.section	.rodata,"a",@progbits
	.p2align	6, 0x0
	.amdhsa_kernel _ZN7rocprim17ROCPRIM_400000_NS6detail17trampoline_kernelINS0_14default_configENS1_29reduce_by_key_config_selectorIslN6thrust23THRUST_200600_302600_NS4plusIlEEEEZZNS1_33reduce_by_key_impl_wrapped_configILNS1_25lookback_scan_determinismE0ES3_S9_PsNS6_17constant_iteratorIiNS6_11use_defaultESE_EENS6_10device_ptrIsEENSG_IlEEPmS8_NS6_8equal_toIsEEEE10hipError_tPvRmT2_T3_mT4_T5_T6_T7_T8_P12ihipStream_tbENKUlT_T0_E_clISt17integral_constantIbLb0EES13_EEDaSY_SZ_EUlSY_E_NS1_11comp_targetILNS1_3genE10ELNS1_11target_archE1200ELNS1_3gpuE4ELNS1_3repE0EEENS1_30default_config_static_selectorELNS0_4arch9wavefront6targetE1EEEvT1_
		.amdhsa_group_segment_fixed_size 0
		.amdhsa_private_segment_fixed_size 0
		.amdhsa_kernarg_size 144
		.amdhsa_user_sgpr_count 6
		.amdhsa_user_sgpr_private_segment_buffer 1
		.amdhsa_user_sgpr_dispatch_ptr 0
		.amdhsa_user_sgpr_queue_ptr 0
		.amdhsa_user_sgpr_kernarg_segment_ptr 1
		.amdhsa_user_sgpr_dispatch_id 0
		.amdhsa_user_sgpr_flat_scratch_init 0
		.amdhsa_user_sgpr_kernarg_preload_length 0
		.amdhsa_user_sgpr_kernarg_preload_offset 0
		.amdhsa_user_sgpr_private_segment_size 0
		.amdhsa_uses_dynamic_stack 0
		.amdhsa_system_sgpr_private_segment_wavefront_offset 0
		.amdhsa_system_sgpr_workgroup_id_x 1
		.amdhsa_system_sgpr_workgroup_id_y 0
		.amdhsa_system_sgpr_workgroup_id_z 0
		.amdhsa_system_sgpr_workgroup_info 0
		.amdhsa_system_vgpr_workitem_id 0
		.amdhsa_next_free_vgpr 1
		.amdhsa_next_free_sgpr 0
		.amdhsa_accum_offset 4
		.amdhsa_reserve_vcc 0
		.amdhsa_reserve_flat_scratch 0
		.amdhsa_float_round_mode_32 0
		.amdhsa_float_round_mode_16_64 0
		.amdhsa_float_denorm_mode_32 3
		.amdhsa_float_denorm_mode_16_64 3
		.amdhsa_dx10_clamp 1
		.amdhsa_ieee_mode 1
		.amdhsa_fp16_overflow 0
		.amdhsa_tg_split 0
		.amdhsa_exception_fp_ieee_invalid_op 0
		.amdhsa_exception_fp_denorm_src 0
		.amdhsa_exception_fp_ieee_div_zero 0
		.amdhsa_exception_fp_ieee_overflow 0
		.amdhsa_exception_fp_ieee_underflow 0
		.amdhsa_exception_fp_ieee_inexact 0
		.amdhsa_exception_int_div_zero 0
	.end_amdhsa_kernel
	.section	.text._ZN7rocprim17ROCPRIM_400000_NS6detail17trampoline_kernelINS0_14default_configENS1_29reduce_by_key_config_selectorIslN6thrust23THRUST_200600_302600_NS4plusIlEEEEZZNS1_33reduce_by_key_impl_wrapped_configILNS1_25lookback_scan_determinismE0ES3_S9_PsNS6_17constant_iteratorIiNS6_11use_defaultESE_EENS6_10device_ptrIsEENSG_IlEEPmS8_NS6_8equal_toIsEEEE10hipError_tPvRmT2_T3_mT4_T5_T6_T7_T8_P12ihipStream_tbENKUlT_T0_E_clISt17integral_constantIbLb0EES13_EEDaSY_SZ_EUlSY_E_NS1_11comp_targetILNS1_3genE10ELNS1_11target_archE1200ELNS1_3gpuE4ELNS1_3repE0EEENS1_30default_config_static_selectorELNS0_4arch9wavefront6targetE1EEEvT1_,"axG",@progbits,_ZN7rocprim17ROCPRIM_400000_NS6detail17trampoline_kernelINS0_14default_configENS1_29reduce_by_key_config_selectorIslN6thrust23THRUST_200600_302600_NS4plusIlEEEEZZNS1_33reduce_by_key_impl_wrapped_configILNS1_25lookback_scan_determinismE0ES3_S9_PsNS6_17constant_iteratorIiNS6_11use_defaultESE_EENS6_10device_ptrIsEENSG_IlEEPmS8_NS6_8equal_toIsEEEE10hipError_tPvRmT2_T3_mT4_T5_T6_T7_T8_P12ihipStream_tbENKUlT_T0_E_clISt17integral_constantIbLb0EES13_EEDaSY_SZ_EUlSY_E_NS1_11comp_targetILNS1_3genE10ELNS1_11target_archE1200ELNS1_3gpuE4ELNS1_3repE0EEENS1_30default_config_static_selectorELNS0_4arch9wavefront6targetE1EEEvT1_,comdat
.Lfunc_end1476:
	.size	_ZN7rocprim17ROCPRIM_400000_NS6detail17trampoline_kernelINS0_14default_configENS1_29reduce_by_key_config_selectorIslN6thrust23THRUST_200600_302600_NS4plusIlEEEEZZNS1_33reduce_by_key_impl_wrapped_configILNS1_25lookback_scan_determinismE0ES3_S9_PsNS6_17constant_iteratorIiNS6_11use_defaultESE_EENS6_10device_ptrIsEENSG_IlEEPmS8_NS6_8equal_toIsEEEE10hipError_tPvRmT2_T3_mT4_T5_T6_T7_T8_P12ihipStream_tbENKUlT_T0_E_clISt17integral_constantIbLb0EES13_EEDaSY_SZ_EUlSY_E_NS1_11comp_targetILNS1_3genE10ELNS1_11target_archE1200ELNS1_3gpuE4ELNS1_3repE0EEENS1_30default_config_static_selectorELNS0_4arch9wavefront6targetE1EEEvT1_, .Lfunc_end1476-_ZN7rocprim17ROCPRIM_400000_NS6detail17trampoline_kernelINS0_14default_configENS1_29reduce_by_key_config_selectorIslN6thrust23THRUST_200600_302600_NS4plusIlEEEEZZNS1_33reduce_by_key_impl_wrapped_configILNS1_25lookback_scan_determinismE0ES3_S9_PsNS6_17constant_iteratorIiNS6_11use_defaultESE_EENS6_10device_ptrIsEENSG_IlEEPmS8_NS6_8equal_toIsEEEE10hipError_tPvRmT2_T3_mT4_T5_T6_T7_T8_P12ihipStream_tbENKUlT_T0_E_clISt17integral_constantIbLb0EES13_EEDaSY_SZ_EUlSY_E_NS1_11comp_targetILNS1_3genE10ELNS1_11target_archE1200ELNS1_3gpuE4ELNS1_3repE0EEENS1_30default_config_static_selectorELNS0_4arch9wavefront6targetE1EEEvT1_
                                        ; -- End function
	.section	.AMDGPU.csdata,"",@progbits
; Kernel info:
; codeLenInByte = 0
; NumSgprs: 4
; NumVgprs: 0
; NumAgprs: 0
; TotalNumVgprs: 0
; ScratchSize: 0
; MemoryBound: 0
; FloatMode: 240
; IeeeMode: 1
; LDSByteSize: 0 bytes/workgroup (compile time only)
; SGPRBlocks: 0
; VGPRBlocks: 0
; NumSGPRsForWavesPerEU: 4
; NumVGPRsForWavesPerEU: 1
; AccumOffset: 4
; Occupancy: 8
; WaveLimiterHint : 0
; COMPUTE_PGM_RSRC2:SCRATCH_EN: 0
; COMPUTE_PGM_RSRC2:USER_SGPR: 6
; COMPUTE_PGM_RSRC2:TRAP_HANDLER: 0
; COMPUTE_PGM_RSRC2:TGID_X_EN: 1
; COMPUTE_PGM_RSRC2:TGID_Y_EN: 0
; COMPUTE_PGM_RSRC2:TGID_Z_EN: 0
; COMPUTE_PGM_RSRC2:TIDIG_COMP_CNT: 0
; COMPUTE_PGM_RSRC3_GFX90A:ACCUM_OFFSET: 0
; COMPUTE_PGM_RSRC3_GFX90A:TG_SPLIT: 0
	.section	.text._ZN7rocprim17ROCPRIM_400000_NS6detail17trampoline_kernelINS0_14default_configENS1_29reduce_by_key_config_selectorIslN6thrust23THRUST_200600_302600_NS4plusIlEEEEZZNS1_33reduce_by_key_impl_wrapped_configILNS1_25lookback_scan_determinismE0ES3_S9_PsNS6_17constant_iteratorIiNS6_11use_defaultESE_EENS6_10device_ptrIsEENSG_IlEEPmS8_NS6_8equal_toIsEEEE10hipError_tPvRmT2_T3_mT4_T5_T6_T7_T8_P12ihipStream_tbENKUlT_T0_E_clISt17integral_constantIbLb0EES13_EEDaSY_SZ_EUlSY_E_NS1_11comp_targetILNS1_3genE9ELNS1_11target_archE1100ELNS1_3gpuE3ELNS1_3repE0EEENS1_30default_config_static_selectorELNS0_4arch9wavefront6targetE1EEEvT1_,"axG",@progbits,_ZN7rocprim17ROCPRIM_400000_NS6detail17trampoline_kernelINS0_14default_configENS1_29reduce_by_key_config_selectorIslN6thrust23THRUST_200600_302600_NS4plusIlEEEEZZNS1_33reduce_by_key_impl_wrapped_configILNS1_25lookback_scan_determinismE0ES3_S9_PsNS6_17constant_iteratorIiNS6_11use_defaultESE_EENS6_10device_ptrIsEENSG_IlEEPmS8_NS6_8equal_toIsEEEE10hipError_tPvRmT2_T3_mT4_T5_T6_T7_T8_P12ihipStream_tbENKUlT_T0_E_clISt17integral_constantIbLb0EES13_EEDaSY_SZ_EUlSY_E_NS1_11comp_targetILNS1_3genE9ELNS1_11target_archE1100ELNS1_3gpuE3ELNS1_3repE0EEENS1_30default_config_static_selectorELNS0_4arch9wavefront6targetE1EEEvT1_,comdat
	.protected	_ZN7rocprim17ROCPRIM_400000_NS6detail17trampoline_kernelINS0_14default_configENS1_29reduce_by_key_config_selectorIslN6thrust23THRUST_200600_302600_NS4plusIlEEEEZZNS1_33reduce_by_key_impl_wrapped_configILNS1_25lookback_scan_determinismE0ES3_S9_PsNS6_17constant_iteratorIiNS6_11use_defaultESE_EENS6_10device_ptrIsEENSG_IlEEPmS8_NS6_8equal_toIsEEEE10hipError_tPvRmT2_T3_mT4_T5_T6_T7_T8_P12ihipStream_tbENKUlT_T0_E_clISt17integral_constantIbLb0EES13_EEDaSY_SZ_EUlSY_E_NS1_11comp_targetILNS1_3genE9ELNS1_11target_archE1100ELNS1_3gpuE3ELNS1_3repE0EEENS1_30default_config_static_selectorELNS0_4arch9wavefront6targetE1EEEvT1_ ; -- Begin function _ZN7rocprim17ROCPRIM_400000_NS6detail17trampoline_kernelINS0_14default_configENS1_29reduce_by_key_config_selectorIslN6thrust23THRUST_200600_302600_NS4plusIlEEEEZZNS1_33reduce_by_key_impl_wrapped_configILNS1_25lookback_scan_determinismE0ES3_S9_PsNS6_17constant_iteratorIiNS6_11use_defaultESE_EENS6_10device_ptrIsEENSG_IlEEPmS8_NS6_8equal_toIsEEEE10hipError_tPvRmT2_T3_mT4_T5_T6_T7_T8_P12ihipStream_tbENKUlT_T0_E_clISt17integral_constantIbLb0EES13_EEDaSY_SZ_EUlSY_E_NS1_11comp_targetILNS1_3genE9ELNS1_11target_archE1100ELNS1_3gpuE3ELNS1_3repE0EEENS1_30default_config_static_selectorELNS0_4arch9wavefront6targetE1EEEvT1_
	.globl	_ZN7rocprim17ROCPRIM_400000_NS6detail17trampoline_kernelINS0_14default_configENS1_29reduce_by_key_config_selectorIslN6thrust23THRUST_200600_302600_NS4plusIlEEEEZZNS1_33reduce_by_key_impl_wrapped_configILNS1_25lookback_scan_determinismE0ES3_S9_PsNS6_17constant_iteratorIiNS6_11use_defaultESE_EENS6_10device_ptrIsEENSG_IlEEPmS8_NS6_8equal_toIsEEEE10hipError_tPvRmT2_T3_mT4_T5_T6_T7_T8_P12ihipStream_tbENKUlT_T0_E_clISt17integral_constantIbLb0EES13_EEDaSY_SZ_EUlSY_E_NS1_11comp_targetILNS1_3genE9ELNS1_11target_archE1100ELNS1_3gpuE3ELNS1_3repE0EEENS1_30default_config_static_selectorELNS0_4arch9wavefront6targetE1EEEvT1_
	.p2align	8
	.type	_ZN7rocprim17ROCPRIM_400000_NS6detail17trampoline_kernelINS0_14default_configENS1_29reduce_by_key_config_selectorIslN6thrust23THRUST_200600_302600_NS4plusIlEEEEZZNS1_33reduce_by_key_impl_wrapped_configILNS1_25lookback_scan_determinismE0ES3_S9_PsNS6_17constant_iteratorIiNS6_11use_defaultESE_EENS6_10device_ptrIsEENSG_IlEEPmS8_NS6_8equal_toIsEEEE10hipError_tPvRmT2_T3_mT4_T5_T6_T7_T8_P12ihipStream_tbENKUlT_T0_E_clISt17integral_constantIbLb0EES13_EEDaSY_SZ_EUlSY_E_NS1_11comp_targetILNS1_3genE9ELNS1_11target_archE1100ELNS1_3gpuE3ELNS1_3repE0EEENS1_30default_config_static_selectorELNS0_4arch9wavefront6targetE1EEEvT1_,@function
_ZN7rocprim17ROCPRIM_400000_NS6detail17trampoline_kernelINS0_14default_configENS1_29reduce_by_key_config_selectorIslN6thrust23THRUST_200600_302600_NS4plusIlEEEEZZNS1_33reduce_by_key_impl_wrapped_configILNS1_25lookback_scan_determinismE0ES3_S9_PsNS6_17constant_iteratorIiNS6_11use_defaultESE_EENS6_10device_ptrIsEENSG_IlEEPmS8_NS6_8equal_toIsEEEE10hipError_tPvRmT2_T3_mT4_T5_T6_T7_T8_P12ihipStream_tbENKUlT_T0_E_clISt17integral_constantIbLb0EES13_EEDaSY_SZ_EUlSY_E_NS1_11comp_targetILNS1_3genE9ELNS1_11target_archE1100ELNS1_3gpuE3ELNS1_3repE0EEENS1_30default_config_static_selectorELNS0_4arch9wavefront6targetE1EEEvT1_: ; @_ZN7rocprim17ROCPRIM_400000_NS6detail17trampoline_kernelINS0_14default_configENS1_29reduce_by_key_config_selectorIslN6thrust23THRUST_200600_302600_NS4plusIlEEEEZZNS1_33reduce_by_key_impl_wrapped_configILNS1_25lookback_scan_determinismE0ES3_S9_PsNS6_17constant_iteratorIiNS6_11use_defaultESE_EENS6_10device_ptrIsEENSG_IlEEPmS8_NS6_8equal_toIsEEEE10hipError_tPvRmT2_T3_mT4_T5_T6_T7_T8_P12ihipStream_tbENKUlT_T0_E_clISt17integral_constantIbLb0EES13_EEDaSY_SZ_EUlSY_E_NS1_11comp_targetILNS1_3genE9ELNS1_11target_archE1100ELNS1_3gpuE3ELNS1_3repE0EEENS1_30default_config_static_selectorELNS0_4arch9wavefront6targetE1EEEvT1_
; %bb.0:
	.section	.rodata,"a",@progbits
	.p2align	6, 0x0
	.amdhsa_kernel _ZN7rocprim17ROCPRIM_400000_NS6detail17trampoline_kernelINS0_14default_configENS1_29reduce_by_key_config_selectorIslN6thrust23THRUST_200600_302600_NS4plusIlEEEEZZNS1_33reduce_by_key_impl_wrapped_configILNS1_25lookback_scan_determinismE0ES3_S9_PsNS6_17constant_iteratorIiNS6_11use_defaultESE_EENS6_10device_ptrIsEENSG_IlEEPmS8_NS6_8equal_toIsEEEE10hipError_tPvRmT2_T3_mT4_T5_T6_T7_T8_P12ihipStream_tbENKUlT_T0_E_clISt17integral_constantIbLb0EES13_EEDaSY_SZ_EUlSY_E_NS1_11comp_targetILNS1_3genE9ELNS1_11target_archE1100ELNS1_3gpuE3ELNS1_3repE0EEENS1_30default_config_static_selectorELNS0_4arch9wavefront6targetE1EEEvT1_
		.amdhsa_group_segment_fixed_size 0
		.amdhsa_private_segment_fixed_size 0
		.amdhsa_kernarg_size 144
		.amdhsa_user_sgpr_count 6
		.amdhsa_user_sgpr_private_segment_buffer 1
		.amdhsa_user_sgpr_dispatch_ptr 0
		.amdhsa_user_sgpr_queue_ptr 0
		.amdhsa_user_sgpr_kernarg_segment_ptr 1
		.amdhsa_user_sgpr_dispatch_id 0
		.amdhsa_user_sgpr_flat_scratch_init 0
		.amdhsa_user_sgpr_kernarg_preload_length 0
		.amdhsa_user_sgpr_kernarg_preload_offset 0
		.amdhsa_user_sgpr_private_segment_size 0
		.amdhsa_uses_dynamic_stack 0
		.amdhsa_system_sgpr_private_segment_wavefront_offset 0
		.amdhsa_system_sgpr_workgroup_id_x 1
		.amdhsa_system_sgpr_workgroup_id_y 0
		.amdhsa_system_sgpr_workgroup_id_z 0
		.amdhsa_system_sgpr_workgroup_info 0
		.amdhsa_system_vgpr_workitem_id 0
		.amdhsa_next_free_vgpr 1
		.amdhsa_next_free_sgpr 0
		.amdhsa_accum_offset 4
		.amdhsa_reserve_vcc 0
		.amdhsa_reserve_flat_scratch 0
		.amdhsa_float_round_mode_32 0
		.amdhsa_float_round_mode_16_64 0
		.amdhsa_float_denorm_mode_32 3
		.amdhsa_float_denorm_mode_16_64 3
		.amdhsa_dx10_clamp 1
		.amdhsa_ieee_mode 1
		.amdhsa_fp16_overflow 0
		.amdhsa_tg_split 0
		.amdhsa_exception_fp_ieee_invalid_op 0
		.amdhsa_exception_fp_denorm_src 0
		.amdhsa_exception_fp_ieee_div_zero 0
		.amdhsa_exception_fp_ieee_overflow 0
		.amdhsa_exception_fp_ieee_underflow 0
		.amdhsa_exception_fp_ieee_inexact 0
		.amdhsa_exception_int_div_zero 0
	.end_amdhsa_kernel
	.section	.text._ZN7rocprim17ROCPRIM_400000_NS6detail17trampoline_kernelINS0_14default_configENS1_29reduce_by_key_config_selectorIslN6thrust23THRUST_200600_302600_NS4plusIlEEEEZZNS1_33reduce_by_key_impl_wrapped_configILNS1_25lookback_scan_determinismE0ES3_S9_PsNS6_17constant_iteratorIiNS6_11use_defaultESE_EENS6_10device_ptrIsEENSG_IlEEPmS8_NS6_8equal_toIsEEEE10hipError_tPvRmT2_T3_mT4_T5_T6_T7_T8_P12ihipStream_tbENKUlT_T0_E_clISt17integral_constantIbLb0EES13_EEDaSY_SZ_EUlSY_E_NS1_11comp_targetILNS1_3genE9ELNS1_11target_archE1100ELNS1_3gpuE3ELNS1_3repE0EEENS1_30default_config_static_selectorELNS0_4arch9wavefront6targetE1EEEvT1_,"axG",@progbits,_ZN7rocprim17ROCPRIM_400000_NS6detail17trampoline_kernelINS0_14default_configENS1_29reduce_by_key_config_selectorIslN6thrust23THRUST_200600_302600_NS4plusIlEEEEZZNS1_33reduce_by_key_impl_wrapped_configILNS1_25lookback_scan_determinismE0ES3_S9_PsNS6_17constant_iteratorIiNS6_11use_defaultESE_EENS6_10device_ptrIsEENSG_IlEEPmS8_NS6_8equal_toIsEEEE10hipError_tPvRmT2_T3_mT4_T5_T6_T7_T8_P12ihipStream_tbENKUlT_T0_E_clISt17integral_constantIbLb0EES13_EEDaSY_SZ_EUlSY_E_NS1_11comp_targetILNS1_3genE9ELNS1_11target_archE1100ELNS1_3gpuE3ELNS1_3repE0EEENS1_30default_config_static_selectorELNS0_4arch9wavefront6targetE1EEEvT1_,comdat
.Lfunc_end1477:
	.size	_ZN7rocprim17ROCPRIM_400000_NS6detail17trampoline_kernelINS0_14default_configENS1_29reduce_by_key_config_selectorIslN6thrust23THRUST_200600_302600_NS4plusIlEEEEZZNS1_33reduce_by_key_impl_wrapped_configILNS1_25lookback_scan_determinismE0ES3_S9_PsNS6_17constant_iteratorIiNS6_11use_defaultESE_EENS6_10device_ptrIsEENSG_IlEEPmS8_NS6_8equal_toIsEEEE10hipError_tPvRmT2_T3_mT4_T5_T6_T7_T8_P12ihipStream_tbENKUlT_T0_E_clISt17integral_constantIbLb0EES13_EEDaSY_SZ_EUlSY_E_NS1_11comp_targetILNS1_3genE9ELNS1_11target_archE1100ELNS1_3gpuE3ELNS1_3repE0EEENS1_30default_config_static_selectorELNS0_4arch9wavefront6targetE1EEEvT1_, .Lfunc_end1477-_ZN7rocprim17ROCPRIM_400000_NS6detail17trampoline_kernelINS0_14default_configENS1_29reduce_by_key_config_selectorIslN6thrust23THRUST_200600_302600_NS4plusIlEEEEZZNS1_33reduce_by_key_impl_wrapped_configILNS1_25lookback_scan_determinismE0ES3_S9_PsNS6_17constant_iteratorIiNS6_11use_defaultESE_EENS6_10device_ptrIsEENSG_IlEEPmS8_NS6_8equal_toIsEEEE10hipError_tPvRmT2_T3_mT4_T5_T6_T7_T8_P12ihipStream_tbENKUlT_T0_E_clISt17integral_constantIbLb0EES13_EEDaSY_SZ_EUlSY_E_NS1_11comp_targetILNS1_3genE9ELNS1_11target_archE1100ELNS1_3gpuE3ELNS1_3repE0EEENS1_30default_config_static_selectorELNS0_4arch9wavefront6targetE1EEEvT1_
                                        ; -- End function
	.section	.AMDGPU.csdata,"",@progbits
; Kernel info:
; codeLenInByte = 0
; NumSgprs: 4
; NumVgprs: 0
; NumAgprs: 0
; TotalNumVgprs: 0
; ScratchSize: 0
; MemoryBound: 0
; FloatMode: 240
; IeeeMode: 1
; LDSByteSize: 0 bytes/workgroup (compile time only)
; SGPRBlocks: 0
; VGPRBlocks: 0
; NumSGPRsForWavesPerEU: 4
; NumVGPRsForWavesPerEU: 1
; AccumOffset: 4
; Occupancy: 8
; WaveLimiterHint : 0
; COMPUTE_PGM_RSRC2:SCRATCH_EN: 0
; COMPUTE_PGM_RSRC2:USER_SGPR: 6
; COMPUTE_PGM_RSRC2:TRAP_HANDLER: 0
; COMPUTE_PGM_RSRC2:TGID_X_EN: 1
; COMPUTE_PGM_RSRC2:TGID_Y_EN: 0
; COMPUTE_PGM_RSRC2:TGID_Z_EN: 0
; COMPUTE_PGM_RSRC2:TIDIG_COMP_CNT: 0
; COMPUTE_PGM_RSRC3_GFX90A:ACCUM_OFFSET: 0
; COMPUTE_PGM_RSRC3_GFX90A:TG_SPLIT: 0
	.section	.text._ZN7rocprim17ROCPRIM_400000_NS6detail17trampoline_kernelINS0_14default_configENS1_29reduce_by_key_config_selectorIslN6thrust23THRUST_200600_302600_NS4plusIlEEEEZZNS1_33reduce_by_key_impl_wrapped_configILNS1_25lookback_scan_determinismE0ES3_S9_PsNS6_17constant_iteratorIiNS6_11use_defaultESE_EENS6_10device_ptrIsEENSG_IlEEPmS8_NS6_8equal_toIsEEEE10hipError_tPvRmT2_T3_mT4_T5_T6_T7_T8_P12ihipStream_tbENKUlT_T0_E_clISt17integral_constantIbLb0EES13_EEDaSY_SZ_EUlSY_E_NS1_11comp_targetILNS1_3genE8ELNS1_11target_archE1030ELNS1_3gpuE2ELNS1_3repE0EEENS1_30default_config_static_selectorELNS0_4arch9wavefront6targetE1EEEvT1_,"axG",@progbits,_ZN7rocprim17ROCPRIM_400000_NS6detail17trampoline_kernelINS0_14default_configENS1_29reduce_by_key_config_selectorIslN6thrust23THRUST_200600_302600_NS4plusIlEEEEZZNS1_33reduce_by_key_impl_wrapped_configILNS1_25lookback_scan_determinismE0ES3_S9_PsNS6_17constant_iteratorIiNS6_11use_defaultESE_EENS6_10device_ptrIsEENSG_IlEEPmS8_NS6_8equal_toIsEEEE10hipError_tPvRmT2_T3_mT4_T5_T6_T7_T8_P12ihipStream_tbENKUlT_T0_E_clISt17integral_constantIbLb0EES13_EEDaSY_SZ_EUlSY_E_NS1_11comp_targetILNS1_3genE8ELNS1_11target_archE1030ELNS1_3gpuE2ELNS1_3repE0EEENS1_30default_config_static_selectorELNS0_4arch9wavefront6targetE1EEEvT1_,comdat
	.protected	_ZN7rocprim17ROCPRIM_400000_NS6detail17trampoline_kernelINS0_14default_configENS1_29reduce_by_key_config_selectorIslN6thrust23THRUST_200600_302600_NS4plusIlEEEEZZNS1_33reduce_by_key_impl_wrapped_configILNS1_25lookback_scan_determinismE0ES3_S9_PsNS6_17constant_iteratorIiNS6_11use_defaultESE_EENS6_10device_ptrIsEENSG_IlEEPmS8_NS6_8equal_toIsEEEE10hipError_tPvRmT2_T3_mT4_T5_T6_T7_T8_P12ihipStream_tbENKUlT_T0_E_clISt17integral_constantIbLb0EES13_EEDaSY_SZ_EUlSY_E_NS1_11comp_targetILNS1_3genE8ELNS1_11target_archE1030ELNS1_3gpuE2ELNS1_3repE0EEENS1_30default_config_static_selectorELNS0_4arch9wavefront6targetE1EEEvT1_ ; -- Begin function _ZN7rocprim17ROCPRIM_400000_NS6detail17trampoline_kernelINS0_14default_configENS1_29reduce_by_key_config_selectorIslN6thrust23THRUST_200600_302600_NS4plusIlEEEEZZNS1_33reduce_by_key_impl_wrapped_configILNS1_25lookback_scan_determinismE0ES3_S9_PsNS6_17constant_iteratorIiNS6_11use_defaultESE_EENS6_10device_ptrIsEENSG_IlEEPmS8_NS6_8equal_toIsEEEE10hipError_tPvRmT2_T3_mT4_T5_T6_T7_T8_P12ihipStream_tbENKUlT_T0_E_clISt17integral_constantIbLb0EES13_EEDaSY_SZ_EUlSY_E_NS1_11comp_targetILNS1_3genE8ELNS1_11target_archE1030ELNS1_3gpuE2ELNS1_3repE0EEENS1_30default_config_static_selectorELNS0_4arch9wavefront6targetE1EEEvT1_
	.globl	_ZN7rocprim17ROCPRIM_400000_NS6detail17trampoline_kernelINS0_14default_configENS1_29reduce_by_key_config_selectorIslN6thrust23THRUST_200600_302600_NS4plusIlEEEEZZNS1_33reduce_by_key_impl_wrapped_configILNS1_25lookback_scan_determinismE0ES3_S9_PsNS6_17constant_iteratorIiNS6_11use_defaultESE_EENS6_10device_ptrIsEENSG_IlEEPmS8_NS6_8equal_toIsEEEE10hipError_tPvRmT2_T3_mT4_T5_T6_T7_T8_P12ihipStream_tbENKUlT_T0_E_clISt17integral_constantIbLb0EES13_EEDaSY_SZ_EUlSY_E_NS1_11comp_targetILNS1_3genE8ELNS1_11target_archE1030ELNS1_3gpuE2ELNS1_3repE0EEENS1_30default_config_static_selectorELNS0_4arch9wavefront6targetE1EEEvT1_
	.p2align	8
	.type	_ZN7rocprim17ROCPRIM_400000_NS6detail17trampoline_kernelINS0_14default_configENS1_29reduce_by_key_config_selectorIslN6thrust23THRUST_200600_302600_NS4plusIlEEEEZZNS1_33reduce_by_key_impl_wrapped_configILNS1_25lookback_scan_determinismE0ES3_S9_PsNS6_17constant_iteratorIiNS6_11use_defaultESE_EENS6_10device_ptrIsEENSG_IlEEPmS8_NS6_8equal_toIsEEEE10hipError_tPvRmT2_T3_mT4_T5_T6_T7_T8_P12ihipStream_tbENKUlT_T0_E_clISt17integral_constantIbLb0EES13_EEDaSY_SZ_EUlSY_E_NS1_11comp_targetILNS1_3genE8ELNS1_11target_archE1030ELNS1_3gpuE2ELNS1_3repE0EEENS1_30default_config_static_selectorELNS0_4arch9wavefront6targetE1EEEvT1_,@function
_ZN7rocprim17ROCPRIM_400000_NS6detail17trampoline_kernelINS0_14default_configENS1_29reduce_by_key_config_selectorIslN6thrust23THRUST_200600_302600_NS4plusIlEEEEZZNS1_33reduce_by_key_impl_wrapped_configILNS1_25lookback_scan_determinismE0ES3_S9_PsNS6_17constant_iteratorIiNS6_11use_defaultESE_EENS6_10device_ptrIsEENSG_IlEEPmS8_NS6_8equal_toIsEEEE10hipError_tPvRmT2_T3_mT4_T5_T6_T7_T8_P12ihipStream_tbENKUlT_T0_E_clISt17integral_constantIbLb0EES13_EEDaSY_SZ_EUlSY_E_NS1_11comp_targetILNS1_3genE8ELNS1_11target_archE1030ELNS1_3gpuE2ELNS1_3repE0EEENS1_30default_config_static_selectorELNS0_4arch9wavefront6targetE1EEEvT1_: ; @_ZN7rocprim17ROCPRIM_400000_NS6detail17trampoline_kernelINS0_14default_configENS1_29reduce_by_key_config_selectorIslN6thrust23THRUST_200600_302600_NS4plusIlEEEEZZNS1_33reduce_by_key_impl_wrapped_configILNS1_25lookback_scan_determinismE0ES3_S9_PsNS6_17constant_iteratorIiNS6_11use_defaultESE_EENS6_10device_ptrIsEENSG_IlEEPmS8_NS6_8equal_toIsEEEE10hipError_tPvRmT2_T3_mT4_T5_T6_T7_T8_P12ihipStream_tbENKUlT_T0_E_clISt17integral_constantIbLb0EES13_EEDaSY_SZ_EUlSY_E_NS1_11comp_targetILNS1_3genE8ELNS1_11target_archE1030ELNS1_3gpuE2ELNS1_3repE0EEENS1_30default_config_static_selectorELNS0_4arch9wavefront6targetE1EEEvT1_
; %bb.0:
	.section	.rodata,"a",@progbits
	.p2align	6, 0x0
	.amdhsa_kernel _ZN7rocprim17ROCPRIM_400000_NS6detail17trampoline_kernelINS0_14default_configENS1_29reduce_by_key_config_selectorIslN6thrust23THRUST_200600_302600_NS4plusIlEEEEZZNS1_33reduce_by_key_impl_wrapped_configILNS1_25lookback_scan_determinismE0ES3_S9_PsNS6_17constant_iteratorIiNS6_11use_defaultESE_EENS6_10device_ptrIsEENSG_IlEEPmS8_NS6_8equal_toIsEEEE10hipError_tPvRmT2_T3_mT4_T5_T6_T7_T8_P12ihipStream_tbENKUlT_T0_E_clISt17integral_constantIbLb0EES13_EEDaSY_SZ_EUlSY_E_NS1_11comp_targetILNS1_3genE8ELNS1_11target_archE1030ELNS1_3gpuE2ELNS1_3repE0EEENS1_30default_config_static_selectorELNS0_4arch9wavefront6targetE1EEEvT1_
		.amdhsa_group_segment_fixed_size 0
		.amdhsa_private_segment_fixed_size 0
		.amdhsa_kernarg_size 144
		.amdhsa_user_sgpr_count 6
		.amdhsa_user_sgpr_private_segment_buffer 1
		.amdhsa_user_sgpr_dispatch_ptr 0
		.amdhsa_user_sgpr_queue_ptr 0
		.amdhsa_user_sgpr_kernarg_segment_ptr 1
		.amdhsa_user_sgpr_dispatch_id 0
		.amdhsa_user_sgpr_flat_scratch_init 0
		.amdhsa_user_sgpr_kernarg_preload_length 0
		.amdhsa_user_sgpr_kernarg_preload_offset 0
		.amdhsa_user_sgpr_private_segment_size 0
		.amdhsa_uses_dynamic_stack 0
		.amdhsa_system_sgpr_private_segment_wavefront_offset 0
		.amdhsa_system_sgpr_workgroup_id_x 1
		.amdhsa_system_sgpr_workgroup_id_y 0
		.amdhsa_system_sgpr_workgroup_id_z 0
		.amdhsa_system_sgpr_workgroup_info 0
		.amdhsa_system_vgpr_workitem_id 0
		.amdhsa_next_free_vgpr 1
		.amdhsa_next_free_sgpr 0
		.amdhsa_accum_offset 4
		.amdhsa_reserve_vcc 0
		.amdhsa_reserve_flat_scratch 0
		.amdhsa_float_round_mode_32 0
		.amdhsa_float_round_mode_16_64 0
		.amdhsa_float_denorm_mode_32 3
		.amdhsa_float_denorm_mode_16_64 3
		.amdhsa_dx10_clamp 1
		.amdhsa_ieee_mode 1
		.amdhsa_fp16_overflow 0
		.amdhsa_tg_split 0
		.amdhsa_exception_fp_ieee_invalid_op 0
		.amdhsa_exception_fp_denorm_src 0
		.amdhsa_exception_fp_ieee_div_zero 0
		.amdhsa_exception_fp_ieee_overflow 0
		.amdhsa_exception_fp_ieee_underflow 0
		.amdhsa_exception_fp_ieee_inexact 0
		.amdhsa_exception_int_div_zero 0
	.end_amdhsa_kernel
	.section	.text._ZN7rocprim17ROCPRIM_400000_NS6detail17trampoline_kernelINS0_14default_configENS1_29reduce_by_key_config_selectorIslN6thrust23THRUST_200600_302600_NS4plusIlEEEEZZNS1_33reduce_by_key_impl_wrapped_configILNS1_25lookback_scan_determinismE0ES3_S9_PsNS6_17constant_iteratorIiNS6_11use_defaultESE_EENS6_10device_ptrIsEENSG_IlEEPmS8_NS6_8equal_toIsEEEE10hipError_tPvRmT2_T3_mT4_T5_T6_T7_T8_P12ihipStream_tbENKUlT_T0_E_clISt17integral_constantIbLb0EES13_EEDaSY_SZ_EUlSY_E_NS1_11comp_targetILNS1_3genE8ELNS1_11target_archE1030ELNS1_3gpuE2ELNS1_3repE0EEENS1_30default_config_static_selectorELNS0_4arch9wavefront6targetE1EEEvT1_,"axG",@progbits,_ZN7rocprim17ROCPRIM_400000_NS6detail17trampoline_kernelINS0_14default_configENS1_29reduce_by_key_config_selectorIslN6thrust23THRUST_200600_302600_NS4plusIlEEEEZZNS1_33reduce_by_key_impl_wrapped_configILNS1_25lookback_scan_determinismE0ES3_S9_PsNS6_17constant_iteratorIiNS6_11use_defaultESE_EENS6_10device_ptrIsEENSG_IlEEPmS8_NS6_8equal_toIsEEEE10hipError_tPvRmT2_T3_mT4_T5_T6_T7_T8_P12ihipStream_tbENKUlT_T0_E_clISt17integral_constantIbLb0EES13_EEDaSY_SZ_EUlSY_E_NS1_11comp_targetILNS1_3genE8ELNS1_11target_archE1030ELNS1_3gpuE2ELNS1_3repE0EEENS1_30default_config_static_selectorELNS0_4arch9wavefront6targetE1EEEvT1_,comdat
.Lfunc_end1478:
	.size	_ZN7rocprim17ROCPRIM_400000_NS6detail17trampoline_kernelINS0_14default_configENS1_29reduce_by_key_config_selectorIslN6thrust23THRUST_200600_302600_NS4plusIlEEEEZZNS1_33reduce_by_key_impl_wrapped_configILNS1_25lookback_scan_determinismE0ES3_S9_PsNS6_17constant_iteratorIiNS6_11use_defaultESE_EENS6_10device_ptrIsEENSG_IlEEPmS8_NS6_8equal_toIsEEEE10hipError_tPvRmT2_T3_mT4_T5_T6_T7_T8_P12ihipStream_tbENKUlT_T0_E_clISt17integral_constantIbLb0EES13_EEDaSY_SZ_EUlSY_E_NS1_11comp_targetILNS1_3genE8ELNS1_11target_archE1030ELNS1_3gpuE2ELNS1_3repE0EEENS1_30default_config_static_selectorELNS0_4arch9wavefront6targetE1EEEvT1_, .Lfunc_end1478-_ZN7rocprim17ROCPRIM_400000_NS6detail17trampoline_kernelINS0_14default_configENS1_29reduce_by_key_config_selectorIslN6thrust23THRUST_200600_302600_NS4plusIlEEEEZZNS1_33reduce_by_key_impl_wrapped_configILNS1_25lookback_scan_determinismE0ES3_S9_PsNS6_17constant_iteratorIiNS6_11use_defaultESE_EENS6_10device_ptrIsEENSG_IlEEPmS8_NS6_8equal_toIsEEEE10hipError_tPvRmT2_T3_mT4_T5_T6_T7_T8_P12ihipStream_tbENKUlT_T0_E_clISt17integral_constantIbLb0EES13_EEDaSY_SZ_EUlSY_E_NS1_11comp_targetILNS1_3genE8ELNS1_11target_archE1030ELNS1_3gpuE2ELNS1_3repE0EEENS1_30default_config_static_selectorELNS0_4arch9wavefront6targetE1EEEvT1_
                                        ; -- End function
	.section	.AMDGPU.csdata,"",@progbits
; Kernel info:
; codeLenInByte = 0
; NumSgprs: 4
; NumVgprs: 0
; NumAgprs: 0
; TotalNumVgprs: 0
; ScratchSize: 0
; MemoryBound: 0
; FloatMode: 240
; IeeeMode: 1
; LDSByteSize: 0 bytes/workgroup (compile time only)
; SGPRBlocks: 0
; VGPRBlocks: 0
; NumSGPRsForWavesPerEU: 4
; NumVGPRsForWavesPerEU: 1
; AccumOffset: 4
; Occupancy: 8
; WaveLimiterHint : 0
; COMPUTE_PGM_RSRC2:SCRATCH_EN: 0
; COMPUTE_PGM_RSRC2:USER_SGPR: 6
; COMPUTE_PGM_RSRC2:TRAP_HANDLER: 0
; COMPUTE_PGM_RSRC2:TGID_X_EN: 1
; COMPUTE_PGM_RSRC2:TGID_Y_EN: 0
; COMPUTE_PGM_RSRC2:TGID_Z_EN: 0
; COMPUTE_PGM_RSRC2:TIDIG_COMP_CNT: 0
; COMPUTE_PGM_RSRC3_GFX90A:ACCUM_OFFSET: 0
; COMPUTE_PGM_RSRC3_GFX90A:TG_SPLIT: 0
	.section	.text._ZN7rocprim17ROCPRIM_400000_NS6detail17trampoline_kernelINS0_14default_configENS1_29reduce_by_key_config_selectorIslN6thrust23THRUST_200600_302600_NS4plusIlEEEEZZNS1_33reduce_by_key_impl_wrapped_configILNS1_25lookback_scan_determinismE0ES3_S9_PsNS6_17constant_iteratorIiNS6_11use_defaultESE_EENS6_10device_ptrIsEENSG_IlEEPmS8_NS6_8equal_toIsEEEE10hipError_tPvRmT2_T3_mT4_T5_T6_T7_T8_P12ihipStream_tbENKUlT_T0_E_clISt17integral_constantIbLb1EES13_EEDaSY_SZ_EUlSY_E_NS1_11comp_targetILNS1_3genE0ELNS1_11target_archE4294967295ELNS1_3gpuE0ELNS1_3repE0EEENS1_30default_config_static_selectorELNS0_4arch9wavefront6targetE1EEEvT1_,"axG",@progbits,_ZN7rocprim17ROCPRIM_400000_NS6detail17trampoline_kernelINS0_14default_configENS1_29reduce_by_key_config_selectorIslN6thrust23THRUST_200600_302600_NS4plusIlEEEEZZNS1_33reduce_by_key_impl_wrapped_configILNS1_25lookback_scan_determinismE0ES3_S9_PsNS6_17constant_iteratorIiNS6_11use_defaultESE_EENS6_10device_ptrIsEENSG_IlEEPmS8_NS6_8equal_toIsEEEE10hipError_tPvRmT2_T3_mT4_T5_T6_T7_T8_P12ihipStream_tbENKUlT_T0_E_clISt17integral_constantIbLb1EES13_EEDaSY_SZ_EUlSY_E_NS1_11comp_targetILNS1_3genE0ELNS1_11target_archE4294967295ELNS1_3gpuE0ELNS1_3repE0EEENS1_30default_config_static_selectorELNS0_4arch9wavefront6targetE1EEEvT1_,comdat
	.protected	_ZN7rocprim17ROCPRIM_400000_NS6detail17trampoline_kernelINS0_14default_configENS1_29reduce_by_key_config_selectorIslN6thrust23THRUST_200600_302600_NS4plusIlEEEEZZNS1_33reduce_by_key_impl_wrapped_configILNS1_25lookback_scan_determinismE0ES3_S9_PsNS6_17constant_iteratorIiNS6_11use_defaultESE_EENS6_10device_ptrIsEENSG_IlEEPmS8_NS6_8equal_toIsEEEE10hipError_tPvRmT2_T3_mT4_T5_T6_T7_T8_P12ihipStream_tbENKUlT_T0_E_clISt17integral_constantIbLb1EES13_EEDaSY_SZ_EUlSY_E_NS1_11comp_targetILNS1_3genE0ELNS1_11target_archE4294967295ELNS1_3gpuE0ELNS1_3repE0EEENS1_30default_config_static_selectorELNS0_4arch9wavefront6targetE1EEEvT1_ ; -- Begin function _ZN7rocprim17ROCPRIM_400000_NS6detail17trampoline_kernelINS0_14default_configENS1_29reduce_by_key_config_selectorIslN6thrust23THRUST_200600_302600_NS4plusIlEEEEZZNS1_33reduce_by_key_impl_wrapped_configILNS1_25lookback_scan_determinismE0ES3_S9_PsNS6_17constant_iteratorIiNS6_11use_defaultESE_EENS6_10device_ptrIsEENSG_IlEEPmS8_NS6_8equal_toIsEEEE10hipError_tPvRmT2_T3_mT4_T5_T6_T7_T8_P12ihipStream_tbENKUlT_T0_E_clISt17integral_constantIbLb1EES13_EEDaSY_SZ_EUlSY_E_NS1_11comp_targetILNS1_3genE0ELNS1_11target_archE4294967295ELNS1_3gpuE0ELNS1_3repE0EEENS1_30default_config_static_selectorELNS0_4arch9wavefront6targetE1EEEvT1_
	.globl	_ZN7rocprim17ROCPRIM_400000_NS6detail17trampoline_kernelINS0_14default_configENS1_29reduce_by_key_config_selectorIslN6thrust23THRUST_200600_302600_NS4plusIlEEEEZZNS1_33reduce_by_key_impl_wrapped_configILNS1_25lookback_scan_determinismE0ES3_S9_PsNS6_17constant_iteratorIiNS6_11use_defaultESE_EENS6_10device_ptrIsEENSG_IlEEPmS8_NS6_8equal_toIsEEEE10hipError_tPvRmT2_T3_mT4_T5_T6_T7_T8_P12ihipStream_tbENKUlT_T0_E_clISt17integral_constantIbLb1EES13_EEDaSY_SZ_EUlSY_E_NS1_11comp_targetILNS1_3genE0ELNS1_11target_archE4294967295ELNS1_3gpuE0ELNS1_3repE0EEENS1_30default_config_static_selectorELNS0_4arch9wavefront6targetE1EEEvT1_
	.p2align	8
	.type	_ZN7rocprim17ROCPRIM_400000_NS6detail17trampoline_kernelINS0_14default_configENS1_29reduce_by_key_config_selectorIslN6thrust23THRUST_200600_302600_NS4plusIlEEEEZZNS1_33reduce_by_key_impl_wrapped_configILNS1_25lookback_scan_determinismE0ES3_S9_PsNS6_17constant_iteratorIiNS6_11use_defaultESE_EENS6_10device_ptrIsEENSG_IlEEPmS8_NS6_8equal_toIsEEEE10hipError_tPvRmT2_T3_mT4_T5_T6_T7_T8_P12ihipStream_tbENKUlT_T0_E_clISt17integral_constantIbLb1EES13_EEDaSY_SZ_EUlSY_E_NS1_11comp_targetILNS1_3genE0ELNS1_11target_archE4294967295ELNS1_3gpuE0ELNS1_3repE0EEENS1_30default_config_static_selectorELNS0_4arch9wavefront6targetE1EEEvT1_,@function
_ZN7rocprim17ROCPRIM_400000_NS6detail17trampoline_kernelINS0_14default_configENS1_29reduce_by_key_config_selectorIslN6thrust23THRUST_200600_302600_NS4plusIlEEEEZZNS1_33reduce_by_key_impl_wrapped_configILNS1_25lookback_scan_determinismE0ES3_S9_PsNS6_17constant_iteratorIiNS6_11use_defaultESE_EENS6_10device_ptrIsEENSG_IlEEPmS8_NS6_8equal_toIsEEEE10hipError_tPvRmT2_T3_mT4_T5_T6_T7_T8_P12ihipStream_tbENKUlT_T0_E_clISt17integral_constantIbLb1EES13_EEDaSY_SZ_EUlSY_E_NS1_11comp_targetILNS1_3genE0ELNS1_11target_archE4294967295ELNS1_3gpuE0ELNS1_3repE0EEENS1_30default_config_static_selectorELNS0_4arch9wavefront6targetE1EEEvT1_: ; @_ZN7rocprim17ROCPRIM_400000_NS6detail17trampoline_kernelINS0_14default_configENS1_29reduce_by_key_config_selectorIslN6thrust23THRUST_200600_302600_NS4plusIlEEEEZZNS1_33reduce_by_key_impl_wrapped_configILNS1_25lookback_scan_determinismE0ES3_S9_PsNS6_17constant_iteratorIiNS6_11use_defaultESE_EENS6_10device_ptrIsEENSG_IlEEPmS8_NS6_8equal_toIsEEEE10hipError_tPvRmT2_T3_mT4_T5_T6_T7_T8_P12ihipStream_tbENKUlT_T0_E_clISt17integral_constantIbLb1EES13_EEDaSY_SZ_EUlSY_E_NS1_11comp_targetILNS1_3genE0ELNS1_11target_archE4294967295ELNS1_3gpuE0ELNS1_3repE0EEENS1_30default_config_static_selectorELNS0_4arch9wavefront6targetE1EEEvT1_
; %bb.0:
	.section	.rodata,"a",@progbits
	.p2align	6, 0x0
	.amdhsa_kernel _ZN7rocprim17ROCPRIM_400000_NS6detail17trampoline_kernelINS0_14default_configENS1_29reduce_by_key_config_selectorIslN6thrust23THRUST_200600_302600_NS4plusIlEEEEZZNS1_33reduce_by_key_impl_wrapped_configILNS1_25lookback_scan_determinismE0ES3_S9_PsNS6_17constant_iteratorIiNS6_11use_defaultESE_EENS6_10device_ptrIsEENSG_IlEEPmS8_NS6_8equal_toIsEEEE10hipError_tPvRmT2_T3_mT4_T5_T6_T7_T8_P12ihipStream_tbENKUlT_T0_E_clISt17integral_constantIbLb1EES13_EEDaSY_SZ_EUlSY_E_NS1_11comp_targetILNS1_3genE0ELNS1_11target_archE4294967295ELNS1_3gpuE0ELNS1_3repE0EEENS1_30default_config_static_selectorELNS0_4arch9wavefront6targetE1EEEvT1_
		.amdhsa_group_segment_fixed_size 0
		.amdhsa_private_segment_fixed_size 0
		.amdhsa_kernarg_size 144
		.amdhsa_user_sgpr_count 6
		.amdhsa_user_sgpr_private_segment_buffer 1
		.amdhsa_user_sgpr_dispatch_ptr 0
		.amdhsa_user_sgpr_queue_ptr 0
		.amdhsa_user_sgpr_kernarg_segment_ptr 1
		.amdhsa_user_sgpr_dispatch_id 0
		.amdhsa_user_sgpr_flat_scratch_init 0
		.amdhsa_user_sgpr_kernarg_preload_length 0
		.amdhsa_user_sgpr_kernarg_preload_offset 0
		.amdhsa_user_sgpr_private_segment_size 0
		.amdhsa_uses_dynamic_stack 0
		.amdhsa_system_sgpr_private_segment_wavefront_offset 0
		.amdhsa_system_sgpr_workgroup_id_x 1
		.amdhsa_system_sgpr_workgroup_id_y 0
		.amdhsa_system_sgpr_workgroup_id_z 0
		.amdhsa_system_sgpr_workgroup_info 0
		.amdhsa_system_vgpr_workitem_id 0
		.amdhsa_next_free_vgpr 1
		.amdhsa_next_free_sgpr 0
		.amdhsa_accum_offset 4
		.amdhsa_reserve_vcc 0
		.amdhsa_reserve_flat_scratch 0
		.amdhsa_float_round_mode_32 0
		.amdhsa_float_round_mode_16_64 0
		.amdhsa_float_denorm_mode_32 3
		.amdhsa_float_denorm_mode_16_64 3
		.amdhsa_dx10_clamp 1
		.amdhsa_ieee_mode 1
		.amdhsa_fp16_overflow 0
		.amdhsa_tg_split 0
		.amdhsa_exception_fp_ieee_invalid_op 0
		.amdhsa_exception_fp_denorm_src 0
		.amdhsa_exception_fp_ieee_div_zero 0
		.amdhsa_exception_fp_ieee_overflow 0
		.amdhsa_exception_fp_ieee_underflow 0
		.amdhsa_exception_fp_ieee_inexact 0
		.amdhsa_exception_int_div_zero 0
	.end_amdhsa_kernel
	.section	.text._ZN7rocprim17ROCPRIM_400000_NS6detail17trampoline_kernelINS0_14default_configENS1_29reduce_by_key_config_selectorIslN6thrust23THRUST_200600_302600_NS4plusIlEEEEZZNS1_33reduce_by_key_impl_wrapped_configILNS1_25lookback_scan_determinismE0ES3_S9_PsNS6_17constant_iteratorIiNS6_11use_defaultESE_EENS6_10device_ptrIsEENSG_IlEEPmS8_NS6_8equal_toIsEEEE10hipError_tPvRmT2_T3_mT4_T5_T6_T7_T8_P12ihipStream_tbENKUlT_T0_E_clISt17integral_constantIbLb1EES13_EEDaSY_SZ_EUlSY_E_NS1_11comp_targetILNS1_3genE0ELNS1_11target_archE4294967295ELNS1_3gpuE0ELNS1_3repE0EEENS1_30default_config_static_selectorELNS0_4arch9wavefront6targetE1EEEvT1_,"axG",@progbits,_ZN7rocprim17ROCPRIM_400000_NS6detail17trampoline_kernelINS0_14default_configENS1_29reduce_by_key_config_selectorIslN6thrust23THRUST_200600_302600_NS4plusIlEEEEZZNS1_33reduce_by_key_impl_wrapped_configILNS1_25lookback_scan_determinismE0ES3_S9_PsNS6_17constant_iteratorIiNS6_11use_defaultESE_EENS6_10device_ptrIsEENSG_IlEEPmS8_NS6_8equal_toIsEEEE10hipError_tPvRmT2_T3_mT4_T5_T6_T7_T8_P12ihipStream_tbENKUlT_T0_E_clISt17integral_constantIbLb1EES13_EEDaSY_SZ_EUlSY_E_NS1_11comp_targetILNS1_3genE0ELNS1_11target_archE4294967295ELNS1_3gpuE0ELNS1_3repE0EEENS1_30default_config_static_selectorELNS0_4arch9wavefront6targetE1EEEvT1_,comdat
.Lfunc_end1479:
	.size	_ZN7rocprim17ROCPRIM_400000_NS6detail17trampoline_kernelINS0_14default_configENS1_29reduce_by_key_config_selectorIslN6thrust23THRUST_200600_302600_NS4plusIlEEEEZZNS1_33reduce_by_key_impl_wrapped_configILNS1_25lookback_scan_determinismE0ES3_S9_PsNS6_17constant_iteratorIiNS6_11use_defaultESE_EENS6_10device_ptrIsEENSG_IlEEPmS8_NS6_8equal_toIsEEEE10hipError_tPvRmT2_T3_mT4_T5_T6_T7_T8_P12ihipStream_tbENKUlT_T0_E_clISt17integral_constantIbLb1EES13_EEDaSY_SZ_EUlSY_E_NS1_11comp_targetILNS1_3genE0ELNS1_11target_archE4294967295ELNS1_3gpuE0ELNS1_3repE0EEENS1_30default_config_static_selectorELNS0_4arch9wavefront6targetE1EEEvT1_, .Lfunc_end1479-_ZN7rocprim17ROCPRIM_400000_NS6detail17trampoline_kernelINS0_14default_configENS1_29reduce_by_key_config_selectorIslN6thrust23THRUST_200600_302600_NS4plusIlEEEEZZNS1_33reduce_by_key_impl_wrapped_configILNS1_25lookback_scan_determinismE0ES3_S9_PsNS6_17constant_iteratorIiNS6_11use_defaultESE_EENS6_10device_ptrIsEENSG_IlEEPmS8_NS6_8equal_toIsEEEE10hipError_tPvRmT2_T3_mT4_T5_T6_T7_T8_P12ihipStream_tbENKUlT_T0_E_clISt17integral_constantIbLb1EES13_EEDaSY_SZ_EUlSY_E_NS1_11comp_targetILNS1_3genE0ELNS1_11target_archE4294967295ELNS1_3gpuE0ELNS1_3repE0EEENS1_30default_config_static_selectorELNS0_4arch9wavefront6targetE1EEEvT1_
                                        ; -- End function
	.section	.AMDGPU.csdata,"",@progbits
; Kernel info:
; codeLenInByte = 0
; NumSgprs: 4
; NumVgprs: 0
; NumAgprs: 0
; TotalNumVgprs: 0
; ScratchSize: 0
; MemoryBound: 0
; FloatMode: 240
; IeeeMode: 1
; LDSByteSize: 0 bytes/workgroup (compile time only)
; SGPRBlocks: 0
; VGPRBlocks: 0
; NumSGPRsForWavesPerEU: 4
; NumVGPRsForWavesPerEU: 1
; AccumOffset: 4
; Occupancy: 8
; WaveLimiterHint : 0
; COMPUTE_PGM_RSRC2:SCRATCH_EN: 0
; COMPUTE_PGM_RSRC2:USER_SGPR: 6
; COMPUTE_PGM_RSRC2:TRAP_HANDLER: 0
; COMPUTE_PGM_RSRC2:TGID_X_EN: 1
; COMPUTE_PGM_RSRC2:TGID_Y_EN: 0
; COMPUTE_PGM_RSRC2:TGID_Z_EN: 0
; COMPUTE_PGM_RSRC2:TIDIG_COMP_CNT: 0
; COMPUTE_PGM_RSRC3_GFX90A:ACCUM_OFFSET: 0
; COMPUTE_PGM_RSRC3_GFX90A:TG_SPLIT: 0
	.section	.text._ZN7rocprim17ROCPRIM_400000_NS6detail17trampoline_kernelINS0_14default_configENS1_29reduce_by_key_config_selectorIslN6thrust23THRUST_200600_302600_NS4plusIlEEEEZZNS1_33reduce_by_key_impl_wrapped_configILNS1_25lookback_scan_determinismE0ES3_S9_PsNS6_17constant_iteratorIiNS6_11use_defaultESE_EENS6_10device_ptrIsEENSG_IlEEPmS8_NS6_8equal_toIsEEEE10hipError_tPvRmT2_T3_mT4_T5_T6_T7_T8_P12ihipStream_tbENKUlT_T0_E_clISt17integral_constantIbLb1EES13_EEDaSY_SZ_EUlSY_E_NS1_11comp_targetILNS1_3genE5ELNS1_11target_archE942ELNS1_3gpuE9ELNS1_3repE0EEENS1_30default_config_static_selectorELNS0_4arch9wavefront6targetE1EEEvT1_,"axG",@progbits,_ZN7rocprim17ROCPRIM_400000_NS6detail17trampoline_kernelINS0_14default_configENS1_29reduce_by_key_config_selectorIslN6thrust23THRUST_200600_302600_NS4plusIlEEEEZZNS1_33reduce_by_key_impl_wrapped_configILNS1_25lookback_scan_determinismE0ES3_S9_PsNS6_17constant_iteratorIiNS6_11use_defaultESE_EENS6_10device_ptrIsEENSG_IlEEPmS8_NS6_8equal_toIsEEEE10hipError_tPvRmT2_T3_mT4_T5_T6_T7_T8_P12ihipStream_tbENKUlT_T0_E_clISt17integral_constantIbLb1EES13_EEDaSY_SZ_EUlSY_E_NS1_11comp_targetILNS1_3genE5ELNS1_11target_archE942ELNS1_3gpuE9ELNS1_3repE0EEENS1_30default_config_static_selectorELNS0_4arch9wavefront6targetE1EEEvT1_,comdat
	.protected	_ZN7rocprim17ROCPRIM_400000_NS6detail17trampoline_kernelINS0_14default_configENS1_29reduce_by_key_config_selectorIslN6thrust23THRUST_200600_302600_NS4plusIlEEEEZZNS1_33reduce_by_key_impl_wrapped_configILNS1_25lookback_scan_determinismE0ES3_S9_PsNS6_17constant_iteratorIiNS6_11use_defaultESE_EENS6_10device_ptrIsEENSG_IlEEPmS8_NS6_8equal_toIsEEEE10hipError_tPvRmT2_T3_mT4_T5_T6_T7_T8_P12ihipStream_tbENKUlT_T0_E_clISt17integral_constantIbLb1EES13_EEDaSY_SZ_EUlSY_E_NS1_11comp_targetILNS1_3genE5ELNS1_11target_archE942ELNS1_3gpuE9ELNS1_3repE0EEENS1_30default_config_static_selectorELNS0_4arch9wavefront6targetE1EEEvT1_ ; -- Begin function _ZN7rocprim17ROCPRIM_400000_NS6detail17trampoline_kernelINS0_14default_configENS1_29reduce_by_key_config_selectorIslN6thrust23THRUST_200600_302600_NS4plusIlEEEEZZNS1_33reduce_by_key_impl_wrapped_configILNS1_25lookback_scan_determinismE0ES3_S9_PsNS6_17constant_iteratorIiNS6_11use_defaultESE_EENS6_10device_ptrIsEENSG_IlEEPmS8_NS6_8equal_toIsEEEE10hipError_tPvRmT2_T3_mT4_T5_T6_T7_T8_P12ihipStream_tbENKUlT_T0_E_clISt17integral_constantIbLb1EES13_EEDaSY_SZ_EUlSY_E_NS1_11comp_targetILNS1_3genE5ELNS1_11target_archE942ELNS1_3gpuE9ELNS1_3repE0EEENS1_30default_config_static_selectorELNS0_4arch9wavefront6targetE1EEEvT1_
	.globl	_ZN7rocprim17ROCPRIM_400000_NS6detail17trampoline_kernelINS0_14default_configENS1_29reduce_by_key_config_selectorIslN6thrust23THRUST_200600_302600_NS4plusIlEEEEZZNS1_33reduce_by_key_impl_wrapped_configILNS1_25lookback_scan_determinismE0ES3_S9_PsNS6_17constant_iteratorIiNS6_11use_defaultESE_EENS6_10device_ptrIsEENSG_IlEEPmS8_NS6_8equal_toIsEEEE10hipError_tPvRmT2_T3_mT4_T5_T6_T7_T8_P12ihipStream_tbENKUlT_T0_E_clISt17integral_constantIbLb1EES13_EEDaSY_SZ_EUlSY_E_NS1_11comp_targetILNS1_3genE5ELNS1_11target_archE942ELNS1_3gpuE9ELNS1_3repE0EEENS1_30default_config_static_selectorELNS0_4arch9wavefront6targetE1EEEvT1_
	.p2align	8
	.type	_ZN7rocprim17ROCPRIM_400000_NS6detail17trampoline_kernelINS0_14default_configENS1_29reduce_by_key_config_selectorIslN6thrust23THRUST_200600_302600_NS4plusIlEEEEZZNS1_33reduce_by_key_impl_wrapped_configILNS1_25lookback_scan_determinismE0ES3_S9_PsNS6_17constant_iteratorIiNS6_11use_defaultESE_EENS6_10device_ptrIsEENSG_IlEEPmS8_NS6_8equal_toIsEEEE10hipError_tPvRmT2_T3_mT4_T5_T6_T7_T8_P12ihipStream_tbENKUlT_T0_E_clISt17integral_constantIbLb1EES13_EEDaSY_SZ_EUlSY_E_NS1_11comp_targetILNS1_3genE5ELNS1_11target_archE942ELNS1_3gpuE9ELNS1_3repE0EEENS1_30default_config_static_selectorELNS0_4arch9wavefront6targetE1EEEvT1_,@function
_ZN7rocprim17ROCPRIM_400000_NS6detail17trampoline_kernelINS0_14default_configENS1_29reduce_by_key_config_selectorIslN6thrust23THRUST_200600_302600_NS4plusIlEEEEZZNS1_33reduce_by_key_impl_wrapped_configILNS1_25lookback_scan_determinismE0ES3_S9_PsNS6_17constant_iteratorIiNS6_11use_defaultESE_EENS6_10device_ptrIsEENSG_IlEEPmS8_NS6_8equal_toIsEEEE10hipError_tPvRmT2_T3_mT4_T5_T6_T7_T8_P12ihipStream_tbENKUlT_T0_E_clISt17integral_constantIbLb1EES13_EEDaSY_SZ_EUlSY_E_NS1_11comp_targetILNS1_3genE5ELNS1_11target_archE942ELNS1_3gpuE9ELNS1_3repE0EEENS1_30default_config_static_selectorELNS0_4arch9wavefront6targetE1EEEvT1_: ; @_ZN7rocprim17ROCPRIM_400000_NS6detail17trampoline_kernelINS0_14default_configENS1_29reduce_by_key_config_selectorIslN6thrust23THRUST_200600_302600_NS4plusIlEEEEZZNS1_33reduce_by_key_impl_wrapped_configILNS1_25lookback_scan_determinismE0ES3_S9_PsNS6_17constant_iteratorIiNS6_11use_defaultESE_EENS6_10device_ptrIsEENSG_IlEEPmS8_NS6_8equal_toIsEEEE10hipError_tPvRmT2_T3_mT4_T5_T6_T7_T8_P12ihipStream_tbENKUlT_T0_E_clISt17integral_constantIbLb1EES13_EEDaSY_SZ_EUlSY_E_NS1_11comp_targetILNS1_3genE5ELNS1_11target_archE942ELNS1_3gpuE9ELNS1_3repE0EEENS1_30default_config_static_selectorELNS0_4arch9wavefront6targetE1EEEvT1_
; %bb.0:
	.section	.rodata,"a",@progbits
	.p2align	6, 0x0
	.amdhsa_kernel _ZN7rocprim17ROCPRIM_400000_NS6detail17trampoline_kernelINS0_14default_configENS1_29reduce_by_key_config_selectorIslN6thrust23THRUST_200600_302600_NS4plusIlEEEEZZNS1_33reduce_by_key_impl_wrapped_configILNS1_25lookback_scan_determinismE0ES3_S9_PsNS6_17constant_iteratorIiNS6_11use_defaultESE_EENS6_10device_ptrIsEENSG_IlEEPmS8_NS6_8equal_toIsEEEE10hipError_tPvRmT2_T3_mT4_T5_T6_T7_T8_P12ihipStream_tbENKUlT_T0_E_clISt17integral_constantIbLb1EES13_EEDaSY_SZ_EUlSY_E_NS1_11comp_targetILNS1_3genE5ELNS1_11target_archE942ELNS1_3gpuE9ELNS1_3repE0EEENS1_30default_config_static_selectorELNS0_4arch9wavefront6targetE1EEEvT1_
		.amdhsa_group_segment_fixed_size 0
		.amdhsa_private_segment_fixed_size 0
		.amdhsa_kernarg_size 144
		.amdhsa_user_sgpr_count 6
		.amdhsa_user_sgpr_private_segment_buffer 1
		.amdhsa_user_sgpr_dispatch_ptr 0
		.amdhsa_user_sgpr_queue_ptr 0
		.amdhsa_user_sgpr_kernarg_segment_ptr 1
		.amdhsa_user_sgpr_dispatch_id 0
		.amdhsa_user_sgpr_flat_scratch_init 0
		.amdhsa_user_sgpr_kernarg_preload_length 0
		.amdhsa_user_sgpr_kernarg_preload_offset 0
		.amdhsa_user_sgpr_private_segment_size 0
		.amdhsa_uses_dynamic_stack 0
		.amdhsa_system_sgpr_private_segment_wavefront_offset 0
		.amdhsa_system_sgpr_workgroup_id_x 1
		.amdhsa_system_sgpr_workgroup_id_y 0
		.amdhsa_system_sgpr_workgroup_id_z 0
		.amdhsa_system_sgpr_workgroup_info 0
		.amdhsa_system_vgpr_workitem_id 0
		.amdhsa_next_free_vgpr 1
		.amdhsa_next_free_sgpr 0
		.amdhsa_accum_offset 4
		.amdhsa_reserve_vcc 0
		.amdhsa_reserve_flat_scratch 0
		.amdhsa_float_round_mode_32 0
		.amdhsa_float_round_mode_16_64 0
		.amdhsa_float_denorm_mode_32 3
		.amdhsa_float_denorm_mode_16_64 3
		.amdhsa_dx10_clamp 1
		.amdhsa_ieee_mode 1
		.amdhsa_fp16_overflow 0
		.amdhsa_tg_split 0
		.amdhsa_exception_fp_ieee_invalid_op 0
		.amdhsa_exception_fp_denorm_src 0
		.amdhsa_exception_fp_ieee_div_zero 0
		.amdhsa_exception_fp_ieee_overflow 0
		.amdhsa_exception_fp_ieee_underflow 0
		.amdhsa_exception_fp_ieee_inexact 0
		.amdhsa_exception_int_div_zero 0
	.end_amdhsa_kernel
	.section	.text._ZN7rocprim17ROCPRIM_400000_NS6detail17trampoline_kernelINS0_14default_configENS1_29reduce_by_key_config_selectorIslN6thrust23THRUST_200600_302600_NS4plusIlEEEEZZNS1_33reduce_by_key_impl_wrapped_configILNS1_25lookback_scan_determinismE0ES3_S9_PsNS6_17constant_iteratorIiNS6_11use_defaultESE_EENS6_10device_ptrIsEENSG_IlEEPmS8_NS6_8equal_toIsEEEE10hipError_tPvRmT2_T3_mT4_T5_T6_T7_T8_P12ihipStream_tbENKUlT_T0_E_clISt17integral_constantIbLb1EES13_EEDaSY_SZ_EUlSY_E_NS1_11comp_targetILNS1_3genE5ELNS1_11target_archE942ELNS1_3gpuE9ELNS1_3repE0EEENS1_30default_config_static_selectorELNS0_4arch9wavefront6targetE1EEEvT1_,"axG",@progbits,_ZN7rocprim17ROCPRIM_400000_NS6detail17trampoline_kernelINS0_14default_configENS1_29reduce_by_key_config_selectorIslN6thrust23THRUST_200600_302600_NS4plusIlEEEEZZNS1_33reduce_by_key_impl_wrapped_configILNS1_25lookback_scan_determinismE0ES3_S9_PsNS6_17constant_iteratorIiNS6_11use_defaultESE_EENS6_10device_ptrIsEENSG_IlEEPmS8_NS6_8equal_toIsEEEE10hipError_tPvRmT2_T3_mT4_T5_T6_T7_T8_P12ihipStream_tbENKUlT_T0_E_clISt17integral_constantIbLb1EES13_EEDaSY_SZ_EUlSY_E_NS1_11comp_targetILNS1_3genE5ELNS1_11target_archE942ELNS1_3gpuE9ELNS1_3repE0EEENS1_30default_config_static_selectorELNS0_4arch9wavefront6targetE1EEEvT1_,comdat
.Lfunc_end1480:
	.size	_ZN7rocprim17ROCPRIM_400000_NS6detail17trampoline_kernelINS0_14default_configENS1_29reduce_by_key_config_selectorIslN6thrust23THRUST_200600_302600_NS4plusIlEEEEZZNS1_33reduce_by_key_impl_wrapped_configILNS1_25lookback_scan_determinismE0ES3_S9_PsNS6_17constant_iteratorIiNS6_11use_defaultESE_EENS6_10device_ptrIsEENSG_IlEEPmS8_NS6_8equal_toIsEEEE10hipError_tPvRmT2_T3_mT4_T5_T6_T7_T8_P12ihipStream_tbENKUlT_T0_E_clISt17integral_constantIbLb1EES13_EEDaSY_SZ_EUlSY_E_NS1_11comp_targetILNS1_3genE5ELNS1_11target_archE942ELNS1_3gpuE9ELNS1_3repE0EEENS1_30default_config_static_selectorELNS0_4arch9wavefront6targetE1EEEvT1_, .Lfunc_end1480-_ZN7rocprim17ROCPRIM_400000_NS6detail17trampoline_kernelINS0_14default_configENS1_29reduce_by_key_config_selectorIslN6thrust23THRUST_200600_302600_NS4plusIlEEEEZZNS1_33reduce_by_key_impl_wrapped_configILNS1_25lookback_scan_determinismE0ES3_S9_PsNS6_17constant_iteratorIiNS6_11use_defaultESE_EENS6_10device_ptrIsEENSG_IlEEPmS8_NS6_8equal_toIsEEEE10hipError_tPvRmT2_T3_mT4_T5_T6_T7_T8_P12ihipStream_tbENKUlT_T0_E_clISt17integral_constantIbLb1EES13_EEDaSY_SZ_EUlSY_E_NS1_11comp_targetILNS1_3genE5ELNS1_11target_archE942ELNS1_3gpuE9ELNS1_3repE0EEENS1_30default_config_static_selectorELNS0_4arch9wavefront6targetE1EEEvT1_
                                        ; -- End function
	.section	.AMDGPU.csdata,"",@progbits
; Kernel info:
; codeLenInByte = 0
; NumSgprs: 4
; NumVgprs: 0
; NumAgprs: 0
; TotalNumVgprs: 0
; ScratchSize: 0
; MemoryBound: 0
; FloatMode: 240
; IeeeMode: 1
; LDSByteSize: 0 bytes/workgroup (compile time only)
; SGPRBlocks: 0
; VGPRBlocks: 0
; NumSGPRsForWavesPerEU: 4
; NumVGPRsForWavesPerEU: 1
; AccumOffset: 4
; Occupancy: 8
; WaveLimiterHint : 0
; COMPUTE_PGM_RSRC2:SCRATCH_EN: 0
; COMPUTE_PGM_RSRC2:USER_SGPR: 6
; COMPUTE_PGM_RSRC2:TRAP_HANDLER: 0
; COMPUTE_PGM_RSRC2:TGID_X_EN: 1
; COMPUTE_PGM_RSRC2:TGID_Y_EN: 0
; COMPUTE_PGM_RSRC2:TGID_Z_EN: 0
; COMPUTE_PGM_RSRC2:TIDIG_COMP_CNT: 0
; COMPUTE_PGM_RSRC3_GFX90A:ACCUM_OFFSET: 0
; COMPUTE_PGM_RSRC3_GFX90A:TG_SPLIT: 0
	.section	.text._ZN7rocprim17ROCPRIM_400000_NS6detail17trampoline_kernelINS0_14default_configENS1_29reduce_by_key_config_selectorIslN6thrust23THRUST_200600_302600_NS4plusIlEEEEZZNS1_33reduce_by_key_impl_wrapped_configILNS1_25lookback_scan_determinismE0ES3_S9_PsNS6_17constant_iteratorIiNS6_11use_defaultESE_EENS6_10device_ptrIsEENSG_IlEEPmS8_NS6_8equal_toIsEEEE10hipError_tPvRmT2_T3_mT4_T5_T6_T7_T8_P12ihipStream_tbENKUlT_T0_E_clISt17integral_constantIbLb1EES13_EEDaSY_SZ_EUlSY_E_NS1_11comp_targetILNS1_3genE4ELNS1_11target_archE910ELNS1_3gpuE8ELNS1_3repE0EEENS1_30default_config_static_selectorELNS0_4arch9wavefront6targetE1EEEvT1_,"axG",@progbits,_ZN7rocprim17ROCPRIM_400000_NS6detail17trampoline_kernelINS0_14default_configENS1_29reduce_by_key_config_selectorIslN6thrust23THRUST_200600_302600_NS4plusIlEEEEZZNS1_33reduce_by_key_impl_wrapped_configILNS1_25lookback_scan_determinismE0ES3_S9_PsNS6_17constant_iteratorIiNS6_11use_defaultESE_EENS6_10device_ptrIsEENSG_IlEEPmS8_NS6_8equal_toIsEEEE10hipError_tPvRmT2_T3_mT4_T5_T6_T7_T8_P12ihipStream_tbENKUlT_T0_E_clISt17integral_constantIbLb1EES13_EEDaSY_SZ_EUlSY_E_NS1_11comp_targetILNS1_3genE4ELNS1_11target_archE910ELNS1_3gpuE8ELNS1_3repE0EEENS1_30default_config_static_selectorELNS0_4arch9wavefront6targetE1EEEvT1_,comdat
	.protected	_ZN7rocprim17ROCPRIM_400000_NS6detail17trampoline_kernelINS0_14default_configENS1_29reduce_by_key_config_selectorIslN6thrust23THRUST_200600_302600_NS4plusIlEEEEZZNS1_33reduce_by_key_impl_wrapped_configILNS1_25lookback_scan_determinismE0ES3_S9_PsNS6_17constant_iteratorIiNS6_11use_defaultESE_EENS6_10device_ptrIsEENSG_IlEEPmS8_NS6_8equal_toIsEEEE10hipError_tPvRmT2_T3_mT4_T5_T6_T7_T8_P12ihipStream_tbENKUlT_T0_E_clISt17integral_constantIbLb1EES13_EEDaSY_SZ_EUlSY_E_NS1_11comp_targetILNS1_3genE4ELNS1_11target_archE910ELNS1_3gpuE8ELNS1_3repE0EEENS1_30default_config_static_selectorELNS0_4arch9wavefront6targetE1EEEvT1_ ; -- Begin function _ZN7rocprim17ROCPRIM_400000_NS6detail17trampoline_kernelINS0_14default_configENS1_29reduce_by_key_config_selectorIslN6thrust23THRUST_200600_302600_NS4plusIlEEEEZZNS1_33reduce_by_key_impl_wrapped_configILNS1_25lookback_scan_determinismE0ES3_S9_PsNS6_17constant_iteratorIiNS6_11use_defaultESE_EENS6_10device_ptrIsEENSG_IlEEPmS8_NS6_8equal_toIsEEEE10hipError_tPvRmT2_T3_mT4_T5_T6_T7_T8_P12ihipStream_tbENKUlT_T0_E_clISt17integral_constantIbLb1EES13_EEDaSY_SZ_EUlSY_E_NS1_11comp_targetILNS1_3genE4ELNS1_11target_archE910ELNS1_3gpuE8ELNS1_3repE0EEENS1_30default_config_static_selectorELNS0_4arch9wavefront6targetE1EEEvT1_
	.globl	_ZN7rocprim17ROCPRIM_400000_NS6detail17trampoline_kernelINS0_14default_configENS1_29reduce_by_key_config_selectorIslN6thrust23THRUST_200600_302600_NS4plusIlEEEEZZNS1_33reduce_by_key_impl_wrapped_configILNS1_25lookback_scan_determinismE0ES3_S9_PsNS6_17constant_iteratorIiNS6_11use_defaultESE_EENS6_10device_ptrIsEENSG_IlEEPmS8_NS6_8equal_toIsEEEE10hipError_tPvRmT2_T3_mT4_T5_T6_T7_T8_P12ihipStream_tbENKUlT_T0_E_clISt17integral_constantIbLb1EES13_EEDaSY_SZ_EUlSY_E_NS1_11comp_targetILNS1_3genE4ELNS1_11target_archE910ELNS1_3gpuE8ELNS1_3repE0EEENS1_30default_config_static_selectorELNS0_4arch9wavefront6targetE1EEEvT1_
	.p2align	8
	.type	_ZN7rocprim17ROCPRIM_400000_NS6detail17trampoline_kernelINS0_14default_configENS1_29reduce_by_key_config_selectorIslN6thrust23THRUST_200600_302600_NS4plusIlEEEEZZNS1_33reduce_by_key_impl_wrapped_configILNS1_25lookback_scan_determinismE0ES3_S9_PsNS6_17constant_iteratorIiNS6_11use_defaultESE_EENS6_10device_ptrIsEENSG_IlEEPmS8_NS6_8equal_toIsEEEE10hipError_tPvRmT2_T3_mT4_T5_T6_T7_T8_P12ihipStream_tbENKUlT_T0_E_clISt17integral_constantIbLb1EES13_EEDaSY_SZ_EUlSY_E_NS1_11comp_targetILNS1_3genE4ELNS1_11target_archE910ELNS1_3gpuE8ELNS1_3repE0EEENS1_30default_config_static_selectorELNS0_4arch9wavefront6targetE1EEEvT1_,@function
_ZN7rocprim17ROCPRIM_400000_NS6detail17trampoline_kernelINS0_14default_configENS1_29reduce_by_key_config_selectorIslN6thrust23THRUST_200600_302600_NS4plusIlEEEEZZNS1_33reduce_by_key_impl_wrapped_configILNS1_25lookback_scan_determinismE0ES3_S9_PsNS6_17constant_iteratorIiNS6_11use_defaultESE_EENS6_10device_ptrIsEENSG_IlEEPmS8_NS6_8equal_toIsEEEE10hipError_tPvRmT2_T3_mT4_T5_T6_T7_T8_P12ihipStream_tbENKUlT_T0_E_clISt17integral_constantIbLb1EES13_EEDaSY_SZ_EUlSY_E_NS1_11comp_targetILNS1_3genE4ELNS1_11target_archE910ELNS1_3gpuE8ELNS1_3repE0EEENS1_30default_config_static_selectorELNS0_4arch9wavefront6targetE1EEEvT1_: ; @_ZN7rocprim17ROCPRIM_400000_NS6detail17trampoline_kernelINS0_14default_configENS1_29reduce_by_key_config_selectorIslN6thrust23THRUST_200600_302600_NS4plusIlEEEEZZNS1_33reduce_by_key_impl_wrapped_configILNS1_25lookback_scan_determinismE0ES3_S9_PsNS6_17constant_iteratorIiNS6_11use_defaultESE_EENS6_10device_ptrIsEENSG_IlEEPmS8_NS6_8equal_toIsEEEE10hipError_tPvRmT2_T3_mT4_T5_T6_T7_T8_P12ihipStream_tbENKUlT_T0_E_clISt17integral_constantIbLb1EES13_EEDaSY_SZ_EUlSY_E_NS1_11comp_targetILNS1_3genE4ELNS1_11target_archE910ELNS1_3gpuE8ELNS1_3repE0EEENS1_30default_config_static_selectorELNS0_4arch9wavefront6targetE1EEEvT1_
; %bb.0:
	s_load_dwordx4 s[52:55], s[4:5], 0x20
	s_load_dwordx2 s[56:57], s[4:5], 0x30
	s_load_dwordx2 s[30:31], s[4:5], 0x80
	v_cmp_ne_u32_e64 s[2:3], 0, v0
	v_cmp_eq_u32_e64 s[0:1], 0, v0
	s_and_saveexec_b64 s[6:7], s[0:1]
	s_cbranch_execz .LBB1481_4
; %bb.1:
	s_mov_b64 s[10:11], exec
	v_mbcnt_lo_u32_b32 v1, s10, 0
	v_mbcnt_hi_u32_b32 v1, s11, v1
	v_cmp_eq_u32_e32 vcc, 0, v1
                                        ; implicit-def: $vgpr2
	s_and_saveexec_b64 s[8:9], vcc
	s_cbranch_execz .LBB1481_3
; %bb.2:
	s_load_dwordx2 s[12:13], s[4:5], 0x88
	s_bcnt1_i32_b64 s10, s[10:11]
	v_mov_b32_e32 v2, 0
	v_mov_b32_e32 v3, s10
	s_waitcnt lgkmcnt(0)
	global_atomic_add v2, v2, v3, s[12:13] glc
.LBB1481_3:
	s_or_b64 exec, exec, s[8:9]
	s_waitcnt vmcnt(0)
	v_readfirstlane_b32 s8, v2
	v_add_u32_e32 v1, s8, v1
	v_mov_b32_e32 v2, 0
	ds_write_b32 v2, v1
.LBB1481_4:
	s_or_b64 exec, exec, s[6:7]
	s_load_dwordx4 s[8:11], s[4:5], 0x0
	s_load_dword s12, s[4:5], 0x18
	s_load_dwordx16 s[36:51], s[4:5], 0x40
	v_mov_b32_e32 v3, 0
	s_waitcnt lgkmcnt(0)
	s_barrier
	ds_read_b32 v1, v3
	s_mul_i32 s4, s44, s43
	s_mul_hi_u32 s5, s44, s42
	s_add_i32 s4, s5, s4
	s_mul_i32 s5, s45, s42
	s_add_i32 s7, s4, s5
	s_lshl_b64 s[4:5], s[10:11], 1
	s_add_u32 s4, s8, s4
	s_mul_i32 s6, s44, s42
	s_addc_u32 s5, s9, s5
	s_waitcnt lgkmcnt(0)
	v_readfirstlane_b32 s62, v1
	s_add_u32 s6, s6, s62
	s_movk_i32 s8, 0xf00
	s_addc_u32 s7, s7, 0
	v_mul_lo_u32 v2, v1, s8
	s_add_u32 s10, s46, -1
	v_lshlrev_b64 v[2:3], 1, v[2:3]
	s_addc_u32 s11, s47, -1
	v_mov_b32_e32 v1, s5
	v_add_co_u32_e32 v40, vcc, s4, v2
	s_cmp_eq_u64 s[6:7], s[10:11]
	v_addc_co_u32_e32 v41, vcc, v1, v3, vcc
	s_cselect_b64 s[44:45], -1, 0
	s_cmp_lg_u64 s[6:7], s[10:11]
	s_mov_b64 s[8:9], -1
	s_cselect_b64 s[4:5], -1, 0
	s_mul_i32 s33, s10, 0xfffff100
	s_and_b64 vcc, exec, s[44:45]
	s_barrier
	s_cbranch_vccnz .LBB1481_6
; %bb.5:
	v_lshlrev_b32_e32 v1, 1, v0
	v_add_co_u32_e32 v2, vcc, v40, v1
	v_addc_co_u32_e32 v3, vcc, 0, v41, vcc
	v_add_co_u32_e32 v2, vcc, 0x1000, v2
	v_readfirstlane_b32 s8, v40
	v_readfirstlane_b32 s9, v41
	v_addc_co_u32_e32 v3, vcc, 0, v3, vcc
	s_nop 3
	global_load_ushort v4, v1, s[8:9]
	global_load_ushort v5, v1, s[8:9] offset:512
	global_load_ushort v13, v1, s[8:9] offset:1024
	;; [unrolled: 1-line block ×7, first 2 shown]
	global_load_ushort v21, v[2:3], off
	global_load_ushort v22, v[2:3], off offset:512
	global_load_ushort v23, v[2:3], off offset:1024
	;; [unrolled: 1-line block ×6, first 2 shown]
	v_mad_u32_u24 v29, v0, 28, v1
	s_ashr_i32 s13, s12, 31
	s_movk_i32 s8, 0xffea
	v_mul_u32_u24_e32 v7, 15, v0
	v_mad_u32_u24 v8, v0, 15, 1
	v_mad_u32_u24 v12, v0, 15, 3
	;; [unrolled: 1-line block ×7, first 2 shown]
	v_pk_mov_b32 v[14:15], s[12:13], s[12:13] op_sel:[0,1]
	v_mad_i32_i24 v30, v0, s8, v29
	s_waitcnt vmcnt(14)
	ds_write_b16 v1, v4
	s_waitcnt vmcnt(13)
	ds_write_b16 v1, v5 offset:512
	s_waitcnt vmcnt(12)
	ds_write_b16 v1, v13 offset:1024
	;; [unrolled: 2-line block ×14, first 2 shown]
	s_waitcnt lgkmcnt(0)
	s_barrier
	ds_read_u16 v1, v29
	ds_read_b128 v[2:5], v29 offset:2
	ds_read_b96 v[22:24], v29 offset:18
	s_waitcnt lgkmcnt(0)
	s_barrier
	ds_write2st64_b64 v30, v[14:15], v[14:15] offset1:4
	ds_write2st64_b64 v30, v[14:15], v[14:15] offset0:8 offset1:12
	ds_write2st64_b64 v30, v[14:15], v[14:15] offset0:16 offset1:20
	;; [unrolled: 1-line block ×6, first 2 shown]
	ds_write_b64 v30, v[14:15] offset:28672
	s_waitcnt lgkmcnt(0)
	s_barrier
	s_add_i32 s33, s33, s48
	s_cbranch_execz .LBB1481_7
	s_branch .LBB1481_38
.LBB1481_6:
                                        ; implicit-def: $vgpr2
                                        ; implicit-def: $vgpr22
                                        ; implicit-def: $vgpr25
                                        ; implicit-def: $vgpr9
                                        ; implicit-def: $vgpr6
                                        ; implicit-def: $vgpr10
                                        ; implicit-def: $vgpr11
                                        ; implicit-def: $vgpr12
                                        ; implicit-def: $vgpr8
                                        ; implicit-def: $vgpr7
                                        ; implicit-def: $vgpr1
	s_andn2_b64 vcc, exec, s[8:9]
	s_add_i32 s33, s33, s48
	s_cbranch_vccnz .LBB1481_38
.LBB1481_7:
	v_cmp_gt_u32_e32 vcc, s33, v0
                                        ; implicit-def: $vgpr1
	s_and_saveexec_b64 s[8:9], vcc
	s_cbranch_execz .LBB1481_9
; %bb.8:
	v_lshlrev_b32_e32 v1, 1, v0
	v_readfirstlane_b32 s10, v40
	v_readfirstlane_b32 s11, v41
	s_nop 4
	global_load_ushort v1, v1, s[10:11]
.LBB1481_9:
	s_or_b64 exec, exec, s[8:9]
	v_or_b32_e32 v2, 0x100, v0
	v_cmp_gt_u32_e32 vcc, s33, v2
                                        ; implicit-def: $vgpr2
	s_and_saveexec_b64 s[8:9], vcc
	s_cbranch_execz .LBB1481_11
; %bb.10:
	v_lshlrev_b32_e32 v2, 1, v0
	v_readfirstlane_b32 s10, v40
	v_readfirstlane_b32 s11, v41
	s_nop 4
	global_load_ushort v2, v2, s[10:11] offset:512
.LBB1481_11:
	s_or_b64 exec, exec, s[8:9]
	v_or_b32_e32 v3, 0x200, v0
	v_cmp_gt_u32_e32 vcc, s33, v3
                                        ; implicit-def: $vgpr3
	s_and_saveexec_b64 s[8:9], vcc
	s_cbranch_execz .LBB1481_13
; %bb.12:
	v_lshlrev_b32_e32 v3, 1, v0
	v_readfirstlane_b32 s10, v40
	v_readfirstlane_b32 s11, v41
	s_nop 4
	global_load_ushort v3, v3, s[10:11] offset:1024
.LBB1481_13:
	s_or_b64 exec, exec, s[8:9]
	v_or_b32_e32 v4, 0x300, v0
	v_cmp_gt_u32_e32 vcc, s33, v4
                                        ; implicit-def: $vgpr4
	s_and_saveexec_b64 s[8:9], vcc
	s_cbranch_execz .LBB1481_15
; %bb.14:
	v_lshlrev_b32_e32 v4, 1, v0
	v_readfirstlane_b32 s10, v40
	v_readfirstlane_b32 s11, v41
	s_nop 4
	global_load_ushort v4, v4, s[10:11] offset:1536
.LBB1481_15:
	s_or_b64 exec, exec, s[8:9]
	v_or_b32_e32 v5, 0x400, v0
	v_cmp_gt_u32_e32 vcc, s33, v5
                                        ; implicit-def: $vgpr5
	s_and_saveexec_b64 s[8:9], vcc
	s_cbranch_execz .LBB1481_17
; %bb.16:
	v_lshlrev_b32_e32 v5, 1, v0
	v_readfirstlane_b32 s10, v40
	v_readfirstlane_b32 s11, v41
	s_nop 4
	global_load_ushort v5, v5, s[10:11] offset:2048
.LBB1481_17:
	s_or_b64 exec, exec, s[8:9]
	v_or_b32_e32 v6, 0x500, v0
	v_cmp_gt_u32_e32 vcc, s33, v6
                                        ; implicit-def: $vgpr6
	s_and_saveexec_b64 s[8:9], vcc
	s_cbranch_execz .LBB1481_19
; %bb.18:
	v_lshlrev_b32_e32 v6, 1, v0
	v_readfirstlane_b32 s10, v40
	v_readfirstlane_b32 s11, v41
	s_nop 4
	global_load_ushort v6, v6, s[10:11] offset:2560
.LBB1481_19:
	s_or_b64 exec, exec, s[8:9]
	v_or_b32_e32 v7, 0x600, v0
	v_cmp_gt_u32_e32 vcc, s33, v7
                                        ; implicit-def: $vgpr7
	s_and_saveexec_b64 s[8:9], vcc
	s_cbranch_execz .LBB1481_21
; %bb.20:
	v_lshlrev_b32_e32 v7, 1, v0
	v_readfirstlane_b32 s10, v40
	v_readfirstlane_b32 s11, v41
	s_nop 4
	global_load_ushort v7, v7, s[10:11] offset:3072
.LBB1481_21:
	s_or_b64 exec, exec, s[8:9]
	v_or_b32_e32 v8, 0x700, v0
	v_cmp_gt_u32_e32 vcc, s33, v8
                                        ; implicit-def: $vgpr8
	s_and_saveexec_b64 s[8:9], vcc
	s_cbranch_execz .LBB1481_23
; %bb.22:
	v_lshlrev_b32_e32 v8, 1, v0
	v_readfirstlane_b32 s10, v40
	v_readfirstlane_b32 s11, v41
	s_nop 4
	global_load_ushort v8, v8, s[10:11] offset:3584
.LBB1481_23:
	s_or_b64 exec, exec, s[8:9]
	v_or_b32_e32 v10, 0x800, v0
	v_cmp_gt_u32_e32 vcc, s33, v10
                                        ; implicit-def: $vgpr9
	s_and_saveexec_b64 s[8:9], vcc
	s_cbranch_execz .LBB1481_25
; %bb.24:
	v_lshlrev_b32_e32 v9, 1, v10
	v_readfirstlane_b32 s10, v40
	v_readfirstlane_b32 s11, v41
	s_nop 4
	global_load_ushort v9, v9, s[10:11]
.LBB1481_25:
	s_or_b64 exec, exec, s[8:9]
	v_or_b32_e32 v11, 0x900, v0
	v_cmp_gt_u32_e32 vcc, s33, v11
                                        ; implicit-def: $vgpr10
	s_and_saveexec_b64 s[8:9], vcc
	s_cbranch_execz .LBB1481_27
; %bb.26:
	v_lshlrev_b32_e32 v10, 1, v11
	v_readfirstlane_b32 s10, v40
	v_readfirstlane_b32 s11, v41
	s_nop 4
	global_load_ushort v10, v10, s[10:11]
.LBB1481_27:
	s_or_b64 exec, exec, s[8:9]
	v_or_b32_e32 v12, 0xa00, v0
	v_cmp_gt_u32_e32 vcc, s33, v12
                                        ; implicit-def: $vgpr11
	s_and_saveexec_b64 s[8:9], vcc
	s_cbranch_execz .LBB1481_29
; %bb.28:
	v_lshlrev_b32_e32 v11, 1, v12
	v_readfirstlane_b32 s10, v40
	v_readfirstlane_b32 s11, v41
	s_nop 4
	global_load_ushort v11, v11, s[10:11]
.LBB1481_29:
	s_or_b64 exec, exec, s[8:9]
	v_or_b32_e32 v13, 0xb00, v0
	v_cmp_gt_u32_e32 vcc, s33, v13
                                        ; implicit-def: $vgpr12
	s_and_saveexec_b64 s[8:9], vcc
	s_cbranch_execz .LBB1481_31
; %bb.30:
	v_lshlrev_b32_e32 v12, 1, v13
	v_readfirstlane_b32 s10, v40
	v_readfirstlane_b32 s11, v41
	s_nop 4
	global_load_ushort v12, v12, s[10:11]
.LBB1481_31:
	s_or_b64 exec, exec, s[8:9]
	v_or_b32_e32 v14, 0xc00, v0
	v_cmp_gt_u32_e32 vcc, s33, v14
                                        ; implicit-def: $vgpr13
	s_and_saveexec_b64 s[8:9], vcc
	s_cbranch_execz .LBB1481_33
; %bb.32:
	v_lshlrev_b32_e32 v13, 1, v14
	v_readfirstlane_b32 s10, v40
	v_readfirstlane_b32 s11, v41
	s_nop 4
	global_load_ushort v13, v13, s[10:11]
.LBB1481_33:
	s_or_b64 exec, exec, s[8:9]
	v_or_b32_e32 v15, 0xd00, v0
	v_cmp_gt_u32_e32 vcc, s33, v15
                                        ; implicit-def: $vgpr14
	s_and_saveexec_b64 s[8:9], vcc
	s_cbranch_execz .LBB1481_35
; %bb.34:
	v_lshlrev_b32_e32 v14, 1, v15
	v_readfirstlane_b32 s10, v40
	v_readfirstlane_b32 s11, v41
	s_nop 4
	global_load_ushort v14, v14, s[10:11]
.LBB1481_35:
	s_or_b64 exec, exec, s[8:9]
	v_or_b32_e32 v16, 0xe00, v0
	v_cmp_gt_u32_e32 vcc, s33, v16
                                        ; implicit-def: $vgpr15
	s_and_saveexec_b64 s[8:9], vcc
	s_cbranch_execz .LBB1481_37
; %bb.36:
	v_lshlrev_b32_e32 v15, 1, v16
	v_readfirstlane_b32 s10, v40
	v_readfirstlane_b32 s11, v41
	s_nop 4
	global_load_ushort v15, v15, s[10:11]
.LBB1481_37:
	s_or_b64 exec, exec, s[8:9]
	v_lshlrev_b32_e32 v16, 1, v0
	s_waitcnt vmcnt(0)
	ds_write_b16 v16, v1
	ds_write_b16 v16, v2 offset:512
	ds_write_b16 v16, v3 offset:1024
	;; [unrolled: 1-line block ×14, first 2 shown]
	v_mad_u32_u24 v13, v0, 28, v16
	s_waitcnt lgkmcnt(0)
	s_barrier
	ds_read_u16 v1, v13
	ds_read_b128 v[2:5], v13 offset:2
	ds_read_b96 v[22:24], v13 offset:18
	s_ashr_i32 s13, s12, 31
	s_movk_i32 s8, 0xffea
	v_mul_u32_u24_e32 v7, 15, v0
	v_mad_u32_u24 v8, v0, 15, 1
	v_mad_u32_u24 v12, v0, 15, 3
	;; [unrolled: 1-line block ×7, first 2 shown]
	v_mad_i32_i24 v13, v0, s8, v13
	v_pk_mov_b32 v[14:15], s[12:13], s[12:13] op_sel:[0,1]
	s_waitcnt lgkmcnt(0)
	s_barrier
	ds_write2st64_b64 v13, v[14:15], v[14:15] offset1:4
	ds_write2st64_b64 v13, v[14:15], v[14:15] offset0:8 offset1:12
	ds_write2st64_b64 v13, v[14:15], v[14:15] offset0:16 offset1:20
	;; [unrolled: 1-line block ×6, first 2 shown]
	ds_write_b64 v13, v[14:15] offset:28672
	s_waitcnt lgkmcnt(0)
	s_barrier
.LBB1481_38:
	v_lshlrev_b32_e32 v7, 3, v7
	v_lshlrev_b32_e32 v8, 3, v8
	;; [unrolled: 1-line block ×5, first 2 shown]
	ds_read2_b64 v[18:21], v7 offset1:2
	ds_read2_b64 v[14:17], v7 offset0:4 offset1:6
	ds_read_b64 v[38:39], v8
	ds_read_b64 v[36:37], v12
	;; [unrolled: 1-line block ×4, first 2 shown]
	ds_read2_b64 v[10:13], v7 offset0:8 offset1:10
	v_lshlrev_b32_e32 v26, 3, v6
	v_lshlrev_b32_e32 v27, 3, v9
	ds_read2_b64 v[6:9], v7 offset0:12 offset1:14
	v_lshlrev_b32_e32 v25, 3, v25
	ds_read_b64 v[32:33], v26
	ds_read_b64 v[28:29], v27
	;; [unrolled: 1-line block ×3, first 2 shown]
	s_cmp_eq_u64 s[6:7], 0
	s_cselect_b64 s[46:47], -1, 0
	s_cmp_lg_u64 s[6:7], 0
	s_mov_b64 s[8:9], 0
	s_cselect_b64 s[10:11], -1, 0
	s_and_b64 vcc, exec, s[4:5]
	s_waitcnt lgkmcnt(0)
	s_barrier
	s_cbranch_vccz .LBB1481_44
; %bb.39:
	s_and_b64 vcc, exec, s[10:11]
	s_cbranch_vccz .LBB1481_45
; %bb.40:
	global_load_ushort v42, v[40:41], off offset:-2
	v_lshrrev_b32_e32 v43, 16, v24
	v_lshlrev_b32_e32 v25, 1, v0
	v_cmp_ne_u16_e32 vcc, v24, v43
	v_cmp_ne_u16_sdwa s[8:9], v23, v24 src0_sel:WORD_1 src1_sel:DWORD
	v_cmp_ne_u16_sdwa s[12:13], v23, v23 src0_sel:DWORD src1_sel:WORD_1
	v_cmp_ne_u16_sdwa s[14:15], v22, v23 src0_sel:WORD_1 src1_sel:DWORD
	v_cmp_ne_u16_sdwa s[16:17], v22, v22 src0_sel:DWORD src1_sel:WORD_1
	;; [unrolled: 2-line block ×6, first 2 shown]
	v_cmp_ne_u16_e64 s[4:5], v1, v2
	ds_write_b16 v25, v43
	s_waitcnt lgkmcnt(0)
	s_barrier
	s_and_saveexec_b64 s[60:61], s[2:3]
	s_cbranch_execz .LBB1481_42
; %bb.41:
	v_add_u32_e32 v25, -2, v25
	s_waitcnt vmcnt(0)
	ds_read_u16 v42, v25
.LBB1481_42:
	s_or_b64 exec, exec, s[60:61]
	v_cndmask_b32_e64 v25, 0, 1, vcc
	v_cndmask_b32_e64 v76, 0, 1, s[8:9]
	v_cndmask_b32_e64 v77, 0, 1, s[12:13]
	;; [unrolled: 1-line block ×13, first 2 shown]
	s_waitcnt vmcnt(0) lgkmcnt(0)
	v_cmp_ne_u16_e64 s[4:5], v42, v1
	s_mov_b64 s[8:9], -1
.LBB1481_43:
                                        ; implicit-def: $sgpr14
	s_branch .LBB1481_57
.LBB1481_44:
                                        ; implicit-def: $sgpr4_sgpr5
                                        ; implicit-def: $vgpr25
                                        ; implicit-def: $vgpr76
                                        ; implicit-def: $vgpr77
                                        ; implicit-def: $vgpr78
                                        ; implicit-def: $vgpr79
                                        ; implicit-def: $vgpr80
                                        ; implicit-def: $vgpr81
                                        ; implicit-def: $vgpr82
                                        ; implicit-def: $vgpr83
                                        ; implicit-def: $vgpr84
                                        ; implicit-def: $vgpr85
                                        ; implicit-def: $vgpr86
                                        ; implicit-def: $vgpr87
                                        ; implicit-def: $vgpr88
                                        ; implicit-def: $sgpr14
	s_cbranch_execnz .LBB1481_49
	s_branch .LBB1481_57
.LBB1481_45:
                                        ; implicit-def: $sgpr4_sgpr5
                                        ; implicit-def: $vgpr25
                                        ; implicit-def: $vgpr76
                                        ; implicit-def: $vgpr77
                                        ; implicit-def: $vgpr78
                                        ; implicit-def: $vgpr79
                                        ; implicit-def: $vgpr80
                                        ; implicit-def: $vgpr81
                                        ; implicit-def: $vgpr82
                                        ; implicit-def: $vgpr83
                                        ; implicit-def: $vgpr84
                                        ; implicit-def: $vgpr85
                                        ; implicit-def: $vgpr86
                                        ; implicit-def: $vgpr87
                                        ; implicit-def: $vgpr88
	s_cbranch_execz .LBB1481_43
; %bb.46:
	v_cmp_ne_u16_sdwa s[4:5], v23, v24 src0_sel:WORD_1 src1_sel:DWORD
	v_cndmask_b32_e64 v76, 0, 1, s[4:5]
	v_cmp_ne_u16_sdwa s[4:5], v23, v23 src0_sel:DWORD src1_sel:WORD_1
	v_cndmask_b32_e64 v77, 0, 1, s[4:5]
	v_cmp_ne_u16_sdwa s[4:5], v22, v23 src0_sel:WORD_1 src1_sel:DWORD
	v_cndmask_b32_e64 v78, 0, 1, s[4:5]
	v_cmp_ne_u16_sdwa s[4:5], v22, v22 src0_sel:DWORD src1_sel:WORD_1
	v_cndmask_b32_e64 v79, 0, 1, s[4:5]
	;; [unrolled: 4-line block ×4, first 2 shown]
	v_cmp_ne_u16_sdwa s[4:5], v3, v4 src0_sel:WORD_1 src1_sel:DWORD
	v_lshrrev_b32_e32 v25, 16, v24
	v_cndmask_b32_e64 v84, 0, 1, s[4:5]
	v_cmp_ne_u16_sdwa s[4:5], v3, v3 src0_sel:DWORD src1_sel:WORD_1
	v_lshlrev_b32_e32 v42, 1, v0
	v_cmp_ne_u16_e32 vcc, v24, v25
	v_cndmask_b32_e64 v85, 0, 1, s[4:5]
	v_cmp_ne_u16_sdwa s[4:5], v2, v3 src0_sel:WORD_1 src1_sel:DWORD
	ds_write_b16 v42, v25
	v_cndmask_b32_e64 v25, 0, 1, vcc
	v_cndmask_b32_e64 v86, 0, 1, s[4:5]
	v_cmp_ne_u16_sdwa s[4:5], v2, v2 src0_sel:DWORD src1_sel:WORD_1
	v_cmp_ne_u16_e32 vcc, v1, v2
	s_mov_b32 s14, 1
	v_cndmask_b32_e64 v87, 0, 1, s[4:5]
	v_cndmask_b32_e64 v88, 0, 1, vcc
	s_waitcnt lgkmcnt(0)
	s_barrier
	s_waitcnt lgkmcnt(0)
                                        ; implicit-def: $sgpr4_sgpr5
	s_and_saveexec_b64 s[12:13], s[2:3]
	s_xor_b64 s[12:13], exec, s[12:13]
	s_cbranch_execz .LBB1481_48
; %bb.47:
	v_add_u32_e32 v42, -2, v42
	ds_read_u16 v42, v42
	s_or_b64 s[8:9], s[8:9], exec
	s_waitcnt lgkmcnt(0)
	v_cmp_ne_u16_e32 vcc, v42, v1
	s_and_b64 s[4:5], vcc, exec
.LBB1481_48:
	s_or_b64 exec, exec, s[12:13]
	s_branch .LBB1481_57
.LBB1481_49:
	s_mul_hi_u32 s5, s6, 0xfffff100
	s_mul_i32 s4, s7, 0xfffff100
	s_sub_i32 s5, s5, s6
	s_add_i32 s5, s5, s4
	s_mul_i32 s4, s6, 0xfffff100
	s_add_u32 s6, s4, s48
	s_addc_u32 s7, s5, s49
	s_and_b64 vcc, exec, s[10:11]
	s_cbranch_vccz .LBB1481_54
; %bb.50:
	global_load_ushort v44, v[40:41], off offset:-2
	v_lshrrev_b32_e32 v41, 16, v24
	v_mad_u32_u24 v42, v0, 15, 14
	v_mov_b32_e32 v43, 0
	v_cmp_gt_u64_e32 vcc, s[6:7], v[42:43]
	v_cmp_ne_u16_e64 s[4:5], v24, v41
	v_mad_u32_u24 v42, v0, 15, 13
	s_and_b64 s[8:9], vcc, s[4:5]
	v_cmp_gt_u64_e32 vcc, s[6:7], v[42:43]
	v_cmp_ne_u16_sdwa s[4:5], v23, v24 src0_sel:WORD_1 src1_sel:DWORD
	v_mad_u32_u24 v42, v0, 15, 12
	s_and_b64 s[10:11], vcc, s[4:5]
	v_cmp_gt_u64_e32 vcc, s[6:7], v[42:43]
	v_cmp_ne_u16_sdwa s[4:5], v23, v23 src0_sel:DWORD src1_sel:WORD_1
	v_mad_u32_u24 v42, v0, 15, 11
	s_and_b64 s[12:13], vcc, s[4:5]
	v_cmp_gt_u64_e32 vcc, s[6:7], v[42:43]
	v_cmp_ne_u16_sdwa s[4:5], v22, v23 src0_sel:WORD_1 src1_sel:DWORD
	v_mad_u32_u24 v42, v0, 15, 10
	s_and_b64 s[14:15], vcc, s[4:5]
	v_cmp_gt_u64_e32 vcc, s[6:7], v[42:43]
	v_cmp_ne_u16_sdwa s[4:5], v22, v22 src0_sel:DWORD src1_sel:WORD_1
	;; [unrolled: 8-line block ×6, first 2 shown]
	v_mad_u32_u24 v42, v0, 15, 1
	s_and_b64 s[48:49], vcc, s[4:5]
	v_cmp_gt_u64_e32 vcc, s[6:7], v[42:43]
	v_cmp_ne_u16_e64 s[4:5], v1, v2
	v_lshlrev_b32_e32 v25, 1, v0
	v_mul_u32_u24_e32 v40, 15, v0
	s_and_b64 s[4:5], vcc, s[4:5]
	ds_write_b16 v25, v41
	s_waitcnt lgkmcnt(0)
	s_barrier
	s_and_saveexec_b64 s[58:59], s[2:3]
	s_cbranch_execz .LBB1481_52
; %bb.51:
	v_add_u32_e32 v25, -2, v25
	s_waitcnt vmcnt(0)
	ds_read_u16 v44, v25
.LBB1481_52:
	s_or_b64 exec, exec, s[58:59]
	v_mov_b32_e32 v41, v43
	v_cndmask_b32_e64 v88, 0, 1, s[4:5]
	v_cmp_gt_u64_e32 vcc, s[6:7], v[40:41]
	s_waitcnt vmcnt(0) lgkmcnt(0)
	v_cmp_ne_u16_e64 s[4:5], v44, v1
	v_cndmask_b32_e64 v25, 0, 1, s[8:9]
	v_cndmask_b32_e64 v76, 0, 1, s[10:11]
	;; [unrolled: 1-line block ×13, first 2 shown]
	s_and_b64 s[4:5], vcc, s[4:5]
	s_mov_b64 s[8:9], -1
.LBB1481_53:
                                        ; implicit-def: $sgpr14
	v_mov_b32_e32 v89, s14
	s_and_saveexec_b64 s[2:3], s[8:9]
	s_cbranch_execnz .LBB1481_58
	s_branch .LBB1481_59
.LBB1481_54:
                                        ; implicit-def: $sgpr4_sgpr5
                                        ; implicit-def: $vgpr25
                                        ; implicit-def: $vgpr76
                                        ; implicit-def: $vgpr77
                                        ; implicit-def: $vgpr78
                                        ; implicit-def: $vgpr79
                                        ; implicit-def: $vgpr80
                                        ; implicit-def: $vgpr81
                                        ; implicit-def: $vgpr82
                                        ; implicit-def: $vgpr83
                                        ; implicit-def: $vgpr84
                                        ; implicit-def: $vgpr85
                                        ; implicit-def: $vgpr86
                                        ; implicit-def: $vgpr87
                                        ; implicit-def: $vgpr88
	s_cbranch_execz .LBB1481_53
; %bb.55:
	v_lshrrev_b32_e32 v25, 16, v24
	v_mad_u32_u24 v40, v0, 15, 14
	v_mov_b32_e32 v41, 0
	v_cmp_gt_u64_e32 vcc, s[6:7], v[40:41]
	v_cmp_ne_u16_e64 s[4:5], v24, v25
	v_lshlrev_b32_e32 v42, 1, v0
	s_and_b64 s[4:5], vcc, s[4:5]
	v_mad_u32_u24 v40, v0, 15, 13
	ds_write_b16 v42, v25
	v_cndmask_b32_e64 v25, 0, 1, s[4:5]
	v_cmp_gt_u64_e32 vcc, s[6:7], v[40:41]
	v_cmp_ne_u16_sdwa s[4:5], v23, v24 src0_sel:WORD_1 src1_sel:DWORD
	s_and_b64 s[4:5], vcc, s[4:5]
	v_mad_u32_u24 v40, v0, 15, 12
	v_cndmask_b32_e64 v76, 0, 1, s[4:5]
	v_cmp_gt_u64_e32 vcc, s[6:7], v[40:41]
	v_cmp_ne_u16_sdwa s[4:5], v23, v23 src0_sel:DWORD src1_sel:WORD_1
	s_and_b64 s[4:5], vcc, s[4:5]
	v_mad_u32_u24 v40, v0, 15, 11
	v_cndmask_b32_e64 v77, 0, 1, s[4:5]
	v_cmp_gt_u64_e32 vcc, s[6:7], v[40:41]
	v_cmp_ne_u16_sdwa s[4:5], v22, v23 src0_sel:WORD_1 src1_sel:DWORD
	s_and_b64 s[4:5], vcc, s[4:5]
	v_mad_u32_u24 v40, v0, 15, 10
	v_cndmask_b32_e64 v78, 0, 1, s[4:5]
	v_cmp_gt_u64_e32 vcc, s[6:7], v[40:41]
	v_cmp_ne_u16_sdwa s[4:5], v22, v22 src0_sel:DWORD src1_sel:WORD_1
	s_and_b64 s[4:5], vcc, s[4:5]
	v_mad_u32_u24 v40, v0, 15, 9
	;; [unrolled: 10-line block ×6, first 2 shown]
	v_cndmask_b32_e64 v87, 0, 1, s[4:5]
	v_cmp_gt_u64_e32 vcc, s[6:7], v[40:41]
	v_cmp_ne_u16_e64 s[4:5], v1, v2
	s_and_b64 s[4:5], vcc, s[4:5]
	s_mov_b32 s14, 1
	v_cndmask_b32_e64 v88, 0, 1, s[4:5]
	s_waitcnt lgkmcnt(0)
	s_barrier
	s_waitcnt lgkmcnt(0)
                                        ; implicit-def: $sgpr4_sgpr5
	s_and_saveexec_b64 s[10:11], s[2:3]
	s_cbranch_execz .LBB1481_210
; %bb.56:
	v_add_u32_e32 v40, -2, v42
	ds_read_u16 v42, v40
	v_mul_u32_u24_e32 v40, 15, v0
	v_cmp_gt_u64_e32 vcc, s[6:7], v[40:41]
	s_or_b64 s[8:9], s[8:9], exec
	s_waitcnt lgkmcnt(0)
	v_cmp_ne_u16_e64 s[2:3], v42, v1
	s_and_b64 s[2:3], vcc, s[2:3]
	s_and_b64 s[4:5], s[2:3], exec
	s_or_b64 exec, exec, s[10:11]
.LBB1481_57:
	v_mov_b32_e32 v89, s14
	s_and_saveexec_b64 s[2:3], s[8:9]
.LBB1481_58:
	v_cndmask_b32_e64 v89, 0, 1, s[4:5]
.LBB1481_59:
	s_or_b64 exec, exec, s[2:3]
	s_cmp_eq_u64 s[42:43], 0
	v_add3_u32 v40, v88, v89, v87
	s_cselect_b64 s[34:35], -1, 0
	s_cmp_lg_u32 s62, 0
	v_cmp_eq_u32_e64 s[26:27], 0, v88
	v_cmp_eq_u32_e64 s[24:25], 0, v87
	;; [unrolled: 1-line block ×3, first 2 shown]
	v_add3_u32 v92, v40, v86, v85
	v_cmp_eq_u32_e64 s[20:21], 0, v85
	v_cmp_eq_u32_e64 s[18:19], 0, v84
	;; [unrolled: 1-line block ×10, first 2 shown]
	v_cmp_eq_u32_e32 vcc, 0, v25
	v_mbcnt_lo_u32_b32 v91, -1, 0
	s_cbranch_scc0 .LBB1481_130
; %bb.60:
	v_cndmask_b32_e64 v41, 0, v18, s[26:27]
	v_cndmask_b32_e64 v40, 0, v19, s[26:27]
	v_add_co_u32_e64 v41, s[28:29], v41, v38
	v_addc_co_u32_e64 v40, s[28:29], v40, v39, s[28:29]
	v_cndmask_b32_e64 v41, 0, v41, s[24:25]
	v_cndmask_b32_e64 v40, 0, v40, s[24:25]
	v_add_co_u32_e64 v41, s[28:29], v41, v20
	v_addc_co_u32_e64 v40, s[28:29], v40, v21, s[28:29]
	v_cndmask_b32_e64 v41, 0, v41, s[22:23]
	v_cndmask_b32_e64 v40, 0, v40, s[22:23]
	v_add_co_u32_e64 v41, s[28:29], v41, v36
	v_addc_co_u32_e64 v40, s[28:29], v40, v37, s[28:29]
	v_cndmask_b32_e64 v41, 0, v41, s[20:21]
	v_cndmask_b32_e64 v40, 0, v40, s[20:21]
	v_add_co_u32_e64 v41, s[28:29], v41, v14
	v_addc_co_u32_e64 v40, s[28:29], v40, v15, s[28:29]
	v_cndmask_b32_e64 v41, 0, v41, s[18:19]
	v_cndmask_b32_e64 v40, 0, v40, s[18:19]
	v_add_co_u32_e64 v41, s[28:29], v41, v34
	v_addc_co_u32_e64 v40, s[28:29], v40, v35, s[28:29]
	v_cndmask_b32_e64 v41, 0, v41, s[16:17]
	v_cndmask_b32_e64 v40, 0, v40, s[16:17]
	v_add_co_u32_e64 v41, s[28:29], v41, v16
	v_addc_co_u32_e64 v40, s[28:29], v40, v17, s[28:29]
	v_cndmask_b32_e64 v41, 0, v41, s[14:15]
	v_cndmask_b32_e64 v40, 0, v40, s[14:15]
	v_add_co_u32_e64 v41, s[28:29], v41, v30
	v_addc_co_u32_e64 v40, s[28:29], v40, v31, s[28:29]
	v_cndmask_b32_e64 v41, 0, v41, s[12:13]
	v_cndmask_b32_e64 v40, 0, v40, s[12:13]
	v_add_co_u32_e64 v41, s[28:29], v41, v10
	v_addc_co_u32_e64 v40, s[28:29], v40, v11, s[28:29]
	v_cndmask_b32_e64 v41, 0, v41, s[10:11]
	v_cndmask_b32_e64 v40, 0, v40, s[10:11]
	v_add_co_u32_e64 v41, s[28:29], v41, v32
	v_addc_co_u32_e64 v40, s[28:29], v40, v33, s[28:29]
	v_cndmask_b32_e64 v41, 0, v41, s[8:9]
	v_cndmask_b32_e64 v40, 0, v40, s[8:9]
	v_add_co_u32_e64 v41, s[28:29], v41, v12
	v_addc_co_u32_e64 v40, s[28:29], v40, v13, s[28:29]
	v_cndmask_b32_e64 v41, 0, v41, s[6:7]
	v_cndmask_b32_e64 v40, 0, v40, s[6:7]
	v_add_co_u32_e64 v41, s[28:29], v41, v28
	v_addc_co_u32_e64 v40, s[28:29], v40, v29, s[28:29]
	v_cndmask_b32_e64 v41, 0, v41, s[4:5]
	v_add3_u32 v42, v92, v84, v83
	v_cndmask_b32_e64 v40, 0, v40, s[4:5]
	v_add_co_u32_e64 v41, s[28:29], v41, v6
	v_add3_u32 v42, v42, v82, v81
	v_addc_co_u32_e64 v40, s[28:29], v40, v7, s[28:29]
	v_cndmask_b32_e64 v41, 0, v41, s[2:3]
	v_add3_u32 v42, v42, v80, v79
	v_cndmask_b32_e64 v40, 0, v40, s[2:3]
	v_add_co_u32_e64 v41, s[28:29], v41, v26
	v_add3_u32 v42, v42, v78, v77
	v_addc_co_u32_e64 v40, s[28:29], v40, v27, s[28:29]
	v_cndmask_b32_e32 v41, 0, v41, vcc
	v_add3_u32 v44, v42, v76, v25
	v_cndmask_b32_e32 v40, 0, v40, vcc
	v_add_co_u32_e32 v42, vcc, v41, v8
	v_mbcnt_hi_u32_b32 v45, -1, v91
	v_addc_co_u32_e32 v43, vcc, v40, v9, vcc
	v_and_b32_e32 v40, 15, v45
	v_mov_b32_dpp v46, v44 row_shr:1 row_mask:0xf bank_mask:0xf
	v_mov_b32_dpp v41, v42 row_shr:1 row_mask:0xf bank_mask:0xf
	;; [unrolled: 1-line block ×3, first 2 shown]
	v_cmp_ne_u32_e32 vcc, 0, v40
	s_and_saveexec_b64 s[28:29], vcc
; %bb.61:
	v_cmp_eq_u32_e32 vcc, 0, v44
	v_cndmask_b32_e32 v41, 0, v41, vcc
	v_add_u32_e32 v46, v46, v44
	v_cndmask_b32_e32 v44, 0, v47, vcc
	v_add_co_u32_e32 v42, vcc, v41, v42
	v_addc_co_u32_e32 v43, vcc, v44, v43, vcc
	v_mov_b32_e32 v44, v46
; %bb.62:
	s_or_b64 exec, exec, s[28:29]
	s_nop 0
	v_mov_b32_dpp v46, v44 row_shr:2 row_mask:0xf bank_mask:0xf
	v_mov_b32_dpp v41, v42 row_shr:2 row_mask:0xf bank_mask:0xf
	v_mov_b32_dpp v47, v43 row_shr:2 row_mask:0xf bank_mask:0xf
	v_cmp_lt_u32_e32 vcc, 1, v40
	s_and_saveexec_b64 s[28:29], vcc
; %bb.63:
	v_cmp_eq_u32_e32 vcc, 0, v44
	v_cndmask_b32_e32 v41, 0, v41, vcc
	v_add_u32_e32 v46, v46, v44
	v_cndmask_b32_e32 v44, 0, v47, vcc
	v_add_co_u32_e32 v42, vcc, v41, v42
	v_addc_co_u32_e32 v43, vcc, v44, v43, vcc
	v_mov_b32_e32 v44, v46
; %bb.64:
	s_or_b64 exec, exec, s[28:29]
	s_nop 0
	v_mov_b32_dpp v46, v44 row_shr:4 row_mask:0xf bank_mask:0xf
	v_mov_b32_dpp v41, v42 row_shr:4 row_mask:0xf bank_mask:0xf
	v_mov_b32_dpp v47, v43 row_shr:4 row_mask:0xf bank_mask:0xf
	v_cmp_lt_u32_e32 vcc, 3, v40
	;; [unrolled: 16-line block ×3, first 2 shown]
	s_and_saveexec_b64 s[28:29], vcc
; %bb.67:
	v_cmp_eq_u32_e32 vcc, 0, v44
	v_cndmask_b32_e32 v41, 0, v41, vcc
	v_add_u32_e32 v40, v46, v44
	v_cndmask_b32_e32 v44, 0, v47, vcc
	v_add_co_u32_e32 v42, vcc, v41, v42
	v_addc_co_u32_e32 v43, vcc, v44, v43, vcc
	v_mov_b32_e32 v44, v40
; %bb.68:
	s_or_b64 exec, exec, s[28:29]
	v_and_b32_e32 v47, 16, v45
	v_mov_b32_dpp v41, v44 row_bcast:15 row_mask:0xf bank_mask:0xf
	v_mov_b32_dpp v40, v42 row_bcast:15 row_mask:0xf bank_mask:0xf
	;; [unrolled: 1-line block ×3, first 2 shown]
	v_cmp_ne_u32_e32 vcc, 0, v47
	s_and_saveexec_b64 s[28:29], vcc
; %bb.69:
	v_cmp_eq_u32_e32 vcc, 0, v44
	v_cndmask_b32_e32 v40, 0, v40, vcc
	v_add_u32_e32 v41, v41, v44
	v_cndmask_b32_e32 v44, 0, v46, vcc
	v_add_co_u32_e32 v42, vcc, v40, v42
	v_addc_co_u32_e32 v43, vcc, v44, v43, vcc
	v_mov_b32_e32 v44, v41
; %bb.70:
	s_or_b64 exec, exec, s[28:29]
	s_nop 0
	v_mov_b32_dpp v41, v44 row_bcast:31 row_mask:0xf bank_mask:0xf
	v_mov_b32_dpp v40, v42 row_bcast:31 row_mask:0xf bank_mask:0xf
	;; [unrolled: 1-line block ×3, first 2 shown]
	v_cmp_lt_u32_e32 vcc, 31, v45
	s_and_saveexec_b64 s[28:29], vcc
; %bb.71:
	v_cmp_eq_u32_e32 vcc, 0, v44
	v_cndmask_b32_e32 v40, 0, v40, vcc
	v_add_u32_e32 v41, v41, v44
	v_cndmask_b32_e32 v44, 0, v46, vcc
	v_add_co_u32_e32 v42, vcc, v40, v42
	v_addc_co_u32_e32 v43, vcc, v44, v43, vcc
	v_mov_b32_e32 v44, v41
; %bb.72:
	s_or_b64 exec, exec, s[28:29]
	v_lshrrev_b32_e32 v40, 6, v0
	v_or_b32_e32 v41, 63, v0
	v_cmp_eq_u32_e32 vcc, v41, v0
	v_lshlrev_b32_e32 v46, 4, v40
	s_and_saveexec_b64 s[28:29], vcc
	s_cbranch_execz .LBB1481_74
; %bb.73:
	ds_write_b32 v46, v44 offset:1056
	ds_write_b64 v46, v[42:43] offset:1064
.LBB1481_74:
	s_or_b64 exec, exec, s[28:29]
	v_cmp_gt_u32_e32 vcc, 4, v0
	s_waitcnt lgkmcnt(0)
	s_barrier
	s_and_saveexec_b64 s[28:29], vcc
	s_cbranch_execz .LBB1481_80
; %bb.75:
	v_lshlrev_b32_e32 v47, 4, v0
	ds_read_b32 v48, v47 offset:1056
	ds_read_b64 v[40:41], v47 offset:1064
	v_and_b32_e32 v49, 3, v45
	v_cmp_ne_u32_e32 vcc, 0, v49
	s_waitcnt lgkmcnt(1)
	v_mov_b32_dpp v51, v48 row_shr:1 row_mask:0xf bank_mask:0xf
	s_waitcnt lgkmcnt(0)
	v_mov_b32_dpp v50, v40 row_shr:1 row_mask:0xf bank_mask:0xf
	v_mov_b32_dpp v52, v41 row_shr:1 row_mask:0xf bank_mask:0xf
	s_and_saveexec_b64 s[42:43], vcc
; %bb.76:
	v_cmp_eq_u32_e32 vcc, 0, v48
	v_cndmask_b32_e32 v50, 0, v50, vcc
	v_add_u32_e32 v51, v51, v48
	v_cndmask_b32_e32 v48, 0, v52, vcc
	v_add_co_u32_e32 v40, vcc, v50, v40
	v_addc_co_u32_e32 v41, vcc, v48, v41, vcc
	v_mov_b32_e32 v48, v51
; %bb.77:
	s_or_b64 exec, exec, s[42:43]
	s_nop 0
	v_mov_b32_dpp v51, v48 row_shr:2 row_mask:0xf bank_mask:0xf
	v_mov_b32_dpp v50, v40 row_shr:2 row_mask:0xf bank_mask:0xf
	;; [unrolled: 1-line block ×3, first 2 shown]
	v_cmp_lt_u32_e32 vcc, 1, v49
	s_and_saveexec_b64 s[42:43], vcc
; %bb.78:
	v_cmp_eq_u32_e32 vcc, 0, v48
	v_cndmask_b32_e32 v50, 0, v50, vcc
	v_add_u32_e32 v49, v51, v48
	v_cndmask_b32_e32 v48, 0, v52, vcc
	v_add_co_u32_e32 v40, vcc, v50, v40
	v_addc_co_u32_e32 v41, vcc, v48, v41, vcc
	v_mov_b32_e32 v48, v49
; %bb.79:
	s_or_b64 exec, exec, s[42:43]
	ds_write_b32 v47, v48 offset:1056
	ds_write_b64 v47, v[40:41] offset:1064
.LBB1481_80:
	s_or_b64 exec, exec, s[28:29]
	v_cmp_gt_u32_e32 vcc, 64, v0
	v_cmp_lt_u32_e64 s[28:29], 63, v0
	v_pk_mov_b32 v[40:41], 0, 0
	v_mov_b32_e32 v52, 0
	s_waitcnt lgkmcnt(0)
	s_barrier
	s_and_saveexec_b64 s[42:43], s[28:29]
	s_cbranch_execz .LBB1481_82
; %bb.81:
	ds_read_b32 v52, v46 offset:1040
	ds_read_b64 v[40:41], v46 offset:1048
	v_cmp_eq_u32_e64 s[28:29], 0, v44
	s_waitcnt lgkmcnt(1)
	v_add_u32_e32 v46, v52, v44
	s_waitcnt lgkmcnt(0)
	v_cndmask_b32_e64 v47, 0, v40, s[28:29]
	v_cndmask_b32_e64 v44, 0, v41, s[28:29]
	v_add_co_u32_e64 v42, s[28:29], v47, v42
	v_addc_co_u32_e64 v43, s[28:29], v44, v43, s[28:29]
	v_mov_b32_e32 v44, v46
.LBB1481_82:
	s_or_b64 exec, exec, s[42:43]
	v_add_u32_e32 v46, -1, v45
	v_and_b32_e32 v47, 64, v45
	v_cmp_lt_i32_e64 s[28:29], v46, v47
	v_cndmask_b32_e64 v46, v46, v45, s[28:29]
	v_lshlrev_b32_e32 v46, 2, v46
	ds_bpermute_b32 v53, v46, v44
	ds_bpermute_b32 v54, v46, v42
	;; [unrolled: 1-line block ×3, first 2 shown]
	v_cmp_eq_u32_e64 s[28:29], 0, v45
	s_and_saveexec_b64 s[42:43], vcc
	s_cbranch_execz .LBB1481_129
; %bb.83:
	v_mov_b32_e32 v47, 0
	ds_read_b32 v56, v47 offset:1104
	ds_read_b64 v[42:43], v47 offset:1112
	s_and_saveexec_b64 s[48:49], s[28:29]
	s_cbranch_execz .LBB1481_85
; %bb.84:
	s_add_i32 s58, s62, 64
	s_mov_b32 s59, 0
	s_lshl_b64 s[60:61], s[58:59], 4
	s_add_u32 s60, s36, s60
	s_addc_u32 s61, s37, s61
	v_mov_b32_e32 v44, s58
	v_mov_b32_e32 v46, 1
	s_waitcnt lgkmcnt(1)
	global_store_dword v47, v56, s[60:61]
	s_waitcnt lgkmcnt(0)
	global_store_dwordx2 v47, v[42:43], s[60:61] offset:8
	s_waitcnt vmcnt(0)
	buffer_wbinvl1_vol
	global_store_byte v44, v46, s[40:41]
.LBB1481_85:
	s_or_b64 exec, exec, s[48:49]
	v_xad_u32 v44, v45, -1, s62
	v_add_u32_e32 v46, 64, v44
	global_load_ubyte v57, v46, s[40:41] glc
	s_waitcnt vmcnt(0)
	v_cmp_eq_u16_e32 vcc, 0, v57
	s_and_saveexec_b64 s[48:49], vcc
	s_cbranch_execz .LBB1481_91
; %bb.86:
	v_mov_b32_e32 v49, s41
	v_add_co_u32_e32 v48, vcc, s40, v46
	v_addc_co_u32_e32 v49, vcc, 0, v49, vcc
	s_mov_b32 s60, 1
	s_mov_b64 s[58:59], 0
.LBB1481_87:                            ; =>This Loop Header: Depth=1
                                        ;     Child Loop BB1481_88 Depth 2
	s_max_u32 s61, s60, 1
.LBB1481_88:                            ;   Parent Loop BB1481_87 Depth=1
                                        ; =>  This Inner Loop Header: Depth=2
	s_add_i32 s61, s61, -1
	s_cmp_eq_u32 s61, 0
	s_sleep 1
	s_cbranch_scc0 .LBB1481_88
; %bb.89:                               ;   in Loop: Header=BB1481_87 Depth=1
	global_load_ubyte v57, v[48:49], off glc
	s_cmp_lt_u32 s60, 32
	s_cselect_b64 s[64:65], -1, 0
	s_cmp_lg_u64 s[64:65], 0
	s_addc_u32 s60, s60, 0
	s_waitcnt vmcnt(0)
	v_cmp_ne_u16_e32 vcc, 0, v57
	s_or_b64 s[58:59], vcc, s[58:59]
	s_andn2_b64 exec, exec, s[58:59]
	s_cbranch_execnz .LBB1481_87
; %bb.90:
	s_or_b64 exec, exec, s[58:59]
.LBB1481_91:
	s_or_b64 exec, exec, s[48:49]
	v_mov_b32_e32 v48, s39
	v_mov_b32_e32 v49, s37
	v_cmp_eq_u16_e32 vcc, 1, v57
	v_cndmask_b32_e32 v48, v48, v49, vcc
	v_mov_b32_e32 v49, s38
	v_mov_b32_e32 v50, s36
	v_cndmask_b32_e32 v49, v49, v50, vcc
	v_lshlrev_b64 v[46:47], 4, v[46:47]
	v_add_co_u32_e32 v46, vcc, v49, v46
	v_addc_co_u32_e32 v47, vcc, v48, v47, vcc
	s_waitcnt lgkmcnt(0)
	buffer_wbinvl1_vol
	global_load_dword v72, v[46:47], off
	global_load_dwordx2 v[50:51], v[46:47], off offset:8
	v_cmp_eq_u16_e32 vcc, 2, v57
	v_lshlrev_b64 v[46:47], v45, -1
	v_and_b32_e32 v58, 63, v45
	v_and_b32_e32 v48, vcc_hi, v47
	v_and_b32_e32 v62, vcc_lo, v46
	v_cmp_ne_u32_e32 vcc, 63, v58
	v_addc_co_u32_e32 v49, vcc, 0, v45, vcc
	v_lshlrev_b32_e32 v59, 2, v49
	v_or_b32_e32 v48, 0x80000000, v48
	v_ffbl_b32_e32 v48, v48
	v_add_u32_e32 v48, 32, v48
	v_ffbl_b32_e32 v62, v62
	v_min_u32_e32 v48, v62, v48
	v_cmp_lt_u32_e32 vcc, v58, v48
	s_waitcnt vmcnt(1)
	ds_bpermute_b32 v60, v59, v72
	s_waitcnt vmcnt(0)
	ds_bpermute_b32 v49, v59, v50
	ds_bpermute_b32 v61, v59, v51
	s_and_saveexec_b64 s[48:49], vcc
	s_cbranch_execz .LBB1481_93
; %bb.92:
	v_cmp_eq_u32_e32 vcc, 0, v72
	s_waitcnt lgkmcnt(1)
	v_cndmask_b32_e32 v49, 0, v49, vcc
	v_add_u32_e32 v60, v60, v72
	s_waitcnt lgkmcnt(0)
	v_cndmask_b32_e32 v61, 0, v61, vcc
	v_add_co_u32_e32 v50, vcc, v49, v50
	v_addc_co_u32_e32 v51, vcc, v61, v51, vcc
	v_mov_b32_e32 v72, v60
.LBB1481_93:
	s_or_b64 exec, exec, s[48:49]
	v_cmp_gt_u32_e32 vcc, 62, v58
	s_waitcnt lgkmcnt(1)
	v_cndmask_b32_e64 v49, 0, 1, vcc
	v_lshlrev_b32_e32 v49, 1, v49
	v_add_lshl_u32 v60, v49, v45, 2
	ds_bpermute_b32 v62, v60, v72
	ds_bpermute_b32 v49, v60, v50
	ds_bpermute_b32 v63, v60, v51
	s_waitcnt lgkmcnt(3)
	v_add_u32_e32 v61, 2, v58
	v_cmp_le_u32_e32 vcc, v61, v48
	s_and_saveexec_b64 s[48:49], vcc
	s_cbranch_execz .LBB1481_95
; %bb.94:
	v_cmp_eq_u32_e32 vcc, 0, v72
	s_waitcnt lgkmcnt(1)
	v_cndmask_b32_e32 v49, 0, v49, vcc
	v_add_u32_e32 v62, v62, v72
	s_waitcnt lgkmcnt(0)
	v_cndmask_b32_e32 v63, 0, v63, vcc
	v_add_co_u32_e32 v50, vcc, v49, v50
	v_addc_co_u32_e32 v51, vcc, v63, v51, vcc
	v_mov_b32_e32 v72, v62
.LBB1481_95:
	s_or_b64 exec, exec, s[48:49]
	v_cmp_gt_u32_e32 vcc, 60, v58
	s_waitcnt lgkmcnt(1)
	v_cndmask_b32_e64 v49, 0, 1, vcc
	v_lshlrev_b32_e32 v49, 2, v49
	v_add_lshl_u32 v62, v49, v45, 2
	ds_bpermute_b32 v64, v62, v72
	ds_bpermute_b32 v49, v62, v50
	ds_bpermute_b32 v65, v62, v51
	s_waitcnt lgkmcnt(3)
	v_add_u32_e32 v63, 4, v58
	v_cmp_le_u32_e32 vcc, v63, v48
	s_and_saveexec_b64 s[48:49], vcc
	s_cbranch_execz .LBB1481_97
; %bb.96:
	v_cmp_eq_u32_e32 vcc, 0, v72
	s_waitcnt lgkmcnt(1)
	v_cndmask_b32_e32 v49, 0, v49, vcc
	v_add_u32_e32 v64, v64, v72
	s_waitcnt lgkmcnt(0)
	v_cndmask_b32_e32 v65, 0, v65, vcc
	v_add_co_u32_e32 v50, vcc, v49, v50
	v_addc_co_u32_e32 v51, vcc, v65, v51, vcc
	v_mov_b32_e32 v72, v64
.LBB1481_97:
	s_or_b64 exec, exec, s[48:49]
	v_cmp_gt_u32_e32 vcc, 56, v58
	s_waitcnt lgkmcnt(1)
	v_cndmask_b32_e64 v49, 0, 1, vcc
	v_lshlrev_b32_e32 v49, 3, v49
	v_add_lshl_u32 v64, v49, v45, 2
	ds_bpermute_b32 v66, v64, v72
	ds_bpermute_b32 v49, v64, v50
	ds_bpermute_b32 v67, v64, v51
	s_waitcnt lgkmcnt(3)
	v_add_u32_e32 v65, 8, v58
	v_cmp_le_u32_e32 vcc, v65, v48
	s_and_saveexec_b64 s[48:49], vcc
	s_cbranch_execz .LBB1481_99
; %bb.98:
	v_cmp_eq_u32_e32 vcc, 0, v72
	s_waitcnt lgkmcnt(1)
	v_cndmask_b32_e32 v49, 0, v49, vcc
	v_add_u32_e32 v66, v66, v72
	s_waitcnt lgkmcnt(0)
	v_cndmask_b32_e32 v67, 0, v67, vcc
	v_add_co_u32_e32 v50, vcc, v49, v50
	v_addc_co_u32_e32 v51, vcc, v67, v51, vcc
	v_mov_b32_e32 v72, v66
.LBB1481_99:
	s_or_b64 exec, exec, s[48:49]
	v_cmp_gt_u32_e32 vcc, 48, v58
	s_waitcnt lgkmcnt(1)
	v_cndmask_b32_e64 v49, 0, 1, vcc
	v_lshlrev_b32_e32 v49, 4, v49
	v_add_lshl_u32 v66, v49, v45, 2
	ds_bpermute_b32 v68, v66, v72
	ds_bpermute_b32 v49, v66, v50
	ds_bpermute_b32 v69, v66, v51
	s_waitcnt lgkmcnt(3)
	v_add_u32_e32 v67, 16, v58
	v_cmp_le_u32_e32 vcc, v67, v48
	s_and_saveexec_b64 s[48:49], vcc
	s_cbranch_execz .LBB1481_101
; %bb.100:
	v_cmp_eq_u32_e32 vcc, 0, v72
	s_waitcnt lgkmcnt(1)
	v_cndmask_b32_e32 v49, 0, v49, vcc
	v_add_u32_e32 v68, v68, v72
	s_waitcnt lgkmcnt(0)
	v_cndmask_b32_e32 v69, 0, v69, vcc
	v_add_co_u32_e32 v50, vcc, v49, v50
	v_addc_co_u32_e32 v51, vcc, v69, v51, vcc
	v_mov_b32_e32 v72, v68
.LBB1481_101:
	s_or_b64 exec, exec, s[48:49]
	v_cmp_gt_u32_e32 vcc, 32, v58
	s_waitcnt lgkmcnt(1)
	v_cndmask_b32_e64 v49, 0, 1, vcc
	v_lshlrev_b32_e32 v49, 5, v49
	v_add_lshl_u32 v68, v49, v45, 2
	ds_bpermute_b32 v49, v68, v72
	ds_bpermute_b32 v45, v68, v50
	s_waitcnt lgkmcnt(2)
	ds_bpermute_b32 v69, v68, v51
	v_add_u32_e32 v70, 32, v58
	v_cmp_le_u32_e32 vcc, v70, v48
	s_and_saveexec_b64 s[48:49], vcc
	s_cbranch_execz .LBB1481_103
; %bb.102:
	v_cmp_eq_u32_e32 vcc, 0, v72
	s_waitcnt lgkmcnt(1)
	v_cndmask_b32_e32 v45, 0, v45, vcc
	v_add_u32_e32 v48, v49, v72
	s_waitcnt lgkmcnt(0)
	v_cndmask_b32_e32 v49, 0, v69, vcc
	v_add_co_u32_e32 v50, vcc, v45, v50
	v_addc_co_u32_e32 v51, vcc, v49, v51, vcc
	v_mov_b32_e32 v72, v48
.LBB1481_103:
	s_or_b64 exec, exec, s[48:49]
	s_waitcnt lgkmcnt(1)
	v_mov_b32_e32 v45, 0
	v_mov_b32_e32 v71, 2
	s_branch .LBB1481_105
.LBB1481_104:                           ;   in Loop: Header=BB1481_105 Depth=1
	s_or_b64 exec, exec, s[48:49]
	v_cmp_eq_u32_e32 vcc, 0, v69
	v_cndmask_b32_e32 v50, 0, v50, vcc
	v_cndmask_b32_e32 v51, 0, v51, vcc
	v_add_co_u32_e32 v50, vcc, v50, v48
	v_subrev_u32_e32 v44, 64, v44
	v_add_u32_e32 v72, v73, v69
	v_addc_co_u32_e32 v51, vcc, v51, v49, vcc
.LBB1481_105:                           ; =>This Loop Header: Depth=1
                                        ;     Child Loop BB1481_108 Depth 2
                                        ;       Child Loop BB1481_109 Depth 3
	v_cmp_ne_u16_sdwa s[48:49], v57, v71 src0_sel:BYTE_0 src1_sel:DWORD
	v_pk_mov_b32 v[48:49], v[50:51], v[50:51] op_sel:[0,1]
	v_cndmask_b32_e64 v50, 0, 1, s[48:49]
	;;#ASMSTART
	;;#ASMEND
	v_cmp_ne_u32_e32 vcc, 0, v50
	s_cmp_lg_u64 vcc, exec
	s_waitcnt lgkmcnt(0)
	v_mov_b32_e32 v69, v72
	s_cbranch_scc1 .LBB1481_124
; %bb.106:                              ;   in Loop: Header=BB1481_105 Depth=1
	global_load_ubyte v57, v44, s[40:41] glc
	s_waitcnt vmcnt(0)
	v_cmp_eq_u16_e32 vcc, 0, v57
	s_and_saveexec_b64 s[48:49], vcc
	s_cbranch_execz .LBB1481_112
; %bb.107:                              ;   in Loop: Header=BB1481_105 Depth=1
	v_mov_b32_e32 v51, s41
	v_add_co_u32_e32 v50, vcc, s40, v44
	v_addc_co_u32_e32 v51, vcc, 0, v51, vcc
	s_mov_b32 s60, 1
	s_mov_b64 s[58:59], 0
.LBB1481_108:                           ;   Parent Loop BB1481_105 Depth=1
                                        ; =>  This Loop Header: Depth=2
                                        ;       Child Loop BB1481_109 Depth 3
	s_max_u32 s61, s60, 1
.LBB1481_109:                           ;   Parent Loop BB1481_105 Depth=1
                                        ;     Parent Loop BB1481_108 Depth=2
                                        ; =>    This Inner Loop Header: Depth=3
	s_add_i32 s61, s61, -1
	s_cmp_eq_u32 s61, 0
	s_sleep 1
	s_cbranch_scc0 .LBB1481_109
; %bb.110:                              ;   in Loop: Header=BB1481_108 Depth=2
	global_load_ubyte v57, v[50:51], off glc
	s_cmp_lt_u32 s60, 32
	s_cselect_b64 s[64:65], -1, 0
	s_cmp_lg_u64 s[64:65], 0
	s_addc_u32 s60, s60, 0
	s_waitcnt vmcnt(0)
	v_cmp_ne_u16_e32 vcc, 0, v57
	s_or_b64 s[58:59], vcc, s[58:59]
	s_andn2_b64 exec, exec, s[58:59]
	s_cbranch_execnz .LBB1481_108
; %bb.111:                              ;   in Loop: Header=BB1481_105 Depth=1
	s_or_b64 exec, exec, s[58:59]
.LBB1481_112:                           ;   in Loop: Header=BB1481_105 Depth=1
	s_or_b64 exec, exec, s[48:49]
	v_mov_b32_e32 v50, s39
	v_mov_b32_e32 v51, s37
	v_cmp_eq_u16_e32 vcc, 1, v57
	v_cndmask_b32_e32 v72, v50, v51, vcc
	v_mov_b32_e32 v50, s38
	v_mov_b32_e32 v51, s36
	v_cndmask_b32_e32 v73, v50, v51, vcc
	v_lshlrev_b64 v[50:51], 4, v[44:45]
	v_add_co_u32_e32 v50, vcc, v73, v50
	v_addc_co_u32_e32 v51, vcc, v72, v51, vcc
	buffer_wbinvl1_vol
	global_load_dword v73, v[50:51], off
	s_nop 0
	global_load_dwordx2 v[50:51], v[50:51], off offset:8
	v_cmp_eq_u16_e32 vcc, 2, v57
	v_and_b32_e32 v72, vcc_hi, v47
	v_or_b32_e32 v72, 0x80000000, v72
	v_and_b32_e32 v93, vcc_lo, v46
	v_ffbl_b32_e32 v72, v72
	v_add_u32_e32 v72, 32, v72
	v_ffbl_b32_e32 v93, v93
	v_min_u32_e32 v72, v93, v72
	v_cmp_lt_u32_e32 vcc, v58, v72
	s_waitcnt vmcnt(1)
	ds_bpermute_b32 v75, v59, v73
	s_waitcnt vmcnt(0)
	ds_bpermute_b32 v74, v59, v50
	ds_bpermute_b32 v90, v59, v51
	s_and_saveexec_b64 s[48:49], vcc
	s_cbranch_execz .LBB1481_114
; %bb.113:                              ;   in Loop: Header=BB1481_105 Depth=1
	v_cmp_eq_u32_e32 vcc, 0, v73
	s_waitcnt lgkmcnt(1)
	v_cndmask_b32_e32 v74, 0, v74, vcc
	v_add_u32_e32 v75, v75, v73
	s_waitcnt lgkmcnt(0)
	v_cndmask_b32_e32 v73, 0, v90, vcc
	v_add_co_u32_e32 v50, vcc, v74, v50
	v_addc_co_u32_e32 v51, vcc, v73, v51, vcc
	v_mov_b32_e32 v73, v75
.LBB1481_114:                           ;   in Loop: Header=BB1481_105 Depth=1
	s_or_b64 exec, exec, s[48:49]
	s_waitcnt lgkmcnt(2)
	ds_bpermute_b32 v75, v60, v73
	s_waitcnt lgkmcnt(2)
	ds_bpermute_b32 v74, v60, v50
	s_waitcnt lgkmcnt(2)
	ds_bpermute_b32 v90, v60, v51
	v_cmp_le_u32_e32 vcc, v61, v72
	s_and_saveexec_b64 s[48:49], vcc
	s_cbranch_execz .LBB1481_116
; %bb.115:                              ;   in Loop: Header=BB1481_105 Depth=1
	v_cmp_eq_u32_e32 vcc, 0, v73
	s_waitcnt lgkmcnt(1)
	v_cndmask_b32_e32 v74, 0, v74, vcc
	v_add_u32_e32 v75, v75, v73
	s_waitcnt lgkmcnt(0)
	v_cndmask_b32_e32 v73, 0, v90, vcc
	v_add_co_u32_e32 v50, vcc, v74, v50
	v_addc_co_u32_e32 v51, vcc, v73, v51, vcc
	v_mov_b32_e32 v73, v75
.LBB1481_116:                           ;   in Loop: Header=BB1481_105 Depth=1
	s_or_b64 exec, exec, s[48:49]
	s_waitcnt lgkmcnt(2)
	ds_bpermute_b32 v75, v62, v73
	s_waitcnt lgkmcnt(2)
	ds_bpermute_b32 v74, v62, v50
	s_waitcnt lgkmcnt(2)
	ds_bpermute_b32 v90, v62, v51
	v_cmp_le_u32_e32 vcc, v63, v72
	;; [unrolled: 21-line block ×5, first 2 shown]
	s_and_saveexec_b64 s[48:49], vcc
	s_cbranch_execz .LBB1481_104
; %bb.123:                              ;   in Loop: Header=BB1481_105 Depth=1
	v_cmp_eq_u32_e32 vcc, 0, v73
	s_waitcnt lgkmcnt(1)
	v_cndmask_b32_e32 v74, 0, v74, vcc
	v_add_u32_e32 v72, v75, v73
	s_waitcnt lgkmcnt(0)
	v_cndmask_b32_e32 v73, 0, v90, vcc
	v_add_co_u32_e32 v50, vcc, v74, v50
	v_addc_co_u32_e32 v51, vcc, v73, v51, vcc
	v_mov_b32_e32 v73, v72
	s_branch .LBB1481_104
.LBB1481_124:                           ;   in Loop: Header=BB1481_105 Depth=1
                                        ; implicit-def: $vgpr50_vgpr51
                                        ; implicit-def: $vgpr72
                                        ; implicit-def: $vgpr57
	s_cbranch_execz .LBB1481_105
; %bb.125:
	s_and_saveexec_b64 s[36:37], s[28:29]
	s_cbranch_execz .LBB1481_127
; %bb.126:
	s_mov_b32 s49, 0
	v_cmp_eq_u32_e32 vcc, 0, v56
	s_add_i32 s48, s62, 64
	v_cndmask_b32_e32 v44, 0, v48, vcc
	s_lshl_b64 s[58:59], s[48:49], 4
	v_cndmask_b32_e32 v45, 0, v49, vcc
	v_add_co_u32_e32 v44, vcc, v44, v42
	s_add_u32 s58, s38, s58
	v_add_u32_e32 v46, v69, v56
	v_addc_co_u32_e32 v45, vcc, v45, v43, vcc
	s_addc_u32 s59, s39, s59
	v_mov_b32_e32 v47, 0
	global_store_dword v47, v46, s[58:59]
	global_store_dwordx2 v47, v[44:45], s[58:59] offset:8
	v_mov_b32_e32 v44, s48
	v_mov_b32_e32 v45, 2
	s_waitcnt vmcnt(0) lgkmcnt(0)
	buffer_wbinvl1_vol
	global_store_byte v44, v45, s[40:41]
	ds_write_b32 v47, v56 offset:1024
	ds_write_b64 v47, v[42:43] offset:1032
	ds_write_b32 v47, v69 offset:1040
	ds_write_b64 v47, v[48:49] offset:1048
.LBB1481_127:
	s_or_b64 exec, exec, s[36:37]
	s_and_b64 exec, exec, s[0:1]
	s_cbranch_execz .LBB1481_129
; %bb.128:
	v_mov_b32_e32 v42, 0
	ds_write_b32 v42, v69 offset:1104
	ds_write_b64 v42, v[48:49] offset:1112
.LBB1481_129:
	s_or_b64 exec, exec, s[42:43]
	v_mov_b32_e32 v45, 0
	s_waitcnt lgkmcnt(0)
	s_barrier
	ds_read_b32 v44, v45 offset:1104
	ds_read_b64 v[42:43], v45 offset:1112
	v_cndmask_b32_e64 v46, v53, v52, s[28:29]
	v_cmp_eq_u32_e32 vcc, 0, v46
	v_cndmask_b32_e64 v40, v54, v40, s[28:29]
	v_cndmask_b32_e64 v41, v55, v41, s[28:29]
	s_waitcnt lgkmcnt(0)
	v_cndmask_b32_e32 v48, 0, v42, vcc
	v_cndmask_b32_e32 v47, 0, v43, vcc
	v_add_co_u32_e32 v40, vcc, v48, v40
	v_addc_co_u32_e32 v41, vcc, v47, v41, vcc
	v_cndmask_b32_e64 v70, v40, v42, s[0:1]
	v_cmp_eq_u32_e32 vcc, 0, v89
	v_cndmask_b32_e64 v46, v46, 0, s[0:1]
	v_cndmask_b32_e64 v71, v41, v43, s[0:1]
	v_cndmask_b32_e32 v41, 0, v70, vcc
	v_add_u32_e32 v90, v44, v46
	v_cndmask_b32_e32 v40, 0, v71, vcc
	v_add_co_u32_e32 v46, vcc, v41, v18
	v_addc_co_u32_e32 v47, vcc, v40, v19, vcc
	v_cndmask_b32_e64 v41, 0, v46, s[26:27]
	v_cndmask_b32_e64 v40, 0, v47, s[26:27]
	v_add_co_u32_e32 v48, vcc, v41, v38
	v_addc_co_u32_e32 v49, vcc, v40, v39, vcc
	v_cndmask_b32_e64 v41, 0, v48, s[24:25]
	v_cndmask_b32_e64 v40, 0, v49, s[24:25]
	;; [unrolled: 4-line block ×11, first 2 shown]
	v_add_co_u32_e32 v68, vcc, v41, v28
	v_addc_co_u32_e32 v69, vcc, v40, v29, vcc
	s_barrier
	ds_read_b32 v40, v45 offset:1024
	ds_read_b64 v[42:43], v45 offset:1032
	ds_read_b32 v44, v45 offset:1040
	ds_read_b64 v[94:95], v45 offset:1048
	v_cndmask_b32_e64 v72, 0, v68, s[4:5]
	v_cndmask_b32_e64 v41, 0, v69, s[4:5]
	v_add_co_u32_e32 v72, vcc, v72, v6
	v_addc_co_u32_e32 v73, vcc, v41, v7, vcc
	s_waitcnt lgkmcnt(3)
	v_cmp_eq_u32_e32 vcc, 0, v40
	s_waitcnt lgkmcnt(0)
	v_cndmask_b32_e32 v45, 0, v94, vcc
	v_cndmask_b32_e32 v41, 0, v95, vcc
	v_add_co_u32_e32 v42, vcc, v45, v42
	v_cndmask_b32_e64 v75, 0, v73, s[2:3]
	v_cndmask_b32_e64 v74, 0, v72, s[2:3]
	v_addc_co_u32_e32 v43, vcc, v41, v43, vcc
	s_branch .LBB1481_158
.LBB1481_130:
                                        ; implicit-def: $vgpr40
                                        ; implicit-def: $vgpr42_vgpr43
                                        ; implicit-def: $vgpr44
                                        ; implicit-def: $vgpr70_vgpr71
                                        ; implicit-def: $vgpr46_vgpr47
                                        ; implicit-def: $vgpr48_vgpr49
                                        ; implicit-def: $vgpr50_vgpr51
                                        ; implicit-def: $vgpr52_vgpr53
                                        ; implicit-def: $vgpr54_vgpr55
                                        ; implicit-def: $vgpr56_vgpr57
                                        ; implicit-def: $vgpr58_vgpr59
                                        ; implicit-def: $vgpr60_vgpr61
                                        ; implicit-def: $vgpr62_vgpr63
                                        ; implicit-def: $vgpr64_vgpr65
                                        ; implicit-def: $vgpr66_vgpr67
                                        ; implicit-def: $vgpr68_vgpr69
                                        ; implicit-def: $vgpr72_vgpr73
                                        ; implicit-def: $vgpr74_vgpr75
                                        ; implicit-def: $vgpr90
	s_cbranch_execz .LBB1481_158
; %bb.131:
	s_and_b64 s[2:3], s[34:35], exec
	s_cselect_b32 s3, 0, s31
	s_cselect_b32 s2, 0, s30
	s_cmp_eq_u64 s[2:3], 0
	v_pk_mov_b32 v[44:45], v[18:19], v[18:19] op_sel:[0,1]
	s_cbranch_scc1 .LBB1481_133
; %bb.132:
	v_mov_b32_e32 v40, 0
	global_load_dwordx2 v[44:45], v40, s[2:3]
.LBB1481_133:
	v_cmp_eq_u32_e64 s[24:25], 0, v88
	v_cndmask_b32_e64 v41, 0, v18, s[24:25]
	v_cndmask_b32_e64 v40, 0, v19, s[24:25]
	v_add_co_u32_e32 v41, vcc, v41, v38
	v_cmp_eq_u32_e64 s[22:23], 0, v87
	v_addc_co_u32_e32 v40, vcc, v40, v39, vcc
	v_cndmask_b32_e64 v41, 0, v41, s[22:23]
	v_cndmask_b32_e64 v40, 0, v40, s[22:23]
	v_add_co_u32_e32 v41, vcc, v41, v20
	v_cmp_eq_u32_e64 s[20:21], 0, v86
	v_addc_co_u32_e32 v40, vcc, v40, v21, vcc
	;; [unrolled: 5-line block ×11, first 2 shown]
	v_cndmask_b32_e64 v41, 0, v41, s[4:5]
	v_cndmask_b32_e64 v40, 0, v40, s[4:5]
	v_add_co_u32_e32 v41, vcc, v41, v6
	v_addc_co_u32_e32 v40, vcc, v40, v7, vcc
	v_cmp_eq_u32_e32 vcc, 0, v76
	v_cndmask_b32_e32 v41, 0, v41, vcc
	v_add3_u32 v42, v92, v84, v83
	v_cndmask_b32_e32 v40, 0, v40, vcc
	v_add_co_u32_e64 v41, s[26:27], v41, v26
	v_add3_u32 v42, v42, v82, v81
	v_addc_co_u32_e64 v40, s[26:27], v40, v27, s[26:27]
	v_add3_u32 v42, v42, v80, v79
	v_cmp_eq_u32_e64 s[26:27], 0, v25
	v_add3_u32 v42, v42, v78, v77
	v_cndmask_b32_e64 v41, 0, v41, s[26:27]
	v_add3_u32 v43, v42, v76, v25
	v_cndmask_b32_e64 v40, 0, v40, s[26:27]
	v_add_co_u32_e64 v8, s[26:27], v41, v8
	v_mbcnt_hi_u32_b32 v42, -1, v91
	v_addc_co_u32_e64 v9, s[26:27], v40, v9, s[26:27]
	v_and_b32_e32 v40, 15, v42
	v_mov_b32_dpp v46, v43 row_shr:1 row_mask:0xf bank_mask:0xf
	v_mov_b32_dpp v41, v8 row_shr:1 row_mask:0xf bank_mask:0xf
	;; [unrolled: 1-line block ×3, first 2 shown]
	v_cmp_ne_u32_e64 s[26:27], 0, v40
	s_and_saveexec_b64 s[28:29], s[26:27]
; %bb.134:
	v_cmp_eq_u32_e64 s[26:27], 0, v43
	v_cndmask_b32_e64 v41, 0, v41, s[26:27]
	v_add_u32_e32 v46, v46, v43
	v_cndmask_b32_e64 v43, 0, v47, s[26:27]
	v_add_co_u32_e64 v8, s[26:27], v41, v8
	v_addc_co_u32_e64 v9, s[26:27], v43, v9, s[26:27]
	v_mov_b32_e32 v43, v46
; %bb.135:
	s_or_b64 exec, exec, s[28:29]
	s_nop 0
	v_mov_b32_dpp v46, v43 row_shr:2 row_mask:0xf bank_mask:0xf
	v_mov_b32_dpp v41, v8 row_shr:2 row_mask:0xf bank_mask:0xf
	v_mov_b32_dpp v47, v9 row_shr:2 row_mask:0xf bank_mask:0xf
	v_cmp_lt_u32_e64 s[26:27], 1, v40
	s_and_saveexec_b64 s[28:29], s[26:27]
; %bb.136:
	v_cmp_eq_u32_e64 s[26:27], 0, v43
	v_cndmask_b32_e64 v41, 0, v41, s[26:27]
	v_add_u32_e32 v46, v46, v43
	v_cndmask_b32_e64 v43, 0, v47, s[26:27]
	v_add_co_u32_e64 v8, s[26:27], v41, v8
	v_addc_co_u32_e64 v9, s[26:27], v43, v9, s[26:27]
	v_mov_b32_e32 v43, v46
; %bb.137:
	s_or_b64 exec, exec, s[28:29]
	s_nop 0
	v_mov_b32_dpp v46, v43 row_shr:4 row_mask:0xf bank_mask:0xf
	v_mov_b32_dpp v41, v8 row_shr:4 row_mask:0xf bank_mask:0xf
	v_mov_b32_dpp v47, v9 row_shr:4 row_mask:0xf bank_mask:0xf
	v_cmp_lt_u32_e64 s[26:27], 3, v40
	;; [unrolled: 16-line block ×3, first 2 shown]
	s_and_saveexec_b64 s[28:29], s[26:27]
; %bb.140:
	v_cmp_eq_u32_e64 s[26:27], 0, v43
	v_cndmask_b32_e64 v41, 0, v41, s[26:27]
	v_add_u32_e32 v40, v46, v43
	v_cndmask_b32_e64 v43, 0, v47, s[26:27]
	v_add_co_u32_e64 v8, s[26:27], v41, v8
	v_addc_co_u32_e64 v9, s[26:27], v43, v9, s[26:27]
	v_mov_b32_e32 v43, v40
; %bb.141:
	s_or_b64 exec, exec, s[28:29]
	v_and_b32_e32 v47, 16, v42
	v_mov_b32_dpp v41, v43 row_bcast:15 row_mask:0xf bank_mask:0xf
	v_mov_b32_dpp v40, v8 row_bcast:15 row_mask:0xf bank_mask:0xf
	;; [unrolled: 1-line block ×3, first 2 shown]
	v_cmp_ne_u32_e64 s[26:27], 0, v47
	s_and_saveexec_b64 s[28:29], s[26:27]
; %bb.142:
	v_cmp_eq_u32_e64 s[26:27], 0, v43
	v_cndmask_b32_e64 v40, 0, v40, s[26:27]
	v_add_u32_e32 v41, v41, v43
	v_cndmask_b32_e64 v43, 0, v46, s[26:27]
	v_add_co_u32_e64 v8, s[26:27], v40, v8
	v_addc_co_u32_e64 v9, s[26:27], v43, v9, s[26:27]
	v_mov_b32_e32 v43, v41
; %bb.143:
	s_or_b64 exec, exec, s[28:29]
	s_nop 0
	v_mov_b32_dpp v41, v43 row_bcast:31 row_mask:0xf bank_mask:0xf
	v_mov_b32_dpp v40, v8 row_bcast:31 row_mask:0xf bank_mask:0xf
	;; [unrolled: 1-line block ×3, first 2 shown]
	v_cmp_lt_u32_e64 s[26:27], 31, v42
	s_and_saveexec_b64 s[28:29], s[26:27]
; %bb.144:
	v_cmp_eq_u32_e64 s[26:27], 0, v43
	v_cndmask_b32_e64 v40, 0, v40, s[26:27]
	v_add_u32_e32 v41, v41, v43
	v_cndmask_b32_e64 v43, 0, v46, s[26:27]
	v_add_co_u32_e64 v8, s[26:27], v40, v8
	v_addc_co_u32_e64 v9, s[26:27], v43, v9, s[26:27]
	v_mov_b32_e32 v43, v41
; %bb.145:
	s_or_b64 exec, exec, s[28:29]
	v_or_b32_e32 v40, 63, v0
	v_lshrrev_b32_e32 v46, 6, v0
	v_cmp_eq_u32_e64 s[26:27], v40, v0
	s_and_saveexec_b64 s[28:29], s[26:27]
	s_cbranch_execz .LBB1481_147
; %bb.146:
	v_lshlrev_b32_e32 v40, 4, v46
	ds_write_b32 v40, v43 offset:1056
	ds_write_b64 v40, v[8:9] offset:1064
.LBB1481_147:
	s_or_b64 exec, exec, s[28:29]
	v_cmp_gt_u32_e64 s[26:27], 4, v0
	s_waitcnt lgkmcnt(0)
	s_barrier
	s_and_saveexec_b64 s[28:29], s[26:27]
	s_cbranch_execz .LBB1481_153
; %bb.148:
	v_lshlrev_b32_e32 v47, 4, v0
	ds_read_b32 v48, v47 offset:1056
	ds_read_b64 v[40:41], v47 offset:1064
	v_and_b32_e32 v49, 3, v42
	v_cmp_ne_u32_e64 s[26:27], 0, v49
	s_waitcnt lgkmcnt(1)
	v_mov_b32_dpp v51, v48 row_shr:1 row_mask:0xf bank_mask:0xf
	s_waitcnt lgkmcnt(0)
	v_mov_b32_dpp v50, v40 row_shr:1 row_mask:0xf bank_mask:0xf
	v_mov_b32_dpp v52, v41 row_shr:1 row_mask:0xf bank_mask:0xf
	s_and_saveexec_b64 s[30:31], s[26:27]
; %bb.149:
	v_cmp_eq_u32_e64 s[26:27], 0, v48
	v_cndmask_b32_e64 v50, 0, v50, s[26:27]
	v_add_u32_e32 v51, v51, v48
	v_cndmask_b32_e64 v48, 0, v52, s[26:27]
	v_add_co_u32_e64 v40, s[26:27], v50, v40
	v_addc_co_u32_e64 v41, s[26:27], v48, v41, s[26:27]
	v_mov_b32_e32 v48, v51
; %bb.150:
	s_or_b64 exec, exec, s[30:31]
	s_nop 0
	v_mov_b32_dpp v51, v48 row_shr:2 row_mask:0xf bank_mask:0xf
	v_mov_b32_dpp v50, v40 row_shr:2 row_mask:0xf bank_mask:0xf
	;; [unrolled: 1-line block ×3, first 2 shown]
	v_cmp_lt_u32_e64 s[26:27], 1, v49
	s_and_saveexec_b64 s[30:31], s[26:27]
; %bb.151:
	v_cmp_eq_u32_e64 s[26:27], 0, v48
	v_cndmask_b32_e64 v50, 0, v50, s[26:27]
	v_add_u32_e32 v49, v51, v48
	v_cndmask_b32_e64 v48, 0, v52, s[26:27]
	v_add_co_u32_e64 v40, s[26:27], v50, v40
	v_addc_co_u32_e64 v41, s[26:27], v48, v41, s[26:27]
	v_mov_b32_e32 v48, v49
; %bb.152:
	s_or_b64 exec, exec, s[30:31]
	ds_write_b32 v47, v48 offset:1056
	ds_write_b64 v47, v[40:41] offset:1064
.LBB1481_153:
	s_or_b64 exec, exec, s[28:29]
	v_cmp_lt_u32_e64 s[26:27], 63, v0
	v_mov_b32_e32 v91, 0
	v_mov_b32_e32 v47, 0
	s_waitcnt vmcnt(0)
	v_pk_mov_b32 v[40:41], v[44:45], v[44:45] op_sel:[0,1]
	s_waitcnt lgkmcnt(0)
	s_barrier
	s_and_saveexec_b64 s[28:29], s[26:27]
	s_cbranch_execz .LBB1481_155
; %bb.154:
	v_lshlrev_b32_e32 v40, 4, v46
	ds_read_b32 v47, v40 offset:1040
	ds_read_b64 v[40:41], v40 offset:1048
	s_waitcnt lgkmcnt(1)
	v_cmp_eq_u32_e64 s[26:27], 0, v47
	v_cndmask_b32_e64 v48, 0, v44, s[26:27]
	v_cndmask_b32_e64 v46, 0, v45, s[26:27]
	s_waitcnt lgkmcnt(0)
	v_add_co_u32_e64 v40, s[26:27], v48, v40
	v_addc_co_u32_e64 v41, s[26:27], v46, v41, s[26:27]
.LBB1481_155:
	s_or_b64 exec, exec, s[28:29]
	v_cmp_eq_u32_e64 s[26:27], 0, v43
	v_cndmask_b32_e64 v48, 0, v40, s[26:27]
	v_add_u32_e32 v46, v47, v43
	v_cndmask_b32_e64 v43, 0, v41, s[26:27]
	v_add_co_u32_e64 v8, s[26:27], v48, v8
	v_addc_co_u32_e64 v9, s[26:27], v43, v9, s[26:27]
	v_add_u32_e32 v43, -1, v42
	v_and_b32_e32 v48, 64, v42
	v_cmp_lt_i32_e64 s[26:27], v43, v48
	v_cndmask_b32_e64 v43, v43, v42, s[26:27]
	v_lshlrev_b32_e32 v43, 2, v43
	ds_bpermute_b32 v8, v43, v8
	ds_bpermute_b32 v46, v43, v46
	;; [unrolled: 1-line block ×3, first 2 shown]
	v_cmp_eq_u32_e64 s[26:27], 0, v42
	s_waitcnt lgkmcnt(2)
	v_cndmask_b32_e64 v70, v8, v40, s[26:27]
	s_waitcnt lgkmcnt(1)
	v_cndmask_b32_e64 v90, v46, v47, s[26:27]
	;; [unrolled: 2-line block ×3, first 2 shown]
	v_cndmask_b32_e64 v8, v70, v44, s[0:1]
	v_cmp_eq_u32_e64 s[26:27], 0, v89
	v_cndmask_b32_e64 v9, v71, v45, s[0:1]
	v_cndmask_b32_e64 v8, 0, v8, s[26:27]
	;; [unrolled: 1-line block ×3, first 2 shown]
	v_add_co_u32_e64 v46, s[26:27], v8, v18
	v_addc_co_u32_e64 v47, s[26:27], v9, v19, s[26:27]
	v_cndmask_b32_e64 v9, 0, v46, s[24:25]
	v_cndmask_b32_e64 v8, 0, v47, s[24:25]
	v_add_co_u32_e64 v48, s[24:25], v9, v38
	v_addc_co_u32_e64 v49, s[24:25], v8, v39, s[24:25]
	v_cndmask_b32_e64 v9, 0, v48, s[22:23]
	v_cndmask_b32_e64 v8, 0, v49, s[22:23]
	;; [unrolled: 4-line block ×11, first 2 shown]
	v_add_co_u32_e64 v68, s[2:3], v9, v28
	v_addc_co_u32_e64 v69, s[2:3], v8, v29, s[2:3]
	v_cndmask_b32_e64 v9, 0, v68, s[4:5]
	ds_read_b32 v40, v91 offset:1104
	v_cndmask_b32_e64 v8, 0, v69, s[4:5]
	v_add_co_u32_e64 v72, s[2:3], v9, v6
	v_addc_co_u32_e64 v73, s[2:3], v8, v7, s[2:3]
	ds_read_b64 v[6:7], v91 offset:1112
	v_cndmask_b32_e32 v75, 0, v73, vcc
	v_cndmask_b32_e32 v74, 0, v72, vcc
	s_waitcnt lgkmcnt(1)
	v_cmp_eq_u32_e32 vcc, 0, v40
	v_cndmask_b32_e32 v9, 0, v44, vcc
	v_cndmask_b32_e32 v8, 0, v45, vcc
	s_waitcnt lgkmcnt(0)
	v_add_co_u32_e32 v42, vcc, v9, v6
	v_addc_co_u32_e32 v43, vcc, v8, v7, vcc
	s_and_saveexec_b64 s[2:3], s[0:1]
	s_cbranch_execz .LBB1481_157
; %bb.156:
	v_mov_b32_e32 v90, 0
	v_mov_b32_e32 v6, 2
	v_pk_mov_b32 v[70:71], v[44:45], v[44:45] op_sel:[0,1]
	global_store_dword v90, v40, s[38:39] offset:1024
	global_store_dwordx2 v90, v[42:43], s[38:39] offset:1032
	s_waitcnt vmcnt(0)
	buffer_wbinvl1_vol
	global_store_byte v90, v6, s[40:41] offset:64
.LBB1481_157:
	s_or_b64 exec, exec, s[2:3]
	v_mov_b32_e32 v44, 0
.LBB1481_158:
	s_and_b64 s[2:3], s[34:35], exec
	s_cselect_b32 s3, 0, s51
	s_cselect_b32 s2, 0, s50
	s_cmp_eq_u64 s[2:3], 0
	v_pk_mov_b32 v[8:9], 0, 0
	s_barrier
	s_cbranch_scc1 .LBB1481_160
; %bb.159:
	v_mov_b32_e32 v6, 0
	global_load_dwordx2 v[8:9], v6, s[2:3]
.LBB1481_160:
	s_waitcnt vmcnt(0)
	v_lshlrev_b64 v[6:7], 1, v[8:9]
	v_mov_b32_e32 v10, s53
	v_add_co_u32_e32 v11, vcc, s52, v6
	v_mov_b32_e32 v45, 0
	v_addc_co_u32_e32 v10, vcc, v10, v7, vcc
	v_lshlrev_b64 v[6:7], 1, v[44:45]
	v_add_co_u32_e32 v32, vcc, v11, v6
	v_addc_co_u32_e32 v33, vcc, v10, v7, vcc
	v_cmp_eq_u32_e32 vcc, 0, v89
	v_cndmask_b32_e64 v6, 1, 2, vcc
	v_cmp_eq_u32_e32 vcc, 0, v88
	v_cndmask_b32_e64 v7, 1, 2, vcc
	v_cmp_eq_u32_e32 vcc, 0, v87
	v_and_b32_e32 v6, v7, v6
	v_cndmask_b32_e64 v7, 1, 2, vcc
	v_cmp_eq_u32_e32 vcc, 0, v86
	v_add_u32_e32 v31, v90, v89
	v_and_b32_e32 v6, v6, v7
	v_cndmask_b32_e64 v7, 1, 2, vcc
	v_cmp_eq_u32_e32 vcc, 0, v85
	v_add_u32_e32 v30, v31, v88
	;; [unrolled: 4-line block ×12, first 2 shown]
	v_and_b32_e32 v6, v6, v7
	v_cndmask_b32_e64 v7, 1, 2, vcc
	s_movk_i32 s34, 0x100
	v_add_u32_e32 v13, v14, v77
	v_and_b32_e32 v6, v6, v7
	v_cmp_gt_u32_e32 vcc, s34, v40
	v_add_u32_e32 v12, v13, v76
	v_cmp_ne_u32_e64 s[30:31], 0, v89
	v_cmp_ne_u32_e64 s[28:29], 0, v88
	;; [unrolled: 1-line block ×15, first 2 shown]
	s_mov_b64 s[36:37], -1
	v_cmp_gt_i16_e64 s[34:35], 2, v6
	s_cbranch_vccz .LBB1481_167
; %bb.161:
	s_and_saveexec_b64 s[36:37], s[34:35]
	s_cbranch_execz .LBB1481_166
; %bb.162:
	v_cmp_ne_u16_e32 vcc, 1, v6
	s_mov_b64 s[38:39], 0
	s_and_saveexec_b64 s[34:35], vcc
	s_xor_b64 s[34:35], exec, s[34:35]
	s_cbranch_execnz .LBB1481_211
; %bb.163:
	s_andn2_saveexec_b64 s[34:35], s[34:35]
	s_cbranch_execnz .LBB1481_227
.LBB1481_164:
	s_or_b64 exec, exec, s[34:35]
	s_and_b64 exec, exec, s[38:39]
	s_cbranch_execz .LBB1481_166
.LBB1481_165:
	v_sub_u32_e32 v10, v12, v44
	v_mov_b32_e32 v11, 0
	v_lshlrev_b64 v[10:11], 1, v[10:11]
	v_add_co_u32_e32 v10, vcc, v32, v10
	v_addc_co_u32_e32 v11, vcc, v33, v11, vcc
	global_store_short_d16_hi v[10:11], v24, off
.LBB1481_166:
	s_or_b64 exec, exec, s[36:37]
	s_mov_b64 s[36:37], 0
.LBB1481_167:
	s_and_b64 vcc, exec, s[36:37]
	s_cbranch_vccz .LBB1481_189
; %bb.168:
	v_cmp_gt_i16_e32 vcc, 2, v6
	s_and_saveexec_b64 s[34:35], vcc
	s_cbranch_execz .LBB1481_173
; %bb.169:
	v_cmp_ne_u16_e32 vcc, 1, v6
	s_mov_b64 s[38:39], 0
	s_and_saveexec_b64 s[36:37], vcc
	s_xor_b64 s[36:37], exec, s[36:37]
	s_cbranch_execnz .LBB1481_228
; %bb.170:
	s_andn2_saveexec_b64 s[2:3], s[36:37]
	s_cbranch_execnz .LBB1481_244
.LBB1481_171:
	s_or_b64 exec, exec, s[2:3]
	s_and_b64 exec, exec, s[38:39]
	s_cbranch_execz .LBB1481_173
.LBB1481_172:
	v_sub_u32_e32 v1, v12, v44
	v_lshlrev_b32_e32 v1, 1, v1
	ds_write_b16_d16_hi v1, v24
.LBB1481_173:
	s_or_b64 exec, exec, s[34:35]
	v_cmp_lt_u32_e32 vcc, v0, v40
	s_waitcnt lgkmcnt(0)
	s_barrier
	s_and_saveexec_b64 s[4:5], vcc
	s_cbranch_execz .LBB1481_188
; %bb.174:
	v_xad_u32 v1, v0, -1, v40
	s_movk_i32 s2, 0x1700
	v_cmp_gt_u32_e64 s[6:7], s2, v1
	s_movk_i32 s2, 0x16ff
	v_cmp_lt_u32_e32 vcc, s2, v1
	v_mov_b32_e32 v2, v0
	s_and_saveexec_b64 s[8:9], vcc
	s_cbranch_execz .LBB1481_185
; %bb.175:
	v_sub_u32_e32 v2, v0, v40
	v_or_b32_e32 v2, 0xff, v2
	v_cmp_ge_u32_e32 vcc, v2, v0
	s_mov_b64 s[2:3], -1
	v_mov_b32_e32 v2, v0
	s_and_saveexec_b64 s[10:11], vcc
	s_cbranch_execz .LBB1481_184
; %bb.176:
	v_lshrrev_b32_e32 v22, 8, v1
	v_add_u32_e32 v4, -3, v22
	v_or_b32_e32 v3, 0x300, v0
	v_or_b32_e32 v2, 0x200, v0
	v_lshrrev_b32_e32 v5, 2, v4
	v_or_b32_e32 v1, 0x100, v0
	v_add_u32_e32 v24, 1, v5
	v_cmp_lt_u32_e32 vcc, 11, v4
	v_pk_mov_b32 v[6:7], v[2:3], v[2:3] op_sel:[0,1]
	v_mov_b32_e32 v36, 0
	v_lshlrev_b32_e32 v23, 1, v0
	v_pk_mov_b32 v[4:5], v[0:1], v[0:1] op_sel:[0,1]
	s_and_saveexec_b64 s[12:13], vcc
	s_cbranch_execz .LBB1481_180
; %bb.177:
	v_pk_mov_b32 v[6:7], v[2:3], v[2:3] op_sel:[0,1]
	v_and_b32_e32 v34, 0x7ffffffc, v24
	s_mov_b32 s16, 0
	s_mov_b64 s[14:15], 0
	v_mov_b32_e32 v11, 0
	v_mov_b32_e32 v35, v23
	v_pk_mov_b32 v[4:5], v[0:1], v[0:1] op_sel:[0,1]
.LBB1481_178:                           ; =>This Inner Loop Header: Depth=1
	v_mov_b32_e32 v10, v4
	v_lshlrev_b64 v[104:105], 1, v[10:11]
	v_add_u32_e32 v38, 0x400, v5
	v_mov_b32_e32 v39, v11
	v_add_co_u32_e64 v104, s[2:3], v32, v104
	v_lshlrev_b64 v[38:39], 1, v[38:39]
	v_addc_co_u32_e64 v105, s[2:3], v33, v105, s[2:3]
	v_add_u32_e32 v36, 0x400, v6
	v_mov_b32_e32 v37, v11
	v_add_co_u32_e64 v38, s[2:3], v32, v38
	v_lshlrev_b64 v[106:107], 1, v[36:37]
	v_addc_co_u32_e64 v39, s[2:3], v33, v39, s[2:3]
	v_add_u32_e32 v2, 0x400, v7
	v_mov_b32_e32 v3, v11
	v_add_co_u32_e64 v106, s[2:3], v32, v106
	v_add_u32_e32 v34, -4, v34
	v_mov_b32_e32 v10, v5
	v_lshlrev_b64 v[2:3], 1, v[2:3]
	v_addc_co_u32_e64 v107, s[2:3], v33, v107, s[2:3]
	v_add_u32_e32 v96, 0x800, v5
	v_mov_b32_e32 v97, v11
	s_add_i32 s16, s16, 16
	v_cmp_eq_u32_e32 vcc, 0, v34
	v_lshlrev_b64 v[108:109], 1, v[10:11]
	v_add_co_u32_e64 v2, s[2:3], v32, v2
	v_lshlrev_b64 v[96:97], 1, v[96:97]
	v_mov_b32_e32 v10, v6
	v_addc_co_u32_e64 v3, s[2:3], v33, v3, s[2:3]
	s_or_b64 s[14:15], vcc, s[14:15]
	v_add_co_u32_e32 v108, vcc, v32, v108
	v_add_u32_e32 v94, 0x800, v6
	v_mov_b32_e32 v95, v11
	v_add_co_u32_e64 v96, s[2:3], v32, v96
	v_addc_co_u32_e32 v109, vcc, v33, v109, vcc
	v_lshlrev_b64 v[110:111], 1, v[10:11]
	v_lshlrev_b64 v[94:95], 1, v[94:95]
	v_addc_co_u32_e64 v97, s[2:3], v33, v97, s[2:3]
	v_mov_b32_e32 v10, v7
	v_add_co_u32_e32 v110, vcc, v32, v110
	ds_read_u16 v1, v35
	ds_read_u16 v41, v35 offset:512
	ds_read_u16 v91, v35 offset:1024
	;; [unrolled: 1-line block ×7, first 2 shown]
	v_add_u32_e32 v92, 0x800, v7
	v_mov_b32_e32 v93, v11
	v_add_co_u32_e64 v94, s[2:3], v32, v94
	v_addc_co_u32_e32 v111, vcc, v33, v111, vcc
	v_lshlrev_b64 v[112:113], 1, v[10:11]
	v_lshlrev_b64 v[92:93], 1, v[92:93]
	v_addc_co_u32_e64 v95, s[2:3], v33, v95, s[2:3]
	v_add_u32_e32 v10, 0x400, v4
	v_add_co_u32_e32 v112, vcc, v32, v112
	v_add_u32_e32 v102, 0xc00, v5
	v_mov_b32_e32 v103, v11
	ds_read_u16 v119, v35 offset:4096
	ds_read_u16 v120, v35 offset:4608
	;; [unrolled: 1-line block ×8, first 2 shown]
	v_add_co_u32_e64 v92, s[2:3], v32, v92
	v_addc_co_u32_e32 v113, vcc, v33, v113, vcc
	s_waitcnt lgkmcnt(14)
	global_store_short v[104:105], v1, off
	global_store_short v[108:109], v41, off
	s_waitcnt lgkmcnt(13)
	global_store_short v[110:111], v91, off
	v_lshlrev_b64 v[104:105], 1, v[10:11]
	v_lshlrev_b64 v[102:103], 1, v[102:103]
	v_addc_co_u32_e64 v93, s[2:3], v33, v93, s[2:3]
	v_add_u32_e32 v10, 0x800, v4
	v_add_co_u32_e32 v104, vcc, v32, v104
	v_add_u32_e32 v100, 0xc00, v6
	v_mov_b32_e32 v101, v11
	v_add_co_u32_e64 v102, s[2:3], v32, v102
	v_addc_co_u32_e32 v105, vcc, v33, v105, vcc
	v_lshlrev_b64 v[108:109], 1, v[10:11]
	v_lshlrev_b64 v[100:101], 1, v[100:101]
	v_addc_co_u32_e64 v103, s[2:3], v33, v103, s[2:3]
	s_waitcnt lgkmcnt(12)
	global_store_short v[112:113], v114, off
	v_add_u32_e32 v10, 0xc00, v4
	s_waitcnt lgkmcnt(11)
	global_store_short v[104:105], v115, off
	s_waitcnt lgkmcnt(10)
	global_store_short v[38:39], v116, off
	;; [unrolled: 2-line block ×4, first 2 shown]
	v_add_co_u32_e32 v2, vcc, v32, v108
	v_add_u32_e32 v98, 0xc00, v7
	v_mov_b32_e32 v99, v11
	v_add_co_u32_e64 v100, s[2:3], v32, v100
	v_addc_co_u32_e32 v3, vcc, v33, v109, vcc
	v_lshlrev_b64 v[38:39], 1, v[10:11]
	v_lshlrev_b64 v[98:99], 1, v[98:99]
	v_addc_co_u32_e64 v101, s[2:3], v33, v101, s[2:3]
	s_waitcnt lgkmcnt(7)
	global_store_short v[2:3], v119, off
	s_waitcnt lgkmcnt(6)
	global_store_short v[96:97], v120, off
	;; [unrolled: 2-line block ×4, first 2 shown]
	v_add_co_u32_e32 v2, vcc, v32, v38
	v_add_u32_e32 v35, 0x2000, v35
	v_add_u32_e32 v5, 0x1000, v5
	v_mov_b32_e32 v36, s16
	v_add_co_u32_e64 v98, s[2:3], v32, v98
	v_add_u32_e32 v6, 0x1000, v6
	v_add_u32_e32 v7, 0x1000, v7
	;; [unrolled: 1-line block ×3, first 2 shown]
	v_addc_co_u32_e32 v3, vcc, v33, v39, vcc
	v_addc_co_u32_e64 v99, s[2:3], v33, v99, s[2:3]
	s_waitcnt lgkmcnt(3)
	global_store_short v[2:3], v123, off
	s_waitcnt lgkmcnt(2)
	global_store_short v[102:103], v124, off
	s_waitcnt lgkmcnt(1)
	global_store_short v[100:101], v125, off
	s_waitcnt lgkmcnt(0)
	global_store_short v[98:99], v126, off
	s_andn2_b64 exec, exec, s[14:15]
	s_cbranch_execnz .LBB1481_178
; %bb.179:
	s_or_b64 exec, exec, s[14:15]
.LBB1481_180:
	s_or_b64 exec, exec, s[12:13]
	v_and_b32_e32 v1, 3, v24
	v_cmp_ne_u32_e32 vcc, 0, v1
	s_and_saveexec_b64 s[12:13], vcc
	s_cbranch_execz .LBB1481_183
; %bb.181:
	v_lshl_or_b32 v10, v36, 9, v23
	s_mov_b64 s[14:15], 0
	v_mov_b32_e32 v3, 0
.LBB1481_182:                           ; =>This Inner Loop Header: Depth=1
	v_mov_b32_e32 v2, v4
	v_add_u32_e32 v1, -1, v1
	v_lshlrev_b64 v[34:35], 1, v[2:3]
	v_mov_b32_e32 v2, v5
	v_cmp_eq_u32_e32 vcc, 0, v1
	v_lshlrev_b64 v[36:37], 1, v[2:3]
	ds_read_u16 v11, v10
	ds_read_u16 v23, v10 offset:512
	ds_read_u16 v24, v10 offset:1024
	;; [unrolled: 1-line block ×3, first 2 shown]
	v_mov_b32_e32 v2, v6
	s_or_b64 s[14:15], vcc, s[14:15]
	v_add_co_u32_e32 v36, vcc, v32, v36
	v_addc_co_u32_e32 v37, vcc, v33, v37, vcc
	v_lshlrev_b64 v[38:39], 1, v[2:3]
	v_mov_b32_e32 v2, v7
	v_add_co_u32_e32 v38, vcc, v32, v38
	v_add_co_u32_e64 v34, s[2:3], v32, v34
	v_addc_co_u32_e32 v39, vcc, v33, v39, vcc
	v_lshlrev_b64 v[92:93], 1, v[2:3]
	v_add_u32_e32 v4, 0x400, v4
	v_add_u32_e32 v10, 0x800, v10
	;; [unrolled: 1-line block ×3, first 2 shown]
	v_addc_co_u32_e64 v35, s[2:3], v33, v35, s[2:3]
	v_add_u32_e32 v6, 0x400, v6
	v_add_u32_e32 v7, 0x400, v7
	v_add_co_u32_e32 v92, vcc, v32, v92
	v_addc_co_u32_e32 v93, vcc, v33, v93, vcc
	s_waitcnt lgkmcnt(3)
	global_store_short v[34:35], v11, off
	s_waitcnt lgkmcnt(2)
	global_store_short v[36:37], v23, off
	;; [unrolled: 2-line block ×4, first 2 shown]
	s_andn2_b64 exec, exec, s[14:15]
	s_cbranch_execnz .LBB1481_182
.LBB1481_183:
	s_or_b64 exec, exec, s[12:13]
	v_add_u32_e32 v1, 1, v22
	v_and_b32_e32 v3, 0x1fffffc, v1
	v_cmp_ne_u32_e32 vcc, v1, v3
	v_lshl_or_b32 v2, v3, 8, v0
	s_orn2_b64 s[2:3], vcc, exec
.LBB1481_184:
	s_or_b64 exec, exec, s[10:11]
	s_andn2_b64 s[6:7], s[6:7], exec
	s_and_b64 s[2:3], s[2:3], exec
	s_or_b64 s[6:7], s[6:7], s[2:3]
.LBB1481_185:
	s_or_b64 exec, exec, s[8:9]
	s_and_b64 exec, exec, s[6:7]
	s_cbranch_execz .LBB1481_188
; %bb.186:
	v_lshlrev_b32_e32 v1, 1, v2
	s_mov_b64 s[2:3], 0
	v_mov_b32_e32 v3, 0
.LBB1481_187:                           ; =>This Inner Loop Header: Depth=1
	v_lshlrev_b64 v[4:5], 1, v[2:3]
	ds_read_u16 v6, v1
	v_add_co_u32_e32 v4, vcc, v32, v4
	v_add_u32_e32 v2, 0x100, v2
	v_addc_co_u32_e32 v5, vcc, v33, v5, vcc
	v_cmp_ge_u32_e32 vcc, v2, v40
	v_add_u32_e32 v1, 0x200, v1
	s_or_b64 s[2:3], vcc, s[2:3]
	s_waitcnt lgkmcnt(0)
	global_store_short v[4:5], v6, off
	s_andn2_b64 exec, exec, s[2:3]
	s_cbranch_execnz .LBB1481_187
.LBB1481_188:
	s_or_b64 exec, exec, s[4:5]
.LBB1481_189:
	s_cmpk_lg_i32 s33, 0xf00
	s_cselect_b64 s[2:3], -1, 0
	v_cndmask_b32_e64 v10, 0, 1, s[46:47]
	s_and_b64 s[2:3], s[2:3], s[44:45]
	v_sub_u32_e32 v1, v40, v10
	v_cndmask_b32_e64 v4, 0, 1, s[2:3]
	s_and_b64 s[0:1], s[0:1], s[46:47]
	v_add_co_u32_e32 v2, vcc, v74, v26
	v_add_u32_e32 v1, v1, v4
	v_cndmask_b32_e64 v4, v89, 0, s[0:1]
	s_mul_hi_u32 s0, s33, 0x88888889
	v_addc_co_u32_e32 v3, vcc, v75, v27, vcc
	s_lshr_b32 s0, s0, 3
	v_mad_i32_i24 v5, v0, -15, s33
	v_cmp_eq_u32_e32 vcc, s0, v0
	v_cmp_ne_u32_e64 s[0:1], 0, v5
	v_cndmask_b32_e64 v6, 1, v4, s[0:1]
	v_cmp_ne_u32_e64 s[0:1], 1, v5
	v_cndmask_b32_e64 v7, 1, v88, s[0:1]
	;; [unrolled: 2-line block ×15, first 2 shown]
	s_and_b64 vcc, vcc, s[44:45]
	v_cndmask_b32_e32 v25, v25, v5, vcc
	v_cndmask_b32_e32 v39, v4, v6, vcc
	v_lshlrev_b64 v[4:5], 3, v[8:9]
	v_cndmask_b32_e32 v37, v76, v37, vcc
	v_cndmask_b32_e32 v36, v77, v36, vcc
	;; [unrolled: 1-line block ×13, first 2 shown]
	v_mov_b32_e32 v6, s55
	v_add_co_u32_e32 v7, vcc, s54, v4
	v_addc_co_u32_e32 v6, vcc, v6, v5, vcc
	v_lshlrev_b64 v[4:5], 3, v[44:45]
	v_add_co_u32_e32 v4, vcc, v7, v4
	v_addc_co_u32_e32 v5, vcc, v6, v5, vcc
	v_lshlrev_b32_e32 v6, 3, v10
	v_add_co_u32_e32 v6, vcc, v6, v4
	v_addc_co_u32_e32 v7, vcc, 0, v5, vcc
	v_add_co_u32_e32 v6, vcc, -8, v6
	v_addc_co_u32_e32 v7, vcc, -1, v7, vcc
	v_cmp_eq_u32_e32 vcc, 0, v39
	v_cmp_ne_u32_e64 s[28:29], 0, v39
	v_cndmask_b32_e64 v39, 1, 2, vcc
	v_cmp_eq_u32_e32 vcc, 0, v38
	v_cmp_ne_u32_e64 s[26:27], 0, v38
	v_cndmask_b32_e64 v38, 1, 2, vcc
	v_cmp_eq_u32_e32 vcc, 0, v11
	v_and_b32_e32 v38, v38, v39
	v_cmp_ne_u32_e64 s[24:25], 0, v11
	v_cndmask_b32_e64 v11, 1, 2, vcc
	v_cmp_eq_u32_e32 vcc, 0, v22
	v_and_b32_e32 v11, v38, v11
	;; [unrolled: 4-line block ×3, first 2 shown]
	v_cndmask_b32_e64 v22, 1, 2, vcc
	v_cmp_eq_u32_e32 vcc, 0, v24
	v_and_b32_e32 v11, v11, v22
	v_cndmask_b32_e64 v22, 1, 2, vcc
	v_cmp_eq_u32_e32 vcc, 0, v26
	v_and_b32_e32 v11, v11, v22
	;; [unrolled: 3-line block ×10, first 2 shown]
	v_cndmask_b32_e64 v22, 1, 2, vcc
	s_movk_i32 s30, 0x100
	v_and_b32_e32 v11, v11, v22
	v_cmp_gt_u32_e32 vcc, s30, v1
	v_add_u32_e32 v10, v44, v10
	v_cmp_ne_u32_e64 s[20:21], 0, v23
	v_cmp_ne_u32_e64 s[18:19], 0, v24
	;; [unrolled: 1-line block ×11, first 2 shown]
	s_mov_b64 s[34:35], -1
	v_cmp_gt_i16_e64 s[30:31], 2, v11
	s_barrier
	s_cbranch_vccz .LBB1481_196
; %bb.190:
	s_and_saveexec_b64 s[34:35], s[30:31]
	s_cbranch_execz .LBB1481_195
; %bb.191:
	v_cmp_ne_u16_e32 vcc, 1, v11
	s_mov_b64 s[36:37], 0
	s_and_saveexec_b64 s[30:31], vcc
	s_xor_b64 s[30:31], exec, s[30:31]
	s_cbranch_execnz .LBB1481_245
; %bb.192:
	s_andn2_saveexec_b64 s[30:31], s[30:31]
	s_cbranch_execnz .LBB1481_261
.LBB1481_193:
	s_or_b64 exec, exec, s[30:31]
	s_and_b64 exec, exec, s[36:37]
	s_cbranch_execz .LBB1481_195
.LBB1481_194:
	v_sub_u32_e32 v22, v12, v10
	v_mov_b32_e32 v23, 0
	v_lshlrev_b64 v[22:23], 3, v[22:23]
	v_add_co_u32_e32 v22, vcc, v6, v22
	v_addc_co_u32_e32 v23, vcc, v7, v23, vcc
	global_store_dwordx2 v[22:23], v[2:3], off
.LBB1481_195:
	s_or_b64 exec, exec, s[34:35]
	s_mov_b64 s[34:35], 0
.LBB1481_196:
	s_and_b64 vcc, exec, s[34:35]
	s_cbranch_vccz .LBB1481_206
; %bb.197:
	v_cmp_gt_i16_e32 vcc, 2, v11
	s_and_saveexec_b64 s[30:31], vcc
	s_cbranch_execz .LBB1481_202
; %bb.198:
	v_cmp_ne_u16_e32 vcc, 1, v11
	s_mov_b64 s[36:37], 0
	s_and_saveexec_b64 s[34:35], vcc
	s_xor_b64 s[34:35], exec, s[34:35]
	s_cbranch_execnz .LBB1481_262
; %bb.199:
	s_andn2_saveexec_b64 s[0:1], s[34:35]
	s_cbranch_execnz .LBB1481_278
.LBB1481_200:
	s_or_b64 exec, exec, s[0:1]
	s_and_b64 exec, exec, s[36:37]
	s_cbranch_execz .LBB1481_202
.LBB1481_201:
	v_sub_u32_e32 v10, v12, v10
	v_lshlrev_b32_e32 v10, 3, v10
	ds_write_b64 v10, v[2:3]
.LBB1481_202:
	s_or_b64 exec, exec, s[30:31]
	v_cmp_lt_u32_e32 vcc, v0, v1
	s_waitcnt lgkmcnt(0)
	s_barrier
	s_and_saveexec_b64 s[0:1], vcc
	s_cbranch_execz .LBB1481_205
; %bb.203:
	v_lshlrev_b32_e32 v10, 3, v0
	s_mov_b64 s[2:3], 0
	v_mov_b32_e32 v3, 0
	v_mov_b32_e32 v2, v0
.LBB1481_204:                           ; =>This Inner Loop Header: Depth=1
	v_lshlrev_b64 v[12:13], 3, v[2:3]
	ds_read_b64 v[14:15], v10
	v_add_co_u32_e32 v12, vcc, v6, v12
	v_add_u32_e32 v2, 0x100, v2
	v_addc_co_u32_e32 v13, vcc, v7, v13, vcc
	v_cmp_ge_u32_e32 vcc, v2, v1
	v_add_u32_e32 v10, 0x800, v10
	s_or_b64 s[2:3], vcc, s[2:3]
	s_waitcnt lgkmcnt(0)
	global_store_dwordx2 v[12:13], v[14:15], off
	s_andn2_b64 exec, exec, s[2:3]
	s_cbranch_execnz .LBB1481_204
.LBB1481_205:
	s_or_b64 exec, exec, s[0:1]
.LBB1481_206:
	s_movk_i32 s0, 0xff
	v_cmp_eq_u32_e32 vcc, s0, v0
	s_and_b64 s[0:1], vcc, s[44:45]
	s_and_saveexec_b64 s[2:3], s[0:1]
	s_cbranch_execz .LBB1481_209
; %bb.207:
	v_add_co_u32_e32 v0, vcc, v40, v44
	v_addc_co_u32_e64 v1, s[0:1], 0, 0, vcc
	v_add_co_u32_e32 v0, vcc, v0, v8
	v_mov_b32_e32 v41, 0
	v_addc_co_u32_e32 v1, vcc, v1, v9, vcc
	s_cmpk_lg_i32 s33, 0xf00
	global_store_dwordx2 v41, v[0:1], s[56:57]
	s_cbranch_scc1 .LBB1481_209
; %bb.208:
	v_lshlrev_b64 v[0:1], 3, v[40:41]
	v_add_co_u32_e32 v0, vcc, v4, v0
	v_addc_co_u32_e32 v1, vcc, v5, v1, vcc
	global_store_dwordx2 v[0:1], v[42:43], off offset:-8
.LBB1481_209:
	s_endpgm
.LBB1481_210:
	s_or_b64 exec, exec, s[10:11]
	v_mov_b32_e32 v89, s14
	s_and_saveexec_b64 s[2:3], s[8:9]
	s_cbranch_execnz .LBB1481_58
	s_branch .LBB1481_59
.LBB1481_211:
	s_and_saveexec_b64 s[38:39], s[30:31]
	s_cbranch_execnz .LBB1481_279
; %bb.212:
	s_or_b64 exec, exec, s[38:39]
	s_and_saveexec_b64 s[38:39], s[28:29]
	s_cbranch_execnz .LBB1481_280
.LBB1481_213:
	s_or_b64 exec, exec, s[38:39]
	s_and_saveexec_b64 s[38:39], s[26:27]
	s_cbranch_execnz .LBB1481_281
.LBB1481_214:
	s_or_b64 exec, exec, s[38:39]
	s_and_saveexec_b64 s[38:39], s[24:25]
	s_cbranch_execnz .LBB1481_282
.LBB1481_215:
	s_or_b64 exec, exec, s[38:39]
	s_and_saveexec_b64 s[38:39], s[22:23]
	s_cbranch_execnz .LBB1481_283
.LBB1481_216:
	s_or_b64 exec, exec, s[38:39]
	s_and_saveexec_b64 s[38:39], s[20:21]
	s_cbranch_execnz .LBB1481_284
.LBB1481_217:
	s_or_b64 exec, exec, s[38:39]
	s_and_saveexec_b64 s[38:39], s[18:19]
	s_cbranch_execnz .LBB1481_285
.LBB1481_218:
	s_or_b64 exec, exec, s[38:39]
	s_and_saveexec_b64 s[38:39], s[16:17]
	s_cbranch_execnz .LBB1481_286
.LBB1481_219:
	s_or_b64 exec, exec, s[38:39]
	s_and_saveexec_b64 s[38:39], s[14:15]
	s_cbranch_execnz .LBB1481_287
.LBB1481_220:
	s_or_b64 exec, exec, s[38:39]
	s_and_saveexec_b64 s[38:39], s[12:13]
	s_cbranch_execnz .LBB1481_288
.LBB1481_221:
	s_or_b64 exec, exec, s[38:39]
	s_and_saveexec_b64 s[38:39], s[10:11]
	s_cbranch_execnz .LBB1481_289
.LBB1481_222:
	s_or_b64 exec, exec, s[38:39]
	s_and_saveexec_b64 s[38:39], s[8:9]
	s_cbranch_execnz .LBB1481_290
.LBB1481_223:
	s_or_b64 exec, exec, s[38:39]
	s_and_saveexec_b64 s[38:39], s[6:7]
	s_cbranch_execnz .LBB1481_291
.LBB1481_224:
	s_or_b64 exec, exec, s[38:39]
	s_and_saveexec_b64 s[38:39], s[4:5]
	s_cbranch_execz .LBB1481_226
.LBB1481_225:
	v_sub_u32_e32 v10, v13, v44
	v_mov_b32_e32 v11, 0
	v_lshlrev_b64 v[10:11], 1, v[10:11]
	v_add_co_u32_e32 v10, vcc, v32, v10
	v_addc_co_u32_e32 v11, vcc, v33, v11, vcc
	global_store_short v[10:11], v24, off
.LBB1481_226:
	s_or_b64 exec, exec, s[38:39]
	s_and_b64 s[38:39], s[2:3], exec
	s_andn2_saveexec_b64 s[34:35], s[34:35]
	s_cbranch_execz .LBB1481_164
.LBB1481_227:
	v_sub_u32_e32 v10, v90, v44
	v_mov_b32_e32 v11, 0
	v_lshlrev_b64 v[34:35], 1, v[10:11]
	v_add_co_u32_e32 v34, vcc, v32, v34
	v_addc_co_u32_e32 v35, vcc, v33, v35, vcc
	v_sub_u32_e32 v10, v31, v44
	global_store_short v[34:35], v1, off
	v_lshlrev_b64 v[34:35], 1, v[10:11]
	v_add_co_u32_e32 v34, vcc, v32, v34
	v_addc_co_u32_e32 v35, vcc, v33, v35, vcc
	v_sub_u32_e32 v10, v30, v44
	global_store_short v[34:35], v2, off
	v_lshlrev_b64 v[34:35], 1, v[10:11]
	v_add_co_u32_e32 v34, vcc, v32, v34
	v_addc_co_u32_e32 v35, vcc, v33, v35, vcc
	v_sub_u32_e32 v10, v29, v44
	global_store_short_d16_hi v[34:35], v2, off
	v_lshlrev_b64 v[34:35], 1, v[10:11]
	v_add_co_u32_e32 v34, vcc, v32, v34
	v_addc_co_u32_e32 v35, vcc, v33, v35, vcc
	v_sub_u32_e32 v10, v28, v44
	global_store_short v[34:35], v3, off
	v_lshlrev_b64 v[34:35], 1, v[10:11]
	v_add_co_u32_e32 v34, vcc, v32, v34
	v_addc_co_u32_e32 v35, vcc, v33, v35, vcc
	v_sub_u32_e32 v10, v21, v44
	global_store_short_d16_hi v[34:35], v3, off
	;; [unrolled: 10-line block ×5, first 2 shown]
	v_lshlrev_b64 v[34:35], 1, v[10:11]
	v_add_co_u32_e32 v34, vcc, v32, v34
	v_addc_co_u32_e32 v35, vcc, v33, v35, vcc
	v_sub_u32_e32 v10, v14, v44
	global_store_short v[34:35], v23, off
	v_lshlrev_b64 v[34:35], 1, v[10:11]
	v_add_co_u32_e32 v34, vcc, v32, v34
	v_sub_u32_e32 v10, v13, v44
	v_addc_co_u32_e32 v35, vcc, v33, v35, vcc
	v_lshlrev_b64 v[10:11], 1, v[10:11]
	v_add_co_u32_e32 v10, vcc, v32, v10
	v_addc_co_u32_e32 v11, vcc, v33, v11, vcc
	s_or_b64 s[38:39], s[38:39], exec
	global_store_short_d16_hi v[34:35], v23, off
	global_store_short v[10:11], v24, off
	s_or_b64 exec, exec, s[34:35]
	s_and_b64 exec, exec, s[38:39]
	s_cbranch_execnz .LBB1481_165
	s_branch .LBB1481_166
.LBB1481_228:
	s_and_saveexec_b64 s[38:39], s[30:31]
	s_cbranch_execnz .LBB1481_292
; %bb.229:
	s_or_b64 exec, exec, s[38:39]
	s_and_saveexec_b64 s[30:31], s[28:29]
	s_cbranch_execnz .LBB1481_293
.LBB1481_230:
	s_or_b64 exec, exec, s[30:31]
	s_and_saveexec_b64 s[28:29], s[26:27]
	s_cbranch_execnz .LBB1481_294
.LBB1481_231:
	s_or_b64 exec, exec, s[28:29]
	s_and_saveexec_b64 s[26:27], s[24:25]
	s_cbranch_execnz .LBB1481_295
.LBB1481_232:
	s_or_b64 exec, exec, s[26:27]
	s_and_saveexec_b64 s[24:25], s[22:23]
	s_cbranch_execnz .LBB1481_296
.LBB1481_233:
	s_or_b64 exec, exec, s[24:25]
	s_and_saveexec_b64 s[22:23], s[20:21]
	s_cbranch_execnz .LBB1481_297
.LBB1481_234:
	s_or_b64 exec, exec, s[22:23]
	s_and_saveexec_b64 s[20:21], s[18:19]
	s_cbranch_execnz .LBB1481_298
.LBB1481_235:
	s_or_b64 exec, exec, s[20:21]
	s_and_saveexec_b64 s[18:19], s[16:17]
	s_cbranch_execnz .LBB1481_299
.LBB1481_236:
	s_or_b64 exec, exec, s[18:19]
	s_and_saveexec_b64 s[16:17], s[14:15]
	s_cbranch_execnz .LBB1481_300
.LBB1481_237:
	s_or_b64 exec, exec, s[16:17]
	s_and_saveexec_b64 s[14:15], s[12:13]
	s_cbranch_execnz .LBB1481_301
.LBB1481_238:
	s_or_b64 exec, exec, s[14:15]
	s_and_saveexec_b64 s[12:13], s[10:11]
	s_cbranch_execnz .LBB1481_302
.LBB1481_239:
	s_or_b64 exec, exec, s[12:13]
	s_and_saveexec_b64 s[10:11], s[8:9]
	s_cbranch_execnz .LBB1481_303
.LBB1481_240:
	s_or_b64 exec, exec, s[10:11]
	s_and_saveexec_b64 s[8:9], s[6:7]
	s_cbranch_execnz .LBB1481_304
.LBB1481_241:
	s_or_b64 exec, exec, s[8:9]
	s_and_saveexec_b64 s[6:7], s[4:5]
	s_cbranch_execz .LBB1481_243
.LBB1481_242:
	v_sub_u32_e32 v1, v13, v44
	v_lshlrev_b32_e32 v1, 1, v1
	ds_write_b16 v1, v24
.LBB1481_243:
	s_or_b64 exec, exec, s[6:7]
	s_and_b64 s[38:39], s[2:3], exec
                                        ; implicit-def: $vgpr1
                                        ; implicit-def: $vgpr2
	s_andn2_saveexec_b64 s[2:3], s[36:37]
	s_cbranch_execz .LBB1481_171
.LBB1481_244:
	v_sub_u32_e32 v6, v90, v44
	v_lshlrev_b32_e32 v6, 1, v6
	ds_write_b16 v6, v1
	v_sub_u32_e32 v1, v31, v44
	v_lshlrev_b32_e32 v1, 1, v1
	ds_write_b16 v1, v2
	v_sub_u32_e32 v1, v30, v44
	v_lshlrev_b32_e32 v1, 1, v1
	ds_write_b16_d16_hi v1, v2
	v_sub_u32_e32 v1, v29, v44
	v_lshlrev_b32_e32 v1, 1, v1
	ds_write_b16 v1, v3
	v_sub_u32_e32 v1, v28, v44
	v_lshlrev_b32_e32 v1, 1, v1
	ds_write_b16_d16_hi v1, v3
	;; [unrolled: 6-line block ×6, first 2 shown]
	v_sub_u32_e32 v1, v13, v44
	v_lshlrev_b32_e32 v1, 1, v1
	s_or_b64 s[38:39], s[38:39], exec
	ds_write_b16 v1, v24
	s_or_b64 exec, exec, s[2:3]
	s_and_b64 exec, exec, s[38:39]
	s_cbranch_execnz .LBB1481_172
	s_branch .LBB1481_173
.LBB1481_245:
	s_and_saveexec_b64 s[36:37], s[28:29]
	s_cbranch_execnz .LBB1481_305
; %bb.246:
	s_or_b64 exec, exec, s[36:37]
	s_and_saveexec_b64 s[36:37], s[26:27]
	s_cbranch_execnz .LBB1481_306
.LBB1481_247:
	s_or_b64 exec, exec, s[36:37]
	s_and_saveexec_b64 s[36:37], s[24:25]
	s_cbranch_execnz .LBB1481_307
.LBB1481_248:
	s_or_b64 exec, exec, s[36:37]
	s_and_saveexec_b64 s[36:37], s[22:23]
	s_cbranch_execnz .LBB1481_308
.LBB1481_249:
	s_or_b64 exec, exec, s[36:37]
	s_and_saveexec_b64 s[36:37], s[20:21]
	s_cbranch_execnz .LBB1481_309
.LBB1481_250:
	s_or_b64 exec, exec, s[36:37]
	s_and_saveexec_b64 s[36:37], s[18:19]
	s_cbranch_execnz .LBB1481_310
.LBB1481_251:
	s_or_b64 exec, exec, s[36:37]
	s_and_saveexec_b64 s[36:37], s[16:17]
	s_cbranch_execnz .LBB1481_311
.LBB1481_252:
	s_or_b64 exec, exec, s[36:37]
	s_and_saveexec_b64 s[36:37], s[14:15]
	s_cbranch_execnz .LBB1481_312
.LBB1481_253:
	s_or_b64 exec, exec, s[36:37]
	s_and_saveexec_b64 s[36:37], s[12:13]
	s_cbranch_execnz .LBB1481_313
.LBB1481_254:
	s_or_b64 exec, exec, s[36:37]
	s_and_saveexec_b64 s[36:37], s[10:11]
	s_cbranch_execnz .LBB1481_314
.LBB1481_255:
	s_or_b64 exec, exec, s[36:37]
	s_and_saveexec_b64 s[36:37], s[8:9]
	s_cbranch_execnz .LBB1481_315
.LBB1481_256:
	s_or_b64 exec, exec, s[36:37]
	s_and_saveexec_b64 s[36:37], s[6:7]
	s_cbranch_execnz .LBB1481_316
.LBB1481_257:
	s_or_b64 exec, exec, s[36:37]
	s_and_saveexec_b64 s[36:37], s[4:5]
	s_cbranch_execnz .LBB1481_317
.LBB1481_258:
	s_or_b64 exec, exec, s[36:37]
	s_and_saveexec_b64 s[36:37], s[2:3]
	s_cbranch_execz .LBB1481_260
.LBB1481_259:
	v_sub_u32_e32 v22, v13, v10
	v_mov_b32_e32 v23, 0
	v_lshlrev_b64 v[22:23], 3, v[22:23]
	v_add_co_u32_e32 v22, vcc, v6, v22
	v_addc_co_u32_e32 v23, vcc, v7, v23, vcc
	global_store_dwordx2 v[22:23], v[72:73], off
.LBB1481_260:
	s_or_b64 exec, exec, s[36:37]
	s_and_b64 s[36:37], s[0:1], exec
	s_andn2_saveexec_b64 s[30:31], s[30:31]
	s_cbranch_execz .LBB1481_193
.LBB1481_261:
	v_sub_u32_e32 v22, v90, v10
	v_mov_b32_e32 v23, 0
	v_lshlrev_b64 v[24:25], 3, v[22:23]
	v_add_co_u32_e32 v24, vcc, v6, v24
	v_addc_co_u32_e32 v25, vcc, v7, v25, vcc
	v_sub_u32_e32 v22, v31, v10
	global_store_dwordx2 v[24:25], v[70:71], off
	v_lshlrev_b64 v[24:25], 3, v[22:23]
	v_add_co_u32_e32 v24, vcc, v6, v24
	v_addc_co_u32_e32 v25, vcc, v7, v25, vcc
	v_sub_u32_e32 v22, v30, v10
	global_store_dwordx2 v[24:25], v[46:47], off
	;; [unrolled: 5-line block ×12, first 2 shown]
	v_lshlrev_b64 v[24:25], 3, v[22:23]
	v_add_co_u32_e32 v24, vcc, v6, v24
	v_sub_u32_e32 v22, v13, v10
	v_addc_co_u32_e32 v25, vcc, v7, v25, vcc
	v_lshlrev_b64 v[22:23], 3, v[22:23]
	v_add_co_u32_e32 v22, vcc, v6, v22
	v_addc_co_u32_e32 v23, vcc, v7, v23, vcc
	s_or_b64 s[36:37], s[36:37], exec
	global_store_dwordx2 v[24:25], v[68:69], off
	global_store_dwordx2 v[22:23], v[72:73], off
	s_or_b64 exec, exec, s[30:31]
	s_and_b64 exec, exec, s[36:37]
	s_cbranch_execnz .LBB1481_194
	s_branch .LBB1481_195
.LBB1481_262:
	s_and_saveexec_b64 s[36:37], s[28:29]
	s_cbranch_execnz .LBB1481_318
; %bb.263:
	s_or_b64 exec, exec, s[36:37]
	s_and_saveexec_b64 s[28:29], s[26:27]
	s_cbranch_execnz .LBB1481_319
.LBB1481_264:
	s_or_b64 exec, exec, s[28:29]
	s_and_saveexec_b64 s[26:27], s[24:25]
	s_cbranch_execnz .LBB1481_320
.LBB1481_265:
	s_or_b64 exec, exec, s[26:27]
	s_and_saveexec_b64 s[24:25], s[22:23]
	s_cbranch_execnz .LBB1481_321
.LBB1481_266:
	s_or_b64 exec, exec, s[24:25]
	s_and_saveexec_b64 s[22:23], s[20:21]
	s_cbranch_execnz .LBB1481_322
.LBB1481_267:
	s_or_b64 exec, exec, s[22:23]
	s_and_saveexec_b64 s[20:21], s[18:19]
	s_cbranch_execnz .LBB1481_323
.LBB1481_268:
	s_or_b64 exec, exec, s[20:21]
	s_and_saveexec_b64 s[18:19], s[16:17]
	s_cbranch_execnz .LBB1481_324
.LBB1481_269:
	s_or_b64 exec, exec, s[18:19]
	s_and_saveexec_b64 s[16:17], s[14:15]
	s_cbranch_execnz .LBB1481_325
.LBB1481_270:
	s_or_b64 exec, exec, s[16:17]
	s_and_saveexec_b64 s[14:15], s[12:13]
	s_cbranch_execnz .LBB1481_326
.LBB1481_271:
	s_or_b64 exec, exec, s[14:15]
	s_and_saveexec_b64 s[12:13], s[10:11]
	s_cbranch_execnz .LBB1481_327
.LBB1481_272:
	s_or_b64 exec, exec, s[12:13]
	s_and_saveexec_b64 s[10:11], s[8:9]
	s_cbranch_execnz .LBB1481_328
.LBB1481_273:
	s_or_b64 exec, exec, s[10:11]
	s_and_saveexec_b64 s[8:9], s[6:7]
	s_cbranch_execnz .LBB1481_329
.LBB1481_274:
	s_or_b64 exec, exec, s[8:9]
	s_and_saveexec_b64 s[6:7], s[4:5]
	s_cbranch_execnz .LBB1481_330
.LBB1481_275:
	s_or_b64 exec, exec, s[6:7]
	s_and_saveexec_b64 s[4:5], s[2:3]
	s_cbranch_execz .LBB1481_277
.LBB1481_276:
	v_sub_u32_e32 v11, v13, v10
	v_lshlrev_b32_e32 v11, 3, v11
	ds_write_b64 v11, v[72:73]
.LBB1481_277:
	s_or_b64 exec, exec, s[4:5]
	s_and_b64 s[36:37], s[0:1], exec
                                        ; implicit-def: $vgpr70_vgpr71
                                        ; implicit-def: $vgpr46_vgpr47
                                        ; implicit-def: $vgpr48_vgpr49
                                        ; implicit-def: $vgpr50_vgpr51
                                        ; implicit-def: $vgpr52_vgpr53
                                        ; implicit-def: $vgpr54_vgpr55
                                        ; implicit-def: $vgpr56_vgpr57
                                        ; implicit-def: $vgpr58_vgpr59
                                        ; implicit-def: $vgpr60_vgpr61
                                        ; implicit-def: $vgpr62_vgpr63
                                        ; implicit-def: $vgpr64_vgpr65
                                        ; implicit-def: $vgpr66_vgpr67
                                        ; implicit-def: $vgpr68_vgpr69
                                        ; implicit-def: $vgpr72_vgpr73
                                        ; implicit-def: $vgpr90
                                        ; implicit-def: $vgpr31
                                        ; implicit-def: $vgpr30
                                        ; implicit-def: $vgpr29
                                        ; implicit-def: $vgpr28
                                        ; implicit-def: $vgpr21
                                        ; implicit-def: $vgpr20
                                        ; implicit-def: $vgpr19
                                        ; implicit-def: $vgpr18
                                        ; implicit-def: $vgpr17
                                        ; implicit-def: $vgpr16
                                        ; implicit-def: $vgpr15
                                        ; implicit-def: $vgpr14
                                        ; implicit-def: $vgpr13
	s_andn2_saveexec_b64 s[0:1], s[34:35]
	s_cbranch_execz .LBB1481_200
.LBB1481_278:
	v_sub_u32_e32 v11, v90, v10
	v_lshlrev_b32_e32 v11, 3, v11
	ds_write_b64 v11, v[70:71]
	v_sub_u32_e32 v11, v31, v10
	v_lshlrev_b32_e32 v11, 3, v11
	ds_write_b64 v11, v[46:47]
	;; [unrolled: 3-line block ×13, first 2 shown]
	v_sub_u32_e32 v11, v13, v10
	v_lshlrev_b32_e32 v11, 3, v11
	s_or_b64 s[36:37], s[36:37], exec
	ds_write_b64 v11, v[72:73]
	s_or_b64 exec, exec, s[0:1]
	s_and_b64 exec, exec, s[36:37]
	s_cbranch_execnz .LBB1481_201
	s_branch .LBB1481_202
.LBB1481_279:
	v_sub_u32_e32 v10, v90, v44
	v_mov_b32_e32 v11, 0
	v_lshlrev_b64 v[10:11], 1, v[10:11]
	v_add_co_u32_e32 v10, vcc, v32, v10
	v_addc_co_u32_e32 v11, vcc, v33, v11, vcc
	global_store_short v[10:11], v1, off
	s_or_b64 exec, exec, s[38:39]
	s_and_saveexec_b64 s[38:39], s[28:29]
	s_cbranch_execz .LBB1481_213
.LBB1481_280:
	v_sub_u32_e32 v10, v31, v44
	v_mov_b32_e32 v11, 0
	v_lshlrev_b64 v[10:11], 1, v[10:11]
	v_add_co_u32_e32 v10, vcc, v32, v10
	v_addc_co_u32_e32 v11, vcc, v33, v11, vcc
	global_store_short v[10:11], v2, off
	s_or_b64 exec, exec, s[38:39]
	s_and_saveexec_b64 s[38:39], s[26:27]
	s_cbranch_execz .LBB1481_214
.LBB1481_281:
	v_sub_u32_e32 v10, v30, v44
	v_mov_b32_e32 v11, 0
	v_lshlrev_b64 v[10:11], 1, v[10:11]
	v_add_co_u32_e32 v10, vcc, v32, v10
	v_addc_co_u32_e32 v11, vcc, v33, v11, vcc
	global_store_short_d16_hi v[10:11], v2, off
	s_or_b64 exec, exec, s[38:39]
	s_and_saveexec_b64 s[38:39], s[24:25]
	s_cbranch_execz .LBB1481_215
.LBB1481_282:
	v_sub_u32_e32 v10, v29, v44
	v_mov_b32_e32 v11, 0
	v_lshlrev_b64 v[10:11], 1, v[10:11]
	v_add_co_u32_e32 v10, vcc, v32, v10
	v_addc_co_u32_e32 v11, vcc, v33, v11, vcc
	global_store_short v[10:11], v3, off
	s_or_b64 exec, exec, s[38:39]
	s_and_saveexec_b64 s[38:39], s[22:23]
	s_cbranch_execz .LBB1481_216
.LBB1481_283:
	v_sub_u32_e32 v10, v28, v44
	v_mov_b32_e32 v11, 0
	v_lshlrev_b64 v[10:11], 1, v[10:11]
	v_add_co_u32_e32 v10, vcc, v32, v10
	v_addc_co_u32_e32 v11, vcc, v33, v11, vcc
	global_store_short_d16_hi v[10:11], v3, off
	s_or_b64 exec, exec, s[38:39]
	s_and_saveexec_b64 s[38:39], s[20:21]
	s_cbranch_execz .LBB1481_217
.LBB1481_284:
	v_sub_u32_e32 v10, v21, v44
	v_mov_b32_e32 v11, 0
	v_lshlrev_b64 v[10:11], 1, v[10:11]
	v_add_co_u32_e32 v10, vcc, v32, v10
	v_addc_co_u32_e32 v11, vcc, v33, v11, vcc
	global_store_short v[10:11], v4, off
	s_or_b64 exec, exec, s[38:39]
	s_and_saveexec_b64 s[38:39], s[18:19]
	s_cbranch_execz .LBB1481_218
.LBB1481_285:
	v_sub_u32_e32 v10, v20, v44
	v_mov_b32_e32 v11, 0
	v_lshlrev_b64 v[10:11], 1, v[10:11]
	v_add_co_u32_e32 v10, vcc, v32, v10
	v_addc_co_u32_e32 v11, vcc, v33, v11, vcc
	global_store_short_d16_hi v[10:11], v4, off
	s_or_b64 exec, exec, s[38:39]
	s_and_saveexec_b64 s[38:39], s[16:17]
	s_cbranch_execz .LBB1481_219
.LBB1481_286:
	v_sub_u32_e32 v10, v19, v44
	v_mov_b32_e32 v11, 0
	v_lshlrev_b64 v[10:11], 1, v[10:11]
	v_add_co_u32_e32 v10, vcc, v32, v10
	v_addc_co_u32_e32 v11, vcc, v33, v11, vcc
	global_store_short v[10:11], v5, off
	s_or_b64 exec, exec, s[38:39]
	s_and_saveexec_b64 s[38:39], s[14:15]
	s_cbranch_execz .LBB1481_220
.LBB1481_287:
	v_sub_u32_e32 v10, v18, v44
	v_mov_b32_e32 v11, 0
	v_lshlrev_b64 v[10:11], 1, v[10:11]
	v_add_co_u32_e32 v10, vcc, v32, v10
	v_addc_co_u32_e32 v11, vcc, v33, v11, vcc
	global_store_short_d16_hi v[10:11], v5, off
	s_or_b64 exec, exec, s[38:39]
	s_and_saveexec_b64 s[38:39], s[12:13]
	s_cbranch_execz .LBB1481_221
.LBB1481_288:
	v_sub_u32_e32 v10, v17, v44
	v_mov_b32_e32 v11, 0
	v_lshlrev_b64 v[10:11], 1, v[10:11]
	v_add_co_u32_e32 v10, vcc, v32, v10
	v_addc_co_u32_e32 v11, vcc, v33, v11, vcc
	global_store_short v[10:11], v22, off
	s_or_b64 exec, exec, s[38:39]
	s_and_saveexec_b64 s[38:39], s[10:11]
	s_cbranch_execz .LBB1481_222
.LBB1481_289:
	v_sub_u32_e32 v10, v16, v44
	v_mov_b32_e32 v11, 0
	v_lshlrev_b64 v[10:11], 1, v[10:11]
	v_add_co_u32_e32 v10, vcc, v32, v10
	v_addc_co_u32_e32 v11, vcc, v33, v11, vcc
	global_store_short_d16_hi v[10:11], v22, off
	s_or_b64 exec, exec, s[38:39]
	s_and_saveexec_b64 s[38:39], s[8:9]
	s_cbranch_execz .LBB1481_223
.LBB1481_290:
	v_sub_u32_e32 v10, v15, v44
	v_mov_b32_e32 v11, 0
	v_lshlrev_b64 v[10:11], 1, v[10:11]
	v_add_co_u32_e32 v10, vcc, v32, v10
	v_addc_co_u32_e32 v11, vcc, v33, v11, vcc
	global_store_short v[10:11], v23, off
	s_or_b64 exec, exec, s[38:39]
	s_and_saveexec_b64 s[38:39], s[6:7]
	s_cbranch_execz .LBB1481_224
.LBB1481_291:
	v_sub_u32_e32 v10, v14, v44
	v_mov_b32_e32 v11, 0
	v_lshlrev_b64 v[10:11], 1, v[10:11]
	v_add_co_u32_e32 v10, vcc, v32, v10
	v_addc_co_u32_e32 v11, vcc, v33, v11, vcc
	global_store_short_d16_hi v[10:11], v23, off
	s_or_b64 exec, exec, s[38:39]
	s_and_saveexec_b64 s[38:39], s[4:5]
	s_cbranch_execnz .LBB1481_225
	s_branch .LBB1481_226
.LBB1481_292:
	v_sub_u32_e32 v6, v90, v44
	v_lshlrev_b32_e32 v6, 1, v6
	ds_write_b16 v6, v1
	s_or_b64 exec, exec, s[38:39]
	s_and_saveexec_b64 s[30:31], s[28:29]
	s_cbranch_execz .LBB1481_230
.LBB1481_293:
	v_sub_u32_e32 v1, v31, v44
	v_lshlrev_b32_e32 v1, 1, v1
	ds_write_b16 v1, v2
	s_or_b64 exec, exec, s[30:31]
	s_and_saveexec_b64 s[28:29], s[26:27]
	s_cbranch_execz .LBB1481_231
.LBB1481_294:
	v_sub_u32_e32 v1, v30, v44
	v_lshlrev_b32_e32 v1, 1, v1
	ds_write_b16_d16_hi v1, v2
	s_or_b64 exec, exec, s[28:29]
	s_and_saveexec_b64 s[26:27], s[24:25]
	s_cbranch_execz .LBB1481_232
.LBB1481_295:
	v_sub_u32_e32 v1, v29, v44
	v_lshlrev_b32_e32 v1, 1, v1
	ds_write_b16 v1, v3
	s_or_b64 exec, exec, s[26:27]
	s_and_saveexec_b64 s[24:25], s[22:23]
	s_cbranch_execz .LBB1481_233
.LBB1481_296:
	v_sub_u32_e32 v1, v28, v44
	v_lshlrev_b32_e32 v1, 1, v1
	ds_write_b16_d16_hi v1, v3
	s_or_b64 exec, exec, s[24:25]
	s_and_saveexec_b64 s[22:23], s[20:21]
	s_cbranch_execz .LBB1481_234
.LBB1481_297:
	v_sub_u32_e32 v1, v21, v44
	v_lshlrev_b32_e32 v1, 1, v1
	ds_write_b16 v1, v4
	s_or_b64 exec, exec, s[22:23]
	s_and_saveexec_b64 s[20:21], s[18:19]
	s_cbranch_execz .LBB1481_235
.LBB1481_298:
	v_sub_u32_e32 v1, v20, v44
	v_lshlrev_b32_e32 v1, 1, v1
	ds_write_b16_d16_hi v1, v4
	s_or_b64 exec, exec, s[20:21]
	s_and_saveexec_b64 s[18:19], s[16:17]
	s_cbranch_execz .LBB1481_236
.LBB1481_299:
	v_sub_u32_e32 v1, v19, v44
	v_lshlrev_b32_e32 v1, 1, v1
	ds_write_b16 v1, v5
	s_or_b64 exec, exec, s[18:19]
	s_and_saveexec_b64 s[16:17], s[14:15]
	s_cbranch_execz .LBB1481_237
.LBB1481_300:
	v_sub_u32_e32 v1, v18, v44
	v_lshlrev_b32_e32 v1, 1, v1
	ds_write_b16_d16_hi v1, v5
	s_or_b64 exec, exec, s[16:17]
	s_and_saveexec_b64 s[14:15], s[12:13]
	s_cbranch_execz .LBB1481_238
.LBB1481_301:
	v_sub_u32_e32 v1, v17, v44
	v_lshlrev_b32_e32 v1, 1, v1
	ds_write_b16 v1, v22
	s_or_b64 exec, exec, s[14:15]
	s_and_saveexec_b64 s[12:13], s[10:11]
	s_cbranch_execz .LBB1481_239
.LBB1481_302:
	v_sub_u32_e32 v1, v16, v44
	v_lshlrev_b32_e32 v1, 1, v1
	ds_write_b16_d16_hi v1, v22
	s_or_b64 exec, exec, s[12:13]
	s_and_saveexec_b64 s[10:11], s[8:9]
	s_cbranch_execz .LBB1481_240
.LBB1481_303:
	v_sub_u32_e32 v1, v15, v44
	v_lshlrev_b32_e32 v1, 1, v1
	ds_write_b16 v1, v23
	s_or_b64 exec, exec, s[10:11]
	s_and_saveexec_b64 s[8:9], s[6:7]
	s_cbranch_execz .LBB1481_241
.LBB1481_304:
	v_sub_u32_e32 v1, v14, v44
	v_lshlrev_b32_e32 v1, 1, v1
	ds_write_b16_d16_hi v1, v23
	s_or_b64 exec, exec, s[8:9]
	s_and_saveexec_b64 s[6:7], s[4:5]
	s_cbranch_execnz .LBB1481_242
	s_branch .LBB1481_243
.LBB1481_305:
	v_sub_u32_e32 v22, v90, v10
	v_mov_b32_e32 v23, 0
	v_lshlrev_b64 v[22:23], 3, v[22:23]
	v_add_co_u32_e32 v22, vcc, v6, v22
	v_addc_co_u32_e32 v23, vcc, v7, v23, vcc
	global_store_dwordx2 v[22:23], v[70:71], off
	s_or_b64 exec, exec, s[36:37]
	s_and_saveexec_b64 s[36:37], s[26:27]
	s_cbranch_execz .LBB1481_247
.LBB1481_306:
	v_sub_u32_e32 v22, v31, v10
	v_mov_b32_e32 v23, 0
	v_lshlrev_b64 v[22:23], 3, v[22:23]
	v_add_co_u32_e32 v22, vcc, v6, v22
	v_addc_co_u32_e32 v23, vcc, v7, v23, vcc
	global_store_dwordx2 v[22:23], v[46:47], off
	s_or_b64 exec, exec, s[36:37]
	s_and_saveexec_b64 s[36:37], s[24:25]
	s_cbranch_execz .LBB1481_248
.LBB1481_307:
	v_sub_u32_e32 v22, v30, v10
	v_mov_b32_e32 v23, 0
	v_lshlrev_b64 v[22:23], 3, v[22:23]
	v_add_co_u32_e32 v22, vcc, v6, v22
	v_addc_co_u32_e32 v23, vcc, v7, v23, vcc
	global_store_dwordx2 v[22:23], v[48:49], off
	s_or_b64 exec, exec, s[36:37]
	s_and_saveexec_b64 s[36:37], s[22:23]
	s_cbranch_execz .LBB1481_249
.LBB1481_308:
	v_sub_u32_e32 v22, v29, v10
	v_mov_b32_e32 v23, 0
	v_lshlrev_b64 v[22:23], 3, v[22:23]
	v_add_co_u32_e32 v22, vcc, v6, v22
	v_addc_co_u32_e32 v23, vcc, v7, v23, vcc
	global_store_dwordx2 v[22:23], v[50:51], off
	s_or_b64 exec, exec, s[36:37]
	s_and_saveexec_b64 s[36:37], s[20:21]
	s_cbranch_execz .LBB1481_250
.LBB1481_309:
	v_sub_u32_e32 v22, v28, v10
	v_mov_b32_e32 v23, 0
	v_lshlrev_b64 v[22:23], 3, v[22:23]
	v_add_co_u32_e32 v22, vcc, v6, v22
	v_addc_co_u32_e32 v23, vcc, v7, v23, vcc
	global_store_dwordx2 v[22:23], v[52:53], off
	s_or_b64 exec, exec, s[36:37]
	s_and_saveexec_b64 s[36:37], s[18:19]
	s_cbranch_execz .LBB1481_251
.LBB1481_310:
	v_sub_u32_e32 v22, v21, v10
	v_mov_b32_e32 v23, 0
	v_lshlrev_b64 v[22:23], 3, v[22:23]
	v_add_co_u32_e32 v22, vcc, v6, v22
	v_addc_co_u32_e32 v23, vcc, v7, v23, vcc
	global_store_dwordx2 v[22:23], v[54:55], off
	s_or_b64 exec, exec, s[36:37]
	s_and_saveexec_b64 s[36:37], s[16:17]
	s_cbranch_execz .LBB1481_252
.LBB1481_311:
	v_sub_u32_e32 v22, v20, v10
	v_mov_b32_e32 v23, 0
	v_lshlrev_b64 v[22:23], 3, v[22:23]
	v_add_co_u32_e32 v22, vcc, v6, v22
	v_addc_co_u32_e32 v23, vcc, v7, v23, vcc
	global_store_dwordx2 v[22:23], v[56:57], off
	s_or_b64 exec, exec, s[36:37]
	s_and_saveexec_b64 s[36:37], s[14:15]
	s_cbranch_execz .LBB1481_253
.LBB1481_312:
	v_sub_u32_e32 v22, v19, v10
	v_mov_b32_e32 v23, 0
	v_lshlrev_b64 v[22:23], 3, v[22:23]
	v_add_co_u32_e32 v22, vcc, v6, v22
	v_addc_co_u32_e32 v23, vcc, v7, v23, vcc
	global_store_dwordx2 v[22:23], v[58:59], off
	s_or_b64 exec, exec, s[36:37]
	s_and_saveexec_b64 s[36:37], s[12:13]
	s_cbranch_execz .LBB1481_254
.LBB1481_313:
	v_sub_u32_e32 v22, v18, v10
	v_mov_b32_e32 v23, 0
	v_lshlrev_b64 v[22:23], 3, v[22:23]
	v_add_co_u32_e32 v22, vcc, v6, v22
	v_addc_co_u32_e32 v23, vcc, v7, v23, vcc
	global_store_dwordx2 v[22:23], v[60:61], off
	s_or_b64 exec, exec, s[36:37]
	s_and_saveexec_b64 s[36:37], s[10:11]
	s_cbranch_execz .LBB1481_255
.LBB1481_314:
	v_sub_u32_e32 v22, v17, v10
	v_mov_b32_e32 v23, 0
	v_lshlrev_b64 v[22:23], 3, v[22:23]
	v_add_co_u32_e32 v22, vcc, v6, v22
	v_addc_co_u32_e32 v23, vcc, v7, v23, vcc
	global_store_dwordx2 v[22:23], v[62:63], off
	s_or_b64 exec, exec, s[36:37]
	s_and_saveexec_b64 s[36:37], s[8:9]
	s_cbranch_execz .LBB1481_256
.LBB1481_315:
	v_sub_u32_e32 v22, v16, v10
	v_mov_b32_e32 v23, 0
	v_lshlrev_b64 v[22:23], 3, v[22:23]
	v_add_co_u32_e32 v22, vcc, v6, v22
	v_addc_co_u32_e32 v23, vcc, v7, v23, vcc
	global_store_dwordx2 v[22:23], v[64:65], off
	s_or_b64 exec, exec, s[36:37]
	s_and_saveexec_b64 s[36:37], s[6:7]
	s_cbranch_execz .LBB1481_257
.LBB1481_316:
	v_sub_u32_e32 v22, v15, v10
	v_mov_b32_e32 v23, 0
	v_lshlrev_b64 v[22:23], 3, v[22:23]
	v_add_co_u32_e32 v22, vcc, v6, v22
	v_addc_co_u32_e32 v23, vcc, v7, v23, vcc
	global_store_dwordx2 v[22:23], v[66:67], off
	s_or_b64 exec, exec, s[36:37]
	s_and_saveexec_b64 s[36:37], s[4:5]
	s_cbranch_execz .LBB1481_258
.LBB1481_317:
	v_sub_u32_e32 v22, v14, v10
	v_mov_b32_e32 v23, 0
	v_lshlrev_b64 v[22:23], 3, v[22:23]
	v_add_co_u32_e32 v22, vcc, v6, v22
	v_addc_co_u32_e32 v23, vcc, v7, v23, vcc
	global_store_dwordx2 v[22:23], v[68:69], off
	s_or_b64 exec, exec, s[36:37]
	s_and_saveexec_b64 s[36:37], s[2:3]
	s_cbranch_execnz .LBB1481_259
	s_branch .LBB1481_260
.LBB1481_318:
	v_sub_u32_e32 v11, v90, v10
	v_lshlrev_b32_e32 v11, 3, v11
	ds_write_b64 v11, v[70:71]
	s_or_b64 exec, exec, s[36:37]
	s_and_saveexec_b64 s[28:29], s[26:27]
	s_cbranch_execz .LBB1481_264
.LBB1481_319:
	v_sub_u32_e32 v11, v31, v10
	v_lshlrev_b32_e32 v11, 3, v11
	ds_write_b64 v11, v[46:47]
	s_or_b64 exec, exec, s[28:29]
	s_and_saveexec_b64 s[26:27], s[24:25]
	s_cbranch_execz .LBB1481_265
.LBB1481_320:
	v_sub_u32_e32 v11, v30, v10
	v_lshlrev_b32_e32 v11, 3, v11
	ds_write_b64 v11, v[48:49]
	s_or_b64 exec, exec, s[26:27]
	s_and_saveexec_b64 s[24:25], s[22:23]
	s_cbranch_execz .LBB1481_266
.LBB1481_321:
	v_sub_u32_e32 v11, v29, v10
	v_lshlrev_b32_e32 v11, 3, v11
	ds_write_b64 v11, v[50:51]
	s_or_b64 exec, exec, s[24:25]
	s_and_saveexec_b64 s[22:23], s[20:21]
	s_cbranch_execz .LBB1481_267
.LBB1481_322:
	v_sub_u32_e32 v11, v28, v10
	v_lshlrev_b32_e32 v11, 3, v11
	ds_write_b64 v11, v[52:53]
	s_or_b64 exec, exec, s[22:23]
	s_and_saveexec_b64 s[20:21], s[18:19]
	s_cbranch_execz .LBB1481_268
.LBB1481_323:
	v_sub_u32_e32 v11, v21, v10
	v_lshlrev_b32_e32 v11, 3, v11
	ds_write_b64 v11, v[54:55]
	s_or_b64 exec, exec, s[20:21]
	s_and_saveexec_b64 s[18:19], s[16:17]
	s_cbranch_execz .LBB1481_269
.LBB1481_324:
	v_sub_u32_e32 v11, v20, v10
	v_lshlrev_b32_e32 v11, 3, v11
	ds_write_b64 v11, v[56:57]
	s_or_b64 exec, exec, s[18:19]
	s_and_saveexec_b64 s[16:17], s[14:15]
	s_cbranch_execz .LBB1481_270
.LBB1481_325:
	v_sub_u32_e32 v11, v19, v10
	v_lshlrev_b32_e32 v11, 3, v11
	ds_write_b64 v11, v[58:59]
	s_or_b64 exec, exec, s[16:17]
	s_and_saveexec_b64 s[14:15], s[12:13]
	s_cbranch_execz .LBB1481_271
.LBB1481_326:
	v_sub_u32_e32 v11, v18, v10
	v_lshlrev_b32_e32 v11, 3, v11
	ds_write_b64 v11, v[60:61]
	s_or_b64 exec, exec, s[14:15]
	s_and_saveexec_b64 s[12:13], s[10:11]
	s_cbranch_execz .LBB1481_272
.LBB1481_327:
	v_sub_u32_e32 v11, v17, v10
	v_lshlrev_b32_e32 v11, 3, v11
	ds_write_b64 v11, v[62:63]
	s_or_b64 exec, exec, s[12:13]
	s_and_saveexec_b64 s[10:11], s[8:9]
	s_cbranch_execz .LBB1481_273
.LBB1481_328:
	v_sub_u32_e32 v11, v16, v10
	v_lshlrev_b32_e32 v11, 3, v11
	ds_write_b64 v11, v[64:65]
	s_or_b64 exec, exec, s[10:11]
	s_and_saveexec_b64 s[8:9], s[6:7]
	s_cbranch_execz .LBB1481_274
.LBB1481_329:
	v_sub_u32_e32 v11, v15, v10
	v_lshlrev_b32_e32 v11, 3, v11
	ds_write_b64 v11, v[66:67]
	s_or_b64 exec, exec, s[8:9]
	s_and_saveexec_b64 s[6:7], s[4:5]
	s_cbranch_execz .LBB1481_275
.LBB1481_330:
	v_sub_u32_e32 v11, v14, v10
	v_lshlrev_b32_e32 v11, 3, v11
	ds_write_b64 v11, v[68:69]
	s_or_b64 exec, exec, s[6:7]
	s_and_saveexec_b64 s[4:5], s[2:3]
	s_cbranch_execnz .LBB1481_276
	s_branch .LBB1481_277
	.section	.rodata,"a",@progbits
	.p2align	6, 0x0
	.amdhsa_kernel _ZN7rocprim17ROCPRIM_400000_NS6detail17trampoline_kernelINS0_14default_configENS1_29reduce_by_key_config_selectorIslN6thrust23THRUST_200600_302600_NS4plusIlEEEEZZNS1_33reduce_by_key_impl_wrapped_configILNS1_25lookback_scan_determinismE0ES3_S9_PsNS6_17constant_iteratorIiNS6_11use_defaultESE_EENS6_10device_ptrIsEENSG_IlEEPmS8_NS6_8equal_toIsEEEE10hipError_tPvRmT2_T3_mT4_T5_T6_T7_T8_P12ihipStream_tbENKUlT_T0_E_clISt17integral_constantIbLb1EES13_EEDaSY_SZ_EUlSY_E_NS1_11comp_targetILNS1_3genE4ELNS1_11target_archE910ELNS1_3gpuE8ELNS1_3repE0EEENS1_30default_config_static_selectorELNS0_4arch9wavefront6targetE1EEEvT1_
		.amdhsa_group_segment_fixed_size 30720
		.amdhsa_private_segment_fixed_size 0
		.amdhsa_kernarg_size 144
		.amdhsa_user_sgpr_count 6
		.amdhsa_user_sgpr_private_segment_buffer 1
		.amdhsa_user_sgpr_dispatch_ptr 0
		.amdhsa_user_sgpr_queue_ptr 0
		.amdhsa_user_sgpr_kernarg_segment_ptr 1
		.amdhsa_user_sgpr_dispatch_id 0
		.amdhsa_user_sgpr_flat_scratch_init 0
		.amdhsa_user_sgpr_kernarg_preload_length 0
		.amdhsa_user_sgpr_kernarg_preload_offset 0
		.amdhsa_user_sgpr_private_segment_size 0
		.amdhsa_uses_dynamic_stack 0
		.amdhsa_system_sgpr_private_segment_wavefront_offset 0
		.amdhsa_system_sgpr_workgroup_id_x 1
		.amdhsa_system_sgpr_workgroup_id_y 0
		.amdhsa_system_sgpr_workgroup_id_z 0
		.amdhsa_system_sgpr_workgroup_info 0
		.amdhsa_system_vgpr_workitem_id 0
		.amdhsa_next_free_vgpr 127
		.amdhsa_next_free_sgpr 66
		.amdhsa_accum_offset 128
		.amdhsa_reserve_vcc 1
		.amdhsa_reserve_flat_scratch 0
		.amdhsa_float_round_mode_32 0
		.amdhsa_float_round_mode_16_64 0
		.amdhsa_float_denorm_mode_32 3
		.amdhsa_float_denorm_mode_16_64 3
		.amdhsa_dx10_clamp 1
		.amdhsa_ieee_mode 1
		.amdhsa_fp16_overflow 0
		.amdhsa_tg_split 0
		.amdhsa_exception_fp_ieee_invalid_op 0
		.amdhsa_exception_fp_denorm_src 0
		.amdhsa_exception_fp_ieee_div_zero 0
		.amdhsa_exception_fp_ieee_overflow 0
		.amdhsa_exception_fp_ieee_underflow 0
		.amdhsa_exception_fp_ieee_inexact 0
		.amdhsa_exception_int_div_zero 0
	.end_amdhsa_kernel
	.section	.text._ZN7rocprim17ROCPRIM_400000_NS6detail17trampoline_kernelINS0_14default_configENS1_29reduce_by_key_config_selectorIslN6thrust23THRUST_200600_302600_NS4plusIlEEEEZZNS1_33reduce_by_key_impl_wrapped_configILNS1_25lookback_scan_determinismE0ES3_S9_PsNS6_17constant_iteratorIiNS6_11use_defaultESE_EENS6_10device_ptrIsEENSG_IlEEPmS8_NS6_8equal_toIsEEEE10hipError_tPvRmT2_T3_mT4_T5_T6_T7_T8_P12ihipStream_tbENKUlT_T0_E_clISt17integral_constantIbLb1EES13_EEDaSY_SZ_EUlSY_E_NS1_11comp_targetILNS1_3genE4ELNS1_11target_archE910ELNS1_3gpuE8ELNS1_3repE0EEENS1_30default_config_static_selectorELNS0_4arch9wavefront6targetE1EEEvT1_,"axG",@progbits,_ZN7rocprim17ROCPRIM_400000_NS6detail17trampoline_kernelINS0_14default_configENS1_29reduce_by_key_config_selectorIslN6thrust23THRUST_200600_302600_NS4plusIlEEEEZZNS1_33reduce_by_key_impl_wrapped_configILNS1_25lookback_scan_determinismE0ES3_S9_PsNS6_17constant_iteratorIiNS6_11use_defaultESE_EENS6_10device_ptrIsEENSG_IlEEPmS8_NS6_8equal_toIsEEEE10hipError_tPvRmT2_T3_mT4_T5_T6_T7_T8_P12ihipStream_tbENKUlT_T0_E_clISt17integral_constantIbLb1EES13_EEDaSY_SZ_EUlSY_E_NS1_11comp_targetILNS1_3genE4ELNS1_11target_archE910ELNS1_3gpuE8ELNS1_3repE0EEENS1_30default_config_static_selectorELNS0_4arch9wavefront6targetE1EEEvT1_,comdat
.Lfunc_end1481:
	.size	_ZN7rocprim17ROCPRIM_400000_NS6detail17trampoline_kernelINS0_14default_configENS1_29reduce_by_key_config_selectorIslN6thrust23THRUST_200600_302600_NS4plusIlEEEEZZNS1_33reduce_by_key_impl_wrapped_configILNS1_25lookback_scan_determinismE0ES3_S9_PsNS6_17constant_iteratorIiNS6_11use_defaultESE_EENS6_10device_ptrIsEENSG_IlEEPmS8_NS6_8equal_toIsEEEE10hipError_tPvRmT2_T3_mT4_T5_T6_T7_T8_P12ihipStream_tbENKUlT_T0_E_clISt17integral_constantIbLb1EES13_EEDaSY_SZ_EUlSY_E_NS1_11comp_targetILNS1_3genE4ELNS1_11target_archE910ELNS1_3gpuE8ELNS1_3repE0EEENS1_30default_config_static_selectorELNS0_4arch9wavefront6targetE1EEEvT1_, .Lfunc_end1481-_ZN7rocprim17ROCPRIM_400000_NS6detail17trampoline_kernelINS0_14default_configENS1_29reduce_by_key_config_selectorIslN6thrust23THRUST_200600_302600_NS4plusIlEEEEZZNS1_33reduce_by_key_impl_wrapped_configILNS1_25lookback_scan_determinismE0ES3_S9_PsNS6_17constant_iteratorIiNS6_11use_defaultESE_EENS6_10device_ptrIsEENSG_IlEEPmS8_NS6_8equal_toIsEEEE10hipError_tPvRmT2_T3_mT4_T5_T6_T7_T8_P12ihipStream_tbENKUlT_T0_E_clISt17integral_constantIbLb1EES13_EEDaSY_SZ_EUlSY_E_NS1_11comp_targetILNS1_3genE4ELNS1_11target_archE910ELNS1_3gpuE8ELNS1_3repE0EEENS1_30default_config_static_selectorELNS0_4arch9wavefront6targetE1EEEvT1_
                                        ; -- End function
	.section	.AMDGPU.csdata,"",@progbits
; Kernel info:
; codeLenInByte = 17488
; NumSgprs: 70
; NumVgprs: 127
; NumAgprs: 0
; TotalNumVgprs: 127
; ScratchSize: 0
; MemoryBound: 0
; FloatMode: 240
; IeeeMode: 1
; LDSByteSize: 30720 bytes/workgroup (compile time only)
; SGPRBlocks: 8
; VGPRBlocks: 15
; NumSGPRsForWavesPerEU: 70
; NumVGPRsForWavesPerEU: 127
; AccumOffset: 128
; Occupancy: 2
; WaveLimiterHint : 1
; COMPUTE_PGM_RSRC2:SCRATCH_EN: 0
; COMPUTE_PGM_RSRC2:USER_SGPR: 6
; COMPUTE_PGM_RSRC2:TRAP_HANDLER: 0
; COMPUTE_PGM_RSRC2:TGID_X_EN: 1
; COMPUTE_PGM_RSRC2:TGID_Y_EN: 0
; COMPUTE_PGM_RSRC2:TGID_Z_EN: 0
; COMPUTE_PGM_RSRC2:TIDIG_COMP_CNT: 0
; COMPUTE_PGM_RSRC3_GFX90A:ACCUM_OFFSET: 31
; COMPUTE_PGM_RSRC3_GFX90A:TG_SPLIT: 0
	.section	.text._ZN7rocprim17ROCPRIM_400000_NS6detail17trampoline_kernelINS0_14default_configENS1_29reduce_by_key_config_selectorIslN6thrust23THRUST_200600_302600_NS4plusIlEEEEZZNS1_33reduce_by_key_impl_wrapped_configILNS1_25lookback_scan_determinismE0ES3_S9_PsNS6_17constant_iteratorIiNS6_11use_defaultESE_EENS6_10device_ptrIsEENSG_IlEEPmS8_NS6_8equal_toIsEEEE10hipError_tPvRmT2_T3_mT4_T5_T6_T7_T8_P12ihipStream_tbENKUlT_T0_E_clISt17integral_constantIbLb1EES13_EEDaSY_SZ_EUlSY_E_NS1_11comp_targetILNS1_3genE3ELNS1_11target_archE908ELNS1_3gpuE7ELNS1_3repE0EEENS1_30default_config_static_selectorELNS0_4arch9wavefront6targetE1EEEvT1_,"axG",@progbits,_ZN7rocprim17ROCPRIM_400000_NS6detail17trampoline_kernelINS0_14default_configENS1_29reduce_by_key_config_selectorIslN6thrust23THRUST_200600_302600_NS4plusIlEEEEZZNS1_33reduce_by_key_impl_wrapped_configILNS1_25lookback_scan_determinismE0ES3_S9_PsNS6_17constant_iteratorIiNS6_11use_defaultESE_EENS6_10device_ptrIsEENSG_IlEEPmS8_NS6_8equal_toIsEEEE10hipError_tPvRmT2_T3_mT4_T5_T6_T7_T8_P12ihipStream_tbENKUlT_T0_E_clISt17integral_constantIbLb1EES13_EEDaSY_SZ_EUlSY_E_NS1_11comp_targetILNS1_3genE3ELNS1_11target_archE908ELNS1_3gpuE7ELNS1_3repE0EEENS1_30default_config_static_selectorELNS0_4arch9wavefront6targetE1EEEvT1_,comdat
	.protected	_ZN7rocprim17ROCPRIM_400000_NS6detail17trampoline_kernelINS0_14default_configENS1_29reduce_by_key_config_selectorIslN6thrust23THRUST_200600_302600_NS4plusIlEEEEZZNS1_33reduce_by_key_impl_wrapped_configILNS1_25lookback_scan_determinismE0ES3_S9_PsNS6_17constant_iteratorIiNS6_11use_defaultESE_EENS6_10device_ptrIsEENSG_IlEEPmS8_NS6_8equal_toIsEEEE10hipError_tPvRmT2_T3_mT4_T5_T6_T7_T8_P12ihipStream_tbENKUlT_T0_E_clISt17integral_constantIbLb1EES13_EEDaSY_SZ_EUlSY_E_NS1_11comp_targetILNS1_3genE3ELNS1_11target_archE908ELNS1_3gpuE7ELNS1_3repE0EEENS1_30default_config_static_selectorELNS0_4arch9wavefront6targetE1EEEvT1_ ; -- Begin function _ZN7rocprim17ROCPRIM_400000_NS6detail17trampoline_kernelINS0_14default_configENS1_29reduce_by_key_config_selectorIslN6thrust23THRUST_200600_302600_NS4plusIlEEEEZZNS1_33reduce_by_key_impl_wrapped_configILNS1_25lookback_scan_determinismE0ES3_S9_PsNS6_17constant_iteratorIiNS6_11use_defaultESE_EENS6_10device_ptrIsEENSG_IlEEPmS8_NS6_8equal_toIsEEEE10hipError_tPvRmT2_T3_mT4_T5_T6_T7_T8_P12ihipStream_tbENKUlT_T0_E_clISt17integral_constantIbLb1EES13_EEDaSY_SZ_EUlSY_E_NS1_11comp_targetILNS1_3genE3ELNS1_11target_archE908ELNS1_3gpuE7ELNS1_3repE0EEENS1_30default_config_static_selectorELNS0_4arch9wavefront6targetE1EEEvT1_
	.globl	_ZN7rocprim17ROCPRIM_400000_NS6detail17trampoline_kernelINS0_14default_configENS1_29reduce_by_key_config_selectorIslN6thrust23THRUST_200600_302600_NS4plusIlEEEEZZNS1_33reduce_by_key_impl_wrapped_configILNS1_25lookback_scan_determinismE0ES3_S9_PsNS6_17constant_iteratorIiNS6_11use_defaultESE_EENS6_10device_ptrIsEENSG_IlEEPmS8_NS6_8equal_toIsEEEE10hipError_tPvRmT2_T3_mT4_T5_T6_T7_T8_P12ihipStream_tbENKUlT_T0_E_clISt17integral_constantIbLb1EES13_EEDaSY_SZ_EUlSY_E_NS1_11comp_targetILNS1_3genE3ELNS1_11target_archE908ELNS1_3gpuE7ELNS1_3repE0EEENS1_30default_config_static_selectorELNS0_4arch9wavefront6targetE1EEEvT1_
	.p2align	8
	.type	_ZN7rocprim17ROCPRIM_400000_NS6detail17trampoline_kernelINS0_14default_configENS1_29reduce_by_key_config_selectorIslN6thrust23THRUST_200600_302600_NS4plusIlEEEEZZNS1_33reduce_by_key_impl_wrapped_configILNS1_25lookback_scan_determinismE0ES3_S9_PsNS6_17constant_iteratorIiNS6_11use_defaultESE_EENS6_10device_ptrIsEENSG_IlEEPmS8_NS6_8equal_toIsEEEE10hipError_tPvRmT2_T3_mT4_T5_T6_T7_T8_P12ihipStream_tbENKUlT_T0_E_clISt17integral_constantIbLb1EES13_EEDaSY_SZ_EUlSY_E_NS1_11comp_targetILNS1_3genE3ELNS1_11target_archE908ELNS1_3gpuE7ELNS1_3repE0EEENS1_30default_config_static_selectorELNS0_4arch9wavefront6targetE1EEEvT1_,@function
_ZN7rocprim17ROCPRIM_400000_NS6detail17trampoline_kernelINS0_14default_configENS1_29reduce_by_key_config_selectorIslN6thrust23THRUST_200600_302600_NS4plusIlEEEEZZNS1_33reduce_by_key_impl_wrapped_configILNS1_25lookback_scan_determinismE0ES3_S9_PsNS6_17constant_iteratorIiNS6_11use_defaultESE_EENS6_10device_ptrIsEENSG_IlEEPmS8_NS6_8equal_toIsEEEE10hipError_tPvRmT2_T3_mT4_T5_T6_T7_T8_P12ihipStream_tbENKUlT_T0_E_clISt17integral_constantIbLb1EES13_EEDaSY_SZ_EUlSY_E_NS1_11comp_targetILNS1_3genE3ELNS1_11target_archE908ELNS1_3gpuE7ELNS1_3repE0EEENS1_30default_config_static_selectorELNS0_4arch9wavefront6targetE1EEEvT1_: ; @_ZN7rocprim17ROCPRIM_400000_NS6detail17trampoline_kernelINS0_14default_configENS1_29reduce_by_key_config_selectorIslN6thrust23THRUST_200600_302600_NS4plusIlEEEEZZNS1_33reduce_by_key_impl_wrapped_configILNS1_25lookback_scan_determinismE0ES3_S9_PsNS6_17constant_iteratorIiNS6_11use_defaultESE_EENS6_10device_ptrIsEENSG_IlEEPmS8_NS6_8equal_toIsEEEE10hipError_tPvRmT2_T3_mT4_T5_T6_T7_T8_P12ihipStream_tbENKUlT_T0_E_clISt17integral_constantIbLb1EES13_EEDaSY_SZ_EUlSY_E_NS1_11comp_targetILNS1_3genE3ELNS1_11target_archE908ELNS1_3gpuE7ELNS1_3repE0EEENS1_30default_config_static_selectorELNS0_4arch9wavefront6targetE1EEEvT1_
; %bb.0:
	.section	.rodata,"a",@progbits
	.p2align	6, 0x0
	.amdhsa_kernel _ZN7rocprim17ROCPRIM_400000_NS6detail17trampoline_kernelINS0_14default_configENS1_29reduce_by_key_config_selectorIslN6thrust23THRUST_200600_302600_NS4plusIlEEEEZZNS1_33reduce_by_key_impl_wrapped_configILNS1_25lookback_scan_determinismE0ES3_S9_PsNS6_17constant_iteratorIiNS6_11use_defaultESE_EENS6_10device_ptrIsEENSG_IlEEPmS8_NS6_8equal_toIsEEEE10hipError_tPvRmT2_T3_mT4_T5_T6_T7_T8_P12ihipStream_tbENKUlT_T0_E_clISt17integral_constantIbLb1EES13_EEDaSY_SZ_EUlSY_E_NS1_11comp_targetILNS1_3genE3ELNS1_11target_archE908ELNS1_3gpuE7ELNS1_3repE0EEENS1_30default_config_static_selectorELNS0_4arch9wavefront6targetE1EEEvT1_
		.amdhsa_group_segment_fixed_size 0
		.amdhsa_private_segment_fixed_size 0
		.amdhsa_kernarg_size 144
		.amdhsa_user_sgpr_count 6
		.amdhsa_user_sgpr_private_segment_buffer 1
		.amdhsa_user_sgpr_dispatch_ptr 0
		.amdhsa_user_sgpr_queue_ptr 0
		.amdhsa_user_sgpr_kernarg_segment_ptr 1
		.amdhsa_user_sgpr_dispatch_id 0
		.amdhsa_user_sgpr_flat_scratch_init 0
		.amdhsa_user_sgpr_kernarg_preload_length 0
		.amdhsa_user_sgpr_kernarg_preload_offset 0
		.amdhsa_user_sgpr_private_segment_size 0
		.amdhsa_uses_dynamic_stack 0
		.amdhsa_system_sgpr_private_segment_wavefront_offset 0
		.amdhsa_system_sgpr_workgroup_id_x 1
		.amdhsa_system_sgpr_workgroup_id_y 0
		.amdhsa_system_sgpr_workgroup_id_z 0
		.amdhsa_system_sgpr_workgroup_info 0
		.amdhsa_system_vgpr_workitem_id 0
		.amdhsa_next_free_vgpr 1
		.amdhsa_next_free_sgpr 0
		.amdhsa_accum_offset 4
		.amdhsa_reserve_vcc 0
		.amdhsa_reserve_flat_scratch 0
		.amdhsa_float_round_mode_32 0
		.amdhsa_float_round_mode_16_64 0
		.amdhsa_float_denorm_mode_32 3
		.amdhsa_float_denorm_mode_16_64 3
		.amdhsa_dx10_clamp 1
		.amdhsa_ieee_mode 1
		.amdhsa_fp16_overflow 0
		.amdhsa_tg_split 0
		.amdhsa_exception_fp_ieee_invalid_op 0
		.amdhsa_exception_fp_denorm_src 0
		.amdhsa_exception_fp_ieee_div_zero 0
		.amdhsa_exception_fp_ieee_overflow 0
		.amdhsa_exception_fp_ieee_underflow 0
		.amdhsa_exception_fp_ieee_inexact 0
		.amdhsa_exception_int_div_zero 0
	.end_amdhsa_kernel
	.section	.text._ZN7rocprim17ROCPRIM_400000_NS6detail17trampoline_kernelINS0_14default_configENS1_29reduce_by_key_config_selectorIslN6thrust23THRUST_200600_302600_NS4plusIlEEEEZZNS1_33reduce_by_key_impl_wrapped_configILNS1_25lookback_scan_determinismE0ES3_S9_PsNS6_17constant_iteratorIiNS6_11use_defaultESE_EENS6_10device_ptrIsEENSG_IlEEPmS8_NS6_8equal_toIsEEEE10hipError_tPvRmT2_T3_mT4_T5_T6_T7_T8_P12ihipStream_tbENKUlT_T0_E_clISt17integral_constantIbLb1EES13_EEDaSY_SZ_EUlSY_E_NS1_11comp_targetILNS1_3genE3ELNS1_11target_archE908ELNS1_3gpuE7ELNS1_3repE0EEENS1_30default_config_static_selectorELNS0_4arch9wavefront6targetE1EEEvT1_,"axG",@progbits,_ZN7rocprim17ROCPRIM_400000_NS6detail17trampoline_kernelINS0_14default_configENS1_29reduce_by_key_config_selectorIslN6thrust23THRUST_200600_302600_NS4plusIlEEEEZZNS1_33reduce_by_key_impl_wrapped_configILNS1_25lookback_scan_determinismE0ES3_S9_PsNS6_17constant_iteratorIiNS6_11use_defaultESE_EENS6_10device_ptrIsEENSG_IlEEPmS8_NS6_8equal_toIsEEEE10hipError_tPvRmT2_T3_mT4_T5_T6_T7_T8_P12ihipStream_tbENKUlT_T0_E_clISt17integral_constantIbLb1EES13_EEDaSY_SZ_EUlSY_E_NS1_11comp_targetILNS1_3genE3ELNS1_11target_archE908ELNS1_3gpuE7ELNS1_3repE0EEENS1_30default_config_static_selectorELNS0_4arch9wavefront6targetE1EEEvT1_,comdat
.Lfunc_end1482:
	.size	_ZN7rocprim17ROCPRIM_400000_NS6detail17trampoline_kernelINS0_14default_configENS1_29reduce_by_key_config_selectorIslN6thrust23THRUST_200600_302600_NS4plusIlEEEEZZNS1_33reduce_by_key_impl_wrapped_configILNS1_25lookback_scan_determinismE0ES3_S9_PsNS6_17constant_iteratorIiNS6_11use_defaultESE_EENS6_10device_ptrIsEENSG_IlEEPmS8_NS6_8equal_toIsEEEE10hipError_tPvRmT2_T3_mT4_T5_T6_T7_T8_P12ihipStream_tbENKUlT_T0_E_clISt17integral_constantIbLb1EES13_EEDaSY_SZ_EUlSY_E_NS1_11comp_targetILNS1_3genE3ELNS1_11target_archE908ELNS1_3gpuE7ELNS1_3repE0EEENS1_30default_config_static_selectorELNS0_4arch9wavefront6targetE1EEEvT1_, .Lfunc_end1482-_ZN7rocprim17ROCPRIM_400000_NS6detail17trampoline_kernelINS0_14default_configENS1_29reduce_by_key_config_selectorIslN6thrust23THRUST_200600_302600_NS4plusIlEEEEZZNS1_33reduce_by_key_impl_wrapped_configILNS1_25lookback_scan_determinismE0ES3_S9_PsNS6_17constant_iteratorIiNS6_11use_defaultESE_EENS6_10device_ptrIsEENSG_IlEEPmS8_NS6_8equal_toIsEEEE10hipError_tPvRmT2_T3_mT4_T5_T6_T7_T8_P12ihipStream_tbENKUlT_T0_E_clISt17integral_constantIbLb1EES13_EEDaSY_SZ_EUlSY_E_NS1_11comp_targetILNS1_3genE3ELNS1_11target_archE908ELNS1_3gpuE7ELNS1_3repE0EEENS1_30default_config_static_selectorELNS0_4arch9wavefront6targetE1EEEvT1_
                                        ; -- End function
	.section	.AMDGPU.csdata,"",@progbits
; Kernel info:
; codeLenInByte = 0
; NumSgprs: 4
; NumVgprs: 0
; NumAgprs: 0
; TotalNumVgprs: 0
; ScratchSize: 0
; MemoryBound: 0
; FloatMode: 240
; IeeeMode: 1
; LDSByteSize: 0 bytes/workgroup (compile time only)
; SGPRBlocks: 0
; VGPRBlocks: 0
; NumSGPRsForWavesPerEU: 4
; NumVGPRsForWavesPerEU: 1
; AccumOffset: 4
; Occupancy: 8
; WaveLimiterHint : 0
; COMPUTE_PGM_RSRC2:SCRATCH_EN: 0
; COMPUTE_PGM_RSRC2:USER_SGPR: 6
; COMPUTE_PGM_RSRC2:TRAP_HANDLER: 0
; COMPUTE_PGM_RSRC2:TGID_X_EN: 1
; COMPUTE_PGM_RSRC2:TGID_Y_EN: 0
; COMPUTE_PGM_RSRC2:TGID_Z_EN: 0
; COMPUTE_PGM_RSRC2:TIDIG_COMP_CNT: 0
; COMPUTE_PGM_RSRC3_GFX90A:ACCUM_OFFSET: 0
; COMPUTE_PGM_RSRC3_GFX90A:TG_SPLIT: 0
	.section	.text._ZN7rocprim17ROCPRIM_400000_NS6detail17trampoline_kernelINS0_14default_configENS1_29reduce_by_key_config_selectorIslN6thrust23THRUST_200600_302600_NS4plusIlEEEEZZNS1_33reduce_by_key_impl_wrapped_configILNS1_25lookback_scan_determinismE0ES3_S9_PsNS6_17constant_iteratorIiNS6_11use_defaultESE_EENS6_10device_ptrIsEENSG_IlEEPmS8_NS6_8equal_toIsEEEE10hipError_tPvRmT2_T3_mT4_T5_T6_T7_T8_P12ihipStream_tbENKUlT_T0_E_clISt17integral_constantIbLb1EES13_EEDaSY_SZ_EUlSY_E_NS1_11comp_targetILNS1_3genE2ELNS1_11target_archE906ELNS1_3gpuE6ELNS1_3repE0EEENS1_30default_config_static_selectorELNS0_4arch9wavefront6targetE1EEEvT1_,"axG",@progbits,_ZN7rocprim17ROCPRIM_400000_NS6detail17trampoline_kernelINS0_14default_configENS1_29reduce_by_key_config_selectorIslN6thrust23THRUST_200600_302600_NS4plusIlEEEEZZNS1_33reduce_by_key_impl_wrapped_configILNS1_25lookback_scan_determinismE0ES3_S9_PsNS6_17constant_iteratorIiNS6_11use_defaultESE_EENS6_10device_ptrIsEENSG_IlEEPmS8_NS6_8equal_toIsEEEE10hipError_tPvRmT2_T3_mT4_T5_T6_T7_T8_P12ihipStream_tbENKUlT_T0_E_clISt17integral_constantIbLb1EES13_EEDaSY_SZ_EUlSY_E_NS1_11comp_targetILNS1_3genE2ELNS1_11target_archE906ELNS1_3gpuE6ELNS1_3repE0EEENS1_30default_config_static_selectorELNS0_4arch9wavefront6targetE1EEEvT1_,comdat
	.protected	_ZN7rocprim17ROCPRIM_400000_NS6detail17trampoline_kernelINS0_14default_configENS1_29reduce_by_key_config_selectorIslN6thrust23THRUST_200600_302600_NS4plusIlEEEEZZNS1_33reduce_by_key_impl_wrapped_configILNS1_25lookback_scan_determinismE0ES3_S9_PsNS6_17constant_iteratorIiNS6_11use_defaultESE_EENS6_10device_ptrIsEENSG_IlEEPmS8_NS6_8equal_toIsEEEE10hipError_tPvRmT2_T3_mT4_T5_T6_T7_T8_P12ihipStream_tbENKUlT_T0_E_clISt17integral_constantIbLb1EES13_EEDaSY_SZ_EUlSY_E_NS1_11comp_targetILNS1_3genE2ELNS1_11target_archE906ELNS1_3gpuE6ELNS1_3repE0EEENS1_30default_config_static_selectorELNS0_4arch9wavefront6targetE1EEEvT1_ ; -- Begin function _ZN7rocprim17ROCPRIM_400000_NS6detail17trampoline_kernelINS0_14default_configENS1_29reduce_by_key_config_selectorIslN6thrust23THRUST_200600_302600_NS4plusIlEEEEZZNS1_33reduce_by_key_impl_wrapped_configILNS1_25lookback_scan_determinismE0ES3_S9_PsNS6_17constant_iteratorIiNS6_11use_defaultESE_EENS6_10device_ptrIsEENSG_IlEEPmS8_NS6_8equal_toIsEEEE10hipError_tPvRmT2_T3_mT4_T5_T6_T7_T8_P12ihipStream_tbENKUlT_T0_E_clISt17integral_constantIbLb1EES13_EEDaSY_SZ_EUlSY_E_NS1_11comp_targetILNS1_3genE2ELNS1_11target_archE906ELNS1_3gpuE6ELNS1_3repE0EEENS1_30default_config_static_selectorELNS0_4arch9wavefront6targetE1EEEvT1_
	.globl	_ZN7rocprim17ROCPRIM_400000_NS6detail17trampoline_kernelINS0_14default_configENS1_29reduce_by_key_config_selectorIslN6thrust23THRUST_200600_302600_NS4plusIlEEEEZZNS1_33reduce_by_key_impl_wrapped_configILNS1_25lookback_scan_determinismE0ES3_S9_PsNS6_17constant_iteratorIiNS6_11use_defaultESE_EENS6_10device_ptrIsEENSG_IlEEPmS8_NS6_8equal_toIsEEEE10hipError_tPvRmT2_T3_mT4_T5_T6_T7_T8_P12ihipStream_tbENKUlT_T0_E_clISt17integral_constantIbLb1EES13_EEDaSY_SZ_EUlSY_E_NS1_11comp_targetILNS1_3genE2ELNS1_11target_archE906ELNS1_3gpuE6ELNS1_3repE0EEENS1_30default_config_static_selectorELNS0_4arch9wavefront6targetE1EEEvT1_
	.p2align	8
	.type	_ZN7rocprim17ROCPRIM_400000_NS6detail17trampoline_kernelINS0_14default_configENS1_29reduce_by_key_config_selectorIslN6thrust23THRUST_200600_302600_NS4plusIlEEEEZZNS1_33reduce_by_key_impl_wrapped_configILNS1_25lookback_scan_determinismE0ES3_S9_PsNS6_17constant_iteratorIiNS6_11use_defaultESE_EENS6_10device_ptrIsEENSG_IlEEPmS8_NS6_8equal_toIsEEEE10hipError_tPvRmT2_T3_mT4_T5_T6_T7_T8_P12ihipStream_tbENKUlT_T0_E_clISt17integral_constantIbLb1EES13_EEDaSY_SZ_EUlSY_E_NS1_11comp_targetILNS1_3genE2ELNS1_11target_archE906ELNS1_3gpuE6ELNS1_3repE0EEENS1_30default_config_static_selectorELNS0_4arch9wavefront6targetE1EEEvT1_,@function
_ZN7rocprim17ROCPRIM_400000_NS6detail17trampoline_kernelINS0_14default_configENS1_29reduce_by_key_config_selectorIslN6thrust23THRUST_200600_302600_NS4plusIlEEEEZZNS1_33reduce_by_key_impl_wrapped_configILNS1_25lookback_scan_determinismE0ES3_S9_PsNS6_17constant_iteratorIiNS6_11use_defaultESE_EENS6_10device_ptrIsEENSG_IlEEPmS8_NS6_8equal_toIsEEEE10hipError_tPvRmT2_T3_mT4_T5_T6_T7_T8_P12ihipStream_tbENKUlT_T0_E_clISt17integral_constantIbLb1EES13_EEDaSY_SZ_EUlSY_E_NS1_11comp_targetILNS1_3genE2ELNS1_11target_archE906ELNS1_3gpuE6ELNS1_3repE0EEENS1_30default_config_static_selectorELNS0_4arch9wavefront6targetE1EEEvT1_: ; @_ZN7rocprim17ROCPRIM_400000_NS6detail17trampoline_kernelINS0_14default_configENS1_29reduce_by_key_config_selectorIslN6thrust23THRUST_200600_302600_NS4plusIlEEEEZZNS1_33reduce_by_key_impl_wrapped_configILNS1_25lookback_scan_determinismE0ES3_S9_PsNS6_17constant_iteratorIiNS6_11use_defaultESE_EENS6_10device_ptrIsEENSG_IlEEPmS8_NS6_8equal_toIsEEEE10hipError_tPvRmT2_T3_mT4_T5_T6_T7_T8_P12ihipStream_tbENKUlT_T0_E_clISt17integral_constantIbLb1EES13_EEDaSY_SZ_EUlSY_E_NS1_11comp_targetILNS1_3genE2ELNS1_11target_archE906ELNS1_3gpuE6ELNS1_3repE0EEENS1_30default_config_static_selectorELNS0_4arch9wavefront6targetE1EEEvT1_
; %bb.0:
	.section	.rodata,"a",@progbits
	.p2align	6, 0x0
	.amdhsa_kernel _ZN7rocprim17ROCPRIM_400000_NS6detail17trampoline_kernelINS0_14default_configENS1_29reduce_by_key_config_selectorIslN6thrust23THRUST_200600_302600_NS4plusIlEEEEZZNS1_33reduce_by_key_impl_wrapped_configILNS1_25lookback_scan_determinismE0ES3_S9_PsNS6_17constant_iteratorIiNS6_11use_defaultESE_EENS6_10device_ptrIsEENSG_IlEEPmS8_NS6_8equal_toIsEEEE10hipError_tPvRmT2_T3_mT4_T5_T6_T7_T8_P12ihipStream_tbENKUlT_T0_E_clISt17integral_constantIbLb1EES13_EEDaSY_SZ_EUlSY_E_NS1_11comp_targetILNS1_3genE2ELNS1_11target_archE906ELNS1_3gpuE6ELNS1_3repE0EEENS1_30default_config_static_selectorELNS0_4arch9wavefront6targetE1EEEvT1_
		.amdhsa_group_segment_fixed_size 0
		.amdhsa_private_segment_fixed_size 0
		.amdhsa_kernarg_size 144
		.amdhsa_user_sgpr_count 6
		.amdhsa_user_sgpr_private_segment_buffer 1
		.amdhsa_user_sgpr_dispatch_ptr 0
		.amdhsa_user_sgpr_queue_ptr 0
		.amdhsa_user_sgpr_kernarg_segment_ptr 1
		.amdhsa_user_sgpr_dispatch_id 0
		.amdhsa_user_sgpr_flat_scratch_init 0
		.amdhsa_user_sgpr_kernarg_preload_length 0
		.amdhsa_user_sgpr_kernarg_preload_offset 0
		.amdhsa_user_sgpr_private_segment_size 0
		.amdhsa_uses_dynamic_stack 0
		.amdhsa_system_sgpr_private_segment_wavefront_offset 0
		.amdhsa_system_sgpr_workgroup_id_x 1
		.amdhsa_system_sgpr_workgroup_id_y 0
		.amdhsa_system_sgpr_workgroup_id_z 0
		.amdhsa_system_sgpr_workgroup_info 0
		.amdhsa_system_vgpr_workitem_id 0
		.amdhsa_next_free_vgpr 1
		.amdhsa_next_free_sgpr 0
		.amdhsa_accum_offset 4
		.amdhsa_reserve_vcc 0
		.amdhsa_reserve_flat_scratch 0
		.amdhsa_float_round_mode_32 0
		.amdhsa_float_round_mode_16_64 0
		.amdhsa_float_denorm_mode_32 3
		.amdhsa_float_denorm_mode_16_64 3
		.amdhsa_dx10_clamp 1
		.amdhsa_ieee_mode 1
		.amdhsa_fp16_overflow 0
		.amdhsa_tg_split 0
		.amdhsa_exception_fp_ieee_invalid_op 0
		.amdhsa_exception_fp_denorm_src 0
		.amdhsa_exception_fp_ieee_div_zero 0
		.amdhsa_exception_fp_ieee_overflow 0
		.amdhsa_exception_fp_ieee_underflow 0
		.amdhsa_exception_fp_ieee_inexact 0
		.amdhsa_exception_int_div_zero 0
	.end_amdhsa_kernel
	.section	.text._ZN7rocprim17ROCPRIM_400000_NS6detail17trampoline_kernelINS0_14default_configENS1_29reduce_by_key_config_selectorIslN6thrust23THRUST_200600_302600_NS4plusIlEEEEZZNS1_33reduce_by_key_impl_wrapped_configILNS1_25lookback_scan_determinismE0ES3_S9_PsNS6_17constant_iteratorIiNS6_11use_defaultESE_EENS6_10device_ptrIsEENSG_IlEEPmS8_NS6_8equal_toIsEEEE10hipError_tPvRmT2_T3_mT4_T5_T6_T7_T8_P12ihipStream_tbENKUlT_T0_E_clISt17integral_constantIbLb1EES13_EEDaSY_SZ_EUlSY_E_NS1_11comp_targetILNS1_3genE2ELNS1_11target_archE906ELNS1_3gpuE6ELNS1_3repE0EEENS1_30default_config_static_selectorELNS0_4arch9wavefront6targetE1EEEvT1_,"axG",@progbits,_ZN7rocprim17ROCPRIM_400000_NS6detail17trampoline_kernelINS0_14default_configENS1_29reduce_by_key_config_selectorIslN6thrust23THRUST_200600_302600_NS4plusIlEEEEZZNS1_33reduce_by_key_impl_wrapped_configILNS1_25lookback_scan_determinismE0ES3_S9_PsNS6_17constant_iteratorIiNS6_11use_defaultESE_EENS6_10device_ptrIsEENSG_IlEEPmS8_NS6_8equal_toIsEEEE10hipError_tPvRmT2_T3_mT4_T5_T6_T7_T8_P12ihipStream_tbENKUlT_T0_E_clISt17integral_constantIbLb1EES13_EEDaSY_SZ_EUlSY_E_NS1_11comp_targetILNS1_3genE2ELNS1_11target_archE906ELNS1_3gpuE6ELNS1_3repE0EEENS1_30default_config_static_selectorELNS0_4arch9wavefront6targetE1EEEvT1_,comdat
.Lfunc_end1483:
	.size	_ZN7rocprim17ROCPRIM_400000_NS6detail17trampoline_kernelINS0_14default_configENS1_29reduce_by_key_config_selectorIslN6thrust23THRUST_200600_302600_NS4plusIlEEEEZZNS1_33reduce_by_key_impl_wrapped_configILNS1_25lookback_scan_determinismE0ES3_S9_PsNS6_17constant_iteratorIiNS6_11use_defaultESE_EENS6_10device_ptrIsEENSG_IlEEPmS8_NS6_8equal_toIsEEEE10hipError_tPvRmT2_T3_mT4_T5_T6_T7_T8_P12ihipStream_tbENKUlT_T0_E_clISt17integral_constantIbLb1EES13_EEDaSY_SZ_EUlSY_E_NS1_11comp_targetILNS1_3genE2ELNS1_11target_archE906ELNS1_3gpuE6ELNS1_3repE0EEENS1_30default_config_static_selectorELNS0_4arch9wavefront6targetE1EEEvT1_, .Lfunc_end1483-_ZN7rocprim17ROCPRIM_400000_NS6detail17trampoline_kernelINS0_14default_configENS1_29reduce_by_key_config_selectorIslN6thrust23THRUST_200600_302600_NS4plusIlEEEEZZNS1_33reduce_by_key_impl_wrapped_configILNS1_25lookback_scan_determinismE0ES3_S9_PsNS6_17constant_iteratorIiNS6_11use_defaultESE_EENS6_10device_ptrIsEENSG_IlEEPmS8_NS6_8equal_toIsEEEE10hipError_tPvRmT2_T3_mT4_T5_T6_T7_T8_P12ihipStream_tbENKUlT_T0_E_clISt17integral_constantIbLb1EES13_EEDaSY_SZ_EUlSY_E_NS1_11comp_targetILNS1_3genE2ELNS1_11target_archE906ELNS1_3gpuE6ELNS1_3repE0EEENS1_30default_config_static_selectorELNS0_4arch9wavefront6targetE1EEEvT1_
                                        ; -- End function
	.section	.AMDGPU.csdata,"",@progbits
; Kernel info:
; codeLenInByte = 0
; NumSgprs: 4
; NumVgprs: 0
; NumAgprs: 0
; TotalNumVgprs: 0
; ScratchSize: 0
; MemoryBound: 0
; FloatMode: 240
; IeeeMode: 1
; LDSByteSize: 0 bytes/workgroup (compile time only)
; SGPRBlocks: 0
; VGPRBlocks: 0
; NumSGPRsForWavesPerEU: 4
; NumVGPRsForWavesPerEU: 1
; AccumOffset: 4
; Occupancy: 8
; WaveLimiterHint : 0
; COMPUTE_PGM_RSRC2:SCRATCH_EN: 0
; COMPUTE_PGM_RSRC2:USER_SGPR: 6
; COMPUTE_PGM_RSRC2:TRAP_HANDLER: 0
; COMPUTE_PGM_RSRC2:TGID_X_EN: 1
; COMPUTE_PGM_RSRC2:TGID_Y_EN: 0
; COMPUTE_PGM_RSRC2:TGID_Z_EN: 0
; COMPUTE_PGM_RSRC2:TIDIG_COMP_CNT: 0
; COMPUTE_PGM_RSRC3_GFX90A:ACCUM_OFFSET: 0
; COMPUTE_PGM_RSRC3_GFX90A:TG_SPLIT: 0
	.section	.text._ZN7rocprim17ROCPRIM_400000_NS6detail17trampoline_kernelINS0_14default_configENS1_29reduce_by_key_config_selectorIslN6thrust23THRUST_200600_302600_NS4plusIlEEEEZZNS1_33reduce_by_key_impl_wrapped_configILNS1_25lookback_scan_determinismE0ES3_S9_PsNS6_17constant_iteratorIiNS6_11use_defaultESE_EENS6_10device_ptrIsEENSG_IlEEPmS8_NS6_8equal_toIsEEEE10hipError_tPvRmT2_T3_mT4_T5_T6_T7_T8_P12ihipStream_tbENKUlT_T0_E_clISt17integral_constantIbLb1EES13_EEDaSY_SZ_EUlSY_E_NS1_11comp_targetILNS1_3genE10ELNS1_11target_archE1201ELNS1_3gpuE5ELNS1_3repE0EEENS1_30default_config_static_selectorELNS0_4arch9wavefront6targetE1EEEvT1_,"axG",@progbits,_ZN7rocprim17ROCPRIM_400000_NS6detail17trampoline_kernelINS0_14default_configENS1_29reduce_by_key_config_selectorIslN6thrust23THRUST_200600_302600_NS4plusIlEEEEZZNS1_33reduce_by_key_impl_wrapped_configILNS1_25lookback_scan_determinismE0ES3_S9_PsNS6_17constant_iteratorIiNS6_11use_defaultESE_EENS6_10device_ptrIsEENSG_IlEEPmS8_NS6_8equal_toIsEEEE10hipError_tPvRmT2_T3_mT4_T5_T6_T7_T8_P12ihipStream_tbENKUlT_T0_E_clISt17integral_constantIbLb1EES13_EEDaSY_SZ_EUlSY_E_NS1_11comp_targetILNS1_3genE10ELNS1_11target_archE1201ELNS1_3gpuE5ELNS1_3repE0EEENS1_30default_config_static_selectorELNS0_4arch9wavefront6targetE1EEEvT1_,comdat
	.protected	_ZN7rocprim17ROCPRIM_400000_NS6detail17trampoline_kernelINS0_14default_configENS1_29reduce_by_key_config_selectorIslN6thrust23THRUST_200600_302600_NS4plusIlEEEEZZNS1_33reduce_by_key_impl_wrapped_configILNS1_25lookback_scan_determinismE0ES3_S9_PsNS6_17constant_iteratorIiNS6_11use_defaultESE_EENS6_10device_ptrIsEENSG_IlEEPmS8_NS6_8equal_toIsEEEE10hipError_tPvRmT2_T3_mT4_T5_T6_T7_T8_P12ihipStream_tbENKUlT_T0_E_clISt17integral_constantIbLb1EES13_EEDaSY_SZ_EUlSY_E_NS1_11comp_targetILNS1_3genE10ELNS1_11target_archE1201ELNS1_3gpuE5ELNS1_3repE0EEENS1_30default_config_static_selectorELNS0_4arch9wavefront6targetE1EEEvT1_ ; -- Begin function _ZN7rocprim17ROCPRIM_400000_NS6detail17trampoline_kernelINS0_14default_configENS1_29reduce_by_key_config_selectorIslN6thrust23THRUST_200600_302600_NS4plusIlEEEEZZNS1_33reduce_by_key_impl_wrapped_configILNS1_25lookback_scan_determinismE0ES3_S9_PsNS6_17constant_iteratorIiNS6_11use_defaultESE_EENS6_10device_ptrIsEENSG_IlEEPmS8_NS6_8equal_toIsEEEE10hipError_tPvRmT2_T3_mT4_T5_T6_T7_T8_P12ihipStream_tbENKUlT_T0_E_clISt17integral_constantIbLb1EES13_EEDaSY_SZ_EUlSY_E_NS1_11comp_targetILNS1_3genE10ELNS1_11target_archE1201ELNS1_3gpuE5ELNS1_3repE0EEENS1_30default_config_static_selectorELNS0_4arch9wavefront6targetE1EEEvT1_
	.globl	_ZN7rocprim17ROCPRIM_400000_NS6detail17trampoline_kernelINS0_14default_configENS1_29reduce_by_key_config_selectorIslN6thrust23THRUST_200600_302600_NS4plusIlEEEEZZNS1_33reduce_by_key_impl_wrapped_configILNS1_25lookback_scan_determinismE0ES3_S9_PsNS6_17constant_iteratorIiNS6_11use_defaultESE_EENS6_10device_ptrIsEENSG_IlEEPmS8_NS6_8equal_toIsEEEE10hipError_tPvRmT2_T3_mT4_T5_T6_T7_T8_P12ihipStream_tbENKUlT_T0_E_clISt17integral_constantIbLb1EES13_EEDaSY_SZ_EUlSY_E_NS1_11comp_targetILNS1_3genE10ELNS1_11target_archE1201ELNS1_3gpuE5ELNS1_3repE0EEENS1_30default_config_static_selectorELNS0_4arch9wavefront6targetE1EEEvT1_
	.p2align	8
	.type	_ZN7rocprim17ROCPRIM_400000_NS6detail17trampoline_kernelINS0_14default_configENS1_29reduce_by_key_config_selectorIslN6thrust23THRUST_200600_302600_NS4plusIlEEEEZZNS1_33reduce_by_key_impl_wrapped_configILNS1_25lookback_scan_determinismE0ES3_S9_PsNS6_17constant_iteratorIiNS6_11use_defaultESE_EENS6_10device_ptrIsEENSG_IlEEPmS8_NS6_8equal_toIsEEEE10hipError_tPvRmT2_T3_mT4_T5_T6_T7_T8_P12ihipStream_tbENKUlT_T0_E_clISt17integral_constantIbLb1EES13_EEDaSY_SZ_EUlSY_E_NS1_11comp_targetILNS1_3genE10ELNS1_11target_archE1201ELNS1_3gpuE5ELNS1_3repE0EEENS1_30default_config_static_selectorELNS0_4arch9wavefront6targetE1EEEvT1_,@function
_ZN7rocprim17ROCPRIM_400000_NS6detail17trampoline_kernelINS0_14default_configENS1_29reduce_by_key_config_selectorIslN6thrust23THRUST_200600_302600_NS4plusIlEEEEZZNS1_33reduce_by_key_impl_wrapped_configILNS1_25lookback_scan_determinismE0ES3_S9_PsNS6_17constant_iteratorIiNS6_11use_defaultESE_EENS6_10device_ptrIsEENSG_IlEEPmS8_NS6_8equal_toIsEEEE10hipError_tPvRmT2_T3_mT4_T5_T6_T7_T8_P12ihipStream_tbENKUlT_T0_E_clISt17integral_constantIbLb1EES13_EEDaSY_SZ_EUlSY_E_NS1_11comp_targetILNS1_3genE10ELNS1_11target_archE1201ELNS1_3gpuE5ELNS1_3repE0EEENS1_30default_config_static_selectorELNS0_4arch9wavefront6targetE1EEEvT1_: ; @_ZN7rocprim17ROCPRIM_400000_NS6detail17trampoline_kernelINS0_14default_configENS1_29reduce_by_key_config_selectorIslN6thrust23THRUST_200600_302600_NS4plusIlEEEEZZNS1_33reduce_by_key_impl_wrapped_configILNS1_25lookback_scan_determinismE0ES3_S9_PsNS6_17constant_iteratorIiNS6_11use_defaultESE_EENS6_10device_ptrIsEENSG_IlEEPmS8_NS6_8equal_toIsEEEE10hipError_tPvRmT2_T3_mT4_T5_T6_T7_T8_P12ihipStream_tbENKUlT_T0_E_clISt17integral_constantIbLb1EES13_EEDaSY_SZ_EUlSY_E_NS1_11comp_targetILNS1_3genE10ELNS1_11target_archE1201ELNS1_3gpuE5ELNS1_3repE0EEENS1_30default_config_static_selectorELNS0_4arch9wavefront6targetE1EEEvT1_
; %bb.0:
	.section	.rodata,"a",@progbits
	.p2align	6, 0x0
	.amdhsa_kernel _ZN7rocprim17ROCPRIM_400000_NS6detail17trampoline_kernelINS0_14default_configENS1_29reduce_by_key_config_selectorIslN6thrust23THRUST_200600_302600_NS4plusIlEEEEZZNS1_33reduce_by_key_impl_wrapped_configILNS1_25lookback_scan_determinismE0ES3_S9_PsNS6_17constant_iteratorIiNS6_11use_defaultESE_EENS6_10device_ptrIsEENSG_IlEEPmS8_NS6_8equal_toIsEEEE10hipError_tPvRmT2_T3_mT4_T5_T6_T7_T8_P12ihipStream_tbENKUlT_T0_E_clISt17integral_constantIbLb1EES13_EEDaSY_SZ_EUlSY_E_NS1_11comp_targetILNS1_3genE10ELNS1_11target_archE1201ELNS1_3gpuE5ELNS1_3repE0EEENS1_30default_config_static_selectorELNS0_4arch9wavefront6targetE1EEEvT1_
		.amdhsa_group_segment_fixed_size 0
		.amdhsa_private_segment_fixed_size 0
		.amdhsa_kernarg_size 144
		.amdhsa_user_sgpr_count 6
		.amdhsa_user_sgpr_private_segment_buffer 1
		.amdhsa_user_sgpr_dispatch_ptr 0
		.amdhsa_user_sgpr_queue_ptr 0
		.amdhsa_user_sgpr_kernarg_segment_ptr 1
		.amdhsa_user_sgpr_dispatch_id 0
		.amdhsa_user_sgpr_flat_scratch_init 0
		.amdhsa_user_sgpr_kernarg_preload_length 0
		.amdhsa_user_sgpr_kernarg_preload_offset 0
		.amdhsa_user_sgpr_private_segment_size 0
		.amdhsa_uses_dynamic_stack 0
		.amdhsa_system_sgpr_private_segment_wavefront_offset 0
		.amdhsa_system_sgpr_workgroup_id_x 1
		.amdhsa_system_sgpr_workgroup_id_y 0
		.amdhsa_system_sgpr_workgroup_id_z 0
		.amdhsa_system_sgpr_workgroup_info 0
		.amdhsa_system_vgpr_workitem_id 0
		.amdhsa_next_free_vgpr 1
		.amdhsa_next_free_sgpr 0
		.amdhsa_accum_offset 4
		.amdhsa_reserve_vcc 0
		.amdhsa_reserve_flat_scratch 0
		.amdhsa_float_round_mode_32 0
		.amdhsa_float_round_mode_16_64 0
		.amdhsa_float_denorm_mode_32 3
		.amdhsa_float_denorm_mode_16_64 3
		.amdhsa_dx10_clamp 1
		.amdhsa_ieee_mode 1
		.amdhsa_fp16_overflow 0
		.amdhsa_tg_split 0
		.amdhsa_exception_fp_ieee_invalid_op 0
		.amdhsa_exception_fp_denorm_src 0
		.amdhsa_exception_fp_ieee_div_zero 0
		.amdhsa_exception_fp_ieee_overflow 0
		.amdhsa_exception_fp_ieee_underflow 0
		.amdhsa_exception_fp_ieee_inexact 0
		.amdhsa_exception_int_div_zero 0
	.end_amdhsa_kernel
	.section	.text._ZN7rocprim17ROCPRIM_400000_NS6detail17trampoline_kernelINS0_14default_configENS1_29reduce_by_key_config_selectorIslN6thrust23THRUST_200600_302600_NS4plusIlEEEEZZNS1_33reduce_by_key_impl_wrapped_configILNS1_25lookback_scan_determinismE0ES3_S9_PsNS6_17constant_iteratorIiNS6_11use_defaultESE_EENS6_10device_ptrIsEENSG_IlEEPmS8_NS6_8equal_toIsEEEE10hipError_tPvRmT2_T3_mT4_T5_T6_T7_T8_P12ihipStream_tbENKUlT_T0_E_clISt17integral_constantIbLb1EES13_EEDaSY_SZ_EUlSY_E_NS1_11comp_targetILNS1_3genE10ELNS1_11target_archE1201ELNS1_3gpuE5ELNS1_3repE0EEENS1_30default_config_static_selectorELNS0_4arch9wavefront6targetE1EEEvT1_,"axG",@progbits,_ZN7rocprim17ROCPRIM_400000_NS6detail17trampoline_kernelINS0_14default_configENS1_29reduce_by_key_config_selectorIslN6thrust23THRUST_200600_302600_NS4plusIlEEEEZZNS1_33reduce_by_key_impl_wrapped_configILNS1_25lookback_scan_determinismE0ES3_S9_PsNS6_17constant_iteratorIiNS6_11use_defaultESE_EENS6_10device_ptrIsEENSG_IlEEPmS8_NS6_8equal_toIsEEEE10hipError_tPvRmT2_T3_mT4_T5_T6_T7_T8_P12ihipStream_tbENKUlT_T0_E_clISt17integral_constantIbLb1EES13_EEDaSY_SZ_EUlSY_E_NS1_11comp_targetILNS1_3genE10ELNS1_11target_archE1201ELNS1_3gpuE5ELNS1_3repE0EEENS1_30default_config_static_selectorELNS0_4arch9wavefront6targetE1EEEvT1_,comdat
.Lfunc_end1484:
	.size	_ZN7rocprim17ROCPRIM_400000_NS6detail17trampoline_kernelINS0_14default_configENS1_29reduce_by_key_config_selectorIslN6thrust23THRUST_200600_302600_NS4plusIlEEEEZZNS1_33reduce_by_key_impl_wrapped_configILNS1_25lookback_scan_determinismE0ES3_S9_PsNS6_17constant_iteratorIiNS6_11use_defaultESE_EENS6_10device_ptrIsEENSG_IlEEPmS8_NS6_8equal_toIsEEEE10hipError_tPvRmT2_T3_mT4_T5_T6_T7_T8_P12ihipStream_tbENKUlT_T0_E_clISt17integral_constantIbLb1EES13_EEDaSY_SZ_EUlSY_E_NS1_11comp_targetILNS1_3genE10ELNS1_11target_archE1201ELNS1_3gpuE5ELNS1_3repE0EEENS1_30default_config_static_selectorELNS0_4arch9wavefront6targetE1EEEvT1_, .Lfunc_end1484-_ZN7rocprim17ROCPRIM_400000_NS6detail17trampoline_kernelINS0_14default_configENS1_29reduce_by_key_config_selectorIslN6thrust23THRUST_200600_302600_NS4plusIlEEEEZZNS1_33reduce_by_key_impl_wrapped_configILNS1_25lookback_scan_determinismE0ES3_S9_PsNS6_17constant_iteratorIiNS6_11use_defaultESE_EENS6_10device_ptrIsEENSG_IlEEPmS8_NS6_8equal_toIsEEEE10hipError_tPvRmT2_T3_mT4_T5_T6_T7_T8_P12ihipStream_tbENKUlT_T0_E_clISt17integral_constantIbLb1EES13_EEDaSY_SZ_EUlSY_E_NS1_11comp_targetILNS1_3genE10ELNS1_11target_archE1201ELNS1_3gpuE5ELNS1_3repE0EEENS1_30default_config_static_selectorELNS0_4arch9wavefront6targetE1EEEvT1_
                                        ; -- End function
	.section	.AMDGPU.csdata,"",@progbits
; Kernel info:
; codeLenInByte = 0
; NumSgprs: 4
; NumVgprs: 0
; NumAgprs: 0
; TotalNumVgprs: 0
; ScratchSize: 0
; MemoryBound: 0
; FloatMode: 240
; IeeeMode: 1
; LDSByteSize: 0 bytes/workgroup (compile time only)
; SGPRBlocks: 0
; VGPRBlocks: 0
; NumSGPRsForWavesPerEU: 4
; NumVGPRsForWavesPerEU: 1
; AccumOffset: 4
; Occupancy: 8
; WaveLimiterHint : 0
; COMPUTE_PGM_RSRC2:SCRATCH_EN: 0
; COMPUTE_PGM_RSRC2:USER_SGPR: 6
; COMPUTE_PGM_RSRC2:TRAP_HANDLER: 0
; COMPUTE_PGM_RSRC2:TGID_X_EN: 1
; COMPUTE_PGM_RSRC2:TGID_Y_EN: 0
; COMPUTE_PGM_RSRC2:TGID_Z_EN: 0
; COMPUTE_PGM_RSRC2:TIDIG_COMP_CNT: 0
; COMPUTE_PGM_RSRC3_GFX90A:ACCUM_OFFSET: 0
; COMPUTE_PGM_RSRC3_GFX90A:TG_SPLIT: 0
	.section	.text._ZN7rocprim17ROCPRIM_400000_NS6detail17trampoline_kernelINS0_14default_configENS1_29reduce_by_key_config_selectorIslN6thrust23THRUST_200600_302600_NS4plusIlEEEEZZNS1_33reduce_by_key_impl_wrapped_configILNS1_25lookback_scan_determinismE0ES3_S9_PsNS6_17constant_iteratorIiNS6_11use_defaultESE_EENS6_10device_ptrIsEENSG_IlEEPmS8_NS6_8equal_toIsEEEE10hipError_tPvRmT2_T3_mT4_T5_T6_T7_T8_P12ihipStream_tbENKUlT_T0_E_clISt17integral_constantIbLb1EES13_EEDaSY_SZ_EUlSY_E_NS1_11comp_targetILNS1_3genE10ELNS1_11target_archE1200ELNS1_3gpuE4ELNS1_3repE0EEENS1_30default_config_static_selectorELNS0_4arch9wavefront6targetE1EEEvT1_,"axG",@progbits,_ZN7rocprim17ROCPRIM_400000_NS6detail17trampoline_kernelINS0_14default_configENS1_29reduce_by_key_config_selectorIslN6thrust23THRUST_200600_302600_NS4plusIlEEEEZZNS1_33reduce_by_key_impl_wrapped_configILNS1_25lookback_scan_determinismE0ES3_S9_PsNS6_17constant_iteratorIiNS6_11use_defaultESE_EENS6_10device_ptrIsEENSG_IlEEPmS8_NS6_8equal_toIsEEEE10hipError_tPvRmT2_T3_mT4_T5_T6_T7_T8_P12ihipStream_tbENKUlT_T0_E_clISt17integral_constantIbLb1EES13_EEDaSY_SZ_EUlSY_E_NS1_11comp_targetILNS1_3genE10ELNS1_11target_archE1200ELNS1_3gpuE4ELNS1_3repE0EEENS1_30default_config_static_selectorELNS0_4arch9wavefront6targetE1EEEvT1_,comdat
	.protected	_ZN7rocprim17ROCPRIM_400000_NS6detail17trampoline_kernelINS0_14default_configENS1_29reduce_by_key_config_selectorIslN6thrust23THRUST_200600_302600_NS4plusIlEEEEZZNS1_33reduce_by_key_impl_wrapped_configILNS1_25lookback_scan_determinismE0ES3_S9_PsNS6_17constant_iteratorIiNS6_11use_defaultESE_EENS6_10device_ptrIsEENSG_IlEEPmS8_NS6_8equal_toIsEEEE10hipError_tPvRmT2_T3_mT4_T5_T6_T7_T8_P12ihipStream_tbENKUlT_T0_E_clISt17integral_constantIbLb1EES13_EEDaSY_SZ_EUlSY_E_NS1_11comp_targetILNS1_3genE10ELNS1_11target_archE1200ELNS1_3gpuE4ELNS1_3repE0EEENS1_30default_config_static_selectorELNS0_4arch9wavefront6targetE1EEEvT1_ ; -- Begin function _ZN7rocprim17ROCPRIM_400000_NS6detail17trampoline_kernelINS0_14default_configENS1_29reduce_by_key_config_selectorIslN6thrust23THRUST_200600_302600_NS4plusIlEEEEZZNS1_33reduce_by_key_impl_wrapped_configILNS1_25lookback_scan_determinismE0ES3_S9_PsNS6_17constant_iteratorIiNS6_11use_defaultESE_EENS6_10device_ptrIsEENSG_IlEEPmS8_NS6_8equal_toIsEEEE10hipError_tPvRmT2_T3_mT4_T5_T6_T7_T8_P12ihipStream_tbENKUlT_T0_E_clISt17integral_constantIbLb1EES13_EEDaSY_SZ_EUlSY_E_NS1_11comp_targetILNS1_3genE10ELNS1_11target_archE1200ELNS1_3gpuE4ELNS1_3repE0EEENS1_30default_config_static_selectorELNS0_4arch9wavefront6targetE1EEEvT1_
	.globl	_ZN7rocprim17ROCPRIM_400000_NS6detail17trampoline_kernelINS0_14default_configENS1_29reduce_by_key_config_selectorIslN6thrust23THRUST_200600_302600_NS4plusIlEEEEZZNS1_33reduce_by_key_impl_wrapped_configILNS1_25lookback_scan_determinismE0ES3_S9_PsNS6_17constant_iteratorIiNS6_11use_defaultESE_EENS6_10device_ptrIsEENSG_IlEEPmS8_NS6_8equal_toIsEEEE10hipError_tPvRmT2_T3_mT4_T5_T6_T7_T8_P12ihipStream_tbENKUlT_T0_E_clISt17integral_constantIbLb1EES13_EEDaSY_SZ_EUlSY_E_NS1_11comp_targetILNS1_3genE10ELNS1_11target_archE1200ELNS1_3gpuE4ELNS1_3repE0EEENS1_30default_config_static_selectorELNS0_4arch9wavefront6targetE1EEEvT1_
	.p2align	8
	.type	_ZN7rocprim17ROCPRIM_400000_NS6detail17trampoline_kernelINS0_14default_configENS1_29reduce_by_key_config_selectorIslN6thrust23THRUST_200600_302600_NS4plusIlEEEEZZNS1_33reduce_by_key_impl_wrapped_configILNS1_25lookback_scan_determinismE0ES3_S9_PsNS6_17constant_iteratorIiNS6_11use_defaultESE_EENS6_10device_ptrIsEENSG_IlEEPmS8_NS6_8equal_toIsEEEE10hipError_tPvRmT2_T3_mT4_T5_T6_T7_T8_P12ihipStream_tbENKUlT_T0_E_clISt17integral_constantIbLb1EES13_EEDaSY_SZ_EUlSY_E_NS1_11comp_targetILNS1_3genE10ELNS1_11target_archE1200ELNS1_3gpuE4ELNS1_3repE0EEENS1_30default_config_static_selectorELNS0_4arch9wavefront6targetE1EEEvT1_,@function
_ZN7rocprim17ROCPRIM_400000_NS6detail17trampoline_kernelINS0_14default_configENS1_29reduce_by_key_config_selectorIslN6thrust23THRUST_200600_302600_NS4plusIlEEEEZZNS1_33reduce_by_key_impl_wrapped_configILNS1_25lookback_scan_determinismE0ES3_S9_PsNS6_17constant_iteratorIiNS6_11use_defaultESE_EENS6_10device_ptrIsEENSG_IlEEPmS8_NS6_8equal_toIsEEEE10hipError_tPvRmT2_T3_mT4_T5_T6_T7_T8_P12ihipStream_tbENKUlT_T0_E_clISt17integral_constantIbLb1EES13_EEDaSY_SZ_EUlSY_E_NS1_11comp_targetILNS1_3genE10ELNS1_11target_archE1200ELNS1_3gpuE4ELNS1_3repE0EEENS1_30default_config_static_selectorELNS0_4arch9wavefront6targetE1EEEvT1_: ; @_ZN7rocprim17ROCPRIM_400000_NS6detail17trampoline_kernelINS0_14default_configENS1_29reduce_by_key_config_selectorIslN6thrust23THRUST_200600_302600_NS4plusIlEEEEZZNS1_33reduce_by_key_impl_wrapped_configILNS1_25lookback_scan_determinismE0ES3_S9_PsNS6_17constant_iteratorIiNS6_11use_defaultESE_EENS6_10device_ptrIsEENSG_IlEEPmS8_NS6_8equal_toIsEEEE10hipError_tPvRmT2_T3_mT4_T5_T6_T7_T8_P12ihipStream_tbENKUlT_T0_E_clISt17integral_constantIbLb1EES13_EEDaSY_SZ_EUlSY_E_NS1_11comp_targetILNS1_3genE10ELNS1_11target_archE1200ELNS1_3gpuE4ELNS1_3repE0EEENS1_30default_config_static_selectorELNS0_4arch9wavefront6targetE1EEEvT1_
; %bb.0:
	.section	.rodata,"a",@progbits
	.p2align	6, 0x0
	.amdhsa_kernel _ZN7rocprim17ROCPRIM_400000_NS6detail17trampoline_kernelINS0_14default_configENS1_29reduce_by_key_config_selectorIslN6thrust23THRUST_200600_302600_NS4plusIlEEEEZZNS1_33reduce_by_key_impl_wrapped_configILNS1_25lookback_scan_determinismE0ES3_S9_PsNS6_17constant_iteratorIiNS6_11use_defaultESE_EENS6_10device_ptrIsEENSG_IlEEPmS8_NS6_8equal_toIsEEEE10hipError_tPvRmT2_T3_mT4_T5_T6_T7_T8_P12ihipStream_tbENKUlT_T0_E_clISt17integral_constantIbLb1EES13_EEDaSY_SZ_EUlSY_E_NS1_11comp_targetILNS1_3genE10ELNS1_11target_archE1200ELNS1_3gpuE4ELNS1_3repE0EEENS1_30default_config_static_selectorELNS0_4arch9wavefront6targetE1EEEvT1_
		.amdhsa_group_segment_fixed_size 0
		.amdhsa_private_segment_fixed_size 0
		.amdhsa_kernarg_size 144
		.amdhsa_user_sgpr_count 6
		.amdhsa_user_sgpr_private_segment_buffer 1
		.amdhsa_user_sgpr_dispatch_ptr 0
		.amdhsa_user_sgpr_queue_ptr 0
		.amdhsa_user_sgpr_kernarg_segment_ptr 1
		.amdhsa_user_sgpr_dispatch_id 0
		.amdhsa_user_sgpr_flat_scratch_init 0
		.amdhsa_user_sgpr_kernarg_preload_length 0
		.amdhsa_user_sgpr_kernarg_preload_offset 0
		.amdhsa_user_sgpr_private_segment_size 0
		.amdhsa_uses_dynamic_stack 0
		.amdhsa_system_sgpr_private_segment_wavefront_offset 0
		.amdhsa_system_sgpr_workgroup_id_x 1
		.amdhsa_system_sgpr_workgroup_id_y 0
		.amdhsa_system_sgpr_workgroup_id_z 0
		.amdhsa_system_sgpr_workgroup_info 0
		.amdhsa_system_vgpr_workitem_id 0
		.amdhsa_next_free_vgpr 1
		.amdhsa_next_free_sgpr 0
		.amdhsa_accum_offset 4
		.amdhsa_reserve_vcc 0
		.amdhsa_reserve_flat_scratch 0
		.amdhsa_float_round_mode_32 0
		.amdhsa_float_round_mode_16_64 0
		.amdhsa_float_denorm_mode_32 3
		.amdhsa_float_denorm_mode_16_64 3
		.amdhsa_dx10_clamp 1
		.amdhsa_ieee_mode 1
		.amdhsa_fp16_overflow 0
		.amdhsa_tg_split 0
		.amdhsa_exception_fp_ieee_invalid_op 0
		.amdhsa_exception_fp_denorm_src 0
		.amdhsa_exception_fp_ieee_div_zero 0
		.amdhsa_exception_fp_ieee_overflow 0
		.amdhsa_exception_fp_ieee_underflow 0
		.amdhsa_exception_fp_ieee_inexact 0
		.amdhsa_exception_int_div_zero 0
	.end_amdhsa_kernel
	.section	.text._ZN7rocprim17ROCPRIM_400000_NS6detail17trampoline_kernelINS0_14default_configENS1_29reduce_by_key_config_selectorIslN6thrust23THRUST_200600_302600_NS4plusIlEEEEZZNS1_33reduce_by_key_impl_wrapped_configILNS1_25lookback_scan_determinismE0ES3_S9_PsNS6_17constant_iteratorIiNS6_11use_defaultESE_EENS6_10device_ptrIsEENSG_IlEEPmS8_NS6_8equal_toIsEEEE10hipError_tPvRmT2_T3_mT4_T5_T6_T7_T8_P12ihipStream_tbENKUlT_T0_E_clISt17integral_constantIbLb1EES13_EEDaSY_SZ_EUlSY_E_NS1_11comp_targetILNS1_3genE10ELNS1_11target_archE1200ELNS1_3gpuE4ELNS1_3repE0EEENS1_30default_config_static_selectorELNS0_4arch9wavefront6targetE1EEEvT1_,"axG",@progbits,_ZN7rocprim17ROCPRIM_400000_NS6detail17trampoline_kernelINS0_14default_configENS1_29reduce_by_key_config_selectorIslN6thrust23THRUST_200600_302600_NS4plusIlEEEEZZNS1_33reduce_by_key_impl_wrapped_configILNS1_25lookback_scan_determinismE0ES3_S9_PsNS6_17constant_iteratorIiNS6_11use_defaultESE_EENS6_10device_ptrIsEENSG_IlEEPmS8_NS6_8equal_toIsEEEE10hipError_tPvRmT2_T3_mT4_T5_T6_T7_T8_P12ihipStream_tbENKUlT_T0_E_clISt17integral_constantIbLb1EES13_EEDaSY_SZ_EUlSY_E_NS1_11comp_targetILNS1_3genE10ELNS1_11target_archE1200ELNS1_3gpuE4ELNS1_3repE0EEENS1_30default_config_static_selectorELNS0_4arch9wavefront6targetE1EEEvT1_,comdat
.Lfunc_end1485:
	.size	_ZN7rocprim17ROCPRIM_400000_NS6detail17trampoline_kernelINS0_14default_configENS1_29reduce_by_key_config_selectorIslN6thrust23THRUST_200600_302600_NS4plusIlEEEEZZNS1_33reduce_by_key_impl_wrapped_configILNS1_25lookback_scan_determinismE0ES3_S9_PsNS6_17constant_iteratorIiNS6_11use_defaultESE_EENS6_10device_ptrIsEENSG_IlEEPmS8_NS6_8equal_toIsEEEE10hipError_tPvRmT2_T3_mT4_T5_T6_T7_T8_P12ihipStream_tbENKUlT_T0_E_clISt17integral_constantIbLb1EES13_EEDaSY_SZ_EUlSY_E_NS1_11comp_targetILNS1_3genE10ELNS1_11target_archE1200ELNS1_3gpuE4ELNS1_3repE0EEENS1_30default_config_static_selectorELNS0_4arch9wavefront6targetE1EEEvT1_, .Lfunc_end1485-_ZN7rocprim17ROCPRIM_400000_NS6detail17trampoline_kernelINS0_14default_configENS1_29reduce_by_key_config_selectorIslN6thrust23THRUST_200600_302600_NS4plusIlEEEEZZNS1_33reduce_by_key_impl_wrapped_configILNS1_25lookback_scan_determinismE0ES3_S9_PsNS6_17constant_iteratorIiNS6_11use_defaultESE_EENS6_10device_ptrIsEENSG_IlEEPmS8_NS6_8equal_toIsEEEE10hipError_tPvRmT2_T3_mT4_T5_T6_T7_T8_P12ihipStream_tbENKUlT_T0_E_clISt17integral_constantIbLb1EES13_EEDaSY_SZ_EUlSY_E_NS1_11comp_targetILNS1_3genE10ELNS1_11target_archE1200ELNS1_3gpuE4ELNS1_3repE0EEENS1_30default_config_static_selectorELNS0_4arch9wavefront6targetE1EEEvT1_
                                        ; -- End function
	.section	.AMDGPU.csdata,"",@progbits
; Kernel info:
; codeLenInByte = 0
; NumSgprs: 4
; NumVgprs: 0
; NumAgprs: 0
; TotalNumVgprs: 0
; ScratchSize: 0
; MemoryBound: 0
; FloatMode: 240
; IeeeMode: 1
; LDSByteSize: 0 bytes/workgroup (compile time only)
; SGPRBlocks: 0
; VGPRBlocks: 0
; NumSGPRsForWavesPerEU: 4
; NumVGPRsForWavesPerEU: 1
; AccumOffset: 4
; Occupancy: 8
; WaveLimiterHint : 0
; COMPUTE_PGM_RSRC2:SCRATCH_EN: 0
; COMPUTE_PGM_RSRC2:USER_SGPR: 6
; COMPUTE_PGM_RSRC2:TRAP_HANDLER: 0
; COMPUTE_PGM_RSRC2:TGID_X_EN: 1
; COMPUTE_PGM_RSRC2:TGID_Y_EN: 0
; COMPUTE_PGM_RSRC2:TGID_Z_EN: 0
; COMPUTE_PGM_RSRC2:TIDIG_COMP_CNT: 0
; COMPUTE_PGM_RSRC3_GFX90A:ACCUM_OFFSET: 0
; COMPUTE_PGM_RSRC3_GFX90A:TG_SPLIT: 0
	.section	.text._ZN7rocprim17ROCPRIM_400000_NS6detail17trampoline_kernelINS0_14default_configENS1_29reduce_by_key_config_selectorIslN6thrust23THRUST_200600_302600_NS4plusIlEEEEZZNS1_33reduce_by_key_impl_wrapped_configILNS1_25lookback_scan_determinismE0ES3_S9_PsNS6_17constant_iteratorIiNS6_11use_defaultESE_EENS6_10device_ptrIsEENSG_IlEEPmS8_NS6_8equal_toIsEEEE10hipError_tPvRmT2_T3_mT4_T5_T6_T7_T8_P12ihipStream_tbENKUlT_T0_E_clISt17integral_constantIbLb1EES13_EEDaSY_SZ_EUlSY_E_NS1_11comp_targetILNS1_3genE9ELNS1_11target_archE1100ELNS1_3gpuE3ELNS1_3repE0EEENS1_30default_config_static_selectorELNS0_4arch9wavefront6targetE1EEEvT1_,"axG",@progbits,_ZN7rocprim17ROCPRIM_400000_NS6detail17trampoline_kernelINS0_14default_configENS1_29reduce_by_key_config_selectorIslN6thrust23THRUST_200600_302600_NS4plusIlEEEEZZNS1_33reduce_by_key_impl_wrapped_configILNS1_25lookback_scan_determinismE0ES3_S9_PsNS6_17constant_iteratorIiNS6_11use_defaultESE_EENS6_10device_ptrIsEENSG_IlEEPmS8_NS6_8equal_toIsEEEE10hipError_tPvRmT2_T3_mT4_T5_T6_T7_T8_P12ihipStream_tbENKUlT_T0_E_clISt17integral_constantIbLb1EES13_EEDaSY_SZ_EUlSY_E_NS1_11comp_targetILNS1_3genE9ELNS1_11target_archE1100ELNS1_3gpuE3ELNS1_3repE0EEENS1_30default_config_static_selectorELNS0_4arch9wavefront6targetE1EEEvT1_,comdat
	.protected	_ZN7rocprim17ROCPRIM_400000_NS6detail17trampoline_kernelINS0_14default_configENS1_29reduce_by_key_config_selectorIslN6thrust23THRUST_200600_302600_NS4plusIlEEEEZZNS1_33reduce_by_key_impl_wrapped_configILNS1_25lookback_scan_determinismE0ES3_S9_PsNS6_17constant_iteratorIiNS6_11use_defaultESE_EENS6_10device_ptrIsEENSG_IlEEPmS8_NS6_8equal_toIsEEEE10hipError_tPvRmT2_T3_mT4_T5_T6_T7_T8_P12ihipStream_tbENKUlT_T0_E_clISt17integral_constantIbLb1EES13_EEDaSY_SZ_EUlSY_E_NS1_11comp_targetILNS1_3genE9ELNS1_11target_archE1100ELNS1_3gpuE3ELNS1_3repE0EEENS1_30default_config_static_selectorELNS0_4arch9wavefront6targetE1EEEvT1_ ; -- Begin function _ZN7rocprim17ROCPRIM_400000_NS6detail17trampoline_kernelINS0_14default_configENS1_29reduce_by_key_config_selectorIslN6thrust23THRUST_200600_302600_NS4plusIlEEEEZZNS1_33reduce_by_key_impl_wrapped_configILNS1_25lookback_scan_determinismE0ES3_S9_PsNS6_17constant_iteratorIiNS6_11use_defaultESE_EENS6_10device_ptrIsEENSG_IlEEPmS8_NS6_8equal_toIsEEEE10hipError_tPvRmT2_T3_mT4_T5_T6_T7_T8_P12ihipStream_tbENKUlT_T0_E_clISt17integral_constantIbLb1EES13_EEDaSY_SZ_EUlSY_E_NS1_11comp_targetILNS1_3genE9ELNS1_11target_archE1100ELNS1_3gpuE3ELNS1_3repE0EEENS1_30default_config_static_selectorELNS0_4arch9wavefront6targetE1EEEvT1_
	.globl	_ZN7rocprim17ROCPRIM_400000_NS6detail17trampoline_kernelINS0_14default_configENS1_29reduce_by_key_config_selectorIslN6thrust23THRUST_200600_302600_NS4plusIlEEEEZZNS1_33reduce_by_key_impl_wrapped_configILNS1_25lookback_scan_determinismE0ES3_S9_PsNS6_17constant_iteratorIiNS6_11use_defaultESE_EENS6_10device_ptrIsEENSG_IlEEPmS8_NS6_8equal_toIsEEEE10hipError_tPvRmT2_T3_mT4_T5_T6_T7_T8_P12ihipStream_tbENKUlT_T0_E_clISt17integral_constantIbLb1EES13_EEDaSY_SZ_EUlSY_E_NS1_11comp_targetILNS1_3genE9ELNS1_11target_archE1100ELNS1_3gpuE3ELNS1_3repE0EEENS1_30default_config_static_selectorELNS0_4arch9wavefront6targetE1EEEvT1_
	.p2align	8
	.type	_ZN7rocprim17ROCPRIM_400000_NS6detail17trampoline_kernelINS0_14default_configENS1_29reduce_by_key_config_selectorIslN6thrust23THRUST_200600_302600_NS4plusIlEEEEZZNS1_33reduce_by_key_impl_wrapped_configILNS1_25lookback_scan_determinismE0ES3_S9_PsNS6_17constant_iteratorIiNS6_11use_defaultESE_EENS6_10device_ptrIsEENSG_IlEEPmS8_NS6_8equal_toIsEEEE10hipError_tPvRmT2_T3_mT4_T5_T6_T7_T8_P12ihipStream_tbENKUlT_T0_E_clISt17integral_constantIbLb1EES13_EEDaSY_SZ_EUlSY_E_NS1_11comp_targetILNS1_3genE9ELNS1_11target_archE1100ELNS1_3gpuE3ELNS1_3repE0EEENS1_30default_config_static_selectorELNS0_4arch9wavefront6targetE1EEEvT1_,@function
_ZN7rocprim17ROCPRIM_400000_NS6detail17trampoline_kernelINS0_14default_configENS1_29reduce_by_key_config_selectorIslN6thrust23THRUST_200600_302600_NS4plusIlEEEEZZNS1_33reduce_by_key_impl_wrapped_configILNS1_25lookback_scan_determinismE0ES3_S9_PsNS6_17constant_iteratorIiNS6_11use_defaultESE_EENS6_10device_ptrIsEENSG_IlEEPmS8_NS6_8equal_toIsEEEE10hipError_tPvRmT2_T3_mT4_T5_T6_T7_T8_P12ihipStream_tbENKUlT_T0_E_clISt17integral_constantIbLb1EES13_EEDaSY_SZ_EUlSY_E_NS1_11comp_targetILNS1_3genE9ELNS1_11target_archE1100ELNS1_3gpuE3ELNS1_3repE0EEENS1_30default_config_static_selectorELNS0_4arch9wavefront6targetE1EEEvT1_: ; @_ZN7rocprim17ROCPRIM_400000_NS6detail17trampoline_kernelINS0_14default_configENS1_29reduce_by_key_config_selectorIslN6thrust23THRUST_200600_302600_NS4plusIlEEEEZZNS1_33reduce_by_key_impl_wrapped_configILNS1_25lookback_scan_determinismE0ES3_S9_PsNS6_17constant_iteratorIiNS6_11use_defaultESE_EENS6_10device_ptrIsEENSG_IlEEPmS8_NS6_8equal_toIsEEEE10hipError_tPvRmT2_T3_mT4_T5_T6_T7_T8_P12ihipStream_tbENKUlT_T0_E_clISt17integral_constantIbLb1EES13_EEDaSY_SZ_EUlSY_E_NS1_11comp_targetILNS1_3genE9ELNS1_11target_archE1100ELNS1_3gpuE3ELNS1_3repE0EEENS1_30default_config_static_selectorELNS0_4arch9wavefront6targetE1EEEvT1_
; %bb.0:
	.section	.rodata,"a",@progbits
	.p2align	6, 0x0
	.amdhsa_kernel _ZN7rocprim17ROCPRIM_400000_NS6detail17trampoline_kernelINS0_14default_configENS1_29reduce_by_key_config_selectorIslN6thrust23THRUST_200600_302600_NS4plusIlEEEEZZNS1_33reduce_by_key_impl_wrapped_configILNS1_25lookback_scan_determinismE0ES3_S9_PsNS6_17constant_iteratorIiNS6_11use_defaultESE_EENS6_10device_ptrIsEENSG_IlEEPmS8_NS6_8equal_toIsEEEE10hipError_tPvRmT2_T3_mT4_T5_T6_T7_T8_P12ihipStream_tbENKUlT_T0_E_clISt17integral_constantIbLb1EES13_EEDaSY_SZ_EUlSY_E_NS1_11comp_targetILNS1_3genE9ELNS1_11target_archE1100ELNS1_3gpuE3ELNS1_3repE0EEENS1_30default_config_static_selectorELNS0_4arch9wavefront6targetE1EEEvT1_
		.amdhsa_group_segment_fixed_size 0
		.amdhsa_private_segment_fixed_size 0
		.amdhsa_kernarg_size 144
		.amdhsa_user_sgpr_count 6
		.amdhsa_user_sgpr_private_segment_buffer 1
		.amdhsa_user_sgpr_dispatch_ptr 0
		.amdhsa_user_sgpr_queue_ptr 0
		.amdhsa_user_sgpr_kernarg_segment_ptr 1
		.amdhsa_user_sgpr_dispatch_id 0
		.amdhsa_user_sgpr_flat_scratch_init 0
		.amdhsa_user_sgpr_kernarg_preload_length 0
		.amdhsa_user_sgpr_kernarg_preload_offset 0
		.amdhsa_user_sgpr_private_segment_size 0
		.amdhsa_uses_dynamic_stack 0
		.amdhsa_system_sgpr_private_segment_wavefront_offset 0
		.amdhsa_system_sgpr_workgroup_id_x 1
		.amdhsa_system_sgpr_workgroup_id_y 0
		.amdhsa_system_sgpr_workgroup_id_z 0
		.amdhsa_system_sgpr_workgroup_info 0
		.amdhsa_system_vgpr_workitem_id 0
		.amdhsa_next_free_vgpr 1
		.amdhsa_next_free_sgpr 0
		.amdhsa_accum_offset 4
		.amdhsa_reserve_vcc 0
		.amdhsa_reserve_flat_scratch 0
		.amdhsa_float_round_mode_32 0
		.amdhsa_float_round_mode_16_64 0
		.amdhsa_float_denorm_mode_32 3
		.amdhsa_float_denorm_mode_16_64 3
		.amdhsa_dx10_clamp 1
		.amdhsa_ieee_mode 1
		.amdhsa_fp16_overflow 0
		.amdhsa_tg_split 0
		.amdhsa_exception_fp_ieee_invalid_op 0
		.amdhsa_exception_fp_denorm_src 0
		.amdhsa_exception_fp_ieee_div_zero 0
		.amdhsa_exception_fp_ieee_overflow 0
		.amdhsa_exception_fp_ieee_underflow 0
		.amdhsa_exception_fp_ieee_inexact 0
		.amdhsa_exception_int_div_zero 0
	.end_amdhsa_kernel
	.section	.text._ZN7rocprim17ROCPRIM_400000_NS6detail17trampoline_kernelINS0_14default_configENS1_29reduce_by_key_config_selectorIslN6thrust23THRUST_200600_302600_NS4plusIlEEEEZZNS1_33reduce_by_key_impl_wrapped_configILNS1_25lookback_scan_determinismE0ES3_S9_PsNS6_17constant_iteratorIiNS6_11use_defaultESE_EENS6_10device_ptrIsEENSG_IlEEPmS8_NS6_8equal_toIsEEEE10hipError_tPvRmT2_T3_mT4_T5_T6_T7_T8_P12ihipStream_tbENKUlT_T0_E_clISt17integral_constantIbLb1EES13_EEDaSY_SZ_EUlSY_E_NS1_11comp_targetILNS1_3genE9ELNS1_11target_archE1100ELNS1_3gpuE3ELNS1_3repE0EEENS1_30default_config_static_selectorELNS0_4arch9wavefront6targetE1EEEvT1_,"axG",@progbits,_ZN7rocprim17ROCPRIM_400000_NS6detail17trampoline_kernelINS0_14default_configENS1_29reduce_by_key_config_selectorIslN6thrust23THRUST_200600_302600_NS4plusIlEEEEZZNS1_33reduce_by_key_impl_wrapped_configILNS1_25lookback_scan_determinismE0ES3_S9_PsNS6_17constant_iteratorIiNS6_11use_defaultESE_EENS6_10device_ptrIsEENSG_IlEEPmS8_NS6_8equal_toIsEEEE10hipError_tPvRmT2_T3_mT4_T5_T6_T7_T8_P12ihipStream_tbENKUlT_T0_E_clISt17integral_constantIbLb1EES13_EEDaSY_SZ_EUlSY_E_NS1_11comp_targetILNS1_3genE9ELNS1_11target_archE1100ELNS1_3gpuE3ELNS1_3repE0EEENS1_30default_config_static_selectorELNS0_4arch9wavefront6targetE1EEEvT1_,comdat
.Lfunc_end1486:
	.size	_ZN7rocprim17ROCPRIM_400000_NS6detail17trampoline_kernelINS0_14default_configENS1_29reduce_by_key_config_selectorIslN6thrust23THRUST_200600_302600_NS4plusIlEEEEZZNS1_33reduce_by_key_impl_wrapped_configILNS1_25lookback_scan_determinismE0ES3_S9_PsNS6_17constant_iteratorIiNS6_11use_defaultESE_EENS6_10device_ptrIsEENSG_IlEEPmS8_NS6_8equal_toIsEEEE10hipError_tPvRmT2_T3_mT4_T5_T6_T7_T8_P12ihipStream_tbENKUlT_T0_E_clISt17integral_constantIbLb1EES13_EEDaSY_SZ_EUlSY_E_NS1_11comp_targetILNS1_3genE9ELNS1_11target_archE1100ELNS1_3gpuE3ELNS1_3repE0EEENS1_30default_config_static_selectorELNS0_4arch9wavefront6targetE1EEEvT1_, .Lfunc_end1486-_ZN7rocprim17ROCPRIM_400000_NS6detail17trampoline_kernelINS0_14default_configENS1_29reduce_by_key_config_selectorIslN6thrust23THRUST_200600_302600_NS4plusIlEEEEZZNS1_33reduce_by_key_impl_wrapped_configILNS1_25lookback_scan_determinismE0ES3_S9_PsNS6_17constant_iteratorIiNS6_11use_defaultESE_EENS6_10device_ptrIsEENSG_IlEEPmS8_NS6_8equal_toIsEEEE10hipError_tPvRmT2_T3_mT4_T5_T6_T7_T8_P12ihipStream_tbENKUlT_T0_E_clISt17integral_constantIbLb1EES13_EEDaSY_SZ_EUlSY_E_NS1_11comp_targetILNS1_3genE9ELNS1_11target_archE1100ELNS1_3gpuE3ELNS1_3repE0EEENS1_30default_config_static_selectorELNS0_4arch9wavefront6targetE1EEEvT1_
                                        ; -- End function
	.section	.AMDGPU.csdata,"",@progbits
; Kernel info:
; codeLenInByte = 0
; NumSgprs: 4
; NumVgprs: 0
; NumAgprs: 0
; TotalNumVgprs: 0
; ScratchSize: 0
; MemoryBound: 0
; FloatMode: 240
; IeeeMode: 1
; LDSByteSize: 0 bytes/workgroup (compile time only)
; SGPRBlocks: 0
; VGPRBlocks: 0
; NumSGPRsForWavesPerEU: 4
; NumVGPRsForWavesPerEU: 1
; AccumOffset: 4
; Occupancy: 8
; WaveLimiterHint : 0
; COMPUTE_PGM_RSRC2:SCRATCH_EN: 0
; COMPUTE_PGM_RSRC2:USER_SGPR: 6
; COMPUTE_PGM_RSRC2:TRAP_HANDLER: 0
; COMPUTE_PGM_RSRC2:TGID_X_EN: 1
; COMPUTE_PGM_RSRC2:TGID_Y_EN: 0
; COMPUTE_PGM_RSRC2:TGID_Z_EN: 0
; COMPUTE_PGM_RSRC2:TIDIG_COMP_CNT: 0
; COMPUTE_PGM_RSRC3_GFX90A:ACCUM_OFFSET: 0
; COMPUTE_PGM_RSRC3_GFX90A:TG_SPLIT: 0
	.section	.text._ZN7rocprim17ROCPRIM_400000_NS6detail17trampoline_kernelINS0_14default_configENS1_29reduce_by_key_config_selectorIslN6thrust23THRUST_200600_302600_NS4plusIlEEEEZZNS1_33reduce_by_key_impl_wrapped_configILNS1_25lookback_scan_determinismE0ES3_S9_PsNS6_17constant_iteratorIiNS6_11use_defaultESE_EENS6_10device_ptrIsEENSG_IlEEPmS8_NS6_8equal_toIsEEEE10hipError_tPvRmT2_T3_mT4_T5_T6_T7_T8_P12ihipStream_tbENKUlT_T0_E_clISt17integral_constantIbLb1EES13_EEDaSY_SZ_EUlSY_E_NS1_11comp_targetILNS1_3genE8ELNS1_11target_archE1030ELNS1_3gpuE2ELNS1_3repE0EEENS1_30default_config_static_selectorELNS0_4arch9wavefront6targetE1EEEvT1_,"axG",@progbits,_ZN7rocprim17ROCPRIM_400000_NS6detail17trampoline_kernelINS0_14default_configENS1_29reduce_by_key_config_selectorIslN6thrust23THRUST_200600_302600_NS4plusIlEEEEZZNS1_33reduce_by_key_impl_wrapped_configILNS1_25lookback_scan_determinismE0ES3_S9_PsNS6_17constant_iteratorIiNS6_11use_defaultESE_EENS6_10device_ptrIsEENSG_IlEEPmS8_NS6_8equal_toIsEEEE10hipError_tPvRmT2_T3_mT4_T5_T6_T7_T8_P12ihipStream_tbENKUlT_T0_E_clISt17integral_constantIbLb1EES13_EEDaSY_SZ_EUlSY_E_NS1_11comp_targetILNS1_3genE8ELNS1_11target_archE1030ELNS1_3gpuE2ELNS1_3repE0EEENS1_30default_config_static_selectorELNS0_4arch9wavefront6targetE1EEEvT1_,comdat
	.protected	_ZN7rocprim17ROCPRIM_400000_NS6detail17trampoline_kernelINS0_14default_configENS1_29reduce_by_key_config_selectorIslN6thrust23THRUST_200600_302600_NS4plusIlEEEEZZNS1_33reduce_by_key_impl_wrapped_configILNS1_25lookback_scan_determinismE0ES3_S9_PsNS6_17constant_iteratorIiNS6_11use_defaultESE_EENS6_10device_ptrIsEENSG_IlEEPmS8_NS6_8equal_toIsEEEE10hipError_tPvRmT2_T3_mT4_T5_T6_T7_T8_P12ihipStream_tbENKUlT_T0_E_clISt17integral_constantIbLb1EES13_EEDaSY_SZ_EUlSY_E_NS1_11comp_targetILNS1_3genE8ELNS1_11target_archE1030ELNS1_3gpuE2ELNS1_3repE0EEENS1_30default_config_static_selectorELNS0_4arch9wavefront6targetE1EEEvT1_ ; -- Begin function _ZN7rocprim17ROCPRIM_400000_NS6detail17trampoline_kernelINS0_14default_configENS1_29reduce_by_key_config_selectorIslN6thrust23THRUST_200600_302600_NS4plusIlEEEEZZNS1_33reduce_by_key_impl_wrapped_configILNS1_25lookback_scan_determinismE0ES3_S9_PsNS6_17constant_iteratorIiNS6_11use_defaultESE_EENS6_10device_ptrIsEENSG_IlEEPmS8_NS6_8equal_toIsEEEE10hipError_tPvRmT2_T3_mT4_T5_T6_T7_T8_P12ihipStream_tbENKUlT_T0_E_clISt17integral_constantIbLb1EES13_EEDaSY_SZ_EUlSY_E_NS1_11comp_targetILNS1_3genE8ELNS1_11target_archE1030ELNS1_3gpuE2ELNS1_3repE0EEENS1_30default_config_static_selectorELNS0_4arch9wavefront6targetE1EEEvT1_
	.globl	_ZN7rocprim17ROCPRIM_400000_NS6detail17trampoline_kernelINS0_14default_configENS1_29reduce_by_key_config_selectorIslN6thrust23THRUST_200600_302600_NS4plusIlEEEEZZNS1_33reduce_by_key_impl_wrapped_configILNS1_25lookback_scan_determinismE0ES3_S9_PsNS6_17constant_iteratorIiNS6_11use_defaultESE_EENS6_10device_ptrIsEENSG_IlEEPmS8_NS6_8equal_toIsEEEE10hipError_tPvRmT2_T3_mT4_T5_T6_T7_T8_P12ihipStream_tbENKUlT_T0_E_clISt17integral_constantIbLb1EES13_EEDaSY_SZ_EUlSY_E_NS1_11comp_targetILNS1_3genE8ELNS1_11target_archE1030ELNS1_3gpuE2ELNS1_3repE0EEENS1_30default_config_static_selectorELNS0_4arch9wavefront6targetE1EEEvT1_
	.p2align	8
	.type	_ZN7rocprim17ROCPRIM_400000_NS6detail17trampoline_kernelINS0_14default_configENS1_29reduce_by_key_config_selectorIslN6thrust23THRUST_200600_302600_NS4plusIlEEEEZZNS1_33reduce_by_key_impl_wrapped_configILNS1_25lookback_scan_determinismE0ES3_S9_PsNS6_17constant_iteratorIiNS6_11use_defaultESE_EENS6_10device_ptrIsEENSG_IlEEPmS8_NS6_8equal_toIsEEEE10hipError_tPvRmT2_T3_mT4_T5_T6_T7_T8_P12ihipStream_tbENKUlT_T0_E_clISt17integral_constantIbLb1EES13_EEDaSY_SZ_EUlSY_E_NS1_11comp_targetILNS1_3genE8ELNS1_11target_archE1030ELNS1_3gpuE2ELNS1_3repE0EEENS1_30default_config_static_selectorELNS0_4arch9wavefront6targetE1EEEvT1_,@function
_ZN7rocprim17ROCPRIM_400000_NS6detail17trampoline_kernelINS0_14default_configENS1_29reduce_by_key_config_selectorIslN6thrust23THRUST_200600_302600_NS4plusIlEEEEZZNS1_33reduce_by_key_impl_wrapped_configILNS1_25lookback_scan_determinismE0ES3_S9_PsNS6_17constant_iteratorIiNS6_11use_defaultESE_EENS6_10device_ptrIsEENSG_IlEEPmS8_NS6_8equal_toIsEEEE10hipError_tPvRmT2_T3_mT4_T5_T6_T7_T8_P12ihipStream_tbENKUlT_T0_E_clISt17integral_constantIbLb1EES13_EEDaSY_SZ_EUlSY_E_NS1_11comp_targetILNS1_3genE8ELNS1_11target_archE1030ELNS1_3gpuE2ELNS1_3repE0EEENS1_30default_config_static_selectorELNS0_4arch9wavefront6targetE1EEEvT1_: ; @_ZN7rocprim17ROCPRIM_400000_NS6detail17trampoline_kernelINS0_14default_configENS1_29reduce_by_key_config_selectorIslN6thrust23THRUST_200600_302600_NS4plusIlEEEEZZNS1_33reduce_by_key_impl_wrapped_configILNS1_25lookback_scan_determinismE0ES3_S9_PsNS6_17constant_iteratorIiNS6_11use_defaultESE_EENS6_10device_ptrIsEENSG_IlEEPmS8_NS6_8equal_toIsEEEE10hipError_tPvRmT2_T3_mT4_T5_T6_T7_T8_P12ihipStream_tbENKUlT_T0_E_clISt17integral_constantIbLb1EES13_EEDaSY_SZ_EUlSY_E_NS1_11comp_targetILNS1_3genE8ELNS1_11target_archE1030ELNS1_3gpuE2ELNS1_3repE0EEENS1_30default_config_static_selectorELNS0_4arch9wavefront6targetE1EEEvT1_
; %bb.0:
	.section	.rodata,"a",@progbits
	.p2align	6, 0x0
	.amdhsa_kernel _ZN7rocprim17ROCPRIM_400000_NS6detail17trampoline_kernelINS0_14default_configENS1_29reduce_by_key_config_selectorIslN6thrust23THRUST_200600_302600_NS4plusIlEEEEZZNS1_33reduce_by_key_impl_wrapped_configILNS1_25lookback_scan_determinismE0ES3_S9_PsNS6_17constant_iteratorIiNS6_11use_defaultESE_EENS6_10device_ptrIsEENSG_IlEEPmS8_NS6_8equal_toIsEEEE10hipError_tPvRmT2_T3_mT4_T5_T6_T7_T8_P12ihipStream_tbENKUlT_T0_E_clISt17integral_constantIbLb1EES13_EEDaSY_SZ_EUlSY_E_NS1_11comp_targetILNS1_3genE8ELNS1_11target_archE1030ELNS1_3gpuE2ELNS1_3repE0EEENS1_30default_config_static_selectorELNS0_4arch9wavefront6targetE1EEEvT1_
		.amdhsa_group_segment_fixed_size 0
		.amdhsa_private_segment_fixed_size 0
		.amdhsa_kernarg_size 144
		.amdhsa_user_sgpr_count 6
		.amdhsa_user_sgpr_private_segment_buffer 1
		.amdhsa_user_sgpr_dispatch_ptr 0
		.amdhsa_user_sgpr_queue_ptr 0
		.amdhsa_user_sgpr_kernarg_segment_ptr 1
		.amdhsa_user_sgpr_dispatch_id 0
		.amdhsa_user_sgpr_flat_scratch_init 0
		.amdhsa_user_sgpr_kernarg_preload_length 0
		.amdhsa_user_sgpr_kernarg_preload_offset 0
		.amdhsa_user_sgpr_private_segment_size 0
		.amdhsa_uses_dynamic_stack 0
		.amdhsa_system_sgpr_private_segment_wavefront_offset 0
		.amdhsa_system_sgpr_workgroup_id_x 1
		.amdhsa_system_sgpr_workgroup_id_y 0
		.amdhsa_system_sgpr_workgroup_id_z 0
		.amdhsa_system_sgpr_workgroup_info 0
		.amdhsa_system_vgpr_workitem_id 0
		.amdhsa_next_free_vgpr 1
		.amdhsa_next_free_sgpr 0
		.amdhsa_accum_offset 4
		.amdhsa_reserve_vcc 0
		.amdhsa_reserve_flat_scratch 0
		.amdhsa_float_round_mode_32 0
		.amdhsa_float_round_mode_16_64 0
		.amdhsa_float_denorm_mode_32 3
		.amdhsa_float_denorm_mode_16_64 3
		.amdhsa_dx10_clamp 1
		.amdhsa_ieee_mode 1
		.amdhsa_fp16_overflow 0
		.amdhsa_tg_split 0
		.amdhsa_exception_fp_ieee_invalid_op 0
		.amdhsa_exception_fp_denorm_src 0
		.amdhsa_exception_fp_ieee_div_zero 0
		.amdhsa_exception_fp_ieee_overflow 0
		.amdhsa_exception_fp_ieee_underflow 0
		.amdhsa_exception_fp_ieee_inexact 0
		.amdhsa_exception_int_div_zero 0
	.end_amdhsa_kernel
	.section	.text._ZN7rocprim17ROCPRIM_400000_NS6detail17trampoline_kernelINS0_14default_configENS1_29reduce_by_key_config_selectorIslN6thrust23THRUST_200600_302600_NS4plusIlEEEEZZNS1_33reduce_by_key_impl_wrapped_configILNS1_25lookback_scan_determinismE0ES3_S9_PsNS6_17constant_iteratorIiNS6_11use_defaultESE_EENS6_10device_ptrIsEENSG_IlEEPmS8_NS6_8equal_toIsEEEE10hipError_tPvRmT2_T3_mT4_T5_T6_T7_T8_P12ihipStream_tbENKUlT_T0_E_clISt17integral_constantIbLb1EES13_EEDaSY_SZ_EUlSY_E_NS1_11comp_targetILNS1_3genE8ELNS1_11target_archE1030ELNS1_3gpuE2ELNS1_3repE0EEENS1_30default_config_static_selectorELNS0_4arch9wavefront6targetE1EEEvT1_,"axG",@progbits,_ZN7rocprim17ROCPRIM_400000_NS6detail17trampoline_kernelINS0_14default_configENS1_29reduce_by_key_config_selectorIslN6thrust23THRUST_200600_302600_NS4plusIlEEEEZZNS1_33reduce_by_key_impl_wrapped_configILNS1_25lookback_scan_determinismE0ES3_S9_PsNS6_17constant_iteratorIiNS6_11use_defaultESE_EENS6_10device_ptrIsEENSG_IlEEPmS8_NS6_8equal_toIsEEEE10hipError_tPvRmT2_T3_mT4_T5_T6_T7_T8_P12ihipStream_tbENKUlT_T0_E_clISt17integral_constantIbLb1EES13_EEDaSY_SZ_EUlSY_E_NS1_11comp_targetILNS1_3genE8ELNS1_11target_archE1030ELNS1_3gpuE2ELNS1_3repE0EEENS1_30default_config_static_selectorELNS0_4arch9wavefront6targetE1EEEvT1_,comdat
.Lfunc_end1487:
	.size	_ZN7rocprim17ROCPRIM_400000_NS6detail17trampoline_kernelINS0_14default_configENS1_29reduce_by_key_config_selectorIslN6thrust23THRUST_200600_302600_NS4plusIlEEEEZZNS1_33reduce_by_key_impl_wrapped_configILNS1_25lookback_scan_determinismE0ES3_S9_PsNS6_17constant_iteratorIiNS6_11use_defaultESE_EENS6_10device_ptrIsEENSG_IlEEPmS8_NS6_8equal_toIsEEEE10hipError_tPvRmT2_T3_mT4_T5_T6_T7_T8_P12ihipStream_tbENKUlT_T0_E_clISt17integral_constantIbLb1EES13_EEDaSY_SZ_EUlSY_E_NS1_11comp_targetILNS1_3genE8ELNS1_11target_archE1030ELNS1_3gpuE2ELNS1_3repE0EEENS1_30default_config_static_selectorELNS0_4arch9wavefront6targetE1EEEvT1_, .Lfunc_end1487-_ZN7rocprim17ROCPRIM_400000_NS6detail17trampoline_kernelINS0_14default_configENS1_29reduce_by_key_config_selectorIslN6thrust23THRUST_200600_302600_NS4plusIlEEEEZZNS1_33reduce_by_key_impl_wrapped_configILNS1_25lookback_scan_determinismE0ES3_S9_PsNS6_17constant_iteratorIiNS6_11use_defaultESE_EENS6_10device_ptrIsEENSG_IlEEPmS8_NS6_8equal_toIsEEEE10hipError_tPvRmT2_T3_mT4_T5_T6_T7_T8_P12ihipStream_tbENKUlT_T0_E_clISt17integral_constantIbLb1EES13_EEDaSY_SZ_EUlSY_E_NS1_11comp_targetILNS1_3genE8ELNS1_11target_archE1030ELNS1_3gpuE2ELNS1_3repE0EEENS1_30default_config_static_selectorELNS0_4arch9wavefront6targetE1EEEvT1_
                                        ; -- End function
	.section	.AMDGPU.csdata,"",@progbits
; Kernel info:
; codeLenInByte = 0
; NumSgprs: 4
; NumVgprs: 0
; NumAgprs: 0
; TotalNumVgprs: 0
; ScratchSize: 0
; MemoryBound: 0
; FloatMode: 240
; IeeeMode: 1
; LDSByteSize: 0 bytes/workgroup (compile time only)
; SGPRBlocks: 0
; VGPRBlocks: 0
; NumSGPRsForWavesPerEU: 4
; NumVGPRsForWavesPerEU: 1
; AccumOffset: 4
; Occupancy: 8
; WaveLimiterHint : 0
; COMPUTE_PGM_RSRC2:SCRATCH_EN: 0
; COMPUTE_PGM_RSRC2:USER_SGPR: 6
; COMPUTE_PGM_RSRC2:TRAP_HANDLER: 0
; COMPUTE_PGM_RSRC2:TGID_X_EN: 1
; COMPUTE_PGM_RSRC2:TGID_Y_EN: 0
; COMPUTE_PGM_RSRC2:TGID_Z_EN: 0
; COMPUTE_PGM_RSRC2:TIDIG_COMP_CNT: 0
; COMPUTE_PGM_RSRC3_GFX90A:ACCUM_OFFSET: 0
; COMPUTE_PGM_RSRC3_GFX90A:TG_SPLIT: 0
	.section	.text._ZN7rocprim17ROCPRIM_400000_NS6detail17trampoline_kernelINS0_14default_configENS1_29reduce_by_key_config_selectorIslN6thrust23THRUST_200600_302600_NS4plusIlEEEEZZNS1_33reduce_by_key_impl_wrapped_configILNS1_25lookback_scan_determinismE0ES3_S9_PsNS6_17constant_iteratorIiNS6_11use_defaultESE_EENS6_10device_ptrIsEENSG_IlEEPmS8_NS6_8equal_toIsEEEE10hipError_tPvRmT2_T3_mT4_T5_T6_T7_T8_P12ihipStream_tbENKUlT_T0_E_clISt17integral_constantIbLb1EES12_IbLb0EEEEDaSY_SZ_EUlSY_E_NS1_11comp_targetILNS1_3genE0ELNS1_11target_archE4294967295ELNS1_3gpuE0ELNS1_3repE0EEENS1_30default_config_static_selectorELNS0_4arch9wavefront6targetE1EEEvT1_,"axG",@progbits,_ZN7rocprim17ROCPRIM_400000_NS6detail17trampoline_kernelINS0_14default_configENS1_29reduce_by_key_config_selectorIslN6thrust23THRUST_200600_302600_NS4plusIlEEEEZZNS1_33reduce_by_key_impl_wrapped_configILNS1_25lookback_scan_determinismE0ES3_S9_PsNS6_17constant_iteratorIiNS6_11use_defaultESE_EENS6_10device_ptrIsEENSG_IlEEPmS8_NS6_8equal_toIsEEEE10hipError_tPvRmT2_T3_mT4_T5_T6_T7_T8_P12ihipStream_tbENKUlT_T0_E_clISt17integral_constantIbLb1EES12_IbLb0EEEEDaSY_SZ_EUlSY_E_NS1_11comp_targetILNS1_3genE0ELNS1_11target_archE4294967295ELNS1_3gpuE0ELNS1_3repE0EEENS1_30default_config_static_selectorELNS0_4arch9wavefront6targetE1EEEvT1_,comdat
	.protected	_ZN7rocprim17ROCPRIM_400000_NS6detail17trampoline_kernelINS0_14default_configENS1_29reduce_by_key_config_selectorIslN6thrust23THRUST_200600_302600_NS4plusIlEEEEZZNS1_33reduce_by_key_impl_wrapped_configILNS1_25lookback_scan_determinismE0ES3_S9_PsNS6_17constant_iteratorIiNS6_11use_defaultESE_EENS6_10device_ptrIsEENSG_IlEEPmS8_NS6_8equal_toIsEEEE10hipError_tPvRmT2_T3_mT4_T5_T6_T7_T8_P12ihipStream_tbENKUlT_T0_E_clISt17integral_constantIbLb1EES12_IbLb0EEEEDaSY_SZ_EUlSY_E_NS1_11comp_targetILNS1_3genE0ELNS1_11target_archE4294967295ELNS1_3gpuE0ELNS1_3repE0EEENS1_30default_config_static_selectorELNS0_4arch9wavefront6targetE1EEEvT1_ ; -- Begin function _ZN7rocprim17ROCPRIM_400000_NS6detail17trampoline_kernelINS0_14default_configENS1_29reduce_by_key_config_selectorIslN6thrust23THRUST_200600_302600_NS4plusIlEEEEZZNS1_33reduce_by_key_impl_wrapped_configILNS1_25lookback_scan_determinismE0ES3_S9_PsNS6_17constant_iteratorIiNS6_11use_defaultESE_EENS6_10device_ptrIsEENSG_IlEEPmS8_NS6_8equal_toIsEEEE10hipError_tPvRmT2_T3_mT4_T5_T6_T7_T8_P12ihipStream_tbENKUlT_T0_E_clISt17integral_constantIbLb1EES12_IbLb0EEEEDaSY_SZ_EUlSY_E_NS1_11comp_targetILNS1_3genE0ELNS1_11target_archE4294967295ELNS1_3gpuE0ELNS1_3repE0EEENS1_30default_config_static_selectorELNS0_4arch9wavefront6targetE1EEEvT1_
	.globl	_ZN7rocprim17ROCPRIM_400000_NS6detail17trampoline_kernelINS0_14default_configENS1_29reduce_by_key_config_selectorIslN6thrust23THRUST_200600_302600_NS4plusIlEEEEZZNS1_33reduce_by_key_impl_wrapped_configILNS1_25lookback_scan_determinismE0ES3_S9_PsNS6_17constant_iteratorIiNS6_11use_defaultESE_EENS6_10device_ptrIsEENSG_IlEEPmS8_NS6_8equal_toIsEEEE10hipError_tPvRmT2_T3_mT4_T5_T6_T7_T8_P12ihipStream_tbENKUlT_T0_E_clISt17integral_constantIbLb1EES12_IbLb0EEEEDaSY_SZ_EUlSY_E_NS1_11comp_targetILNS1_3genE0ELNS1_11target_archE4294967295ELNS1_3gpuE0ELNS1_3repE0EEENS1_30default_config_static_selectorELNS0_4arch9wavefront6targetE1EEEvT1_
	.p2align	8
	.type	_ZN7rocprim17ROCPRIM_400000_NS6detail17trampoline_kernelINS0_14default_configENS1_29reduce_by_key_config_selectorIslN6thrust23THRUST_200600_302600_NS4plusIlEEEEZZNS1_33reduce_by_key_impl_wrapped_configILNS1_25lookback_scan_determinismE0ES3_S9_PsNS6_17constant_iteratorIiNS6_11use_defaultESE_EENS6_10device_ptrIsEENSG_IlEEPmS8_NS6_8equal_toIsEEEE10hipError_tPvRmT2_T3_mT4_T5_T6_T7_T8_P12ihipStream_tbENKUlT_T0_E_clISt17integral_constantIbLb1EES12_IbLb0EEEEDaSY_SZ_EUlSY_E_NS1_11comp_targetILNS1_3genE0ELNS1_11target_archE4294967295ELNS1_3gpuE0ELNS1_3repE0EEENS1_30default_config_static_selectorELNS0_4arch9wavefront6targetE1EEEvT1_,@function
_ZN7rocprim17ROCPRIM_400000_NS6detail17trampoline_kernelINS0_14default_configENS1_29reduce_by_key_config_selectorIslN6thrust23THRUST_200600_302600_NS4plusIlEEEEZZNS1_33reduce_by_key_impl_wrapped_configILNS1_25lookback_scan_determinismE0ES3_S9_PsNS6_17constant_iteratorIiNS6_11use_defaultESE_EENS6_10device_ptrIsEENSG_IlEEPmS8_NS6_8equal_toIsEEEE10hipError_tPvRmT2_T3_mT4_T5_T6_T7_T8_P12ihipStream_tbENKUlT_T0_E_clISt17integral_constantIbLb1EES12_IbLb0EEEEDaSY_SZ_EUlSY_E_NS1_11comp_targetILNS1_3genE0ELNS1_11target_archE4294967295ELNS1_3gpuE0ELNS1_3repE0EEENS1_30default_config_static_selectorELNS0_4arch9wavefront6targetE1EEEvT1_: ; @_ZN7rocprim17ROCPRIM_400000_NS6detail17trampoline_kernelINS0_14default_configENS1_29reduce_by_key_config_selectorIslN6thrust23THRUST_200600_302600_NS4plusIlEEEEZZNS1_33reduce_by_key_impl_wrapped_configILNS1_25lookback_scan_determinismE0ES3_S9_PsNS6_17constant_iteratorIiNS6_11use_defaultESE_EENS6_10device_ptrIsEENSG_IlEEPmS8_NS6_8equal_toIsEEEE10hipError_tPvRmT2_T3_mT4_T5_T6_T7_T8_P12ihipStream_tbENKUlT_T0_E_clISt17integral_constantIbLb1EES12_IbLb0EEEEDaSY_SZ_EUlSY_E_NS1_11comp_targetILNS1_3genE0ELNS1_11target_archE4294967295ELNS1_3gpuE0ELNS1_3repE0EEENS1_30default_config_static_selectorELNS0_4arch9wavefront6targetE1EEEvT1_
; %bb.0:
	.section	.rodata,"a",@progbits
	.p2align	6, 0x0
	.amdhsa_kernel _ZN7rocprim17ROCPRIM_400000_NS6detail17trampoline_kernelINS0_14default_configENS1_29reduce_by_key_config_selectorIslN6thrust23THRUST_200600_302600_NS4plusIlEEEEZZNS1_33reduce_by_key_impl_wrapped_configILNS1_25lookback_scan_determinismE0ES3_S9_PsNS6_17constant_iteratorIiNS6_11use_defaultESE_EENS6_10device_ptrIsEENSG_IlEEPmS8_NS6_8equal_toIsEEEE10hipError_tPvRmT2_T3_mT4_T5_T6_T7_T8_P12ihipStream_tbENKUlT_T0_E_clISt17integral_constantIbLb1EES12_IbLb0EEEEDaSY_SZ_EUlSY_E_NS1_11comp_targetILNS1_3genE0ELNS1_11target_archE4294967295ELNS1_3gpuE0ELNS1_3repE0EEENS1_30default_config_static_selectorELNS0_4arch9wavefront6targetE1EEEvT1_
		.amdhsa_group_segment_fixed_size 0
		.amdhsa_private_segment_fixed_size 0
		.amdhsa_kernarg_size 144
		.amdhsa_user_sgpr_count 6
		.amdhsa_user_sgpr_private_segment_buffer 1
		.amdhsa_user_sgpr_dispatch_ptr 0
		.amdhsa_user_sgpr_queue_ptr 0
		.amdhsa_user_sgpr_kernarg_segment_ptr 1
		.amdhsa_user_sgpr_dispatch_id 0
		.amdhsa_user_sgpr_flat_scratch_init 0
		.amdhsa_user_sgpr_kernarg_preload_length 0
		.amdhsa_user_sgpr_kernarg_preload_offset 0
		.amdhsa_user_sgpr_private_segment_size 0
		.amdhsa_uses_dynamic_stack 0
		.amdhsa_system_sgpr_private_segment_wavefront_offset 0
		.amdhsa_system_sgpr_workgroup_id_x 1
		.amdhsa_system_sgpr_workgroup_id_y 0
		.amdhsa_system_sgpr_workgroup_id_z 0
		.amdhsa_system_sgpr_workgroup_info 0
		.amdhsa_system_vgpr_workitem_id 0
		.amdhsa_next_free_vgpr 1
		.amdhsa_next_free_sgpr 0
		.amdhsa_accum_offset 4
		.amdhsa_reserve_vcc 0
		.amdhsa_reserve_flat_scratch 0
		.amdhsa_float_round_mode_32 0
		.amdhsa_float_round_mode_16_64 0
		.amdhsa_float_denorm_mode_32 3
		.amdhsa_float_denorm_mode_16_64 3
		.amdhsa_dx10_clamp 1
		.amdhsa_ieee_mode 1
		.amdhsa_fp16_overflow 0
		.amdhsa_tg_split 0
		.amdhsa_exception_fp_ieee_invalid_op 0
		.amdhsa_exception_fp_denorm_src 0
		.amdhsa_exception_fp_ieee_div_zero 0
		.amdhsa_exception_fp_ieee_overflow 0
		.amdhsa_exception_fp_ieee_underflow 0
		.amdhsa_exception_fp_ieee_inexact 0
		.amdhsa_exception_int_div_zero 0
	.end_amdhsa_kernel
	.section	.text._ZN7rocprim17ROCPRIM_400000_NS6detail17trampoline_kernelINS0_14default_configENS1_29reduce_by_key_config_selectorIslN6thrust23THRUST_200600_302600_NS4plusIlEEEEZZNS1_33reduce_by_key_impl_wrapped_configILNS1_25lookback_scan_determinismE0ES3_S9_PsNS6_17constant_iteratorIiNS6_11use_defaultESE_EENS6_10device_ptrIsEENSG_IlEEPmS8_NS6_8equal_toIsEEEE10hipError_tPvRmT2_T3_mT4_T5_T6_T7_T8_P12ihipStream_tbENKUlT_T0_E_clISt17integral_constantIbLb1EES12_IbLb0EEEEDaSY_SZ_EUlSY_E_NS1_11comp_targetILNS1_3genE0ELNS1_11target_archE4294967295ELNS1_3gpuE0ELNS1_3repE0EEENS1_30default_config_static_selectorELNS0_4arch9wavefront6targetE1EEEvT1_,"axG",@progbits,_ZN7rocprim17ROCPRIM_400000_NS6detail17trampoline_kernelINS0_14default_configENS1_29reduce_by_key_config_selectorIslN6thrust23THRUST_200600_302600_NS4plusIlEEEEZZNS1_33reduce_by_key_impl_wrapped_configILNS1_25lookback_scan_determinismE0ES3_S9_PsNS6_17constant_iteratorIiNS6_11use_defaultESE_EENS6_10device_ptrIsEENSG_IlEEPmS8_NS6_8equal_toIsEEEE10hipError_tPvRmT2_T3_mT4_T5_T6_T7_T8_P12ihipStream_tbENKUlT_T0_E_clISt17integral_constantIbLb1EES12_IbLb0EEEEDaSY_SZ_EUlSY_E_NS1_11comp_targetILNS1_3genE0ELNS1_11target_archE4294967295ELNS1_3gpuE0ELNS1_3repE0EEENS1_30default_config_static_selectorELNS0_4arch9wavefront6targetE1EEEvT1_,comdat
.Lfunc_end1488:
	.size	_ZN7rocprim17ROCPRIM_400000_NS6detail17trampoline_kernelINS0_14default_configENS1_29reduce_by_key_config_selectorIslN6thrust23THRUST_200600_302600_NS4plusIlEEEEZZNS1_33reduce_by_key_impl_wrapped_configILNS1_25lookback_scan_determinismE0ES3_S9_PsNS6_17constant_iteratorIiNS6_11use_defaultESE_EENS6_10device_ptrIsEENSG_IlEEPmS8_NS6_8equal_toIsEEEE10hipError_tPvRmT2_T3_mT4_T5_T6_T7_T8_P12ihipStream_tbENKUlT_T0_E_clISt17integral_constantIbLb1EES12_IbLb0EEEEDaSY_SZ_EUlSY_E_NS1_11comp_targetILNS1_3genE0ELNS1_11target_archE4294967295ELNS1_3gpuE0ELNS1_3repE0EEENS1_30default_config_static_selectorELNS0_4arch9wavefront6targetE1EEEvT1_, .Lfunc_end1488-_ZN7rocprim17ROCPRIM_400000_NS6detail17trampoline_kernelINS0_14default_configENS1_29reduce_by_key_config_selectorIslN6thrust23THRUST_200600_302600_NS4plusIlEEEEZZNS1_33reduce_by_key_impl_wrapped_configILNS1_25lookback_scan_determinismE0ES3_S9_PsNS6_17constant_iteratorIiNS6_11use_defaultESE_EENS6_10device_ptrIsEENSG_IlEEPmS8_NS6_8equal_toIsEEEE10hipError_tPvRmT2_T3_mT4_T5_T6_T7_T8_P12ihipStream_tbENKUlT_T0_E_clISt17integral_constantIbLb1EES12_IbLb0EEEEDaSY_SZ_EUlSY_E_NS1_11comp_targetILNS1_3genE0ELNS1_11target_archE4294967295ELNS1_3gpuE0ELNS1_3repE0EEENS1_30default_config_static_selectorELNS0_4arch9wavefront6targetE1EEEvT1_
                                        ; -- End function
	.section	.AMDGPU.csdata,"",@progbits
; Kernel info:
; codeLenInByte = 0
; NumSgprs: 4
; NumVgprs: 0
; NumAgprs: 0
; TotalNumVgprs: 0
; ScratchSize: 0
; MemoryBound: 0
; FloatMode: 240
; IeeeMode: 1
; LDSByteSize: 0 bytes/workgroup (compile time only)
; SGPRBlocks: 0
; VGPRBlocks: 0
; NumSGPRsForWavesPerEU: 4
; NumVGPRsForWavesPerEU: 1
; AccumOffset: 4
; Occupancy: 8
; WaveLimiterHint : 0
; COMPUTE_PGM_RSRC2:SCRATCH_EN: 0
; COMPUTE_PGM_RSRC2:USER_SGPR: 6
; COMPUTE_PGM_RSRC2:TRAP_HANDLER: 0
; COMPUTE_PGM_RSRC2:TGID_X_EN: 1
; COMPUTE_PGM_RSRC2:TGID_Y_EN: 0
; COMPUTE_PGM_RSRC2:TGID_Z_EN: 0
; COMPUTE_PGM_RSRC2:TIDIG_COMP_CNT: 0
; COMPUTE_PGM_RSRC3_GFX90A:ACCUM_OFFSET: 0
; COMPUTE_PGM_RSRC3_GFX90A:TG_SPLIT: 0
	.section	.text._ZN7rocprim17ROCPRIM_400000_NS6detail17trampoline_kernelINS0_14default_configENS1_29reduce_by_key_config_selectorIslN6thrust23THRUST_200600_302600_NS4plusIlEEEEZZNS1_33reduce_by_key_impl_wrapped_configILNS1_25lookback_scan_determinismE0ES3_S9_PsNS6_17constant_iteratorIiNS6_11use_defaultESE_EENS6_10device_ptrIsEENSG_IlEEPmS8_NS6_8equal_toIsEEEE10hipError_tPvRmT2_T3_mT4_T5_T6_T7_T8_P12ihipStream_tbENKUlT_T0_E_clISt17integral_constantIbLb1EES12_IbLb0EEEEDaSY_SZ_EUlSY_E_NS1_11comp_targetILNS1_3genE5ELNS1_11target_archE942ELNS1_3gpuE9ELNS1_3repE0EEENS1_30default_config_static_selectorELNS0_4arch9wavefront6targetE1EEEvT1_,"axG",@progbits,_ZN7rocprim17ROCPRIM_400000_NS6detail17trampoline_kernelINS0_14default_configENS1_29reduce_by_key_config_selectorIslN6thrust23THRUST_200600_302600_NS4plusIlEEEEZZNS1_33reduce_by_key_impl_wrapped_configILNS1_25lookback_scan_determinismE0ES3_S9_PsNS6_17constant_iteratorIiNS6_11use_defaultESE_EENS6_10device_ptrIsEENSG_IlEEPmS8_NS6_8equal_toIsEEEE10hipError_tPvRmT2_T3_mT4_T5_T6_T7_T8_P12ihipStream_tbENKUlT_T0_E_clISt17integral_constantIbLb1EES12_IbLb0EEEEDaSY_SZ_EUlSY_E_NS1_11comp_targetILNS1_3genE5ELNS1_11target_archE942ELNS1_3gpuE9ELNS1_3repE0EEENS1_30default_config_static_selectorELNS0_4arch9wavefront6targetE1EEEvT1_,comdat
	.protected	_ZN7rocprim17ROCPRIM_400000_NS6detail17trampoline_kernelINS0_14default_configENS1_29reduce_by_key_config_selectorIslN6thrust23THRUST_200600_302600_NS4plusIlEEEEZZNS1_33reduce_by_key_impl_wrapped_configILNS1_25lookback_scan_determinismE0ES3_S9_PsNS6_17constant_iteratorIiNS6_11use_defaultESE_EENS6_10device_ptrIsEENSG_IlEEPmS8_NS6_8equal_toIsEEEE10hipError_tPvRmT2_T3_mT4_T5_T6_T7_T8_P12ihipStream_tbENKUlT_T0_E_clISt17integral_constantIbLb1EES12_IbLb0EEEEDaSY_SZ_EUlSY_E_NS1_11comp_targetILNS1_3genE5ELNS1_11target_archE942ELNS1_3gpuE9ELNS1_3repE0EEENS1_30default_config_static_selectorELNS0_4arch9wavefront6targetE1EEEvT1_ ; -- Begin function _ZN7rocprim17ROCPRIM_400000_NS6detail17trampoline_kernelINS0_14default_configENS1_29reduce_by_key_config_selectorIslN6thrust23THRUST_200600_302600_NS4plusIlEEEEZZNS1_33reduce_by_key_impl_wrapped_configILNS1_25lookback_scan_determinismE0ES3_S9_PsNS6_17constant_iteratorIiNS6_11use_defaultESE_EENS6_10device_ptrIsEENSG_IlEEPmS8_NS6_8equal_toIsEEEE10hipError_tPvRmT2_T3_mT4_T5_T6_T7_T8_P12ihipStream_tbENKUlT_T0_E_clISt17integral_constantIbLb1EES12_IbLb0EEEEDaSY_SZ_EUlSY_E_NS1_11comp_targetILNS1_3genE5ELNS1_11target_archE942ELNS1_3gpuE9ELNS1_3repE0EEENS1_30default_config_static_selectorELNS0_4arch9wavefront6targetE1EEEvT1_
	.globl	_ZN7rocprim17ROCPRIM_400000_NS6detail17trampoline_kernelINS0_14default_configENS1_29reduce_by_key_config_selectorIslN6thrust23THRUST_200600_302600_NS4plusIlEEEEZZNS1_33reduce_by_key_impl_wrapped_configILNS1_25lookback_scan_determinismE0ES3_S9_PsNS6_17constant_iteratorIiNS6_11use_defaultESE_EENS6_10device_ptrIsEENSG_IlEEPmS8_NS6_8equal_toIsEEEE10hipError_tPvRmT2_T3_mT4_T5_T6_T7_T8_P12ihipStream_tbENKUlT_T0_E_clISt17integral_constantIbLb1EES12_IbLb0EEEEDaSY_SZ_EUlSY_E_NS1_11comp_targetILNS1_3genE5ELNS1_11target_archE942ELNS1_3gpuE9ELNS1_3repE0EEENS1_30default_config_static_selectorELNS0_4arch9wavefront6targetE1EEEvT1_
	.p2align	8
	.type	_ZN7rocprim17ROCPRIM_400000_NS6detail17trampoline_kernelINS0_14default_configENS1_29reduce_by_key_config_selectorIslN6thrust23THRUST_200600_302600_NS4plusIlEEEEZZNS1_33reduce_by_key_impl_wrapped_configILNS1_25lookback_scan_determinismE0ES3_S9_PsNS6_17constant_iteratorIiNS6_11use_defaultESE_EENS6_10device_ptrIsEENSG_IlEEPmS8_NS6_8equal_toIsEEEE10hipError_tPvRmT2_T3_mT4_T5_T6_T7_T8_P12ihipStream_tbENKUlT_T0_E_clISt17integral_constantIbLb1EES12_IbLb0EEEEDaSY_SZ_EUlSY_E_NS1_11comp_targetILNS1_3genE5ELNS1_11target_archE942ELNS1_3gpuE9ELNS1_3repE0EEENS1_30default_config_static_selectorELNS0_4arch9wavefront6targetE1EEEvT1_,@function
_ZN7rocprim17ROCPRIM_400000_NS6detail17trampoline_kernelINS0_14default_configENS1_29reduce_by_key_config_selectorIslN6thrust23THRUST_200600_302600_NS4plusIlEEEEZZNS1_33reduce_by_key_impl_wrapped_configILNS1_25lookback_scan_determinismE0ES3_S9_PsNS6_17constant_iteratorIiNS6_11use_defaultESE_EENS6_10device_ptrIsEENSG_IlEEPmS8_NS6_8equal_toIsEEEE10hipError_tPvRmT2_T3_mT4_T5_T6_T7_T8_P12ihipStream_tbENKUlT_T0_E_clISt17integral_constantIbLb1EES12_IbLb0EEEEDaSY_SZ_EUlSY_E_NS1_11comp_targetILNS1_3genE5ELNS1_11target_archE942ELNS1_3gpuE9ELNS1_3repE0EEENS1_30default_config_static_selectorELNS0_4arch9wavefront6targetE1EEEvT1_: ; @_ZN7rocprim17ROCPRIM_400000_NS6detail17trampoline_kernelINS0_14default_configENS1_29reduce_by_key_config_selectorIslN6thrust23THRUST_200600_302600_NS4plusIlEEEEZZNS1_33reduce_by_key_impl_wrapped_configILNS1_25lookback_scan_determinismE0ES3_S9_PsNS6_17constant_iteratorIiNS6_11use_defaultESE_EENS6_10device_ptrIsEENSG_IlEEPmS8_NS6_8equal_toIsEEEE10hipError_tPvRmT2_T3_mT4_T5_T6_T7_T8_P12ihipStream_tbENKUlT_T0_E_clISt17integral_constantIbLb1EES12_IbLb0EEEEDaSY_SZ_EUlSY_E_NS1_11comp_targetILNS1_3genE5ELNS1_11target_archE942ELNS1_3gpuE9ELNS1_3repE0EEENS1_30default_config_static_selectorELNS0_4arch9wavefront6targetE1EEEvT1_
; %bb.0:
	.section	.rodata,"a",@progbits
	.p2align	6, 0x0
	.amdhsa_kernel _ZN7rocprim17ROCPRIM_400000_NS6detail17trampoline_kernelINS0_14default_configENS1_29reduce_by_key_config_selectorIslN6thrust23THRUST_200600_302600_NS4plusIlEEEEZZNS1_33reduce_by_key_impl_wrapped_configILNS1_25lookback_scan_determinismE0ES3_S9_PsNS6_17constant_iteratorIiNS6_11use_defaultESE_EENS6_10device_ptrIsEENSG_IlEEPmS8_NS6_8equal_toIsEEEE10hipError_tPvRmT2_T3_mT4_T5_T6_T7_T8_P12ihipStream_tbENKUlT_T0_E_clISt17integral_constantIbLb1EES12_IbLb0EEEEDaSY_SZ_EUlSY_E_NS1_11comp_targetILNS1_3genE5ELNS1_11target_archE942ELNS1_3gpuE9ELNS1_3repE0EEENS1_30default_config_static_selectorELNS0_4arch9wavefront6targetE1EEEvT1_
		.amdhsa_group_segment_fixed_size 0
		.amdhsa_private_segment_fixed_size 0
		.amdhsa_kernarg_size 144
		.amdhsa_user_sgpr_count 6
		.amdhsa_user_sgpr_private_segment_buffer 1
		.amdhsa_user_sgpr_dispatch_ptr 0
		.amdhsa_user_sgpr_queue_ptr 0
		.amdhsa_user_sgpr_kernarg_segment_ptr 1
		.amdhsa_user_sgpr_dispatch_id 0
		.amdhsa_user_sgpr_flat_scratch_init 0
		.amdhsa_user_sgpr_kernarg_preload_length 0
		.amdhsa_user_sgpr_kernarg_preload_offset 0
		.amdhsa_user_sgpr_private_segment_size 0
		.amdhsa_uses_dynamic_stack 0
		.amdhsa_system_sgpr_private_segment_wavefront_offset 0
		.amdhsa_system_sgpr_workgroup_id_x 1
		.amdhsa_system_sgpr_workgroup_id_y 0
		.amdhsa_system_sgpr_workgroup_id_z 0
		.amdhsa_system_sgpr_workgroup_info 0
		.amdhsa_system_vgpr_workitem_id 0
		.amdhsa_next_free_vgpr 1
		.amdhsa_next_free_sgpr 0
		.amdhsa_accum_offset 4
		.amdhsa_reserve_vcc 0
		.amdhsa_reserve_flat_scratch 0
		.amdhsa_float_round_mode_32 0
		.amdhsa_float_round_mode_16_64 0
		.amdhsa_float_denorm_mode_32 3
		.amdhsa_float_denorm_mode_16_64 3
		.amdhsa_dx10_clamp 1
		.amdhsa_ieee_mode 1
		.amdhsa_fp16_overflow 0
		.amdhsa_tg_split 0
		.amdhsa_exception_fp_ieee_invalid_op 0
		.amdhsa_exception_fp_denorm_src 0
		.amdhsa_exception_fp_ieee_div_zero 0
		.amdhsa_exception_fp_ieee_overflow 0
		.amdhsa_exception_fp_ieee_underflow 0
		.amdhsa_exception_fp_ieee_inexact 0
		.amdhsa_exception_int_div_zero 0
	.end_amdhsa_kernel
	.section	.text._ZN7rocprim17ROCPRIM_400000_NS6detail17trampoline_kernelINS0_14default_configENS1_29reduce_by_key_config_selectorIslN6thrust23THRUST_200600_302600_NS4plusIlEEEEZZNS1_33reduce_by_key_impl_wrapped_configILNS1_25lookback_scan_determinismE0ES3_S9_PsNS6_17constant_iteratorIiNS6_11use_defaultESE_EENS6_10device_ptrIsEENSG_IlEEPmS8_NS6_8equal_toIsEEEE10hipError_tPvRmT2_T3_mT4_T5_T6_T7_T8_P12ihipStream_tbENKUlT_T0_E_clISt17integral_constantIbLb1EES12_IbLb0EEEEDaSY_SZ_EUlSY_E_NS1_11comp_targetILNS1_3genE5ELNS1_11target_archE942ELNS1_3gpuE9ELNS1_3repE0EEENS1_30default_config_static_selectorELNS0_4arch9wavefront6targetE1EEEvT1_,"axG",@progbits,_ZN7rocprim17ROCPRIM_400000_NS6detail17trampoline_kernelINS0_14default_configENS1_29reduce_by_key_config_selectorIslN6thrust23THRUST_200600_302600_NS4plusIlEEEEZZNS1_33reduce_by_key_impl_wrapped_configILNS1_25lookback_scan_determinismE0ES3_S9_PsNS6_17constant_iteratorIiNS6_11use_defaultESE_EENS6_10device_ptrIsEENSG_IlEEPmS8_NS6_8equal_toIsEEEE10hipError_tPvRmT2_T3_mT4_T5_T6_T7_T8_P12ihipStream_tbENKUlT_T0_E_clISt17integral_constantIbLb1EES12_IbLb0EEEEDaSY_SZ_EUlSY_E_NS1_11comp_targetILNS1_3genE5ELNS1_11target_archE942ELNS1_3gpuE9ELNS1_3repE0EEENS1_30default_config_static_selectorELNS0_4arch9wavefront6targetE1EEEvT1_,comdat
.Lfunc_end1489:
	.size	_ZN7rocprim17ROCPRIM_400000_NS6detail17trampoline_kernelINS0_14default_configENS1_29reduce_by_key_config_selectorIslN6thrust23THRUST_200600_302600_NS4plusIlEEEEZZNS1_33reduce_by_key_impl_wrapped_configILNS1_25lookback_scan_determinismE0ES3_S9_PsNS6_17constant_iteratorIiNS6_11use_defaultESE_EENS6_10device_ptrIsEENSG_IlEEPmS8_NS6_8equal_toIsEEEE10hipError_tPvRmT2_T3_mT4_T5_T6_T7_T8_P12ihipStream_tbENKUlT_T0_E_clISt17integral_constantIbLb1EES12_IbLb0EEEEDaSY_SZ_EUlSY_E_NS1_11comp_targetILNS1_3genE5ELNS1_11target_archE942ELNS1_3gpuE9ELNS1_3repE0EEENS1_30default_config_static_selectorELNS0_4arch9wavefront6targetE1EEEvT1_, .Lfunc_end1489-_ZN7rocprim17ROCPRIM_400000_NS6detail17trampoline_kernelINS0_14default_configENS1_29reduce_by_key_config_selectorIslN6thrust23THRUST_200600_302600_NS4plusIlEEEEZZNS1_33reduce_by_key_impl_wrapped_configILNS1_25lookback_scan_determinismE0ES3_S9_PsNS6_17constant_iteratorIiNS6_11use_defaultESE_EENS6_10device_ptrIsEENSG_IlEEPmS8_NS6_8equal_toIsEEEE10hipError_tPvRmT2_T3_mT4_T5_T6_T7_T8_P12ihipStream_tbENKUlT_T0_E_clISt17integral_constantIbLb1EES12_IbLb0EEEEDaSY_SZ_EUlSY_E_NS1_11comp_targetILNS1_3genE5ELNS1_11target_archE942ELNS1_3gpuE9ELNS1_3repE0EEENS1_30default_config_static_selectorELNS0_4arch9wavefront6targetE1EEEvT1_
                                        ; -- End function
	.section	.AMDGPU.csdata,"",@progbits
; Kernel info:
; codeLenInByte = 0
; NumSgprs: 4
; NumVgprs: 0
; NumAgprs: 0
; TotalNumVgprs: 0
; ScratchSize: 0
; MemoryBound: 0
; FloatMode: 240
; IeeeMode: 1
; LDSByteSize: 0 bytes/workgroup (compile time only)
; SGPRBlocks: 0
; VGPRBlocks: 0
; NumSGPRsForWavesPerEU: 4
; NumVGPRsForWavesPerEU: 1
; AccumOffset: 4
; Occupancy: 8
; WaveLimiterHint : 0
; COMPUTE_PGM_RSRC2:SCRATCH_EN: 0
; COMPUTE_PGM_RSRC2:USER_SGPR: 6
; COMPUTE_PGM_RSRC2:TRAP_HANDLER: 0
; COMPUTE_PGM_RSRC2:TGID_X_EN: 1
; COMPUTE_PGM_RSRC2:TGID_Y_EN: 0
; COMPUTE_PGM_RSRC2:TGID_Z_EN: 0
; COMPUTE_PGM_RSRC2:TIDIG_COMP_CNT: 0
; COMPUTE_PGM_RSRC3_GFX90A:ACCUM_OFFSET: 0
; COMPUTE_PGM_RSRC3_GFX90A:TG_SPLIT: 0
	.section	.text._ZN7rocprim17ROCPRIM_400000_NS6detail17trampoline_kernelINS0_14default_configENS1_29reduce_by_key_config_selectorIslN6thrust23THRUST_200600_302600_NS4plusIlEEEEZZNS1_33reduce_by_key_impl_wrapped_configILNS1_25lookback_scan_determinismE0ES3_S9_PsNS6_17constant_iteratorIiNS6_11use_defaultESE_EENS6_10device_ptrIsEENSG_IlEEPmS8_NS6_8equal_toIsEEEE10hipError_tPvRmT2_T3_mT4_T5_T6_T7_T8_P12ihipStream_tbENKUlT_T0_E_clISt17integral_constantIbLb1EES12_IbLb0EEEEDaSY_SZ_EUlSY_E_NS1_11comp_targetILNS1_3genE4ELNS1_11target_archE910ELNS1_3gpuE8ELNS1_3repE0EEENS1_30default_config_static_selectorELNS0_4arch9wavefront6targetE1EEEvT1_,"axG",@progbits,_ZN7rocprim17ROCPRIM_400000_NS6detail17trampoline_kernelINS0_14default_configENS1_29reduce_by_key_config_selectorIslN6thrust23THRUST_200600_302600_NS4plusIlEEEEZZNS1_33reduce_by_key_impl_wrapped_configILNS1_25lookback_scan_determinismE0ES3_S9_PsNS6_17constant_iteratorIiNS6_11use_defaultESE_EENS6_10device_ptrIsEENSG_IlEEPmS8_NS6_8equal_toIsEEEE10hipError_tPvRmT2_T3_mT4_T5_T6_T7_T8_P12ihipStream_tbENKUlT_T0_E_clISt17integral_constantIbLb1EES12_IbLb0EEEEDaSY_SZ_EUlSY_E_NS1_11comp_targetILNS1_3genE4ELNS1_11target_archE910ELNS1_3gpuE8ELNS1_3repE0EEENS1_30default_config_static_selectorELNS0_4arch9wavefront6targetE1EEEvT1_,comdat
	.protected	_ZN7rocprim17ROCPRIM_400000_NS6detail17trampoline_kernelINS0_14default_configENS1_29reduce_by_key_config_selectorIslN6thrust23THRUST_200600_302600_NS4plusIlEEEEZZNS1_33reduce_by_key_impl_wrapped_configILNS1_25lookback_scan_determinismE0ES3_S9_PsNS6_17constant_iteratorIiNS6_11use_defaultESE_EENS6_10device_ptrIsEENSG_IlEEPmS8_NS6_8equal_toIsEEEE10hipError_tPvRmT2_T3_mT4_T5_T6_T7_T8_P12ihipStream_tbENKUlT_T0_E_clISt17integral_constantIbLb1EES12_IbLb0EEEEDaSY_SZ_EUlSY_E_NS1_11comp_targetILNS1_3genE4ELNS1_11target_archE910ELNS1_3gpuE8ELNS1_3repE0EEENS1_30default_config_static_selectorELNS0_4arch9wavefront6targetE1EEEvT1_ ; -- Begin function _ZN7rocprim17ROCPRIM_400000_NS6detail17trampoline_kernelINS0_14default_configENS1_29reduce_by_key_config_selectorIslN6thrust23THRUST_200600_302600_NS4plusIlEEEEZZNS1_33reduce_by_key_impl_wrapped_configILNS1_25lookback_scan_determinismE0ES3_S9_PsNS6_17constant_iteratorIiNS6_11use_defaultESE_EENS6_10device_ptrIsEENSG_IlEEPmS8_NS6_8equal_toIsEEEE10hipError_tPvRmT2_T3_mT4_T5_T6_T7_T8_P12ihipStream_tbENKUlT_T0_E_clISt17integral_constantIbLb1EES12_IbLb0EEEEDaSY_SZ_EUlSY_E_NS1_11comp_targetILNS1_3genE4ELNS1_11target_archE910ELNS1_3gpuE8ELNS1_3repE0EEENS1_30default_config_static_selectorELNS0_4arch9wavefront6targetE1EEEvT1_
	.globl	_ZN7rocprim17ROCPRIM_400000_NS6detail17trampoline_kernelINS0_14default_configENS1_29reduce_by_key_config_selectorIslN6thrust23THRUST_200600_302600_NS4plusIlEEEEZZNS1_33reduce_by_key_impl_wrapped_configILNS1_25lookback_scan_determinismE0ES3_S9_PsNS6_17constant_iteratorIiNS6_11use_defaultESE_EENS6_10device_ptrIsEENSG_IlEEPmS8_NS6_8equal_toIsEEEE10hipError_tPvRmT2_T3_mT4_T5_T6_T7_T8_P12ihipStream_tbENKUlT_T0_E_clISt17integral_constantIbLb1EES12_IbLb0EEEEDaSY_SZ_EUlSY_E_NS1_11comp_targetILNS1_3genE4ELNS1_11target_archE910ELNS1_3gpuE8ELNS1_3repE0EEENS1_30default_config_static_selectorELNS0_4arch9wavefront6targetE1EEEvT1_
	.p2align	8
	.type	_ZN7rocprim17ROCPRIM_400000_NS6detail17trampoline_kernelINS0_14default_configENS1_29reduce_by_key_config_selectorIslN6thrust23THRUST_200600_302600_NS4plusIlEEEEZZNS1_33reduce_by_key_impl_wrapped_configILNS1_25lookback_scan_determinismE0ES3_S9_PsNS6_17constant_iteratorIiNS6_11use_defaultESE_EENS6_10device_ptrIsEENSG_IlEEPmS8_NS6_8equal_toIsEEEE10hipError_tPvRmT2_T3_mT4_T5_T6_T7_T8_P12ihipStream_tbENKUlT_T0_E_clISt17integral_constantIbLb1EES12_IbLb0EEEEDaSY_SZ_EUlSY_E_NS1_11comp_targetILNS1_3genE4ELNS1_11target_archE910ELNS1_3gpuE8ELNS1_3repE0EEENS1_30default_config_static_selectorELNS0_4arch9wavefront6targetE1EEEvT1_,@function
_ZN7rocprim17ROCPRIM_400000_NS6detail17trampoline_kernelINS0_14default_configENS1_29reduce_by_key_config_selectorIslN6thrust23THRUST_200600_302600_NS4plusIlEEEEZZNS1_33reduce_by_key_impl_wrapped_configILNS1_25lookback_scan_determinismE0ES3_S9_PsNS6_17constant_iteratorIiNS6_11use_defaultESE_EENS6_10device_ptrIsEENSG_IlEEPmS8_NS6_8equal_toIsEEEE10hipError_tPvRmT2_T3_mT4_T5_T6_T7_T8_P12ihipStream_tbENKUlT_T0_E_clISt17integral_constantIbLb1EES12_IbLb0EEEEDaSY_SZ_EUlSY_E_NS1_11comp_targetILNS1_3genE4ELNS1_11target_archE910ELNS1_3gpuE8ELNS1_3repE0EEENS1_30default_config_static_selectorELNS0_4arch9wavefront6targetE1EEEvT1_: ; @_ZN7rocprim17ROCPRIM_400000_NS6detail17trampoline_kernelINS0_14default_configENS1_29reduce_by_key_config_selectorIslN6thrust23THRUST_200600_302600_NS4plusIlEEEEZZNS1_33reduce_by_key_impl_wrapped_configILNS1_25lookback_scan_determinismE0ES3_S9_PsNS6_17constant_iteratorIiNS6_11use_defaultESE_EENS6_10device_ptrIsEENSG_IlEEPmS8_NS6_8equal_toIsEEEE10hipError_tPvRmT2_T3_mT4_T5_T6_T7_T8_P12ihipStream_tbENKUlT_T0_E_clISt17integral_constantIbLb1EES12_IbLb0EEEEDaSY_SZ_EUlSY_E_NS1_11comp_targetILNS1_3genE4ELNS1_11target_archE910ELNS1_3gpuE8ELNS1_3repE0EEENS1_30default_config_static_selectorELNS0_4arch9wavefront6targetE1EEEvT1_
; %bb.0:
	s_load_dwordx16 s[36:51], s[4:5], 0x40
	s_load_dwordx4 s[8:11], s[4:5], 0x0
	s_load_dword s2, s[4:5], 0x18
	s_load_dwordx4 s[52:55], s[4:5], 0x20
	s_load_dwordx2 s[34:35], s[4:5], 0x30
	s_waitcnt lgkmcnt(0)
	s_mul_i32 s0, s44, s43
	s_mul_hi_u32 s1, s44, s42
	s_add_i32 s0, s1, s0
	s_mul_i32 s1, s45, s42
	s_add_i32 s3, s0, s1
	s_lshl_b64 s[0:1], s[10:11], 1
	s_add_u32 s8, s8, s0
	s_addc_u32 s9, s9, s1
	s_mul_i32 s0, s6, 0xf00
	s_mov_b32 s1, 0
	s_lshl_b64 s[0:1], s[0:1], 1
	s_add_u32 s8, s8, s0
	s_mul_i32 s7, s44, s42
	s_addc_u32 s9, s9, s1
	s_add_u32 s10, s7, s6
	s_addc_u32 s11, s3, 0
	s_add_u32 s14, s46, -1
	s_addc_u32 s15, s47, -1
	s_cmp_eq_u64 s[10:11], s[14:15]
	s_cselect_b64 s[44:45], -1, 0
	s_cmp_lg_u64 s[10:11], s[14:15]
	s_mov_b64 s[12:13], -1
	s_cselect_b64 s[0:1], -1, 0
	s_mul_i32 s33, s14, 0xfffff100
	s_and_b64 vcc, exec, s[44:45]
	s_cbranch_vccnz .LBB1490_2
; %bb.1:
	v_lshlrev_b32_e32 v1, 1, v0
	v_mov_b32_e32 v2, s9
	v_add_co_u32_e32 v3, vcc, s8, v1
	v_addc_co_u32_e32 v4, vcc, 0, v2, vcc
	v_add_co_u32_e32 v2, vcc, 0x1000, v3
	v_addc_co_u32_e32 v3, vcc, 0, v4, vcc
	global_load_ushort v5, v1, s[8:9]
	global_load_ushort v13, v1, s[8:9] offset:512
	global_load_ushort v16, v1, s[8:9] offset:1024
	;; [unrolled: 1-line block ×7, first 2 shown]
	global_load_ushort v4, v[2:3], off
	global_load_ushort v22, v[2:3], off offset:512
	global_load_ushort v23, v[2:3], off offset:1024
	;; [unrolled: 1-line block ×6, first 2 shown]
	v_mad_u32_u24 v29, v0, 28, v1
	s_ashr_i32 s3, s2, 31
	s_movk_i32 s7, 0xffea
	v_mul_u32_u24_e32 v7, 15, v0
	v_mad_u32_u24 v8, v0, 15, 1
	v_mad_u32_u24 v12, v0, 15, 3
	;; [unrolled: 1-line block ×7, first 2 shown]
	v_pk_mov_b32 v[14:15], s[2:3], s[2:3] op_sel:[0,1]
	v_mad_i32_i24 v30, v0, s7, v29
	s_waitcnt vmcnt(14)
	ds_write_b16 v1, v5
	s_waitcnt vmcnt(13)
	ds_write_b16 v1, v13 offset:512
	s_waitcnt vmcnt(12)
	ds_write_b16 v1, v16 offset:1024
	;; [unrolled: 2-line block ×14, first 2 shown]
	s_waitcnt lgkmcnt(0)
	s_barrier
	ds_read_u16 v1, v29
	ds_read_b128 v[2:5], v29 offset:2
	ds_read_b96 v[22:24], v29 offset:18
	s_waitcnt lgkmcnt(0)
	s_barrier
	ds_write2st64_b64 v30, v[14:15], v[14:15] offset1:4
	ds_write2st64_b64 v30, v[14:15], v[14:15] offset0:8 offset1:12
	ds_write2st64_b64 v30, v[14:15], v[14:15] offset0:16 offset1:20
	;; [unrolled: 1-line block ×6, first 2 shown]
	ds_write_b64 v30, v[14:15] offset:28672
	s_waitcnt lgkmcnt(0)
	s_barrier
	s_load_dwordx2 s[30:31], s[4:5], 0x80
	s_add_i32 s33, s33, s48
	s_cbranch_execz .LBB1490_3
	s_branch .LBB1490_34
.LBB1490_2:
                                        ; implicit-def: $vgpr2
                                        ; implicit-def: $vgpr22
                                        ; implicit-def: $vgpr25
                                        ; implicit-def: $vgpr9
                                        ; implicit-def: $vgpr6
                                        ; implicit-def: $vgpr10
                                        ; implicit-def: $vgpr11
                                        ; implicit-def: $vgpr12
                                        ; implicit-def: $vgpr8
                                        ; implicit-def: $vgpr7
                                        ; implicit-def: $vgpr1
	s_load_dwordx2 s[30:31], s[4:5], 0x80
	s_andn2_b64 vcc, exec, s[12:13]
	s_add_i32 s33, s33, s48
	s_cbranch_vccnz .LBB1490_34
.LBB1490_3:
	v_cmp_gt_u32_e32 vcc, s33, v0
                                        ; implicit-def: $vgpr1
	s_and_saveexec_b64 s[4:5], vcc
	s_cbranch_execz .LBB1490_5
; %bb.4:
	v_lshlrev_b32_e32 v1, 1, v0
	global_load_ushort v1, v1, s[8:9]
.LBB1490_5:
	s_or_b64 exec, exec, s[4:5]
	v_or_b32_e32 v2, 0x100, v0
	v_cmp_gt_u32_e32 vcc, s33, v2
                                        ; implicit-def: $vgpr2
	s_and_saveexec_b64 s[4:5], vcc
	s_cbranch_execz .LBB1490_7
; %bb.6:
	v_lshlrev_b32_e32 v2, 1, v0
	global_load_ushort v2, v2, s[8:9] offset:512
.LBB1490_7:
	s_or_b64 exec, exec, s[4:5]
	v_or_b32_e32 v3, 0x200, v0
	v_cmp_gt_u32_e32 vcc, s33, v3
                                        ; implicit-def: $vgpr3
	s_and_saveexec_b64 s[4:5], vcc
	s_cbranch_execz .LBB1490_9
; %bb.8:
	v_lshlrev_b32_e32 v3, 1, v0
	global_load_ushort v3, v3, s[8:9] offset:1024
.LBB1490_9:
	s_or_b64 exec, exec, s[4:5]
	v_or_b32_e32 v4, 0x300, v0
	v_cmp_gt_u32_e32 vcc, s33, v4
                                        ; implicit-def: $vgpr4
	s_and_saveexec_b64 s[4:5], vcc
	s_cbranch_execz .LBB1490_11
; %bb.10:
	v_lshlrev_b32_e32 v4, 1, v0
	global_load_ushort v4, v4, s[8:9] offset:1536
.LBB1490_11:
	s_or_b64 exec, exec, s[4:5]
	v_or_b32_e32 v5, 0x400, v0
	v_cmp_gt_u32_e32 vcc, s33, v5
                                        ; implicit-def: $vgpr5
	s_and_saveexec_b64 s[4:5], vcc
	s_cbranch_execz .LBB1490_13
; %bb.12:
	v_lshlrev_b32_e32 v5, 1, v0
	global_load_ushort v5, v5, s[8:9] offset:2048
.LBB1490_13:
	s_or_b64 exec, exec, s[4:5]
	v_or_b32_e32 v6, 0x500, v0
	v_cmp_gt_u32_e32 vcc, s33, v6
                                        ; implicit-def: $vgpr6
	s_and_saveexec_b64 s[4:5], vcc
	s_cbranch_execz .LBB1490_15
; %bb.14:
	v_lshlrev_b32_e32 v6, 1, v0
	global_load_ushort v6, v6, s[8:9] offset:2560
.LBB1490_15:
	s_or_b64 exec, exec, s[4:5]
	v_or_b32_e32 v7, 0x600, v0
	v_cmp_gt_u32_e32 vcc, s33, v7
                                        ; implicit-def: $vgpr7
	s_and_saveexec_b64 s[4:5], vcc
	s_cbranch_execz .LBB1490_17
; %bb.16:
	v_lshlrev_b32_e32 v7, 1, v0
	global_load_ushort v7, v7, s[8:9] offset:3072
.LBB1490_17:
	s_or_b64 exec, exec, s[4:5]
	v_or_b32_e32 v8, 0x700, v0
	v_cmp_gt_u32_e32 vcc, s33, v8
                                        ; implicit-def: $vgpr8
	s_and_saveexec_b64 s[4:5], vcc
	s_cbranch_execz .LBB1490_19
; %bb.18:
	v_lshlrev_b32_e32 v8, 1, v0
	global_load_ushort v8, v8, s[8:9] offset:3584
.LBB1490_19:
	s_or_b64 exec, exec, s[4:5]
	v_or_b32_e32 v10, 0x800, v0
	v_cmp_gt_u32_e32 vcc, s33, v10
                                        ; implicit-def: $vgpr9
	s_and_saveexec_b64 s[4:5], vcc
	s_cbranch_execz .LBB1490_21
; %bb.20:
	v_lshlrev_b32_e32 v9, 1, v10
	global_load_ushort v9, v9, s[8:9]
.LBB1490_21:
	s_or_b64 exec, exec, s[4:5]
	v_or_b32_e32 v11, 0x900, v0
	v_cmp_gt_u32_e32 vcc, s33, v11
                                        ; implicit-def: $vgpr10
	s_and_saveexec_b64 s[4:5], vcc
	s_cbranch_execz .LBB1490_23
; %bb.22:
	v_lshlrev_b32_e32 v10, 1, v11
	global_load_ushort v10, v10, s[8:9]
.LBB1490_23:
	s_or_b64 exec, exec, s[4:5]
	v_or_b32_e32 v12, 0xa00, v0
	v_cmp_gt_u32_e32 vcc, s33, v12
                                        ; implicit-def: $vgpr11
	s_and_saveexec_b64 s[4:5], vcc
	s_cbranch_execz .LBB1490_25
; %bb.24:
	v_lshlrev_b32_e32 v11, 1, v12
	global_load_ushort v11, v11, s[8:9]
.LBB1490_25:
	s_or_b64 exec, exec, s[4:5]
	v_or_b32_e32 v13, 0xb00, v0
	v_cmp_gt_u32_e32 vcc, s33, v13
                                        ; implicit-def: $vgpr12
	s_and_saveexec_b64 s[4:5], vcc
	s_cbranch_execz .LBB1490_27
; %bb.26:
	v_lshlrev_b32_e32 v12, 1, v13
	global_load_ushort v12, v12, s[8:9]
.LBB1490_27:
	s_or_b64 exec, exec, s[4:5]
	v_or_b32_e32 v14, 0xc00, v0
	v_cmp_gt_u32_e32 vcc, s33, v14
                                        ; implicit-def: $vgpr13
	s_and_saveexec_b64 s[4:5], vcc
	s_cbranch_execz .LBB1490_29
; %bb.28:
	v_lshlrev_b32_e32 v13, 1, v14
	global_load_ushort v13, v13, s[8:9]
.LBB1490_29:
	s_or_b64 exec, exec, s[4:5]
	v_or_b32_e32 v15, 0xd00, v0
	v_cmp_gt_u32_e32 vcc, s33, v15
                                        ; implicit-def: $vgpr14
	s_and_saveexec_b64 s[4:5], vcc
	s_cbranch_execz .LBB1490_31
; %bb.30:
	v_lshlrev_b32_e32 v14, 1, v15
	global_load_ushort v14, v14, s[8:9]
.LBB1490_31:
	s_or_b64 exec, exec, s[4:5]
	v_or_b32_e32 v16, 0xe00, v0
	v_cmp_gt_u32_e32 vcc, s33, v16
                                        ; implicit-def: $vgpr15
	s_and_saveexec_b64 s[4:5], vcc
	s_cbranch_execz .LBB1490_33
; %bb.32:
	v_lshlrev_b32_e32 v15, 1, v16
	global_load_ushort v15, v15, s[8:9]
.LBB1490_33:
	s_or_b64 exec, exec, s[4:5]
	v_lshlrev_b32_e32 v16, 1, v0
	s_waitcnt vmcnt(0)
	ds_write_b16 v16, v1
	ds_write_b16 v16, v2 offset:512
	ds_write_b16 v16, v3 offset:1024
	ds_write_b16 v16, v4 offset:1536
	ds_write_b16 v16, v5 offset:2048
	ds_write_b16 v16, v6 offset:2560
	ds_write_b16 v16, v7 offset:3072
	ds_write_b16 v16, v8 offset:3584
	ds_write_b16 v16, v9 offset:4096
	ds_write_b16 v16, v10 offset:4608
	ds_write_b16 v16, v11 offset:5120
	ds_write_b16 v16, v12 offset:5632
	ds_write_b16 v16, v13 offset:6144
	ds_write_b16 v16, v14 offset:6656
	ds_write_b16 v16, v15 offset:7168
	v_mad_u32_u24 v13, v0, 28, v16
	s_waitcnt lgkmcnt(0)
	s_barrier
	ds_read_u16 v1, v13
	ds_read_b128 v[2:5], v13 offset:2
	ds_read_b96 v[22:24], v13 offset:18
	s_ashr_i32 s3, s2, 31
	s_movk_i32 s4, 0xffea
	v_mul_u32_u24_e32 v7, 15, v0
	v_mad_u32_u24 v8, v0, 15, 1
	v_mad_u32_u24 v12, v0, 15, 3
	;; [unrolled: 1-line block ×7, first 2 shown]
	v_mad_i32_i24 v13, v0, s4, v13
	v_pk_mov_b32 v[14:15], s[2:3], s[2:3] op_sel:[0,1]
	s_waitcnt lgkmcnt(0)
	s_barrier
	ds_write2st64_b64 v13, v[14:15], v[14:15] offset1:4
	ds_write2st64_b64 v13, v[14:15], v[14:15] offset0:8 offset1:12
	ds_write2st64_b64 v13, v[14:15], v[14:15] offset0:16 offset1:20
	ds_write2st64_b64 v13, v[14:15], v[14:15] offset0:24 offset1:28
	ds_write2st64_b64 v13, v[14:15], v[14:15] offset0:32 offset1:36
	ds_write2st64_b64 v13, v[14:15], v[14:15] offset0:40 offset1:44
	ds_write2st64_b64 v13, v[14:15], v[14:15] offset0:48 offset1:52
	ds_write_b64 v13, v[14:15] offset:28672
	s_waitcnt lgkmcnt(0)
	s_barrier
.LBB1490_34:
	v_lshlrev_b32_e32 v7, 3, v7
	v_lshlrev_b32_e32 v8, 3, v8
	;; [unrolled: 1-line block ×5, first 2 shown]
	s_waitcnt lgkmcnt(0)
	ds_read2_b64 v[18:21], v7 offset1:2
	ds_read2_b64 v[14:17], v7 offset0:4 offset1:6
	ds_read_b64 v[38:39], v8
	ds_read_b64 v[36:37], v12
	;; [unrolled: 1-line block ×4, first 2 shown]
	ds_read2_b64 v[10:13], v7 offset0:8 offset1:10
	v_lshlrev_b32_e32 v26, 3, v6
	v_lshlrev_b32_e32 v27, 3, v9
	ds_read2_b64 v[6:9], v7 offset0:12 offset1:14
	v_lshlrev_b32_e32 v25, 3, v25
	ds_read_b64 v[32:33], v26
	ds_read_b64 v[28:29], v27
	;; [unrolled: 1-line block ×3, first 2 shown]
	s_cmp_eq_u64 s[10:11], 0
	s_cselect_b64 s[46:47], -1, 0
	s_cmp_lg_u64 s[10:11], 0
	s_mov_b64 s[2:3], 0
	s_cselect_b64 s[4:5], -1, 0
	s_and_b64 vcc, exec, s[0:1]
	s_waitcnt lgkmcnt(0)
	s_barrier
	s_cbranch_vccz .LBB1490_40
; %bb.35:
	s_and_b64 vcc, exec, s[4:5]
	s_cbranch_vccz .LBB1490_41
; %bb.36:
	v_mov_b32_e32 v25, 0
	global_load_ushort v40, v25, s[8:9] offset:-2
	v_lshrrev_b32_e32 v41, 16, v24
	v_lshlrev_b32_e32 v25, 1, v0
	v_cmp_ne_u16_e32 vcc, v24, v41
	v_cmp_ne_u16_sdwa s[12:13], v23, v24 src0_sel:WORD_1 src1_sel:DWORD
	v_cmp_ne_u16_sdwa s[14:15], v23, v23 src0_sel:DWORD src1_sel:WORD_1
	v_cmp_ne_u16_sdwa s[16:17], v22, v23 src0_sel:WORD_1 src1_sel:DWORD
	v_cmp_ne_u16_sdwa s[18:19], v22, v22 src0_sel:DWORD src1_sel:WORD_1
	;; [unrolled: 2-line block ×6, first 2 shown]
	v_cmp_ne_u16_e64 s[0:1], v1, v2
	v_cmp_ne_u32_e64 s[2:3], 0, v0
	ds_write_b16 v25, v41
	s_waitcnt lgkmcnt(0)
	s_barrier
	s_and_saveexec_b64 s[62:63], s[2:3]
	s_cbranch_execz .LBB1490_38
; %bb.37:
	v_add_u32_e32 v25, -2, v25
	s_waitcnt vmcnt(0)
	ds_read_u16 v40, v25
.LBB1490_38:
	s_or_b64 exec, exec, s[62:63]
	v_cndmask_b32_e64 v25, 0, 1, vcc
	v_cndmask_b32_e64 v76, 0, 1, s[12:13]
	v_cndmask_b32_e64 v77, 0, 1, s[14:15]
	;; [unrolled: 1-line block ×13, first 2 shown]
	s_waitcnt vmcnt(0) lgkmcnt(0)
	v_cmp_ne_u16_e64 s[0:1], v40, v1
	s_mov_b64 s[2:3], -1
.LBB1490_39:
                                        ; implicit-def: $sgpr7
	s_branch .LBB1490_53
.LBB1490_40:
                                        ; implicit-def: $sgpr0_sgpr1
                                        ; implicit-def: $vgpr25
                                        ; implicit-def: $vgpr76
                                        ; implicit-def: $vgpr77
                                        ; implicit-def: $vgpr78
                                        ; implicit-def: $vgpr79
                                        ; implicit-def: $vgpr80
                                        ; implicit-def: $vgpr81
                                        ; implicit-def: $vgpr82
                                        ; implicit-def: $vgpr83
                                        ; implicit-def: $vgpr84
                                        ; implicit-def: $vgpr85
                                        ; implicit-def: $vgpr86
                                        ; implicit-def: $vgpr87
                                        ; implicit-def: $vgpr88
                                        ; implicit-def: $sgpr7
	s_cbranch_execnz .LBB1490_45
	s_branch .LBB1490_53
.LBB1490_41:
                                        ; implicit-def: $sgpr0_sgpr1
                                        ; implicit-def: $vgpr25
                                        ; implicit-def: $vgpr76
                                        ; implicit-def: $vgpr77
                                        ; implicit-def: $vgpr78
                                        ; implicit-def: $vgpr79
                                        ; implicit-def: $vgpr80
                                        ; implicit-def: $vgpr81
                                        ; implicit-def: $vgpr82
                                        ; implicit-def: $vgpr83
                                        ; implicit-def: $vgpr84
                                        ; implicit-def: $vgpr85
                                        ; implicit-def: $vgpr86
                                        ; implicit-def: $vgpr87
                                        ; implicit-def: $vgpr88
	s_cbranch_execz .LBB1490_39
; %bb.42:
	v_cmp_ne_u16_sdwa s[0:1], v23, v24 src0_sel:WORD_1 src1_sel:DWORD
	v_cndmask_b32_e64 v76, 0, 1, s[0:1]
	v_cmp_ne_u16_sdwa s[0:1], v23, v23 src0_sel:DWORD src1_sel:WORD_1
	v_cndmask_b32_e64 v77, 0, 1, s[0:1]
	v_cmp_ne_u16_sdwa s[0:1], v22, v23 src0_sel:WORD_1 src1_sel:DWORD
	v_cndmask_b32_e64 v78, 0, 1, s[0:1]
	v_cmp_ne_u16_sdwa s[0:1], v22, v22 src0_sel:DWORD src1_sel:WORD_1
	v_cndmask_b32_e64 v79, 0, 1, s[0:1]
	v_cmp_ne_u16_sdwa s[0:1], v5, v22 src0_sel:WORD_1 src1_sel:DWORD
	v_cndmask_b32_e64 v80, 0, 1, s[0:1]
	v_cmp_ne_u16_sdwa s[0:1], v5, v5 src0_sel:DWORD src1_sel:WORD_1
	v_cndmask_b32_e64 v81, 0, 1, s[0:1]
	v_cmp_ne_u16_sdwa s[0:1], v4, v5 src0_sel:WORD_1 src1_sel:DWORD
	v_cndmask_b32_e64 v82, 0, 1, s[0:1]
	v_cmp_ne_u16_sdwa s[0:1], v4, v4 src0_sel:DWORD src1_sel:WORD_1
	v_cndmask_b32_e64 v83, 0, 1, s[0:1]
	v_cmp_ne_u16_sdwa s[0:1], v3, v4 src0_sel:WORD_1 src1_sel:DWORD
	v_lshrrev_b32_e32 v25, 16, v24
	v_cndmask_b32_e64 v84, 0, 1, s[0:1]
	v_cmp_ne_u16_sdwa s[0:1], v3, v3 src0_sel:DWORD src1_sel:WORD_1
	v_lshlrev_b32_e32 v40, 1, v0
	v_cmp_ne_u16_e32 vcc, v24, v25
	v_cndmask_b32_e64 v85, 0, 1, s[0:1]
	v_cmp_ne_u16_sdwa s[0:1], v2, v3 src0_sel:WORD_1 src1_sel:DWORD
	ds_write_b16 v40, v25
	v_cndmask_b32_e64 v25, 0, 1, vcc
	v_cndmask_b32_e64 v86, 0, 1, s[0:1]
	v_cmp_ne_u16_sdwa s[0:1], v2, v2 src0_sel:DWORD src1_sel:WORD_1
	v_cmp_ne_u16_e32 vcc, v1, v2
	s_mov_b32 s7, 1
	v_cndmask_b32_e64 v87, 0, 1, s[0:1]
	v_cndmask_b32_e64 v88, 0, 1, vcc
	v_cmp_ne_u32_e32 vcc, 0, v0
	s_waitcnt lgkmcnt(0)
	s_barrier
	s_waitcnt lgkmcnt(0)
                                        ; implicit-def: $sgpr0_sgpr1
	s_and_saveexec_b64 s[12:13], vcc
	s_xor_b64 s[12:13], exec, s[12:13]
	s_cbranch_execz .LBB1490_44
; %bb.43:
	v_add_u32_e32 v40, -2, v40
	ds_read_u16 v40, v40
	s_or_b64 s[2:3], s[2:3], exec
	s_waitcnt lgkmcnt(0)
	v_cmp_ne_u16_e32 vcc, v40, v1
	s_and_b64 s[0:1], vcc, exec
.LBB1490_44:
	s_or_b64 exec, exec, s[12:13]
	s_branch .LBB1490_53
.LBB1490_45:
	s_mul_hi_u32 s1, s10, 0xfffff100
	s_mul_i32 s0, s11, 0xfffff100
	s_sub_i32 s1, s1, s10
	s_add_i32 s1, s1, s0
	s_mul_i32 s0, s10, 0xfffff100
	s_add_u32 s10, s0, s48
	s_addc_u32 s11, s1, s49
	s_and_b64 vcc, exec, s[4:5]
	s_cbranch_vccz .LBB1490_50
; %bb.46:
	v_mov_b32_e32 v41, 0
	global_load_ushort v44, v41, s[8:9] offset:-2
	v_lshrrev_b32_e32 v43, 16, v24
	v_mad_u32_u24 v40, v0, 15, 14
	v_cmp_gt_u64_e32 vcc, s[10:11], v[40:41]
	v_cmp_ne_u16_e64 s[0:1], v24, v43
	v_mad_u32_u24 v40, v0, 15, 13
	s_and_b64 s[2:3], vcc, s[0:1]
	v_cmp_gt_u64_e32 vcc, s[10:11], v[40:41]
	v_cmp_ne_u16_sdwa s[0:1], v23, v24 src0_sel:WORD_1 src1_sel:DWORD
	v_mad_u32_u24 v40, v0, 15, 12
	s_and_b64 s[4:5], vcc, s[0:1]
	v_cmp_gt_u64_e32 vcc, s[10:11], v[40:41]
	v_cmp_ne_u16_sdwa s[0:1], v23, v23 src0_sel:DWORD src1_sel:WORD_1
	v_mad_u32_u24 v40, v0, 15, 11
	s_and_b64 s[8:9], vcc, s[0:1]
	v_cmp_gt_u64_e32 vcc, s[10:11], v[40:41]
	v_cmp_ne_u16_sdwa s[0:1], v22, v23 src0_sel:WORD_1 src1_sel:DWORD
	v_mad_u32_u24 v40, v0, 15, 10
	s_and_b64 s[12:13], vcc, s[0:1]
	v_cmp_gt_u64_e32 vcc, s[10:11], v[40:41]
	v_cmp_ne_u16_sdwa s[0:1], v22, v22 src0_sel:DWORD src1_sel:WORD_1
	;; [unrolled: 8-line block ×6, first 2 shown]
	v_mad_u32_u24 v40, v0, 15, 1
	s_and_b64 s[48:49], vcc, s[0:1]
	v_cmp_gt_u64_e32 vcc, s[10:11], v[40:41]
	v_cmp_ne_u16_e64 s[0:1], v1, v2
	v_lshlrev_b32_e32 v25, 1, v0
	v_mul_u32_u24_e32 v42, 15, v0
	s_and_b64 s[0:1], vcc, s[0:1]
	v_cmp_ne_u32_e32 vcc, 0, v0
	ds_write_b16 v25, v43
	s_waitcnt lgkmcnt(0)
	s_barrier
	s_and_saveexec_b64 s[56:57], vcc
	s_cbranch_execz .LBB1490_48
; %bb.47:
	v_add_u32_e32 v25, -2, v25
	s_waitcnt vmcnt(0)
	ds_read_u16 v44, v25
.LBB1490_48:
	s_or_b64 exec, exec, s[56:57]
	v_mov_b32_e32 v43, v41
	v_cndmask_b32_e64 v88, 0, 1, s[0:1]
	v_cmp_gt_u64_e32 vcc, s[10:11], v[42:43]
	s_waitcnt vmcnt(0) lgkmcnt(0)
	v_cmp_ne_u16_e64 s[0:1], v44, v1
	v_cndmask_b32_e64 v25, 0, 1, s[2:3]
	v_cndmask_b32_e64 v76, 0, 1, s[4:5]
	;; [unrolled: 1-line block ×13, first 2 shown]
	s_and_b64 s[0:1], vcc, s[0:1]
	s_mov_b64 s[2:3], -1
.LBB1490_49:
                                        ; implicit-def: $sgpr7
	v_mov_b32_e32 v89, s7
	s_and_saveexec_b64 s[4:5], s[2:3]
	s_cbranch_execnz .LBB1490_54
	s_branch .LBB1490_55
.LBB1490_50:
                                        ; implicit-def: $sgpr0_sgpr1
                                        ; implicit-def: $vgpr25
                                        ; implicit-def: $vgpr76
                                        ; implicit-def: $vgpr77
                                        ; implicit-def: $vgpr78
                                        ; implicit-def: $vgpr79
                                        ; implicit-def: $vgpr80
                                        ; implicit-def: $vgpr81
                                        ; implicit-def: $vgpr82
                                        ; implicit-def: $vgpr83
                                        ; implicit-def: $vgpr84
                                        ; implicit-def: $vgpr85
                                        ; implicit-def: $vgpr86
                                        ; implicit-def: $vgpr87
                                        ; implicit-def: $vgpr88
	s_cbranch_execz .LBB1490_49
; %bb.51:
	v_lshrrev_b32_e32 v25, 16, v24
	v_mad_u32_u24 v40, v0, 15, 14
	v_mov_b32_e32 v41, 0
	v_cmp_gt_u64_e32 vcc, s[10:11], v[40:41]
	v_cmp_ne_u16_e64 s[0:1], v24, v25
	v_lshlrev_b32_e32 v42, 1, v0
	s_and_b64 s[0:1], vcc, s[0:1]
	v_mad_u32_u24 v40, v0, 15, 13
	ds_write_b16 v42, v25
	v_cndmask_b32_e64 v25, 0, 1, s[0:1]
	v_cmp_gt_u64_e32 vcc, s[10:11], v[40:41]
	v_cmp_ne_u16_sdwa s[0:1], v23, v24 src0_sel:WORD_1 src1_sel:DWORD
	s_and_b64 s[0:1], vcc, s[0:1]
	v_mad_u32_u24 v40, v0, 15, 12
	v_cndmask_b32_e64 v76, 0, 1, s[0:1]
	v_cmp_gt_u64_e32 vcc, s[10:11], v[40:41]
	v_cmp_ne_u16_sdwa s[0:1], v23, v23 src0_sel:DWORD src1_sel:WORD_1
	s_and_b64 s[0:1], vcc, s[0:1]
	v_mad_u32_u24 v40, v0, 15, 11
	v_cndmask_b32_e64 v77, 0, 1, s[0:1]
	v_cmp_gt_u64_e32 vcc, s[10:11], v[40:41]
	v_cmp_ne_u16_sdwa s[0:1], v22, v23 src0_sel:WORD_1 src1_sel:DWORD
	s_and_b64 s[0:1], vcc, s[0:1]
	v_mad_u32_u24 v40, v0, 15, 10
	v_cndmask_b32_e64 v78, 0, 1, s[0:1]
	v_cmp_gt_u64_e32 vcc, s[10:11], v[40:41]
	v_cmp_ne_u16_sdwa s[0:1], v22, v22 src0_sel:DWORD src1_sel:WORD_1
	s_and_b64 s[0:1], vcc, s[0:1]
	v_mad_u32_u24 v40, v0, 15, 9
	;; [unrolled: 10-line block ×6, first 2 shown]
	v_cndmask_b32_e64 v87, 0, 1, s[0:1]
	v_cmp_gt_u64_e32 vcc, s[10:11], v[40:41]
	v_cmp_ne_u16_e64 s[0:1], v1, v2
	s_and_b64 s[0:1], vcc, s[0:1]
	s_mov_b32 s7, 1
	v_cndmask_b32_e64 v88, 0, 1, s[0:1]
	v_cmp_ne_u32_e32 vcc, 0, v0
	s_waitcnt lgkmcnt(0)
	s_barrier
	s_waitcnt lgkmcnt(0)
                                        ; implicit-def: $sgpr0_sgpr1
	s_and_saveexec_b64 s[4:5], vcc
	s_cbranch_execz .LBB1490_206
; %bb.52:
	v_add_u32_e32 v40, -2, v42
	ds_read_u16 v42, v40
	v_mul_u32_u24_e32 v40, 15, v0
	v_cmp_gt_u64_e32 vcc, s[10:11], v[40:41]
	s_or_b64 s[2:3], s[2:3], exec
	s_waitcnt lgkmcnt(0)
	v_cmp_ne_u16_e64 s[0:1], v42, v1
	s_and_b64 s[0:1], vcc, s[0:1]
	s_and_b64 s[0:1], s[0:1], exec
	s_or_b64 exec, exec, s[4:5]
.LBB1490_53:
	v_mov_b32_e32 v89, s7
	s_and_saveexec_b64 s[4:5], s[2:3]
.LBB1490_54:
	v_cndmask_b32_e64 v89, 0, 1, s[0:1]
.LBB1490_55:
	s_or_b64 exec, exec, s[4:5]
	s_cmp_eq_u64 s[42:43], 0
	v_add3_u32 v40, v88, v89, v87
	s_cselect_b64 s[42:43], -1, 0
	s_cmp_lg_u32 s6, 0
	v_cmp_eq_u32_e64 s[24:25], 0, v88
	v_cmp_eq_u32_e64 s[22:23], 0, v87
	;; [unrolled: 1-line block ×3, first 2 shown]
	v_add3_u32 v92, v40, v86, v85
	v_cmp_eq_u32_e64 s[18:19], 0, v85
	v_cmp_eq_u32_e64 s[16:17], 0, v84
	v_cmp_eq_u32_e64 s[14:15], 0, v83
	v_cmp_eq_u32_e64 s[12:13], 0, v82
	v_cmp_eq_u32_e64 s[10:11], 0, v81
	v_cmp_eq_u32_e64 s[8:9], 0, v80
	v_cmp_eq_u32_e64 s[28:29], 0, v79
	v_cmp_eq_u32_e64 s[4:5], 0, v78
	v_cmp_eq_u32_e64 s[2:3], 0, v77
	v_cmp_eq_u32_e64 s[0:1], 0, v76
	v_cmp_eq_u32_e32 vcc, 0, v25
	v_mbcnt_lo_u32_b32 v91, -1, 0
	s_cbranch_scc0 .LBB1490_126
; %bb.56:
	v_cndmask_b32_e64 v41, 0, v18, s[24:25]
	v_cndmask_b32_e64 v40, 0, v19, s[24:25]
	v_add_co_u32_e64 v41, s[26:27], v41, v38
	v_addc_co_u32_e64 v40, s[26:27], v40, v39, s[26:27]
	v_cndmask_b32_e64 v41, 0, v41, s[22:23]
	v_cndmask_b32_e64 v40, 0, v40, s[22:23]
	v_add_co_u32_e64 v41, s[26:27], v41, v20
	v_addc_co_u32_e64 v40, s[26:27], v40, v21, s[26:27]
	;; [unrolled: 4-line block ×11, first 2 shown]
	v_cndmask_b32_e64 v41, 0, v41, s[2:3]
	v_add3_u32 v42, v92, v84, v83
	v_cndmask_b32_e64 v40, 0, v40, s[2:3]
	v_add_co_u32_e64 v41, s[26:27], v41, v6
	v_add3_u32 v42, v42, v82, v81
	v_addc_co_u32_e64 v40, s[26:27], v40, v7, s[26:27]
	v_cndmask_b32_e64 v41, 0, v41, s[0:1]
	v_add3_u32 v42, v42, v80, v79
	v_cndmask_b32_e64 v40, 0, v40, s[0:1]
	v_add_co_u32_e64 v41, s[26:27], v41, v26
	v_add3_u32 v42, v42, v78, v77
	v_addc_co_u32_e64 v40, s[26:27], v40, v27, s[26:27]
	v_cndmask_b32_e32 v41, 0, v41, vcc
	v_add3_u32 v44, v42, v76, v25
	v_cndmask_b32_e32 v40, 0, v40, vcc
	v_add_co_u32_e32 v42, vcc, v41, v8
	v_mbcnt_hi_u32_b32 v45, -1, v91
	v_addc_co_u32_e32 v43, vcc, v40, v9, vcc
	v_and_b32_e32 v40, 15, v45
	v_mov_b32_dpp v46, v44 row_shr:1 row_mask:0xf bank_mask:0xf
	v_mov_b32_dpp v41, v42 row_shr:1 row_mask:0xf bank_mask:0xf
	;; [unrolled: 1-line block ×3, first 2 shown]
	v_cmp_ne_u32_e32 vcc, 0, v40
	s_and_saveexec_b64 s[26:27], vcc
; %bb.57:
	v_cmp_eq_u32_e32 vcc, 0, v44
	v_cndmask_b32_e32 v41, 0, v41, vcc
	v_add_u32_e32 v46, v46, v44
	v_cndmask_b32_e32 v44, 0, v47, vcc
	v_add_co_u32_e32 v42, vcc, v41, v42
	v_addc_co_u32_e32 v43, vcc, v44, v43, vcc
	v_mov_b32_e32 v44, v46
; %bb.58:
	s_or_b64 exec, exec, s[26:27]
	s_nop 0
	v_mov_b32_dpp v46, v44 row_shr:2 row_mask:0xf bank_mask:0xf
	v_mov_b32_dpp v41, v42 row_shr:2 row_mask:0xf bank_mask:0xf
	v_mov_b32_dpp v47, v43 row_shr:2 row_mask:0xf bank_mask:0xf
	v_cmp_lt_u32_e32 vcc, 1, v40
	s_and_saveexec_b64 s[26:27], vcc
; %bb.59:
	v_cmp_eq_u32_e32 vcc, 0, v44
	v_cndmask_b32_e32 v41, 0, v41, vcc
	v_add_u32_e32 v46, v46, v44
	v_cndmask_b32_e32 v44, 0, v47, vcc
	v_add_co_u32_e32 v42, vcc, v41, v42
	v_addc_co_u32_e32 v43, vcc, v44, v43, vcc
	v_mov_b32_e32 v44, v46
; %bb.60:
	s_or_b64 exec, exec, s[26:27]
	s_nop 0
	v_mov_b32_dpp v46, v44 row_shr:4 row_mask:0xf bank_mask:0xf
	v_mov_b32_dpp v41, v42 row_shr:4 row_mask:0xf bank_mask:0xf
	v_mov_b32_dpp v47, v43 row_shr:4 row_mask:0xf bank_mask:0xf
	v_cmp_lt_u32_e32 vcc, 3, v40
	;; [unrolled: 16-line block ×3, first 2 shown]
	s_and_saveexec_b64 s[26:27], vcc
; %bb.63:
	v_cmp_eq_u32_e32 vcc, 0, v44
	v_cndmask_b32_e32 v41, 0, v41, vcc
	v_add_u32_e32 v40, v46, v44
	v_cndmask_b32_e32 v44, 0, v47, vcc
	v_add_co_u32_e32 v42, vcc, v41, v42
	v_addc_co_u32_e32 v43, vcc, v44, v43, vcc
	v_mov_b32_e32 v44, v40
; %bb.64:
	s_or_b64 exec, exec, s[26:27]
	v_and_b32_e32 v47, 16, v45
	v_mov_b32_dpp v41, v44 row_bcast:15 row_mask:0xf bank_mask:0xf
	v_mov_b32_dpp v40, v42 row_bcast:15 row_mask:0xf bank_mask:0xf
	;; [unrolled: 1-line block ×3, first 2 shown]
	v_cmp_ne_u32_e32 vcc, 0, v47
	s_and_saveexec_b64 s[26:27], vcc
; %bb.65:
	v_cmp_eq_u32_e32 vcc, 0, v44
	v_cndmask_b32_e32 v40, 0, v40, vcc
	v_add_u32_e32 v41, v41, v44
	v_cndmask_b32_e32 v44, 0, v46, vcc
	v_add_co_u32_e32 v42, vcc, v40, v42
	v_addc_co_u32_e32 v43, vcc, v44, v43, vcc
	v_mov_b32_e32 v44, v41
; %bb.66:
	s_or_b64 exec, exec, s[26:27]
	s_nop 0
	v_mov_b32_dpp v41, v44 row_bcast:31 row_mask:0xf bank_mask:0xf
	v_mov_b32_dpp v40, v42 row_bcast:31 row_mask:0xf bank_mask:0xf
	;; [unrolled: 1-line block ×3, first 2 shown]
	v_cmp_lt_u32_e32 vcc, 31, v45
	s_and_saveexec_b64 s[26:27], vcc
; %bb.67:
	v_cmp_eq_u32_e32 vcc, 0, v44
	v_cndmask_b32_e32 v40, 0, v40, vcc
	v_add_u32_e32 v41, v41, v44
	v_cndmask_b32_e32 v44, 0, v46, vcc
	v_add_co_u32_e32 v42, vcc, v40, v42
	v_addc_co_u32_e32 v43, vcc, v44, v43, vcc
	v_mov_b32_e32 v44, v41
; %bb.68:
	s_or_b64 exec, exec, s[26:27]
	v_lshrrev_b32_e32 v40, 6, v0
	v_or_b32_e32 v41, 63, v0
	v_cmp_eq_u32_e32 vcc, v41, v0
	v_lshlrev_b32_e32 v46, 4, v40
	s_and_saveexec_b64 s[26:27], vcc
	s_cbranch_execz .LBB1490_70
; %bb.69:
	ds_write_b32 v46, v44 offset:1056
	ds_write_b64 v46, v[42:43] offset:1064
.LBB1490_70:
	s_or_b64 exec, exec, s[26:27]
	v_cmp_gt_u32_e32 vcc, 4, v0
	s_waitcnt lgkmcnt(0)
	s_barrier
	s_and_saveexec_b64 s[26:27], vcc
	s_cbranch_execz .LBB1490_76
; %bb.71:
	v_lshlrev_b32_e32 v47, 4, v0
	ds_read_b32 v48, v47 offset:1056
	ds_read_b64 v[40:41], v47 offset:1064
	v_and_b32_e32 v49, 3, v45
	v_cmp_ne_u32_e32 vcc, 0, v49
	s_waitcnt lgkmcnt(1)
	v_mov_b32_dpp v51, v48 row_shr:1 row_mask:0xf bank_mask:0xf
	s_waitcnt lgkmcnt(0)
	v_mov_b32_dpp v50, v40 row_shr:1 row_mask:0xf bank_mask:0xf
	v_mov_b32_dpp v52, v41 row_shr:1 row_mask:0xf bank_mask:0xf
	s_and_saveexec_b64 s[48:49], vcc
; %bb.72:
	v_cmp_eq_u32_e32 vcc, 0, v48
	v_cndmask_b32_e32 v50, 0, v50, vcc
	v_add_u32_e32 v51, v51, v48
	v_cndmask_b32_e32 v48, 0, v52, vcc
	v_add_co_u32_e32 v40, vcc, v50, v40
	v_addc_co_u32_e32 v41, vcc, v48, v41, vcc
	v_mov_b32_e32 v48, v51
; %bb.73:
	s_or_b64 exec, exec, s[48:49]
	s_nop 0
	v_mov_b32_dpp v51, v48 row_shr:2 row_mask:0xf bank_mask:0xf
	v_mov_b32_dpp v50, v40 row_shr:2 row_mask:0xf bank_mask:0xf
	;; [unrolled: 1-line block ×3, first 2 shown]
	v_cmp_lt_u32_e32 vcc, 1, v49
	s_and_saveexec_b64 s[48:49], vcc
; %bb.74:
	v_cmp_eq_u32_e32 vcc, 0, v48
	v_cndmask_b32_e32 v50, 0, v50, vcc
	v_add_u32_e32 v49, v51, v48
	v_cndmask_b32_e32 v48, 0, v52, vcc
	v_add_co_u32_e32 v40, vcc, v50, v40
	v_addc_co_u32_e32 v41, vcc, v48, v41, vcc
	v_mov_b32_e32 v48, v49
; %bb.75:
	s_or_b64 exec, exec, s[48:49]
	ds_write_b32 v47, v48 offset:1056
	ds_write_b64 v47, v[40:41] offset:1064
.LBB1490_76:
	s_or_b64 exec, exec, s[26:27]
	v_cmp_gt_u32_e32 vcc, 64, v0
	v_cmp_lt_u32_e64 s[26:27], 63, v0
	v_pk_mov_b32 v[40:41], 0, 0
	v_mov_b32_e32 v52, 0
	s_waitcnt lgkmcnt(0)
	s_barrier
	s_and_saveexec_b64 s[48:49], s[26:27]
	s_cbranch_execz .LBB1490_78
; %bb.77:
	ds_read_b32 v52, v46 offset:1040
	ds_read_b64 v[40:41], v46 offset:1048
	v_cmp_eq_u32_e64 s[26:27], 0, v44
	s_waitcnt lgkmcnt(1)
	v_add_u32_e32 v46, v52, v44
	s_waitcnt lgkmcnt(0)
	v_cndmask_b32_e64 v47, 0, v40, s[26:27]
	v_cndmask_b32_e64 v44, 0, v41, s[26:27]
	v_add_co_u32_e64 v42, s[26:27], v47, v42
	v_addc_co_u32_e64 v43, s[26:27], v44, v43, s[26:27]
	v_mov_b32_e32 v44, v46
.LBB1490_78:
	s_or_b64 exec, exec, s[48:49]
	v_add_u32_e32 v46, -1, v45
	v_and_b32_e32 v47, 64, v45
	v_cmp_lt_i32_e64 s[26:27], v46, v47
	v_cndmask_b32_e64 v46, v46, v45, s[26:27]
	v_lshlrev_b32_e32 v46, 2, v46
	ds_bpermute_b32 v53, v46, v44
	ds_bpermute_b32 v54, v46, v42
	;; [unrolled: 1-line block ×3, first 2 shown]
	v_cmp_eq_u32_e64 s[26:27], 0, v45
	s_and_saveexec_b64 s[48:49], vcc
	s_cbranch_execz .LBB1490_125
; %bb.79:
	v_mov_b32_e32 v47, 0
	ds_read_b32 v56, v47 offset:1104
	ds_read_b64 v[42:43], v47 offset:1112
	s_and_saveexec_b64 s[56:57], s[26:27]
	s_cbranch_execz .LBB1490_81
; %bb.80:
	s_add_i32 s58, s6, 64
	s_mov_b32 s59, 0
	s_lshl_b64 s[60:61], s[58:59], 4
	s_add_u32 s60, s36, s60
	s_addc_u32 s61, s37, s61
	v_mov_b32_e32 v44, s58
	v_mov_b32_e32 v46, 1
	s_waitcnt lgkmcnt(1)
	global_store_dword v47, v56, s[60:61]
	s_waitcnt lgkmcnt(0)
	global_store_dwordx2 v47, v[42:43], s[60:61] offset:8
	s_waitcnt vmcnt(0)
	buffer_wbinvl1_vol
	global_store_byte v44, v46, s[40:41]
.LBB1490_81:
	s_or_b64 exec, exec, s[56:57]
	v_xad_u32 v44, v45, -1, s6
	v_add_u32_e32 v46, 64, v44
	global_load_ubyte v57, v46, s[40:41] glc
	s_waitcnt vmcnt(0)
	v_cmp_eq_u16_e32 vcc, 0, v57
	s_and_saveexec_b64 s[56:57], vcc
	s_cbranch_execz .LBB1490_87
; %bb.82:
	v_mov_b32_e32 v49, s41
	v_add_co_u32_e32 v48, vcc, s40, v46
	v_addc_co_u32_e32 v49, vcc, 0, v49, vcc
	s_mov_b32 s7, 1
	s_mov_b64 s[58:59], 0
.LBB1490_83:                            ; =>This Loop Header: Depth=1
                                        ;     Child Loop BB1490_84 Depth 2
	s_max_u32 s60, s7, 1
.LBB1490_84:                            ;   Parent Loop BB1490_83 Depth=1
                                        ; =>  This Inner Loop Header: Depth=2
	s_add_i32 s60, s60, -1
	s_cmp_eq_u32 s60, 0
	s_sleep 1
	s_cbranch_scc0 .LBB1490_84
; %bb.85:                               ;   in Loop: Header=BB1490_83 Depth=1
	global_load_ubyte v57, v[48:49], off glc
	s_cmp_lt_u32 s7, 32
	s_cselect_b64 s[60:61], -1, 0
	s_cmp_lg_u64 s[60:61], 0
	s_addc_u32 s7, s7, 0
	s_waitcnt vmcnt(0)
	v_cmp_ne_u16_e32 vcc, 0, v57
	s_or_b64 s[58:59], vcc, s[58:59]
	s_andn2_b64 exec, exec, s[58:59]
	s_cbranch_execnz .LBB1490_83
; %bb.86:
	s_or_b64 exec, exec, s[58:59]
.LBB1490_87:
	s_or_b64 exec, exec, s[56:57]
	v_mov_b32_e32 v48, s39
	v_mov_b32_e32 v49, s37
	v_cmp_eq_u16_e32 vcc, 1, v57
	v_cndmask_b32_e32 v48, v48, v49, vcc
	v_mov_b32_e32 v49, s38
	v_mov_b32_e32 v50, s36
	v_cndmask_b32_e32 v49, v49, v50, vcc
	v_lshlrev_b64 v[46:47], 4, v[46:47]
	v_add_co_u32_e32 v46, vcc, v49, v46
	v_addc_co_u32_e32 v47, vcc, v48, v47, vcc
	s_waitcnt lgkmcnt(0)
	buffer_wbinvl1_vol
	global_load_dword v72, v[46:47], off
	global_load_dwordx2 v[50:51], v[46:47], off offset:8
	v_cmp_eq_u16_e32 vcc, 2, v57
	v_lshlrev_b64 v[46:47], v45, -1
	v_and_b32_e32 v58, 63, v45
	v_and_b32_e32 v48, vcc_hi, v47
	v_and_b32_e32 v62, vcc_lo, v46
	v_cmp_ne_u32_e32 vcc, 63, v58
	v_addc_co_u32_e32 v49, vcc, 0, v45, vcc
	v_lshlrev_b32_e32 v59, 2, v49
	v_or_b32_e32 v48, 0x80000000, v48
	v_ffbl_b32_e32 v48, v48
	v_add_u32_e32 v48, 32, v48
	v_ffbl_b32_e32 v62, v62
	v_min_u32_e32 v48, v62, v48
	v_cmp_lt_u32_e32 vcc, v58, v48
	s_waitcnt vmcnt(1)
	ds_bpermute_b32 v60, v59, v72
	s_waitcnt vmcnt(0)
	ds_bpermute_b32 v49, v59, v50
	ds_bpermute_b32 v61, v59, v51
	s_and_saveexec_b64 s[56:57], vcc
	s_cbranch_execz .LBB1490_89
; %bb.88:
	v_cmp_eq_u32_e32 vcc, 0, v72
	s_waitcnt lgkmcnt(1)
	v_cndmask_b32_e32 v49, 0, v49, vcc
	v_add_u32_e32 v60, v60, v72
	s_waitcnt lgkmcnt(0)
	v_cndmask_b32_e32 v61, 0, v61, vcc
	v_add_co_u32_e32 v50, vcc, v49, v50
	v_addc_co_u32_e32 v51, vcc, v61, v51, vcc
	v_mov_b32_e32 v72, v60
.LBB1490_89:
	s_or_b64 exec, exec, s[56:57]
	v_cmp_gt_u32_e32 vcc, 62, v58
	s_waitcnt lgkmcnt(1)
	v_cndmask_b32_e64 v49, 0, 1, vcc
	v_lshlrev_b32_e32 v49, 1, v49
	v_add_lshl_u32 v60, v49, v45, 2
	ds_bpermute_b32 v62, v60, v72
	ds_bpermute_b32 v49, v60, v50
	ds_bpermute_b32 v63, v60, v51
	s_waitcnt lgkmcnt(3)
	v_add_u32_e32 v61, 2, v58
	v_cmp_le_u32_e32 vcc, v61, v48
	s_and_saveexec_b64 s[56:57], vcc
	s_cbranch_execz .LBB1490_91
; %bb.90:
	v_cmp_eq_u32_e32 vcc, 0, v72
	s_waitcnt lgkmcnt(1)
	v_cndmask_b32_e32 v49, 0, v49, vcc
	v_add_u32_e32 v62, v62, v72
	s_waitcnt lgkmcnt(0)
	v_cndmask_b32_e32 v63, 0, v63, vcc
	v_add_co_u32_e32 v50, vcc, v49, v50
	v_addc_co_u32_e32 v51, vcc, v63, v51, vcc
	v_mov_b32_e32 v72, v62
.LBB1490_91:
	s_or_b64 exec, exec, s[56:57]
	v_cmp_gt_u32_e32 vcc, 60, v58
	s_waitcnt lgkmcnt(1)
	v_cndmask_b32_e64 v49, 0, 1, vcc
	v_lshlrev_b32_e32 v49, 2, v49
	v_add_lshl_u32 v62, v49, v45, 2
	ds_bpermute_b32 v64, v62, v72
	ds_bpermute_b32 v49, v62, v50
	ds_bpermute_b32 v65, v62, v51
	s_waitcnt lgkmcnt(3)
	v_add_u32_e32 v63, 4, v58
	v_cmp_le_u32_e32 vcc, v63, v48
	;; [unrolled: 25-line block ×4, first 2 shown]
	s_and_saveexec_b64 s[56:57], vcc
	s_cbranch_execz .LBB1490_97
; %bb.96:
	v_cmp_eq_u32_e32 vcc, 0, v72
	s_waitcnt lgkmcnt(1)
	v_cndmask_b32_e32 v49, 0, v49, vcc
	v_add_u32_e32 v68, v68, v72
	s_waitcnt lgkmcnt(0)
	v_cndmask_b32_e32 v69, 0, v69, vcc
	v_add_co_u32_e32 v50, vcc, v49, v50
	v_addc_co_u32_e32 v51, vcc, v69, v51, vcc
	v_mov_b32_e32 v72, v68
.LBB1490_97:
	s_or_b64 exec, exec, s[56:57]
	v_cmp_gt_u32_e32 vcc, 32, v58
	s_waitcnt lgkmcnt(1)
	v_cndmask_b32_e64 v49, 0, 1, vcc
	v_lshlrev_b32_e32 v49, 5, v49
	v_add_lshl_u32 v68, v49, v45, 2
	ds_bpermute_b32 v49, v68, v72
	ds_bpermute_b32 v45, v68, v50
	s_waitcnt lgkmcnt(2)
	ds_bpermute_b32 v69, v68, v51
	v_add_u32_e32 v70, 32, v58
	v_cmp_le_u32_e32 vcc, v70, v48
	s_and_saveexec_b64 s[56:57], vcc
	s_cbranch_execz .LBB1490_99
; %bb.98:
	v_cmp_eq_u32_e32 vcc, 0, v72
	s_waitcnt lgkmcnt(1)
	v_cndmask_b32_e32 v45, 0, v45, vcc
	v_add_u32_e32 v48, v49, v72
	s_waitcnt lgkmcnt(0)
	v_cndmask_b32_e32 v49, 0, v69, vcc
	v_add_co_u32_e32 v50, vcc, v45, v50
	v_addc_co_u32_e32 v51, vcc, v49, v51, vcc
	v_mov_b32_e32 v72, v48
.LBB1490_99:
	s_or_b64 exec, exec, s[56:57]
	s_waitcnt lgkmcnt(1)
	v_mov_b32_e32 v45, 0
	v_mov_b32_e32 v71, 2
	s_branch .LBB1490_101
.LBB1490_100:                           ;   in Loop: Header=BB1490_101 Depth=1
	s_or_b64 exec, exec, s[56:57]
	v_cmp_eq_u32_e32 vcc, 0, v69
	v_cndmask_b32_e32 v50, 0, v50, vcc
	v_cndmask_b32_e32 v51, 0, v51, vcc
	v_add_co_u32_e32 v50, vcc, v50, v48
	v_subrev_u32_e32 v44, 64, v44
	v_add_u32_e32 v72, v73, v69
	v_addc_co_u32_e32 v51, vcc, v51, v49, vcc
.LBB1490_101:                           ; =>This Loop Header: Depth=1
                                        ;     Child Loop BB1490_104 Depth 2
                                        ;       Child Loop BB1490_105 Depth 3
	v_cmp_ne_u16_sdwa s[56:57], v57, v71 src0_sel:BYTE_0 src1_sel:DWORD
	v_pk_mov_b32 v[48:49], v[50:51], v[50:51] op_sel:[0,1]
	v_cndmask_b32_e64 v50, 0, 1, s[56:57]
	;;#ASMSTART
	;;#ASMEND
	v_cmp_ne_u32_e32 vcc, 0, v50
	s_cmp_lg_u64 vcc, exec
	s_waitcnt lgkmcnt(0)
	v_mov_b32_e32 v69, v72
	s_cbranch_scc1 .LBB1490_120
; %bb.102:                              ;   in Loop: Header=BB1490_101 Depth=1
	global_load_ubyte v57, v44, s[40:41] glc
	s_waitcnt vmcnt(0)
	v_cmp_eq_u16_e32 vcc, 0, v57
	s_and_saveexec_b64 s[56:57], vcc
	s_cbranch_execz .LBB1490_108
; %bb.103:                              ;   in Loop: Header=BB1490_101 Depth=1
	v_mov_b32_e32 v51, s41
	v_add_co_u32_e32 v50, vcc, s40, v44
	v_addc_co_u32_e32 v51, vcc, 0, v51, vcc
	s_mov_b32 s7, 1
	s_mov_b64 s[58:59], 0
.LBB1490_104:                           ;   Parent Loop BB1490_101 Depth=1
                                        ; =>  This Loop Header: Depth=2
                                        ;       Child Loop BB1490_105 Depth 3
	s_max_u32 s60, s7, 1
.LBB1490_105:                           ;   Parent Loop BB1490_101 Depth=1
                                        ;     Parent Loop BB1490_104 Depth=2
                                        ; =>    This Inner Loop Header: Depth=3
	s_add_i32 s60, s60, -1
	s_cmp_eq_u32 s60, 0
	s_sleep 1
	s_cbranch_scc0 .LBB1490_105
; %bb.106:                              ;   in Loop: Header=BB1490_104 Depth=2
	global_load_ubyte v57, v[50:51], off glc
	s_cmp_lt_u32 s7, 32
	s_cselect_b64 s[60:61], -1, 0
	s_cmp_lg_u64 s[60:61], 0
	s_addc_u32 s7, s7, 0
	s_waitcnt vmcnt(0)
	v_cmp_ne_u16_e32 vcc, 0, v57
	s_or_b64 s[58:59], vcc, s[58:59]
	s_andn2_b64 exec, exec, s[58:59]
	s_cbranch_execnz .LBB1490_104
; %bb.107:                              ;   in Loop: Header=BB1490_101 Depth=1
	s_or_b64 exec, exec, s[58:59]
.LBB1490_108:                           ;   in Loop: Header=BB1490_101 Depth=1
	s_or_b64 exec, exec, s[56:57]
	v_mov_b32_e32 v50, s39
	v_mov_b32_e32 v51, s37
	v_cmp_eq_u16_e32 vcc, 1, v57
	v_cndmask_b32_e32 v72, v50, v51, vcc
	v_mov_b32_e32 v50, s38
	v_mov_b32_e32 v51, s36
	v_cndmask_b32_e32 v73, v50, v51, vcc
	v_lshlrev_b64 v[50:51], 4, v[44:45]
	v_add_co_u32_e32 v50, vcc, v73, v50
	v_addc_co_u32_e32 v51, vcc, v72, v51, vcc
	buffer_wbinvl1_vol
	global_load_dword v73, v[50:51], off
	s_nop 0
	global_load_dwordx2 v[50:51], v[50:51], off offset:8
	v_cmp_eq_u16_e32 vcc, 2, v57
	v_and_b32_e32 v72, vcc_hi, v47
	v_or_b32_e32 v72, 0x80000000, v72
	v_and_b32_e32 v93, vcc_lo, v46
	v_ffbl_b32_e32 v72, v72
	v_add_u32_e32 v72, 32, v72
	v_ffbl_b32_e32 v93, v93
	v_min_u32_e32 v72, v93, v72
	v_cmp_lt_u32_e32 vcc, v58, v72
	s_waitcnt vmcnt(1)
	ds_bpermute_b32 v75, v59, v73
	s_waitcnt vmcnt(0)
	ds_bpermute_b32 v74, v59, v50
	ds_bpermute_b32 v90, v59, v51
	s_and_saveexec_b64 s[56:57], vcc
	s_cbranch_execz .LBB1490_110
; %bb.109:                              ;   in Loop: Header=BB1490_101 Depth=1
	v_cmp_eq_u32_e32 vcc, 0, v73
	s_waitcnt lgkmcnt(1)
	v_cndmask_b32_e32 v74, 0, v74, vcc
	v_add_u32_e32 v75, v75, v73
	s_waitcnt lgkmcnt(0)
	v_cndmask_b32_e32 v73, 0, v90, vcc
	v_add_co_u32_e32 v50, vcc, v74, v50
	v_addc_co_u32_e32 v51, vcc, v73, v51, vcc
	v_mov_b32_e32 v73, v75
.LBB1490_110:                           ;   in Loop: Header=BB1490_101 Depth=1
	s_or_b64 exec, exec, s[56:57]
	s_waitcnt lgkmcnt(2)
	ds_bpermute_b32 v75, v60, v73
	s_waitcnt lgkmcnt(2)
	ds_bpermute_b32 v74, v60, v50
	s_waitcnt lgkmcnt(2)
	ds_bpermute_b32 v90, v60, v51
	v_cmp_le_u32_e32 vcc, v61, v72
	s_and_saveexec_b64 s[56:57], vcc
	s_cbranch_execz .LBB1490_112
; %bb.111:                              ;   in Loop: Header=BB1490_101 Depth=1
	v_cmp_eq_u32_e32 vcc, 0, v73
	s_waitcnt lgkmcnt(1)
	v_cndmask_b32_e32 v74, 0, v74, vcc
	v_add_u32_e32 v75, v75, v73
	s_waitcnt lgkmcnt(0)
	v_cndmask_b32_e32 v73, 0, v90, vcc
	v_add_co_u32_e32 v50, vcc, v74, v50
	v_addc_co_u32_e32 v51, vcc, v73, v51, vcc
	v_mov_b32_e32 v73, v75
.LBB1490_112:                           ;   in Loop: Header=BB1490_101 Depth=1
	s_or_b64 exec, exec, s[56:57]
	s_waitcnt lgkmcnt(2)
	ds_bpermute_b32 v75, v62, v73
	s_waitcnt lgkmcnt(2)
	ds_bpermute_b32 v74, v62, v50
	s_waitcnt lgkmcnt(2)
	ds_bpermute_b32 v90, v62, v51
	v_cmp_le_u32_e32 vcc, v63, v72
	;; [unrolled: 21-line block ×5, first 2 shown]
	s_and_saveexec_b64 s[56:57], vcc
	s_cbranch_execz .LBB1490_100
; %bb.119:                              ;   in Loop: Header=BB1490_101 Depth=1
	v_cmp_eq_u32_e32 vcc, 0, v73
	s_waitcnt lgkmcnt(1)
	v_cndmask_b32_e32 v74, 0, v74, vcc
	v_add_u32_e32 v72, v75, v73
	s_waitcnt lgkmcnt(0)
	v_cndmask_b32_e32 v73, 0, v90, vcc
	v_add_co_u32_e32 v50, vcc, v74, v50
	v_addc_co_u32_e32 v51, vcc, v73, v51, vcc
	v_mov_b32_e32 v73, v72
	s_branch .LBB1490_100
.LBB1490_120:                           ;   in Loop: Header=BB1490_101 Depth=1
                                        ; implicit-def: $vgpr50_vgpr51
                                        ; implicit-def: $vgpr72
                                        ; implicit-def: $vgpr57
	s_cbranch_execz .LBB1490_101
; %bb.121:
	s_and_saveexec_b64 s[36:37], s[26:27]
	s_cbranch_execz .LBB1490_123
; %bb.122:
	s_mov_b32 s7, 0
	v_cmp_eq_u32_e32 vcc, 0, v56
	s_add_i32 s6, s6, 64
	v_cndmask_b32_e32 v44, 0, v48, vcc
	s_lshl_b64 s[56:57], s[6:7], 4
	v_cndmask_b32_e32 v45, 0, v49, vcc
	v_add_co_u32_e32 v44, vcc, v44, v42
	s_add_u32 s56, s38, s56
	v_add_u32_e32 v46, v69, v56
	v_addc_co_u32_e32 v45, vcc, v45, v43, vcc
	s_addc_u32 s57, s39, s57
	v_mov_b32_e32 v47, 0
	global_store_dword v47, v46, s[56:57]
	global_store_dwordx2 v47, v[44:45], s[56:57] offset:8
	v_mov_b32_e32 v44, s6
	v_mov_b32_e32 v45, 2
	s_waitcnt vmcnt(0) lgkmcnt(0)
	buffer_wbinvl1_vol
	global_store_byte v44, v45, s[40:41]
	ds_write_b32 v47, v56 offset:1024
	ds_write_b64 v47, v[42:43] offset:1032
	ds_write_b32 v47, v69 offset:1040
	ds_write_b64 v47, v[48:49] offset:1048
.LBB1490_123:
	s_or_b64 exec, exec, s[36:37]
	v_cmp_eq_u32_e32 vcc, 0, v0
	s_and_b64 exec, exec, vcc
	s_cbranch_execz .LBB1490_125
; %bb.124:
	v_mov_b32_e32 v42, 0
	ds_write_b32 v42, v69 offset:1104
	ds_write_b64 v42, v[48:49] offset:1112
.LBB1490_125:
	s_or_b64 exec, exec, s[48:49]
	v_mov_b32_e32 v45, 0
	s_waitcnt lgkmcnt(0)
	s_barrier
	ds_read_b32 v44, v45 offset:1104
	ds_read_b64 v[42:43], v45 offset:1112
	v_cndmask_b32_e64 v46, v53, v52, s[26:27]
	v_cmp_eq_u32_e32 vcc, 0, v46
	v_cndmask_b32_e64 v40, v54, v40, s[26:27]
	v_cndmask_b32_e64 v41, v55, v41, s[26:27]
	s_waitcnt lgkmcnt(0)
	v_cndmask_b32_e32 v48, 0, v42, vcc
	v_cndmask_b32_e32 v47, 0, v43, vcc
	v_add_co_u32_e32 v40, vcc, v48, v40
	v_addc_co_u32_e32 v41, vcc, v47, v41, vcc
	v_cmp_eq_u32_e32 vcc, 0, v0
	v_cndmask_b32_e64 v46, v46, 0, vcc
	v_cndmask_b32_e32 v71, v41, v43, vcc
	v_cndmask_b32_e32 v70, v40, v42, vcc
	v_cmp_eq_u32_e32 vcc, 0, v89
	v_cndmask_b32_e32 v41, 0, v70, vcc
	v_add_u32_e32 v90, v44, v46
	v_cndmask_b32_e32 v40, 0, v71, vcc
	v_add_co_u32_e32 v46, vcc, v41, v18
	v_addc_co_u32_e32 v47, vcc, v40, v19, vcc
	v_cndmask_b32_e64 v41, 0, v46, s[24:25]
	v_cndmask_b32_e64 v40, 0, v47, s[24:25]
	v_add_co_u32_e32 v48, vcc, v41, v38
	v_addc_co_u32_e32 v49, vcc, v40, v39, vcc
	v_cndmask_b32_e64 v41, 0, v48, s[22:23]
	v_cndmask_b32_e64 v40, 0, v49, s[22:23]
	;; [unrolled: 4-line block ×11, first 2 shown]
	v_add_co_u32_e32 v68, vcc, v41, v28
	v_addc_co_u32_e32 v69, vcc, v40, v29, vcc
	s_barrier
	ds_read_b32 v40, v45 offset:1024
	ds_read_b64 v[42:43], v45 offset:1032
	ds_read_b32 v44, v45 offset:1040
	ds_read_b64 v[94:95], v45 offset:1048
	v_cndmask_b32_e64 v72, 0, v68, s[2:3]
	v_cndmask_b32_e64 v41, 0, v69, s[2:3]
	v_add_co_u32_e32 v72, vcc, v72, v6
	v_addc_co_u32_e32 v73, vcc, v41, v7, vcc
	s_waitcnt lgkmcnt(3)
	v_cmp_eq_u32_e32 vcc, 0, v40
	s_waitcnt lgkmcnt(0)
	v_cndmask_b32_e32 v45, 0, v94, vcc
	v_cndmask_b32_e32 v41, 0, v95, vcc
	v_add_co_u32_e32 v42, vcc, v45, v42
	v_cndmask_b32_e64 v75, 0, v73, s[0:1]
	v_cndmask_b32_e64 v74, 0, v72, s[0:1]
	v_addc_co_u32_e32 v43, vcc, v41, v43, vcc
	s_branch .LBB1490_154
.LBB1490_126:
                                        ; implicit-def: $vgpr40
                                        ; implicit-def: $vgpr42_vgpr43
                                        ; implicit-def: $vgpr44
                                        ; implicit-def: $vgpr70_vgpr71
                                        ; implicit-def: $vgpr46_vgpr47
                                        ; implicit-def: $vgpr48_vgpr49
                                        ; implicit-def: $vgpr50_vgpr51
                                        ; implicit-def: $vgpr52_vgpr53
                                        ; implicit-def: $vgpr54_vgpr55
                                        ; implicit-def: $vgpr56_vgpr57
                                        ; implicit-def: $vgpr58_vgpr59
                                        ; implicit-def: $vgpr60_vgpr61
                                        ; implicit-def: $vgpr62_vgpr63
                                        ; implicit-def: $vgpr64_vgpr65
                                        ; implicit-def: $vgpr66_vgpr67
                                        ; implicit-def: $vgpr68_vgpr69
                                        ; implicit-def: $vgpr72_vgpr73
                                        ; implicit-def: $vgpr74_vgpr75
                                        ; implicit-def: $vgpr90
	s_cbranch_execz .LBB1490_154
; %bb.127:
	s_and_b64 s[0:1], s[42:43], exec
	s_cselect_b32 s1, 0, s31
	s_cselect_b32 s0, 0, s30
	s_cmp_eq_u64 s[0:1], 0
	v_pk_mov_b32 v[44:45], v[18:19], v[18:19] op_sel:[0,1]
	s_cbranch_scc1 .LBB1490_129
; %bb.128:
	v_mov_b32_e32 v40, 0
	global_load_dwordx2 v[44:45], v40, s[0:1]
.LBB1490_129:
	v_cmp_eq_u32_e64 s[22:23], 0, v88
	v_cndmask_b32_e64 v41, 0, v18, s[22:23]
	v_cndmask_b32_e64 v40, 0, v19, s[22:23]
	v_add_co_u32_e32 v41, vcc, v41, v38
	v_cmp_eq_u32_e64 s[20:21], 0, v87
	v_addc_co_u32_e32 v40, vcc, v40, v39, vcc
	v_cndmask_b32_e64 v41, 0, v41, s[20:21]
	v_cndmask_b32_e64 v40, 0, v40, s[20:21]
	v_add_co_u32_e32 v41, vcc, v41, v20
	v_cmp_eq_u32_e64 s[18:19], 0, v86
	v_addc_co_u32_e32 v40, vcc, v40, v21, vcc
	v_cndmask_b32_e64 v41, 0, v41, s[18:19]
	v_cndmask_b32_e64 v40, 0, v40, s[18:19]
	v_add_co_u32_e32 v41, vcc, v41, v36
	v_cmp_eq_u32_e64 s[16:17], 0, v85
	v_addc_co_u32_e32 v40, vcc, v40, v37, vcc
	v_cndmask_b32_e64 v41, 0, v41, s[16:17]
	v_cndmask_b32_e64 v40, 0, v40, s[16:17]
	v_add_co_u32_e32 v41, vcc, v41, v14
	v_cmp_eq_u32_e64 s[12:13], 0, v84
	v_addc_co_u32_e32 v40, vcc, v40, v15, vcc
	v_cndmask_b32_e64 v41, 0, v41, s[12:13]
	v_cndmask_b32_e64 v40, 0, v40, s[12:13]
	v_add_co_u32_e32 v41, vcc, v41, v34
	v_cmp_eq_u32_e64 s[14:15], 0, v83
	v_addc_co_u32_e32 v40, vcc, v40, v35, vcc
	v_cndmask_b32_e64 v41, 0, v41, s[14:15]
	v_cndmask_b32_e64 v40, 0, v40, s[14:15]
	v_add_co_u32_e32 v41, vcc, v41, v16
	v_cmp_eq_u32_e64 s[8:9], 0, v82
	v_addc_co_u32_e32 v40, vcc, v40, v17, vcc
	v_cndmask_b32_e64 v41, 0, v41, s[8:9]
	v_cndmask_b32_e64 v40, 0, v40, s[8:9]
	v_add_co_u32_e32 v41, vcc, v41, v30
	v_cmp_eq_u32_e64 s[10:11], 0, v81
	v_addc_co_u32_e32 v40, vcc, v40, v31, vcc
	v_cndmask_b32_e64 v41, 0, v41, s[10:11]
	v_cndmask_b32_e64 v40, 0, v40, s[10:11]
	v_add_co_u32_e32 v41, vcc, v41, v10
	v_cmp_eq_u32_e64 s[4:5], 0, v80
	v_addc_co_u32_e32 v40, vcc, v40, v11, vcc
	v_cndmask_b32_e64 v41, 0, v41, s[4:5]
	v_cndmask_b32_e64 v40, 0, v40, s[4:5]
	v_add_co_u32_e32 v41, vcc, v41, v32
	v_cmp_eq_u32_e64 s[6:7], 0, v79
	v_addc_co_u32_e32 v40, vcc, v40, v33, vcc
	v_cndmask_b32_e64 v41, 0, v41, s[6:7]
	v_cndmask_b32_e64 v40, 0, v40, s[6:7]
	v_add_co_u32_e32 v41, vcc, v41, v12
	v_cmp_eq_u32_e64 s[0:1], 0, v78
	v_addc_co_u32_e32 v40, vcc, v40, v13, vcc
	v_cndmask_b32_e64 v41, 0, v41, s[0:1]
	v_cndmask_b32_e64 v40, 0, v40, s[0:1]
	v_add_co_u32_e32 v41, vcc, v41, v28
	v_cmp_eq_u32_e64 s[2:3], 0, v77
	v_addc_co_u32_e32 v40, vcc, v40, v29, vcc
	v_cndmask_b32_e64 v41, 0, v41, s[2:3]
	v_cndmask_b32_e64 v40, 0, v40, s[2:3]
	v_add_co_u32_e32 v41, vcc, v41, v6
	v_addc_co_u32_e32 v40, vcc, v40, v7, vcc
	v_cmp_eq_u32_e32 vcc, 0, v76
	v_cndmask_b32_e32 v41, 0, v41, vcc
	v_add3_u32 v42, v92, v84, v83
	v_cndmask_b32_e32 v40, 0, v40, vcc
	v_add_co_u32_e64 v41, s[24:25], v41, v26
	v_add3_u32 v42, v42, v82, v81
	v_addc_co_u32_e64 v40, s[24:25], v40, v27, s[24:25]
	v_add3_u32 v42, v42, v80, v79
	v_cmp_eq_u32_e64 s[24:25], 0, v25
	v_add3_u32 v42, v42, v78, v77
	v_cndmask_b32_e64 v41, 0, v41, s[24:25]
	v_add3_u32 v43, v42, v76, v25
	v_cndmask_b32_e64 v40, 0, v40, s[24:25]
	v_add_co_u32_e64 v8, s[24:25], v41, v8
	v_mbcnt_hi_u32_b32 v42, -1, v91
	v_addc_co_u32_e64 v9, s[24:25], v40, v9, s[24:25]
	v_and_b32_e32 v40, 15, v42
	v_mov_b32_dpp v46, v43 row_shr:1 row_mask:0xf bank_mask:0xf
	v_mov_b32_dpp v41, v8 row_shr:1 row_mask:0xf bank_mask:0xf
	;; [unrolled: 1-line block ×3, first 2 shown]
	v_cmp_ne_u32_e64 s[24:25], 0, v40
	s_and_saveexec_b64 s[26:27], s[24:25]
; %bb.130:
	v_cmp_eq_u32_e64 s[24:25], 0, v43
	v_cndmask_b32_e64 v41, 0, v41, s[24:25]
	v_add_u32_e32 v46, v46, v43
	v_cndmask_b32_e64 v43, 0, v47, s[24:25]
	v_add_co_u32_e64 v8, s[24:25], v41, v8
	v_addc_co_u32_e64 v9, s[24:25], v43, v9, s[24:25]
	v_mov_b32_e32 v43, v46
; %bb.131:
	s_or_b64 exec, exec, s[26:27]
	s_nop 0
	v_mov_b32_dpp v46, v43 row_shr:2 row_mask:0xf bank_mask:0xf
	v_mov_b32_dpp v41, v8 row_shr:2 row_mask:0xf bank_mask:0xf
	v_mov_b32_dpp v47, v9 row_shr:2 row_mask:0xf bank_mask:0xf
	v_cmp_lt_u32_e64 s[24:25], 1, v40
	s_and_saveexec_b64 s[26:27], s[24:25]
; %bb.132:
	v_cmp_eq_u32_e64 s[24:25], 0, v43
	v_cndmask_b32_e64 v41, 0, v41, s[24:25]
	v_add_u32_e32 v46, v46, v43
	v_cndmask_b32_e64 v43, 0, v47, s[24:25]
	v_add_co_u32_e64 v8, s[24:25], v41, v8
	v_addc_co_u32_e64 v9, s[24:25], v43, v9, s[24:25]
	v_mov_b32_e32 v43, v46
; %bb.133:
	s_or_b64 exec, exec, s[26:27]
	s_nop 0
	v_mov_b32_dpp v46, v43 row_shr:4 row_mask:0xf bank_mask:0xf
	v_mov_b32_dpp v41, v8 row_shr:4 row_mask:0xf bank_mask:0xf
	v_mov_b32_dpp v47, v9 row_shr:4 row_mask:0xf bank_mask:0xf
	v_cmp_lt_u32_e64 s[24:25], 3, v40
	;; [unrolled: 16-line block ×3, first 2 shown]
	s_and_saveexec_b64 s[26:27], s[24:25]
; %bb.136:
	v_cmp_eq_u32_e64 s[24:25], 0, v43
	v_cndmask_b32_e64 v41, 0, v41, s[24:25]
	v_add_u32_e32 v40, v46, v43
	v_cndmask_b32_e64 v43, 0, v47, s[24:25]
	v_add_co_u32_e64 v8, s[24:25], v41, v8
	v_addc_co_u32_e64 v9, s[24:25], v43, v9, s[24:25]
	v_mov_b32_e32 v43, v40
; %bb.137:
	s_or_b64 exec, exec, s[26:27]
	v_and_b32_e32 v47, 16, v42
	v_mov_b32_dpp v41, v43 row_bcast:15 row_mask:0xf bank_mask:0xf
	v_mov_b32_dpp v40, v8 row_bcast:15 row_mask:0xf bank_mask:0xf
	;; [unrolled: 1-line block ×3, first 2 shown]
	v_cmp_ne_u32_e64 s[24:25], 0, v47
	s_and_saveexec_b64 s[26:27], s[24:25]
; %bb.138:
	v_cmp_eq_u32_e64 s[24:25], 0, v43
	v_cndmask_b32_e64 v40, 0, v40, s[24:25]
	v_add_u32_e32 v41, v41, v43
	v_cndmask_b32_e64 v43, 0, v46, s[24:25]
	v_add_co_u32_e64 v8, s[24:25], v40, v8
	v_addc_co_u32_e64 v9, s[24:25], v43, v9, s[24:25]
	v_mov_b32_e32 v43, v41
; %bb.139:
	s_or_b64 exec, exec, s[26:27]
	s_nop 0
	v_mov_b32_dpp v41, v43 row_bcast:31 row_mask:0xf bank_mask:0xf
	v_mov_b32_dpp v40, v8 row_bcast:31 row_mask:0xf bank_mask:0xf
	;; [unrolled: 1-line block ×3, first 2 shown]
	v_cmp_lt_u32_e64 s[24:25], 31, v42
	s_and_saveexec_b64 s[26:27], s[24:25]
; %bb.140:
	v_cmp_eq_u32_e64 s[24:25], 0, v43
	v_cndmask_b32_e64 v40, 0, v40, s[24:25]
	v_add_u32_e32 v41, v41, v43
	v_cndmask_b32_e64 v43, 0, v46, s[24:25]
	v_add_co_u32_e64 v8, s[24:25], v40, v8
	v_addc_co_u32_e64 v9, s[24:25], v43, v9, s[24:25]
	v_mov_b32_e32 v43, v41
; %bb.141:
	s_or_b64 exec, exec, s[26:27]
	v_or_b32_e32 v40, 63, v0
	v_lshrrev_b32_e32 v46, 6, v0
	v_cmp_eq_u32_e64 s[24:25], v40, v0
	s_and_saveexec_b64 s[26:27], s[24:25]
	s_cbranch_execz .LBB1490_143
; %bb.142:
	v_lshlrev_b32_e32 v40, 4, v46
	ds_write_b32 v40, v43 offset:1056
	ds_write_b64 v40, v[8:9] offset:1064
.LBB1490_143:
	s_or_b64 exec, exec, s[26:27]
	v_cmp_gt_u32_e64 s[24:25], 4, v0
	s_waitcnt lgkmcnt(0)
	s_barrier
	s_and_saveexec_b64 s[26:27], s[24:25]
	s_cbranch_execz .LBB1490_149
; %bb.144:
	v_lshlrev_b32_e32 v47, 4, v0
	ds_read_b32 v48, v47 offset:1056
	ds_read_b64 v[40:41], v47 offset:1064
	v_and_b32_e32 v49, 3, v42
	v_cmp_ne_u32_e64 s[24:25], 0, v49
	s_waitcnt lgkmcnt(1)
	v_mov_b32_dpp v51, v48 row_shr:1 row_mask:0xf bank_mask:0xf
	s_waitcnt lgkmcnt(0)
	v_mov_b32_dpp v50, v40 row_shr:1 row_mask:0xf bank_mask:0xf
	v_mov_b32_dpp v52, v41 row_shr:1 row_mask:0xf bank_mask:0xf
	s_and_saveexec_b64 s[28:29], s[24:25]
; %bb.145:
	v_cmp_eq_u32_e64 s[24:25], 0, v48
	v_cndmask_b32_e64 v50, 0, v50, s[24:25]
	v_add_u32_e32 v51, v51, v48
	v_cndmask_b32_e64 v48, 0, v52, s[24:25]
	v_add_co_u32_e64 v40, s[24:25], v50, v40
	v_addc_co_u32_e64 v41, s[24:25], v48, v41, s[24:25]
	v_mov_b32_e32 v48, v51
; %bb.146:
	s_or_b64 exec, exec, s[28:29]
	s_nop 0
	v_mov_b32_dpp v51, v48 row_shr:2 row_mask:0xf bank_mask:0xf
	v_mov_b32_dpp v50, v40 row_shr:2 row_mask:0xf bank_mask:0xf
	;; [unrolled: 1-line block ×3, first 2 shown]
	v_cmp_lt_u32_e64 s[24:25], 1, v49
	s_and_saveexec_b64 s[28:29], s[24:25]
; %bb.147:
	v_cmp_eq_u32_e64 s[24:25], 0, v48
	v_cndmask_b32_e64 v50, 0, v50, s[24:25]
	v_add_u32_e32 v49, v51, v48
	v_cndmask_b32_e64 v48, 0, v52, s[24:25]
	v_add_co_u32_e64 v40, s[24:25], v50, v40
	v_addc_co_u32_e64 v41, s[24:25], v48, v41, s[24:25]
	v_mov_b32_e32 v48, v49
; %bb.148:
	s_or_b64 exec, exec, s[28:29]
	ds_write_b32 v47, v48 offset:1056
	ds_write_b64 v47, v[40:41] offset:1064
.LBB1490_149:
	s_or_b64 exec, exec, s[26:27]
	v_cmp_lt_u32_e64 s[24:25], 63, v0
	v_mov_b32_e32 v91, 0
	v_mov_b32_e32 v47, 0
	s_waitcnt vmcnt(0)
	v_pk_mov_b32 v[40:41], v[44:45], v[44:45] op_sel:[0,1]
	s_waitcnt lgkmcnt(0)
	s_barrier
	s_and_saveexec_b64 s[26:27], s[24:25]
	s_cbranch_execz .LBB1490_151
; %bb.150:
	v_lshlrev_b32_e32 v40, 4, v46
	ds_read_b32 v47, v40 offset:1040
	ds_read_b64 v[40:41], v40 offset:1048
	s_waitcnt lgkmcnt(1)
	v_cmp_eq_u32_e64 s[24:25], 0, v47
	v_cndmask_b32_e64 v48, 0, v44, s[24:25]
	v_cndmask_b32_e64 v46, 0, v45, s[24:25]
	s_waitcnt lgkmcnt(0)
	v_add_co_u32_e64 v40, s[24:25], v48, v40
	v_addc_co_u32_e64 v41, s[24:25], v46, v41, s[24:25]
.LBB1490_151:
	s_or_b64 exec, exec, s[26:27]
	v_cmp_eq_u32_e64 s[24:25], 0, v43
	v_cndmask_b32_e64 v48, 0, v40, s[24:25]
	v_add_u32_e32 v46, v47, v43
	v_cndmask_b32_e64 v43, 0, v41, s[24:25]
	v_add_co_u32_e64 v8, s[24:25], v48, v8
	v_addc_co_u32_e64 v9, s[24:25], v43, v9, s[24:25]
	v_add_u32_e32 v43, -1, v42
	v_and_b32_e32 v48, 64, v42
	v_cmp_lt_i32_e64 s[24:25], v43, v48
	v_cndmask_b32_e64 v43, v43, v42, s[24:25]
	v_lshlrev_b32_e32 v43, 2, v43
	ds_bpermute_b32 v46, v43, v46
	ds_bpermute_b32 v9, v43, v9
	;; [unrolled: 1-line block ×3, first 2 shown]
	v_cmp_eq_u32_e64 s[24:25], 0, v42
	v_cmp_eq_u32_e64 s[26:27], 0, v89
	s_waitcnt lgkmcnt(2)
	v_cndmask_b32_e64 v90, v46, v47, s[24:25]
	s_waitcnt lgkmcnt(1)
	v_cndmask_b32_e64 v71, v9, v41, s[24:25]
	;; [unrolled: 2-line block ×3, first 2 shown]
	v_cmp_eq_u32_e64 s[24:25], 0, v0
	v_cndmask_b32_e64 v8, v70, v44, s[24:25]
	v_cndmask_b32_e64 v9, v71, v45, s[24:25]
	;; [unrolled: 1-line block ×4, first 2 shown]
	v_add_co_u32_e64 v46, s[26:27], v8, v18
	v_addc_co_u32_e64 v47, s[26:27], v9, v19, s[26:27]
	v_cndmask_b32_e64 v9, 0, v46, s[22:23]
	v_cndmask_b32_e64 v8, 0, v47, s[22:23]
	v_add_co_u32_e64 v48, s[22:23], v9, v38
	v_addc_co_u32_e64 v49, s[22:23], v8, v39, s[22:23]
	v_cndmask_b32_e64 v9, 0, v48, s[20:21]
	v_cndmask_b32_e64 v8, 0, v49, s[20:21]
	;; [unrolled: 4-line block ×11, first 2 shown]
	v_add_co_u32_e64 v68, s[0:1], v9, v28
	v_addc_co_u32_e64 v69, s[0:1], v8, v29, s[0:1]
	v_cndmask_b32_e64 v9, 0, v68, s[2:3]
	ds_read_b32 v40, v91 offset:1104
	v_cndmask_b32_e64 v8, 0, v69, s[2:3]
	v_add_co_u32_e64 v72, s[0:1], v9, v6
	v_addc_co_u32_e64 v73, s[0:1], v8, v7, s[0:1]
	ds_read_b64 v[6:7], v91 offset:1112
	v_cndmask_b32_e32 v75, 0, v73, vcc
	v_cndmask_b32_e32 v74, 0, v72, vcc
	s_waitcnt lgkmcnt(1)
	v_cmp_eq_u32_e32 vcc, 0, v40
	v_cndmask_b32_e32 v9, 0, v44, vcc
	v_cndmask_b32_e32 v8, 0, v45, vcc
	s_waitcnt lgkmcnt(0)
	v_add_co_u32_e32 v42, vcc, v9, v6
	v_addc_co_u32_e32 v43, vcc, v8, v7, vcc
	s_and_saveexec_b64 s[0:1], s[24:25]
	s_cbranch_execz .LBB1490_153
; %bb.152:
	v_mov_b32_e32 v90, 0
	v_mov_b32_e32 v6, 2
	v_pk_mov_b32 v[70:71], v[44:45], v[44:45] op_sel:[0,1]
	global_store_dword v90, v40, s[38:39] offset:1024
	global_store_dwordx2 v90, v[42:43], s[38:39] offset:1032
	s_waitcnt vmcnt(0)
	buffer_wbinvl1_vol
	global_store_byte v90, v6, s[40:41] offset:64
.LBB1490_153:
	s_or_b64 exec, exec, s[0:1]
	v_mov_b32_e32 v44, 0
.LBB1490_154:
	s_and_b64 s[0:1], s[42:43], exec
	s_cselect_b32 s1, 0, s51
	s_cselect_b32 s0, 0, s50
	s_cmp_eq_u64 s[0:1], 0
	v_pk_mov_b32 v[8:9], 0, 0
	s_barrier
	s_cbranch_scc1 .LBB1490_156
; %bb.155:
	v_mov_b32_e32 v6, 0
	global_load_dwordx2 v[8:9], v6, s[0:1]
.LBB1490_156:
	s_waitcnt vmcnt(0)
	v_lshlrev_b64 v[6:7], 1, v[8:9]
	v_mov_b32_e32 v10, s53
	v_add_co_u32_e32 v11, vcc, s52, v6
	v_mov_b32_e32 v45, 0
	v_addc_co_u32_e32 v10, vcc, v10, v7, vcc
	v_lshlrev_b64 v[6:7], 1, v[44:45]
	v_add_co_u32_e32 v32, vcc, v11, v6
	v_addc_co_u32_e32 v33, vcc, v10, v7, vcc
	v_cmp_eq_u32_e32 vcc, 0, v89
	v_cndmask_b32_e64 v6, 1, 2, vcc
	v_cmp_eq_u32_e32 vcc, 0, v88
	v_cndmask_b32_e64 v7, 1, 2, vcc
	v_cmp_eq_u32_e32 vcc, 0, v87
	v_and_b32_e32 v6, v7, v6
	v_cndmask_b32_e64 v7, 1, 2, vcc
	v_cmp_eq_u32_e32 vcc, 0, v86
	v_add_u32_e32 v31, v90, v89
	v_and_b32_e32 v6, v6, v7
	v_cndmask_b32_e64 v7, 1, 2, vcc
	v_cmp_eq_u32_e32 vcc, 0, v85
	v_add_u32_e32 v30, v31, v88
	;; [unrolled: 4-line block ×12, first 2 shown]
	v_and_b32_e32 v6, v6, v7
	v_cndmask_b32_e64 v7, 1, 2, vcc
	s_movk_i32 s30, 0x100
	v_add_u32_e32 v13, v14, v77
	v_and_b32_e32 v6, v6, v7
	v_cmp_gt_u32_e32 vcc, s30, v40
	v_add_u32_e32 v12, v13, v76
	v_cmp_ne_u32_e64 s[28:29], 0, v89
	v_cmp_ne_u32_e64 s[26:27], 0, v88
	;; [unrolled: 1-line block ×15, first 2 shown]
	s_mov_b64 s[36:37], -1
	v_cmp_gt_i16_e64 s[30:31], 2, v6
	s_cbranch_vccz .LBB1490_163
; %bb.157:
	s_and_saveexec_b64 s[36:37], s[30:31]
	s_cbranch_execz .LBB1490_162
; %bb.158:
	v_cmp_ne_u16_e32 vcc, 1, v6
	s_mov_b64 s[38:39], 0
	s_and_saveexec_b64 s[30:31], vcc
	s_xor_b64 s[30:31], exec, s[30:31]
	s_cbranch_execnz .LBB1490_207
; %bb.159:
	s_andn2_saveexec_b64 s[30:31], s[30:31]
	s_cbranch_execnz .LBB1490_223
.LBB1490_160:
	s_or_b64 exec, exec, s[30:31]
	s_and_b64 exec, exec, s[38:39]
	s_cbranch_execz .LBB1490_162
.LBB1490_161:
	v_sub_u32_e32 v10, v12, v44
	v_mov_b32_e32 v11, 0
	v_lshlrev_b64 v[10:11], 1, v[10:11]
	v_add_co_u32_e32 v10, vcc, v32, v10
	v_addc_co_u32_e32 v11, vcc, v33, v11, vcc
	global_store_short_d16_hi v[10:11], v24, off
.LBB1490_162:
	s_or_b64 exec, exec, s[36:37]
	s_mov_b64 s[36:37], 0
.LBB1490_163:
	s_and_b64 vcc, exec, s[36:37]
	s_cbranch_vccz .LBB1490_185
; %bb.164:
	v_cmp_gt_i16_e32 vcc, 2, v6
	s_and_saveexec_b64 s[30:31], vcc
	s_cbranch_execz .LBB1490_169
; %bb.165:
	v_cmp_ne_u16_e32 vcc, 1, v6
	s_mov_b64 s[38:39], 0
	s_and_saveexec_b64 s[36:37], vcc
	s_xor_b64 s[36:37], exec, s[36:37]
	s_cbranch_execnz .LBB1490_224
; %bb.166:
	s_andn2_saveexec_b64 s[0:1], s[36:37]
	s_cbranch_execnz .LBB1490_240
.LBB1490_167:
	s_or_b64 exec, exec, s[0:1]
	s_and_b64 exec, exec, s[38:39]
	s_cbranch_execz .LBB1490_169
.LBB1490_168:
	v_sub_u32_e32 v1, v12, v44
	v_lshlrev_b32_e32 v1, 1, v1
	ds_write_b16_d16_hi v1, v24
.LBB1490_169:
	s_or_b64 exec, exec, s[30:31]
	v_cmp_lt_u32_e32 vcc, v0, v40
	s_waitcnt lgkmcnt(0)
	s_barrier
	s_and_saveexec_b64 s[2:3], vcc
	s_cbranch_execz .LBB1490_184
; %bb.170:
	v_xad_u32 v1, v0, -1, v40
	s_movk_i32 s0, 0x1700
	v_cmp_gt_u32_e64 s[4:5], s0, v1
	s_movk_i32 s0, 0x16ff
	v_cmp_lt_u32_e32 vcc, s0, v1
	v_mov_b32_e32 v2, v0
	s_and_saveexec_b64 s[6:7], vcc
	s_cbranch_execz .LBB1490_181
; %bb.171:
	v_sub_u32_e32 v2, v0, v40
	v_or_b32_e32 v2, 0xff, v2
	v_cmp_ge_u32_e32 vcc, v2, v0
	s_mov_b64 s[0:1], -1
	v_mov_b32_e32 v2, v0
	s_and_saveexec_b64 s[8:9], vcc
	s_cbranch_execz .LBB1490_180
; %bb.172:
	v_lshrrev_b32_e32 v22, 8, v1
	v_add_u32_e32 v4, -3, v22
	v_or_b32_e32 v3, 0x300, v0
	v_or_b32_e32 v2, 0x200, v0
	v_lshrrev_b32_e32 v5, 2, v4
	v_or_b32_e32 v1, 0x100, v0
	v_add_u32_e32 v24, 1, v5
	v_cmp_lt_u32_e32 vcc, 11, v4
	v_pk_mov_b32 v[6:7], v[2:3], v[2:3] op_sel:[0,1]
	v_mov_b32_e32 v36, 0
	v_lshlrev_b32_e32 v23, 1, v0
	v_pk_mov_b32 v[4:5], v[0:1], v[0:1] op_sel:[0,1]
	s_and_saveexec_b64 s[10:11], vcc
	s_cbranch_execz .LBB1490_176
; %bb.173:
	v_pk_mov_b32 v[6:7], v[2:3], v[2:3] op_sel:[0,1]
	v_and_b32_e32 v34, 0x7ffffffc, v24
	s_mov_b32 s14, 0
	s_mov_b64 s[12:13], 0
	v_mov_b32_e32 v11, 0
	v_mov_b32_e32 v35, v23
	v_pk_mov_b32 v[4:5], v[0:1], v[0:1] op_sel:[0,1]
.LBB1490_174:                           ; =>This Inner Loop Header: Depth=1
	v_mov_b32_e32 v10, v4
	v_lshlrev_b64 v[104:105], 1, v[10:11]
	v_add_u32_e32 v38, 0x400, v5
	v_mov_b32_e32 v39, v11
	v_add_co_u32_e64 v104, s[0:1], v32, v104
	v_lshlrev_b64 v[38:39], 1, v[38:39]
	v_addc_co_u32_e64 v105, s[0:1], v33, v105, s[0:1]
	v_add_u32_e32 v36, 0x400, v6
	v_mov_b32_e32 v37, v11
	v_add_co_u32_e64 v38, s[0:1], v32, v38
	v_lshlrev_b64 v[106:107], 1, v[36:37]
	v_addc_co_u32_e64 v39, s[0:1], v33, v39, s[0:1]
	v_add_u32_e32 v2, 0x400, v7
	v_mov_b32_e32 v3, v11
	v_add_co_u32_e64 v106, s[0:1], v32, v106
	v_add_u32_e32 v34, -4, v34
	v_mov_b32_e32 v10, v5
	v_lshlrev_b64 v[2:3], 1, v[2:3]
	v_addc_co_u32_e64 v107, s[0:1], v33, v107, s[0:1]
	v_add_u32_e32 v96, 0x800, v5
	v_mov_b32_e32 v97, v11
	s_add_i32 s14, s14, 16
	v_cmp_eq_u32_e32 vcc, 0, v34
	v_lshlrev_b64 v[108:109], 1, v[10:11]
	v_add_co_u32_e64 v2, s[0:1], v32, v2
	v_lshlrev_b64 v[96:97], 1, v[96:97]
	v_mov_b32_e32 v10, v6
	v_addc_co_u32_e64 v3, s[0:1], v33, v3, s[0:1]
	s_or_b64 s[12:13], vcc, s[12:13]
	v_add_co_u32_e32 v108, vcc, v32, v108
	v_add_u32_e32 v94, 0x800, v6
	v_mov_b32_e32 v95, v11
	v_add_co_u32_e64 v96, s[0:1], v32, v96
	v_addc_co_u32_e32 v109, vcc, v33, v109, vcc
	v_lshlrev_b64 v[110:111], 1, v[10:11]
	v_lshlrev_b64 v[94:95], 1, v[94:95]
	v_addc_co_u32_e64 v97, s[0:1], v33, v97, s[0:1]
	v_mov_b32_e32 v10, v7
	v_add_co_u32_e32 v110, vcc, v32, v110
	ds_read_u16 v1, v35
	ds_read_u16 v41, v35 offset:512
	ds_read_u16 v91, v35 offset:1024
	;; [unrolled: 1-line block ×7, first 2 shown]
	v_add_u32_e32 v92, 0x800, v7
	v_mov_b32_e32 v93, v11
	v_add_co_u32_e64 v94, s[0:1], v32, v94
	v_addc_co_u32_e32 v111, vcc, v33, v111, vcc
	v_lshlrev_b64 v[112:113], 1, v[10:11]
	v_lshlrev_b64 v[92:93], 1, v[92:93]
	v_addc_co_u32_e64 v95, s[0:1], v33, v95, s[0:1]
	v_add_u32_e32 v10, 0x400, v4
	v_add_co_u32_e32 v112, vcc, v32, v112
	v_add_u32_e32 v102, 0xc00, v5
	v_mov_b32_e32 v103, v11
	ds_read_u16 v119, v35 offset:4096
	ds_read_u16 v120, v35 offset:4608
	;; [unrolled: 1-line block ×8, first 2 shown]
	v_add_co_u32_e64 v92, s[0:1], v32, v92
	v_addc_co_u32_e32 v113, vcc, v33, v113, vcc
	s_waitcnt lgkmcnt(14)
	global_store_short v[104:105], v1, off
	global_store_short v[108:109], v41, off
	s_waitcnt lgkmcnt(13)
	global_store_short v[110:111], v91, off
	v_lshlrev_b64 v[104:105], 1, v[10:11]
	v_lshlrev_b64 v[102:103], 1, v[102:103]
	v_addc_co_u32_e64 v93, s[0:1], v33, v93, s[0:1]
	v_add_u32_e32 v10, 0x800, v4
	v_add_co_u32_e32 v104, vcc, v32, v104
	v_add_u32_e32 v100, 0xc00, v6
	v_mov_b32_e32 v101, v11
	v_add_co_u32_e64 v102, s[0:1], v32, v102
	v_addc_co_u32_e32 v105, vcc, v33, v105, vcc
	v_lshlrev_b64 v[108:109], 1, v[10:11]
	v_lshlrev_b64 v[100:101], 1, v[100:101]
	v_addc_co_u32_e64 v103, s[0:1], v33, v103, s[0:1]
	s_waitcnt lgkmcnt(12)
	global_store_short v[112:113], v114, off
	v_add_u32_e32 v10, 0xc00, v4
	s_waitcnt lgkmcnt(11)
	global_store_short v[104:105], v115, off
	s_waitcnt lgkmcnt(10)
	global_store_short v[38:39], v116, off
	;; [unrolled: 2-line block ×4, first 2 shown]
	v_add_co_u32_e32 v2, vcc, v32, v108
	v_add_u32_e32 v98, 0xc00, v7
	v_mov_b32_e32 v99, v11
	v_add_co_u32_e64 v100, s[0:1], v32, v100
	v_addc_co_u32_e32 v3, vcc, v33, v109, vcc
	v_lshlrev_b64 v[38:39], 1, v[10:11]
	v_lshlrev_b64 v[98:99], 1, v[98:99]
	v_addc_co_u32_e64 v101, s[0:1], v33, v101, s[0:1]
	s_waitcnt lgkmcnt(7)
	global_store_short v[2:3], v119, off
	s_waitcnt lgkmcnt(6)
	global_store_short v[96:97], v120, off
	;; [unrolled: 2-line block ×4, first 2 shown]
	v_add_co_u32_e32 v2, vcc, v32, v38
	v_add_u32_e32 v35, 0x2000, v35
	v_add_u32_e32 v5, 0x1000, v5
	v_mov_b32_e32 v36, s14
	v_add_co_u32_e64 v98, s[0:1], v32, v98
	v_add_u32_e32 v6, 0x1000, v6
	v_add_u32_e32 v7, 0x1000, v7
	;; [unrolled: 1-line block ×3, first 2 shown]
	v_addc_co_u32_e32 v3, vcc, v33, v39, vcc
	v_addc_co_u32_e64 v99, s[0:1], v33, v99, s[0:1]
	s_waitcnt lgkmcnt(3)
	global_store_short v[2:3], v123, off
	s_waitcnt lgkmcnt(2)
	global_store_short v[102:103], v124, off
	s_waitcnt lgkmcnt(1)
	global_store_short v[100:101], v125, off
	s_waitcnt lgkmcnt(0)
	global_store_short v[98:99], v126, off
	s_andn2_b64 exec, exec, s[12:13]
	s_cbranch_execnz .LBB1490_174
; %bb.175:
	s_or_b64 exec, exec, s[12:13]
.LBB1490_176:
	s_or_b64 exec, exec, s[10:11]
	v_and_b32_e32 v1, 3, v24
	v_cmp_ne_u32_e32 vcc, 0, v1
	s_and_saveexec_b64 s[10:11], vcc
	s_cbranch_execz .LBB1490_179
; %bb.177:
	v_lshl_or_b32 v10, v36, 9, v23
	s_mov_b64 s[12:13], 0
	v_mov_b32_e32 v3, 0
.LBB1490_178:                           ; =>This Inner Loop Header: Depth=1
	v_mov_b32_e32 v2, v4
	v_add_u32_e32 v1, -1, v1
	v_lshlrev_b64 v[34:35], 1, v[2:3]
	v_mov_b32_e32 v2, v5
	v_cmp_eq_u32_e32 vcc, 0, v1
	v_lshlrev_b64 v[36:37], 1, v[2:3]
	ds_read_u16 v11, v10
	ds_read_u16 v23, v10 offset:512
	ds_read_u16 v24, v10 offset:1024
	;; [unrolled: 1-line block ×3, first 2 shown]
	v_mov_b32_e32 v2, v6
	s_or_b64 s[12:13], vcc, s[12:13]
	v_add_co_u32_e32 v36, vcc, v32, v36
	v_addc_co_u32_e32 v37, vcc, v33, v37, vcc
	v_lshlrev_b64 v[38:39], 1, v[2:3]
	v_mov_b32_e32 v2, v7
	v_add_co_u32_e32 v38, vcc, v32, v38
	v_add_co_u32_e64 v34, s[0:1], v32, v34
	v_addc_co_u32_e32 v39, vcc, v33, v39, vcc
	v_lshlrev_b64 v[92:93], 1, v[2:3]
	v_add_u32_e32 v4, 0x400, v4
	v_add_u32_e32 v10, 0x800, v10
	;; [unrolled: 1-line block ×3, first 2 shown]
	v_addc_co_u32_e64 v35, s[0:1], v33, v35, s[0:1]
	v_add_u32_e32 v6, 0x400, v6
	v_add_u32_e32 v7, 0x400, v7
	v_add_co_u32_e32 v92, vcc, v32, v92
	v_addc_co_u32_e32 v93, vcc, v33, v93, vcc
	s_waitcnt lgkmcnt(3)
	global_store_short v[34:35], v11, off
	s_waitcnt lgkmcnt(2)
	global_store_short v[36:37], v23, off
	;; [unrolled: 2-line block ×4, first 2 shown]
	s_andn2_b64 exec, exec, s[12:13]
	s_cbranch_execnz .LBB1490_178
.LBB1490_179:
	s_or_b64 exec, exec, s[10:11]
	v_add_u32_e32 v1, 1, v22
	v_and_b32_e32 v3, 0x1fffffc, v1
	v_cmp_ne_u32_e32 vcc, v1, v3
	v_lshl_or_b32 v2, v3, 8, v0
	s_orn2_b64 s[0:1], vcc, exec
.LBB1490_180:
	s_or_b64 exec, exec, s[8:9]
	s_andn2_b64 s[4:5], s[4:5], exec
	s_and_b64 s[0:1], s[0:1], exec
	s_or_b64 s[4:5], s[4:5], s[0:1]
.LBB1490_181:
	s_or_b64 exec, exec, s[6:7]
	s_and_b64 exec, exec, s[4:5]
	s_cbranch_execz .LBB1490_184
; %bb.182:
	v_lshlrev_b32_e32 v1, 1, v2
	s_mov_b64 s[0:1], 0
	v_mov_b32_e32 v3, 0
.LBB1490_183:                           ; =>This Inner Loop Header: Depth=1
	v_lshlrev_b64 v[4:5], 1, v[2:3]
	ds_read_u16 v6, v1
	v_add_co_u32_e32 v4, vcc, v32, v4
	v_add_u32_e32 v2, 0x100, v2
	v_addc_co_u32_e32 v5, vcc, v33, v5, vcc
	v_cmp_ge_u32_e32 vcc, v2, v40
	v_add_u32_e32 v1, 0x200, v1
	s_or_b64 s[0:1], vcc, s[0:1]
	s_waitcnt lgkmcnt(0)
	global_store_short v[4:5], v6, off
	s_andn2_b64 exec, exec, s[0:1]
	s_cbranch_execnz .LBB1490_183
.LBB1490_184:
	s_or_b64 exec, exec, s[2:3]
.LBB1490_185:
	v_add_co_u32_e32 v2, vcc, v74, v26
	s_cmpk_lg_i32 s33, 0xf00
	v_addc_co_u32_e32 v3, vcc, v75, v27, vcc
	s_cselect_b64 s[0:1], -1, 0
	v_cndmask_b32_e64 v10, 0, 1, s[46:47]
	s_and_b64 s[0:1], s[44:45], s[0:1]
	v_cmp_eq_u32_e32 vcc, 0, v0
	v_sub_u32_e32 v1, v40, v10
	v_cndmask_b32_e64 v4, 0, 1, s[0:1]
	s_and_b64 s[0:1], vcc, s[46:47]
	v_add_u32_e32 v1, v1, v4
	v_cndmask_b32_e64 v4, v89, 0, s[0:1]
	s_mul_hi_u32 s0, s33, 0x88888889
	s_lshr_b32 s0, s0, 3
	v_mad_i32_i24 v5, v0, -15, s33
	v_cmp_eq_u32_e32 vcc, s0, v0
	v_cmp_ne_u32_e64 s[0:1], 0, v5
	v_cndmask_b32_e64 v6, 1, v4, s[0:1]
	v_cmp_ne_u32_e64 s[0:1], 1, v5
	v_cndmask_b32_e64 v7, 1, v88, s[0:1]
	;; [unrolled: 2-line block ×15, first 2 shown]
	s_and_b64 vcc, s[44:45], vcc
	v_cndmask_b32_e32 v25, v25, v5, vcc
	v_cndmask_b32_e32 v39, v4, v6, vcc
	v_lshlrev_b64 v[4:5], 3, v[8:9]
	v_cndmask_b32_e32 v37, v76, v37, vcc
	v_cndmask_b32_e32 v36, v77, v36, vcc
	;; [unrolled: 1-line block ×13, first 2 shown]
	v_mov_b32_e32 v6, s55
	v_add_co_u32_e32 v7, vcc, s54, v4
	v_addc_co_u32_e32 v6, vcc, v6, v5, vcc
	v_lshlrev_b64 v[4:5], 3, v[44:45]
	v_add_co_u32_e32 v4, vcc, v7, v4
	v_addc_co_u32_e32 v5, vcc, v6, v5, vcc
	v_lshlrev_b32_e32 v6, 3, v10
	v_add_co_u32_e32 v6, vcc, v6, v4
	v_addc_co_u32_e32 v7, vcc, 0, v5, vcc
	v_add_co_u32_e32 v6, vcc, -8, v6
	v_addc_co_u32_e32 v7, vcc, -1, v7, vcc
	v_cmp_eq_u32_e32 vcc, 0, v39
	v_cmp_ne_u32_e64 s[28:29], 0, v39
	v_cndmask_b32_e64 v39, 1, 2, vcc
	v_cmp_eq_u32_e32 vcc, 0, v38
	v_cmp_ne_u32_e64 s[26:27], 0, v38
	v_cndmask_b32_e64 v38, 1, 2, vcc
	v_cmp_eq_u32_e32 vcc, 0, v11
	v_and_b32_e32 v38, v38, v39
	v_cmp_ne_u32_e64 s[24:25], 0, v11
	v_cndmask_b32_e64 v11, 1, 2, vcc
	v_cmp_eq_u32_e32 vcc, 0, v22
	v_and_b32_e32 v11, v38, v11
	;; [unrolled: 4-line block ×3, first 2 shown]
	v_cndmask_b32_e64 v22, 1, 2, vcc
	v_cmp_eq_u32_e32 vcc, 0, v24
	v_and_b32_e32 v11, v11, v22
	v_cndmask_b32_e64 v22, 1, 2, vcc
	v_cmp_eq_u32_e32 vcc, 0, v26
	v_and_b32_e32 v11, v11, v22
	;; [unrolled: 3-line block ×10, first 2 shown]
	v_cndmask_b32_e64 v22, 1, 2, vcc
	s_movk_i32 s30, 0x100
	v_and_b32_e32 v11, v11, v22
	v_cmp_gt_u32_e32 vcc, s30, v1
	v_add_u32_e32 v10, v44, v10
	v_cmp_ne_u32_e64 s[20:21], 0, v23
	v_cmp_ne_u32_e64 s[18:19], 0, v24
	;; [unrolled: 1-line block ×11, first 2 shown]
	s_mov_b64 s[36:37], -1
	v_cmp_gt_i16_e64 s[30:31], 2, v11
	s_barrier
	s_cbranch_vccz .LBB1490_192
; %bb.186:
	s_and_saveexec_b64 s[36:37], s[30:31]
	s_cbranch_execz .LBB1490_191
; %bb.187:
	v_cmp_ne_u16_e32 vcc, 1, v11
	s_mov_b64 s[38:39], 0
	s_and_saveexec_b64 s[30:31], vcc
	s_xor_b64 s[30:31], exec, s[30:31]
	s_cbranch_execnz .LBB1490_241
; %bb.188:
	s_andn2_saveexec_b64 s[30:31], s[30:31]
	s_cbranch_execnz .LBB1490_257
.LBB1490_189:
	s_or_b64 exec, exec, s[30:31]
	s_and_b64 exec, exec, s[38:39]
	s_cbranch_execz .LBB1490_191
.LBB1490_190:
	v_sub_u32_e32 v22, v12, v10
	v_mov_b32_e32 v23, 0
	v_lshlrev_b64 v[22:23], 3, v[22:23]
	v_add_co_u32_e32 v22, vcc, v6, v22
	v_addc_co_u32_e32 v23, vcc, v7, v23, vcc
	global_store_dwordx2 v[22:23], v[2:3], off
.LBB1490_191:
	s_or_b64 exec, exec, s[36:37]
	s_mov_b64 s[36:37], 0
.LBB1490_192:
	s_and_b64 vcc, exec, s[36:37]
	s_cbranch_vccz .LBB1490_202
; %bb.193:
	v_cmp_gt_i16_e32 vcc, 2, v11
	s_and_saveexec_b64 s[30:31], vcc
	s_cbranch_execz .LBB1490_198
; %bb.194:
	v_cmp_ne_u16_e32 vcc, 1, v11
	s_mov_b64 s[38:39], 0
	s_and_saveexec_b64 s[36:37], vcc
	s_xor_b64 s[36:37], exec, s[36:37]
	s_cbranch_execnz .LBB1490_258
; %bb.195:
	s_andn2_saveexec_b64 s[0:1], s[36:37]
	s_cbranch_execnz .LBB1490_274
.LBB1490_196:
	s_or_b64 exec, exec, s[0:1]
	s_and_b64 exec, exec, s[38:39]
	s_cbranch_execz .LBB1490_198
.LBB1490_197:
	v_sub_u32_e32 v10, v12, v10
	v_lshlrev_b32_e32 v10, 3, v10
	ds_write_b64 v10, v[2:3]
.LBB1490_198:
	s_or_b64 exec, exec, s[30:31]
	v_cmp_lt_u32_e32 vcc, v0, v1
	s_waitcnt lgkmcnt(0)
	s_barrier
	s_and_saveexec_b64 s[0:1], vcc
	s_cbranch_execz .LBB1490_201
; %bb.199:
	v_lshlrev_b32_e32 v10, 3, v0
	s_mov_b64 s[2:3], 0
	v_mov_b32_e32 v3, 0
	v_mov_b32_e32 v2, v0
.LBB1490_200:                           ; =>This Inner Loop Header: Depth=1
	v_lshlrev_b64 v[12:13], 3, v[2:3]
	ds_read_b64 v[14:15], v10
	v_add_co_u32_e32 v12, vcc, v6, v12
	v_add_u32_e32 v2, 0x100, v2
	v_addc_co_u32_e32 v13, vcc, v7, v13, vcc
	v_cmp_ge_u32_e32 vcc, v2, v1
	v_add_u32_e32 v10, 0x800, v10
	s_or_b64 s[2:3], vcc, s[2:3]
	s_waitcnt lgkmcnt(0)
	global_store_dwordx2 v[12:13], v[14:15], off
	s_andn2_b64 exec, exec, s[2:3]
	s_cbranch_execnz .LBB1490_200
.LBB1490_201:
	s_or_b64 exec, exec, s[0:1]
.LBB1490_202:
	s_movk_i32 s0, 0xff
	v_cmp_eq_u32_e32 vcc, s0, v0
	s_and_b64 s[0:1], vcc, s[44:45]
	s_and_saveexec_b64 s[2:3], s[0:1]
	s_cbranch_execz .LBB1490_205
; %bb.203:
	v_add_co_u32_e32 v0, vcc, v40, v44
	v_addc_co_u32_e64 v1, s[0:1], 0, 0, vcc
	v_add_co_u32_e32 v0, vcc, v0, v8
	v_mov_b32_e32 v41, 0
	v_addc_co_u32_e32 v1, vcc, v1, v9, vcc
	s_cmpk_lg_i32 s33, 0xf00
	global_store_dwordx2 v41, v[0:1], s[34:35]
	s_cbranch_scc1 .LBB1490_205
; %bb.204:
	v_lshlrev_b64 v[0:1], 3, v[40:41]
	v_add_co_u32_e32 v0, vcc, v4, v0
	v_addc_co_u32_e32 v1, vcc, v5, v1, vcc
	global_store_dwordx2 v[0:1], v[42:43], off offset:-8
.LBB1490_205:
	s_endpgm
.LBB1490_206:
	s_or_b64 exec, exec, s[4:5]
	v_mov_b32_e32 v89, s7
	s_and_saveexec_b64 s[4:5], s[2:3]
	s_cbranch_execnz .LBB1490_54
	s_branch .LBB1490_55
.LBB1490_207:
	s_and_saveexec_b64 s[38:39], s[28:29]
	s_cbranch_execnz .LBB1490_275
; %bb.208:
	s_or_b64 exec, exec, s[38:39]
	s_and_saveexec_b64 s[38:39], s[26:27]
	s_cbranch_execnz .LBB1490_276
.LBB1490_209:
	s_or_b64 exec, exec, s[38:39]
	s_and_saveexec_b64 s[38:39], s[24:25]
	s_cbranch_execnz .LBB1490_277
.LBB1490_210:
	s_or_b64 exec, exec, s[38:39]
	s_and_saveexec_b64 s[38:39], s[22:23]
	s_cbranch_execnz .LBB1490_278
.LBB1490_211:
	s_or_b64 exec, exec, s[38:39]
	s_and_saveexec_b64 s[38:39], s[20:21]
	s_cbranch_execnz .LBB1490_279
.LBB1490_212:
	s_or_b64 exec, exec, s[38:39]
	s_and_saveexec_b64 s[38:39], s[18:19]
	s_cbranch_execnz .LBB1490_280
.LBB1490_213:
	s_or_b64 exec, exec, s[38:39]
	s_and_saveexec_b64 s[38:39], s[16:17]
	s_cbranch_execnz .LBB1490_281
.LBB1490_214:
	s_or_b64 exec, exec, s[38:39]
	s_and_saveexec_b64 s[38:39], s[14:15]
	s_cbranch_execnz .LBB1490_282
.LBB1490_215:
	s_or_b64 exec, exec, s[38:39]
	s_and_saveexec_b64 s[38:39], s[12:13]
	s_cbranch_execnz .LBB1490_283
.LBB1490_216:
	s_or_b64 exec, exec, s[38:39]
	s_and_saveexec_b64 s[38:39], s[10:11]
	s_cbranch_execnz .LBB1490_284
.LBB1490_217:
	s_or_b64 exec, exec, s[38:39]
	s_and_saveexec_b64 s[38:39], s[8:9]
	s_cbranch_execnz .LBB1490_285
.LBB1490_218:
	s_or_b64 exec, exec, s[38:39]
	s_and_saveexec_b64 s[38:39], s[6:7]
	s_cbranch_execnz .LBB1490_286
.LBB1490_219:
	s_or_b64 exec, exec, s[38:39]
	s_and_saveexec_b64 s[38:39], s[4:5]
	s_cbranch_execnz .LBB1490_287
.LBB1490_220:
	s_or_b64 exec, exec, s[38:39]
	s_and_saveexec_b64 s[38:39], s[2:3]
	s_cbranch_execz .LBB1490_222
.LBB1490_221:
	v_sub_u32_e32 v10, v13, v44
	v_mov_b32_e32 v11, 0
	v_lshlrev_b64 v[10:11], 1, v[10:11]
	v_add_co_u32_e32 v10, vcc, v32, v10
	v_addc_co_u32_e32 v11, vcc, v33, v11, vcc
	global_store_short v[10:11], v24, off
.LBB1490_222:
	s_or_b64 exec, exec, s[38:39]
	s_and_b64 s[38:39], s[0:1], exec
	s_andn2_saveexec_b64 s[30:31], s[30:31]
	s_cbranch_execz .LBB1490_160
.LBB1490_223:
	v_sub_u32_e32 v10, v90, v44
	v_mov_b32_e32 v11, 0
	v_lshlrev_b64 v[34:35], 1, v[10:11]
	v_add_co_u32_e32 v34, vcc, v32, v34
	v_addc_co_u32_e32 v35, vcc, v33, v35, vcc
	v_sub_u32_e32 v10, v31, v44
	global_store_short v[34:35], v1, off
	v_lshlrev_b64 v[34:35], 1, v[10:11]
	v_add_co_u32_e32 v34, vcc, v32, v34
	v_addc_co_u32_e32 v35, vcc, v33, v35, vcc
	v_sub_u32_e32 v10, v30, v44
	global_store_short v[34:35], v2, off
	v_lshlrev_b64 v[34:35], 1, v[10:11]
	v_add_co_u32_e32 v34, vcc, v32, v34
	v_addc_co_u32_e32 v35, vcc, v33, v35, vcc
	v_sub_u32_e32 v10, v29, v44
	global_store_short_d16_hi v[34:35], v2, off
	v_lshlrev_b64 v[34:35], 1, v[10:11]
	v_add_co_u32_e32 v34, vcc, v32, v34
	v_addc_co_u32_e32 v35, vcc, v33, v35, vcc
	v_sub_u32_e32 v10, v28, v44
	global_store_short v[34:35], v3, off
	v_lshlrev_b64 v[34:35], 1, v[10:11]
	v_add_co_u32_e32 v34, vcc, v32, v34
	v_addc_co_u32_e32 v35, vcc, v33, v35, vcc
	v_sub_u32_e32 v10, v21, v44
	global_store_short_d16_hi v[34:35], v3, off
	;; [unrolled: 10-line block ×5, first 2 shown]
	v_lshlrev_b64 v[34:35], 1, v[10:11]
	v_add_co_u32_e32 v34, vcc, v32, v34
	v_addc_co_u32_e32 v35, vcc, v33, v35, vcc
	v_sub_u32_e32 v10, v14, v44
	global_store_short v[34:35], v23, off
	v_lshlrev_b64 v[34:35], 1, v[10:11]
	v_add_co_u32_e32 v34, vcc, v32, v34
	v_sub_u32_e32 v10, v13, v44
	v_addc_co_u32_e32 v35, vcc, v33, v35, vcc
	v_lshlrev_b64 v[10:11], 1, v[10:11]
	v_add_co_u32_e32 v10, vcc, v32, v10
	v_addc_co_u32_e32 v11, vcc, v33, v11, vcc
	s_or_b64 s[38:39], s[38:39], exec
	global_store_short_d16_hi v[34:35], v23, off
	global_store_short v[10:11], v24, off
	s_or_b64 exec, exec, s[30:31]
	s_and_b64 exec, exec, s[38:39]
	s_cbranch_execnz .LBB1490_161
	s_branch .LBB1490_162
.LBB1490_224:
	s_and_saveexec_b64 s[38:39], s[28:29]
	s_cbranch_execnz .LBB1490_288
; %bb.225:
	s_or_b64 exec, exec, s[38:39]
	s_and_saveexec_b64 s[28:29], s[26:27]
	s_cbranch_execnz .LBB1490_289
.LBB1490_226:
	s_or_b64 exec, exec, s[28:29]
	s_and_saveexec_b64 s[26:27], s[24:25]
	s_cbranch_execnz .LBB1490_290
.LBB1490_227:
	s_or_b64 exec, exec, s[26:27]
	s_and_saveexec_b64 s[24:25], s[22:23]
	s_cbranch_execnz .LBB1490_291
.LBB1490_228:
	s_or_b64 exec, exec, s[24:25]
	s_and_saveexec_b64 s[22:23], s[20:21]
	s_cbranch_execnz .LBB1490_292
.LBB1490_229:
	s_or_b64 exec, exec, s[22:23]
	s_and_saveexec_b64 s[20:21], s[18:19]
	s_cbranch_execnz .LBB1490_293
.LBB1490_230:
	s_or_b64 exec, exec, s[20:21]
	s_and_saveexec_b64 s[18:19], s[16:17]
	s_cbranch_execnz .LBB1490_294
.LBB1490_231:
	s_or_b64 exec, exec, s[18:19]
	s_and_saveexec_b64 s[16:17], s[14:15]
	s_cbranch_execnz .LBB1490_295
.LBB1490_232:
	s_or_b64 exec, exec, s[16:17]
	s_and_saveexec_b64 s[14:15], s[12:13]
	s_cbranch_execnz .LBB1490_296
.LBB1490_233:
	s_or_b64 exec, exec, s[14:15]
	s_and_saveexec_b64 s[12:13], s[10:11]
	s_cbranch_execnz .LBB1490_297
.LBB1490_234:
	s_or_b64 exec, exec, s[12:13]
	s_and_saveexec_b64 s[10:11], s[8:9]
	s_cbranch_execnz .LBB1490_298
.LBB1490_235:
	s_or_b64 exec, exec, s[10:11]
	s_and_saveexec_b64 s[8:9], s[6:7]
	s_cbranch_execnz .LBB1490_299
.LBB1490_236:
	s_or_b64 exec, exec, s[8:9]
	s_and_saveexec_b64 s[6:7], s[4:5]
	s_cbranch_execnz .LBB1490_300
.LBB1490_237:
	s_or_b64 exec, exec, s[6:7]
	s_and_saveexec_b64 s[4:5], s[2:3]
	s_cbranch_execz .LBB1490_239
.LBB1490_238:
	v_sub_u32_e32 v1, v13, v44
	v_lshlrev_b32_e32 v1, 1, v1
	ds_write_b16 v1, v24
.LBB1490_239:
	s_or_b64 exec, exec, s[4:5]
	s_and_b64 s[38:39], s[0:1], exec
                                        ; implicit-def: $vgpr1
                                        ; implicit-def: $vgpr2
	s_andn2_saveexec_b64 s[0:1], s[36:37]
	s_cbranch_execz .LBB1490_167
.LBB1490_240:
	v_sub_u32_e32 v6, v90, v44
	v_lshlrev_b32_e32 v6, 1, v6
	ds_write_b16 v6, v1
	v_sub_u32_e32 v1, v31, v44
	v_lshlrev_b32_e32 v1, 1, v1
	ds_write_b16 v1, v2
	v_sub_u32_e32 v1, v30, v44
	v_lshlrev_b32_e32 v1, 1, v1
	ds_write_b16_d16_hi v1, v2
	v_sub_u32_e32 v1, v29, v44
	v_lshlrev_b32_e32 v1, 1, v1
	ds_write_b16 v1, v3
	v_sub_u32_e32 v1, v28, v44
	v_lshlrev_b32_e32 v1, 1, v1
	ds_write_b16_d16_hi v1, v3
	;; [unrolled: 6-line block ×6, first 2 shown]
	v_sub_u32_e32 v1, v13, v44
	v_lshlrev_b32_e32 v1, 1, v1
	s_or_b64 s[38:39], s[38:39], exec
	ds_write_b16 v1, v24
	s_or_b64 exec, exec, s[0:1]
	s_and_b64 exec, exec, s[38:39]
	s_cbranch_execnz .LBB1490_168
	s_branch .LBB1490_169
.LBB1490_241:
	s_and_saveexec_b64 s[38:39], s[28:29]
	s_cbranch_execnz .LBB1490_301
; %bb.242:
	s_or_b64 exec, exec, s[38:39]
	s_and_saveexec_b64 s[38:39], s[26:27]
	s_cbranch_execnz .LBB1490_302
.LBB1490_243:
	s_or_b64 exec, exec, s[38:39]
	s_and_saveexec_b64 s[38:39], s[24:25]
	s_cbranch_execnz .LBB1490_303
.LBB1490_244:
	s_or_b64 exec, exec, s[38:39]
	s_and_saveexec_b64 s[38:39], s[22:23]
	s_cbranch_execnz .LBB1490_304
.LBB1490_245:
	s_or_b64 exec, exec, s[38:39]
	s_and_saveexec_b64 s[38:39], s[20:21]
	s_cbranch_execnz .LBB1490_305
.LBB1490_246:
	s_or_b64 exec, exec, s[38:39]
	s_and_saveexec_b64 s[38:39], s[18:19]
	s_cbranch_execnz .LBB1490_306
.LBB1490_247:
	s_or_b64 exec, exec, s[38:39]
	s_and_saveexec_b64 s[38:39], s[16:17]
	s_cbranch_execnz .LBB1490_307
.LBB1490_248:
	s_or_b64 exec, exec, s[38:39]
	s_and_saveexec_b64 s[38:39], s[14:15]
	s_cbranch_execnz .LBB1490_308
.LBB1490_249:
	s_or_b64 exec, exec, s[38:39]
	s_and_saveexec_b64 s[38:39], s[12:13]
	s_cbranch_execnz .LBB1490_309
.LBB1490_250:
	s_or_b64 exec, exec, s[38:39]
	s_and_saveexec_b64 s[38:39], s[10:11]
	s_cbranch_execnz .LBB1490_310
.LBB1490_251:
	s_or_b64 exec, exec, s[38:39]
	s_and_saveexec_b64 s[38:39], s[8:9]
	s_cbranch_execnz .LBB1490_311
.LBB1490_252:
	s_or_b64 exec, exec, s[38:39]
	s_and_saveexec_b64 s[38:39], s[6:7]
	s_cbranch_execnz .LBB1490_312
.LBB1490_253:
	s_or_b64 exec, exec, s[38:39]
	s_and_saveexec_b64 s[38:39], s[4:5]
	s_cbranch_execnz .LBB1490_313
.LBB1490_254:
	s_or_b64 exec, exec, s[38:39]
	s_and_saveexec_b64 s[38:39], s[2:3]
	s_cbranch_execz .LBB1490_256
.LBB1490_255:
	v_sub_u32_e32 v22, v13, v10
	v_mov_b32_e32 v23, 0
	v_lshlrev_b64 v[22:23], 3, v[22:23]
	v_add_co_u32_e32 v22, vcc, v6, v22
	v_addc_co_u32_e32 v23, vcc, v7, v23, vcc
	global_store_dwordx2 v[22:23], v[72:73], off
.LBB1490_256:
	s_or_b64 exec, exec, s[38:39]
	s_and_b64 s[38:39], s[0:1], exec
	s_andn2_saveexec_b64 s[30:31], s[30:31]
	s_cbranch_execz .LBB1490_189
.LBB1490_257:
	v_sub_u32_e32 v22, v90, v10
	v_mov_b32_e32 v23, 0
	v_lshlrev_b64 v[24:25], 3, v[22:23]
	v_add_co_u32_e32 v24, vcc, v6, v24
	v_addc_co_u32_e32 v25, vcc, v7, v25, vcc
	v_sub_u32_e32 v22, v31, v10
	global_store_dwordx2 v[24:25], v[70:71], off
	v_lshlrev_b64 v[24:25], 3, v[22:23]
	v_add_co_u32_e32 v24, vcc, v6, v24
	v_addc_co_u32_e32 v25, vcc, v7, v25, vcc
	v_sub_u32_e32 v22, v30, v10
	global_store_dwordx2 v[24:25], v[46:47], off
	;; [unrolled: 5-line block ×12, first 2 shown]
	v_lshlrev_b64 v[24:25], 3, v[22:23]
	v_add_co_u32_e32 v24, vcc, v6, v24
	v_sub_u32_e32 v22, v13, v10
	v_addc_co_u32_e32 v25, vcc, v7, v25, vcc
	v_lshlrev_b64 v[22:23], 3, v[22:23]
	v_add_co_u32_e32 v22, vcc, v6, v22
	v_addc_co_u32_e32 v23, vcc, v7, v23, vcc
	s_or_b64 s[38:39], s[38:39], exec
	global_store_dwordx2 v[24:25], v[68:69], off
	global_store_dwordx2 v[22:23], v[72:73], off
	s_or_b64 exec, exec, s[30:31]
	s_and_b64 exec, exec, s[38:39]
	s_cbranch_execnz .LBB1490_190
	s_branch .LBB1490_191
.LBB1490_258:
	s_and_saveexec_b64 s[38:39], s[28:29]
	s_cbranch_execnz .LBB1490_314
; %bb.259:
	s_or_b64 exec, exec, s[38:39]
	s_and_saveexec_b64 s[28:29], s[26:27]
	s_cbranch_execnz .LBB1490_315
.LBB1490_260:
	s_or_b64 exec, exec, s[28:29]
	s_and_saveexec_b64 s[26:27], s[24:25]
	s_cbranch_execnz .LBB1490_316
.LBB1490_261:
	s_or_b64 exec, exec, s[26:27]
	s_and_saveexec_b64 s[24:25], s[22:23]
	s_cbranch_execnz .LBB1490_317
.LBB1490_262:
	s_or_b64 exec, exec, s[24:25]
	s_and_saveexec_b64 s[22:23], s[20:21]
	s_cbranch_execnz .LBB1490_318
.LBB1490_263:
	s_or_b64 exec, exec, s[22:23]
	s_and_saveexec_b64 s[20:21], s[18:19]
	s_cbranch_execnz .LBB1490_319
.LBB1490_264:
	s_or_b64 exec, exec, s[20:21]
	s_and_saveexec_b64 s[18:19], s[16:17]
	s_cbranch_execnz .LBB1490_320
.LBB1490_265:
	s_or_b64 exec, exec, s[18:19]
	s_and_saveexec_b64 s[16:17], s[14:15]
	s_cbranch_execnz .LBB1490_321
.LBB1490_266:
	s_or_b64 exec, exec, s[16:17]
	s_and_saveexec_b64 s[14:15], s[12:13]
	s_cbranch_execnz .LBB1490_322
.LBB1490_267:
	s_or_b64 exec, exec, s[14:15]
	s_and_saveexec_b64 s[12:13], s[10:11]
	s_cbranch_execnz .LBB1490_323
.LBB1490_268:
	s_or_b64 exec, exec, s[12:13]
	s_and_saveexec_b64 s[10:11], s[8:9]
	s_cbranch_execnz .LBB1490_324
.LBB1490_269:
	s_or_b64 exec, exec, s[10:11]
	s_and_saveexec_b64 s[8:9], s[6:7]
	s_cbranch_execnz .LBB1490_325
.LBB1490_270:
	s_or_b64 exec, exec, s[8:9]
	s_and_saveexec_b64 s[6:7], s[4:5]
	s_cbranch_execnz .LBB1490_326
.LBB1490_271:
	s_or_b64 exec, exec, s[6:7]
	s_and_saveexec_b64 s[4:5], s[2:3]
	s_cbranch_execz .LBB1490_273
.LBB1490_272:
	v_sub_u32_e32 v11, v13, v10
	v_lshlrev_b32_e32 v11, 3, v11
	ds_write_b64 v11, v[72:73]
.LBB1490_273:
	s_or_b64 exec, exec, s[4:5]
	s_and_b64 s[38:39], s[0:1], exec
                                        ; implicit-def: $vgpr70_vgpr71
                                        ; implicit-def: $vgpr46_vgpr47
                                        ; implicit-def: $vgpr48_vgpr49
                                        ; implicit-def: $vgpr50_vgpr51
                                        ; implicit-def: $vgpr52_vgpr53
                                        ; implicit-def: $vgpr54_vgpr55
                                        ; implicit-def: $vgpr56_vgpr57
                                        ; implicit-def: $vgpr58_vgpr59
                                        ; implicit-def: $vgpr60_vgpr61
                                        ; implicit-def: $vgpr62_vgpr63
                                        ; implicit-def: $vgpr64_vgpr65
                                        ; implicit-def: $vgpr66_vgpr67
                                        ; implicit-def: $vgpr68_vgpr69
                                        ; implicit-def: $vgpr72_vgpr73
                                        ; implicit-def: $vgpr90
                                        ; implicit-def: $vgpr31
                                        ; implicit-def: $vgpr30
                                        ; implicit-def: $vgpr29
                                        ; implicit-def: $vgpr28
                                        ; implicit-def: $vgpr21
                                        ; implicit-def: $vgpr20
                                        ; implicit-def: $vgpr19
                                        ; implicit-def: $vgpr18
                                        ; implicit-def: $vgpr17
                                        ; implicit-def: $vgpr16
                                        ; implicit-def: $vgpr15
                                        ; implicit-def: $vgpr14
                                        ; implicit-def: $vgpr13
	s_andn2_saveexec_b64 s[0:1], s[36:37]
	s_cbranch_execz .LBB1490_196
.LBB1490_274:
	v_sub_u32_e32 v11, v90, v10
	v_lshlrev_b32_e32 v11, 3, v11
	ds_write_b64 v11, v[70:71]
	v_sub_u32_e32 v11, v31, v10
	v_lshlrev_b32_e32 v11, 3, v11
	ds_write_b64 v11, v[46:47]
	;; [unrolled: 3-line block ×13, first 2 shown]
	v_sub_u32_e32 v11, v13, v10
	v_lshlrev_b32_e32 v11, 3, v11
	s_or_b64 s[38:39], s[38:39], exec
	ds_write_b64 v11, v[72:73]
	s_or_b64 exec, exec, s[0:1]
	s_and_b64 exec, exec, s[38:39]
	s_cbranch_execnz .LBB1490_197
	s_branch .LBB1490_198
.LBB1490_275:
	v_sub_u32_e32 v10, v90, v44
	v_mov_b32_e32 v11, 0
	v_lshlrev_b64 v[10:11], 1, v[10:11]
	v_add_co_u32_e32 v10, vcc, v32, v10
	v_addc_co_u32_e32 v11, vcc, v33, v11, vcc
	global_store_short v[10:11], v1, off
	s_or_b64 exec, exec, s[38:39]
	s_and_saveexec_b64 s[38:39], s[26:27]
	s_cbranch_execz .LBB1490_209
.LBB1490_276:
	v_sub_u32_e32 v10, v31, v44
	v_mov_b32_e32 v11, 0
	v_lshlrev_b64 v[10:11], 1, v[10:11]
	v_add_co_u32_e32 v10, vcc, v32, v10
	v_addc_co_u32_e32 v11, vcc, v33, v11, vcc
	global_store_short v[10:11], v2, off
	s_or_b64 exec, exec, s[38:39]
	s_and_saveexec_b64 s[38:39], s[24:25]
	s_cbranch_execz .LBB1490_210
.LBB1490_277:
	v_sub_u32_e32 v10, v30, v44
	v_mov_b32_e32 v11, 0
	v_lshlrev_b64 v[10:11], 1, v[10:11]
	v_add_co_u32_e32 v10, vcc, v32, v10
	v_addc_co_u32_e32 v11, vcc, v33, v11, vcc
	global_store_short_d16_hi v[10:11], v2, off
	s_or_b64 exec, exec, s[38:39]
	s_and_saveexec_b64 s[38:39], s[22:23]
	s_cbranch_execz .LBB1490_211
.LBB1490_278:
	v_sub_u32_e32 v10, v29, v44
	v_mov_b32_e32 v11, 0
	v_lshlrev_b64 v[10:11], 1, v[10:11]
	v_add_co_u32_e32 v10, vcc, v32, v10
	v_addc_co_u32_e32 v11, vcc, v33, v11, vcc
	global_store_short v[10:11], v3, off
	s_or_b64 exec, exec, s[38:39]
	s_and_saveexec_b64 s[38:39], s[20:21]
	s_cbranch_execz .LBB1490_212
.LBB1490_279:
	v_sub_u32_e32 v10, v28, v44
	v_mov_b32_e32 v11, 0
	v_lshlrev_b64 v[10:11], 1, v[10:11]
	v_add_co_u32_e32 v10, vcc, v32, v10
	v_addc_co_u32_e32 v11, vcc, v33, v11, vcc
	global_store_short_d16_hi v[10:11], v3, off
	s_or_b64 exec, exec, s[38:39]
	s_and_saveexec_b64 s[38:39], s[18:19]
	s_cbranch_execz .LBB1490_213
.LBB1490_280:
	v_sub_u32_e32 v10, v21, v44
	v_mov_b32_e32 v11, 0
	v_lshlrev_b64 v[10:11], 1, v[10:11]
	v_add_co_u32_e32 v10, vcc, v32, v10
	v_addc_co_u32_e32 v11, vcc, v33, v11, vcc
	global_store_short v[10:11], v4, off
	s_or_b64 exec, exec, s[38:39]
	s_and_saveexec_b64 s[38:39], s[16:17]
	s_cbranch_execz .LBB1490_214
.LBB1490_281:
	v_sub_u32_e32 v10, v20, v44
	v_mov_b32_e32 v11, 0
	v_lshlrev_b64 v[10:11], 1, v[10:11]
	v_add_co_u32_e32 v10, vcc, v32, v10
	v_addc_co_u32_e32 v11, vcc, v33, v11, vcc
	global_store_short_d16_hi v[10:11], v4, off
	s_or_b64 exec, exec, s[38:39]
	s_and_saveexec_b64 s[38:39], s[14:15]
	s_cbranch_execz .LBB1490_215
.LBB1490_282:
	v_sub_u32_e32 v10, v19, v44
	v_mov_b32_e32 v11, 0
	v_lshlrev_b64 v[10:11], 1, v[10:11]
	v_add_co_u32_e32 v10, vcc, v32, v10
	v_addc_co_u32_e32 v11, vcc, v33, v11, vcc
	global_store_short v[10:11], v5, off
	s_or_b64 exec, exec, s[38:39]
	s_and_saveexec_b64 s[38:39], s[12:13]
	s_cbranch_execz .LBB1490_216
.LBB1490_283:
	v_sub_u32_e32 v10, v18, v44
	v_mov_b32_e32 v11, 0
	v_lshlrev_b64 v[10:11], 1, v[10:11]
	v_add_co_u32_e32 v10, vcc, v32, v10
	v_addc_co_u32_e32 v11, vcc, v33, v11, vcc
	global_store_short_d16_hi v[10:11], v5, off
	s_or_b64 exec, exec, s[38:39]
	s_and_saveexec_b64 s[38:39], s[10:11]
	s_cbranch_execz .LBB1490_217
.LBB1490_284:
	v_sub_u32_e32 v10, v17, v44
	v_mov_b32_e32 v11, 0
	v_lshlrev_b64 v[10:11], 1, v[10:11]
	v_add_co_u32_e32 v10, vcc, v32, v10
	v_addc_co_u32_e32 v11, vcc, v33, v11, vcc
	global_store_short v[10:11], v22, off
	s_or_b64 exec, exec, s[38:39]
	s_and_saveexec_b64 s[38:39], s[8:9]
	s_cbranch_execz .LBB1490_218
.LBB1490_285:
	v_sub_u32_e32 v10, v16, v44
	v_mov_b32_e32 v11, 0
	v_lshlrev_b64 v[10:11], 1, v[10:11]
	v_add_co_u32_e32 v10, vcc, v32, v10
	v_addc_co_u32_e32 v11, vcc, v33, v11, vcc
	global_store_short_d16_hi v[10:11], v22, off
	s_or_b64 exec, exec, s[38:39]
	s_and_saveexec_b64 s[38:39], s[6:7]
	s_cbranch_execz .LBB1490_219
.LBB1490_286:
	v_sub_u32_e32 v10, v15, v44
	v_mov_b32_e32 v11, 0
	v_lshlrev_b64 v[10:11], 1, v[10:11]
	v_add_co_u32_e32 v10, vcc, v32, v10
	v_addc_co_u32_e32 v11, vcc, v33, v11, vcc
	global_store_short v[10:11], v23, off
	s_or_b64 exec, exec, s[38:39]
	s_and_saveexec_b64 s[38:39], s[4:5]
	s_cbranch_execz .LBB1490_220
.LBB1490_287:
	v_sub_u32_e32 v10, v14, v44
	v_mov_b32_e32 v11, 0
	v_lshlrev_b64 v[10:11], 1, v[10:11]
	v_add_co_u32_e32 v10, vcc, v32, v10
	v_addc_co_u32_e32 v11, vcc, v33, v11, vcc
	global_store_short_d16_hi v[10:11], v23, off
	s_or_b64 exec, exec, s[38:39]
	s_and_saveexec_b64 s[38:39], s[2:3]
	s_cbranch_execnz .LBB1490_221
	s_branch .LBB1490_222
.LBB1490_288:
	v_sub_u32_e32 v6, v90, v44
	v_lshlrev_b32_e32 v6, 1, v6
	ds_write_b16 v6, v1
	s_or_b64 exec, exec, s[38:39]
	s_and_saveexec_b64 s[28:29], s[26:27]
	s_cbranch_execz .LBB1490_226
.LBB1490_289:
	v_sub_u32_e32 v1, v31, v44
	v_lshlrev_b32_e32 v1, 1, v1
	ds_write_b16 v1, v2
	s_or_b64 exec, exec, s[28:29]
	s_and_saveexec_b64 s[26:27], s[24:25]
	s_cbranch_execz .LBB1490_227
.LBB1490_290:
	v_sub_u32_e32 v1, v30, v44
	v_lshlrev_b32_e32 v1, 1, v1
	ds_write_b16_d16_hi v1, v2
	s_or_b64 exec, exec, s[26:27]
	s_and_saveexec_b64 s[24:25], s[22:23]
	s_cbranch_execz .LBB1490_228
.LBB1490_291:
	v_sub_u32_e32 v1, v29, v44
	v_lshlrev_b32_e32 v1, 1, v1
	ds_write_b16 v1, v3
	s_or_b64 exec, exec, s[24:25]
	s_and_saveexec_b64 s[22:23], s[20:21]
	s_cbranch_execz .LBB1490_229
.LBB1490_292:
	v_sub_u32_e32 v1, v28, v44
	v_lshlrev_b32_e32 v1, 1, v1
	ds_write_b16_d16_hi v1, v3
	s_or_b64 exec, exec, s[22:23]
	s_and_saveexec_b64 s[20:21], s[18:19]
	s_cbranch_execz .LBB1490_230
.LBB1490_293:
	v_sub_u32_e32 v1, v21, v44
	v_lshlrev_b32_e32 v1, 1, v1
	ds_write_b16 v1, v4
	s_or_b64 exec, exec, s[20:21]
	s_and_saveexec_b64 s[18:19], s[16:17]
	s_cbranch_execz .LBB1490_231
.LBB1490_294:
	v_sub_u32_e32 v1, v20, v44
	v_lshlrev_b32_e32 v1, 1, v1
	ds_write_b16_d16_hi v1, v4
	s_or_b64 exec, exec, s[18:19]
	s_and_saveexec_b64 s[16:17], s[14:15]
	s_cbranch_execz .LBB1490_232
.LBB1490_295:
	v_sub_u32_e32 v1, v19, v44
	v_lshlrev_b32_e32 v1, 1, v1
	ds_write_b16 v1, v5
	s_or_b64 exec, exec, s[16:17]
	s_and_saveexec_b64 s[14:15], s[12:13]
	s_cbranch_execz .LBB1490_233
.LBB1490_296:
	v_sub_u32_e32 v1, v18, v44
	v_lshlrev_b32_e32 v1, 1, v1
	ds_write_b16_d16_hi v1, v5
	s_or_b64 exec, exec, s[14:15]
	s_and_saveexec_b64 s[12:13], s[10:11]
	s_cbranch_execz .LBB1490_234
.LBB1490_297:
	v_sub_u32_e32 v1, v17, v44
	v_lshlrev_b32_e32 v1, 1, v1
	ds_write_b16 v1, v22
	s_or_b64 exec, exec, s[12:13]
	s_and_saveexec_b64 s[10:11], s[8:9]
	s_cbranch_execz .LBB1490_235
.LBB1490_298:
	v_sub_u32_e32 v1, v16, v44
	v_lshlrev_b32_e32 v1, 1, v1
	ds_write_b16_d16_hi v1, v22
	s_or_b64 exec, exec, s[10:11]
	s_and_saveexec_b64 s[8:9], s[6:7]
	s_cbranch_execz .LBB1490_236
.LBB1490_299:
	v_sub_u32_e32 v1, v15, v44
	v_lshlrev_b32_e32 v1, 1, v1
	ds_write_b16 v1, v23
	s_or_b64 exec, exec, s[8:9]
	s_and_saveexec_b64 s[6:7], s[4:5]
	s_cbranch_execz .LBB1490_237
.LBB1490_300:
	v_sub_u32_e32 v1, v14, v44
	v_lshlrev_b32_e32 v1, 1, v1
	ds_write_b16_d16_hi v1, v23
	s_or_b64 exec, exec, s[6:7]
	s_and_saveexec_b64 s[4:5], s[2:3]
	s_cbranch_execnz .LBB1490_238
	s_branch .LBB1490_239
.LBB1490_301:
	v_sub_u32_e32 v22, v90, v10
	v_mov_b32_e32 v23, 0
	v_lshlrev_b64 v[22:23], 3, v[22:23]
	v_add_co_u32_e32 v22, vcc, v6, v22
	v_addc_co_u32_e32 v23, vcc, v7, v23, vcc
	global_store_dwordx2 v[22:23], v[70:71], off
	s_or_b64 exec, exec, s[38:39]
	s_and_saveexec_b64 s[38:39], s[26:27]
	s_cbranch_execz .LBB1490_243
.LBB1490_302:
	v_sub_u32_e32 v22, v31, v10
	v_mov_b32_e32 v23, 0
	v_lshlrev_b64 v[22:23], 3, v[22:23]
	v_add_co_u32_e32 v22, vcc, v6, v22
	v_addc_co_u32_e32 v23, vcc, v7, v23, vcc
	global_store_dwordx2 v[22:23], v[46:47], off
	s_or_b64 exec, exec, s[38:39]
	s_and_saveexec_b64 s[38:39], s[24:25]
	s_cbranch_execz .LBB1490_244
.LBB1490_303:
	v_sub_u32_e32 v22, v30, v10
	v_mov_b32_e32 v23, 0
	v_lshlrev_b64 v[22:23], 3, v[22:23]
	v_add_co_u32_e32 v22, vcc, v6, v22
	v_addc_co_u32_e32 v23, vcc, v7, v23, vcc
	global_store_dwordx2 v[22:23], v[48:49], off
	s_or_b64 exec, exec, s[38:39]
	s_and_saveexec_b64 s[38:39], s[22:23]
	s_cbranch_execz .LBB1490_245
.LBB1490_304:
	v_sub_u32_e32 v22, v29, v10
	v_mov_b32_e32 v23, 0
	v_lshlrev_b64 v[22:23], 3, v[22:23]
	v_add_co_u32_e32 v22, vcc, v6, v22
	v_addc_co_u32_e32 v23, vcc, v7, v23, vcc
	global_store_dwordx2 v[22:23], v[50:51], off
	s_or_b64 exec, exec, s[38:39]
	s_and_saveexec_b64 s[38:39], s[20:21]
	s_cbranch_execz .LBB1490_246
.LBB1490_305:
	v_sub_u32_e32 v22, v28, v10
	v_mov_b32_e32 v23, 0
	v_lshlrev_b64 v[22:23], 3, v[22:23]
	v_add_co_u32_e32 v22, vcc, v6, v22
	v_addc_co_u32_e32 v23, vcc, v7, v23, vcc
	global_store_dwordx2 v[22:23], v[52:53], off
	s_or_b64 exec, exec, s[38:39]
	s_and_saveexec_b64 s[38:39], s[18:19]
	s_cbranch_execz .LBB1490_247
.LBB1490_306:
	v_sub_u32_e32 v22, v21, v10
	v_mov_b32_e32 v23, 0
	v_lshlrev_b64 v[22:23], 3, v[22:23]
	v_add_co_u32_e32 v22, vcc, v6, v22
	v_addc_co_u32_e32 v23, vcc, v7, v23, vcc
	global_store_dwordx2 v[22:23], v[54:55], off
	s_or_b64 exec, exec, s[38:39]
	s_and_saveexec_b64 s[38:39], s[16:17]
	s_cbranch_execz .LBB1490_248
.LBB1490_307:
	v_sub_u32_e32 v22, v20, v10
	v_mov_b32_e32 v23, 0
	v_lshlrev_b64 v[22:23], 3, v[22:23]
	v_add_co_u32_e32 v22, vcc, v6, v22
	v_addc_co_u32_e32 v23, vcc, v7, v23, vcc
	global_store_dwordx2 v[22:23], v[56:57], off
	s_or_b64 exec, exec, s[38:39]
	s_and_saveexec_b64 s[38:39], s[14:15]
	s_cbranch_execz .LBB1490_249
.LBB1490_308:
	v_sub_u32_e32 v22, v19, v10
	v_mov_b32_e32 v23, 0
	v_lshlrev_b64 v[22:23], 3, v[22:23]
	v_add_co_u32_e32 v22, vcc, v6, v22
	v_addc_co_u32_e32 v23, vcc, v7, v23, vcc
	global_store_dwordx2 v[22:23], v[58:59], off
	s_or_b64 exec, exec, s[38:39]
	s_and_saveexec_b64 s[38:39], s[12:13]
	s_cbranch_execz .LBB1490_250
.LBB1490_309:
	v_sub_u32_e32 v22, v18, v10
	v_mov_b32_e32 v23, 0
	v_lshlrev_b64 v[22:23], 3, v[22:23]
	v_add_co_u32_e32 v22, vcc, v6, v22
	v_addc_co_u32_e32 v23, vcc, v7, v23, vcc
	global_store_dwordx2 v[22:23], v[60:61], off
	s_or_b64 exec, exec, s[38:39]
	s_and_saveexec_b64 s[38:39], s[10:11]
	s_cbranch_execz .LBB1490_251
.LBB1490_310:
	v_sub_u32_e32 v22, v17, v10
	v_mov_b32_e32 v23, 0
	v_lshlrev_b64 v[22:23], 3, v[22:23]
	v_add_co_u32_e32 v22, vcc, v6, v22
	v_addc_co_u32_e32 v23, vcc, v7, v23, vcc
	global_store_dwordx2 v[22:23], v[62:63], off
	s_or_b64 exec, exec, s[38:39]
	s_and_saveexec_b64 s[38:39], s[8:9]
	s_cbranch_execz .LBB1490_252
.LBB1490_311:
	v_sub_u32_e32 v22, v16, v10
	v_mov_b32_e32 v23, 0
	v_lshlrev_b64 v[22:23], 3, v[22:23]
	v_add_co_u32_e32 v22, vcc, v6, v22
	v_addc_co_u32_e32 v23, vcc, v7, v23, vcc
	global_store_dwordx2 v[22:23], v[64:65], off
	s_or_b64 exec, exec, s[38:39]
	s_and_saveexec_b64 s[38:39], s[6:7]
	s_cbranch_execz .LBB1490_253
.LBB1490_312:
	v_sub_u32_e32 v22, v15, v10
	v_mov_b32_e32 v23, 0
	v_lshlrev_b64 v[22:23], 3, v[22:23]
	v_add_co_u32_e32 v22, vcc, v6, v22
	v_addc_co_u32_e32 v23, vcc, v7, v23, vcc
	global_store_dwordx2 v[22:23], v[66:67], off
	s_or_b64 exec, exec, s[38:39]
	s_and_saveexec_b64 s[38:39], s[4:5]
	s_cbranch_execz .LBB1490_254
.LBB1490_313:
	v_sub_u32_e32 v22, v14, v10
	v_mov_b32_e32 v23, 0
	v_lshlrev_b64 v[22:23], 3, v[22:23]
	v_add_co_u32_e32 v22, vcc, v6, v22
	v_addc_co_u32_e32 v23, vcc, v7, v23, vcc
	global_store_dwordx2 v[22:23], v[68:69], off
	s_or_b64 exec, exec, s[38:39]
	s_and_saveexec_b64 s[38:39], s[2:3]
	s_cbranch_execnz .LBB1490_255
	s_branch .LBB1490_256
.LBB1490_314:
	v_sub_u32_e32 v11, v90, v10
	v_lshlrev_b32_e32 v11, 3, v11
	ds_write_b64 v11, v[70:71]
	s_or_b64 exec, exec, s[38:39]
	s_and_saveexec_b64 s[28:29], s[26:27]
	s_cbranch_execz .LBB1490_260
.LBB1490_315:
	v_sub_u32_e32 v11, v31, v10
	v_lshlrev_b32_e32 v11, 3, v11
	ds_write_b64 v11, v[46:47]
	s_or_b64 exec, exec, s[28:29]
	s_and_saveexec_b64 s[26:27], s[24:25]
	s_cbranch_execz .LBB1490_261
.LBB1490_316:
	v_sub_u32_e32 v11, v30, v10
	v_lshlrev_b32_e32 v11, 3, v11
	ds_write_b64 v11, v[48:49]
	s_or_b64 exec, exec, s[26:27]
	s_and_saveexec_b64 s[24:25], s[22:23]
	s_cbranch_execz .LBB1490_262
.LBB1490_317:
	v_sub_u32_e32 v11, v29, v10
	v_lshlrev_b32_e32 v11, 3, v11
	ds_write_b64 v11, v[50:51]
	s_or_b64 exec, exec, s[24:25]
	s_and_saveexec_b64 s[22:23], s[20:21]
	s_cbranch_execz .LBB1490_263
.LBB1490_318:
	v_sub_u32_e32 v11, v28, v10
	v_lshlrev_b32_e32 v11, 3, v11
	ds_write_b64 v11, v[52:53]
	s_or_b64 exec, exec, s[22:23]
	s_and_saveexec_b64 s[20:21], s[18:19]
	s_cbranch_execz .LBB1490_264
.LBB1490_319:
	v_sub_u32_e32 v11, v21, v10
	v_lshlrev_b32_e32 v11, 3, v11
	ds_write_b64 v11, v[54:55]
	s_or_b64 exec, exec, s[20:21]
	s_and_saveexec_b64 s[18:19], s[16:17]
	s_cbranch_execz .LBB1490_265
.LBB1490_320:
	v_sub_u32_e32 v11, v20, v10
	v_lshlrev_b32_e32 v11, 3, v11
	ds_write_b64 v11, v[56:57]
	s_or_b64 exec, exec, s[18:19]
	s_and_saveexec_b64 s[16:17], s[14:15]
	s_cbranch_execz .LBB1490_266
.LBB1490_321:
	v_sub_u32_e32 v11, v19, v10
	v_lshlrev_b32_e32 v11, 3, v11
	ds_write_b64 v11, v[58:59]
	s_or_b64 exec, exec, s[16:17]
	s_and_saveexec_b64 s[14:15], s[12:13]
	s_cbranch_execz .LBB1490_267
.LBB1490_322:
	v_sub_u32_e32 v11, v18, v10
	v_lshlrev_b32_e32 v11, 3, v11
	ds_write_b64 v11, v[60:61]
	s_or_b64 exec, exec, s[14:15]
	s_and_saveexec_b64 s[12:13], s[10:11]
	s_cbranch_execz .LBB1490_268
.LBB1490_323:
	v_sub_u32_e32 v11, v17, v10
	v_lshlrev_b32_e32 v11, 3, v11
	ds_write_b64 v11, v[62:63]
	s_or_b64 exec, exec, s[12:13]
	s_and_saveexec_b64 s[10:11], s[8:9]
	s_cbranch_execz .LBB1490_269
.LBB1490_324:
	v_sub_u32_e32 v11, v16, v10
	v_lshlrev_b32_e32 v11, 3, v11
	ds_write_b64 v11, v[64:65]
	s_or_b64 exec, exec, s[10:11]
	s_and_saveexec_b64 s[8:9], s[6:7]
	s_cbranch_execz .LBB1490_270
.LBB1490_325:
	v_sub_u32_e32 v11, v15, v10
	v_lshlrev_b32_e32 v11, 3, v11
	ds_write_b64 v11, v[66:67]
	s_or_b64 exec, exec, s[8:9]
	s_and_saveexec_b64 s[6:7], s[4:5]
	s_cbranch_execz .LBB1490_271
.LBB1490_326:
	v_sub_u32_e32 v11, v14, v10
	v_lshlrev_b32_e32 v11, 3, v11
	ds_write_b64 v11, v[68:69]
	s_or_b64 exec, exec, s[6:7]
	s_and_saveexec_b64 s[4:5], s[2:3]
	s_cbranch_execnz .LBB1490_272
	s_branch .LBB1490_273
	.section	.rodata,"a",@progbits
	.p2align	6, 0x0
	.amdhsa_kernel _ZN7rocprim17ROCPRIM_400000_NS6detail17trampoline_kernelINS0_14default_configENS1_29reduce_by_key_config_selectorIslN6thrust23THRUST_200600_302600_NS4plusIlEEEEZZNS1_33reduce_by_key_impl_wrapped_configILNS1_25lookback_scan_determinismE0ES3_S9_PsNS6_17constant_iteratorIiNS6_11use_defaultESE_EENS6_10device_ptrIsEENSG_IlEEPmS8_NS6_8equal_toIsEEEE10hipError_tPvRmT2_T3_mT4_T5_T6_T7_T8_P12ihipStream_tbENKUlT_T0_E_clISt17integral_constantIbLb1EES12_IbLb0EEEEDaSY_SZ_EUlSY_E_NS1_11comp_targetILNS1_3genE4ELNS1_11target_archE910ELNS1_3gpuE8ELNS1_3repE0EEENS1_30default_config_static_selectorELNS0_4arch9wavefront6targetE1EEEvT1_
		.amdhsa_group_segment_fixed_size 30720
		.amdhsa_private_segment_fixed_size 0
		.amdhsa_kernarg_size 144
		.amdhsa_user_sgpr_count 6
		.amdhsa_user_sgpr_private_segment_buffer 1
		.amdhsa_user_sgpr_dispatch_ptr 0
		.amdhsa_user_sgpr_queue_ptr 0
		.amdhsa_user_sgpr_kernarg_segment_ptr 1
		.amdhsa_user_sgpr_dispatch_id 0
		.amdhsa_user_sgpr_flat_scratch_init 0
		.amdhsa_user_sgpr_kernarg_preload_length 0
		.amdhsa_user_sgpr_kernarg_preload_offset 0
		.amdhsa_user_sgpr_private_segment_size 0
		.amdhsa_uses_dynamic_stack 0
		.amdhsa_system_sgpr_private_segment_wavefront_offset 0
		.amdhsa_system_sgpr_workgroup_id_x 1
		.amdhsa_system_sgpr_workgroup_id_y 0
		.amdhsa_system_sgpr_workgroup_id_z 0
		.amdhsa_system_sgpr_workgroup_info 0
		.amdhsa_system_vgpr_workitem_id 0
		.amdhsa_next_free_vgpr 127
		.amdhsa_next_free_sgpr 64
		.amdhsa_accum_offset 128
		.amdhsa_reserve_vcc 1
		.amdhsa_reserve_flat_scratch 0
		.amdhsa_float_round_mode_32 0
		.amdhsa_float_round_mode_16_64 0
		.amdhsa_float_denorm_mode_32 3
		.amdhsa_float_denorm_mode_16_64 3
		.amdhsa_dx10_clamp 1
		.amdhsa_ieee_mode 1
		.amdhsa_fp16_overflow 0
		.amdhsa_tg_split 0
		.amdhsa_exception_fp_ieee_invalid_op 0
		.amdhsa_exception_fp_denorm_src 0
		.amdhsa_exception_fp_ieee_div_zero 0
		.amdhsa_exception_fp_ieee_overflow 0
		.amdhsa_exception_fp_ieee_underflow 0
		.amdhsa_exception_fp_ieee_inexact 0
		.amdhsa_exception_int_div_zero 0
	.end_amdhsa_kernel
	.section	.text._ZN7rocprim17ROCPRIM_400000_NS6detail17trampoline_kernelINS0_14default_configENS1_29reduce_by_key_config_selectorIslN6thrust23THRUST_200600_302600_NS4plusIlEEEEZZNS1_33reduce_by_key_impl_wrapped_configILNS1_25lookback_scan_determinismE0ES3_S9_PsNS6_17constant_iteratorIiNS6_11use_defaultESE_EENS6_10device_ptrIsEENSG_IlEEPmS8_NS6_8equal_toIsEEEE10hipError_tPvRmT2_T3_mT4_T5_T6_T7_T8_P12ihipStream_tbENKUlT_T0_E_clISt17integral_constantIbLb1EES12_IbLb0EEEEDaSY_SZ_EUlSY_E_NS1_11comp_targetILNS1_3genE4ELNS1_11target_archE910ELNS1_3gpuE8ELNS1_3repE0EEENS1_30default_config_static_selectorELNS0_4arch9wavefront6targetE1EEEvT1_,"axG",@progbits,_ZN7rocprim17ROCPRIM_400000_NS6detail17trampoline_kernelINS0_14default_configENS1_29reduce_by_key_config_selectorIslN6thrust23THRUST_200600_302600_NS4plusIlEEEEZZNS1_33reduce_by_key_impl_wrapped_configILNS1_25lookback_scan_determinismE0ES3_S9_PsNS6_17constant_iteratorIiNS6_11use_defaultESE_EENS6_10device_ptrIsEENSG_IlEEPmS8_NS6_8equal_toIsEEEE10hipError_tPvRmT2_T3_mT4_T5_T6_T7_T8_P12ihipStream_tbENKUlT_T0_E_clISt17integral_constantIbLb1EES12_IbLb0EEEEDaSY_SZ_EUlSY_E_NS1_11comp_targetILNS1_3genE4ELNS1_11target_archE910ELNS1_3gpuE8ELNS1_3repE0EEENS1_30default_config_static_selectorELNS0_4arch9wavefront6targetE1EEEvT1_,comdat
.Lfunc_end1490:
	.size	_ZN7rocprim17ROCPRIM_400000_NS6detail17trampoline_kernelINS0_14default_configENS1_29reduce_by_key_config_selectorIslN6thrust23THRUST_200600_302600_NS4plusIlEEEEZZNS1_33reduce_by_key_impl_wrapped_configILNS1_25lookback_scan_determinismE0ES3_S9_PsNS6_17constant_iteratorIiNS6_11use_defaultESE_EENS6_10device_ptrIsEENSG_IlEEPmS8_NS6_8equal_toIsEEEE10hipError_tPvRmT2_T3_mT4_T5_T6_T7_T8_P12ihipStream_tbENKUlT_T0_E_clISt17integral_constantIbLb1EES12_IbLb0EEEEDaSY_SZ_EUlSY_E_NS1_11comp_targetILNS1_3genE4ELNS1_11target_archE910ELNS1_3gpuE8ELNS1_3repE0EEENS1_30default_config_static_selectorELNS0_4arch9wavefront6targetE1EEEvT1_, .Lfunc_end1490-_ZN7rocprim17ROCPRIM_400000_NS6detail17trampoline_kernelINS0_14default_configENS1_29reduce_by_key_config_selectorIslN6thrust23THRUST_200600_302600_NS4plusIlEEEEZZNS1_33reduce_by_key_impl_wrapped_configILNS1_25lookback_scan_determinismE0ES3_S9_PsNS6_17constant_iteratorIiNS6_11use_defaultESE_EENS6_10device_ptrIsEENSG_IlEEPmS8_NS6_8equal_toIsEEEE10hipError_tPvRmT2_T3_mT4_T5_T6_T7_T8_P12ihipStream_tbENKUlT_T0_E_clISt17integral_constantIbLb1EES12_IbLb0EEEEDaSY_SZ_EUlSY_E_NS1_11comp_targetILNS1_3genE4ELNS1_11target_archE910ELNS1_3gpuE8ELNS1_3repE0EEENS1_30default_config_static_selectorELNS0_4arch9wavefront6targetE1EEEvT1_
                                        ; -- End function
	.section	.AMDGPU.csdata,"",@progbits
; Kernel info:
; codeLenInByte = 17192
; NumSgprs: 68
; NumVgprs: 127
; NumAgprs: 0
; TotalNumVgprs: 127
; ScratchSize: 0
; MemoryBound: 0
; FloatMode: 240
; IeeeMode: 1
; LDSByteSize: 30720 bytes/workgroup (compile time only)
; SGPRBlocks: 8
; VGPRBlocks: 15
; NumSGPRsForWavesPerEU: 68
; NumVGPRsForWavesPerEU: 127
; AccumOffset: 128
; Occupancy: 2
; WaveLimiterHint : 1
; COMPUTE_PGM_RSRC2:SCRATCH_EN: 0
; COMPUTE_PGM_RSRC2:USER_SGPR: 6
; COMPUTE_PGM_RSRC2:TRAP_HANDLER: 0
; COMPUTE_PGM_RSRC2:TGID_X_EN: 1
; COMPUTE_PGM_RSRC2:TGID_Y_EN: 0
; COMPUTE_PGM_RSRC2:TGID_Z_EN: 0
; COMPUTE_PGM_RSRC2:TIDIG_COMP_CNT: 0
; COMPUTE_PGM_RSRC3_GFX90A:ACCUM_OFFSET: 31
; COMPUTE_PGM_RSRC3_GFX90A:TG_SPLIT: 0
	.section	.text._ZN7rocprim17ROCPRIM_400000_NS6detail17trampoline_kernelINS0_14default_configENS1_29reduce_by_key_config_selectorIslN6thrust23THRUST_200600_302600_NS4plusIlEEEEZZNS1_33reduce_by_key_impl_wrapped_configILNS1_25lookback_scan_determinismE0ES3_S9_PsNS6_17constant_iteratorIiNS6_11use_defaultESE_EENS6_10device_ptrIsEENSG_IlEEPmS8_NS6_8equal_toIsEEEE10hipError_tPvRmT2_T3_mT4_T5_T6_T7_T8_P12ihipStream_tbENKUlT_T0_E_clISt17integral_constantIbLb1EES12_IbLb0EEEEDaSY_SZ_EUlSY_E_NS1_11comp_targetILNS1_3genE3ELNS1_11target_archE908ELNS1_3gpuE7ELNS1_3repE0EEENS1_30default_config_static_selectorELNS0_4arch9wavefront6targetE1EEEvT1_,"axG",@progbits,_ZN7rocprim17ROCPRIM_400000_NS6detail17trampoline_kernelINS0_14default_configENS1_29reduce_by_key_config_selectorIslN6thrust23THRUST_200600_302600_NS4plusIlEEEEZZNS1_33reduce_by_key_impl_wrapped_configILNS1_25lookback_scan_determinismE0ES3_S9_PsNS6_17constant_iteratorIiNS6_11use_defaultESE_EENS6_10device_ptrIsEENSG_IlEEPmS8_NS6_8equal_toIsEEEE10hipError_tPvRmT2_T3_mT4_T5_T6_T7_T8_P12ihipStream_tbENKUlT_T0_E_clISt17integral_constantIbLb1EES12_IbLb0EEEEDaSY_SZ_EUlSY_E_NS1_11comp_targetILNS1_3genE3ELNS1_11target_archE908ELNS1_3gpuE7ELNS1_3repE0EEENS1_30default_config_static_selectorELNS0_4arch9wavefront6targetE1EEEvT1_,comdat
	.protected	_ZN7rocprim17ROCPRIM_400000_NS6detail17trampoline_kernelINS0_14default_configENS1_29reduce_by_key_config_selectorIslN6thrust23THRUST_200600_302600_NS4plusIlEEEEZZNS1_33reduce_by_key_impl_wrapped_configILNS1_25lookback_scan_determinismE0ES3_S9_PsNS6_17constant_iteratorIiNS6_11use_defaultESE_EENS6_10device_ptrIsEENSG_IlEEPmS8_NS6_8equal_toIsEEEE10hipError_tPvRmT2_T3_mT4_T5_T6_T7_T8_P12ihipStream_tbENKUlT_T0_E_clISt17integral_constantIbLb1EES12_IbLb0EEEEDaSY_SZ_EUlSY_E_NS1_11comp_targetILNS1_3genE3ELNS1_11target_archE908ELNS1_3gpuE7ELNS1_3repE0EEENS1_30default_config_static_selectorELNS0_4arch9wavefront6targetE1EEEvT1_ ; -- Begin function _ZN7rocprim17ROCPRIM_400000_NS6detail17trampoline_kernelINS0_14default_configENS1_29reduce_by_key_config_selectorIslN6thrust23THRUST_200600_302600_NS4plusIlEEEEZZNS1_33reduce_by_key_impl_wrapped_configILNS1_25lookback_scan_determinismE0ES3_S9_PsNS6_17constant_iteratorIiNS6_11use_defaultESE_EENS6_10device_ptrIsEENSG_IlEEPmS8_NS6_8equal_toIsEEEE10hipError_tPvRmT2_T3_mT4_T5_T6_T7_T8_P12ihipStream_tbENKUlT_T0_E_clISt17integral_constantIbLb1EES12_IbLb0EEEEDaSY_SZ_EUlSY_E_NS1_11comp_targetILNS1_3genE3ELNS1_11target_archE908ELNS1_3gpuE7ELNS1_3repE0EEENS1_30default_config_static_selectorELNS0_4arch9wavefront6targetE1EEEvT1_
	.globl	_ZN7rocprim17ROCPRIM_400000_NS6detail17trampoline_kernelINS0_14default_configENS1_29reduce_by_key_config_selectorIslN6thrust23THRUST_200600_302600_NS4plusIlEEEEZZNS1_33reduce_by_key_impl_wrapped_configILNS1_25lookback_scan_determinismE0ES3_S9_PsNS6_17constant_iteratorIiNS6_11use_defaultESE_EENS6_10device_ptrIsEENSG_IlEEPmS8_NS6_8equal_toIsEEEE10hipError_tPvRmT2_T3_mT4_T5_T6_T7_T8_P12ihipStream_tbENKUlT_T0_E_clISt17integral_constantIbLb1EES12_IbLb0EEEEDaSY_SZ_EUlSY_E_NS1_11comp_targetILNS1_3genE3ELNS1_11target_archE908ELNS1_3gpuE7ELNS1_3repE0EEENS1_30default_config_static_selectorELNS0_4arch9wavefront6targetE1EEEvT1_
	.p2align	8
	.type	_ZN7rocprim17ROCPRIM_400000_NS6detail17trampoline_kernelINS0_14default_configENS1_29reduce_by_key_config_selectorIslN6thrust23THRUST_200600_302600_NS4plusIlEEEEZZNS1_33reduce_by_key_impl_wrapped_configILNS1_25lookback_scan_determinismE0ES3_S9_PsNS6_17constant_iteratorIiNS6_11use_defaultESE_EENS6_10device_ptrIsEENSG_IlEEPmS8_NS6_8equal_toIsEEEE10hipError_tPvRmT2_T3_mT4_T5_T6_T7_T8_P12ihipStream_tbENKUlT_T0_E_clISt17integral_constantIbLb1EES12_IbLb0EEEEDaSY_SZ_EUlSY_E_NS1_11comp_targetILNS1_3genE3ELNS1_11target_archE908ELNS1_3gpuE7ELNS1_3repE0EEENS1_30default_config_static_selectorELNS0_4arch9wavefront6targetE1EEEvT1_,@function
_ZN7rocprim17ROCPRIM_400000_NS6detail17trampoline_kernelINS0_14default_configENS1_29reduce_by_key_config_selectorIslN6thrust23THRUST_200600_302600_NS4plusIlEEEEZZNS1_33reduce_by_key_impl_wrapped_configILNS1_25lookback_scan_determinismE0ES3_S9_PsNS6_17constant_iteratorIiNS6_11use_defaultESE_EENS6_10device_ptrIsEENSG_IlEEPmS8_NS6_8equal_toIsEEEE10hipError_tPvRmT2_T3_mT4_T5_T6_T7_T8_P12ihipStream_tbENKUlT_T0_E_clISt17integral_constantIbLb1EES12_IbLb0EEEEDaSY_SZ_EUlSY_E_NS1_11comp_targetILNS1_3genE3ELNS1_11target_archE908ELNS1_3gpuE7ELNS1_3repE0EEENS1_30default_config_static_selectorELNS0_4arch9wavefront6targetE1EEEvT1_: ; @_ZN7rocprim17ROCPRIM_400000_NS6detail17trampoline_kernelINS0_14default_configENS1_29reduce_by_key_config_selectorIslN6thrust23THRUST_200600_302600_NS4plusIlEEEEZZNS1_33reduce_by_key_impl_wrapped_configILNS1_25lookback_scan_determinismE0ES3_S9_PsNS6_17constant_iteratorIiNS6_11use_defaultESE_EENS6_10device_ptrIsEENSG_IlEEPmS8_NS6_8equal_toIsEEEE10hipError_tPvRmT2_T3_mT4_T5_T6_T7_T8_P12ihipStream_tbENKUlT_T0_E_clISt17integral_constantIbLb1EES12_IbLb0EEEEDaSY_SZ_EUlSY_E_NS1_11comp_targetILNS1_3genE3ELNS1_11target_archE908ELNS1_3gpuE7ELNS1_3repE0EEENS1_30default_config_static_selectorELNS0_4arch9wavefront6targetE1EEEvT1_
; %bb.0:
	.section	.rodata,"a",@progbits
	.p2align	6, 0x0
	.amdhsa_kernel _ZN7rocprim17ROCPRIM_400000_NS6detail17trampoline_kernelINS0_14default_configENS1_29reduce_by_key_config_selectorIslN6thrust23THRUST_200600_302600_NS4plusIlEEEEZZNS1_33reduce_by_key_impl_wrapped_configILNS1_25lookback_scan_determinismE0ES3_S9_PsNS6_17constant_iteratorIiNS6_11use_defaultESE_EENS6_10device_ptrIsEENSG_IlEEPmS8_NS6_8equal_toIsEEEE10hipError_tPvRmT2_T3_mT4_T5_T6_T7_T8_P12ihipStream_tbENKUlT_T0_E_clISt17integral_constantIbLb1EES12_IbLb0EEEEDaSY_SZ_EUlSY_E_NS1_11comp_targetILNS1_3genE3ELNS1_11target_archE908ELNS1_3gpuE7ELNS1_3repE0EEENS1_30default_config_static_selectorELNS0_4arch9wavefront6targetE1EEEvT1_
		.amdhsa_group_segment_fixed_size 0
		.amdhsa_private_segment_fixed_size 0
		.amdhsa_kernarg_size 144
		.amdhsa_user_sgpr_count 6
		.amdhsa_user_sgpr_private_segment_buffer 1
		.amdhsa_user_sgpr_dispatch_ptr 0
		.amdhsa_user_sgpr_queue_ptr 0
		.amdhsa_user_sgpr_kernarg_segment_ptr 1
		.amdhsa_user_sgpr_dispatch_id 0
		.amdhsa_user_sgpr_flat_scratch_init 0
		.amdhsa_user_sgpr_kernarg_preload_length 0
		.amdhsa_user_sgpr_kernarg_preload_offset 0
		.amdhsa_user_sgpr_private_segment_size 0
		.amdhsa_uses_dynamic_stack 0
		.amdhsa_system_sgpr_private_segment_wavefront_offset 0
		.amdhsa_system_sgpr_workgroup_id_x 1
		.amdhsa_system_sgpr_workgroup_id_y 0
		.amdhsa_system_sgpr_workgroup_id_z 0
		.amdhsa_system_sgpr_workgroup_info 0
		.amdhsa_system_vgpr_workitem_id 0
		.amdhsa_next_free_vgpr 1
		.amdhsa_next_free_sgpr 0
		.amdhsa_accum_offset 4
		.amdhsa_reserve_vcc 0
		.amdhsa_reserve_flat_scratch 0
		.amdhsa_float_round_mode_32 0
		.amdhsa_float_round_mode_16_64 0
		.amdhsa_float_denorm_mode_32 3
		.amdhsa_float_denorm_mode_16_64 3
		.amdhsa_dx10_clamp 1
		.amdhsa_ieee_mode 1
		.amdhsa_fp16_overflow 0
		.amdhsa_tg_split 0
		.amdhsa_exception_fp_ieee_invalid_op 0
		.amdhsa_exception_fp_denorm_src 0
		.amdhsa_exception_fp_ieee_div_zero 0
		.amdhsa_exception_fp_ieee_overflow 0
		.amdhsa_exception_fp_ieee_underflow 0
		.amdhsa_exception_fp_ieee_inexact 0
		.amdhsa_exception_int_div_zero 0
	.end_amdhsa_kernel
	.section	.text._ZN7rocprim17ROCPRIM_400000_NS6detail17trampoline_kernelINS0_14default_configENS1_29reduce_by_key_config_selectorIslN6thrust23THRUST_200600_302600_NS4plusIlEEEEZZNS1_33reduce_by_key_impl_wrapped_configILNS1_25lookback_scan_determinismE0ES3_S9_PsNS6_17constant_iteratorIiNS6_11use_defaultESE_EENS6_10device_ptrIsEENSG_IlEEPmS8_NS6_8equal_toIsEEEE10hipError_tPvRmT2_T3_mT4_T5_T6_T7_T8_P12ihipStream_tbENKUlT_T0_E_clISt17integral_constantIbLb1EES12_IbLb0EEEEDaSY_SZ_EUlSY_E_NS1_11comp_targetILNS1_3genE3ELNS1_11target_archE908ELNS1_3gpuE7ELNS1_3repE0EEENS1_30default_config_static_selectorELNS0_4arch9wavefront6targetE1EEEvT1_,"axG",@progbits,_ZN7rocprim17ROCPRIM_400000_NS6detail17trampoline_kernelINS0_14default_configENS1_29reduce_by_key_config_selectorIslN6thrust23THRUST_200600_302600_NS4plusIlEEEEZZNS1_33reduce_by_key_impl_wrapped_configILNS1_25lookback_scan_determinismE0ES3_S9_PsNS6_17constant_iteratorIiNS6_11use_defaultESE_EENS6_10device_ptrIsEENSG_IlEEPmS8_NS6_8equal_toIsEEEE10hipError_tPvRmT2_T3_mT4_T5_T6_T7_T8_P12ihipStream_tbENKUlT_T0_E_clISt17integral_constantIbLb1EES12_IbLb0EEEEDaSY_SZ_EUlSY_E_NS1_11comp_targetILNS1_3genE3ELNS1_11target_archE908ELNS1_3gpuE7ELNS1_3repE0EEENS1_30default_config_static_selectorELNS0_4arch9wavefront6targetE1EEEvT1_,comdat
.Lfunc_end1491:
	.size	_ZN7rocprim17ROCPRIM_400000_NS6detail17trampoline_kernelINS0_14default_configENS1_29reduce_by_key_config_selectorIslN6thrust23THRUST_200600_302600_NS4plusIlEEEEZZNS1_33reduce_by_key_impl_wrapped_configILNS1_25lookback_scan_determinismE0ES3_S9_PsNS6_17constant_iteratorIiNS6_11use_defaultESE_EENS6_10device_ptrIsEENSG_IlEEPmS8_NS6_8equal_toIsEEEE10hipError_tPvRmT2_T3_mT4_T5_T6_T7_T8_P12ihipStream_tbENKUlT_T0_E_clISt17integral_constantIbLb1EES12_IbLb0EEEEDaSY_SZ_EUlSY_E_NS1_11comp_targetILNS1_3genE3ELNS1_11target_archE908ELNS1_3gpuE7ELNS1_3repE0EEENS1_30default_config_static_selectorELNS0_4arch9wavefront6targetE1EEEvT1_, .Lfunc_end1491-_ZN7rocprim17ROCPRIM_400000_NS6detail17trampoline_kernelINS0_14default_configENS1_29reduce_by_key_config_selectorIslN6thrust23THRUST_200600_302600_NS4plusIlEEEEZZNS1_33reduce_by_key_impl_wrapped_configILNS1_25lookback_scan_determinismE0ES3_S9_PsNS6_17constant_iteratorIiNS6_11use_defaultESE_EENS6_10device_ptrIsEENSG_IlEEPmS8_NS6_8equal_toIsEEEE10hipError_tPvRmT2_T3_mT4_T5_T6_T7_T8_P12ihipStream_tbENKUlT_T0_E_clISt17integral_constantIbLb1EES12_IbLb0EEEEDaSY_SZ_EUlSY_E_NS1_11comp_targetILNS1_3genE3ELNS1_11target_archE908ELNS1_3gpuE7ELNS1_3repE0EEENS1_30default_config_static_selectorELNS0_4arch9wavefront6targetE1EEEvT1_
                                        ; -- End function
	.section	.AMDGPU.csdata,"",@progbits
; Kernel info:
; codeLenInByte = 0
; NumSgprs: 4
; NumVgprs: 0
; NumAgprs: 0
; TotalNumVgprs: 0
; ScratchSize: 0
; MemoryBound: 0
; FloatMode: 240
; IeeeMode: 1
; LDSByteSize: 0 bytes/workgroup (compile time only)
; SGPRBlocks: 0
; VGPRBlocks: 0
; NumSGPRsForWavesPerEU: 4
; NumVGPRsForWavesPerEU: 1
; AccumOffset: 4
; Occupancy: 8
; WaveLimiterHint : 0
; COMPUTE_PGM_RSRC2:SCRATCH_EN: 0
; COMPUTE_PGM_RSRC2:USER_SGPR: 6
; COMPUTE_PGM_RSRC2:TRAP_HANDLER: 0
; COMPUTE_PGM_RSRC2:TGID_X_EN: 1
; COMPUTE_PGM_RSRC2:TGID_Y_EN: 0
; COMPUTE_PGM_RSRC2:TGID_Z_EN: 0
; COMPUTE_PGM_RSRC2:TIDIG_COMP_CNT: 0
; COMPUTE_PGM_RSRC3_GFX90A:ACCUM_OFFSET: 0
; COMPUTE_PGM_RSRC3_GFX90A:TG_SPLIT: 0
	.section	.text._ZN7rocprim17ROCPRIM_400000_NS6detail17trampoline_kernelINS0_14default_configENS1_29reduce_by_key_config_selectorIslN6thrust23THRUST_200600_302600_NS4plusIlEEEEZZNS1_33reduce_by_key_impl_wrapped_configILNS1_25lookback_scan_determinismE0ES3_S9_PsNS6_17constant_iteratorIiNS6_11use_defaultESE_EENS6_10device_ptrIsEENSG_IlEEPmS8_NS6_8equal_toIsEEEE10hipError_tPvRmT2_T3_mT4_T5_T6_T7_T8_P12ihipStream_tbENKUlT_T0_E_clISt17integral_constantIbLb1EES12_IbLb0EEEEDaSY_SZ_EUlSY_E_NS1_11comp_targetILNS1_3genE2ELNS1_11target_archE906ELNS1_3gpuE6ELNS1_3repE0EEENS1_30default_config_static_selectorELNS0_4arch9wavefront6targetE1EEEvT1_,"axG",@progbits,_ZN7rocprim17ROCPRIM_400000_NS6detail17trampoline_kernelINS0_14default_configENS1_29reduce_by_key_config_selectorIslN6thrust23THRUST_200600_302600_NS4plusIlEEEEZZNS1_33reduce_by_key_impl_wrapped_configILNS1_25lookback_scan_determinismE0ES3_S9_PsNS6_17constant_iteratorIiNS6_11use_defaultESE_EENS6_10device_ptrIsEENSG_IlEEPmS8_NS6_8equal_toIsEEEE10hipError_tPvRmT2_T3_mT4_T5_T6_T7_T8_P12ihipStream_tbENKUlT_T0_E_clISt17integral_constantIbLb1EES12_IbLb0EEEEDaSY_SZ_EUlSY_E_NS1_11comp_targetILNS1_3genE2ELNS1_11target_archE906ELNS1_3gpuE6ELNS1_3repE0EEENS1_30default_config_static_selectorELNS0_4arch9wavefront6targetE1EEEvT1_,comdat
	.protected	_ZN7rocprim17ROCPRIM_400000_NS6detail17trampoline_kernelINS0_14default_configENS1_29reduce_by_key_config_selectorIslN6thrust23THRUST_200600_302600_NS4plusIlEEEEZZNS1_33reduce_by_key_impl_wrapped_configILNS1_25lookback_scan_determinismE0ES3_S9_PsNS6_17constant_iteratorIiNS6_11use_defaultESE_EENS6_10device_ptrIsEENSG_IlEEPmS8_NS6_8equal_toIsEEEE10hipError_tPvRmT2_T3_mT4_T5_T6_T7_T8_P12ihipStream_tbENKUlT_T0_E_clISt17integral_constantIbLb1EES12_IbLb0EEEEDaSY_SZ_EUlSY_E_NS1_11comp_targetILNS1_3genE2ELNS1_11target_archE906ELNS1_3gpuE6ELNS1_3repE0EEENS1_30default_config_static_selectorELNS0_4arch9wavefront6targetE1EEEvT1_ ; -- Begin function _ZN7rocprim17ROCPRIM_400000_NS6detail17trampoline_kernelINS0_14default_configENS1_29reduce_by_key_config_selectorIslN6thrust23THRUST_200600_302600_NS4plusIlEEEEZZNS1_33reduce_by_key_impl_wrapped_configILNS1_25lookback_scan_determinismE0ES3_S9_PsNS6_17constant_iteratorIiNS6_11use_defaultESE_EENS6_10device_ptrIsEENSG_IlEEPmS8_NS6_8equal_toIsEEEE10hipError_tPvRmT2_T3_mT4_T5_T6_T7_T8_P12ihipStream_tbENKUlT_T0_E_clISt17integral_constantIbLb1EES12_IbLb0EEEEDaSY_SZ_EUlSY_E_NS1_11comp_targetILNS1_3genE2ELNS1_11target_archE906ELNS1_3gpuE6ELNS1_3repE0EEENS1_30default_config_static_selectorELNS0_4arch9wavefront6targetE1EEEvT1_
	.globl	_ZN7rocprim17ROCPRIM_400000_NS6detail17trampoline_kernelINS0_14default_configENS1_29reduce_by_key_config_selectorIslN6thrust23THRUST_200600_302600_NS4plusIlEEEEZZNS1_33reduce_by_key_impl_wrapped_configILNS1_25lookback_scan_determinismE0ES3_S9_PsNS6_17constant_iteratorIiNS6_11use_defaultESE_EENS6_10device_ptrIsEENSG_IlEEPmS8_NS6_8equal_toIsEEEE10hipError_tPvRmT2_T3_mT4_T5_T6_T7_T8_P12ihipStream_tbENKUlT_T0_E_clISt17integral_constantIbLb1EES12_IbLb0EEEEDaSY_SZ_EUlSY_E_NS1_11comp_targetILNS1_3genE2ELNS1_11target_archE906ELNS1_3gpuE6ELNS1_3repE0EEENS1_30default_config_static_selectorELNS0_4arch9wavefront6targetE1EEEvT1_
	.p2align	8
	.type	_ZN7rocprim17ROCPRIM_400000_NS6detail17trampoline_kernelINS0_14default_configENS1_29reduce_by_key_config_selectorIslN6thrust23THRUST_200600_302600_NS4plusIlEEEEZZNS1_33reduce_by_key_impl_wrapped_configILNS1_25lookback_scan_determinismE0ES3_S9_PsNS6_17constant_iteratorIiNS6_11use_defaultESE_EENS6_10device_ptrIsEENSG_IlEEPmS8_NS6_8equal_toIsEEEE10hipError_tPvRmT2_T3_mT4_T5_T6_T7_T8_P12ihipStream_tbENKUlT_T0_E_clISt17integral_constantIbLb1EES12_IbLb0EEEEDaSY_SZ_EUlSY_E_NS1_11comp_targetILNS1_3genE2ELNS1_11target_archE906ELNS1_3gpuE6ELNS1_3repE0EEENS1_30default_config_static_selectorELNS0_4arch9wavefront6targetE1EEEvT1_,@function
_ZN7rocprim17ROCPRIM_400000_NS6detail17trampoline_kernelINS0_14default_configENS1_29reduce_by_key_config_selectorIslN6thrust23THRUST_200600_302600_NS4plusIlEEEEZZNS1_33reduce_by_key_impl_wrapped_configILNS1_25lookback_scan_determinismE0ES3_S9_PsNS6_17constant_iteratorIiNS6_11use_defaultESE_EENS6_10device_ptrIsEENSG_IlEEPmS8_NS6_8equal_toIsEEEE10hipError_tPvRmT2_T3_mT4_T5_T6_T7_T8_P12ihipStream_tbENKUlT_T0_E_clISt17integral_constantIbLb1EES12_IbLb0EEEEDaSY_SZ_EUlSY_E_NS1_11comp_targetILNS1_3genE2ELNS1_11target_archE906ELNS1_3gpuE6ELNS1_3repE0EEENS1_30default_config_static_selectorELNS0_4arch9wavefront6targetE1EEEvT1_: ; @_ZN7rocprim17ROCPRIM_400000_NS6detail17trampoline_kernelINS0_14default_configENS1_29reduce_by_key_config_selectorIslN6thrust23THRUST_200600_302600_NS4plusIlEEEEZZNS1_33reduce_by_key_impl_wrapped_configILNS1_25lookback_scan_determinismE0ES3_S9_PsNS6_17constant_iteratorIiNS6_11use_defaultESE_EENS6_10device_ptrIsEENSG_IlEEPmS8_NS6_8equal_toIsEEEE10hipError_tPvRmT2_T3_mT4_T5_T6_T7_T8_P12ihipStream_tbENKUlT_T0_E_clISt17integral_constantIbLb1EES12_IbLb0EEEEDaSY_SZ_EUlSY_E_NS1_11comp_targetILNS1_3genE2ELNS1_11target_archE906ELNS1_3gpuE6ELNS1_3repE0EEENS1_30default_config_static_selectorELNS0_4arch9wavefront6targetE1EEEvT1_
; %bb.0:
	.section	.rodata,"a",@progbits
	.p2align	6, 0x0
	.amdhsa_kernel _ZN7rocprim17ROCPRIM_400000_NS6detail17trampoline_kernelINS0_14default_configENS1_29reduce_by_key_config_selectorIslN6thrust23THRUST_200600_302600_NS4plusIlEEEEZZNS1_33reduce_by_key_impl_wrapped_configILNS1_25lookback_scan_determinismE0ES3_S9_PsNS6_17constant_iteratorIiNS6_11use_defaultESE_EENS6_10device_ptrIsEENSG_IlEEPmS8_NS6_8equal_toIsEEEE10hipError_tPvRmT2_T3_mT4_T5_T6_T7_T8_P12ihipStream_tbENKUlT_T0_E_clISt17integral_constantIbLb1EES12_IbLb0EEEEDaSY_SZ_EUlSY_E_NS1_11comp_targetILNS1_3genE2ELNS1_11target_archE906ELNS1_3gpuE6ELNS1_3repE0EEENS1_30default_config_static_selectorELNS0_4arch9wavefront6targetE1EEEvT1_
		.amdhsa_group_segment_fixed_size 0
		.amdhsa_private_segment_fixed_size 0
		.amdhsa_kernarg_size 144
		.amdhsa_user_sgpr_count 6
		.amdhsa_user_sgpr_private_segment_buffer 1
		.amdhsa_user_sgpr_dispatch_ptr 0
		.amdhsa_user_sgpr_queue_ptr 0
		.amdhsa_user_sgpr_kernarg_segment_ptr 1
		.amdhsa_user_sgpr_dispatch_id 0
		.amdhsa_user_sgpr_flat_scratch_init 0
		.amdhsa_user_sgpr_kernarg_preload_length 0
		.amdhsa_user_sgpr_kernarg_preload_offset 0
		.amdhsa_user_sgpr_private_segment_size 0
		.amdhsa_uses_dynamic_stack 0
		.amdhsa_system_sgpr_private_segment_wavefront_offset 0
		.amdhsa_system_sgpr_workgroup_id_x 1
		.amdhsa_system_sgpr_workgroup_id_y 0
		.amdhsa_system_sgpr_workgroup_id_z 0
		.amdhsa_system_sgpr_workgroup_info 0
		.amdhsa_system_vgpr_workitem_id 0
		.amdhsa_next_free_vgpr 1
		.amdhsa_next_free_sgpr 0
		.amdhsa_accum_offset 4
		.amdhsa_reserve_vcc 0
		.amdhsa_reserve_flat_scratch 0
		.amdhsa_float_round_mode_32 0
		.amdhsa_float_round_mode_16_64 0
		.amdhsa_float_denorm_mode_32 3
		.amdhsa_float_denorm_mode_16_64 3
		.amdhsa_dx10_clamp 1
		.amdhsa_ieee_mode 1
		.amdhsa_fp16_overflow 0
		.amdhsa_tg_split 0
		.amdhsa_exception_fp_ieee_invalid_op 0
		.amdhsa_exception_fp_denorm_src 0
		.amdhsa_exception_fp_ieee_div_zero 0
		.amdhsa_exception_fp_ieee_overflow 0
		.amdhsa_exception_fp_ieee_underflow 0
		.amdhsa_exception_fp_ieee_inexact 0
		.amdhsa_exception_int_div_zero 0
	.end_amdhsa_kernel
	.section	.text._ZN7rocprim17ROCPRIM_400000_NS6detail17trampoline_kernelINS0_14default_configENS1_29reduce_by_key_config_selectorIslN6thrust23THRUST_200600_302600_NS4plusIlEEEEZZNS1_33reduce_by_key_impl_wrapped_configILNS1_25lookback_scan_determinismE0ES3_S9_PsNS6_17constant_iteratorIiNS6_11use_defaultESE_EENS6_10device_ptrIsEENSG_IlEEPmS8_NS6_8equal_toIsEEEE10hipError_tPvRmT2_T3_mT4_T5_T6_T7_T8_P12ihipStream_tbENKUlT_T0_E_clISt17integral_constantIbLb1EES12_IbLb0EEEEDaSY_SZ_EUlSY_E_NS1_11comp_targetILNS1_3genE2ELNS1_11target_archE906ELNS1_3gpuE6ELNS1_3repE0EEENS1_30default_config_static_selectorELNS0_4arch9wavefront6targetE1EEEvT1_,"axG",@progbits,_ZN7rocprim17ROCPRIM_400000_NS6detail17trampoline_kernelINS0_14default_configENS1_29reduce_by_key_config_selectorIslN6thrust23THRUST_200600_302600_NS4plusIlEEEEZZNS1_33reduce_by_key_impl_wrapped_configILNS1_25lookback_scan_determinismE0ES3_S9_PsNS6_17constant_iteratorIiNS6_11use_defaultESE_EENS6_10device_ptrIsEENSG_IlEEPmS8_NS6_8equal_toIsEEEE10hipError_tPvRmT2_T3_mT4_T5_T6_T7_T8_P12ihipStream_tbENKUlT_T0_E_clISt17integral_constantIbLb1EES12_IbLb0EEEEDaSY_SZ_EUlSY_E_NS1_11comp_targetILNS1_3genE2ELNS1_11target_archE906ELNS1_3gpuE6ELNS1_3repE0EEENS1_30default_config_static_selectorELNS0_4arch9wavefront6targetE1EEEvT1_,comdat
.Lfunc_end1492:
	.size	_ZN7rocprim17ROCPRIM_400000_NS6detail17trampoline_kernelINS0_14default_configENS1_29reduce_by_key_config_selectorIslN6thrust23THRUST_200600_302600_NS4plusIlEEEEZZNS1_33reduce_by_key_impl_wrapped_configILNS1_25lookback_scan_determinismE0ES3_S9_PsNS6_17constant_iteratorIiNS6_11use_defaultESE_EENS6_10device_ptrIsEENSG_IlEEPmS8_NS6_8equal_toIsEEEE10hipError_tPvRmT2_T3_mT4_T5_T6_T7_T8_P12ihipStream_tbENKUlT_T0_E_clISt17integral_constantIbLb1EES12_IbLb0EEEEDaSY_SZ_EUlSY_E_NS1_11comp_targetILNS1_3genE2ELNS1_11target_archE906ELNS1_3gpuE6ELNS1_3repE0EEENS1_30default_config_static_selectorELNS0_4arch9wavefront6targetE1EEEvT1_, .Lfunc_end1492-_ZN7rocprim17ROCPRIM_400000_NS6detail17trampoline_kernelINS0_14default_configENS1_29reduce_by_key_config_selectorIslN6thrust23THRUST_200600_302600_NS4plusIlEEEEZZNS1_33reduce_by_key_impl_wrapped_configILNS1_25lookback_scan_determinismE0ES3_S9_PsNS6_17constant_iteratorIiNS6_11use_defaultESE_EENS6_10device_ptrIsEENSG_IlEEPmS8_NS6_8equal_toIsEEEE10hipError_tPvRmT2_T3_mT4_T5_T6_T7_T8_P12ihipStream_tbENKUlT_T0_E_clISt17integral_constantIbLb1EES12_IbLb0EEEEDaSY_SZ_EUlSY_E_NS1_11comp_targetILNS1_3genE2ELNS1_11target_archE906ELNS1_3gpuE6ELNS1_3repE0EEENS1_30default_config_static_selectorELNS0_4arch9wavefront6targetE1EEEvT1_
                                        ; -- End function
	.section	.AMDGPU.csdata,"",@progbits
; Kernel info:
; codeLenInByte = 0
; NumSgprs: 4
; NumVgprs: 0
; NumAgprs: 0
; TotalNumVgprs: 0
; ScratchSize: 0
; MemoryBound: 0
; FloatMode: 240
; IeeeMode: 1
; LDSByteSize: 0 bytes/workgroup (compile time only)
; SGPRBlocks: 0
; VGPRBlocks: 0
; NumSGPRsForWavesPerEU: 4
; NumVGPRsForWavesPerEU: 1
; AccumOffset: 4
; Occupancy: 8
; WaveLimiterHint : 0
; COMPUTE_PGM_RSRC2:SCRATCH_EN: 0
; COMPUTE_PGM_RSRC2:USER_SGPR: 6
; COMPUTE_PGM_RSRC2:TRAP_HANDLER: 0
; COMPUTE_PGM_RSRC2:TGID_X_EN: 1
; COMPUTE_PGM_RSRC2:TGID_Y_EN: 0
; COMPUTE_PGM_RSRC2:TGID_Z_EN: 0
; COMPUTE_PGM_RSRC2:TIDIG_COMP_CNT: 0
; COMPUTE_PGM_RSRC3_GFX90A:ACCUM_OFFSET: 0
; COMPUTE_PGM_RSRC3_GFX90A:TG_SPLIT: 0
	.section	.text._ZN7rocprim17ROCPRIM_400000_NS6detail17trampoline_kernelINS0_14default_configENS1_29reduce_by_key_config_selectorIslN6thrust23THRUST_200600_302600_NS4plusIlEEEEZZNS1_33reduce_by_key_impl_wrapped_configILNS1_25lookback_scan_determinismE0ES3_S9_PsNS6_17constant_iteratorIiNS6_11use_defaultESE_EENS6_10device_ptrIsEENSG_IlEEPmS8_NS6_8equal_toIsEEEE10hipError_tPvRmT2_T3_mT4_T5_T6_T7_T8_P12ihipStream_tbENKUlT_T0_E_clISt17integral_constantIbLb1EES12_IbLb0EEEEDaSY_SZ_EUlSY_E_NS1_11comp_targetILNS1_3genE10ELNS1_11target_archE1201ELNS1_3gpuE5ELNS1_3repE0EEENS1_30default_config_static_selectorELNS0_4arch9wavefront6targetE1EEEvT1_,"axG",@progbits,_ZN7rocprim17ROCPRIM_400000_NS6detail17trampoline_kernelINS0_14default_configENS1_29reduce_by_key_config_selectorIslN6thrust23THRUST_200600_302600_NS4plusIlEEEEZZNS1_33reduce_by_key_impl_wrapped_configILNS1_25lookback_scan_determinismE0ES3_S9_PsNS6_17constant_iteratorIiNS6_11use_defaultESE_EENS6_10device_ptrIsEENSG_IlEEPmS8_NS6_8equal_toIsEEEE10hipError_tPvRmT2_T3_mT4_T5_T6_T7_T8_P12ihipStream_tbENKUlT_T0_E_clISt17integral_constantIbLb1EES12_IbLb0EEEEDaSY_SZ_EUlSY_E_NS1_11comp_targetILNS1_3genE10ELNS1_11target_archE1201ELNS1_3gpuE5ELNS1_3repE0EEENS1_30default_config_static_selectorELNS0_4arch9wavefront6targetE1EEEvT1_,comdat
	.protected	_ZN7rocprim17ROCPRIM_400000_NS6detail17trampoline_kernelINS0_14default_configENS1_29reduce_by_key_config_selectorIslN6thrust23THRUST_200600_302600_NS4plusIlEEEEZZNS1_33reduce_by_key_impl_wrapped_configILNS1_25lookback_scan_determinismE0ES3_S9_PsNS6_17constant_iteratorIiNS6_11use_defaultESE_EENS6_10device_ptrIsEENSG_IlEEPmS8_NS6_8equal_toIsEEEE10hipError_tPvRmT2_T3_mT4_T5_T6_T7_T8_P12ihipStream_tbENKUlT_T0_E_clISt17integral_constantIbLb1EES12_IbLb0EEEEDaSY_SZ_EUlSY_E_NS1_11comp_targetILNS1_3genE10ELNS1_11target_archE1201ELNS1_3gpuE5ELNS1_3repE0EEENS1_30default_config_static_selectorELNS0_4arch9wavefront6targetE1EEEvT1_ ; -- Begin function _ZN7rocprim17ROCPRIM_400000_NS6detail17trampoline_kernelINS0_14default_configENS1_29reduce_by_key_config_selectorIslN6thrust23THRUST_200600_302600_NS4plusIlEEEEZZNS1_33reduce_by_key_impl_wrapped_configILNS1_25lookback_scan_determinismE0ES3_S9_PsNS6_17constant_iteratorIiNS6_11use_defaultESE_EENS6_10device_ptrIsEENSG_IlEEPmS8_NS6_8equal_toIsEEEE10hipError_tPvRmT2_T3_mT4_T5_T6_T7_T8_P12ihipStream_tbENKUlT_T0_E_clISt17integral_constantIbLb1EES12_IbLb0EEEEDaSY_SZ_EUlSY_E_NS1_11comp_targetILNS1_3genE10ELNS1_11target_archE1201ELNS1_3gpuE5ELNS1_3repE0EEENS1_30default_config_static_selectorELNS0_4arch9wavefront6targetE1EEEvT1_
	.globl	_ZN7rocprim17ROCPRIM_400000_NS6detail17trampoline_kernelINS0_14default_configENS1_29reduce_by_key_config_selectorIslN6thrust23THRUST_200600_302600_NS4plusIlEEEEZZNS1_33reduce_by_key_impl_wrapped_configILNS1_25lookback_scan_determinismE0ES3_S9_PsNS6_17constant_iteratorIiNS6_11use_defaultESE_EENS6_10device_ptrIsEENSG_IlEEPmS8_NS6_8equal_toIsEEEE10hipError_tPvRmT2_T3_mT4_T5_T6_T7_T8_P12ihipStream_tbENKUlT_T0_E_clISt17integral_constantIbLb1EES12_IbLb0EEEEDaSY_SZ_EUlSY_E_NS1_11comp_targetILNS1_3genE10ELNS1_11target_archE1201ELNS1_3gpuE5ELNS1_3repE0EEENS1_30default_config_static_selectorELNS0_4arch9wavefront6targetE1EEEvT1_
	.p2align	8
	.type	_ZN7rocprim17ROCPRIM_400000_NS6detail17trampoline_kernelINS0_14default_configENS1_29reduce_by_key_config_selectorIslN6thrust23THRUST_200600_302600_NS4plusIlEEEEZZNS1_33reduce_by_key_impl_wrapped_configILNS1_25lookback_scan_determinismE0ES3_S9_PsNS6_17constant_iteratorIiNS6_11use_defaultESE_EENS6_10device_ptrIsEENSG_IlEEPmS8_NS6_8equal_toIsEEEE10hipError_tPvRmT2_T3_mT4_T5_T6_T7_T8_P12ihipStream_tbENKUlT_T0_E_clISt17integral_constantIbLb1EES12_IbLb0EEEEDaSY_SZ_EUlSY_E_NS1_11comp_targetILNS1_3genE10ELNS1_11target_archE1201ELNS1_3gpuE5ELNS1_3repE0EEENS1_30default_config_static_selectorELNS0_4arch9wavefront6targetE1EEEvT1_,@function
_ZN7rocprim17ROCPRIM_400000_NS6detail17trampoline_kernelINS0_14default_configENS1_29reduce_by_key_config_selectorIslN6thrust23THRUST_200600_302600_NS4plusIlEEEEZZNS1_33reduce_by_key_impl_wrapped_configILNS1_25lookback_scan_determinismE0ES3_S9_PsNS6_17constant_iteratorIiNS6_11use_defaultESE_EENS6_10device_ptrIsEENSG_IlEEPmS8_NS6_8equal_toIsEEEE10hipError_tPvRmT2_T3_mT4_T5_T6_T7_T8_P12ihipStream_tbENKUlT_T0_E_clISt17integral_constantIbLb1EES12_IbLb0EEEEDaSY_SZ_EUlSY_E_NS1_11comp_targetILNS1_3genE10ELNS1_11target_archE1201ELNS1_3gpuE5ELNS1_3repE0EEENS1_30default_config_static_selectorELNS0_4arch9wavefront6targetE1EEEvT1_: ; @_ZN7rocprim17ROCPRIM_400000_NS6detail17trampoline_kernelINS0_14default_configENS1_29reduce_by_key_config_selectorIslN6thrust23THRUST_200600_302600_NS4plusIlEEEEZZNS1_33reduce_by_key_impl_wrapped_configILNS1_25lookback_scan_determinismE0ES3_S9_PsNS6_17constant_iteratorIiNS6_11use_defaultESE_EENS6_10device_ptrIsEENSG_IlEEPmS8_NS6_8equal_toIsEEEE10hipError_tPvRmT2_T3_mT4_T5_T6_T7_T8_P12ihipStream_tbENKUlT_T0_E_clISt17integral_constantIbLb1EES12_IbLb0EEEEDaSY_SZ_EUlSY_E_NS1_11comp_targetILNS1_3genE10ELNS1_11target_archE1201ELNS1_3gpuE5ELNS1_3repE0EEENS1_30default_config_static_selectorELNS0_4arch9wavefront6targetE1EEEvT1_
; %bb.0:
	.section	.rodata,"a",@progbits
	.p2align	6, 0x0
	.amdhsa_kernel _ZN7rocprim17ROCPRIM_400000_NS6detail17trampoline_kernelINS0_14default_configENS1_29reduce_by_key_config_selectorIslN6thrust23THRUST_200600_302600_NS4plusIlEEEEZZNS1_33reduce_by_key_impl_wrapped_configILNS1_25lookback_scan_determinismE0ES3_S9_PsNS6_17constant_iteratorIiNS6_11use_defaultESE_EENS6_10device_ptrIsEENSG_IlEEPmS8_NS6_8equal_toIsEEEE10hipError_tPvRmT2_T3_mT4_T5_T6_T7_T8_P12ihipStream_tbENKUlT_T0_E_clISt17integral_constantIbLb1EES12_IbLb0EEEEDaSY_SZ_EUlSY_E_NS1_11comp_targetILNS1_3genE10ELNS1_11target_archE1201ELNS1_3gpuE5ELNS1_3repE0EEENS1_30default_config_static_selectorELNS0_4arch9wavefront6targetE1EEEvT1_
		.amdhsa_group_segment_fixed_size 0
		.amdhsa_private_segment_fixed_size 0
		.amdhsa_kernarg_size 144
		.amdhsa_user_sgpr_count 6
		.amdhsa_user_sgpr_private_segment_buffer 1
		.amdhsa_user_sgpr_dispatch_ptr 0
		.amdhsa_user_sgpr_queue_ptr 0
		.amdhsa_user_sgpr_kernarg_segment_ptr 1
		.amdhsa_user_sgpr_dispatch_id 0
		.amdhsa_user_sgpr_flat_scratch_init 0
		.amdhsa_user_sgpr_kernarg_preload_length 0
		.amdhsa_user_sgpr_kernarg_preload_offset 0
		.amdhsa_user_sgpr_private_segment_size 0
		.amdhsa_uses_dynamic_stack 0
		.amdhsa_system_sgpr_private_segment_wavefront_offset 0
		.amdhsa_system_sgpr_workgroup_id_x 1
		.amdhsa_system_sgpr_workgroup_id_y 0
		.amdhsa_system_sgpr_workgroup_id_z 0
		.amdhsa_system_sgpr_workgroup_info 0
		.amdhsa_system_vgpr_workitem_id 0
		.amdhsa_next_free_vgpr 1
		.amdhsa_next_free_sgpr 0
		.amdhsa_accum_offset 4
		.amdhsa_reserve_vcc 0
		.amdhsa_reserve_flat_scratch 0
		.amdhsa_float_round_mode_32 0
		.amdhsa_float_round_mode_16_64 0
		.amdhsa_float_denorm_mode_32 3
		.amdhsa_float_denorm_mode_16_64 3
		.amdhsa_dx10_clamp 1
		.amdhsa_ieee_mode 1
		.amdhsa_fp16_overflow 0
		.amdhsa_tg_split 0
		.amdhsa_exception_fp_ieee_invalid_op 0
		.amdhsa_exception_fp_denorm_src 0
		.amdhsa_exception_fp_ieee_div_zero 0
		.amdhsa_exception_fp_ieee_overflow 0
		.amdhsa_exception_fp_ieee_underflow 0
		.amdhsa_exception_fp_ieee_inexact 0
		.amdhsa_exception_int_div_zero 0
	.end_amdhsa_kernel
	.section	.text._ZN7rocprim17ROCPRIM_400000_NS6detail17trampoline_kernelINS0_14default_configENS1_29reduce_by_key_config_selectorIslN6thrust23THRUST_200600_302600_NS4plusIlEEEEZZNS1_33reduce_by_key_impl_wrapped_configILNS1_25lookback_scan_determinismE0ES3_S9_PsNS6_17constant_iteratorIiNS6_11use_defaultESE_EENS6_10device_ptrIsEENSG_IlEEPmS8_NS6_8equal_toIsEEEE10hipError_tPvRmT2_T3_mT4_T5_T6_T7_T8_P12ihipStream_tbENKUlT_T0_E_clISt17integral_constantIbLb1EES12_IbLb0EEEEDaSY_SZ_EUlSY_E_NS1_11comp_targetILNS1_3genE10ELNS1_11target_archE1201ELNS1_3gpuE5ELNS1_3repE0EEENS1_30default_config_static_selectorELNS0_4arch9wavefront6targetE1EEEvT1_,"axG",@progbits,_ZN7rocprim17ROCPRIM_400000_NS6detail17trampoline_kernelINS0_14default_configENS1_29reduce_by_key_config_selectorIslN6thrust23THRUST_200600_302600_NS4plusIlEEEEZZNS1_33reduce_by_key_impl_wrapped_configILNS1_25lookback_scan_determinismE0ES3_S9_PsNS6_17constant_iteratorIiNS6_11use_defaultESE_EENS6_10device_ptrIsEENSG_IlEEPmS8_NS6_8equal_toIsEEEE10hipError_tPvRmT2_T3_mT4_T5_T6_T7_T8_P12ihipStream_tbENKUlT_T0_E_clISt17integral_constantIbLb1EES12_IbLb0EEEEDaSY_SZ_EUlSY_E_NS1_11comp_targetILNS1_3genE10ELNS1_11target_archE1201ELNS1_3gpuE5ELNS1_3repE0EEENS1_30default_config_static_selectorELNS0_4arch9wavefront6targetE1EEEvT1_,comdat
.Lfunc_end1493:
	.size	_ZN7rocprim17ROCPRIM_400000_NS6detail17trampoline_kernelINS0_14default_configENS1_29reduce_by_key_config_selectorIslN6thrust23THRUST_200600_302600_NS4plusIlEEEEZZNS1_33reduce_by_key_impl_wrapped_configILNS1_25lookback_scan_determinismE0ES3_S9_PsNS6_17constant_iteratorIiNS6_11use_defaultESE_EENS6_10device_ptrIsEENSG_IlEEPmS8_NS6_8equal_toIsEEEE10hipError_tPvRmT2_T3_mT4_T5_T6_T7_T8_P12ihipStream_tbENKUlT_T0_E_clISt17integral_constantIbLb1EES12_IbLb0EEEEDaSY_SZ_EUlSY_E_NS1_11comp_targetILNS1_3genE10ELNS1_11target_archE1201ELNS1_3gpuE5ELNS1_3repE0EEENS1_30default_config_static_selectorELNS0_4arch9wavefront6targetE1EEEvT1_, .Lfunc_end1493-_ZN7rocprim17ROCPRIM_400000_NS6detail17trampoline_kernelINS0_14default_configENS1_29reduce_by_key_config_selectorIslN6thrust23THRUST_200600_302600_NS4plusIlEEEEZZNS1_33reduce_by_key_impl_wrapped_configILNS1_25lookback_scan_determinismE0ES3_S9_PsNS6_17constant_iteratorIiNS6_11use_defaultESE_EENS6_10device_ptrIsEENSG_IlEEPmS8_NS6_8equal_toIsEEEE10hipError_tPvRmT2_T3_mT4_T5_T6_T7_T8_P12ihipStream_tbENKUlT_T0_E_clISt17integral_constantIbLb1EES12_IbLb0EEEEDaSY_SZ_EUlSY_E_NS1_11comp_targetILNS1_3genE10ELNS1_11target_archE1201ELNS1_3gpuE5ELNS1_3repE0EEENS1_30default_config_static_selectorELNS0_4arch9wavefront6targetE1EEEvT1_
                                        ; -- End function
	.section	.AMDGPU.csdata,"",@progbits
; Kernel info:
; codeLenInByte = 0
; NumSgprs: 4
; NumVgprs: 0
; NumAgprs: 0
; TotalNumVgprs: 0
; ScratchSize: 0
; MemoryBound: 0
; FloatMode: 240
; IeeeMode: 1
; LDSByteSize: 0 bytes/workgroup (compile time only)
; SGPRBlocks: 0
; VGPRBlocks: 0
; NumSGPRsForWavesPerEU: 4
; NumVGPRsForWavesPerEU: 1
; AccumOffset: 4
; Occupancy: 8
; WaveLimiterHint : 0
; COMPUTE_PGM_RSRC2:SCRATCH_EN: 0
; COMPUTE_PGM_RSRC2:USER_SGPR: 6
; COMPUTE_PGM_RSRC2:TRAP_HANDLER: 0
; COMPUTE_PGM_RSRC2:TGID_X_EN: 1
; COMPUTE_PGM_RSRC2:TGID_Y_EN: 0
; COMPUTE_PGM_RSRC2:TGID_Z_EN: 0
; COMPUTE_PGM_RSRC2:TIDIG_COMP_CNT: 0
; COMPUTE_PGM_RSRC3_GFX90A:ACCUM_OFFSET: 0
; COMPUTE_PGM_RSRC3_GFX90A:TG_SPLIT: 0
	.section	.text._ZN7rocprim17ROCPRIM_400000_NS6detail17trampoline_kernelINS0_14default_configENS1_29reduce_by_key_config_selectorIslN6thrust23THRUST_200600_302600_NS4plusIlEEEEZZNS1_33reduce_by_key_impl_wrapped_configILNS1_25lookback_scan_determinismE0ES3_S9_PsNS6_17constant_iteratorIiNS6_11use_defaultESE_EENS6_10device_ptrIsEENSG_IlEEPmS8_NS6_8equal_toIsEEEE10hipError_tPvRmT2_T3_mT4_T5_T6_T7_T8_P12ihipStream_tbENKUlT_T0_E_clISt17integral_constantIbLb1EES12_IbLb0EEEEDaSY_SZ_EUlSY_E_NS1_11comp_targetILNS1_3genE10ELNS1_11target_archE1200ELNS1_3gpuE4ELNS1_3repE0EEENS1_30default_config_static_selectorELNS0_4arch9wavefront6targetE1EEEvT1_,"axG",@progbits,_ZN7rocprim17ROCPRIM_400000_NS6detail17trampoline_kernelINS0_14default_configENS1_29reduce_by_key_config_selectorIslN6thrust23THRUST_200600_302600_NS4plusIlEEEEZZNS1_33reduce_by_key_impl_wrapped_configILNS1_25lookback_scan_determinismE0ES3_S9_PsNS6_17constant_iteratorIiNS6_11use_defaultESE_EENS6_10device_ptrIsEENSG_IlEEPmS8_NS6_8equal_toIsEEEE10hipError_tPvRmT2_T3_mT4_T5_T6_T7_T8_P12ihipStream_tbENKUlT_T0_E_clISt17integral_constantIbLb1EES12_IbLb0EEEEDaSY_SZ_EUlSY_E_NS1_11comp_targetILNS1_3genE10ELNS1_11target_archE1200ELNS1_3gpuE4ELNS1_3repE0EEENS1_30default_config_static_selectorELNS0_4arch9wavefront6targetE1EEEvT1_,comdat
	.protected	_ZN7rocprim17ROCPRIM_400000_NS6detail17trampoline_kernelINS0_14default_configENS1_29reduce_by_key_config_selectorIslN6thrust23THRUST_200600_302600_NS4plusIlEEEEZZNS1_33reduce_by_key_impl_wrapped_configILNS1_25lookback_scan_determinismE0ES3_S9_PsNS6_17constant_iteratorIiNS6_11use_defaultESE_EENS6_10device_ptrIsEENSG_IlEEPmS8_NS6_8equal_toIsEEEE10hipError_tPvRmT2_T3_mT4_T5_T6_T7_T8_P12ihipStream_tbENKUlT_T0_E_clISt17integral_constantIbLb1EES12_IbLb0EEEEDaSY_SZ_EUlSY_E_NS1_11comp_targetILNS1_3genE10ELNS1_11target_archE1200ELNS1_3gpuE4ELNS1_3repE0EEENS1_30default_config_static_selectorELNS0_4arch9wavefront6targetE1EEEvT1_ ; -- Begin function _ZN7rocprim17ROCPRIM_400000_NS6detail17trampoline_kernelINS0_14default_configENS1_29reduce_by_key_config_selectorIslN6thrust23THRUST_200600_302600_NS4plusIlEEEEZZNS1_33reduce_by_key_impl_wrapped_configILNS1_25lookback_scan_determinismE0ES3_S9_PsNS6_17constant_iteratorIiNS6_11use_defaultESE_EENS6_10device_ptrIsEENSG_IlEEPmS8_NS6_8equal_toIsEEEE10hipError_tPvRmT2_T3_mT4_T5_T6_T7_T8_P12ihipStream_tbENKUlT_T0_E_clISt17integral_constantIbLb1EES12_IbLb0EEEEDaSY_SZ_EUlSY_E_NS1_11comp_targetILNS1_3genE10ELNS1_11target_archE1200ELNS1_3gpuE4ELNS1_3repE0EEENS1_30default_config_static_selectorELNS0_4arch9wavefront6targetE1EEEvT1_
	.globl	_ZN7rocprim17ROCPRIM_400000_NS6detail17trampoline_kernelINS0_14default_configENS1_29reduce_by_key_config_selectorIslN6thrust23THRUST_200600_302600_NS4plusIlEEEEZZNS1_33reduce_by_key_impl_wrapped_configILNS1_25lookback_scan_determinismE0ES3_S9_PsNS6_17constant_iteratorIiNS6_11use_defaultESE_EENS6_10device_ptrIsEENSG_IlEEPmS8_NS6_8equal_toIsEEEE10hipError_tPvRmT2_T3_mT4_T5_T6_T7_T8_P12ihipStream_tbENKUlT_T0_E_clISt17integral_constantIbLb1EES12_IbLb0EEEEDaSY_SZ_EUlSY_E_NS1_11comp_targetILNS1_3genE10ELNS1_11target_archE1200ELNS1_3gpuE4ELNS1_3repE0EEENS1_30default_config_static_selectorELNS0_4arch9wavefront6targetE1EEEvT1_
	.p2align	8
	.type	_ZN7rocprim17ROCPRIM_400000_NS6detail17trampoline_kernelINS0_14default_configENS1_29reduce_by_key_config_selectorIslN6thrust23THRUST_200600_302600_NS4plusIlEEEEZZNS1_33reduce_by_key_impl_wrapped_configILNS1_25lookback_scan_determinismE0ES3_S9_PsNS6_17constant_iteratorIiNS6_11use_defaultESE_EENS6_10device_ptrIsEENSG_IlEEPmS8_NS6_8equal_toIsEEEE10hipError_tPvRmT2_T3_mT4_T5_T6_T7_T8_P12ihipStream_tbENKUlT_T0_E_clISt17integral_constantIbLb1EES12_IbLb0EEEEDaSY_SZ_EUlSY_E_NS1_11comp_targetILNS1_3genE10ELNS1_11target_archE1200ELNS1_3gpuE4ELNS1_3repE0EEENS1_30default_config_static_selectorELNS0_4arch9wavefront6targetE1EEEvT1_,@function
_ZN7rocprim17ROCPRIM_400000_NS6detail17trampoline_kernelINS0_14default_configENS1_29reduce_by_key_config_selectorIslN6thrust23THRUST_200600_302600_NS4plusIlEEEEZZNS1_33reduce_by_key_impl_wrapped_configILNS1_25lookback_scan_determinismE0ES3_S9_PsNS6_17constant_iteratorIiNS6_11use_defaultESE_EENS6_10device_ptrIsEENSG_IlEEPmS8_NS6_8equal_toIsEEEE10hipError_tPvRmT2_T3_mT4_T5_T6_T7_T8_P12ihipStream_tbENKUlT_T0_E_clISt17integral_constantIbLb1EES12_IbLb0EEEEDaSY_SZ_EUlSY_E_NS1_11comp_targetILNS1_3genE10ELNS1_11target_archE1200ELNS1_3gpuE4ELNS1_3repE0EEENS1_30default_config_static_selectorELNS0_4arch9wavefront6targetE1EEEvT1_: ; @_ZN7rocprim17ROCPRIM_400000_NS6detail17trampoline_kernelINS0_14default_configENS1_29reduce_by_key_config_selectorIslN6thrust23THRUST_200600_302600_NS4plusIlEEEEZZNS1_33reduce_by_key_impl_wrapped_configILNS1_25lookback_scan_determinismE0ES3_S9_PsNS6_17constant_iteratorIiNS6_11use_defaultESE_EENS6_10device_ptrIsEENSG_IlEEPmS8_NS6_8equal_toIsEEEE10hipError_tPvRmT2_T3_mT4_T5_T6_T7_T8_P12ihipStream_tbENKUlT_T0_E_clISt17integral_constantIbLb1EES12_IbLb0EEEEDaSY_SZ_EUlSY_E_NS1_11comp_targetILNS1_3genE10ELNS1_11target_archE1200ELNS1_3gpuE4ELNS1_3repE0EEENS1_30default_config_static_selectorELNS0_4arch9wavefront6targetE1EEEvT1_
; %bb.0:
	.section	.rodata,"a",@progbits
	.p2align	6, 0x0
	.amdhsa_kernel _ZN7rocprim17ROCPRIM_400000_NS6detail17trampoline_kernelINS0_14default_configENS1_29reduce_by_key_config_selectorIslN6thrust23THRUST_200600_302600_NS4plusIlEEEEZZNS1_33reduce_by_key_impl_wrapped_configILNS1_25lookback_scan_determinismE0ES3_S9_PsNS6_17constant_iteratorIiNS6_11use_defaultESE_EENS6_10device_ptrIsEENSG_IlEEPmS8_NS6_8equal_toIsEEEE10hipError_tPvRmT2_T3_mT4_T5_T6_T7_T8_P12ihipStream_tbENKUlT_T0_E_clISt17integral_constantIbLb1EES12_IbLb0EEEEDaSY_SZ_EUlSY_E_NS1_11comp_targetILNS1_3genE10ELNS1_11target_archE1200ELNS1_3gpuE4ELNS1_3repE0EEENS1_30default_config_static_selectorELNS0_4arch9wavefront6targetE1EEEvT1_
		.amdhsa_group_segment_fixed_size 0
		.amdhsa_private_segment_fixed_size 0
		.amdhsa_kernarg_size 144
		.amdhsa_user_sgpr_count 6
		.amdhsa_user_sgpr_private_segment_buffer 1
		.amdhsa_user_sgpr_dispatch_ptr 0
		.amdhsa_user_sgpr_queue_ptr 0
		.amdhsa_user_sgpr_kernarg_segment_ptr 1
		.amdhsa_user_sgpr_dispatch_id 0
		.amdhsa_user_sgpr_flat_scratch_init 0
		.amdhsa_user_sgpr_kernarg_preload_length 0
		.amdhsa_user_sgpr_kernarg_preload_offset 0
		.amdhsa_user_sgpr_private_segment_size 0
		.amdhsa_uses_dynamic_stack 0
		.amdhsa_system_sgpr_private_segment_wavefront_offset 0
		.amdhsa_system_sgpr_workgroup_id_x 1
		.amdhsa_system_sgpr_workgroup_id_y 0
		.amdhsa_system_sgpr_workgroup_id_z 0
		.amdhsa_system_sgpr_workgroup_info 0
		.amdhsa_system_vgpr_workitem_id 0
		.amdhsa_next_free_vgpr 1
		.amdhsa_next_free_sgpr 0
		.amdhsa_accum_offset 4
		.amdhsa_reserve_vcc 0
		.amdhsa_reserve_flat_scratch 0
		.amdhsa_float_round_mode_32 0
		.amdhsa_float_round_mode_16_64 0
		.amdhsa_float_denorm_mode_32 3
		.amdhsa_float_denorm_mode_16_64 3
		.amdhsa_dx10_clamp 1
		.amdhsa_ieee_mode 1
		.amdhsa_fp16_overflow 0
		.amdhsa_tg_split 0
		.amdhsa_exception_fp_ieee_invalid_op 0
		.amdhsa_exception_fp_denorm_src 0
		.amdhsa_exception_fp_ieee_div_zero 0
		.amdhsa_exception_fp_ieee_overflow 0
		.amdhsa_exception_fp_ieee_underflow 0
		.amdhsa_exception_fp_ieee_inexact 0
		.amdhsa_exception_int_div_zero 0
	.end_amdhsa_kernel
	.section	.text._ZN7rocprim17ROCPRIM_400000_NS6detail17trampoline_kernelINS0_14default_configENS1_29reduce_by_key_config_selectorIslN6thrust23THRUST_200600_302600_NS4plusIlEEEEZZNS1_33reduce_by_key_impl_wrapped_configILNS1_25lookback_scan_determinismE0ES3_S9_PsNS6_17constant_iteratorIiNS6_11use_defaultESE_EENS6_10device_ptrIsEENSG_IlEEPmS8_NS6_8equal_toIsEEEE10hipError_tPvRmT2_T3_mT4_T5_T6_T7_T8_P12ihipStream_tbENKUlT_T0_E_clISt17integral_constantIbLb1EES12_IbLb0EEEEDaSY_SZ_EUlSY_E_NS1_11comp_targetILNS1_3genE10ELNS1_11target_archE1200ELNS1_3gpuE4ELNS1_3repE0EEENS1_30default_config_static_selectorELNS0_4arch9wavefront6targetE1EEEvT1_,"axG",@progbits,_ZN7rocprim17ROCPRIM_400000_NS6detail17trampoline_kernelINS0_14default_configENS1_29reduce_by_key_config_selectorIslN6thrust23THRUST_200600_302600_NS4plusIlEEEEZZNS1_33reduce_by_key_impl_wrapped_configILNS1_25lookback_scan_determinismE0ES3_S9_PsNS6_17constant_iteratorIiNS6_11use_defaultESE_EENS6_10device_ptrIsEENSG_IlEEPmS8_NS6_8equal_toIsEEEE10hipError_tPvRmT2_T3_mT4_T5_T6_T7_T8_P12ihipStream_tbENKUlT_T0_E_clISt17integral_constantIbLb1EES12_IbLb0EEEEDaSY_SZ_EUlSY_E_NS1_11comp_targetILNS1_3genE10ELNS1_11target_archE1200ELNS1_3gpuE4ELNS1_3repE0EEENS1_30default_config_static_selectorELNS0_4arch9wavefront6targetE1EEEvT1_,comdat
.Lfunc_end1494:
	.size	_ZN7rocprim17ROCPRIM_400000_NS6detail17trampoline_kernelINS0_14default_configENS1_29reduce_by_key_config_selectorIslN6thrust23THRUST_200600_302600_NS4plusIlEEEEZZNS1_33reduce_by_key_impl_wrapped_configILNS1_25lookback_scan_determinismE0ES3_S9_PsNS6_17constant_iteratorIiNS6_11use_defaultESE_EENS6_10device_ptrIsEENSG_IlEEPmS8_NS6_8equal_toIsEEEE10hipError_tPvRmT2_T3_mT4_T5_T6_T7_T8_P12ihipStream_tbENKUlT_T0_E_clISt17integral_constantIbLb1EES12_IbLb0EEEEDaSY_SZ_EUlSY_E_NS1_11comp_targetILNS1_3genE10ELNS1_11target_archE1200ELNS1_3gpuE4ELNS1_3repE0EEENS1_30default_config_static_selectorELNS0_4arch9wavefront6targetE1EEEvT1_, .Lfunc_end1494-_ZN7rocprim17ROCPRIM_400000_NS6detail17trampoline_kernelINS0_14default_configENS1_29reduce_by_key_config_selectorIslN6thrust23THRUST_200600_302600_NS4plusIlEEEEZZNS1_33reduce_by_key_impl_wrapped_configILNS1_25lookback_scan_determinismE0ES3_S9_PsNS6_17constant_iteratorIiNS6_11use_defaultESE_EENS6_10device_ptrIsEENSG_IlEEPmS8_NS6_8equal_toIsEEEE10hipError_tPvRmT2_T3_mT4_T5_T6_T7_T8_P12ihipStream_tbENKUlT_T0_E_clISt17integral_constantIbLb1EES12_IbLb0EEEEDaSY_SZ_EUlSY_E_NS1_11comp_targetILNS1_3genE10ELNS1_11target_archE1200ELNS1_3gpuE4ELNS1_3repE0EEENS1_30default_config_static_selectorELNS0_4arch9wavefront6targetE1EEEvT1_
                                        ; -- End function
	.section	.AMDGPU.csdata,"",@progbits
; Kernel info:
; codeLenInByte = 0
; NumSgprs: 4
; NumVgprs: 0
; NumAgprs: 0
; TotalNumVgprs: 0
; ScratchSize: 0
; MemoryBound: 0
; FloatMode: 240
; IeeeMode: 1
; LDSByteSize: 0 bytes/workgroup (compile time only)
; SGPRBlocks: 0
; VGPRBlocks: 0
; NumSGPRsForWavesPerEU: 4
; NumVGPRsForWavesPerEU: 1
; AccumOffset: 4
; Occupancy: 8
; WaveLimiterHint : 0
; COMPUTE_PGM_RSRC2:SCRATCH_EN: 0
; COMPUTE_PGM_RSRC2:USER_SGPR: 6
; COMPUTE_PGM_RSRC2:TRAP_HANDLER: 0
; COMPUTE_PGM_RSRC2:TGID_X_EN: 1
; COMPUTE_PGM_RSRC2:TGID_Y_EN: 0
; COMPUTE_PGM_RSRC2:TGID_Z_EN: 0
; COMPUTE_PGM_RSRC2:TIDIG_COMP_CNT: 0
; COMPUTE_PGM_RSRC3_GFX90A:ACCUM_OFFSET: 0
; COMPUTE_PGM_RSRC3_GFX90A:TG_SPLIT: 0
	.section	.text._ZN7rocprim17ROCPRIM_400000_NS6detail17trampoline_kernelINS0_14default_configENS1_29reduce_by_key_config_selectorIslN6thrust23THRUST_200600_302600_NS4plusIlEEEEZZNS1_33reduce_by_key_impl_wrapped_configILNS1_25lookback_scan_determinismE0ES3_S9_PsNS6_17constant_iteratorIiNS6_11use_defaultESE_EENS6_10device_ptrIsEENSG_IlEEPmS8_NS6_8equal_toIsEEEE10hipError_tPvRmT2_T3_mT4_T5_T6_T7_T8_P12ihipStream_tbENKUlT_T0_E_clISt17integral_constantIbLb1EES12_IbLb0EEEEDaSY_SZ_EUlSY_E_NS1_11comp_targetILNS1_3genE9ELNS1_11target_archE1100ELNS1_3gpuE3ELNS1_3repE0EEENS1_30default_config_static_selectorELNS0_4arch9wavefront6targetE1EEEvT1_,"axG",@progbits,_ZN7rocprim17ROCPRIM_400000_NS6detail17trampoline_kernelINS0_14default_configENS1_29reduce_by_key_config_selectorIslN6thrust23THRUST_200600_302600_NS4plusIlEEEEZZNS1_33reduce_by_key_impl_wrapped_configILNS1_25lookback_scan_determinismE0ES3_S9_PsNS6_17constant_iteratorIiNS6_11use_defaultESE_EENS6_10device_ptrIsEENSG_IlEEPmS8_NS6_8equal_toIsEEEE10hipError_tPvRmT2_T3_mT4_T5_T6_T7_T8_P12ihipStream_tbENKUlT_T0_E_clISt17integral_constantIbLb1EES12_IbLb0EEEEDaSY_SZ_EUlSY_E_NS1_11comp_targetILNS1_3genE9ELNS1_11target_archE1100ELNS1_3gpuE3ELNS1_3repE0EEENS1_30default_config_static_selectorELNS0_4arch9wavefront6targetE1EEEvT1_,comdat
	.protected	_ZN7rocprim17ROCPRIM_400000_NS6detail17trampoline_kernelINS0_14default_configENS1_29reduce_by_key_config_selectorIslN6thrust23THRUST_200600_302600_NS4plusIlEEEEZZNS1_33reduce_by_key_impl_wrapped_configILNS1_25lookback_scan_determinismE0ES3_S9_PsNS6_17constant_iteratorIiNS6_11use_defaultESE_EENS6_10device_ptrIsEENSG_IlEEPmS8_NS6_8equal_toIsEEEE10hipError_tPvRmT2_T3_mT4_T5_T6_T7_T8_P12ihipStream_tbENKUlT_T0_E_clISt17integral_constantIbLb1EES12_IbLb0EEEEDaSY_SZ_EUlSY_E_NS1_11comp_targetILNS1_3genE9ELNS1_11target_archE1100ELNS1_3gpuE3ELNS1_3repE0EEENS1_30default_config_static_selectorELNS0_4arch9wavefront6targetE1EEEvT1_ ; -- Begin function _ZN7rocprim17ROCPRIM_400000_NS6detail17trampoline_kernelINS0_14default_configENS1_29reduce_by_key_config_selectorIslN6thrust23THRUST_200600_302600_NS4plusIlEEEEZZNS1_33reduce_by_key_impl_wrapped_configILNS1_25lookback_scan_determinismE0ES3_S9_PsNS6_17constant_iteratorIiNS6_11use_defaultESE_EENS6_10device_ptrIsEENSG_IlEEPmS8_NS6_8equal_toIsEEEE10hipError_tPvRmT2_T3_mT4_T5_T6_T7_T8_P12ihipStream_tbENKUlT_T0_E_clISt17integral_constantIbLb1EES12_IbLb0EEEEDaSY_SZ_EUlSY_E_NS1_11comp_targetILNS1_3genE9ELNS1_11target_archE1100ELNS1_3gpuE3ELNS1_3repE0EEENS1_30default_config_static_selectorELNS0_4arch9wavefront6targetE1EEEvT1_
	.globl	_ZN7rocprim17ROCPRIM_400000_NS6detail17trampoline_kernelINS0_14default_configENS1_29reduce_by_key_config_selectorIslN6thrust23THRUST_200600_302600_NS4plusIlEEEEZZNS1_33reduce_by_key_impl_wrapped_configILNS1_25lookback_scan_determinismE0ES3_S9_PsNS6_17constant_iteratorIiNS6_11use_defaultESE_EENS6_10device_ptrIsEENSG_IlEEPmS8_NS6_8equal_toIsEEEE10hipError_tPvRmT2_T3_mT4_T5_T6_T7_T8_P12ihipStream_tbENKUlT_T0_E_clISt17integral_constantIbLb1EES12_IbLb0EEEEDaSY_SZ_EUlSY_E_NS1_11comp_targetILNS1_3genE9ELNS1_11target_archE1100ELNS1_3gpuE3ELNS1_3repE0EEENS1_30default_config_static_selectorELNS0_4arch9wavefront6targetE1EEEvT1_
	.p2align	8
	.type	_ZN7rocprim17ROCPRIM_400000_NS6detail17trampoline_kernelINS0_14default_configENS1_29reduce_by_key_config_selectorIslN6thrust23THRUST_200600_302600_NS4plusIlEEEEZZNS1_33reduce_by_key_impl_wrapped_configILNS1_25lookback_scan_determinismE0ES3_S9_PsNS6_17constant_iteratorIiNS6_11use_defaultESE_EENS6_10device_ptrIsEENSG_IlEEPmS8_NS6_8equal_toIsEEEE10hipError_tPvRmT2_T3_mT4_T5_T6_T7_T8_P12ihipStream_tbENKUlT_T0_E_clISt17integral_constantIbLb1EES12_IbLb0EEEEDaSY_SZ_EUlSY_E_NS1_11comp_targetILNS1_3genE9ELNS1_11target_archE1100ELNS1_3gpuE3ELNS1_3repE0EEENS1_30default_config_static_selectorELNS0_4arch9wavefront6targetE1EEEvT1_,@function
_ZN7rocprim17ROCPRIM_400000_NS6detail17trampoline_kernelINS0_14default_configENS1_29reduce_by_key_config_selectorIslN6thrust23THRUST_200600_302600_NS4plusIlEEEEZZNS1_33reduce_by_key_impl_wrapped_configILNS1_25lookback_scan_determinismE0ES3_S9_PsNS6_17constant_iteratorIiNS6_11use_defaultESE_EENS6_10device_ptrIsEENSG_IlEEPmS8_NS6_8equal_toIsEEEE10hipError_tPvRmT2_T3_mT4_T5_T6_T7_T8_P12ihipStream_tbENKUlT_T0_E_clISt17integral_constantIbLb1EES12_IbLb0EEEEDaSY_SZ_EUlSY_E_NS1_11comp_targetILNS1_3genE9ELNS1_11target_archE1100ELNS1_3gpuE3ELNS1_3repE0EEENS1_30default_config_static_selectorELNS0_4arch9wavefront6targetE1EEEvT1_: ; @_ZN7rocprim17ROCPRIM_400000_NS6detail17trampoline_kernelINS0_14default_configENS1_29reduce_by_key_config_selectorIslN6thrust23THRUST_200600_302600_NS4plusIlEEEEZZNS1_33reduce_by_key_impl_wrapped_configILNS1_25lookback_scan_determinismE0ES3_S9_PsNS6_17constant_iteratorIiNS6_11use_defaultESE_EENS6_10device_ptrIsEENSG_IlEEPmS8_NS6_8equal_toIsEEEE10hipError_tPvRmT2_T3_mT4_T5_T6_T7_T8_P12ihipStream_tbENKUlT_T0_E_clISt17integral_constantIbLb1EES12_IbLb0EEEEDaSY_SZ_EUlSY_E_NS1_11comp_targetILNS1_3genE9ELNS1_11target_archE1100ELNS1_3gpuE3ELNS1_3repE0EEENS1_30default_config_static_selectorELNS0_4arch9wavefront6targetE1EEEvT1_
; %bb.0:
	.section	.rodata,"a",@progbits
	.p2align	6, 0x0
	.amdhsa_kernel _ZN7rocprim17ROCPRIM_400000_NS6detail17trampoline_kernelINS0_14default_configENS1_29reduce_by_key_config_selectorIslN6thrust23THRUST_200600_302600_NS4plusIlEEEEZZNS1_33reduce_by_key_impl_wrapped_configILNS1_25lookback_scan_determinismE0ES3_S9_PsNS6_17constant_iteratorIiNS6_11use_defaultESE_EENS6_10device_ptrIsEENSG_IlEEPmS8_NS6_8equal_toIsEEEE10hipError_tPvRmT2_T3_mT4_T5_T6_T7_T8_P12ihipStream_tbENKUlT_T0_E_clISt17integral_constantIbLb1EES12_IbLb0EEEEDaSY_SZ_EUlSY_E_NS1_11comp_targetILNS1_3genE9ELNS1_11target_archE1100ELNS1_3gpuE3ELNS1_3repE0EEENS1_30default_config_static_selectorELNS0_4arch9wavefront6targetE1EEEvT1_
		.amdhsa_group_segment_fixed_size 0
		.amdhsa_private_segment_fixed_size 0
		.amdhsa_kernarg_size 144
		.amdhsa_user_sgpr_count 6
		.amdhsa_user_sgpr_private_segment_buffer 1
		.amdhsa_user_sgpr_dispatch_ptr 0
		.amdhsa_user_sgpr_queue_ptr 0
		.amdhsa_user_sgpr_kernarg_segment_ptr 1
		.amdhsa_user_sgpr_dispatch_id 0
		.amdhsa_user_sgpr_flat_scratch_init 0
		.amdhsa_user_sgpr_kernarg_preload_length 0
		.amdhsa_user_sgpr_kernarg_preload_offset 0
		.amdhsa_user_sgpr_private_segment_size 0
		.amdhsa_uses_dynamic_stack 0
		.amdhsa_system_sgpr_private_segment_wavefront_offset 0
		.amdhsa_system_sgpr_workgroup_id_x 1
		.amdhsa_system_sgpr_workgroup_id_y 0
		.amdhsa_system_sgpr_workgroup_id_z 0
		.amdhsa_system_sgpr_workgroup_info 0
		.amdhsa_system_vgpr_workitem_id 0
		.amdhsa_next_free_vgpr 1
		.amdhsa_next_free_sgpr 0
		.amdhsa_accum_offset 4
		.amdhsa_reserve_vcc 0
		.amdhsa_reserve_flat_scratch 0
		.amdhsa_float_round_mode_32 0
		.amdhsa_float_round_mode_16_64 0
		.amdhsa_float_denorm_mode_32 3
		.amdhsa_float_denorm_mode_16_64 3
		.amdhsa_dx10_clamp 1
		.amdhsa_ieee_mode 1
		.amdhsa_fp16_overflow 0
		.amdhsa_tg_split 0
		.amdhsa_exception_fp_ieee_invalid_op 0
		.amdhsa_exception_fp_denorm_src 0
		.amdhsa_exception_fp_ieee_div_zero 0
		.amdhsa_exception_fp_ieee_overflow 0
		.amdhsa_exception_fp_ieee_underflow 0
		.amdhsa_exception_fp_ieee_inexact 0
		.amdhsa_exception_int_div_zero 0
	.end_amdhsa_kernel
	.section	.text._ZN7rocprim17ROCPRIM_400000_NS6detail17trampoline_kernelINS0_14default_configENS1_29reduce_by_key_config_selectorIslN6thrust23THRUST_200600_302600_NS4plusIlEEEEZZNS1_33reduce_by_key_impl_wrapped_configILNS1_25lookback_scan_determinismE0ES3_S9_PsNS6_17constant_iteratorIiNS6_11use_defaultESE_EENS6_10device_ptrIsEENSG_IlEEPmS8_NS6_8equal_toIsEEEE10hipError_tPvRmT2_T3_mT4_T5_T6_T7_T8_P12ihipStream_tbENKUlT_T0_E_clISt17integral_constantIbLb1EES12_IbLb0EEEEDaSY_SZ_EUlSY_E_NS1_11comp_targetILNS1_3genE9ELNS1_11target_archE1100ELNS1_3gpuE3ELNS1_3repE0EEENS1_30default_config_static_selectorELNS0_4arch9wavefront6targetE1EEEvT1_,"axG",@progbits,_ZN7rocprim17ROCPRIM_400000_NS6detail17trampoline_kernelINS0_14default_configENS1_29reduce_by_key_config_selectorIslN6thrust23THRUST_200600_302600_NS4plusIlEEEEZZNS1_33reduce_by_key_impl_wrapped_configILNS1_25lookback_scan_determinismE0ES3_S9_PsNS6_17constant_iteratorIiNS6_11use_defaultESE_EENS6_10device_ptrIsEENSG_IlEEPmS8_NS6_8equal_toIsEEEE10hipError_tPvRmT2_T3_mT4_T5_T6_T7_T8_P12ihipStream_tbENKUlT_T0_E_clISt17integral_constantIbLb1EES12_IbLb0EEEEDaSY_SZ_EUlSY_E_NS1_11comp_targetILNS1_3genE9ELNS1_11target_archE1100ELNS1_3gpuE3ELNS1_3repE0EEENS1_30default_config_static_selectorELNS0_4arch9wavefront6targetE1EEEvT1_,comdat
.Lfunc_end1495:
	.size	_ZN7rocprim17ROCPRIM_400000_NS6detail17trampoline_kernelINS0_14default_configENS1_29reduce_by_key_config_selectorIslN6thrust23THRUST_200600_302600_NS4plusIlEEEEZZNS1_33reduce_by_key_impl_wrapped_configILNS1_25lookback_scan_determinismE0ES3_S9_PsNS6_17constant_iteratorIiNS6_11use_defaultESE_EENS6_10device_ptrIsEENSG_IlEEPmS8_NS6_8equal_toIsEEEE10hipError_tPvRmT2_T3_mT4_T5_T6_T7_T8_P12ihipStream_tbENKUlT_T0_E_clISt17integral_constantIbLb1EES12_IbLb0EEEEDaSY_SZ_EUlSY_E_NS1_11comp_targetILNS1_3genE9ELNS1_11target_archE1100ELNS1_3gpuE3ELNS1_3repE0EEENS1_30default_config_static_selectorELNS0_4arch9wavefront6targetE1EEEvT1_, .Lfunc_end1495-_ZN7rocprim17ROCPRIM_400000_NS6detail17trampoline_kernelINS0_14default_configENS1_29reduce_by_key_config_selectorIslN6thrust23THRUST_200600_302600_NS4plusIlEEEEZZNS1_33reduce_by_key_impl_wrapped_configILNS1_25lookback_scan_determinismE0ES3_S9_PsNS6_17constant_iteratorIiNS6_11use_defaultESE_EENS6_10device_ptrIsEENSG_IlEEPmS8_NS6_8equal_toIsEEEE10hipError_tPvRmT2_T3_mT4_T5_T6_T7_T8_P12ihipStream_tbENKUlT_T0_E_clISt17integral_constantIbLb1EES12_IbLb0EEEEDaSY_SZ_EUlSY_E_NS1_11comp_targetILNS1_3genE9ELNS1_11target_archE1100ELNS1_3gpuE3ELNS1_3repE0EEENS1_30default_config_static_selectorELNS0_4arch9wavefront6targetE1EEEvT1_
                                        ; -- End function
	.section	.AMDGPU.csdata,"",@progbits
; Kernel info:
; codeLenInByte = 0
; NumSgprs: 4
; NumVgprs: 0
; NumAgprs: 0
; TotalNumVgprs: 0
; ScratchSize: 0
; MemoryBound: 0
; FloatMode: 240
; IeeeMode: 1
; LDSByteSize: 0 bytes/workgroup (compile time only)
; SGPRBlocks: 0
; VGPRBlocks: 0
; NumSGPRsForWavesPerEU: 4
; NumVGPRsForWavesPerEU: 1
; AccumOffset: 4
; Occupancy: 8
; WaveLimiterHint : 0
; COMPUTE_PGM_RSRC2:SCRATCH_EN: 0
; COMPUTE_PGM_RSRC2:USER_SGPR: 6
; COMPUTE_PGM_RSRC2:TRAP_HANDLER: 0
; COMPUTE_PGM_RSRC2:TGID_X_EN: 1
; COMPUTE_PGM_RSRC2:TGID_Y_EN: 0
; COMPUTE_PGM_RSRC2:TGID_Z_EN: 0
; COMPUTE_PGM_RSRC2:TIDIG_COMP_CNT: 0
; COMPUTE_PGM_RSRC3_GFX90A:ACCUM_OFFSET: 0
; COMPUTE_PGM_RSRC3_GFX90A:TG_SPLIT: 0
	.section	.text._ZN7rocprim17ROCPRIM_400000_NS6detail17trampoline_kernelINS0_14default_configENS1_29reduce_by_key_config_selectorIslN6thrust23THRUST_200600_302600_NS4plusIlEEEEZZNS1_33reduce_by_key_impl_wrapped_configILNS1_25lookback_scan_determinismE0ES3_S9_PsNS6_17constant_iteratorIiNS6_11use_defaultESE_EENS6_10device_ptrIsEENSG_IlEEPmS8_NS6_8equal_toIsEEEE10hipError_tPvRmT2_T3_mT4_T5_T6_T7_T8_P12ihipStream_tbENKUlT_T0_E_clISt17integral_constantIbLb1EES12_IbLb0EEEEDaSY_SZ_EUlSY_E_NS1_11comp_targetILNS1_3genE8ELNS1_11target_archE1030ELNS1_3gpuE2ELNS1_3repE0EEENS1_30default_config_static_selectorELNS0_4arch9wavefront6targetE1EEEvT1_,"axG",@progbits,_ZN7rocprim17ROCPRIM_400000_NS6detail17trampoline_kernelINS0_14default_configENS1_29reduce_by_key_config_selectorIslN6thrust23THRUST_200600_302600_NS4plusIlEEEEZZNS1_33reduce_by_key_impl_wrapped_configILNS1_25lookback_scan_determinismE0ES3_S9_PsNS6_17constant_iteratorIiNS6_11use_defaultESE_EENS6_10device_ptrIsEENSG_IlEEPmS8_NS6_8equal_toIsEEEE10hipError_tPvRmT2_T3_mT4_T5_T6_T7_T8_P12ihipStream_tbENKUlT_T0_E_clISt17integral_constantIbLb1EES12_IbLb0EEEEDaSY_SZ_EUlSY_E_NS1_11comp_targetILNS1_3genE8ELNS1_11target_archE1030ELNS1_3gpuE2ELNS1_3repE0EEENS1_30default_config_static_selectorELNS0_4arch9wavefront6targetE1EEEvT1_,comdat
	.protected	_ZN7rocprim17ROCPRIM_400000_NS6detail17trampoline_kernelINS0_14default_configENS1_29reduce_by_key_config_selectorIslN6thrust23THRUST_200600_302600_NS4plusIlEEEEZZNS1_33reduce_by_key_impl_wrapped_configILNS1_25lookback_scan_determinismE0ES3_S9_PsNS6_17constant_iteratorIiNS6_11use_defaultESE_EENS6_10device_ptrIsEENSG_IlEEPmS8_NS6_8equal_toIsEEEE10hipError_tPvRmT2_T3_mT4_T5_T6_T7_T8_P12ihipStream_tbENKUlT_T0_E_clISt17integral_constantIbLb1EES12_IbLb0EEEEDaSY_SZ_EUlSY_E_NS1_11comp_targetILNS1_3genE8ELNS1_11target_archE1030ELNS1_3gpuE2ELNS1_3repE0EEENS1_30default_config_static_selectorELNS0_4arch9wavefront6targetE1EEEvT1_ ; -- Begin function _ZN7rocprim17ROCPRIM_400000_NS6detail17trampoline_kernelINS0_14default_configENS1_29reduce_by_key_config_selectorIslN6thrust23THRUST_200600_302600_NS4plusIlEEEEZZNS1_33reduce_by_key_impl_wrapped_configILNS1_25lookback_scan_determinismE0ES3_S9_PsNS6_17constant_iteratorIiNS6_11use_defaultESE_EENS6_10device_ptrIsEENSG_IlEEPmS8_NS6_8equal_toIsEEEE10hipError_tPvRmT2_T3_mT4_T5_T6_T7_T8_P12ihipStream_tbENKUlT_T0_E_clISt17integral_constantIbLb1EES12_IbLb0EEEEDaSY_SZ_EUlSY_E_NS1_11comp_targetILNS1_3genE8ELNS1_11target_archE1030ELNS1_3gpuE2ELNS1_3repE0EEENS1_30default_config_static_selectorELNS0_4arch9wavefront6targetE1EEEvT1_
	.globl	_ZN7rocprim17ROCPRIM_400000_NS6detail17trampoline_kernelINS0_14default_configENS1_29reduce_by_key_config_selectorIslN6thrust23THRUST_200600_302600_NS4plusIlEEEEZZNS1_33reduce_by_key_impl_wrapped_configILNS1_25lookback_scan_determinismE0ES3_S9_PsNS6_17constant_iteratorIiNS6_11use_defaultESE_EENS6_10device_ptrIsEENSG_IlEEPmS8_NS6_8equal_toIsEEEE10hipError_tPvRmT2_T3_mT4_T5_T6_T7_T8_P12ihipStream_tbENKUlT_T0_E_clISt17integral_constantIbLb1EES12_IbLb0EEEEDaSY_SZ_EUlSY_E_NS1_11comp_targetILNS1_3genE8ELNS1_11target_archE1030ELNS1_3gpuE2ELNS1_3repE0EEENS1_30default_config_static_selectorELNS0_4arch9wavefront6targetE1EEEvT1_
	.p2align	8
	.type	_ZN7rocprim17ROCPRIM_400000_NS6detail17trampoline_kernelINS0_14default_configENS1_29reduce_by_key_config_selectorIslN6thrust23THRUST_200600_302600_NS4plusIlEEEEZZNS1_33reduce_by_key_impl_wrapped_configILNS1_25lookback_scan_determinismE0ES3_S9_PsNS6_17constant_iteratorIiNS6_11use_defaultESE_EENS6_10device_ptrIsEENSG_IlEEPmS8_NS6_8equal_toIsEEEE10hipError_tPvRmT2_T3_mT4_T5_T6_T7_T8_P12ihipStream_tbENKUlT_T0_E_clISt17integral_constantIbLb1EES12_IbLb0EEEEDaSY_SZ_EUlSY_E_NS1_11comp_targetILNS1_3genE8ELNS1_11target_archE1030ELNS1_3gpuE2ELNS1_3repE0EEENS1_30default_config_static_selectorELNS0_4arch9wavefront6targetE1EEEvT1_,@function
_ZN7rocprim17ROCPRIM_400000_NS6detail17trampoline_kernelINS0_14default_configENS1_29reduce_by_key_config_selectorIslN6thrust23THRUST_200600_302600_NS4plusIlEEEEZZNS1_33reduce_by_key_impl_wrapped_configILNS1_25lookback_scan_determinismE0ES3_S9_PsNS6_17constant_iteratorIiNS6_11use_defaultESE_EENS6_10device_ptrIsEENSG_IlEEPmS8_NS6_8equal_toIsEEEE10hipError_tPvRmT2_T3_mT4_T5_T6_T7_T8_P12ihipStream_tbENKUlT_T0_E_clISt17integral_constantIbLb1EES12_IbLb0EEEEDaSY_SZ_EUlSY_E_NS1_11comp_targetILNS1_3genE8ELNS1_11target_archE1030ELNS1_3gpuE2ELNS1_3repE0EEENS1_30default_config_static_selectorELNS0_4arch9wavefront6targetE1EEEvT1_: ; @_ZN7rocprim17ROCPRIM_400000_NS6detail17trampoline_kernelINS0_14default_configENS1_29reduce_by_key_config_selectorIslN6thrust23THRUST_200600_302600_NS4plusIlEEEEZZNS1_33reduce_by_key_impl_wrapped_configILNS1_25lookback_scan_determinismE0ES3_S9_PsNS6_17constant_iteratorIiNS6_11use_defaultESE_EENS6_10device_ptrIsEENSG_IlEEPmS8_NS6_8equal_toIsEEEE10hipError_tPvRmT2_T3_mT4_T5_T6_T7_T8_P12ihipStream_tbENKUlT_T0_E_clISt17integral_constantIbLb1EES12_IbLb0EEEEDaSY_SZ_EUlSY_E_NS1_11comp_targetILNS1_3genE8ELNS1_11target_archE1030ELNS1_3gpuE2ELNS1_3repE0EEENS1_30default_config_static_selectorELNS0_4arch9wavefront6targetE1EEEvT1_
; %bb.0:
	.section	.rodata,"a",@progbits
	.p2align	6, 0x0
	.amdhsa_kernel _ZN7rocprim17ROCPRIM_400000_NS6detail17trampoline_kernelINS0_14default_configENS1_29reduce_by_key_config_selectorIslN6thrust23THRUST_200600_302600_NS4plusIlEEEEZZNS1_33reduce_by_key_impl_wrapped_configILNS1_25lookback_scan_determinismE0ES3_S9_PsNS6_17constant_iteratorIiNS6_11use_defaultESE_EENS6_10device_ptrIsEENSG_IlEEPmS8_NS6_8equal_toIsEEEE10hipError_tPvRmT2_T3_mT4_T5_T6_T7_T8_P12ihipStream_tbENKUlT_T0_E_clISt17integral_constantIbLb1EES12_IbLb0EEEEDaSY_SZ_EUlSY_E_NS1_11comp_targetILNS1_3genE8ELNS1_11target_archE1030ELNS1_3gpuE2ELNS1_3repE0EEENS1_30default_config_static_selectorELNS0_4arch9wavefront6targetE1EEEvT1_
		.amdhsa_group_segment_fixed_size 0
		.amdhsa_private_segment_fixed_size 0
		.amdhsa_kernarg_size 144
		.amdhsa_user_sgpr_count 6
		.amdhsa_user_sgpr_private_segment_buffer 1
		.amdhsa_user_sgpr_dispatch_ptr 0
		.amdhsa_user_sgpr_queue_ptr 0
		.amdhsa_user_sgpr_kernarg_segment_ptr 1
		.amdhsa_user_sgpr_dispatch_id 0
		.amdhsa_user_sgpr_flat_scratch_init 0
		.amdhsa_user_sgpr_kernarg_preload_length 0
		.amdhsa_user_sgpr_kernarg_preload_offset 0
		.amdhsa_user_sgpr_private_segment_size 0
		.amdhsa_uses_dynamic_stack 0
		.amdhsa_system_sgpr_private_segment_wavefront_offset 0
		.amdhsa_system_sgpr_workgroup_id_x 1
		.amdhsa_system_sgpr_workgroup_id_y 0
		.amdhsa_system_sgpr_workgroup_id_z 0
		.amdhsa_system_sgpr_workgroup_info 0
		.amdhsa_system_vgpr_workitem_id 0
		.amdhsa_next_free_vgpr 1
		.amdhsa_next_free_sgpr 0
		.amdhsa_accum_offset 4
		.amdhsa_reserve_vcc 0
		.amdhsa_reserve_flat_scratch 0
		.amdhsa_float_round_mode_32 0
		.amdhsa_float_round_mode_16_64 0
		.amdhsa_float_denorm_mode_32 3
		.amdhsa_float_denorm_mode_16_64 3
		.amdhsa_dx10_clamp 1
		.amdhsa_ieee_mode 1
		.amdhsa_fp16_overflow 0
		.amdhsa_tg_split 0
		.amdhsa_exception_fp_ieee_invalid_op 0
		.amdhsa_exception_fp_denorm_src 0
		.amdhsa_exception_fp_ieee_div_zero 0
		.amdhsa_exception_fp_ieee_overflow 0
		.amdhsa_exception_fp_ieee_underflow 0
		.amdhsa_exception_fp_ieee_inexact 0
		.amdhsa_exception_int_div_zero 0
	.end_amdhsa_kernel
	.section	.text._ZN7rocprim17ROCPRIM_400000_NS6detail17trampoline_kernelINS0_14default_configENS1_29reduce_by_key_config_selectorIslN6thrust23THRUST_200600_302600_NS4plusIlEEEEZZNS1_33reduce_by_key_impl_wrapped_configILNS1_25lookback_scan_determinismE0ES3_S9_PsNS6_17constant_iteratorIiNS6_11use_defaultESE_EENS6_10device_ptrIsEENSG_IlEEPmS8_NS6_8equal_toIsEEEE10hipError_tPvRmT2_T3_mT4_T5_T6_T7_T8_P12ihipStream_tbENKUlT_T0_E_clISt17integral_constantIbLb1EES12_IbLb0EEEEDaSY_SZ_EUlSY_E_NS1_11comp_targetILNS1_3genE8ELNS1_11target_archE1030ELNS1_3gpuE2ELNS1_3repE0EEENS1_30default_config_static_selectorELNS0_4arch9wavefront6targetE1EEEvT1_,"axG",@progbits,_ZN7rocprim17ROCPRIM_400000_NS6detail17trampoline_kernelINS0_14default_configENS1_29reduce_by_key_config_selectorIslN6thrust23THRUST_200600_302600_NS4plusIlEEEEZZNS1_33reduce_by_key_impl_wrapped_configILNS1_25lookback_scan_determinismE0ES3_S9_PsNS6_17constant_iteratorIiNS6_11use_defaultESE_EENS6_10device_ptrIsEENSG_IlEEPmS8_NS6_8equal_toIsEEEE10hipError_tPvRmT2_T3_mT4_T5_T6_T7_T8_P12ihipStream_tbENKUlT_T0_E_clISt17integral_constantIbLb1EES12_IbLb0EEEEDaSY_SZ_EUlSY_E_NS1_11comp_targetILNS1_3genE8ELNS1_11target_archE1030ELNS1_3gpuE2ELNS1_3repE0EEENS1_30default_config_static_selectorELNS0_4arch9wavefront6targetE1EEEvT1_,comdat
.Lfunc_end1496:
	.size	_ZN7rocprim17ROCPRIM_400000_NS6detail17trampoline_kernelINS0_14default_configENS1_29reduce_by_key_config_selectorIslN6thrust23THRUST_200600_302600_NS4plusIlEEEEZZNS1_33reduce_by_key_impl_wrapped_configILNS1_25lookback_scan_determinismE0ES3_S9_PsNS6_17constant_iteratorIiNS6_11use_defaultESE_EENS6_10device_ptrIsEENSG_IlEEPmS8_NS6_8equal_toIsEEEE10hipError_tPvRmT2_T3_mT4_T5_T6_T7_T8_P12ihipStream_tbENKUlT_T0_E_clISt17integral_constantIbLb1EES12_IbLb0EEEEDaSY_SZ_EUlSY_E_NS1_11comp_targetILNS1_3genE8ELNS1_11target_archE1030ELNS1_3gpuE2ELNS1_3repE0EEENS1_30default_config_static_selectorELNS0_4arch9wavefront6targetE1EEEvT1_, .Lfunc_end1496-_ZN7rocprim17ROCPRIM_400000_NS6detail17trampoline_kernelINS0_14default_configENS1_29reduce_by_key_config_selectorIslN6thrust23THRUST_200600_302600_NS4plusIlEEEEZZNS1_33reduce_by_key_impl_wrapped_configILNS1_25lookback_scan_determinismE0ES3_S9_PsNS6_17constant_iteratorIiNS6_11use_defaultESE_EENS6_10device_ptrIsEENSG_IlEEPmS8_NS6_8equal_toIsEEEE10hipError_tPvRmT2_T3_mT4_T5_T6_T7_T8_P12ihipStream_tbENKUlT_T0_E_clISt17integral_constantIbLb1EES12_IbLb0EEEEDaSY_SZ_EUlSY_E_NS1_11comp_targetILNS1_3genE8ELNS1_11target_archE1030ELNS1_3gpuE2ELNS1_3repE0EEENS1_30default_config_static_selectorELNS0_4arch9wavefront6targetE1EEEvT1_
                                        ; -- End function
	.section	.AMDGPU.csdata,"",@progbits
; Kernel info:
; codeLenInByte = 0
; NumSgprs: 4
; NumVgprs: 0
; NumAgprs: 0
; TotalNumVgprs: 0
; ScratchSize: 0
; MemoryBound: 0
; FloatMode: 240
; IeeeMode: 1
; LDSByteSize: 0 bytes/workgroup (compile time only)
; SGPRBlocks: 0
; VGPRBlocks: 0
; NumSGPRsForWavesPerEU: 4
; NumVGPRsForWavesPerEU: 1
; AccumOffset: 4
; Occupancy: 8
; WaveLimiterHint : 0
; COMPUTE_PGM_RSRC2:SCRATCH_EN: 0
; COMPUTE_PGM_RSRC2:USER_SGPR: 6
; COMPUTE_PGM_RSRC2:TRAP_HANDLER: 0
; COMPUTE_PGM_RSRC2:TGID_X_EN: 1
; COMPUTE_PGM_RSRC2:TGID_Y_EN: 0
; COMPUTE_PGM_RSRC2:TGID_Z_EN: 0
; COMPUTE_PGM_RSRC2:TIDIG_COMP_CNT: 0
; COMPUTE_PGM_RSRC3_GFX90A:ACCUM_OFFSET: 0
; COMPUTE_PGM_RSRC3_GFX90A:TG_SPLIT: 0
	.section	.text._ZN7rocprim17ROCPRIM_400000_NS6detail17trampoline_kernelINS0_14default_configENS1_29reduce_by_key_config_selectorIslN6thrust23THRUST_200600_302600_NS4plusIlEEEEZZNS1_33reduce_by_key_impl_wrapped_configILNS1_25lookback_scan_determinismE0ES3_S9_PsNS6_17constant_iteratorIiNS6_11use_defaultESE_EENS6_10device_ptrIsEENSG_IlEEPmS8_NS6_8equal_toIsEEEE10hipError_tPvRmT2_T3_mT4_T5_T6_T7_T8_P12ihipStream_tbENKUlT_T0_E_clISt17integral_constantIbLb0EES12_IbLb1EEEEDaSY_SZ_EUlSY_E_NS1_11comp_targetILNS1_3genE0ELNS1_11target_archE4294967295ELNS1_3gpuE0ELNS1_3repE0EEENS1_30default_config_static_selectorELNS0_4arch9wavefront6targetE1EEEvT1_,"axG",@progbits,_ZN7rocprim17ROCPRIM_400000_NS6detail17trampoline_kernelINS0_14default_configENS1_29reduce_by_key_config_selectorIslN6thrust23THRUST_200600_302600_NS4plusIlEEEEZZNS1_33reduce_by_key_impl_wrapped_configILNS1_25lookback_scan_determinismE0ES3_S9_PsNS6_17constant_iteratorIiNS6_11use_defaultESE_EENS6_10device_ptrIsEENSG_IlEEPmS8_NS6_8equal_toIsEEEE10hipError_tPvRmT2_T3_mT4_T5_T6_T7_T8_P12ihipStream_tbENKUlT_T0_E_clISt17integral_constantIbLb0EES12_IbLb1EEEEDaSY_SZ_EUlSY_E_NS1_11comp_targetILNS1_3genE0ELNS1_11target_archE4294967295ELNS1_3gpuE0ELNS1_3repE0EEENS1_30default_config_static_selectorELNS0_4arch9wavefront6targetE1EEEvT1_,comdat
	.protected	_ZN7rocprim17ROCPRIM_400000_NS6detail17trampoline_kernelINS0_14default_configENS1_29reduce_by_key_config_selectorIslN6thrust23THRUST_200600_302600_NS4plusIlEEEEZZNS1_33reduce_by_key_impl_wrapped_configILNS1_25lookback_scan_determinismE0ES3_S9_PsNS6_17constant_iteratorIiNS6_11use_defaultESE_EENS6_10device_ptrIsEENSG_IlEEPmS8_NS6_8equal_toIsEEEE10hipError_tPvRmT2_T3_mT4_T5_T6_T7_T8_P12ihipStream_tbENKUlT_T0_E_clISt17integral_constantIbLb0EES12_IbLb1EEEEDaSY_SZ_EUlSY_E_NS1_11comp_targetILNS1_3genE0ELNS1_11target_archE4294967295ELNS1_3gpuE0ELNS1_3repE0EEENS1_30default_config_static_selectorELNS0_4arch9wavefront6targetE1EEEvT1_ ; -- Begin function _ZN7rocprim17ROCPRIM_400000_NS6detail17trampoline_kernelINS0_14default_configENS1_29reduce_by_key_config_selectorIslN6thrust23THRUST_200600_302600_NS4plusIlEEEEZZNS1_33reduce_by_key_impl_wrapped_configILNS1_25lookback_scan_determinismE0ES3_S9_PsNS6_17constant_iteratorIiNS6_11use_defaultESE_EENS6_10device_ptrIsEENSG_IlEEPmS8_NS6_8equal_toIsEEEE10hipError_tPvRmT2_T3_mT4_T5_T6_T7_T8_P12ihipStream_tbENKUlT_T0_E_clISt17integral_constantIbLb0EES12_IbLb1EEEEDaSY_SZ_EUlSY_E_NS1_11comp_targetILNS1_3genE0ELNS1_11target_archE4294967295ELNS1_3gpuE0ELNS1_3repE0EEENS1_30default_config_static_selectorELNS0_4arch9wavefront6targetE1EEEvT1_
	.globl	_ZN7rocprim17ROCPRIM_400000_NS6detail17trampoline_kernelINS0_14default_configENS1_29reduce_by_key_config_selectorIslN6thrust23THRUST_200600_302600_NS4plusIlEEEEZZNS1_33reduce_by_key_impl_wrapped_configILNS1_25lookback_scan_determinismE0ES3_S9_PsNS6_17constant_iteratorIiNS6_11use_defaultESE_EENS6_10device_ptrIsEENSG_IlEEPmS8_NS6_8equal_toIsEEEE10hipError_tPvRmT2_T3_mT4_T5_T6_T7_T8_P12ihipStream_tbENKUlT_T0_E_clISt17integral_constantIbLb0EES12_IbLb1EEEEDaSY_SZ_EUlSY_E_NS1_11comp_targetILNS1_3genE0ELNS1_11target_archE4294967295ELNS1_3gpuE0ELNS1_3repE0EEENS1_30default_config_static_selectorELNS0_4arch9wavefront6targetE1EEEvT1_
	.p2align	8
	.type	_ZN7rocprim17ROCPRIM_400000_NS6detail17trampoline_kernelINS0_14default_configENS1_29reduce_by_key_config_selectorIslN6thrust23THRUST_200600_302600_NS4plusIlEEEEZZNS1_33reduce_by_key_impl_wrapped_configILNS1_25lookback_scan_determinismE0ES3_S9_PsNS6_17constant_iteratorIiNS6_11use_defaultESE_EENS6_10device_ptrIsEENSG_IlEEPmS8_NS6_8equal_toIsEEEE10hipError_tPvRmT2_T3_mT4_T5_T6_T7_T8_P12ihipStream_tbENKUlT_T0_E_clISt17integral_constantIbLb0EES12_IbLb1EEEEDaSY_SZ_EUlSY_E_NS1_11comp_targetILNS1_3genE0ELNS1_11target_archE4294967295ELNS1_3gpuE0ELNS1_3repE0EEENS1_30default_config_static_selectorELNS0_4arch9wavefront6targetE1EEEvT1_,@function
_ZN7rocprim17ROCPRIM_400000_NS6detail17trampoline_kernelINS0_14default_configENS1_29reduce_by_key_config_selectorIslN6thrust23THRUST_200600_302600_NS4plusIlEEEEZZNS1_33reduce_by_key_impl_wrapped_configILNS1_25lookback_scan_determinismE0ES3_S9_PsNS6_17constant_iteratorIiNS6_11use_defaultESE_EENS6_10device_ptrIsEENSG_IlEEPmS8_NS6_8equal_toIsEEEE10hipError_tPvRmT2_T3_mT4_T5_T6_T7_T8_P12ihipStream_tbENKUlT_T0_E_clISt17integral_constantIbLb0EES12_IbLb1EEEEDaSY_SZ_EUlSY_E_NS1_11comp_targetILNS1_3genE0ELNS1_11target_archE4294967295ELNS1_3gpuE0ELNS1_3repE0EEENS1_30default_config_static_selectorELNS0_4arch9wavefront6targetE1EEEvT1_: ; @_ZN7rocprim17ROCPRIM_400000_NS6detail17trampoline_kernelINS0_14default_configENS1_29reduce_by_key_config_selectorIslN6thrust23THRUST_200600_302600_NS4plusIlEEEEZZNS1_33reduce_by_key_impl_wrapped_configILNS1_25lookback_scan_determinismE0ES3_S9_PsNS6_17constant_iteratorIiNS6_11use_defaultESE_EENS6_10device_ptrIsEENSG_IlEEPmS8_NS6_8equal_toIsEEEE10hipError_tPvRmT2_T3_mT4_T5_T6_T7_T8_P12ihipStream_tbENKUlT_T0_E_clISt17integral_constantIbLb0EES12_IbLb1EEEEDaSY_SZ_EUlSY_E_NS1_11comp_targetILNS1_3genE0ELNS1_11target_archE4294967295ELNS1_3gpuE0ELNS1_3repE0EEENS1_30default_config_static_selectorELNS0_4arch9wavefront6targetE1EEEvT1_
; %bb.0:
	.section	.rodata,"a",@progbits
	.p2align	6, 0x0
	.amdhsa_kernel _ZN7rocprim17ROCPRIM_400000_NS6detail17trampoline_kernelINS0_14default_configENS1_29reduce_by_key_config_selectorIslN6thrust23THRUST_200600_302600_NS4plusIlEEEEZZNS1_33reduce_by_key_impl_wrapped_configILNS1_25lookback_scan_determinismE0ES3_S9_PsNS6_17constant_iteratorIiNS6_11use_defaultESE_EENS6_10device_ptrIsEENSG_IlEEPmS8_NS6_8equal_toIsEEEE10hipError_tPvRmT2_T3_mT4_T5_T6_T7_T8_P12ihipStream_tbENKUlT_T0_E_clISt17integral_constantIbLb0EES12_IbLb1EEEEDaSY_SZ_EUlSY_E_NS1_11comp_targetILNS1_3genE0ELNS1_11target_archE4294967295ELNS1_3gpuE0ELNS1_3repE0EEENS1_30default_config_static_selectorELNS0_4arch9wavefront6targetE1EEEvT1_
		.amdhsa_group_segment_fixed_size 0
		.amdhsa_private_segment_fixed_size 0
		.amdhsa_kernarg_size 144
		.amdhsa_user_sgpr_count 6
		.amdhsa_user_sgpr_private_segment_buffer 1
		.amdhsa_user_sgpr_dispatch_ptr 0
		.amdhsa_user_sgpr_queue_ptr 0
		.amdhsa_user_sgpr_kernarg_segment_ptr 1
		.amdhsa_user_sgpr_dispatch_id 0
		.amdhsa_user_sgpr_flat_scratch_init 0
		.amdhsa_user_sgpr_kernarg_preload_length 0
		.amdhsa_user_sgpr_kernarg_preload_offset 0
		.amdhsa_user_sgpr_private_segment_size 0
		.amdhsa_uses_dynamic_stack 0
		.amdhsa_system_sgpr_private_segment_wavefront_offset 0
		.amdhsa_system_sgpr_workgroup_id_x 1
		.amdhsa_system_sgpr_workgroup_id_y 0
		.amdhsa_system_sgpr_workgroup_id_z 0
		.amdhsa_system_sgpr_workgroup_info 0
		.amdhsa_system_vgpr_workitem_id 0
		.amdhsa_next_free_vgpr 1
		.amdhsa_next_free_sgpr 0
		.amdhsa_accum_offset 4
		.amdhsa_reserve_vcc 0
		.amdhsa_reserve_flat_scratch 0
		.amdhsa_float_round_mode_32 0
		.amdhsa_float_round_mode_16_64 0
		.amdhsa_float_denorm_mode_32 3
		.amdhsa_float_denorm_mode_16_64 3
		.amdhsa_dx10_clamp 1
		.amdhsa_ieee_mode 1
		.amdhsa_fp16_overflow 0
		.amdhsa_tg_split 0
		.amdhsa_exception_fp_ieee_invalid_op 0
		.amdhsa_exception_fp_denorm_src 0
		.amdhsa_exception_fp_ieee_div_zero 0
		.amdhsa_exception_fp_ieee_overflow 0
		.amdhsa_exception_fp_ieee_underflow 0
		.amdhsa_exception_fp_ieee_inexact 0
		.amdhsa_exception_int_div_zero 0
	.end_amdhsa_kernel
	.section	.text._ZN7rocprim17ROCPRIM_400000_NS6detail17trampoline_kernelINS0_14default_configENS1_29reduce_by_key_config_selectorIslN6thrust23THRUST_200600_302600_NS4plusIlEEEEZZNS1_33reduce_by_key_impl_wrapped_configILNS1_25lookback_scan_determinismE0ES3_S9_PsNS6_17constant_iteratorIiNS6_11use_defaultESE_EENS6_10device_ptrIsEENSG_IlEEPmS8_NS6_8equal_toIsEEEE10hipError_tPvRmT2_T3_mT4_T5_T6_T7_T8_P12ihipStream_tbENKUlT_T0_E_clISt17integral_constantIbLb0EES12_IbLb1EEEEDaSY_SZ_EUlSY_E_NS1_11comp_targetILNS1_3genE0ELNS1_11target_archE4294967295ELNS1_3gpuE0ELNS1_3repE0EEENS1_30default_config_static_selectorELNS0_4arch9wavefront6targetE1EEEvT1_,"axG",@progbits,_ZN7rocprim17ROCPRIM_400000_NS6detail17trampoline_kernelINS0_14default_configENS1_29reduce_by_key_config_selectorIslN6thrust23THRUST_200600_302600_NS4plusIlEEEEZZNS1_33reduce_by_key_impl_wrapped_configILNS1_25lookback_scan_determinismE0ES3_S9_PsNS6_17constant_iteratorIiNS6_11use_defaultESE_EENS6_10device_ptrIsEENSG_IlEEPmS8_NS6_8equal_toIsEEEE10hipError_tPvRmT2_T3_mT4_T5_T6_T7_T8_P12ihipStream_tbENKUlT_T0_E_clISt17integral_constantIbLb0EES12_IbLb1EEEEDaSY_SZ_EUlSY_E_NS1_11comp_targetILNS1_3genE0ELNS1_11target_archE4294967295ELNS1_3gpuE0ELNS1_3repE0EEENS1_30default_config_static_selectorELNS0_4arch9wavefront6targetE1EEEvT1_,comdat
.Lfunc_end1497:
	.size	_ZN7rocprim17ROCPRIM_400000_NS6detail17trampoline_kernelINS0_14default_configENS1_29reduce_by_key_config_selectorIslN6thrust23THRUST_200600_302600_NS4plusIlEEEEZZNS1_33reduce_by_key_impl_wrapped_configILNS1_25lookback_scan_determinismE0ES3_S9_PsNS6_17constant_iteratorIiNS6_11use_defaultESE_EENS6_10device_ptrIsEENSG_IlEEPmS8_NS6_8equal_toIsEEEE10hipError_tPvRmT2_T3_mT4_T5_T6_T7_T8_P12ihipStream_tbENKUlT_T0_E_clISt17integral_constantIbLb0EES12_IbLb1EEEEDaSY_SZ_EUlSY_E_NS1_11comp_targetILNS1_3genE0ELNS1_11target_archE4294967295ELNS1_3gpuE0ELNS1_3repE0EEENS1_30default_config_static_selectorELNS0_4arch9wavefront6targetE1EEEvT1_, .Lfunc_end1497-_ZN7rocprim17ROCPRIM_400000_NS6detail17trampoline_kernelINS0_14default_configENS1_29reduce_by_key_config_selectorIslN6thrust23THRUST_200600_302600_NS4plusIlEEEEZZNS1_33reduce_by_key_impl_wrapped_configILNS1_25lookback_scan_determinismE0ES3_S9_PsNS6_17constant_iteratorIiNS6_11use_defaultESE_EENS6_10device_ptrIsEENSG_IlEEPmS8_NS6_8equal_toIsEEEE10hipError_tPvRmT2_T3_mT4_T5_T6_T7_T8_P12ihipStream_tbENKUlT_T0_E_clISt17integral_constantIbLb0EES12_IbLb1EEEEDaSY_SZ_EUlSY_E_NS1_11comp_targetILNS1_3genE0ELNS1_11target_archE4294967295ELNS1_3gpuE0ELNS1_3repE0EEENS1_30default_config_static_selectorELNS0_4arch9wavefront6targetE1EEEvT1_
                                        ; -- End function
	.section	.AMDGPU.csdata,"",@progbits
; Kernel info:
; codeLenInByte = 0
; NumSgprs: 4
; NumVgprs: 0
; NumAgprs: 0
; TotalNumVgprs: 0
; ScratchSize: 0
; MemoryBound: 0
; FloatMode: 240
; IeeeMode: 1
; LDSByteSize: 0 bytes/workgroup (compile time only)
; SGPRBlocks: 0
; VGPRBlocks: 0
; NumSGPRsForWavesPerEU: 4
; NumVGPRsForWavesPerEU: 1
; AccumOffset: 4
; Occupancy: 8
; WaveLimiterHint : 0
; COMPUTE_PGM_RSRC2:SCRATCH_EN: 0
; COMPUTE_PGM_RSRC2:USER_SGPR: 6
; COMPUTE_PGM_RSRC2:TRAP_HANDLER: 0
; COMPUTE_PGM_RSRC2:TGID_X_EN: 1
; COMPUTE_PGM_RSRC2:TGID_Y_EN: 0
; COMPUTE_PGM_RSRC2:TGID_Z_EN: 0
; COMPUTE_PGM_RSRC2:TIDIG_COMP_CNT: 0
; COMPUTE_PGM_RSRC3_GFX90A:ACCUM_OFFSET: 0
; COMPUTE_PGM_RSRC3_GFX90A:TG_SPLIT: 0
	.section	.text._ZN7rocprim17ROCPRIM_400000_NS6detail17trampoline_kernelINS0_14default_configENS1_29reduce_by_key_config_selectorIslN6thrust23THRUST_200600_302600_NS4plusIlEEEEZZNS1_33reduce_by_key_impl_wrapped_configILNS1_25lookback_scan_determinismE0ES3_S9_PsNS6_17constant_iteratorIiNS6_11use_defaultESE_EENS6_10device_ptrIsEENSG_IlEEPmS8_NS6_8equal_toIsEEEE10hipError_tPvRmT2_T3_mT4_T5_T6_T7_T8_P12ihipStream_tbENKUlT_T0_E_clISt17integral_constantIbLb0EES12_IbLb1EEEEDaSY_SZ_EUlSY_E_NS1_11comp_targetILNS1_3genE5ELNS1_11target_archE942ELNS1_3gpuE9ELNS1_3repE0EEENS1_30default_config_static_selectorELNS0_4arch9wavefront6targetE1EEEvT1_,"axG",@progbits,_ZN7rocprim17ROCPRIM_400000_NS6detail17trampoline_kernelINS0_14default_configENS1_29reduce_by_key_config_selectorIslN6thrust23THRUST_200600_302600_NS4plusIlEEEEZZNS1_33reduce_by_key_impl_wrapped_configILNS1_25lookback_scan_determinismE0ES3_S9_PsNS6_17constant_iteratorIiNS6_11use_defaultESE_EENS6_10device_ptrIsEENSG_IlEEPmS8_NS6_8equal_toIsEEEE10hipError_tPvRmT2_T3_mT4_T5_T6_T7_T8_P12ihipStream_tbENKUlT_T0_E_clISt17integral_constantIbLb0EES12_IbLb1EEEEDaSY_SZ_EUlSY_E_NS1_11comp_targetILNS1_3genE5ELNS1_11target_archE942ELNS1_3gpuE9ELNS1_3repE0EEENS1_30default_config_static_selectorELNS0_4arch9wavefront6targetE1EEEvT1_,comdat
	.protected	_ZN7rocprim17ROCPRIM_400000_NS6detail17trampoline_kernelINS0_14default_configENS1_29reduce_by_key_config_selectorIslN6thrust23THRUST_200600_302600_NS4plusIlEEEEZZNS1_33reduce_by_key_impl_wrapped_configILNS1_25lookback_scan_determinismE0ES3_S9_PsNS6_17constant_iteratorIiNS6_11use_defaultESE_EENS6_10device_ptrIsEENSG_IlEEPmS8_NS6_8equal_toIsEEEE10hipError_tPvRmT2_T3_mT4_T5_T6_T7_T8_P12ihipStream_tbENKUlT_T0_E_clISt17integral_constantIbLb0EES12_IbLb1EEEEDaSY_SZ_EUlSY_E_NS1_11comp_targetILNS1_3genE5ELNS1_11target_archE942ELNS1_3gpuE9ELNS1_3repE0EEENS1_30default_config_static_selectorELNS0_4arch9wavefront6targetE1EEEvT1_ ; -- Begin function _ZN7rocprim17ROCPRIM_400000_NS6detail17trampoline_kernelINS0_14default_configENS1_29reduce_by_key_config_selectorIslN6thrust23THRUST_200600_302600_NS4plusIlEEEEZZNS1_33reduce_by_key_impl_wrapped_configILNS1_25lookback_scan_determinismE0ES3_S9_PsNS6_17constant_iteratorIiNS6_11use_defaultESE_EENS6_10device_ptrIsEENSG_IlEEPmS8_NS6_8equal_toIsEEEE10hipError_tPvRmT2_T3_mT4_T5_T6_T7_T8_P12ihipStream_tbENKUlT_T0_E_clISt17integral_constantIbLb0EES12_IbLb1EEEEDaSY_SZ_EUlSY_E_NS1_11comp_targetILNS1_3genE5ELNS1_11target_archE942ELNS1_3gpuE9ELNS1_3repE0EEENS1_30default_config_static_selectorELNS0_4arch9wavefront6targetE1EEEvT1_
	.globl	_ZN7rocprim17ROCPRIM_400000_NS6detail17trampoline_kernelINS0_14default_configENS1_29reduce_by_key_config_selectorIslN6thrust23THRUST_200600_302600_NS4plusIlEEEEZZNS1_33reduce_by_key_impl_wrapped_configILNS1_25lookback_scan_determinismE0ES3_S9_PsNS6_17constant_iteratorIiNS6_11use_defaultESE_EENS6_10device_ptrIsEENSG_IlEEPmS8_NS6_8equal_toIsEEEE10hipError_tPvRmT2_T3_mT4_T5_T6_T7_T8_P12ihipStream_tbENKUlT_T0_E_clISt17integral_constantIbLb0EES12_IbLb1EEEEDaSY_SZ_EUlSY_E_NS1_11comp_targetILNS1_3genE5ELNS1_11target_archE942ELNS1_3gpuE9ELNS1_3repE0EEENS1_30default_config_static_selectorELNS0_4arch9wavefront6targetE1EEEvT1_
	.p2align	8
	.type	_ZN7rocprim17ROCPRIM_400000_NS6detail17trampoline_kernelINS0_14default_configENS1_29reduce_by_key_config_selectorIslN6thrust23THRUST_200600_302600_NS4plusIlEEEEZZNS1_33reduce_by_key_impl_wrapped_configILNS1_25lookback_scan_determinismE0ES3_S9_PsNS6_17constant_iteratorIiNS6_11use_defaultESE_EENS6_10device_ptrIsEENSG_IlEEPmS8_NS6_8equal_toIsEEEE10hipError_tPvRmT2_T3_mT4_T5_T6_T7_T8_P12ihipStream_tbENKUlT_T0_E_clISt17integral_constantIbLb0EES12_IbLb1EEEEDaSY_SZ_EUlSY_E_NS1_11comp_targetILNS1_3genE5ELNS1_11target_archE942ELNS1_3gpuE9ELNS1_3repE0EEENS1_30default_config_static_selectorELNS0_4arch9wavefront6targetE1EEEvT1_,@function
_ZN7rocprim17ROCPRIM_400000_NS6detail17trampoline_kernelINS0_14default_configENS1_29reduce_by_key_config_selectorIslN6thrust23THRUST_200600_302600_NS4plusIlEEEEZZNS1_33reduce_by_key_impl_wrapped_configILNS1_25lookback_scan_determinismE0ES3_S9_PsNS6_17constant_iteratorIiNS6_11use_defaultESE_EENS6_10device_ptrIsEENSG_IlEEPmS8_NS6_8equal_toIsEEEE10hipError_tPvRmT2_T3_mT4_T5_T6_T7_T8_P12ihipStream_tbENKUlT_T0_E_clISt17integral_constantIbLb0EES12_IbLb1EEEEDaSY_SZ_EUlSY_E_NS1_11comp_targetILNS1_3genE5ELNS1_11target_archE942ELNS1_3gpuE9ELNS1_3repE0EEENS1_30default_config_static_selectorELNS0_4arch9wavefront6targetE1EEEvT1_: ; @_ZN7rocprim17ROCPRIM_400000_NS6detail17trampoline_kernelINS0_14default_configENS1_29reduce_by_key_config_selectorIslN6thrust23THRUST_200600_302600_NS4plusIlEEEEZZNS1_33reduce_by_key_impl_wrapped_configILNS1_25lookback_scan_determinismE0ES3_S9_PsNS6_17constant_iteratorIiNS6_11use_defaultESE_EENS6_10device_ptrIsEENSG_IlEEPmS8_NS6_8equal_toIsEEEE10hipError_tPvRmT2_T3_mT4_T5_T6_T7_T8_P12ihipStream_tbENKUlT_T0_E_clISt17integral_constantIbLb0EES12_IbLb1EEEEDaSY_SZ_EUlSY_E_NS1_11comp_targetILNS1_3genE5ELNS1_11target_archE942ELNS1_3gpuE9ELNS1_3repE0EEENS1_30default_config_static_selectorELNS0_4arch9wavefront6targetE1EEEvT1_
; %bb.0:
	.section	.rodata,"a",@progbits
	.p2align	6, 0x0
	.amdhsa_kernel _ZN7rocprim17ROCPRIM_400000_NS6detail17trampoline_kernelINS0_14default_configENS1_29reduce_by_key_config_selectorIslN6thrust23THRUST_200600_302600_NS4plusIlEEEEZZNS1_33reduce_by_key_impl_wrapped_configILNS1_25lookback_scan_determinismE0ES3_S9_PsNS6_17constant_iteratorIiNS6_11use_defaultESE_EENS6_10device_ptrIsEENSG_IlEEPmS8_NS6_8equal_toIsEEEE10hipError_tPvRmT2_T3_mT4_T5_T6_T7_T8_P12ihipStream_tbENKUlT_T0_E_clISt17integral_constantIbLb0EES12_IbLb1EEEEDaSY_SZ_EUlSY_E_NS1_11comp_targetILNS1_3genE5ELNS1_11target_archE942ELNS1_3gpuE9ELNS1_3repE0EEENS1_30default_config_static_selectorELNS0_4arch9wavefront6targetE1EEEvT1_
		.amdhsa_group_segment_fixed_size 0
		.amdhsa_private_segment_fixed_size 0
		.amdhsa_kernarg_size 144
		.amdhsa_user_sgpr_count 6
		.amdhsa_user_sgpr_private_segment_buffer 1
		.amdhsa_user_sgpr_dispatch_ptr 0
		.amdhsa_user_sgpr_queue_ptr 0
		.amdhsa_user_sgpr_kernarg_segment_ptr 1
		.amdhsa_user_sgpr_dispatch_id 0
		.amdhsa_user_sgpr_flat_scratch_init 0
		.amdhsa_user_sgpr_kernarg_preload_length 0
		.amdhsa_user_sgpr_kernarg_preload_offset 0
		.amdhsa_user_sgpr_private_segment_size 0
		.amdhsa_uses_dynamic_stack 0
		.amdhsa_system_sgpr_private_segment_wavefront_offset 0
		.amdhsa_system_sgpr_workgroup_id_x 1
		.amdhsa_system_sgpr_workgroup_id_y 0
		.amdhsa_system_sgpr_workgroup_id_z 0
		.amdhsa_system_sgpr_workgroup_info 0
		.amdhsa_system_vgpr_workitem_id 0
		.amdhsa_next_free_vgpr 1
		.amdhsa_next_free_sgpr 0
		.amdhsa_accum_offset 4
		.amdhsa_reserve_vcc 0
		.amdhsa_reserve_flat_scratch 0
		.amdhsa_float_round_mode_32 0
		.amdhsa_float_round_mode_16_64 0
		.amdhsa_float_denorm_mode_32 3
		.amdhsa_float_denorm_mode_16_64 3
		.amdhsa_dx10_clamp 1
		.amdhsa_ieee_mode 1
		.amdhsa_fp16_overflow 0
		.amdhsa_tg_split 0
		.amdhsa_exception_fp_ieee_invalid_op 0
		.amdhsa_exception_fp_denorm_src 0
		.amdhsa_exception_fp_ieee_div_zero 0
		.amdhsa_exception_fp_ieee_overflow 0
		.amdhsa_exception_fp_ieee_underflow 0
		.amdhsa_exception_fp_ieee_inexact 0
		.amdhsa_exception_int_div_zero 0
	.end_amdhsa_kernel
	.section	.text._ZN7rocprim17ROCPRIM_400000_NS6detail17trampoline_kernelINS0_14default_configENS1_29reduce_by_key_config_selectorIslN6thrust23THRUST_200600_302600_NS4plusIlEEEEZZNS1_33reduce_by_key_impl_wrapped_configILNS1_25lookback_scan_determinismE0ES3_S9_PsNS6_17constant_iteratorIiNS6_11use_defaultESE_EENS6_10device_ptrIsEENSG_IlEEPmS8_NS6_8equal_toIsEEEE10hipError_tPvRmT2_T3_mT4_T5_T6_T7_T8_P12ihipStream_tbENKUlT_T0_E_clISt17integral_constantIbLb0EES12_IbLb1EEEEDaSY_SZ_EUlSY_E_NS1_11comp_targetILNS1_3genE5ELNS1_11target_archE942ELNS1_3gpuE9ELNS1_3repE0EEENS1_30default_config_static_selectorELNS0_4arch9wavefront6targetE1EEEvT1_,"axG",@progbits,_ZN7rocprim17ROCPRIM_400000_NS6detail17trampoline_kernelINS0_14default_configENS1_29reduce_by_key_config_selectorIslN6thrust23THRUST_200600_302600_NS4plusIlEEEEZZNS1_33reduce_by_key_impl_wrapped_configILNS1_25lookback_scan_determinismE0ES3_S9_PsNS6_17constant_iteratorIiNS6_11use_defaultESE_EENS6_10device_ptrIsEENSG_IlEEPmS8_NS6_8equal_toIsEEEE10hipError_tPvRmT2_T3_mT4_T5_T6_T7_T8_P12ihipStream_tbENKUlT_T0_E_clISt17integral_constantIbLb0EES12_IbLb1EEEEDaSY_SZ_EUlSY_E_NS1_11comp_targetILNS1_3genE5ELNS1_11target_archE942ELNS1_3gpuE9ELNS1_3repE0EEENS1_30default_config_static_selectorELNS0_4arch9wavefront6targetE1EEEvT1_,comdat
.Lfunc_end1498:
	.size	_ZN7rocprim17ROCPRIM_400000_NS6detail17trampoline_kernelINS0_14default_configENS1_29reduce_by_key_config_selectorIslN6thrust23THRUST_200600_302600_NS4plusIlEEEEZZNS1_33reduce_by_key_impl_wrapped_configILNS1_25lookback_scan_determinismE0ES3_S9_PsNS6_17constant_iteratorIiNS6_11use_defaultESE_EENS6_10device_ptrIsEENSG_IlEEPmS8_NS6_8equal_toIsEEEE10hipError_tPvRmT2_T3_mT4_T5_T6_T7_T8_P12ihipStream_tbENKUlT_T0_E_clISt17integral_constantIbLb0EES12_IbLb1EEEEDaSY_SZ_EUlSY_E_NS1_11comp_targetILNS1_3genE5ELNS1_11target_archE942ELNS1_3gpuE9ELNS1_3repE0EEENS1_30default_config_static_selectorELNS0_4arch9wavefront6targetE1EEEvT1_, .Lfunc_end1498-_ZN7rocprim17ROCPRIM_400000_NS6detail17trampoline_kernelINS0_14default_configENS1_29reduce_by_key_config_selectorIslN6thrust23THRUST_200600_302600_NS4plusIlEEEEZZNS1_33reduce_by_key_impl_wrapped_configILNS1_25lookback_scan_determinismE0ES3_S9_PsNS6_17constant_iteratorIiNS6_11use_defaultESE_EENS6_10device_ptrIsEENSG_IlEEPmS8_NS6_8equal_toIsEEEE10hipError_tPvRmT2_T3_mT4_T5_T6_T7_T8_P12ihipStream_tbENKUlT_T0_E_clISt17integral_constantIbLb0EES12_IbLb1EEEEDaSY_SZ_EUlSY_E_NS1_11comp_targetILNS1_3genE5ELNS1_11target_archE942ELNS1_3gpuE9ELNS1_3repE0EEENS1_30default_config_static_selectorELNS0_4arch9wavefront6targetE1EEEvT1_
                                        ; -- End function
	.section	.AMDGPU.csdata,"",@progbits
; Kernel info:
; codeLenInByte = 0
; NumSgprs: 4
; NumVgprs: 0
; NumAgprs: 0
; TotalNumVgprs: 0
; ScratchSize: 0
; MemoryBound: 0
; FloatMode: 240
; IeeeMode: 1
; LDSByteSize: 0 bytes/workgroup (compile time only)
; SGPRBlocks: 0
; VGPRBlocks: 0
; NumSGPRsForWavesPerEU: 4
; NumVGPRsForWavesPerEU: 1
; AccumOffset: 4
; Occupancy: 8
; WaveLimiterHint : 0
; COMPUTE_PGM_RSRC2:SCRATCH_EN: 0
; COMPUTE_PGM_RSRC2:USER_SGPR: 6
; COMPUTE_PGM_RSRC2:TRAP_HANDLER: 0
; COMPUTE_PGM_RSRC2:TGID_X_EN: 1
; COMPUTE_PGM_RSRC2:TGID_Y_EN: 0
; COMPUTE_PGM_RSRC2:TGID_Z_EN: 0
; COMPUTE_PGM_RSRC2:TIDIG_COMP_CNT: 0
; COMPUTE_PGM_RSRC3_GFX90A:ACCUM_OFFSET: 0
; COMPUTE_PGM_RSRC3_GFX90A:TG_SPLIT: 0
	.section	.text._ZN7rocprim17ROCPRIM_400000_NS6detail17trampoline_kernelINS0_14default_configENS1_29reduce_by_key_config_selectorIslN6thrust23THRUST_200600_302600_NS4plusIlEEEEZZNS1_33reduce_by_key_impl_wrapped_configILNS1_25lookback_scan_determinismE0ES3_S9_PsNS6_17constant_iteratorIiNS6_11use_defaultESE_EENS6_10device_ptrIsEENSG_IlEEPmS8_NS6_8equal_toIsEEEE10hipError_tPvRmT2_T3_mT4_T5_T6_T7_T8_P12ihipStream_tbENKUlT_T0_E_clISt17integral_constantIbLb0EES12_IbLb1EEEEDaSY_SZ_EUlSY_E_NS1_11comp_targetILNS1_3genE4ELNS1_11target_archE910ELNS1_3gpuE8ELNS1_3repE0EEENS1_30default_config_static_selectorELNS0_4arch9wavefront6targetE1EEEvT1_,"axG",@progbits,_ZN7rocprim17ROCPRIM_400000_NS6detail17trampoline_kernelINS0_14default_configENS1_29reduce_by_key_config_selectorIslN6thrust23THRUST_200600_302600_NS4plusIlEEEEZZNS1_33reduce_by_key_impl_wrapped_configILNS1_25lookback_scan_determinismE0ES3_S9_PsNS6_17constant_iteratorIiNS6_11use_defaultESE_EENS6_10device_ptrIsEENSG_IlEEPmS8_NS6_8equal_toIsEEEE10hipError_tPvRmT2_T3_mT4_T5_T6_T7_T8_P12ihipStream_tbENKUlT_T0_E_clISt17integral_constantIbLb0EES12_IbLb1EEEEDaSY_SZ_EUlSY_E_NS1_11comp_targetILNS1_3genE4ELNS1_11target_archE910ELNS1_3gpuE8ELNS1_3repE0EEENS1_30default_config_static_selectorELNS0_4arch9wavefront6targetE1EEEvT1_,comdat
	.protected	_ZN7rocprim17ROCPRIM_400000_NS6detail17trampoline_kernelINS0_14default_configENS1_29reduce_by_key_config_selectorIslN6thrust23THRUST_200600_302600_NS4plusIlEEEEZZNS1_33reduce_by_key_impl_wrapped_configILNS1_25lookback_scan_determinismE0ES3_S9_PsNS6_17constant_iteratorIiNS6_11use_defaultESE_EENS6_10device_ptrIsEENSG_IlEEPmS8_NS6_8equal_toIsEEEE10hipError_tPvRmT2_T3_mT4_T5_T6_T7_T8_P12ihipStream_tbENKUlT_T0_E_clISt17integral_constantIbLb0EES12_IbLb1EEEEDaSY_SZ_EUlSY_E_NS1_11comp_targetILNS1_3genE4ELNS1_11target_archE910ELNS1_3gpuE8ELNS1_3repE0EEENS1_30default_config_static_selectorELNS0_4arch9wavefront6targetE1EEEvT1_ ; -- Begin function _ZN7rocprim17ROCPRIM_400000_NS6detail17trampoline_kernelINS0_14default_configENS1_29reduce_by_key_config_selectorIslN6thrust23THRUST_200600_302600_NS4plusIlEEEEZZNS1_33reduce_by_key_impl_wrapped_configILNS1_25lookback_scan_determinismE0ES3_S9_PsNS6_17constant_iteratorIiNS6_11use_defaultESE_EENS6_10device_ptrIsEENSG_IlEEPmS8_NS6_8equal_toIsEEEE10hipError_tPvRmT2_T3_mT4_T5_T6_T7_T8_P12ihipStream_tbENKUlT_T0_E_clISt17integral_constantIbLb0EES12_IbLb1EEEEDaSY_SZ_EUlSY_E_NS1_11comp_targetILNS1_3genE4ELNS1_11target_archE910ELNS1_3gpuE8ELNS1_3repE0EEENS1_30default_config_static_selectorELNS0_4arch9wavefront6targetE1EEEvT1_
	.globl	_ZN7rocprim17ROCPRIM_400000_NS6detail17trampoline_kernelINS0_14default_configENS1_29reduce_by_key_config_selectorIslN6thrust23THRUST_200600_302600_NS4plusIlEEEEZZNS1_33reduce_by_key_impl_wrapped_configILNS1_25lookback_scan_determinismE0ES3_S9_PsNS6_17constant_iteratorIiNS6_11use_defaultESE_EENS6_10device_ptrIsEENSG_IlEEPmS8_NS6_8equal_toIsEEEE10hipError_tPvRmT2_T3_mT4_T5_T6_T7_T8_P12ihipStream_tbENKUlT_T0_E_clISt17integral_constantIbLb0EES12_IbLb1EEEEDaSY_SZ_EUlSY_E_NS1_11comp_targetILNS1_3genE4ELNS1_11target_archE910ELNS1_3gpuE8ELNS1_3repE0EEENS1_30default_config_static_selectorELNS0_4arch9wavefront6targetE1EEEvT1_
	.p2align	8
	.type	_ZN7rocprim17ROCPRIM_400000_NS6detail17trampoline_kernelINS0_14default_configENS1_29reduce_by_key_config_selectorIslN6thrust23THRUST_200600_302600_NS4plusIlEEEEZZNS1_33reduce_by_key_impl_wrapped_configILNS1_25lookback_scan_determinismE0ES3_S9_PsNS6_17constant_iteratorIiNS6_11use_defaultESE_EENS6_10device_ptrIsEENSG_IlEEPmS8_NS6_8equal_toIsEEEE10hipError_tPvRmT2_T3_mT4_T5_T6_T7_T8_P12ihipStream_tbENKUlT_T0_E_clISt17integral_constantIbLb0EES12_IbLb1EEEEDaSY_SZ_EUlSY_E_NS1_11comp_targetILNS1_3genE4ELNS1_11target_archE910ELNS1_3gpuE8ELNS1_3repE0EEENS1_30default_config_static_selectorELNS0_4arch9wavefront6targetE1EEEvT1_,@function
_ZN7rocprim17ROCPRIM_400000_NS6detail17trampoline_kernelINS0_14default_configENS1_29reduce_by_key_config_selectorIslN6thrust23THRUST_200600_302600_NS4plusIlEEEEZZNS1_33reduce_by_key_impl_wrapped_configILNS1_25lookback_scan_determinismE0ES3_S9_PsNS6_17constant_iteratorIiNS6_11use_defaultESE_EENS6_10device_ptrIsEENSG_IlEEPmS8_NS6_8equal_toIsEEEE10hipError_tPvRmT2_T3_mT4_T5_T6_T7_T8_P12ihipStream_tbENKUlT_T0_E_clISt17integral_constantIbLb0EES12_IbLb1EEEEDaSY_SZ_EUlSY_E_NS1_11comp_targetILNS1_3genE4ELNS1_11target_archE910ELNS1_3gpuE8ELNS1_3repE0EEENS1_30default_config_static_selectorELNS0_4arch9wavefront6targetE1EEEvT1_: ; @_ZN7rocprim17ROCPRIM_400000_NS6detail17trampoline_kernelINS0_14default_configENS1_29reduce_by_key_config_selectorIslN6thrust23THRUST_200600_302600_NS4plusIlEEEEZZNS1_33reduce_by_key_impl_wrapped_configILNS1_25lookback_scan_determinismE0ES3_S9_PsNS6_17constant_iteratorIiNS6_11use_defaultESE_EENS6_10device_ptrIsEENSG_IlEEPmS8_NS6_8equal_toIsEEEE10hipError_tPvRmT2_T3_mT4_T5_T6_T7_T8_P12ihipStream_tbENKUlT_T0_E_clISt17integral_constantIbLb0EES12_IbLb1EEEEDaSY_SZ_EUlSY_E_NS1_11comp_targetILNS1_3genE4ELNS1_11target_archE910ELNS1_3gpuE8ELNS1_3repE0EEENS1_30default_config_static_selectorELNS0_4arch9wavefront6targetE1EEEvT1_
; %bb.0:
	s_load_dwordx4 s[52:55], s[4:5], 0x20
	s_load_dwordx2 s[56:57], s[4:5], 0x30
	s_load_dwordx2 s[30:31], s[4:5], 0x80
	v_cmp_ne_u32_e64 s[2:3], 0, v0
	v_cmp_eq_u32_e64 s[0:1], 0, v0
	s_and_saveexec_b64 s[6:7], s[0:1]
	s_cbranch_execz .LBB1499_4
; %bb.1:
	s_mov_b64 s[10:11], exec
	v_mbcnt_lo_u32_b32 v1, s10, 0
	v_mbcnt_hi_u32_b32 v1, s11, v1
	v_cmp_eq_u32_e32 vcc, 0, v1
                                        ; implicit-def: $vgpr2
	s_and_saveexec_b64 s[8:9], vcc
	s_cbranch_execz .LBB1499_3
; %bb.2:
	s_load_dwordx2 s[12:13], s[4:5], 0x88
	s_bcnt1_i32_b64 s10, s[10:11]
	v_mov_b32_e32 v2, 0
	v_mov_b32_e32 v3, s10
	s_waitcnt lgkmcnt(0)
	global_atomic_add v2, v2, v3, s[12:13] glc
.LBB1499_3:
	s_or_b64 exec, exec, s[8:9]
	s_waitcnt vmcnt(0)
	v_readfirstlane_b32 s8, v2
	v_add_u32_e32 v1, s8, v1
	v_mov_b32_e32 v2, 0
	ds_write_b32 v2, v1
.LBB1499_4:
	s_or_b64 exec, exec, s[6:7]
	s_load_dwordx4 s[8:11], s[4:5], 0x0
	s_load_dword s12, s[4:5], 0x18
	s_load_dwordx16 s[36:51], s[4:5], 0x40
	v_mov_b32_e32 v3, 0
	s_waitcnt lgkmcnt(0)
	s_barrier
	ds_read_b32 v1, v3
	s_mul_i32 s4, s44, s43
	s_mul_hi_u32 s5, s44, s42
	s_add_i32 s4, s5, s4
	s_mul_i32 s5, s45, s42
	s_add_i32 s7, s4, s5
	s_lshl_b64 s[4:5], s[10:11], 1
	s_add_u32 s4, s8, s4
	s_mul_i32 s6, s44, s42
	s_addc_u32 s5, s9, s5
	s_waitcnt lgkmcnt(0)
	v_readfirstlane_b32 s62, v1
	s_add_u32 s6, s6, s62
	s_movk_i32 s8, 0xf00
	s_addc_u32 s7, s7, 0
	v_mul_lo_u32 v2, v1, s8
	s_add_u32 s10, s46, -1
	v_lshlrev_b64 v[2:3], 1, v[2:3]
	s_addc_u32 s11, s47, -1
	v_mov_b32_e32 v1, s5
	v_add_co_u32_e32 v54, vcc, s4, v2
	s_cmp_eq_u64 s[6:7], s[10:11]
	v_addc_co_u32_e32 v55, vcc, v1, v3, vcc
	s_cselect_b64 s[44:45], -1, 0
	s_cmp_lg_u64 s[6:7], s[10:11]
	s_mov_b64 s[8:9], -1
	s_cselect_b64 s[4:5], -1, 0
	s_mul_i32 s33, s10, 0xfffff100
	s_and_b64 vcc, exec, s[44:45]
	v_mad_u32_u24 v40, v0, 15, 1
	v_mad_u32_u24 v42, v0, 15, 3
	v_mad_u32_u24 v44, v0, 15, 5
	v_mad_u32_u24 v46, v0, 15, 7
	v_mad_u32_u24 v48, v0, 15, 9
	v_mad_u32_u24 v50, v0, 15, 11
	v_mad_u32_u24 v52, v0, 15, 13
	s_barrier
	s_cbranch_vccnz .LBB1499_6
; %bb.5:
	v_lshlrev_b32_e32 v1, 1, v0
	v_add_co_u32_e32 v2, vcc, v54, v1
	v_addc_co_u32_e32 v3, vcc, 0, v55, vcc
	v_add_co_u32_e32 v2, vcc, 0x1000, v2
	v_readfirstlane_b32 s8, v54
	v_readfirstlane_b32 s9, v55
	v_addc_co_u32_e32 v3, vcc, 0, v3, vcc
	s_nop 3
	global_load_ushort v4, v1, s[8:9]
	global_load_ushort v5, v1, s[8:9] offset:512
	global_load_ushort v13, v1, s[8:9] offset:1024
	;; [unrolled: 1-line block ×7, first 2 shown]
	global_load_ushort v21, v[2:3], off
	global_load_ushort v22, v[2:3], off offset:512
	global_load_ushort v23, v[2:3], off offset:1024
	;; [unrolled: 1-line block ×6, first 2 shown]
	v_mad_u32_u24 v29, v0, 28, v1
	s_ashr_i32 s13, s12, 31
	s_movk_i32 s8, 0xffea
	v_mul_u32_u24_e32 v6, 15, v0
	v_mad_u32_u24 v11, v0, 15, 1
	v_mad_u32_u24 v12, v0, 15, 3
	;; [unrolled: 1-line block ×7, first 2 shown]
	v_pk_mov_b32 v[14:15], s[12:13], s[12:13] op_sel:[0,1]
	v_mad_i32_i24 v30, v0, s8, v29
	s_waitcnt vmcnt(14)
	ds_write_b16 v1, v4
	s_waitcnt vmcnt(13)
	ds_write_b16 v1, v5 offset:512
	s_waitcnt vmcnt(12)
	ds_write_b16 v1, v13 offset:1024
	;; [unrolled: 2-line block ×14, first 2 shown]
	s_waitcnt lgkmcnt(0)
	s_barrier
	ds_read_u16 v1, v29
	ds_read_b128 v[2:5], v29 offset:2
	ds_read_b96 v[22:24], v29 offset:18
	s_waitcnt lgkmcnt(0)
	s_barrier
	ds_write2st64_b64 v30, v[14:15], v[14:15] offset1:4
	ds_write2st64_b64 v30, v[14:15], v[14:15] offset0:8 offset1:12
	ds_write2st64_b64 v30, v[14:15], v[14:15] offset0:16 offset1:20
	ds_write2st64_b64 v30, v[14:15], v[14:15] offset0:24 offset1:28
	ds_write2st64_b64 v30, v[14:15], v[14:15] offset0:32 offset1:36
	ds_write2st64_b64 v30, v[14:15], v[14:15] offset0:40 offset1:44
	ds_write2st64_b64 v30, v[14:15], v[14:15] offset0:48 offset1:52
	ds_write_b64 v30, v[14:15] offset:28672
	s_waitcnt lgkmcnt(0)
	s_barrier
	s_add_i32 s33, s33, s48
	s_cbranch_execz .LBB1499_7
	s_branch .LBB1499_38
.LBB1499_6:
                                        ; implicit-def: $vgpr2
                                        ; implicit-def: $vgpr22
                                        ; implicit-def: $vgpr25
                                        ; implicit-def: $vgpr7
                                        ; implicit-def: $vgpr8
                                        ; implicit-def: $vgpr9
                                        ; implicit-def: $vgpr10
                                        ; implicit-def: $vgpr12
                                        ; implicit-def: $vgpr11
                                        ; implicit-def: $vgpr6
                                        ; implicit-def: $vgpr1
	s_andn2_b64 vcc, exec, s[8:9]
	s_add_i32 s33, s33, s48
	s_cbranch_vccnz .LBB1499_38
.LBB1499_7:
	v_cmp_gt_u32_e32 vcc, s33, v0
                                        ; implicit-def: $vgpr1
	s_and_saveexec_b64 s[8:9], vcc
	s_cbranch_execz .LBB1499_9
; %bb.8:
	v_lshlrev_b32_e32 v1, 1, v0
	v_readfirstlane_b32 s10, v54
	v_readfirstlane_b32 s11, v55
	s_nop 4
	global_load_ushort v1, v1, s[10:11]
.LBB1499_9:
	s_or_b64 exec, exec, s[8:9]
	v_or_b32_e32 v2, 0x100, v0
	v_cmp_gt_u32_e32 vcc, s33, v2
                                        ; implicit-def: $vgpr2
	s_and_saveexec_b64 s[8:9], vcc
	s_cbranch_execz .LBB1499_11
; %bb.10:
	v_lshlrev_b32_e32 v2, 1, v0
	v_readfirstlane_b32 s10, v54
	v_readfirstlane_b32 s11, v55
	s_nop 4
	global_load_ushort v2, v2, s[10:11] offset:512
.LBB1499_11:
	s_or_b64 exec, exec, s[8:9]
	v_or_b32_e32 v3, 0x200, v0
	v_cmp_gt_u32_e32 vcc, s33, v3
                                        ; implicit-def: $vgpr3
	s_and_saveexec_b64 s[8:9], vcc
	s_cbranch_execz .LBB1499_13
; %bb.12:
	v_lshlrev_b32_e32 v3, 1, v0
	v_readfirstlane_b32 s10, v54
	v_readfirstlane_b32 s11, v55
	s_nop 4
	global_load_ushort v3, v3, s[10:11] offset:1024
.LBB1499_13:
	s_or_b64 exec, exec, s[8:9]
	v_or_b32_e32 v4, 0x300, v0
	v_cmp_gt_u32_e32 vcc, s33, v4
                                        ; implicit-def: $vgpr4
	s_and_saveexec_b64 s[8:9], vcc
	s_cbranch_execz .LBB1499_15
; %bb.14:
	v_lshlrev_b32_e32 v4, 1, v0
	v_readfirstlane_b32 s10, v54
	v_readfirstlane_b32 s11, v55
	s_nop 4
	global_load_ushort v4, v4, s[10:11] offset:1536
.LBB1499_15:
	s_or_b64 exec, exec, s[8:9]
	v_or_b32_e32 v5, 0x400, v0
	v_cmp_gt_u32_e32 vcc, s33, v5
                                        ; implicit-def: $vgpr5
	s_and_saveexec_b64 s[8:9], vcc
	s_cbranch_execz .LBB1499_17
; %bb.16:
	v_lshlrev_b32_e32 v5, 1, v0
	v_readfirstlane_b32 s10, v54
	v_readfirstlane_b32 s11, v55
	s_nop 4
	global_load_ushort v5, v5, s[10:11] offset:2048
.LBB1499_17:
	s_or_b64 exec, exec, s[8:9]
	v_or_b32_e32 v6, 0x500, v0
	v_cmp_gt_u32_e32 vcc, s33, v6
                                        ; implicit-def: $vgpr6
	s_and_saveexec_b64 s[8:9], vcc
	s_cbranch_execz .LBB1499_19
; %bb.18:
	v_lshlrev_b32_e32 v6, 1, v0
	v_readfirstlane_b32 s10, v54
	v_readfirstlane_b32 s11, v55
	s_nop 4
	global_load_ushort v6, v6, s[10:11] offset:2560
.LBB1499_19:
	s_or_b64 exec, exec, s[8:9]
	v_or_b32_e32 v7, 0x600, v0
	v_cmp_gt_u32_e32 vcc, s33, v7
                                        ; implicit-def: $vgpr7
	s_and_saveexec_b64 s[8:9], vcc
	s_cbranch_execz .LBB1499_21
; %bb.20:
	v_lshlrev_b32_e32 v7, 1, v0
	v_readfirstlane_b32 s10, v54
	v_readfirstlane_b32 s11, v55
	s_nop 4
	global_load_ushort v7, v7, s[10:11] offset:3072
.LBB1499_21:
	s_or_b64 exec, exec, s[8:9]
	v_or_b32_e32 v8, 0x700, v0
	v_cmp_gt_u32_e32 vcc, s33, v8
                                        ; implicit-def: $vgpr8
	s_and_saveexec_b64 s[8:9], vcc
	s_cbranch_execz .LBB1499_23
; %bb.22:
	v_lshlrev_b32_e32 v8, 1, v0
	v_readfirstlane_b32 s10, v54
	v_readfirstlane_b32 s11, v55
	s_nop 4
	global_load_ushort v8, v8, s[10:11] offset:3584
.LBB1499_23:
	s_or_b64 exec, exec, s[8:9]
	v_or_b32_e32 v10, 0x800, v0
	v_cmp_gt_u32_e32 vcc, s33, v10
                                        ; implicit-def: $vgpr9
	s_and_saveexec_b64 s[8:9], vcc
	s_cbranch_execz .LBB1499_25
; %bb.24:
	v_lshlrev_b32_e32 v9, 1, v10
	v_readfirstlane_b32 s10, v54
	v_readfirstlane_b32 s11, v55
	s_nop 4
	global_load_ushort v9, v9, s[10:11]
.LBB1499_25:
	s_or_b64 exec, exec, s[8:9]
	v_or_b32_e32 v11, 0x900, v0
	v_cmp_gt_u32_e32 vcc, s33, v11
                                        ; implicit-def: $vgpr10
	s_and_saveexec_b64 s[8:9], vcc
	s_cbranch_execz .LBB1499_27
; %bb.26:
	v_lshlrev_b32_e32 v10, 1, v11
	v_readfirstlane_b32 s10, v54
	v_readfirstlane_b32 s11, v55
	s_nop 4
	global_load_ushort v10, v10, s[10:11]
.LBB1499_27:
	s_or_b64 exec, exec, s[8:9]
	v_or_b32_e32 v12, 0xa00, v0
	v_cmp_gt_u32_e32 vcc, s33, v12
                                        ; implicit-def: $vgpr11
	s_and_saveexec_b64 s[8:9], vcc
	s_cbranch_execz .LBB1499_29
; %bb.28:
	v_lshlrev_b32_e32 v11, 1, v12
	v_readfirstlane_b32 s10, v54
	v_readfirstlane_b32 s11, v55
	s_nop 4
	global_load_ushort v11, v11, s[10:11]
.LBB1499_29:
	s_or_b64 exec, exec, s[8:9]
	v_or_b32_e32 v13, 0xb00, v0
	v_cmp_gt_u32_e32 vcc, s33, v13
                                        ; implicit-def: $vgpr12
	s_and_saveexec_b64 s[8:9], vcc
	s_cbranch_execz .LBB1499_31
; %bb.30:
	v_lshlrev_b32_e32 v12, 1, v13
	v_readfirstlane_b32 s10, v54
	v_readfirstlane_b32 s11, v55
	s_nop 4
	global_load_ushort v12, v12, s[10:11]
.LBB1499_31:
	s_or_b64 exec, exec, s[8:9]
	v_or_b32_e32 v14, 0xc00, v0
	v_cmp_gt_u32_e32 vcc, s33, v14
                                        ; implicit-def: $vgpr13
	s_and_saveexec_b64 s[8:9], vcc
	s_cbranch_execz .LBB1499_33
; %bb.32:
	v_lshlrev_b32_e32 v13, 1, v14
	v_readfirstlane_b32 s10, v54
	v_readfirstlane_b32 s11, v55
	s_nop 4
	global_load_ushort v13, v13, s[10:11]
.LBB1499_33:
	s_or_b64 exec, exec, s[8:9]
	v_or_b32_e32 v15, 0xd00, v0
	v_cmp_gt_u32_e32 vcc, s33, v15
                                        ; implicit-def: $vgpr14
	s_and_saveexec_b64 s[8:9], vcc
	s_cbranch_execz .LBB1499_35
; %bb.34:
	v_lshlrev_b32_e32 v14, 1, v15
	v_readfirstlane_b32 s10, v54
	v_readfirstlane_b32 s11, v55
	s_nop 4
	global_load_ushort v14, v14, s[10:11]
.LBB1499_35:
	s_or_b64 exec, exec, s[8:9]
	v_or_b32_e32 v16, 0xe00, v0
	v_cmp_gt_u32_e32 vcc, s33, v16
                                        ; implicit-def: $vgpr15
	s_and_saveexec_b64 s[8:9], vcc
	s_cbranch_execz .LBB1499_37
; %bb.36:
	v_lshlrev_b32_e32 v15, 1, v16
	v_readfirstlane_b32 s10, v54
	v_readfirstlane_b32 s11, v55
	s_nop 4
	global_load_ushort v15, v15, s[10:11]
.LBB1499_37:
	s_or_b64 exec, exec, s[8:9]
	v_lshlrev_b32_e32 v16, 1, v0
	s_waitcnt vmcnt(0)
	ds_write_b16 v16, v1
	ds_write_b16 v16, v2 offset:512
	ds_write_b16 v16, v3 offset:1024
	;; [unrolled: 1-line block ×14, first 2 shown]
	v_mad_u32_u24 v7, v0, 28, v16
	s_waitcnt lgkmcnt(0)
	s_barrier
	ds_read_u16 v1, v7
	ds_read_b128 v[2:5], v7 offset:2
	ds_read_b96 v[22:24], v7 offset:18
	s_ashr_i32 s13, s12, 31
	s_movk_i32 s8, 0xffea
	v_mad_i32_i24 v7, v0, s8, v7
	v_pk_mov_b32 v[8:9], s[12:13], s[12:13] op_sel:[0,1]
	v_mul_u32_u24_e32 v6, 15, v0
	s_waitcnt lgkmcnt(0)
	s_barrier
	ds_write2st64_b64 v7, v[8:9], v[8:9] offset1:4
	ds_write2st64_b64 v7, v[8:9], v[8:9] offset0:8 offset1:12
	ds_write2st64_b64 v7, v[8:9], v[8:9] offset0:16 offset1:20
	;; [unrolled: 1-line block ×6, first 2 shown]
	ds_write_b64 v7, v[8:9] offset:28672
	v_mov_b32_e32 v25, v52
	v_mov_b32_e32 v7, v50
	;; [unrolled: 1-line block ×7, first 2 shown]
	s_waitcnt lgkmcnt(0)
	s_barrier
.LBB1499_38:
	v_lshlrev_b32_e32 v6, 3, v6
	v_lshlrev_b32_e32 v11, 3, v11
	;; [unrolled: 1-line block ×4, first 2 shown]
	ds_read2_b64 v[18:21], v6 offset1:2
	ds_read2_b64 v[14:17], v6 offset0:4 offset1:6
	v_lshlrev_b32_e32 v9, 3, v9
	ds_read_b64 v[38:39], v11
	ds_read_b64 v[36:37], v12
	;; [unrolled: 1-line block ×4, first 2 shown]
	ds_read2_b64 v[10:13], v6 offset0:8 offset1:10
	v_lshlrev_b32_e32 v26, 3, v8
	v_lshlrev_b32_e32 v27, 3, v7
	ds_read2_b64 v[6:9], v6 offset0:12 offset1:14
	v_lshlrev_b32_e32 v25, 3, v25
	ds_read_b64 v[32:33], v26
	ds_read_b64 v[28:29], v27
	;; [unrolled: 1-line block ×3, first 2 shown]
	s_cmp_eq_u64 s[6:7], 0
	s_cselect_b64 s[46:47], -1, 0
	s_cmp_lg_u64 s[6:7], 0
	s_mov_b64 s[8:9], 0
	s_cselect_b64 s[10:11], -1, 0
	s_and_b64 vcc, exec, s[4:5]
	s_waitcnt lgkmcnt(0)
	s_barrier
	s_cbranch_vccz .LBB1499_44
; %bb.39:
	s_and_b64 vcc, exec, s[10:11]
	s_cbranch_vccz .LBB1499_45
; %bb.40:
	global_load_ushort v41, v[54:55], off offset:-2
	v_lshrrev_b32_e32 v43, 16, v24
	v_lshlrev_b32_e32 v25, 1, v0
	v_cmp_ne_u16_e32 vcc, v24, v43
	v_cmp_ne_u16_sdwa s[8:9], v23, v24 src0_sel:WORD_1 src1_sel:DWORD
	v_cmp_ne_u16_sdwa s[12:13], v23, v23 src0_sel:DWORD src1_sel:WORD_1
	v_cmp_ne_u16_sdwa s[14:15], v22, v23 src0_sel:WORD_1 src1_sel:DWORD
	v_cmp_ne_u16_sdwa s[16:17], v22, v22 src0_sel:DWORD src1_sel:WORD_1
	;; [unrolled: 2-line block ×6, first 2 shown]
	v_cmp_ne_u16_e64 s[4:5], v1, v2
	ds_write_b16 v25, v43
	s_waitcnt lgkmcnt(0)
	s_barrier
	s_and_saveexec_b64 s[60:61], s[2:3]
	s_cbranch_execz .LBB1499_42
; %bb.41:
	v_add_u32_e32 v25, -2, v25
	s_waitcnt vmcnt(0)
	ds_read_u16 v41, v25
.LBB1499_42:
	s_or_b64 exec, exec, s[60:61]
	v_cndmask_b32_e64 v25, 0, 1, vcc
	v_cndmask_b32_e64 v76, 0, 1, s[8:9]
	v_cndmask_b32_e64 v77, 0, 1, s[12:13]
	;; [unrolled: 1-line block ×13, first 2 shown]
	s_waitcnt vmcnt(0) lgkmcnt(0)
	v_cmp_ne_u16_e64 s[4:5], v41, v1
	s_mov_b64 s[8:9], -1
.LBB1499_43:
                                        ; implicit-def: $sgpr14
	s_branch .LBB1499_57
.LBB1499_44:
                                        ; implicit-def: $sgpr4_sgpr5
                                        ; implicit-def: $vgpr25
                                        ; implicit-def: $vgpr76
                                        ; implicit-def: $vgpr77
                                        ; implicit-def: $vgpr78
                                        ; implicit-def: $vgpr79
                                        ; implicit-def: $vgpr80
                                        ; implicit-def: $vgpr81
                                        ; implicit-def: $vgpr82
                                        ; implicit-def: $vgpr83
                                        ; implicit-def: $vgpr84
                                        ; implicit-def: $vgpr85
                                        ; implicit-def: $vgpr86
                                        ; implicit-def: $vgpr87
                                        ; implicit-def: $vgpr88
                                        ; implicit-def: $sgpr14
	s_cbranch_execnz .LBB1499_49
	s_branch .LBB1499_57
.LBB1499_45:
                                        ; implicit-def: $sgpr4_sgpr5
                                        ; implicit-def: $vgpr25
                                        ; implicit-def: $vgpr76
                                        ; implicit-def: $vgpr77
                                        ; implicit-def: $vgpr78
                                        ; implicit-def: $vgpr79
                                        ; implicit-def: $vgpr80
                                        ; implicit-def: $vgpr81
                                        ; implicit-def: $vgpr82
                                        ; implicit-def: $vgpr83
                                        ; implicit-def: $vgpr84
                                        ; implicit-def: $vgpr85
                                        ; implicit-def: $vgpr86
                                        ; implicit-def: $vgpr87
                                        ; implicit-def: $vgpr88
	s_cbranch_execz .LBB1499_43
; %bb.46:
	v_cmp_ne_u16_sdwa s[4:5], v23, v24 src0_sel:WORD_1 src1_sel:DWORD
	v_cndmask_b32_e64 v76, 0, 1, s[4:5]
	v_cmp_ne_u16_sdwa s[4:5], v23, v23 src0_sel:DWORD src1_sel:WORD_1
	v_cndmask_b32_e64 v77, 0, 1, s[4:5]
	v_cmp_ne_u16_sdwa s[4:5], v22, v23 src0_sel:WORD_1 src1_sel:DWORD
	v_cndmask_b32_e64 v78, 0, 1, s[4:5]
	v_cmp_ne_u16_sdwa s[4:5], v22, v22 src0_sel:DWORD src1_sel:WORD_1
	v_cndmask_b32_e64 v79, 0, 1, s[4:5]
	;; [unrolled: 4-line block ×4, first 2 shown]
	v_cmp_ne_u16_sdwa s[4:5], v3, v4 src0_sel:WORD_1 src1_sel:DWORD
	v_lshrrev_b32_e32 v25, 16, v24
	v_cndmask_b32_e64 v84, 0, 1, s[4:5]
	v_cmp_ne_u16_sdwa s[4:5], v3, v3 src0_sel:DWORD src1_sel:WORD_1
	v_lshlrev_b32_e32 v41, 1, v0
	v_cmp_ne_u16_e32 vcc, v24, v25
	v_cndmask_b32_e64 v85, 0, 1, s[4:5]
	v_cmp_ne_u16_sdwa s[4:5], v2, v3 src0_sel:WORD_1 src1_sel:DWORD
	ds_write_b16 v41, v25
	v_cndmask_b32_e64 v25, 0, 1, vcc
	v_cndmask_b32_e64 v86, 0, 1, s[4:5]
	v_cmp_ne_u16_sdwa s[4:5], v2, v2 src0_sel:DWORD src1_sel:WORD_1
	v_cmp_ne_u16_e32 vcc, v1, v2
	s_mov_b32 s14, 1
	v_cndmask_b32_e64 v87, 0, 1, s[4:5]
	v_cndmask_b32_e64 v88, 0, 1, vcc
	s_waitcnt lgkmcnt(0)
	s_barrier
	s_waitcnt lgkmcnt(0)
                                        ; implicit-def: $sgpr4_sgpr5
	s_and_saveexec_b64 s[12:13], s[2:3]
	s_xor_b64 s[12:13], exec, s[12:13]
	s_cbranch_execz .LBB1499_48
; %bb.47:
	v_add_u32_e32 v41, -2, v41
	ds_read_u16 v41, v41
	s_or_b64 s[8:9], s[8:9], exec
	s_waitcnt lgkmcnt(0)
	v_cmp_ne_u16_e32 vcc, v41, v1
	s_and_b64 s[4:5], vcc, exec
.LBB1499_48:
	s_or_b64 exec, exec, s[12:13]
	s_branch .LBB1499_57
.LBB1499_49:
	s_mul_hi_u32 s5, s6, 0xfffff100
	s_mul_i32 s4, s7, 0xfffff100
	s_sub_i32 s5, s5, s6
	s_add_i32 s5, s5, s4
	s_mul_i32 s4, s6, 0xfffff100
	s_add_u32 s12, s4, s48
	s_addc_u32 s13, s5, s49
	s_and_b64 vcc, exec, s[10:11]
	v_lshrrev_b32_e32 v70, 16, v24
	v_mad_u32_u24 v56, v0, 15, 14
	v_cmp_ne_u16_sdwa s[58:59], v23, v24 src0_sel:WORD_1 src1_sel:DWORD
	v_mad_u32_u24 v68, v0, 15, 12
	v_cmp_ne_u16_sdwa s[10:11], v23, v23 src0_sel:DWORD src1_sel:WORD_1
	v_cmp_ne_u16_sdwa s[16:17], v22, v23 src0_sel:WORD_1 src1_sel:DWORD
	v_mad_u32_u24 v66, v0, 15, 10
	v_cmp_ne_u16_sdwa s[20:21], v22, v22 src0_sel:DWORD src1_sel:WORD_1
	;; [unrolled: 3-line block ×6, first 2 shown]
	v_cmp_ne_u16_e64 s[4:5], v1, v2
	s_cbranch_vccz .LBB1499_54
; %bb.50:
	global_load_ushort v71, v[54:55], off offset:-2
	v_mov_b32_e32 v57, 0
	v_cmp_gt_u64_e32 vcc, s[12:13], v[56:57]
	v_cmp_ne_u16_e64 s[6:7], v24, v70
	v_mov_b32_e32 v53, v57
	s_and_b64 s[6:7], vcc, s[6:7]
	v_cmp_gt_u64_e32 vcc, s[12:13], v[52:53]
	v_mov_b32_e32 v69, v57
	s_and_b64 s[8:9], vcc, s[58:59]
	v_cmp_gt_u64_e32 vcc, s[12:13], v[68:69]
	;; [unrolled: 3-line block ×13, first 2 shown]
	v_lshlrev_b32_e32 v25, 1, v0
	v_mul_u32_u24_e32 v54, 15, v0
	s_and_b64 s[4:5], vcc, s[4:5]
	ds_write_b16 v25, v70
	s_waitcnt lgkmcnt(0)
	s_barrier
	s_and_saveexec_b64 s[58:59], s[2:3]
	s_cbranch_execz .LBB1499_52
; %bb.51:
	v_add_u32_e32 v25, -2, v25
	s_waitcnt vmcnt(0)
	ds_read_u16 v71, v25
.LBB1499_52:
	s_or_b64 exec, exec, s[58:59]
	v_mov_b32_e32 v55, v57
	v_cndmask_b32_e64 v88, 0, 1, s[4:5]
	v_cmp_gt_u64_e32 vcc, s[12:13], v[54:55]
	s_waitcnt vmcnt(0) lgkmcnt(0)
	v_cmp_ne_u16_e64 s[4:5], v71, v1
	v_cndmask_b32_e64 v25, 0, 1, s[6:7]
	v_cndmask_b32_e64 v76, 0, 1, s[8:9]
	;; [unrolled: 1-line block ×13, first 2 shown]
	s_and_b64 s[4:5], vcc, s[4:5]
	s_mov_b64 s[8:9], -1
.LBB1499_53:
                                        ; implicit-def: $sgpr14
	v_mov_b32_e32 v89, s14
	s_and_saveexec_b64 s[2:3], s[8:9]
	s_cbranch_execnz .LBB1499_58
	s_branch .LBB1499_59
.LBB1499_54:
                                        ; implicit-def: $sgpr4_sgpr5
                                        ; implicit-def: $vgpr25
                                        ; implicit-def: $vgpr76
                                        ; implicit-def: $vgpr77
                                        ; implicit-def: $vgpr78
                                        ; implicit-def: $vgpr79
                                        ; implicit-def: $vgpr80
                                        ; implicit-def: $vgpr81
                                        ; implicit-def: $vgpr82
                                        ; implicit-def: $vgpr83
                                        ; implicit-def: $vgpr84
                                        ; implicit-def: $vgpr85
                                        ; implicit-def: $vgpr86
                                        ; implicit-def: $vgpr87
                                        ; implicit-def: $vgpr88
	s_cbranch_execz .LBB1499_53
; %bb.55:
	v_mov_b32_e32 v57, 0
	v_cmp_gt_u64_e32 vcc, s[12:13], v[56:57]
	v_cmp_ne_u16_e64 s[4:5], v24, v70
	s_and_b64 s[4:5], vcc, s[4:5]
	v_mov_b32_e32 v53, v57
	v_cndmask_b32_e64 v25, 0, 1, s[4:5]
	v_cmp_gt_u64_e32 vcc, s[12:13], v[52:53]
	v_cmp_ne_u16_sdwa s[4:5], v23, v24 src0_sel:WORD_1 src1_sel:DWORD
	s_and_b64 s[4:5], vcc, s[4:5]
	v_mov_b32_e32 v69, v57
	v_cndmask_b32_e64 v76, 0, 1, s[4:5]
	v_cmp_gt_u64_e32 vcc, s[12:13], v[68:69]
	v_cmp_ne_u16_sdwa s[4:5], v23, v23 src0_sel:DWORD src1_sel:WORD_1
	s_and_b64 s[4:5], vcc, s[4:5]
	v_mov_b32_e32 v51, v57
	v_cndmask_b32_e64 v77, 0, 1, s[4:5]
	v_cmp_gt_u64_e32 vcc, s[12:13], v[50:51]
	v_cmp_ne_u16_sdwa s[4:5], v22, v23 src0_sel:WORD_1 src1_sel:DWORD
	s_and_b64 s[4:5], vcc, s[4:5]
	v_mov_b32_e32 v67, v57
	v_cndmask_b32_e64 v78, 0, 1, s[4:5]
	v_cmp_gt_u64_e32 vcc, s[12:13], v[66:67]
	v_cmp_ne_u16_sdwa s[4:5], v22, v22 src0_sel:DWORD src1_sel:WORD_1
	;; [unrolled: 10-line block ×6, first 2 shown]
	s_and_b64 s[4:5], vcc, s[4:5]
	v_mov_b32_e32 v41, v57
	v_cndmask_b32_e64 v87, 0, 1, s[4:5]
	v_cmp_gt_u64_e32 vcc, s[12:13], v[40:41]
	v_cmp_ne_u16_e64 s[4:5], v1, v2
	s_and_b64 s[4:5], vcc, s[4:5]
	s_mov_b32 s14, 1
	v_lshlrev_b32_e32 v54, 1, v0
	v_cndmask_b32_e64 v88, 0, 1, s[4:5]
	ds_write_b16 v54, v70
	s_waitcnt lgkmcnt(0)
	s_barrier
	s_waitcnt lgkmcnt(0)
                                        ; implicit-def: $sgpr4_sgpr5
	s_and_saveexec_b64 s[6:7], s[2:3]
	s_cbranch_execz .LBB1499_206
; %bb.56:
	v_add_u32_e32 v40, -2, v54
	ds_read_u16 v40, v40
	v_mul_u32_u24_e32 v56, 15, v0
	v_cmp_gt_u64_e32 vcc, s[12:13], v[56:57]
	s_or_b64 s[8:9], s[8:9], exec
	s_waitcnt lgkmcnt(0)
	v_cmp_ne_u16_e64 s[2:3], v40, v1
	s_and_b64 s[2:3], vcc, s[2:3]
	s_and_b64 s[4:5], s[2:3], exec
	s_or_b64 exec, exec, s[6:7]
.LBB1499_57:
	v_mov_b32_e32 v89, s14
	s_and_saveexec_b64 s[2:3], s[8:9]
.LBB1499_58:
	v_cndmask_b32_e64 v89, 0, 1, s[4:5]
.LBB1499_59:
	s_or_b64 exec, exec, s[2:3]
	s_cmp_eq_u64 s[42:43], 0
	v_add3_u32 v40, v88, v89, v87
	s_cselect_b64 s[34:35], -1, 0
	s_cmp_lg_u32 s62, 0
	v_cmp_eq_u32_e64 s[26:27], 0, v88
	v_cmp_eq_u32_e64 s[24:25], 0, v87
	;; [unrolled: 1-line block ×3, first 2 shown]
	v_add3_u32 v92, v40, v86, v85
	v_cmp_eq_u32_e64 s[20:21], 0, v85
	v_cmp_eq_u32_e64 s[18:19], 0, v84
	v_cmp_eq_u32_e64 s[16:17], 0, v83
	v_cmp_eq_u32_e64 s[14:15], 0, v82
	v_cmp_eq_u32_e64 s[12:13], 0, v81
	v_cmp_eq_u32_e64 s[10:11], 0, v80
	v_cmp_eq_u32_e64 s[8:9], 0, v79
	v_cmp_eq_u32_e64 s[6:7], 0, v78
	v_cmp_eq_u32_e64 s[4:5], 0, v77
	v_cmp_eq_u32_e64 s[2:3], 0, v76
	v_cmp_eq_u32_e32 vcc, 0, v25
	v_mbcnt_lo_u32_b32 v91, -1, 0
	s_cbranch_scc0 .LBB1499_126
; %bb.60:
	v_cndmask_b32_e64 v41, 0, v18, s[26:27]
	v_cndmask_b32_e64 v40, 0, v19, s[26:27]
	v_add_co_u32_e64 v41, s[28:29], v41, v38
	v_addc_co_u32_e64 v40, s[28:29], v40, v39, s[28:29]
	v_cndmask_b32_e64 v41, 0, v41, s[24:25]
	v_cndmask_b32_e64 v40, 0, v40, s[24:25]
	v_add_co_u32_e64 v41, s[28:29], v41, v20
	v_addc_co_u32_e64 v40, s[28:29], v40, v21, s[28:29]
	;; [unrolled: 4-line block ×11, first 2 shown]
	v_cndmask_b32_e64 v41, 0, v41, s[4:5]
	v_add3_u32 v42, v92, v84, v83
	v_cndmask_b32_e64 v40, 0, v40, s[4:5]
	v_add_co_u32_e64 v41, s[28:29], v41, v6
	v_add3_u32 v42, v42, v82, v81
	v_addc_co_u32_e64 v40, s[28:29], v40, v7, s[28:29]
	v_cndmask_b32_e64 v41, 0, v41, s[2:3]
	v_add3_u32 v42, v42, v80, v79
	v_cndmask_b32_e64 v40, 0, v40, s[2:3]
	v_add_co_u32_e64 v41, s[28:29], v41, v26
	v_add3_u32 v42, v42, v78, v77
	v_addc_co_u32_e64 v40, s[28:29], v40, v27, s[28:29]
	v_cndmask_b32_e32 v41, 0, v41, vcc
	v_add3_u32 v44, v42, v76, v25
	v_cndmask_b32_e32 v40, 0, v40, vcc
	v_add_co_u32_e32 v42, vcc, v41, v8
	v_mbcnt_hi_u32_b32 v45, -1, v91
	v_addc_co_u32_e32 v43, vcc, v40, v9, vcc
	v_and_b32_e32 v40, 15, v45
	v_mov_b32_dpp v46, v44 row_shr:1 row_mask:0xf bank_mask:0xf
	v_mov_b32_dpp v41, v42 row_shr:1 row_mask:0xf bank_mask:0xf
	;; [unrolled: 1-line block ×3, first 2 shown]
	v_cmp_ne_u32_e32 vcc, 0, v40
	s_and_saveexec_b64 s[28:29], vcc
; %bb.61:
	v_cmp_eq_u32_e32 vcc, 0, v44
	v_cndmask_b32_e32 v41, 0, v41, vcc
	v_add_u32_e32 v46, v46, v44
	v_cndmask_b32_e32 v44, 0, v47, vcc
	v_add_co_u32_e32 v42, vcc, v41, v42
	v_addc_co_u32_e32 v43, vcc, v44, v43, vcc
	v_mov_b32_e32 v44, v46
; %bb.62:
	s_or_b64 exec, exec, s[28:29]
	s_nop 0
	v_mov_b32_dpp v46, v44 row_shr:2 row_mask:0xf bank_mask:0xf
	v_mov_b32_dpp v41, v42 row_shr:2 row_mask:0xf bank_mask:0xf
	v_mov_b32_dpp v47, v43 row_shr:2 row_mask:0xf bank_mask:0xf
	v_cmp_lt_u32_e32 vcc, 1, v40
	s_and_saveexec_b64 s[28:29], vcc
; %bb.63:
	v_cmp_eq_u32_e32 vcc, 0, v44
	v_cndmask_b32_e32 v41, 0, v41, vcc
	v_add_u32_e32 v46, v46, v44
	v_cndmask_b32_e32 v44, 0, v47, vcc
	v_add_co_u32_e32 v42, vcc, v41, v42
	v_addc_co_u32_e32 v43, vcc, v44, v43, vcc
	v_mov_b32_e32 v44, v46
; %bb.64:
	s_or_b64 exec, exec, s[28:29]
	s_nop 0
	v_mov_b32_dpp v46, v44 row_shr:4 row_mask:0xf bank_mask:0xf
	v_mov_b32_dpp v41, v42 row_shr:4 row_mask:0xf bank_mask:0xf
	v_mov_b32_dpp v47, v43 row_shr:4 row_mask:0xf bank_mask:0xf
	v_cmp_lt_u32_e32 vcc, 3, v40
	;; [unrolled: 16-line block ×3, first 2 shown]
	s_and_saveexec_b64 s[28:29], vcc
; %bb.67:
	v_cmp_eq_u32_e32 vcc, 0, v44
	v_cndmask_b32_e32 v41, 0, v41, vcc
	v_add_u32_e32 v40, v46, v44
	v_cndmask_b32_e32 v44, 0, v47, vcc
	v_add_co_u32_e32 v42, vcc, v41, v42
	v_addc_co_u32_e32 v43, vcc, v44, v43, vcc
	v_mov_b32_e32 v44, v40
; %bb.68:
	s_or_b64 exec, exec, s[28:29]
	v_and_b32_e32 v47, 16, v45
	v_mov_b32_dpp v41, v44 row_bcast:15 row_mask:0xf bank_mask:0xf
	v_mov_b32_dpp v40, v42 row_bcast:15 row_mask:0xf bank_mask:0xf
	;; [unrolled: 1-line block ×3, first 2 shown]
	v_cmp_ne_u32_e32 vcc, 0, v47
	s_and_saveexec_b64 s[28:29], vcc
; %bb.69:
	v_cmp_eq_u32_e32 vcc, 0, v44
	v_cndmask_b32_e32 v40, 0, v40, vcc
	v_add_u32_e32 v41, v41, v44
	v_cndmask_b32_e32 v44, 0, v46, vcc
	v_add_co_u32_e32 v42, vcc, v40, v42
	v_addc_co_u32_e32 v43, vcc, v44, v43, vcc
	v_mov_b32_e32 v44, v41
; %bb.70:
	s_or_b64 exec, exec, s[28:29]
	s_nop 0
	v_mov_b32_dpp v41, v44 row_bcast:31 row_mask:0xf bank_mask:0xf
	v_mov_b32_dpp v40, v42 row_bcast:31 row_mask:0xf bank_mask:0xf
	;; [unrolled: 1-line block ×3, first 2 shown]
	v_cmp_lt_u32_e32 vcc, 31, v45
	s_and_saveexec_b64 s[28:29], vcc
; %bb.71:
	v_cmp_eq_u32_e32 vcc, 0, v44
	v_cndmask_b32_e32 v40, 0, v40, vcc
	v_add_u32_e32 v41, v41, v44
	v_cndmask_b32_e32 v44, 0, v46, vcc
	v_add_co_u32_e32 v42, vcc, v40, v42
	v_addc_co_u32_e32 v43, vcc, v44, v43, vcc
	v_mov_b32_e32 v44, v41
; %bb.72:
	s_or_b64 exec, exec, s[28:29]
	v_lshrrev_b32_e32 v40, 6, v0
	v_or_b32_e32 v41, 63, v0
	v_cmp_eq_u32_e32 vcc, v41, v0
	v_lshlrev_b32_e32 v46, 4, v40
	s_and_saveexec_b64 s[28:29], vcc
	s_cbranch_execz .LBB1499_74
; %bb.73:
	ds_write_b32 v46, v44 offset:1056
	ds_write_b64 v46, v[42:43] offset:1064
.LBB1499_74:
	s_or_b64 exec, exec, s[28:29]
	v_cmp_gt_u32_e32 vcc, 4, v0
	s_waitcnt lgkmcnt(0)
	s_barrier
	s_and_saveexec_b64 s[28:29], vcc
	s_cbranch_execz .LBB1499_80
; %bb.75:
	v_lshlrev_b32_e32 v47, 4, v0
	ds_read_b32 v48, v47 offset:1056
	ds_read_b64 v[40:41], v47 offset:1064
	v_and_b32_e32 v49, 3, v45
	v_cmp_ne_u32_e32 vcc, 0, v49
	s_waitcnt lgkmcnt(1)
	v_mov_b32_dpp v51, v48 row_shr:1 row_mask:0xf bank_mask:0xf
	s_waitcnt lgkmcnt(0)
	v_mov_b32_dpp v50, v40 row_shr:1 row_mask:0xf bank_mask:0xf
	v_mov_b32_dpp v52, v41 row_shr:1 row_mask:0xf bank_mask:0xf
	s_and_saveexec_b64 s[42:43], vcc
; %bb.76:
	v_cmp_eq_u32_e32 vcc, 0, v48
	v_cndmask_b32_e32 v50, 0, v50, vcc
	v_add_u32_e32 v51, v51, v48
	v_cndmask_b32_e32 v48, 0, v52, vcc
	v_add_co_u32_e32 v40, vcc, v50, v40
	v_addc_co_u32_e32 v41, vcc, v48, v41, vcc
	v_mov_b32_e32 v48, v51
; %bb.77:
	s_or_b64 exec, exec, s[42:43]
	s_nop 0
	v_mov_b32_dpp v51, v48 row_shr:2 row_mask:0xf bank_mask:0xf
	v_mov_b32_dpp v50, v40 row_shr:2 row_mask:0xf bank_mask:0xf
	;; [unrolled: 1-line block ×3, first 2 shown]
	v_cmp_lt_u32_e32 vcc, 1, v49
	s_and_saveexec_b64 s[42:43], vcc
; %bb.78:
	v_cmp_eq_u32_e32 vcc, 0, v48
	v_cndmask_b32_e32 v50, 0, v50, vcc
	v_add_u32_e32 v49, v51, v48
	v_cndmask_b32_e32 v48, 0, v52, vcc
	v_add_co_u32_e32 v40, vcc, v50, v40
	v_addc_co_u32_e32 v41, vcc, v48, v41, vcc
	v_mov_b32_e32 v48, v49
; %bb.79:
	s_or_b64 exec, exec, s[42:43]
	ds_write_b32 v47, v48 offset:1056
	ds_write_b64 v47, v[40:41] offset:1064
.LBB1499_80:
	s_or_b64 exec, exec, s[28:29]
	v_cmp_gt_u32_e32 vcc, 64, v0
	v_cmp_lt_u32_e64 s[28:29], 63, v0
	v_pk_mov_b32 v[40:41], 0, 0
	v_mov_b32_e32 v52, 0
	s_waitcnt lgkmcnt(0)
	s_barrier
	s_and_saveexec_b64 s[42:43], s[28:29]
	s_cbranch_execz .LBB1499_82
; %bb.81:
	ds_read_b32 v52, v46 offset:1040
	ds_read_b64 v[40:41], v46 offset:1048
	v_cmp_eq_u32_e64 s[28:29], 0, v44
	s_waitcnt lgkmcnt(1)
	v_add_u32_e32 v46, v52, v44
	s_waitcnt lgkmcnt(0)
	v_cndmask_b32_e64 v47, 0, v40, s[28:29]
	v_cndmask_b32_e64 v44, 0, v41, s[28:29]
	v_add_co_u32_e64 v42, s[28:29], v47, v42
	v_addc_co_u32_e64 v43, s[28:29], v44, v43, s[28:29]
	v_mov_b32_e32 v44, v46
.LBB1499_82:
	s_or_b64 exec, exec, s[42:43]
	v_add_u32_e32 v46, -1, v45
	v_and_b32_e32 v47, 64, v45
	v_cmp_lt_i32_e64 s[28:29], v46, v47
	v_cndmask_b32_e64 v46, v46, v45, s[28:29]
	v_lshlrev_b32_e32 v46, 2, v46
	ds_bpermute_b32 v53, v46, v44
	ds_bpermute_b32 v54, v46, v42
	;; [unrolled: 1-line block ×3, first 2 shown]
	v_cmp_eq_u32_e64 s[28:29], 0, v45
	s_and_saveexec_b64 s[42:43], vcc
	s_cbranch_execz .LBB1499_125
; %bb.83:
	v_mov_b32_e32 v47, 0
	ds_read_b32 v56, v47 offset:1104
	ds_read_b64 v[42:43], v47 offset:1112
	s_and_saveexec_b64 s[48:49], s[28:29]
	s_cbranch_execz .LBB1499_85
; %bb.84:
	s_add_i32 s58, s62, 64
	s_mov_b32 s59, 0
	s_lshl_b64 s[60:61], s[58:59], 4
	s_add_u32 s60, s36, s60
	s_addc_u32 s61, s37, s61
	v_mov_b32_e32 v44, s58
	v_mov_b32_e32 v46, 1
	s_waitcnt lgkmcnt(1)
	global_store_dword v47, v56, s[60:61]
	s_waitcnt lgkmcnt(0)
	global_store_dwordx2 v47, v[42:43], s[60:61] offset:8
	s_waitcnt vmcnt(0)
	buffer_wbinvl1_vol
	global_store_byte v44, v46, s[40:41]
.LBB1499_85:
	s_or_b64 exec, exec, s[48:49]
	v_xad_u32 v44, v45, -1, s62
	v_add_u32_e32 v46, 64, v44
	global_load_ubyte v57, v46, s[40:41] glc
	s_waitcnt vmcnt(0)
	v_cmp_eq_u16_e32 vcc, 0, v57
	s_and_saveexec_b64 s[48:49], vcc
	s_cbranch_execz .LBB1499_89
; %bb.86:
	v_mov_b32_e32 v49, s41
	v_add_co_u32_e32 v48, vcc, s40, v46
	v_addc_co_u32_e32 v49, vcc, 0, v49, vcc
	s_mov_b64 s[58:59], 0
.LBB1499_87:                            ; =>This Inner Loop Header: Depth=1
	global_load_ubyte v57, v[48:49], off glc
	s_waitcnt vmcnt(0)
	v_cmp_ne_u16_e32 vcc, 0, v57
	s_or_b64 s[58:59], vcc, s[58:59]
	s_andn2_b64 exec, exec, s[58:59]
	s_cbranch_execnz .LBB1499_87
; %bb.88:
	s_or_b64 exec, exec, s[58:59]
.LBB1499_89:
	s_or_b64 exec, exec, s[48:49]
	v_mov_b32_e32 v48, s39
	v_mov_b32_e32 v49, s37
	v_cmp_eq_u16_e32 vcc, 1, v57
	v_cndmask_b32_e32 v48, v48, v49, vcc
	v_mov_b32_e32 v49, s38
	v_mov_b32_e32 v50, s36
	v_cndmask_b32_e32 v49, v49, v50, vcc
	v_lshlrev_b64 v[46:47], 4, v[46:47]
	v_add_co_u32_e32 v46, vcc, v49, v46
	v_addc_co_u32_e32 v47, vcc, v48, v47, vcc
	s_waitcnt lgkmcnt(0)
	buffer_wbinvl1_vol
	global_load_dword v72, v[46:47], off
	global_load_dwordx2 v[50:51], v[46:47], off offset:8
	v_cmp_eq_u16_e32 vcc, 2, v57
	v_lshlrev_b64 v[46:47], v45, -1
	v_and_b32_e32 v58, 63, v45
	v_and_b32_e32 v48, vcc_hi, v47
	v_and_b32_e32 v62, vcc_lo, v46
	v_cmp_ne_u32_e32 vcc, 63, v58
	v_addc_co_u32_e32 v49, vcc, 0, v45, vcc
	v_lshlrev_b32_e32 v59, 2, v49
	v_or_b32_e32 v48, 0x80000000, v48
	v_ffbl_b32_e32 v48, v48
	v_add_u32_e32 v48, 32, v48
	v_ffbl_b32_e32 v62, v62
	v_min_u32_e32 v48, v62, v48
	v_cmp_lt_u32_e32 vcc, v58, v48
	s_waitcnt vmcnt(1)
	ds_bpermute_b32 v60, v59, v72
	s_waitcnt vmcnt(0)
	ds_bpermute_b32 v49, v59, v50
	ds_bpermute_b32 v61, v59, v51
	s_and_saveexec_b64 s[48:49], vcc
	s_cbranch_execz .LBB1499_91
; %bb.90:
	v_cmp_eq_u32_e32 vcc, 0, v72
	s_waitcnt lgkmcnt(1)
	v_cndmask_b32_e32 v49, 0, v49, vcc
	v_add_u32_e32 v60, v60, v72
	s_waitcnt lgkmcnt(0)
	v_cndmask_b32_e32 v61, 0, v61, vcc
	v_add_co_u32_e32 v50, vcc, v49, v50
	v_addc_co_u32_e32 v51, vcc, v61, v51, vcc
	v_mov_b32_e32 v72, v60
.LBB1499_91:
	s_or_b64 exec, exec, s[48:49]
	v_cmp_gt_u32_e32 vcc, 62, v58
	s_waitcnt lgkmcnt(1)
	v_cndmask_b32_e64 v49, 0, 1, vcc
	v_lshlrev_b32_e32 v49, 1, v49
	v_add_lshl_u32 v60, v49, v45, 2
	ds_bpermute_b32 v62, v60, v72
	ds_bpermute_b32 v49, v60, v50
	ds_bpermute_b32 v63, v60, v51
	s_waitcnt lgkmcnt(3)
	v_add_u32_e32 v61, 2, v58
	v_cmp_le_u32_e32 vcc, v61, v48
	s_and_saveexec_b64 s[48:49], vcc
	s_cbranch_execz .LBB1499_93
; %bb.92:
	v_cmp_eq_u32_e32 vcc, 0, v72
	s_waitcnt lgkmcnt(1)
	v_cndmask_b32_e32 v49, 0, v49, vcc
	v_add_u32_e32 v62, v62, v72
	s_waitcnt lgkmcnt(0)
	v_cndmask_b32_e32 v63, 0, v63, vcc
	v_add_co_u32_e32 v50, vcc, v49, v50
	v_addc_co_u32_e32 v51, vcc, v63, v51, vcc
	v_mov_b32_e32 v72, v62
.LBB1499_93:
	s_or_b64 exec, exec, s[48:49]
	v_cmp_gt_u32_e32 vcc, 60, v58
	s_waitcnt lgkmcnt(1)
	v_cndmask_b32_e64 v49, 0, 1, vcc
	v_lshlrev_b32_e32 v49, 2, v49
	v_add_lshl_u32 v62, v49, v45, 2
	ds_bpermute_b32 v64, v62, v72
	ds_bpermute_b32 v49, v62, v50
	ds_bpermute_b32 v65, v62, v51
	s_waitcnt lgkmcnt(3)
	v_add_u32_e32 v63, 4, v58
	v_cmp_le_u32_e32 vcc, v63, v48
	;; [unrolled: 25-line block ×4, first 2 shown]
	s_and_saveexec_b64 s[48:49], vcc
	s_cbranch_execz .LBB1499_99
; %bb.98:
	v_cmp_eq_u32_e32 vcc, 0, v72
	s_waitcnt lgkmcnt(1)
	v_cndmask_b32_e32 v49, 0, v49, vcc
	v_add_u32_e32 v68, v68, v72
	s_waitcnt lgkmcnt(0)
	v_cndmask_b32_e32 v69, 0, v69, vcc
	v_add_co_u32_e32 v50, vcc, v49, v50
	v_addc_co_u32_e32 v51, vcc, v69, v51, vcc
	v_mov_b32_e32 v72, v68
.LBB1499_99:
	s_or_b64 exec, exec, s[48:49]
	v_cmp_gt_u32_e32 vcc, 32, v58
	s_waitcnt lgkmcnt(1)
	v_cndmask_b32_e64 v49, 0, 1, vcc
	v_lshlrev_b32_e32 v49, 5, v49
	v_add_lshl_u32 v68, v49, v45, 2
	ds_bpermute_b32 v49, v68, v72
	ds_bpermute_b32 v45, v68, v50
	s_waitcnt lgkmcnt(2)
	ds_bpermute_b32 v69, v68, v51
	v_add_u32_e32 v70, 32, v58
	v_cmp_le_u32_e32 vcc, v70, v48
	s_and_saveexec_b64 s[48:49], vcc
	s_cbranch_execz .LBB1499_101
; %bb.100:
	v_cmp_eq_u32_e32 vcc, 0, v72
	s_waitcnt lgkmcnt(1)
	v_cndmask_b32_e32 v45, 0, v45, vcc
	v_add_u32_e32 v48, v49, v72
	s_waitcnt lgkmcnt(0)
	v_cndmask_b32_e32 v49, 0, v69, vcc
	v_add_co_u32_e32 v50, vcc, v45, v50
	v_addc_co_u32_e32 v51, vcc, v49, v51, vcc
	v_mov_b32_e32 v72, v48
.LBB1499_101:
	s_or_b64 exec, exec, s[48:49]
	s_waitcnt lgkmcnt(1)
	v_mov_b32_e32 v45, 0
	v_mov_b32_e32 v71, 2
	s_branch .LBB1499_103
.LBB1499_102:                           ;   in Loop: Header=BB1499_103 Depth=1
	s_or_b64 exec, exec, s[48:49]
	v_cmp_eq_u32_e32 vcc, 0, v69
	v_cndmask_b32_e32 v50, 0, v50, vcc
	v_cndmask_b32_e32 v51, 0, v51, vcc
	v_add_co_u32_e32 v50, vcc, v50, v48
	v_subrev_u32_e32 v44, 64, v44
	v_add_u32_e32 v72, v73, v69
	v_addc_co_u32_e32 v51, vcc, v51, v49, vcc
.LBB1499_103:                           ; =>This Loop Header: Depth=1
                                        ;     Child Loop BB1499_106 Depth 2
	v_cmp_ne_u16_sdwa s[48:49], v57, v71 src0_sel:BYTE_0 src1_sel:DWORD
	v_pk_mov_b32 v[48:49], v[50:51], v[50:51] op_sel:[0,1]
	v_cndmask_b32_e64 v50, 0, 1, s[48:49]
	;;#ASMSTART
	;;#ASMEND
	v_cmp_ne_u32_e32 vcc, 0, v50
	s_cmp_lg_u64 vcc, exec
	s_waitcnt lgkmcnt(0)
	v_mov_b32_e32 v69, v72
	s_cbranch_scc1 .LBB1499_120
; %bb.104:                              ;   in Loop: Header=BB1499_103 Depth=1
	global_load_ubyte v57, v44, s[40:41] glc
	s_waitcnt vmcnt(0)
	v_cmp_eq_u16_e32 vcc, 0, v57
	s_and_saveexec_b64 s[48:49], vcc
	s_cbranch_execz .LBB1499_108
; %bb.105:                              ;   in Loop: Header=BB1499_103 Depth=1
	v_mov_b32_e32 v51, s41
	v_add_co_u32_e32 v50, vcc, s40, v44
	v_addc_co_u32_e32 v51, vcc, 0, v51, vcc
	s_mov_b64 s[58:59], 0
.LBB1499_106:                           ;   Parent Loop BB1499_103 Depth=1
                                        ; =>  This Inner Loop Header: Depth=2
	global_load_ubyte v57, v[50:51], off glc
	s_waitcnt vmcnt(0)
	v_cmp_ne_u16_e32 vcc, 0, v57
	s_or_b64 s[58:59], vcc, s[58:59]
	s_andn2_b64 exec, exec, s[58:59]
	s_cbranch_execnz .LBB1499_106
; %bb.107:                              ;   in Loop: Header=BB1499_103 Depth=1
	s_or_b64 exec, exec, s[58:59]
.LBB1499_108:                           ;   in Loop: Header=BB1499_103 Depth=1
	s_or_b64 exec, exec, s[48:49]
	v_mov_b32_e32 v50, s39
	v_mov_b32_e32 v51, s37
	v_cmp_eq_u16_e32 vcc, 1, v57
	v_cndmask_b32_e32 v72, v50, v51, vcc
	v_mov_b32_e32 v50, s38
	v_mov_b32_e32 v51, s36
	v_cndmask_b32_e32 v73, v50, v51, vcc
	v_lshlrev_b64 v[50:51], 4, v[44:45]
	v_add_co_u32_e32 v50, vcc, v73, v50
	v_addc_co_u32_e32 v51, vcc, v72, v51, vcc
	buffer_wbinvl1_vol
	global_load_dword v73, v[50:51], off
	s_nop 0
	global_load_dwordx2 v[50:51], v[50:51], off offset:8
	v_cmp_eq_u16_e32 vcc, 2, v57
	v_and_b32_e32 v72, vcc_hi, v47
	v_or_b32_e32 v72, 0x80000000, v72
	v_and_b32_e32 v93, vcc_lo, v46
	v_ffbl_b32_e32 v72, v72
	v_add_u32_e32 v72, 32, v72
	v_ffbl_b32_e32 v93, v93
	v_min_u32_e32 v72, v93, v72
	v_cmp_lt_u32_e32 vcc, v58, v72
	s_waitcnt vmcnt(1)
	ds_bpermute_b32 v75, v59, v73
	s_waitcnt vmcnt(0)
	ds_bpermute_b32 v74, v59, v50
	ds_bpermute_b32 v90, v59, v51
	s_and_saveexec_b64 s[48:49], vcc
	s_cbranch_execz .LBB1499_110
; %bb.109:                              ;   in Loop: Header=BB1499_103 Depth=1
	v_cmp_eq_u32_e32 vcc, 0, v73
	s_waitcnt lgkmcnt(1)
	v_cndmask_b32_e32 v74, 0, v74, vcc
	v_add_u32_e32 v75, v75, v73
	s_waitcnt lgkmcnt(0)
	v_cndmask_b32_e32 v73, 0, v90, vcc
	v_add_co_u32_e32 v50, vcc, v74, v50
	v_addc_co_u32_e32 v51, vcc, v73, v51, vcc
	v_mov_b32_e32 v73, v75
.LBB1499_110:                           ;   in Loop: Header=BB1499_103 Depth=1
	s_or_b64 exec, exec, s[48:49]
	s_waitcnt lgkmcnt(2)
	ds_bpermute_b32 v75, v60, v73
	s_waitcnt lgkmcnt(2)
	ds_bpermute_b32 v74, v60, v50
	s_waitcnt lgkmcnt(2)
	ds_bpermute_b32 v90, v60, v51
	v_cmp_le_u32_e32 vcc, v61, v72
	s_and_saveexec_b64 s[48:49], vcc
	s_cbranch_execz .LBB1499_112
; %bb.111:                              ;   in Loop: Header=BB1499_103 Depth=1
	v_cmp_eq_u32_e32 vcc, 0, v73
	s_waitcnt lgkmcnt(1)
	v_cndmask_b32_e32 v74, 0, v74, vcc
	v_add_u32_e32 v75, v75, v73
	s_waitcnt lgkmcnt(0)
	v_cndmask_b32_e32 v73, 0, v90, vcc
	v_add_co_u32_e32 v50, vcc, v74, v50
	v_addc_co_u32_e32 v51, vcc, v73, v51, vcc
	v_mov_b32_e32 v73, v75
.LBB1499_112:                           ;   in Loop: Header=BB1499_103 Depth=1
	s_or_b64 exec, exec, s[48:49]
	s_waitcnt lgkmcnt(2)
	ds_bpermute_b32 v75, v62, v73
	s_waitcnt lgkmcnt(2)
	ds_bpermute_b32 v74, v62, v50
	s_waitcnt lgkmcnt(2)
	ds_bpermute_b32 v90, v62, v51
	v_cmp_le_u32_e32 vcc, v63, v72
	;; [unrolled: 21-line block ×5, first 2 shown]
	s_and_saveexec_b64 s[48:49], vcc
	s_cbranch_execz .LBB1499_102
; %bb.119:                              ;   in Loop: Header=BB1499_103 Depth=1
	v_cmp_eq_u32_e32 vcc, 0, v73
	s_waitcnt lgkmcnt(1)
	v_cndmask_b32_e32 v74, 0, v74, vcc
	v_add_u32_e32 v72, v75, v73
	s_waitcnt lgkmcnt(0)
	v_cndmask_b32_e32 v73, 0, v90, vcc
	v_add_co_u32_e32 v50, vcc, v74, v50
	v_addc_co_u32_e32 v51, vcc, v73, v51, vcc
	v_mov_b32_e32 v73, v72
	s_branch .LBB1499_102
.LBB1499_120:                           ;   in Loop: Header=BB1499_103 Depth=1
                                        ; implicit-def: $vgpr50_vgpr51
                                        ; implicit-def: $vgpr72
                                        ; implicit-def: $vgpr57
	s_cbranch_execz .LBB1499_103
; %bb.121:
	s_and_saveexec_b64 s[36:37], s[28:29]
	s_cbranch_execz .LBB1499_123
; %bb.122:
	s_mov_b32 s49, 0
	v_cmp_eq_u32_e32 vcc, 0, v56
	s_add_i32 s48, s62, 64
	v_cndmask_b32_e32 v44, 0, v48, vcc
	s_lshl_b64 s[58:59], s[48:49], 4
	v_cndmask_b32_e32 v45, 0, v49, vcc
	v_add_co_u32_e32 v44, vcc, v44, v42
	s_add_u32 s58, s38, s58
	v_add_u32_e32 v46, v69, v56
	v_addc_co_u32_e32 v45, vcc, v45, v43, vcc
	s_addc_u32 s59, s39, s59
	v_mov_b32_e32 v47, 0
	global_store_dword v47, v46, s[58:59]
	global_store_dwordx2 v47, v[44:45], s[58:59] offset:8
	v_mov_b32_e32 v44, s48
	v_mov_b32_e32 v45, 2
	s_waitcnt vmcnt(0) lgkmcnt(0)
	buffer_wbinvl1_vol
	global_store_byte v44, v45, s[40:41]
	ds_write_b32 v47, v56 offset:1024
	ds_write_b64 v47, v[42:43] offset:1032
	ds_write_b32 v47, v69 offset:1040
	ds_write_b64 v47, v[48:49] offset:1048
.LBB1499_123:
	s_or_b64 exec, exec, s[36:37]
	s_and_b64 exec, exec, s[0:1]
	s_cbranch_execz .LBB1499_125
; %bb.124:
	v_mov_b32_e32 v42, 0
	ds_write_b32 v42, v69 offset:1104
	ds_write_b64 v42, v[48:49] offset:1112
.LBB1499_125:
	s_or_b64 exec, exec, s[42:43]
	v_mov_b32_e32 v45, 0
	s_waitcnt lgkmcnt(0)
	s_barrier
	ds_read_b32 v44, v45 offset:1104
	ds_read_b64 v[42:43], v45 offset:1112
	v_cndmask_b32_e64 v46, v53, v52, s[28:29]
	v_cmp_eq_u32_e32 vcc, 0, v46
	v_cndmask_b32_e64 v40, v54, v40, s[28:29]
	v_cndmask_b32_e64 v41, v55, v41, s[28:29]
	s_waitcnt lgkmcnt(0)
	v_cndmask_b32_e32 v48, 0, v42, vcc
	v_cndmask_b32_e32 v47, 0, v43, vcc
	v_add_co_u32_e32 v40, vcc, v48, v40
	v_addc_co_u32_e32 v41, vcc, v47, v41, vcc
	v_cndmask_b32_e64 v70, v40, v42, s[0:1]
	v_cmp_eq_u32_e32 vcc, 0, v89
	v_cndmask_b32_e64 v46, v46, 0, s[0:1]
	v_cndmask_b32_e64 v71, v41, v43, s[0:1]
	v_cndmask_b32_e32 v41, 0, v70, vcc
	v_add_u32_e32 v90, v44, v46
	v_cndmask_b32_e32 v40, 0, v71, vcc
	v_add_co_u32_e32 v46, vcc, v41, v18
	v_addc_co_u32_e32 v47, vcc, v40, v19, vcc
	v_cndmask_b32_e64 v41, 0, v46, s[26:27]
	v_cndmask_b32_e64 v40, 0, v47, s[26:27]
	v_add_co_u32_e32 v48, vcc, v41, v38
	v_addc_co_u32_e32 v49, vcc, v40, v39, vcc
	v_cndmask_b32_e64 v41, 0, v48, s[24:25]
	v_cndmask_b32_e64 v40, 0, v49, s[24:25]
	;; [unrolled: 4-line block ×11, first 2 shown]
	v_add_co_u32_e32 v68, vcc, v41, v28
	v_addc_co_u32_e32 v69, vcc, v40, v29, vcc
	s_barrier
	ds_read_b32 v40, v45 offset:1024
	ds_read_b64 v[42:43], v45 offset:1032
	ds_read_b32 v44, v45 offset:1040
	ds_read_b64 v[94:95], v45 offset:1048
	v_cndmask_b32_e64 v72, 0, v68, s[4:5]
	v_cndmask_b32_e64 v41, 0, v69, s[4:5]
	v_add_co_u32_e32 v72, vcc, v72, v6
	v_addc_co_u32_e32 v73, vcc, v41, v7, vcc
	s_waitcnt lgkmcnt(3)
	v_cmp_eq_u32_e32 vcc, 0, v40
	s_waitcnt lgkmcnt(0)
	v_cndmask_b32_e32 v45, 0, v94, vcc
	v_cndmask_b32_e32 v41, 0, v95, vcc
	v_add_co_u32_e32 v42, vcc, v45, v42
	v_cndmask_b32_e64 v75, 0, v73, s[2:3]
	v_cndmask_b32_e64 v74, 0, v72, s[2:3]
	v_addc_co_u32_e32 v43, vcc, v41, v43, vcc
	s_branch .LBB1499_154
.LBB1499_126:
                                        ; implicit-def: $vgpr40
                                        ; implicit-def: $vgpr42_vgpr43
                                        ; implicit-def: $vgpr44
                                        ; implicit-def: $vgpr70_vgpr71
                                        ; implicit-def: $vgpr46_vgpr47
                                        ; implicit-def: $vgpr48_vgpr49
                                        ; implicit-def: $vgpr50_vgpr51
                                        ; implicit-def: $vgpr52_vgpr53
                                        ; implicit-def: $vgpr54_vgpr55
                                        ; implicit-def: $vgpr56_vgpr57
                                        ; implicit-def: $vgpr58_vgpr59
                                        ; implicit-def: $vgpr60_vgpr61
                                        ; implicit-def: $vgpr62_vgpr63
                                        ; implicit-def: $vgpr64_vgpr65
                                        ; implicit-def: $vgpr66_vgpr67
                                        ; implicit-def: $vgpr68_vgpr69
                                        ; implicit-def: $vgpr72_vgpr73
                                        ; implicit-def: $vgpr74_vgpr75
                                        ; implicit-def: $vgpr90
	s_cbranch_execz .LBB1499_154
; %bb.127:
	s_and_b64 s[2:3], s[34:35], exec
	s_cselect_b32 s3, 0, s31
	s_cselect_b32 s2, 0, s30
	s_cmp_eq_u64 s[2:3], 0
	v_pk_mov_b32 v[44:45], v[18:19], v[18:19] op_sel:[0,1]
	s_cbranch_scc1 .LBB1499_129
; %bb.128:
	v_mov_b32_e32 v40, 0
	global_load_dwordx2 v[44:45], v40, s[2:3]
.LBB1499_129:
	v_cmp_eq_u32_e64 s[24:25], 0, v88
	v_cndmask_b32_e64 v41, 0, v18, s[24:25]
	v_cndmask_b32_e64 v40, 0, v19, s[24:25]
	v_add_co_u32_e32 v41, vcc, v41, v38
	v_cmp_eq_u32_e64 s[22:23], 0, v87
	v_addc_co_u32_e32 v40, vcc, v40, v39, vcc
	v_cndmask_b32_e64 v41, 0, v41, s[22:23]
	v_cndmask_b32_e64 v40, 0, v40, s[22:23]
	v_add_co_u32_e32 v41, vcc, v41, v20
	v_cmp_eq_u32_e64 s[20:21], 0, v86
	v_addc_co_u32_e32 v40, vcc, v40, v21, vcc
	;; [unrolled: 5-line block ×11, first 2 shown]
	v_cndmask_b32_e64 v41, 0, v41, s[4:5]
	v_cndmask_b32_e64 v40, 0, v40, s[4:5]
	v_add_co_u32_e32 v41, vcc, v41, v6
	v_addc_co_u32_e32 v40, vcc, v40, v7, vcc
	v_cmp_eq_u32_e32 vcc, 0, v76
	v_cndmask_b32_e32 v41, 0, v41, vcc
	v_add3_u32 v42, v92, v84, v83
	v_cndmask_b32_e32 v40, 0, v40, vcc
	v_add_co_u32_e64 v41, s[26:27], v41, v26
	v_add3_u32 v42, v42, v82, v81
	v_addc_co_u32_e64 v40, s[26:27], v40, v27, s[26:27]
	v_add3_u32 v42, v42, v80, v79
	v_cmp_eq_u32_e64 s[26:27], 0, v25
	v_add3_u32 v42, v42, v78, v77
	v_cndmask_b32_e64 v41, 0, v41, s[26:27]
	v_add3_u32 v43, v42, v76, v25
	v_cndmask_b32_e64 v40, 0, v40, s[26:27]
	v_add_co_u32_e64 v8, s[26:27], v41, v8
	v_mbcnt_hi_u32_b32 v42, -1, v91
	v_addc_co_u32_e64 v9, s[26:27], v40, v9, s[26:27]
	v_and_b32_e32 v40, 15, v42
	v_mov_b32_dpp v46, v43 row_shr:1 row_mask:0xf bank_mask:0xf
	v_mov_b32_dpp v41, v8 row_shr:1 row_mask:0xf bank_mask:0xf
	;; [unrolled: 1-line block ×3, first 2 shown]
	v_cmp_ne_u32_e64 s[26:27], 0, v40
	s_and_saveexec_b64 s[28:29], s[26:27]
; %bb.130:
	v_cmp_eq_u32_e64 s[26:27], 0, v43
	v_cndmask_b32_e64 v41, 0, v41, s[26:27]
	v_add_u32_e32 v46, v46, v43
	v_cndmask_b32_e64 v43, 0, v47, s[26:27]
	v_add_co_u32_e64 v8, s[26:27], v41, v8
	v_addc_co_u32_e64 v9, s[26:27], v43, v9, s[26:27]
	v_mov_b32_e32 v43, v46
; %bb.131:
	s_or_b64 exec, exec, s[28:29]
	s_nop 0
	v_mov_b32_dpp v46, v43 row_shr:2 row_mask:0xf bank_mask:0xf
	v_mov_b32_dpp v41, v8 row_shr:2 row_mask:0xf bank_mask:0xf
	v_mov_b32_dpp v47, v9 row_shr:2 row_mask:0xf bank_mask:0xf
	v_cmp_lt_u32_e64 s[26:27], 1, v40
	s_and_saveexec_b64 s[28:29], s[26:27]
; %bb.132:
	v_cmp_eq_u32_e64 s[26:27], 0, v43
	v_cndmask_b32_e64 v41, 0, v41, s[26:27]
	v_add_u32_e32 v46, v46, v43
	v_cndmask_b32_e64 v43, 0, v47, s[26:27]
	v_add_co_u32_e64 v8, s[26:27], v41, v8
	v_addc_co_u32_e64 v9, s[26:27], v43, v9, s[26:27]
	v_mov_b32_e32 v43, v46
; %bb.133:
	s_or_b64 exec, exec, s[28:29]
	s_nop 0
	v_mov_b32_dpp v46, v43 row_shr:4 row_mask:0xf bank_mask:0xf
	v_mov_b32_dpp v41, v8 row_shr:4 row_mask:0xf bank_mask:0xf
	v_mov_b32_dpp v47, v9 row_shr:4 row_mask:0xf bank_mask:0xf
	v_cmp_lt_u32_e64 s[26:27], 3, v40
	s_and_saveexec_b64 s[28:29], s[26:27]
; %bb.134:
	v_cmp_eq_u32_e64 s[26:27], 0, v43
	v_cndmask_b32_e64 v41, 0, v41, s[26:27]
	v_add_u32_e32 v46, v46, v43
	v_cndmask_b32_e64 v43, 0, v47, s[26:27]
	v_add_co_u32_e64 v8, s[26:27], v41, v8
	v_addc_co_u32_e64 v9, s[26:27], v43, v9, s[26:27]
	v_mov_b32_e32 v43, v46
; %bb.135:
	s_or_b64 exec, exec, s[28:29]
	s_nop 0
	v_mov_b32_dpp v46, v43 row_shr:8 row_mask:0xf bank_mask:0xf
	v_mov_b32_dpp v41, v8 row_shr:8 row_mask:0xf bank_mask:0xf
	v_mov_b32_dpp v47, v9 row_shr:8 row_mask:0xf bank_mask:0xf
	v_cmp_lt_u32_e64 s[26:27], 7, v40
	s_and_saveexec_b64 s[28:29], s[26:27]
; %bb.136:
	v_cmp_eq_u32_e64 s[26:27], 0, v43
	v_cndmask_b32_e64 v41, 0, v41, s[26:27]
	v_add_u32_e32 v40, v46, v43
	v_cndmask_b32_e64 v43, 0, v47, s[26:27]
	v_add_co_u32_e64 v8, s[26:27], v41, v8
	v_addc_co_u32_e64 v9, s[26:27], v43, v9, s[26:27]
	v_mov_b32_e32 v43, v40
; %bb.137:
	s_or_b64 exec, exec, s[28:29]
	v_and_b32_e32 v47, 16, v42
	v_mov_b32_dpp v41, v43 row_bcast:15 row_mask:0xf bank_mask:0xf
	v_mov_b32_dpp v40, v8 row_bcast:15 row_mask:0xf bank_mask:0xf
	;; [unrolled: 1-line block ×3, first 2 shown]
	v_cmp_ne_u32_e64 s[26:27], 0, v47
	s_and_saveexec_b64 s[28:29], s[26:27]
; %bb.138:
	v_cmp_eq_u32_e64 s[26:27], 0, v43
	v_cndmask_b32_e64 v40, 0, v40, s[26:27]
	v_add_u32_e32 v41, v41, v43
	v_cndmask_b32_e64 v43, 0, v46, s[26:27]
	v_add_co_u32_e64 v8, s[26:27], v40, v8
	v_addc_co_u32_e64 v9, s[26:27], v43, v9, s[26:27]
	v_mov_b32_e32 v43, v41
; %bb.139:
	s_or_b64 exec, exec, s[28:29]
	s_nop 0
	v_mov_b32_dpp v41, v43 row_bcast:31 row_mask:0xf bank_mask:0xf
	v_mov_b32_dpp v40, v8 row_bcast:31 row_mask:0xf bank_mask:0xf
	;; [unrolled: 1-line block ×3, first 2 shown]
	v_cmp_lt_u32_e64 s[26:27], 31, v42
	s_and_saveexec_b64 s[28:29], s[26:27]
; %bb.140:
	v_cmp_eq_u32_e64 s[26:27], 0, v43
	v_cndmask_b32_e64 v40, 0, v40, s[26:27]
	v_add_u32_e32 v41, v41, v43
	v_cndmask_b32_e64 v43, 0, v46, s[26:27]
	v_add_co_u32_e64 v8, s[26:27], v40, v8
	v_addc_co_u32_e64 v9, s[26:27], v43, v9, s[26:27]
	v_mov_b32_e32 v43, v41
; %bb.141:
	s_or_b64 exec, exec, s[28:29]
	v_lshrrev_b32_e32 v40, 6, v0
	v_or_b32_e32 v41, 63, v0
	v_cmp_eq_u32_e64 s[26:27], v41, v0
	v_lshlrev_b32_e32 v46, 4, v40
	s_and_saveexec_b64 s[28:29], s[26:27]
	s_cbranch_execz .LBB1499_143
; %bb.142:
	ds_write_b32 v46, v43 offset:1056
	ds_write_b64 v46, v[8:9] offset:1064
.LBB1499_143:
	s_or_b64 exec, exec, s[28:29]
	v_cmp_gt_u32_e64 s[26:27], 4, v0
	s_waitcnt lgkmcnt(0)
	s_barrier
	s_and_saveexec_b64 s[28:29], s[26:27]
	s_cbranch_execz .LBB1499_149
; %bb.144:
	v_lshlrev_b32_e32 v47, 4, v0
	ds_read_b32 v48, v47 offset:1056
	ds_read_b64 v[40:41], v47 offset:1064
	v_and_b32_e32 v49, 3, v42
	v_cmp_ne_u32_e64 s[26:27], 0, v49
	s_waitcnt lgkmcnt(1)
	v_mov_b32_dpp v51, v48 row_shr:1 row_mask:0xf bank_mask:0xf
	s_waitcnt lgkmcnt(0)
	v_mov_b32_dpp v50, v40 row_shr:1 row_mask:0xf bank_mask:0xf
	v_mov_b32_dpp v52, v41 row_shr:1 row_mask:0xf bank_mask:0xf
	s_and_saveexec_b64 s[30:31], s[26:27]
; %bb.145:
	v_cmp_eq_u32_e64 s[26:27], 0, v48
	v_cndmask_b32_e64 v50, 0, v50, s[26:27]
	v_add_u32_e32 v51, v51, v48
	v_cndmask_b32_e64 v48, 0, v52, s[26:27]
	v_add_co_u32_e64 v40, s[26:27], v50, v40
	v_addc_co_u32_e64 v41, s[26:27], v48, v41, s[26:27]
	v_mov_b32_e32 v48, v51
; %bb.146:
	s_or_b64 exec, exec, s[30:31]
	s_nop 0
	v_mov_b32_dpp v51, v48 row_shr:2 row_mask:0xf bank_mask:0xf
	v_mov_b32_dpp v50, v40 row_shr:2 row_mask:0xf bank_mask:0xf
	;; [unrolled: 1-line block ×3, first 2 shown]
	v_cmp_lt_u32_e64 s[26:27], 1, v49
	s_and_saveexec_b64 s[30:31], s[26:27]
; %bb.147:
	v_cmp_eq_u32_e64 s[26:27], 0, v48
	v_cndmask_b32_e64 v50, 0, v50, s[26:27]
	v_add_u32_e32 v49, v51, v48
	v_cndmask_b32_e64 v48, 0, v52, s[26:27]
	v_add_co_u32_e64 v40, s[26:27], v50, v40
	v_addc_co_u32_e64 v41, s[26:27], v48, v41, s[26:27]
	v_mov_b32_e32 v48, v49
; %bb.148:
	s_or_b64 exec, exec, s[30:31]
	ds_write_b32 v47, v48 offset:1056
	ds_write_b64 v47, v[40:41] offset:1064
.LBB1499_149:
	s_or_b64 exec, exec, s[28:29]
	v_cmp_lt_u32_e64 s[26:27], 63, v0
	v_mov_b32_e32 v91, 0
	v_mov_b32_e32 v47, 0
	s_waitcnt vmcnt(0)
	v_pk_mov_b32 v[40:41], v[44:45], v[44:45] op_sel:[0,1]
	s_waitcnt lgkmcnt(0)
	s_barrier
	s_and_saveexec_b64 s[28:29], s[26:27]
	s_cbranch_execz .LBB1499_151
; %bb.150:
	ds_read_b32 v47, v46 offset:1040
	ds_read_b64 v[40:41], v46 offset:1048
	s_waitcnt lgkmcnt(1)
	v_cmp_eq_u32_e64 s[26:27], 0, v47
	v_cndmask_b32_e64 v48, 0, v44, s[26:27]
	v_cndmask_b32_e64 v46, 0, v45, s[26:27]
	s_waitcnt lgkmcnt(0)
	v_add_co_u32_e64 v40, s[26:27], v48, v40
	v_addc_co_u32_e64 v41, s[26:27], v46, v41, s[26:27]
.LBB1499_151:
	s_or_b64 exec, exec, s[28:29]
	v_cmp_eq_u32_e64 s[26:27], 0, v43
	v_cndmask_b32_e64 v48, 0, v40, s[26:27]
	v_add_u32_e32 v46, v47, v43
	v_cndmask_b32_e64 v43, 0, v41, s[26:27]
	v_add_co_u32_e64 v8, s[26:27], v48, v8
	v_addc_co_u32_e64 v9, s[26:27], v43, v9, s[26:27]
	v_add_u32_e32 v43, -1, v42
	v_and_b32_e32 v48, 64, v42
	v_cmp_lt_i32_e64 s[26:27], v43, v48
	v_cndmask_b32_e64 v43, v43, v42, s[26:27]
	v_lshlrev_b32_e32 v43, 2, v43
	ds_bpermute_b32 v8, v43, v8
	ds_bpermute_b32 v46, v43, v46
	;; [unrolled: 1-line block ×3, first 2 shown]
	v_cmp_eq_u32_e64 s[26:27], 0, v42
	s_waitcnt lgkmcnt(2)
	v_cndmask_b32_e64 v70, v8, v40, s[26:27]
	s_waitcnt lgkmcnt(1)
	v_cndmask_b32_e64 v90, v46, v47, s[26:27]
	;; [unrolled: 2-line block ×3, first 2 shown]
	v_cndmask_b32_e64 v8, v70, v44, s[0:1]
	v_cmp_eq_u32_e64 s[26:27], 0, v89
	v_cndmask_b32_e64 v9, v71, v45, s[0:1]
	v_cndmask_b32_e64 v8, 0, v8, s[26:27]
	;; [unrolled: 1-line block ×3, first 2 shown]
	v_add_co_u32_e64 v46, s[26:27], v8, v18
	v_addc_co_u32_e64 v47, s[26:27], v9, v19, s[26:27]
	v_cndmask_b32_e64 v9, 0, v46, s[24:25]
	v_cndmask_b32_e64 v8, 0, v47, s[24:25]
	v_add_co_u32_e64 v48, s[24:25], v9, v38
	v_addc_co_u32_e64 v49, s[24:25], v8, v39, s[24:25]
	v_cndmask_b32_e64 v9, 0, v48, s[22:23]
	v_cndmask_b32_e64 v8, 0, v49, s[22:23]
	;; [unrolled: 4-line block ×11, first 2 shown]
	v_add_co_u32_e64 v68, s[2:3], v9, v28
	v_addc_co_u32_e64 v69, s[2:3], v8, v29, s[2:3]
	v_cndmask_b32_e64 v9, 0, v68, s[4:5]
	ds_read_b32 v40, v91 offset:1104
	v_cndmask_b32_e64 v8, 0, v69, s[4:5]
	v_add_co_u32_e64 v72, s[2:3], v9, v6
	v_addc_co_u32_e64 v73, s[2:3], v8, v7, s[2:3]
	ds_read_b64 v[6:7], v91 offset:1112
	v_cndmask_b32_e32 v75, 0, v73, vcc
	v_cndmask_b32_e32 v74, 0, v72, vcc
	s_waitcnt lgkmcnt(1)
	v_cmp_eq_u32_e32 vcc, 0, v40
	v_cndmask_b32_e32 v9, 0, v44, vcc
	v_cndmask_b32_e32 v8, 0, v45, vcc
	s_waitcnt lgkmcnt(0)
	v_add_co_u32_e32 v42, vcc, v9, v6
	v_addc_co_u32_e32 v43, vcc, v8, v7, vcc
	s_and_saveexec_b64 s[2:3], s[0:1]
	s_cbranch_execz .LBB1499_153
; %bb.152:
	v_mov_b32_e32 v90, 0
	v_mov_b32_e32 v6, 2
	v_pk_mov_b32 v[70:71], v[44:45], v[44:45] op_sel:[0,1]
	global_store_dword v90, v40, s[38:39] offset:1024
	global_store_dwordx2 v90, v[42:43], s[38:39] offset:1032
	s_waitcnt vmcnt(0)
	buffer_wbinvl1_vol
	global_store_byte v90, v6, s[40:41] offset:64
.LBB1499_153:
	s_or_b64 exec, exec, s[2:3]
	v_mov_b32_e32 v44, 0
.LBB1499_154:
	s_and_b64 s[2:3], s[34:35], exec
	s_cselect_b32 s3, 0, s51
	s_cselect_b32 s2, 0, s50
	s_cmp_eq_u64 s[2:3], 0
	v_pk_mov_b32 v[8:9], 0, 0
	s_barrier
	s_cbranch_scc1 .LBB1499_156
; %bb.155:
	v_mov_b32_e32 v6, 0
	global_load_dwordx2 v[8:9], v6, s[2:3]
.LBB1499_156:
	s_waitcnt vmcnt(0)
	v_lshlrev_b64 v[6:7], 1, v[8:9]
	v_mov_b32_e32 v10, s53
	v_add_co_u32_e32 v11, vcc, s52, v6
	v_mov_b32_e32 v45, 0
	v_addc_co_u32_e32 v10, vcc, v10, v7, vcc
	v_lshlrev_b64 v[6:7], 1, v[44:45]
	v_add_co_u32_e32 v32, vcc, v11, v6
	v_addc_co_u32_e32 v33, vcc, v10, v7, vcc
	v_cmp_eq_u32_e32 vcc, 0, v89
	v_cndmask_b32_e64 v6, 1, 2, vcc
	v_cmp_eq_u32_e32 vcc, 0, v88
	v_cndmask_b32_e64 v7, 1, 2, vcc
	v_cmp_eq_u32_e32 vcc, 0, v87
	v_and_b32_e32 v6, v7, v6
	v_cndmask_b32_e64 v7, 1, 2, vcc
	v_cmp_eq_u32_e32 vcc, 0, v86
	v_add_u32_e32 v31, v90, v89
	v_and_b32_e32 v6, v6, v7
	v_cndmask_b32_e64 v7, 1, 2, vcc
	v_cmp_eq_u32_e32 vcc, 0, v85
	v_add_u32_e32 v30, v31, v88
	;; [unrolled: 4-line block ×12, first 2 shown]
	v_and_b32_e32 v6, v6, v7
	v_cndmask_b32_e64 v7, 1, 2, vcc
	s_movk_i32 s34, 0x100
	v_add_u32_e32 v13, v14, v77
	v_and_b32_e32 v6, v6, v7
	v_cmp_gt_u32_e32 vcc, s34, v40
	v_add_u32_e32 v12, v13, v76
	v_cmp_ne_u32_e64 s[30:31], 0, v89
	v_cmp_ne_u32_e64 s[28:29], 0, v88
	;; [unrolled: 1-line block ×15, first 2 shown]
	s_mov_b64 s[36:37], -1
	v_cmp_gt_i16_e64 s[34:35], 2, v6
	s_cbranch_vccz .LBB1499_163
; %bb.157:
	s_and_saveexec_b64 s[36:37], s[34:35]
	s_cbranch_execz .LBB1499_162
; %bb.158:
	v_cmp_ne_u16_e32 vcc, 1, v6
	s_mov_b64 s[38:39], 0
	s_and_saveexec_b64 s[34:35], vcc
	s_xor_b64 s[34:35], exec, s[34:35]
	s_cbranch_execnz .LBB1499_207
; %bb.159:
	s_andn2_saveexec_b64 s[34:35], s[34:35]
	s_cbranch_execnz .LBB1499_223
.LBB1499_160:
	s_or_b64 exec, exec, s[34:35]
	s_and_b64 exec, exec, s[38:39]
	s_cbranch_execz .LBB1499_162
.LBB1499_161:
	v_sub_u32_e32 v10, v12, v44
	v_mov_b32_e32 v11, 0
	v_lshlrev_b64 v[10:11], 1, v[10:11]
	v_add_co_u32_e32 v10, vcc, v32, v10
	v_addc_co_u32_e32 v11, vcc, v33, v11, vcc
	global_store_short_d16_hi v[10:11], v24, off
.LBB1499_162:
	s_or_b64 exec, exec, s[36:37]
	s_mov_b64 s[36:37], 0
.LBB1499_163:
	s_and_b64 vcc, exec, s[36:37]
	s_cbranch_vccz .LBB1499_185
; %bb.164:
	v_cmp_gt_i16_e32 vcc, 2, v6
	s_and_saveexec_b64 s[34:35], vcc
	s_cbranch_execz .LBB1499_169
; %bb.165:
	v_cmp_ne_u16_e32 vcc, 1, v6
	s_mov_b64 s[38:39], 0
	s_and_saveexec_b64 s[36:37], vcc
	s_xor_b64 s[36:37], exec, s[36:37]
	s_cbranch_execnz .LBB1499_224
; %bb.166:
	s_andn2_saveexec_b64 s[2:3], s[36:37]
	s_cbranch_execnz .LBB1499_240
.LBB1499_167:
	s_or_b64 exec, exec, s[2:3]
	s_and_b64 exec, exec, s[38:39]
	s_cbranch_execz .LBB1499_169
.LBB1499_168:
	v_sub_u32_e32 v1, v12, v44
	v_lshlrev_b32_e32 v1, 1, v1
	ds_write_b16_d16_hi v1, v24
.LBB1499_169:
	s_or_b64 exec, exec, s[34:35]
	v_cmp_lt_u32_e32 vcc, v0, v40
	s_waitcnt lgkmcnt(0)
	s_barrier
	s_and_saveexec_b64 s[4:5], vcc
	s_cbranch_execz .LBB1499_184
; %bb.170:
	v_xad_u32 v1, v0, -1, v40
	s_movk_i32 s2, 0x1700
	v_cmp_gt_u32_e64 s[6:7], s2, v1
	s_movk_i32 s2, 0x16ff
	v_cmp_lt_u32_e32 vcc, s2, v1
	v_mov_b32_e32 v2, v0
	s_and_saveexec_b64 s[8:9], vcc
	s_cbranch_execz .LBB1499_181
; %bb.171:
	v_sub_u32_e32 v2, v0, v40
	v_or_b32_e32 v2, 0xff, v2
	v_cmp_ge_u32_e32 vcc, v2, v0
	s_mov_b64 s[2:3], -1
	v_mov_b32_e32 v2, v0
	s_and_saveexec_b64 s[10:11], vcc
	s_cbranch_execz .LBB1499_180
; %bb.172:
	v_lshrrev_b32_e32 v22, 8, v1
	v_add_u32_e32 v4, -3, v22
	v_or_b32_e32 v3, 0x300, v0
	v_or_b32_e32 v2, 0x200, v0
	v_lshrrev_b32_e32 v5, 2, v4
	v_or_b32_e32 v1, 0x100, v0
	v_add_u32_e32 v24, 1, v5
	v_cmp_lt_u32_e32 vcc, 11, v4
	v_pk_mov_b32 v[6:7], v[2:3], v[2:3] op_sel:[0,1]
	v_mov_b32_e32 v36, 0
	v_lshlrev_b32_e32 v23, 1, v0
	v_pk_mov_b32 v[4:5], v[0:1], v[0:1] op_sel:[0,1]
	s_and_saveexec_b64 s[12:13], vcc
	s_cbranch_execz .LBB1499_176
; %bb.173:
	v_pk_mov_b32 v[6:7], v[2:3], v[2:3] op_sel:[0,1]
	v_and_b32_e32 v34, 0x7ffffffc, v24
	s_mov_b32 s16, 0
	s_mov_b64 s[14:15], 0
	v_mov_b32_e32 v11, 0
	v_mov_b32_e32 v35, v23
	v_pk_mov_b32 v[4:5], v[0:1], v[0:1] op_sel:[0,1]
.LBB1499_174:                           ; =>This Inner Loop Header: Depth=1
	v_mov_b32_e32 v10, v4
	v_lshlrev_b64 v[104:105], 1, v[10:11]
	v_add_u32_e32 v38, 0x400, v5
	v_mov_b32_e32 v39, v11
	v_add_co_u32_e64 v104, s[2:3], v32, v104
	v_lshlrev_b64 v[38:39], 1, v[38:39]
	v_addc_co_u32_e64 v105, s[2:3], v33, v105, s[2:3]
	v_add_u32_e32 v36, 0x400, v6
	v_mov_b32_e32 v37, v11
	v_add_co_u32_e64 v38, s[2:3], v32, v38
	v_lshlrev_b64 v[106:107], 1, v[36:37]
	v_addc_co_u32_e64 v39, s[2:3], v33, v39, s[2:3]
	v_add_u32_e32 v2, 0x400, v7
	v_mov_b32_e32 v3, v11
	v_add_co_u32_e64 v106, s[2:3], v32, v106
	v_add_u32_e32 v34, -4, v34
	v_mov_b32_e32 v10, v5
	v_lshlrev_b64 v[2:3], 1, v[2:3]
	v_addc_co_u32_e64 v107, s[2:3], v33, v107, s[2:3]
	v_add_u32_e32 v96, 0x800, v5
	v_mov_b32_e32 v97, v11
	s_add_i32 s16, s16, 16
	v_cmp_eq_u32_e32 vcc, 0, v34
	v_lshlrev_b64 v[108:109], 1, v[10:11]
	v_add_co_u32_e64 v2, s[2:3], v32, v2
	v_lshlrev_b64 v[96:97], 1, v[96:97]
	v_mov_b32_e32 v10, v6
	v_addc_co_u32_e64 v3, s[2:3], v33, v3, s[2:3]
	s_or_b64 s[14:15], vcc, s[14:15]
	v_add_co_u32_e32 v108, vcc, v32, v108
	v_add_u32_e32 v94, 0x800, v6
	v_mov_b32_e32 v95, v11
	v_add_co_u32_e64 v96, s[2:3], v32, v96
	v_addc_co_u32_e32 v109, vcc, v33, v109, vcc
	v_lshlrev_b64 v[110:111], 1, v[10:11]
	v_lshlrev_b64 v[94:95], 1, v[94:95]
	v_addc_co_u32_e64 v97, s[2:3], v33, v97, s[2:3]
	v_mov_b32_e32 v10, v7
	v_add_co_u32_e32 v110, vcc, v32, v110
	ds_read_u16 v1, v35
	ds_read_u16 v41, v35 offset:512
	ds_read_u16 v91, v35 offset:1024
	;; [unrolled: 1-line block ×7, first 2 shown]
	v_add_u32_e32 v92, 0x800, v7
	v_mov_b32_e32 v93, v11
	v_add_co_u32_e64 v94, s[2:3], v32, v94
	v_addc_co_u32_e32 v111, vcc, v33, v111, vcc
	v_lshlrev_b64 v[112:113], 1, v[10:11]
	v_lshlrev_b64 v[92:93], 1, v[92:93]
	v_addc_co_u32_e64 v95, s[2:3], v33, v95, s[2:3]
	v_add_u32_e32 v10, 0x400, v4
	v_add_co_u32_e32 v112, vcc, v32, v112
	v_add_u32_e32 v102, 0xc00, v5
	v_mov_b32_e32 v103, v11
	ds_read_u16 v119, v35 offset:4096
	ds_read_u16 v120, v35 offset:4608
	;; [unrolled: 1-line block ×8, first 2 shown]
	v_add_co_u32_e64 v92, s[2:3], v32, v92
	v_addc_co_u32_e32 v113, vcc, v33, v113, vcc
	s_waitcnt lgkmcnt(14)
	global_store_short v[104:105], v1, off
	global_store_short v[108:109], v41, off
	s_waitcnt lgkmcnt(13)
	global_store_short v[110:111], v91, off
	v_lshlrev_b64 v[104:105], 1, v[10:11]
	v_lshlrev_b64 v[102:103], 1, v[102:103]
	v_addc_co_u32_e64 v93, s[2:3], v33, v93, s[2:3]
	v_add_u32_e32 v10, 0x800, v4
	v_add_co_u32_e32 v104, vcc, v32, v104
	v_add_u32_e32 v100, 0xc00, v6
	v_mov_b32_e32 v101, v11
	v_add_co_u32_e64 v102, s[2:3], v32, v102
	v_addc_co_u32_e32 v105, vcc, v33, v105, vcc
	v_lshlrev_b64 v[108:109], 1, v[10:11]
	v_lshlrev_b64 v[100:101], 1, v[100:101]
	v_addc_co_u32_e64 v103, s[2:3], v33, v103, s[2:3]
	s_waitcnt lgkmcnt(12)
	global_store_short v[112:113], v114, off
	v_add_u32_e32 v10, 0xc00, v4
	s_waitcnt lgkmcnt(11)
	global_store_short v[104:105], v115, off
	s_waitcnt lgkmcnt(10)
	global_store_short v[38:39], v116, off
	;; [unrolled: 2-line block ×4, first 2 shown]
	v_add_co_u32_e32 v2, vcc, v32, v108
	v_add_u32_e32 v98, 0xc00, v7
	v_mov_b32_e32 v99, v11
	v_add_co_u32_e64 v100, s[2:3], v32, v100
	v_addc_co_u32_e32 v3, vcc, v33, v109, vcc
	v_lshlrev_b64 v[38:39], 1, v[10:11]
	v_lshlrev_b64 v[98:99], 1, v[98:99]
	v_addc_co_u32_e64 v101, s[2:3], v33, v101, s[2:3]
	s_waitcnt lgkmcnt(7)
	global_store_short v[2:3], v119, off
	s_waitcnt lgkmcnt(6)
	global_store_short v[96:97], v120, off
	;; [unrolled: 2-line block ×4, first 2 shown]
	v_add_co_u32_e32 v2, vcc, v32, v38
	v_add_u32_e32 v35, 0x2000, v35
	v_add_u32_e32 v5, 0x1000, v5
	v_mov_b32_e32 v36, s16
	v_add_co_u32_e64 v98, s[2:3], v32, v98
	v_add_u32_e32 v6, 0x1000, v6
	v_add_u32_e32 v7, 0x1000, v7
	;; [unrolled: 1-line block ×3, first 2 shown]
	v_addc_co_u32_e32 v3, vcc, v33, v39, vcc
	v_addc_co_u32_e64 v99, s[2:3], v33, v99, s[2:3]
	s_waitcnt lgkmcnt(3)
	global_store_short v[2:3], v123, off
	s_waitcnt lgkmcnt(2)
	global_store_short v[102:103], v124, off
	s_waitcnt lgkmcnt(1)
	global_store_short v[100:101], v125, off
	s_waitcnt lgkmcnt(0)
	global_store_short v[98:99], v126, off
	s_andn2_b64 exec, exec, s[14:15]
	s_cbranch_execnz .LBB1499_174
; %bb.175:
	s_or_b64 exec, exec, s[14:15]
.LBB1499_176:
	s_or_b64 exec, exec, s[12:13]
	v_and_b32_e32 v1, 3, v24
	v_cmp_ne_u32_e32 vcc, 0, v1
	s_and_saveexec_b64 s[12:13], vcc
	s_cbranch_execz .LBB1499_179
; %bb.177:
	v_lshl_or_b32 v10, v36, 9, v23
	s_mov_b64 s[14:15], 0
	v_mov_b32_e32 v3, 0
.LBB1499_178:                           ; =>This Inner Loop Header: Depth=1
	v_mov_b32_e32 v2, v4
	v_add_u32_e32 v1, -1, v1
	v_lshlrev_b64 v[34:35], 1, v[2:3]
	v_mov_b32_e32 v2, v5
	v_cmp_eq_u32_e32 vcc, 0, v1
	v_lshlrev_b64 v[36:37], 1, v[2:3]
	ds_read_u16 v11, v10
	ds_read_u16 v23, v10 offset:512
	ds_read_u16 v24, v10 offset:1024
	;; [unrolled: 1-line block ×3, first 2 shown]
	v_mov_b32_e32 v2, v6
	s_or_b64 s[14:15], vcc, s[14:15]
	v_add_co_u32_e32 v36, vcc, v32, v36
	v_addc_co_u32_e32 v37, vcc, v33, v37, vcc
	v_lshlrev_b64 v[38:39], 1, v[2:3]
	v_mov_b32_e32 v2, v7
	v_add_co_u32_e32 v38, vcc, v32, v38
	v_add_co_u32_e64 v34, s[2:3], v32, v34
	v_addc_co_u32_e32 v39, vcc, v33, v39, vcc
	v_lshlrev_b64 v[92:93], 1, v[2:3]
	v_add_u32_e32 v4, 0x400, v4
	v_add_u32_e32 v10, 0x800, v10
	;; [unrolled: 1-line block ×3, first 2 shown]
	v_addc_co_u32_e64 v35, s[2:3], v33, v35, s[2:3]
	v_add_u32_e32 v6, 0x400, v6
	v_add_u32_e32 v7, 0x400, v7
	v_add_co_u32_e32 v92, vcc, v32, v92
	v_addc_co_u32_e32 v93, vcc, v33, v93, vcc
	s_waitcnt lgkmcnt(3)
	global_store_short v[34:35], v11, off
	s_waitcnt lgkmcnt(2)
	global_store_short v[36:37], v23, off
	;; [unrolled: 2-line block ×4, first 2 shown]
	s_andn2_b64 exec, exec, s[14:15]
	s_cbranch_execnz .LBB1499_178
.LBB1499_179:
	s_or_b64 exec, exec, s[12:13]
	v_add_u32_e32 v1, 1, v22
	v_and_b32_e32 v3, 0x1fffffc, v1
	v_cmp_ne_u32_e32 vcc, v1, v3
	v_lshl_or_b32 v2, v3, 8, v0
	s_orn2_b64 s[2:3], vcc, exec
.LBB1499_180:
	s_or_b64 exec, exec, s[10:11]
	s_andn2_b64 s[6:7], s[6:7], exec
	s_and_b64 s[2:3], s[2:3], exec
	s_or_b64 s[6:7], s[6:7], s[2:3]
.LBB1499_181:
	s_or_b64 exec, exec, s[8:9]
	s_and_b64 exec, exec, s[6:7]
	s_cbranch_execz .LBB1499_184
; %bb.182:
	v_lshlrev_b32_e32 v1, 1, v2
	s_mov_b64 s[2:3], 0
	v_mov_b32_e32 v3, 0
.LBB1499_183:                           ; =>This Inner Loop Header: Depth=1
	v_lshlrev_b64 v[4:5], 1, v[2:3]
	ds_read_u16 v6, v1
	v_add_co_u32_e32 v4, vcc, v32, v4
	v_add_u32_e32 v2, 0x100, v2
	v_addc_co_u32_e32 v5, vcc, v33, v5, vcc
	v_cmp_ge_u32_e32 vcc, v2, v40
	v_add_u32_e32 v1, 0x200, v1
	s_or_b64 s[2:3], vcc, s[2:3]
	s_waitcnt lgkmcnt(0)
	global_store_short v[4:5], v6, off
	s_andn2_b64 exec, exec, s[2:3]
	s_cbranch_execnz .LBB1499_183
.LBB1499_184:
	s_or_b64 exec, exec, s[4:5]
.LBB1499_185:
	s_cmpk_lg_i32 s33, 0xf00
	s_cselect_b64 s[2:3], -1, 0
	v_cndmask_b32_e64 v10, 0, 1, s[46:47]
	s_and_b64 s[2:3], s[2:3], s[44:45]
	v_sub_u32_e32 v1, v40, v10
	v_cndmask_b32_e64 v4, 0, 1, s[2:3]
	s_and_b64 s[0:1], s[0:1], s[46:47]
	v_add_co_u32_e32 v2, vcc, v74, v26
	v_add_u32_e32 v1, v1, v4
	v_cndmask_b32_e64 v4, v89, 0, s[0:1]
	s_mul_hi_u32 s0, s33, 0x88888889
	v_addc_co_u32_e32 v3, vcc, v75, v27, vcc
	s_lshr_b32 s0, s0, 3
	v_mad_i32_i24 v5, v0, -15, s33
	v_cmp_eq_u32_e32 vcc, s0, v0
	v_cmp_ne_u32_e64 s[0:1], 0, v5
	v_cndmask_b32_e64 v6, 1, v4, s[0:1]
	v_cmp_ne_u32_e64 s[0:1], 1, v5
	v_cndmask_b32_e64 v7, 1, v88, s[0:1]
	;; [unrolled: 2-line block ×15, first 2 shown]
	s_and_b64 vcc, vcc, s[44:45]
	v_cndmask_b32_e32 v25, v25, v5, vcc
	v_cndmask_b32_e32 v39, v4, v6, vcc
	v_lshlrev_b64 v[4:5], 3, v[8:9]
	v_cndmask_b32_e32 v37, v76, v37, vcc
	v_cndmask_b32_e32 v36, v77, v36, vcc
	v_cndmask_b32_e32 v35, v78, v35, vcc
	v_cndmask_b32_e32 v34, v79, v34, vcc
	v_cndmask_b32_e32 v33, v80, v33, vcc
	v_cndmask_b32_e32 v32, v81, v32, vcc
	v_cndmask_b32_e32 v27, v82, v27, vcc
	v_cndmask_b32_e32 v26, v83, v26, vcc
	v_cndmask_b32_e32 v24, v84, v24, vcc
	v_cndmask_b32_e32 v23, v85, v23, vcc
	v_cndmask_b32_e32 v22, v86, v22, vcc
	v_cndmask_b32_e32 v11, v87, v11, vcc
	v_cndmask_b32_e32 v38, v88, v7, vcc
	v_mov_b32_e32 v6, s55
	v_add_co_u32_e32 v7, vcc, s54, v4
	v_addc_co_u32_e32 v6, vcc, v6, v5, vcc
	v_lshlrev_b64 v[4:5], 3, v[44:45]
	v_add_co_u32_e32 v4, vcc, v7, v4
	v_addc_co_u32_e32 v5, vcc, v6, v5, vcc
	v_lshlrev_b32_e32 v6, 3, v10
	v_add_co_u32_e32 v6, vcc, v6, v4
	v_addc_co_u32_e32 v7, vcc, 0, v5, vcc
	v_add_co_u32_e32 v6, vcc, -8, v6
	v_addc_co_u32_e32 v7, vcc, -1, v7, vcc
	v_cmp_eq_u32_e32 vcc, 0, v39
	v_cmp_ne_u32_e64 s[28:29], 0, v39
	v_cndmask_b32_e64 v39, 1, 2, vcc
	v_cmp_eq_u32_e32 vcc, 0, v38
	v_cmp_ne_u32_e64 s[26:27], 0, v38
	v_cndmask_b32_e64 v38, 1, 2, vcc
	v_cmp_eq_u32_e32 vcc, 0, v11
	v_and_b32_e32 v38, v38, v39
	v_cmp_ne_u32_e64 s[24:25], 0, v11
	v_cndmask_b32_e64 v11, 1, 2, vcc
	v_cmp_eq_u32_e32 vcc, 0, v22
	v_and_b32_e32 v11, v38, v11
	;; [unrolled: 4-line block ×3, first 2 shown]
	v_cndmask_b32_e64 v22, 1, 2, vcc
	v_cmp_eq_u32_e32 vcc, 0, v24
	v_and_b32_e32 v11, v11, v22
	v_cndmask_b32_e64 v22, 1, 2, vcc
	v_cmp_eq_u32_e32 vcc, 0, v26
	v_and_b32_e32 v11, v11, v22
	;; [unrolled: 3-line block ×10, first 2 shown]
	v_cndmask_b32_e64 v22, 1, 2, vcc
	s_movk_i32 s30, 0x100
	v_and_b32_e32 v11, v11, v22
	v_cmp_gt_u32_e32 vcc, s30, v1
	v_add_u32_e32 v10, v44, v10
	v_cmp_ne_u32_e64 s[20:21], 0, v23
	v_cmp_ne_u32_e64 s[18:19], 0, v24
	;; [unrolled: 1-line block ×11, first 2 shown]
	s_mov_b64 s[34:35], -1
	v_cmp_gt_i16_e64 s[30:31], 2, v11
	s_barrier
	s_cbranch_vccz .LBB1499_192
; %bb.186:
	s_and_saveexec_b64 s[34:35], s[30:31]
	s_cbranch_execz .LBB1499_191
; %bb.187:
	v_cmp_ne_u16_e32 vcc, 1, v11
	s_mov_b64 s[36:37], 0
	s_and_saveexec_b64 s[30:31], vcc
	s_xor_b64 s[30:31], exec, s[30:31]
	s_cbranch_execnz .LBB1499_241
; %bb.188:
	s_andn2_saveexec_b64 s[30:31], s[30:31]
	s_cbranch_execnz .LBB1499_257
.LBB1499_189:
	s_or_b64 exec, exec, s[30:31]
	s_and_b64 exec, exec, s[36:37]
	s_cbranch_execz .LBB1499_191
.LBB1499_190:
	v_sub_u32_e32 v22, v12, v10
	v_mov_b32_e32 v23, 0
	v_lshlrev_b64 v[22:23], 3, v[22:23]
	v_add_co_u32_e32 v22, vcc, v6, v22
	v_addc_co_u32_e32 v23, vcc, v7, v23, vcc
	global_store_dwordx2 v[22:23], v[2:3], off
.LBB1499_191:
	s_or_b64 exec, exec, s[34:35]
	s_mov_b64 s[34:35], 0
.LBB1499_192:
	s_and_b64 vcc, exec, s[34:35]
	s_cbranch_vccz .LBB1499_202
; %bb.193:
	v_cmp_gt_i16_e32 vcc, 2, v11
	s_and_saveexec_b64 s[30:31], vcc
	s_cbranch_execz .LBB1499_198
; %bb.194:
	v_cmp_ne_u16_e32 vcc, 1, v11
	s_mov_b64 s[36:37], 0
	s_and_saveexec_b64 s[34:35], vcc
	s_xor_b64 s[34:35], exec, s[34:35]
	s_cbranch_execnz .LBB1499_258
; %bb.195:
	s_andn2_saveexec_b64 s[0:1], s[34:35]
	s_cbranch_execnz .LBB1499_274
.LBB1499_196:
	s_or_b64 exec, exec, s[0:1]
	s_and_b64 exec, exec, s[36:37]
	s_cbranch_execz .LBB1499_198
.LBB1499_197:
	v_sub_u32_e32 v10, v12, v10
	v_lshlrev_b32_e32 v10, 3, v10
	ds_write_b64 v10, v[2:3]
.LBB1499_198:
	s_or_b64 exec, exec, s[30:31]
	v_cmp_lt_u32_e32 vcc, v0, v1
	s_waitcnt lgkmcnt(0)
	s_barrier
	s_and_saveexec_b64 s[0:1], vcc
	s_cbranch_execz .LBB1499_201
; %bb.199:
	v_lshlrev_b32_e32 v10, 3, v0
	s_mov_b64 s[2:3], 0
	v_mov_b32_e32 v3, 0
	v_mov_b32_e32 v2, v0
.LBB1499_200:                           ; =>This Inner Loop Header: Depth=1
	v_lshlrev_b64 v[12:13], 3, v[2:3]
	ds_read_b64 v[14:15], v10
	v_add_co_u32_e32 v12, vcc, v6, v12
	v_add_u32_e32 v2, 0x100, v2
	v_addc_co_u32_e32 v13, vcc, v7, v13, vcc
	v_cmp_ge_u32_e32 vcc, v2, v1
	v_add_u32_e32 v10, 0x800, v10
	s_or_b64 s[2:3], vcc, s[2:3]
	s_waitcnt lgkmcnt(0)
	global_store_dwordx2 v[12:13], v[14:15], off
	s_andn2_b64 exec, exec, s[2:3]
	s_cbranch_execnz .LBB1499_200
.LBB1499_201:
	s_or_b64 exec, exec, s[0:1]
.LBB1499_202:
	s_movk_i32 s0, 0xff
	v_cmp_eq_u32_e32 vcc, s0, v0
	s_and_b64 s[0:1], vcc, s[44:45]
	s_and_saveexec_b64 s[2:3], s[0:1]
	s_cbranch_execz .LBB1499_205
; %bb.203:
	v_add_co_u32_e32 v0, vcc, v40, v44
	v_addc_co_u32_e64 v1, s[0:1], 0, 0, vcc
	v_add_co_u32_e32 v0, vcc, v0, v8
	v_mov_b32_e32 v41, 0
	v_addc_co_u32_e32 v1, vcc, v1, v9, vcc
	s_cmpk_lg_i32 s33, 0xf00
	global_store_dwordx2 v41, v[0:1], s[56:57]
	s_cbranch_scc1 .LBB1499_205
; %bb.204:
	v_lshlrev_b64 v[0:1], 3, v[40:41]
	v_add_co_u32_e32 v0, vcc, v4, v0
	v_addc_co_u32_e32 v1, vcc, v5, v1, vcc
	global_store_dwordx2 v[0:1], v[42:43], off offset:-8
.LBB1499_205:
	s_endpgm
.LBB1499_206:
	s_or_b64 exec, exec, s[6:7]
	v_mov_b32_e32 v89, s14
	s_and_saveexec_b64 s[2:3], s[8:9]
	s_cbranch_execnz .LBB1499_58
	s_branch .LBB1499_59
.LBB1499_207:
	s_and_saveexec_b64 s[38:39], s[30:31]
	s_cbranch_execnz .LBB1499_275
; %bb.208:
	s_or_b64 exec, exec, s[38:39]
	s_and_saveexec_b64 s[38:39], s[28:29]
	s_cbranch_execnz .LBB1499_276
.LBB1499_209:
	s_or_b64 exec, exec, s[38:39]
	s_and_saveexec_b64 s[38:39], s[26:27]
	s_cbranch_execnz .LBB1499_277
.LBB1499_210:
	s_or_b64 exec, exec, s[38:39]
	s_and_saveexec_b64 s[38:39], s[24:25]
	s_cbranch_execnz .LBB1499_278
.LBB1499_211:
	s_or_b64 exec, exec, s[38:39]
	s_and_saveexec_b64 s[38:39], s[22:23]
	s_cbranch_execnz .LBB1499_279
.LBB1499_212:
	s_or_b64 exec, exec, s[38:39]
	s_and_saveexec_b64 s[38:39], s[20:21]
	s_cbranch_execnz .LBB1499_280
.LBB1499_213:
	s_or_b64 exec, exec, s[38:39]
	s_and_saveexec_b64 s[38:39], s[18:19]
	s_cbranch_execnz .LBB1499_281
.LBB1499_214:
	s_or_b64 exec, exec, s[38:39]
	s_and_saveexec_b64 s[38:39], s[16:17]
	s_cbranch_execnz .LBB1499_282
.LBB1499_215:
	s_or_b64 exec, exec, s[38:39]
	s_and_saveexec_b64 s[38:39], s[14:15]
	s_cbranch_execnz .LBB1499_283
.LBB1499_216:
	s_or_b64 exec, exec, s[38:39]
	s_and_saveexec_b64 s[38:39], s[12:13]
	s_cbranch_execnz .LBB1499_284
.LBB1499_217:
	s_or_b64 exec, exec, s[38:39]
	s_and_saveexec_b64 s[38:39], s[10:11]
	s_cbranch_execnz .LBB1499_285
.LBB1499_218:
	s_or_b64 exec, exec, s[38:39]
	s_and_saveexec_b64 s[38:39], s[8:9]
	s_cbranch_execnz .LBB1499_286
.LBB1499_219:
	s_or_b64 exec, exec, s[38:39]
	s_and_saveexec_b64 s[38:39], s[6:7]
	s_cbranch_execnz .LBB1499_287
.LBB1499_220:
	s_or_b64 exec, exec, s[38:39]
	s_and_saveexec_b64 s[38:39], s[4:5]
	s_cbranch_execz .LBB1499_222
.LBB1499_221:
	v_sub_u32_e32 v10, v13, v44
	v_mov_b32_e32 v11, 0
	v_lshlrev_b64 v[10:11], 1, v[10:11]
	v_add_co_u32_e32 v10, vcc, v32, v10
	v_addc_co_u32_e32 v11, vcc, v33, v11, vcc
	global_store_short v[10:11], v24, off
.LBB1499_222:
	s_or_b64 exec, exec, s[38:39]
	s_and_b64 s[38:39], s[2:3], exec
	s_andn2_saveexec_b64 s[34:35], s[34:35]
	s_cbranch_execz .LBB1499_160
.LBB1499_223:
	v_sub_u32_e32 v10, v90, v44
	v_mov_b32_e32 v11, 0
	v_lshlrev_b64 v[34:35], 1, v[10:11]
	v_add_co_u32_e32 v34, vcc, v32, v34
	v_addc_co_u32_e32 v35, vcc, v33, v35, vcc
	v_sub_u32_e32 v10, v31, v44
	global_store_short v[34:35], v1, off
	v_lshlrev_b64 v[34:35], 1, v[10:11]
	v_add_co_u32_e32 v34, vcc, v32, v34
	v_addc_co_u32_e32 v35, vcc, v33, v35, vcc
	v_sub_u32_e32 v10, v30, v44
	global_store_short v[34:35], v2, off
	v_lshlrev_b64 v[34:35], 1, v[10:11]
	v_add_co_u32_e32 v34, vcc, v32, v34
	v_addc_co_u32_e32 v35, vcc, v33, v35, vcc
	v_sub_u32_e32 v10, v29, v44
	global_store_short_d16_hi v[34:35], v2, off
	v_lshlrev_b64 v[34:35], 1, v[10:11]
	v_add_co_u32_e32 v34, vcc, v32, v34
	v_addc_co_u32_e32 v35, vcc, v33, v35, vcc
	v_sub_u32_e32 v10, v28, v44
	global_store_short v[34:35], v3, off
	v_lshlrev_b64 v[34:35], 1, v[10:11]
	v_add_co_u32_e32 v34, vcc, v32, v34
	v_addc_co_u32_e32 v35, vcc, v33, v35, vcc
	v_sub_u32_e32 v10, v21, v44
	global_store_short_d16_hi v[34:35], v3, off
	;; [unrolled: 10-line block ×5, first 2 shown]
	v_lshlrev_b64 v[34:35], 1, v[10:11]
	v_add_co_u32_e32 v34, vcc, v32, v34
	v_addc_co_u32_e32 v35, vcc, v33, v35, vcc
	v_sub_u32_e32 v10, v14, v44
	global_store_short v[34:35], v23, off
	v_lshlrev_b64 v[34:35], 1, v[10:11]
	v_add_co_u32_e32 v34, vcc, v32, v34
	v_sub_u32_e32 v10, v13, v44
	v_addc_co_u32_e32 v35, vcc, v33, v35, vcc
	v_lshlrev_b64 v[10:11], 1, v[10:11]
	v_add_co_u32_e32 v10, vcc, v32, v10
	v_addc_co_u32_e32 v11, vcc, v33, v11, vcc
	s_or_b64 s[38:39], s[38:39], exec
	global_store_short_d16_hi v[34:35], v23, off
	global_store_short v[10:11], v24, off
	s_or_b64 exec, exec, s[34:35]
	s_and_b64 exec, exec, s[38:39]
	s_cbranch_execnz .LBB1499_161
	s_branch .LBB1499_162
.LBB1499_224:
	s_and_saveexec_b64 s[38:39], s[30:31]
	s_cbranch_execnz .LBB1499_288
; %bb.225:
	s_or_b64 exec, exec, s[38:39]
	s_and_saveexec_b64 s[30:31], s[28:29]
	s_cbranch_execnz .LBB1499_289
.LBB1499_226:
	s_or_b64 exec, exec, s[30:31]
	s_and_saveexec_b64 s[28:29], s[26:27]
	s_cbranch_execnz .LBB1499_290
.LBB1499_227:
	s_or_b64 exec, exec, s[28:29]
	s_and_saveexec_b64 s[26:27], s[24:25]
	s_cbranch_execnz .LBB1499_291
.LBB1499_228:
	s_or_b64 exec, exec, s[26:27]
	s_and_saveexec_b64 s[24:25], s[22:23]
	s_cbranch_execnz .LBB1499_292
.LBB1499_229:
	s_or_b64 exec, exec, s[24:25]
	s_and_saveexec_b64 s[22:23], s[20:21]
	s_cbranch_execnz .LBB1499_293
.LBB1499_230:
	s_or_b64 exec, exec, s[22:23]
	s_and_saveexec_b64 s[20:21], s[18:19]
	s_cbranch_execnz .LBB1499_294
.LBB1499_231:
	s_or_b64 exec, exec, s[20:21]
	s_and_saveexec_b64 s[18:19], s[16:17]
	s_cbranch_execnz .LBB1499_295
.LBB1499_232:
	s_or_b64 exec, exec, s[18:19]
	s_and_saveexec_b64 s[16:17], s[14:15]
	s_cbranch_execnz .LBB1499_296
.LBB1499_233:
	s_or_b64 exec, exec, s[16:17]
	s_and_saveexec_b64 s[14:15], s[12:13]
	s_cbranch_execnz .LBB1499_297
.LBB1499_234:
	s_or_b64 exec, exec, s[14:15]
	s_and_saveexec_b64 s[12:13], s[10:11]
	s_cbranch_execnz .LBB1499_298
.LBB1499_235:
	s_or_b64 exec, exec, s[12:13]
	s_and_saveexec_b64 s[10:11], s[8:9]
	s_cbranch_execnz .LBB1499_299
.LBB1499_236:
	s_or_b64 exec, exec, s[10:11]
	s_and_saveexec_b64 s[8:9], s[6:7]
	s_cbranch_execnz .LBB1499_300
.LBB1499_237:
	s_or_b64 exec, exec, s[8:9]
	s_and_saveexec_b64 s[6:7], s[4:5]
	s_cbranch_execz .LBB1499_239
.LBB1499_238:
	v_sub_u32_e32 v1, v13, v44
	v_lshlrev_b32_e32 v1, 1, v1
	ds_write_b16 v1, v24
.LBB1499_239:
	s_or_b64 exec, exec, s[6:7]
	s_and_b64 s[38:39], s[2:3], exec
                                        ; implicit-def: $vgpr1
                                        ; implicit-def: $vgpr2
	s_andn2_saveexec_b64 s[2:3], s[36:37]
	s_cbranch_execz .LBB1499_167
.LBB1499_240:
	v_sub_u32_e32 v6, v90, v44
	v_lshlrev_b32_e32 v6, 1, v6
	ds_write_b16 v6, v1
	v_sub_u32_e32 v1, v31, v44
	v_lshlrev_b32_e32 v1, 1, v1
	ds_write_b16 v1, v2
	v_sub_u32_e32 v1, v30, v44
	v_lshlrev_b32_e32 v1, 1, v1
	ds_write_b16_d16_hi v1, v2
	v_sub_u32_e32 v1, v29, v44
	v_lshlrev_b32_e32 v1, 1, v1
	ds_write_b16 v1, v3
	v_sub_u32_e32 v1, v28, v44
	v_lshlrev_b32_e32 v1, 1, v1
	ds_write_b16_d16_hi v1, v3
	;; [unrolled: 6-line block ×6, first 2 shown]
	v_sub_u32_e32 v1, v13, v44
	v_lshlrev_b32_e32 v1, 1, v1
	s_or_b64 s[38:39], s[38:39], exec
	ds_write_b16 v1, v24
	s_or_b64 exec, exec, s[2:3]
	s_and_b64 exec, exec, s[38:39]
	s_cbranch_execnz .LBB1499_168
	s_branch .LBB1499_169
.LBB1499_241:
	s_and_saveexec_b64 s[36:37], s[28:29]
	s_cbranch_execnz .LBB1499_301
; %bb.242:
	s_or_b64 exec, exec, s[36:37]
	s_and_saveexec_b64 s[36:37], s[26:27]
	s_cbranch_execnz .LBB1499_302
.LBB1499_243:
	s_or_b64 exec, exec, s[36:37]
	s_and_saveexec_b64 s[36:37], s[24:25]
	s_cbranch_execnz .LBB1499_303
.LBB1499_244:
	s_or_b64 exec, exec, s[36:37]
	s_and_saveexec_b64 s[36:37], s[22:23]
	s_cbranch_execnz .LBB1499_304
.LBB1499_245:
	s_or_b64 exec, exec, s[36:37]
	s_and_saveexec_b64 s[36:37], s[20:21]
	s_cbranch_execnz .LBB1499_305
.LBB1499_246:
	s_or_b64 exec, exec, s[36:37]
	s_and_saveexec_b64 s[36:37], s[18:19]
	s_cbranch_execnz .LBB1499_306
.LBB1499_247:
	s_or_b64 exec, exec, s[36:37]
	s_and_saveexec_b64 s[36:37], s[16:17]
	s_cbranch_execnz .LBB1499_307
.LBB1499_248:
	s_or_b64 exec, exec, s[36:37]
	s_and_saveexec_b64 s[36:37], s[14:15]
	s_cbranch_execnz .LBB1499_308
.LBB1499_249:
	s_or_b64 exec, exec, s[36:37]
	s_and_saveexec_b64 s[36:37], s[12:13]
	s_cbranch_execnz .LBB1499_309
.LBB1499_250:
	s_or_b64 exec, exec, s[36:37]
	s_and_saveexec_b64 s[36:37], s[10:11]
	s_cbranch_execnz .LBB1499_310
.LBB1499_251:
	s_or_b64 exec, exec, s[36:37]
	s_and_saveexec_b64 s[36:37], s[8:9]
	s_cbranch_execnz .LBB1499_311
.LBB1499_252:
	s_or_b64 exec, exec, s[36:37]
	s_and_saveexec_b64 s[36:37], s[6:7]
	s_cbranch_execnz .LBB1499_312
.LBB1499_253:
	s_or_b64 exec, exec, s[36:37]
	s_and_saveexec_b64 s[36:37], s[4:5]
	s_cbranch_execnz .LBB1499_313
.LBB1499_254:
	s_or_b64 exec, exec, s[36:37]
	s_and_saveexec_b64 s[36:37], s[2:3]
	s_cbranch_execz .LBB1499_256
.LBB1499_255:
	v_sub_u32_e32 v22, v13, v10
	v_mov_b32_e32 v23, 0
	v_lshlrev_b64 v[22:23], 3, v[22:23]
	v_add_co_u32_e32 v22, vcc, v6, v22
	v_addc_co_u32_e32 v23, vcc, v7, v23, vcc
	global_store_dwordx2 v[22:23], v[72:73], off
.LBB1499_256:
	s_or_b64 exec, exec, s[36:37]
	s_and_b64 s[36:37], s[0:1], exec
	s_andn2_saveexec_b64 s[30:31], s[30:31]
	s_cbranch_execz .LBB1499_189
.LBB1499_257:
	v_sub_u32_e32 v22, v90, v10
	v_mov_b32_e32 v23, 0
	v_lshlrev_b64 v[24:25], 3, v[22:23]
	v_add_co_u32_e32 v24, vcc, v6, v24
	v_addc_co_u32_e32 v25, vcc, v7, v25, vcc
	v_sub_u32_e32 v22, v31, v10
	global_store_dwordx2 v[24:25], v[70:71], off
	v_lshlrev_b64 v[24:25], 3, v[22:23]
	v_add_co_u32_e32 v24, vcc, v6, v24
	v_addc_co_u32_e32 v25, vcc, v7, v25, vcc
	v_sub_u32_e32 v22, v30, v10
	global_store_dwordx2 v[24:25], v[46:47], off
	;; [unrolled: 5-line block ×12, first 2 shown]
	v_lshlrev_b64 v[24:25], 3, v[22:23]
	v_add_co_u32_e32 v24, vcc, v6, v24
	v_sub_u32_e32 v22, v13, v10
	v_addc_co_u32_e32 v25, vcc, v7, v25, vcc
	v_lshlrev_b64 v[22:23], 3, v[22:23]
	v_add_co_u32_e32 v22, vcc, v6, v22
	v_addc_co_u32_e32 v23, vcc, v7, v23, vcc
	s_or_b64 s[36:37], s[36:37], exec
	global_store_dwordx2 v[24:25], v[68:69], off
	global_store_dwordx2 v[22:23], v[72:73], off
	s_or_b64 exec, exec, s[30:31]
	s_and_b64 exec, exec, s[36:37]
	s_cbranch_execnz .LBB1499_190
	s_branch .LBB1499_191
.LBB1499_258:
	s_and_saveexec_b64 s[36:37], s[28:29]
	s_cbranch_execnz .LBB1499_314
; %bb.259:
	s_or_b64 exec, exec, s[36:37]
	s_and_saveexec_b64 s[28:29], s[26:27]
	s_cbranch_execnz .LBB1499_315
.LBB1499_260:
	s_or_b64 exec, exec, s[28:29]
	s_and_saveexec_b64 s[26:27], s[24:25]
	s_cbranch_execnz .LBB1499_316
.LBB1499_261:
	s_or_b64 exec, exec, s[26:27]
	s_and_saveexec_b64 s[24:25], s[22:23]
	s_cbranch_execnz .LBB1499_317
.LBB1499_262:
	s_or_b64 exec, exec, s[24:25]
	s_and_saveexec_b64 s[22:23], s[20:21]
	s_cbranch_execnz .LBB1499_318
.LBB1499_263:
	s_or_b64 exec, exec, s[22:23]
	s_and_saveexec_b64 s[20:21], s[18:19]
	s_cbranch_execnz .LBB1499_319
.LBB1499_264:
	s_or_b64 exec, exec, s[20:21]
	s_and_saveexec_b64 s[18:19], s[16:17]
	s_cbranch_execnz .LBB1499_320
.LBB1499_265:
	s_or_b64 exec, exec, s[18:19]
	s_and_saveexec_b64 s[16:17], s[14:15]
	s_cbranch_execnz .LBB1499_321
.LBB1499_266:
	s_or_b64 exec, exec, s[16:17]
	s_and_saveexec_b64 s[14:15], s[12:13]
	s_cbranch_execnz .LBB1499_322
.LBB1499_267:
	s_or_b64 exec, exec, s[14:15]
	s_and_saveexec_b64 s[12:13], s[10:11]
	s_cbranch_execnz .LBB1499_323
.LBB1499_268:
	s_or_b64 exec, exec, s[12:13]
	s_and_saveexec_b64 s[10:11], s[8:9]
	s_cbranch_execnz .LBB1499_324
.LBB1499_269:
	s_or_b64 exec, exec, s[10:11]
	s_and_saveexec_b64 s[8:9], s[6:7]
	s_cbranch_execnz .LBB1499_325
.LBB1499_270:
	s_or_b64 exec, exec, s[8:9]
	s_and_saveexec_b64 s[6:7], s[4:5]
	s_cbranch_execnz .LBB1499_326
.LBB1499_271:
	s_or_b64 exec, exec, s[6:7]
	s_and_saveexec_b64 s[4:5], s[2:3]
	s_cbranch_execz .LBB1499_273
.LBB1499_272:
	v_sub_u32_e32 v11, v13, v10
	v_lshlrev_b32_e32 v11, 3, v11
	ds_write_b64 v11, v[72:73]
.LBB1499_273:
	s_or_b64 exec, exec, s[4:5]
	s_and_b64 s[36:37], s[0:1], exec
                                        ; implicit-def: $vgpr70_vgpr71
                                        ; implicit-def: $vgpr46_vgpr47
                                        ; implicit-def: $vgpr48_vgpr49
                                        ; implicit-def: $vgpr50_vgpr51
                                        ; implicit-def: $vgpr52_vgpr53
                                        ; implicit-def: $vgpr54_vgpr55
                                        ; implicit-def: $vgpr56_vgpr57
                                        ; implicit-def: $vgpr58_vgpr59
                                        ; implicit-def: $vgpr60_vgpr61
                                        ; implicit-def: $vgpr62_vgpr63
                                        ; implicit-def: $vgpr64_vgpr65
                                        ; implicit-def: $vgpr66_vgpr67
                                        ; implicit-def: $vgpr68_vgpr69
                                        ; implicit-def: $vgpr72_vgpr73
                                        ; implicit-def: $vgpr90
                                        ; implicit-def: $vgpr31
                                        ; implicit-def: $vgpr30
                                        ; implicit-def: $vgpr29
                                        ; implicit-def: $vgpr28
                                        ; implicit-def: $vgpr21
                                        ; implicit-def: $vgpr20
                                        ; implicit-def: $vgpr19
                                        ; implicit-def: $vgpr18
                                        ; implicit-def: $vgpr17
                                        ; implicit-def: $vgpr16
                                        ; implicit-def: $vgpr15
                                        ; implicit-def: $vgpr14
                                        ; implicit-def: $vgpr13
	s_andn2_saveexec_b64 s[0:1], s[34:35]
	s_cbranch_execz .LBB1499_196
.LBB1499_274:
	v_sub_u32_e32 v11, v90, v10
	v_lshlrev_b32_e32 v11, 3, v11
	ds_write_b64 v11, v[70:71]
	v_sub_u32_e32 v11, v31, v10
	v_lshlrev_b32_e32 v11, 3, v11
	ds_write_b64 v11, v[46:47]
	;; [unrolled: 3-line block ×13, first 2 shown]
	v_sub_u32_e32 v11, v13, v10
	v_lshlrev_b32_e32 v11, 3, v11
	s_or_b64 s[36:37], s[36:37], exec
	ds_write_b64 v11, v[72:73]
	s_or_b64 exec, exec, s[0:1]
	s_and_b64 exec, exec, s[36:37]
	s_cbranch_execnz .LBB1499_197
	s_branch .LBB1499_198
.LBB1499_275:
	v_sub_u32_e32 v10, v90, v44
	v_mov_b32_e32 v11, 0
	v_lshlrev_b64 v[10:11], 1, v[10:11]
	v_add_co_u32_e32 v10, vcc, v32, v10
	v_addc_co_u32_e32 v11, vcc, v33, v11, vcc
	global_store_short v[10:11], v1, off
	s_or_b64 exec, exec, s[38:39]
	s_and_saveexec_b64 s[38:39], s[28:29]
	s_cbranch_execz .LBB1499_209
.LBB1499_276:
	v_sub_u32_e32 v10, v31, v44
	v_mov_b32_e32 v11, 0
	v_lshlrev_b64 v[10:11], 1, v[10:11]
	v_add_co_u32_e32 v10, vcc, v32, v10
	v_addc_co_u32_e32 v11, vcc, v33, v11, vcc
	global_store_short v[10:11], v2, off
	s_or_b64 exec, exec, s[38:39]
	s_and_saveexec_b64 s[38:39], s[26:27]
	s_cbranch_execz .LBB1499_210
.LBB1499_277:
	v_sub_u32_e32 v10, v30, v44
	v_mov_b32_e32 v11, 0
	v_lshlrev_b64 v[10:11], 1, v[10:11]
	v_add_co_u32_e32 v10, vcc, v32, v10
	v_addc_co_u32_e32 v11, vcc, v33, v11, vcc
	global_store_short_d16_hi v[10:11], v2, off
	s_or_b64 exec, exec, s[38:39]
	s_and_saveexec_b64 s[38:39], s[24:25]
	s_cbranch_execz .LBB1499_211
.LBB1499_278:
	v_sub_u32_e32 v10, v29, v44
	v_mov_b32_e32 v11, 0
	v_lshlrev_b64 v[10:11], 1, v[10:11]
	v_add_co_u32_e32 v10, vcc, v32, v10
	v_addc_co_u32_e32 v11, vcc, v33, v11, vcc
	global_store_short v[10:11], v3, off
	s_or_b64 exec, exec, s[38:39]
	s_and_saveexec_b64 s[38:39], s[22:23]
	s_cbranch_execz .LBB1499_212
.LBB1499_279:
	v_sub_u32_e32 v10, v28, v44
	v_mov_b32_e32 v11, 0
	v_lshlrev_b64 v[10:11], 1, v[10:11]
	v_add_co_u32_e32 v10, vcc, v32, v10
	v_addc_co_u32_e32 v11, vcc, v33, v11, vcc
	global_store_short_d16_hi v[10:11], v3, off
	s_or_b64 exec, exec, s[38:39]
	s_and_saveexec_b64 s[38:39], s[20:21]
	s_cbranch_execz .LBB1499_213
.LBB1499_280:
	v_sub_u32_e32 v10, v21, v44
	v_mov_b32_e32 v11, 0
	v_lshlrev_b64 v[10:11], 1, v[10:11]
	v_add_co_u32_e32 v10, vcc, v32, v10
	v_addc_co_u32_e32 v11, vcc, v33, v11, vcc
	global_store_short v[10:11], v4, off
	s_or_b64 exec, exec, s[38:39]
	s_and_saveexec_b64 s[38:39], s[18:19]
	s_cbranch_execz .LBB1499_214
.LBB1499_281:
	v_sub_u32_e32 v10, v20, v44
	v_mov_b32_e32 v11, 0
	v_lshlrev_b64 v[10:11], 1, v[10:11]
	v_add_co_u32_e32 v10, vcc, v32, v10
	v_addc_co_u32_e32 v11, vcc, v33, v11, vcc
	global_store_short_d16_hi v[10:11], v4, off
	s_or_b64 exec, exec, s[38:39]
	s_and_saveexec_b64 s[38:39], s[16:17]
	s_cbranch_execz .LBB1499_215
.LBB1499_282:
	v_sub_u32_e32 v10, v19, v44
	v_mov_b32_e32 v11, 0
	v_lshlrev_b64 v[10:11], 1, v[10:11]
	v_add_co_u32_e32 v10, vcc, v32, v10
	v_addc_co_u32_e32 v11, vcc, v33, v11, vcc
	global_store_short v[10:11], v5, off
	s_or_b64 exec, exec, s[38:39]
	s_and_saveexec_b64 s[38:39], s[14:15]
	s_cbranch_execz .LBB1499_216
.LBB1499_283:
	v_sub_u32_e32 v10, v18, v44
	v_mov_b32_e32 v11, 0
	v_lshlrev_b64 v[10:11], 1, v[10:11]
	v_add_co_u32_e32 v10, vcc, v32, v10
	v_addc_co_u32_e32 v11, vcc, v33, v11, vcc
	global_store_short_d16_hi v[10:11], v5, off
	s_or_b64 exec, exec, s[38:39]
	s_and_saveexec_b64 s[38:39], s[12:13]
	s_cbranch_execz .LBB1499_217
.LBB1499_284:
	v_sub_u32_e32 v10, v17, v44
	v_mov_b32_e32 v11, 0
	v_lshlrev_b64 v[10:11], 1, v[10:11]
	v_add_co_u32_e32 v10, vcc, v32, v10
	v_addc_co_u32_e32 v11, vcc, v33, v11, vcc
	global_store_short v[10:11], v22, off
	s_or_b64 exec, exec, s[38:39]
	s_and_saveexec_b64 s[38:39], s[10:11]
	s_cbranch_execz .LBB1499_218
.LBB1499_285:
	v_sub_u32_e32 v10, v16, v44
	v_mov_b32_e32 v11, 0
	v_lshlrev_b64 v[10:11], 1, v[10:11]
	v_add_co_u32_e32 v10, vcc, v32, v10
	v_addc_co_u32_e32 v11, vcc, v33, v11, vcc
	global_store_short_d16_hi v[10:11], v22, off
	s_or_b64 exec, exec, s[38:39]
	s_and_saveexec_b64 s[38:39], s[8:9]
	s_cbranch_execz .LBB1499_219
.LBB1499_286:
	v_sub_u32_e32 v10, v15, v44
	v_mov_b32_e32 v11, 0
	v_lshlrev_b64 v[10:11], 1, v[10:11]
	v_add_co_u32_e32 v10, vcc, v32, v10
	v_addc_co_u32_e32 v11, vcc, v33, v11, vcc
	global_store_short v[10:11], v23, off
	s_or_b64 exec, exec, s[38:39]
	s_and_saveexec_b64 s[38:39], s[6:7]
	s_cbranch_execz .LBB1499_220
.LBB1499_287:
	v_sub_u32_e32 v10, v14, v44
	v_mov_b32_e32 v11, 0
	v_lshlrev_b64 v[10:11], 1, v[10:11]
	v_add_co_u32_e32 v10, vcc, v32, v10
	v_addc_co_u32_e32 v11, vcc, v33, v11, vcc
	global_store_short_d16_hi v[10:11], v23, off
	s_or_b64 exec, exec, s[38:39]
	s_and_saveexec_b64 s[38:39], s[4:5]
	s_cbranch_execnz .LBB1499_221
	s_branch .LBB1499_222
.LBB1499_288:
	v_sub_u32_e32 v6, v90, v44
	v_lshlrev_b32_e32 v6, 1, v6
	ds_write_b16 v6, v1
	s_or_b64 exec, exec, s[38:39]
	s_and_saveexec_b64 s[30:31], s[28:29]
	s_cbranch_execz .LBB1499_226
.LBB1499_289:
	v_sub_u32_e32 v1, v31, v44
	v_lshlrev_b32_e32 v1, 1, v1
	ds_write_b16 v1, v2
	s_or_b64 exec, exec, s[30:31]
	s_and_saveexec_b64 s[28:29], s[26:27]
	s_cbranch_execz .LBB1499_227
.LBB1499_290:
	v_sub_u32_e32 v1, v30, v44
	v_lshlrev_b32_e32 v1, 1, v1
	ds_write_b16_d16_hi v1, v2
	s_or_b64 exec, exec, s[28:29]
	s_and_saveexec_b64 s[26:27], s[24:25]
	s_cbranch_execz .LBB1499_228
.LBB1499_291:
	v_sub_u32_e32 v1, v29, v44
	v_lshlrev_b32_e32 v1, 1, v1
	ds_write_b16 v1, v3
	s_or_b64 exec, exec, s[26:27]
	s_and_saveexec_b64 s[24:25], s[22:23]
	s_cbranch_execz .LBB1499_229
.LBB1499_292:
	v_sub_u32_e32 v1, v28, v44
	v_lshlrev_b32_e32 v1, 1, v1
	ds_write_b16_d16_hi v1, v3
	s_or_b64 exec, exec, s[24:25]
	s_and_saveexec_b64 s[22:23], s[20:21]
	s_cbranch_execz .LBB1499_230
.LBB1499_293:
	v_sub_u32_e32 v1, v21, v44
	v_lshlrev_b32_e32 v1, 1, v1
	ds_write_b16 v1, v4
	s_or_b64 exec, exec, s[22:23]
	s_and_saveexec_b64 s[20:21], s[18:19]
	s_cbranch_execz .LBB1499_231
.LBB1499_294:
	v_sub_u32_e32 v1, v20, v44
	v_lshlrev_b32_e32 v1, 1, v1
	ds_write_b16_d16_hi v1, v4
	s_or_b64 exec, exec, s[20:21]
	s_and_saveexec_b64 s[18:19], s[16:17]
	s_cbranch_execz .LBB1499_232
.LBB1499_295:
	v_sub_u32_e32 v1, v19, v44
	v_lshlrev_b32_e32 v1, 1, v1
	ds_write_b16 v1, v5
	s_or_b64 exec, exec, s[18:19]
	s_and_saveexec_b64 s[16:17], s[14:15]
	s_cbranch_execz .LBB1499_233
.LBB1499_296:
	v_sub_u32_e32 v1, v18, v44
	v_lshlrev_b32_e32 v1, 1, v1
	ds_write_b16_d16_hi v1, v5
	s_or_b64 exec, exec, s[16:17]
	s_and_saveexec_b64 s[14:15], s[12:13]
	s_cbranch_execz .LBB1499_234
.LBB1499_297:
	v_sub_u32_e32 v1, v17, v44
	v_lshlrev_b32_e32 v1, 1, v1
	ds_write_b16 v1, v22
	s_or_b64 exec, exec, s[14:15]
	s_and_saveexec_b64 s[12:13], s[10:11]
	s_cbranch_execz .LBB1499_235
.LBB1499_298:
	v_sub_u32_e32 v1, v16, v44
	v_lshlrev_b32_e32 v1, 1, v1
	ds_write_b16_d16_hi v1, v22
	s_or_b64 exec, exec, s[12:13]
	s_and_saveexec_b64 s[10:11], s[8:9]
	s_cbranch_execz .LBB1499_236
.LBB1499_299:
	v_sub_u32_e32 v1, v15, v44
	v_lshlrev_b32_e32 v1, 1, v1
	ds_write_b16 v1, v23
	s_or_b64 exec, exec, s[10:11]
	s_and_saveexec_b64 s[8:9], s[6:7]
	s_cbranch_execz .LBB1499_237
.LBB1499_300:
	v_sub_u32_e32 v1, v14, v44
	v_lshlrev_b32_e32 v1, 1, v1
	ds_write_b16_d16_hi v1, v23
	s_or_b64 exec, exec, s[8:9]
	s_and_saveexec_b64 s[6:7], s[4:5]
	s_cbranch_execnz .LBB1499_238
	s_branch .LBB1499_239
.LBB1499_301:
	v_sub_u32_e32 v22, v90, v10
	v_mov_b32_e32 v23, 0
	v_lshlrev_b64 v[22:23], 3, v[22:23]
	v_add_co_u32_e32 v22, vcc, v6, v22
	v_addc_co_u32_e32 v23, vcc, v7, v23, vcc
	global_store_dwordx2 v[22:23], v[70:71], off
	s_or_b64 exec, exec, s[36:37]
	s_and_saveexec_b64 s[36:37], s[26:27]
	s_cbranch_execz .LBB1499_243
.LBB1499_302:
	v_sub_u32_e32 v22, v31, v10
	v_mov_b32_e32 v23, 0
	v_lshlrev_b64 v[22:23], 3, v[22:23]
	v_add_co_u32_e32 v22, vcc, v6, v22
	v_addc_co_u32_e32 v23, vcc, v7, v23, vcc
	global_store_dwordx2 v[22:23], v[46:47], off
	s_or_b64 exec, exec, s[36:37]
	s_and_saveexec_b64 s[36:37], s[24:25]
	s_cbranch_execz .LBB1499_244
.LBB1499_303:
	v_sub_u32_e32 v22, v30, v10
	v_mov_b32_e32 v23, 0
	v_lshlrev_b64 v[22:23], 3, v[22:23]
	v_add_co_u32_e32 v22, vcc, v6, v22
	v_addc_co_u32_e32 v23, vcc, v7, v23, vcc
	global_store_dwordx2 v[22:23], v[48:49], off
	s_or_b64 exec, exec, s[36:37]
	s_and_saveexec_b64 s[36:37], s[22:23]
	s_cbranch_execz .LBB1499_245
.LBB1499_304:
	v_sub_u32_e32 v22, v29, v10
	v_mov_b32_e32 v23, 0
	v_lshlrev_b64 v[22:23], 3, v[22:23]
	v_add_co_u32_e32 v22, vcc, v6, v22
	v_addc_co_u32_e32 v23, vcc, v7, v23, vcc
	global_store_dwordx2 v[22:23], v[50:51], off
	s_or_b64 exec, exec, s[36:37]
	s_and_saveexec_b64 s[36:37], s[20:21]
	s_cbranch_execz .LBB1499_246
.LBB1499_305:
	v_sub_u32_e32 v22, v28, v10
	v_mov_b32_e32 v23, 0
	v_lshlrev_b64 v[22:23], 3, v[22:23]
	v_add_co_u32_e32 v22, vcc, v6, v22
	v_addc_co_u32_e32 v23, vcc, v7, v23, vcc
	global_store_dwordx2 v[22:23], v[52:53], off
	s_or_b64 exec, exec, s[36:37]
	s_and_saveexec_b64 s[36:37], s[18:19]
	s_cbranch_execz .LBB1499_247
.LBB1499_306:
	v_sub_u32_e32 v22, v21, v10
	v_mov_b32_e32 v23, 0
	v_lshlrev_b64 v[22:23], 3, v[22:23]
	v_add_co_u32_e32 v22, vcc, v6, v22
	v_addc_co_u32_e32 v23, vcc, v7, v23, vcc
	global_store_dwordx2 v[22:23], v[54:55], off
	s_or_b64 exec, exec, s[36:37]
	s_and_saveexec_b64 s[36:37], s[16:17]
	s_cbranch_execz .LBB1499_248
.LBB1499_307:
	v_sub_u32_e32 v22, v20, v10
	v_mov_b32_e32 v23, 0
	v_lshlrev_b64 v[22:23], 3, v[22:23]
	v_add_co_u32_e32 v22, vcc, v6, v22
	v_addc_co_u32_e32 v23, vcc, v7, v23, vcc
	global_store_dwordx2 v[22:23], v[56:57], off
	s_or_b64 exec, exec, s[36:37]
	s_and_saveexec_b64 s[36:37], s[14:15]
	s_cbranch_execz .LBB1499_249
.LBB1499_308:
	v_sub_u32_e32 v22, v19, v10
	v_mov_b32_e32 v23, 0
	v_lshlrev_b64 v[22:23], 3, v[22:23]
	v_add_co_u32_e32 v22, vcc, v6, v22
	v_addc_co_u32_e32 v23, vcc, v7, v23, vcc
	global_store_dwordx2 v[22:23], v[58:59], off
	s_or_b64 exec, exec, s[36:37]
	s_and_saveexec_b64 s[36:37], s[12:13]
	s_cbranch_execz .LBB1499_250
.LBB1499_309:
	v_sub_u32_e32 v22, v18, v10
	v_mov_b32_e32 v23, 0
	v_lshlrev_b64 v[22:23], 3, v[22:23]
	v_add_co_u32_e32 v22, vcc, v6, v22
	v_addc_co_u32_e32 v23, vcc, v7, v23, vcc
	global_store_dwordx2 v[22:23], v[60:61], off
	s_or_b64 exec, exec, s[36:37]
	s_and_saveexec_b64 s[36:37], s[10:11]
	s_cbranch_execz .LBB1499_251
.LBB1499_310:
	v_sub_u32_e32 v22, v17, v10
	v_mov_b32_e32 v23, 0
	v_lshlrev_b64 v[22:23], 3, v[22:23]
	v_add_co_u32_e32 v22, vcc, v6, v22
	v_addc_co_u32_e32 v23, vcc, v7, v23, vcc
	global_store_dwordx2 v[22:23], v[62:63], off
	s_or_b64 exec, exec, s[36:37]
	s_and_saveexec_b64 s[36:37], s[8:9]
	s_cbranch_execz .LBB1499_252
.LBB1499_311:
	v_sub_u32_e32 v22, v16, v10
	v_mov_b32_e32 v23, 0
	v_lshlrev_b64 v[22:23], 3, v[22:23]
	v_add_co_u32_e32 v22, vcc, v6, v22
	v_addc_co_u32_e32 v23, vcc, v7, v23, vcc
	global_store_dwordx2 v[22:23], v[64:65], off
	s_or_b64 exec, exec, s[36:37]
	s_and_saveexec_b64 s[36:37], s[6:7]
	s_cbranch_execz .LBB1499_253
.LBB1499_312:
	v_sub_u32_e32 v22, v15, v10
	v_mov_b32_e32 v23, 0
	v_lshlrev_b64 v[22:23], 3, v[22:23]
	v_add_co_u32_e32 v22, vcc, v6, v22
	v_addc_co_u32_e32 v23, vcc, v7, v23, vcc
	global_store_dwordx2 v[22:23], v[66:67], off
	s_or_b64 exec, exec, s[36:37]
	s_and_saveexec_b64 s[36:37], s[4:5]
	s_cbranch_execz .LBB1499_254
.LBB1499_313:
	v_sub_u32_e32 v22, v14, v10
	v_mov_b32_e32 v23, 0
	v_lshlrev_b64 v[22:23], 3, v[22:23]
	v_add_co_u32_e32 v22, vcc, v6, v22
	v_addc_co_u32_e32 v23, vcc, v7, v23, vcc
	global_store_dwordx2 v[22:23], v[68:69], off
	s_or_b64 exec, exec, s[36:37]
	s_and_saveexec_b64 s[36:37], s[2:3]
	s_cbranch_execnz .LBB1499_255
	s_branch .LBB1499_256
.LBB1499_314:
	v_sub_u32_e32 v11, v90, v10
	v_lshlrev_b32_e32 v11, 3, v11
	ds_write_b64 v11, v[70:71]
	s_or_b64 exec, exec, s[36:37]
	s_and_saveexec_b64 s[28:29], s[26:27]
	s_cbranch_execz .LBB1499_260
.LBB1499_315:
	v_sub_u32_e32 v11, v31, v10
	v_lshlrev_b32_e32 v11, 3, v11
	ds_write_b64 v11, v[46:47]
	s_or_b64 exec, exec, s[28:29]
	s_and_saveexec_b64 s[26:27], s[24:25]
	s_cbranch_execz .LBB1499_261
.LBB1499_316:
	v_sub_u32_e32 v11, v30, v10
	v_lshlrev_b32_e32 v11, 3, v11
	ds_write_b64 v11, v[48:49]
	s_or_b64 exec, exec, s[26:27]
	s_and_saveexec_b64 s[24:25], s[22:23]
	s_cbranch_execz .LBB1499_262
.LBB1499_317:
	v_sub_u32_e32 v11, v29, v10
	v_lshlrev_b32_e32 v11, 3, v11
	ds_write_b64 v11, v[50:51]
	s_or_b64 exec, exec, s[24:25]
	s_and_saveexec_b64 s[22:23], s[20:21]
	s_cbranch_execz .LBB1499_263
.LBB1499_318:
	v_sub_u32_e32 v11, v28, v10
	v_lshlrev_b32_e32 v11, 3, v11
	ds_write_b64 v11, v[52:53]
	s_or_b64 exec, exec, s[22:23]
	s_and_saveexec_b64 s[20:21], s[18:19]
	s_cbranch_execz .LBB1499_264
.LBB1499_319:
	v_sub_u32_e32 v11, v21, v10
	v_lshlrev_b32_e32 v11, 3, v11
	ds_write_b64 v11, v[54:55]
	s_or_b64 exec, exec, s[20:21]
	s_and_saveexec_b64 s[18:19], s[16:17]
	s_cbranch_execz .LBB1499_265
.LBB1499_320:
	v_sub_u32_e32 v11, v20, v10
	v_lshlrev_b32_e32 v11, 3, v11
	ds_write_b64 v11, v[56:57]
	s_or_b64 exec, exec, s[18:19]
	s_and_saveexec_b64 s[16:17], s[14:15]
	s_cbranch_execz .LBB1499_266
.LBB1499_321:
	v_sub_u32_e32 v11, v19, v10
	v_lshlrev_b32_e32 v11, 3, v11
	ds_write_b64 v11, v[58:59]
	s_or_b64 exec, exec, s[16:17]
	s_and_saveexec_b64 s[14:15], s[12:13]
	s_cbranch_execz .LBB1499_267
.LBB1499_322:
	v_sub_u32_e32 v11, v18, v10
	v_lshlrev_b32_e32 v11, 3, v11
	ds_write_b64 v11, v[60:61]
	s_or_b64 exec, exec, s[14:15]
	s_and_saveexec_b64 s[12:13], s[10:11]
	s_cbranch_execz .LBB1499_268
.LBB1499_323:
	v_sub_u32_e32 v11, v17, v10
	v_lshlrev_b32_e32 v11, 3, v11
	ds_write_b64 v11, v[62:63]
	s_or_b64 exec, exec, s[12:13]
	s_and_saveexec_b64 s[10:11], s[8:9]
	s_cbranch_execz .LBB1499_269
.LBB1499_324:
	v_sub_u32_e32 v11, v16, v10
	v_lshlrev_b32_e32 v11, 3, v11
	ds_write_b64 v11, v[64:65]
	s_or_b64 exec, exec, s[10:11]
	s_and_saveexec_b64 s[8:9], s[6:7]
	s_cbranch_execz .LBB1499_270
.LBB1499_325:
	v_sub_u32_e32 v11, v15, v10
	v_lshlrev_b32_e32 v11, 3, v11
	ds_write_b64 v11, v[66:67]
	s_or_b64 exec, exec, s[8:9]
	s_and_saveexec_b64 s[6:7], s[4:5]
	s_cbranch_execz .LBB1499_271
.LBB1499_326:
	v_sub_u32_e32 v11, v14, v10
	v_lshlrev_b32_e32 v11, 3, v11
	ds_write_b64 v11, v[68:69]
	s_or_b64 exec, exec, s[6:7]
	s_and_saveexec_b64 s[4:5], s[2:3]
	s_cbranch_execnz .LBB1499_272
	s_branch .LBB1499_273
	.section	.rodata,"a",@progbits
	.p2align	6, 0x0
	.amdhsa_kernel _ZN7rocprim17ROCPRIM_400000_NS6detail17trampoline_kernelINS0_14default_configENS1_29reduce_by_key_config_selectorIslN6thrust23THRUST_200600_302600_NS4plusIlEEEEZZNS1_33reduce_by_key_impl_wrapped_configILNS1_25lookback_scan_determinismE0ES3_S9_PsNS6_17constant_iteratorIiNS6_11use_defaultESE_EENS6_10device_ptrIsEENSG_IlEEPmS8_NS6_8equal_toIsEEEE10hipError_tPvRmT2_T3_mT4_T5_T6_T7_T8_P12ihipStream_tbENKUlT_T0_E_clISt17integral_constantIbLb0EES12_IbLb1EEEEDaSY_SZ_EUlSY_E_NS1_11comp_targetILNS1_3genE4ELNS1_11target_archE910ELNS1_3gpuE8ELNS1_3repE0EEENS1_30default_config_static_selectorELNS0_4arch9wavefront6targetE1EEEvT1_
		.amdhsa_group_segment_fixed_size 30720
		.amdhsa_private_segment_fixed_size 0
		.amdhsa_kernarg_size 144
		.amdhsa_user_sgpr_count 6
		.amdhsa_user_sgpr_private_segment_buffer 1
		.amdhsa_user_sgpr_dispatch_ptr 0
		.amdhsa_user_sgpr_queue_ptr 0
		.amdhsa_user_sgpr_kernarg_segment_ptr 1
		.amdhsa_user_sgpr_dispatch_id 0
		.amdhsa_user_sgpr_flat_scratch_init 0
		.amdhsa_user_sgpr_kernarg_preload_length 0
		.amdhsa_user_sgpr_kernarg_preload_offset 0
		.amdhsa_user_sgpr_private_segment_size 0
		.amdhsa_uses_dynamic_stack 0
		.amdhsa_system_sgpr_private_segment_wavefront_offset 0
		.amdhsa_system_sgpr_workgroup_id_x 1
		.amdhsa_system_sgpr_workgroup_id_y 0
		.amdhsa_system_sgpr_workgroup_id_z 0
		.amdhsa_system_sgpr_workgroup_info 0
		.amdhsa_system_vgpr_workitem_id 0
		.amdhsa_next_free_vgpr 127
		.amdhsa_next_free_sgpr 63
		.amdhsa_accum_offset 128
		.amdhsa_reserve_vcc 1
		.amdhsa_reserve_flat_scratch 0
		.amdhsa_float_round_mode_32 0
		.amdhsa_float_round_mode_16_64 0
		.amdhsa_float_denorm_mode_32 3
		.amdhsa_float_denorm_mode_16_64 3
		.amdhsa_dx10_clamp 1
		.amdhsa_ieee_mode 1
		.amdhsa_fp16_overflow 0
		.amdhsa_tg_split 0
		.amdhsa_exception_fp_ieee_invalid_op 0
		.amdhsa_exception_fp_denorm_src 0
		.amdhsa_exception_fp_ieee_div_zero 0
		.amdhsa_exception_fp_ieee_overflow 0
		.amdhsa_exception_fp_ieee_underflow 0
		.amdhsa_exception_fp_ieee_inexact 0
		.amdhsa_exception_int_div_zero 0
	.end_amdhsa_kernel
	.section	.text._ZN7rocprim17ROCPRIM_400000_NS6detail17trampoline_kernelINS0_14default_configENS1_29reduce_by_key_config_selectorIslN6thrust23THRUST_200600_302600_NS4plusIlEEEEZZNS1_33reduce_by_key_impl_wrapped_configILNS1_25lookback_scan_determinismE0ES3_S9_PsNS6_17constant_iteratorIiNS6_11use_defaultESE_EENS6_10device_ptrIsEENSG_IlEEPmS8_NS6_8equal_toIsEEEE10hipError_tPvRmT2_T3_mT4_T5_T6_T7_T8_P12ihipStream_tbENKUlT_T0_E_clISt17integral_constantIbLb0EES12_IbLb1EEEEDaSY_SZ_EUlSY_E_NS1_11comp_targetILNS1_3genE4ELNS1_11target_archE910ELNS1_3gpuE8ELNS1_3repE0EEENS1_30default_config_static_selectorELNS0_4arch9wavefront6targetE1EEEvT1_,"axG",@progbits,_ZN7rocprim17ROCPRIM_400000_NS6detail17trampoline_kernelINS0_14default_configENS1_29reduce_by_key_config_selectorIslN6thrust23THRUST_200600_302600_NS4plusIlEEEEZZNS1_33reduce_by_key_impl_wrapped_configILNS1_25lookback_scan_determinismE0ES3_S9_PsNS6_17constant_iteratorIiNS6_11use_defaultESE_EENS6_10device_ptrIsEENSG_IlEEPmS8_NS6_8equal_toIsEEEE10hipError_tPvRmT2_T3_mT4_T5_T6_T7_T8_P12ihipStream_tbENKUlT_T0_E_clISt17integral_constantIbLb0EES12_IbLb1EEEEDaSY_SZ_EUlSY_E_NS1_11comp_targetILNS1_3genE4ELNS1_11target_archE910ELNS1_3gpuE8ELNS1_3repE0EEENS1_30default_config_static_selectorELNS0_4arch9wavefront6targetE1EEEvT1_,comdat
.Lfunc_end1499:
	.size	_ZN7rocprim17ROCPRIM_400000_NS6detail17trampoline_kernelINS0_14default_configENS1_29reduce_by_key_config_selectorIslN6thrust23THRUST_200600_302600_NS4plusIlEEEEZZNS1_33reduce_by_key_impl_wrapped_configILNS1_25lookback_scan_determinismE0ES3_S9_PsNS6_17constant_iteratorIiNS6_11use_defaultESE_EENS6_10device_ptrIsEENSG_IlEEPmS8_NS6_8equal_toIsEEEE10hipError_tPvRmT2_T3_mT4_T5_T6_T7_T8_P12ihipStream_tbENKUlT_T0_E_clISt17integral_constantIbLb0EES12_IbLb1EEEEDaSY_SZ_EUlSY_E_NS1_11comp_targetILNS1_3genE4ELNS1_11target_archE910ELNS1_3gpuE8ELNS1_3repE0EEENS1_30default_config_static_selectorELNS0_4arch9wavefront6targetE1EEEvT1_, .Lfunc_end1499-_ZN7rocprim17ROCPRIM_400000_NS6detail17trampoline_kernelINS0_14default_configENS1_29reduce_by_key_config_selectorIslN6thrust23THRUST_200600_302600_NS4plusIlEEEEZZNS1_33reduce_by_key_impl_wrapped_configILNS1_25lookback_scan_determinismE0ES3_S9_PsNS6_17constant_iteratorIiNS6_11use_defaultESE_EENS6_10device_ptrIsEENSG_IlEEPmS8_NS6_8equal_toIsEEEE10hipError_tPvRmT2_T3_mT4_T5_T6_T7_T8_P12ihipStream_tbENKUlT_T0_E_clISt17integral_constantIbLb0EES12_IbLb1EEEEDaSY_SZ_EUlSY_E_NS1_11comp_targetILNS1_3genE4ELNS1_11target_archE910ELNS1_3gpuE8ELNS1_3repE0EEENS1_30default_config_static_selectorELNS0_4arch9wavefront6targetE1EEEvT1_
                                        ; -- End function
	.section	.AMDGPU.csdata,"",@progbits
; Kernel info:
; codeLenInByte = 17364
; NumSgprs: 67
; NumVgprs: 127
; NumAgprs: 0
; TotalNumVgprs: 127
; ScratchSize: 0
; MemoryBound: 0
; FloatMode: 240
; IeeeMode: 1
; LDSByteSize: 30720 bytes/workgroup (compile time only)
; SGPRBlocks: 8
; VGPRBlocks: 15
; NumSGPRsForWavesPerEU: 67
; NumVGPRsForWavesPerEU: 127
; AccumOffset: 128
; Occupancy: 2
; WaveLimiterHint : 1
; COMPUTE_PGM_RSRC2:SCRATCH_EN: 0
; COMPUTE_PGM_RSRC2:USER_SGPR: 6
; COMPUTE_PGM_RSRC2:TRAP_HANDLER: 0
; COMPUTE_PGM_RSRC2:TGID_X_EN: 1
; COMPUTE_PGM_RSRC2:TGID_Y_EN: 0
; COMPUTE_PGM_RSRC2:TGID_Z_EN: 0
; COMPUTE_PGM_RSRC2:TIDIG_COMP_CNT: 0
; COMPUTE_PGM_RSRC3_GFX90A:ACCUM_OFFSET: 31
; COMPUTE_PGM_RSRC3_GFX90A:TG_SPLIT: 0
	.section	.text._ZN7rocprim17ROCPRIM_400000_NS6detail17trampoline_kernelINS0_14default_configENS1_29reduce_by_key_config_selectorIslN6thrust23THRUST_200600_302600_NS4plusIlEEEEZZNS1_33reduce_by_key_impl_wrapped_configILNS1_25lookback_scan_determinismE0ES3_S9_PsNS6_17constant_iteratorIiNS6_11use_defaultESE_EENS6_10device_ptrIsEENSG_IlEEPmS8_NS6_8equal_toIsEEEE10hipError_tPvRmT2_T3_mT4_T5_T6_T7_T8_P12ihipStream_tbENKUlT_T0_E_clISt17integral_constantIbLb0EES12_IbLb1EEEEDaSY_SZ_EUlSY_E_NS1_11comp_targetILNS1_3genE3ELNS1_11target_archE908ELNS1_3gpuE7ELNS1_3repE0EEENS1_30default_config_static_selectorELNS0_4arch9wavefront6targetE1EEEvT1_,"axG",@progbits,_ZN7rocprim17ROCPRIM_400000_NS6detail17trampoline_kernelINS0_14default_configENS1_29reduce_by_key_config_selectorIslN6thrust23THRUST_200600_302600_NS4plusIlEEEEZZNS1_33reduce_by_key_impl_wrapped_configILNS1_25lookback_scan_determinismE0ES3_S9_PsNS6_17constant_iteratorIiNS6_11use_defaultESE_EENS6_10device_ptrIsEENSG_IlEEPmS8_NS6_8equal_toIsEEEE10hipError_tPvRmT2_T3_mT4_T5_T6_T7_T8_P12ihipStream_tbENKUlT_T0_E_clISt17integral_constantIbLb0EES12_IbLb1EEEEDaSY_SZ_EUlSY_E_NS1_11comp_targetILNS1_3genE3ELNS1_11target_archE908ELNS1_3gpuE7ELNS1_3repE0EEENS1_30default_config_static_selectorELNS0_4arch9wavefront6targetE1EEEvT1_,comdat
	.protected	_ZN7rocprim17ROCPRIM_400000_NS6detail17trampoline_kernelINS0_14default_configENS1_29reduce_by_key_config_selectorIslN6thrust23THRUST_200600_302600_NS4plusIlEEEEZZNS1_33reduce_by_key_impl_wrapped_configILNS1_25lookback_scan_determinismE0ES3_S9_PsNS6_17constant_iteratorIiNS6_11use_defaultESE_EENS6_10device_ptrIsEENSG_IlEEPmS8_NS6_8equal_toIsEEEE10hipError_tPvRmT2_T3_mT4_T5_T6_T7_T8_P12ihipStream_tbENKUlT_T0_E_clISt17integral_constantIbLb0EES12_IbLb1EEEEDaSY_SZ_EUlSY_E_NS1_11comp_targetILNS1_3genE3ELNS1_11target_archE908ELNS1_3gpuE7ELNS1_3repE0EEENS1_30default_config_static_selectorELNS0_4arch9wavefront6targetE1EEEvT1_ ; -- Begin function _ZN7rocprim17ROCPRIM_400000_NS6detail17trampoline_kernelINS0_14default_configENS1_29reduce_by_key_config_selectorIslN6thrust23THRUST_200600_302600_NS4plusIlEEEEZZNS1_33reduce_by_key_impl_wrapped_configILNS1_25lookback_scan_determinismE0ES3_S9_PsNS6_17constant_iteratorIiNS6_11use_defaultESE_EENS6_10device_ptrIsEENSG_IlEEPmS8_NS6_8equal_toIsEEEE10hipError_tPvRmT2_T3_mT4_T5_T6_T7_T8_P12ihipStream_tbENKUlT_T0_E_clISt17integral_constantIbLb0EES12_IbLb1EEEEDaSY_SZ_EUlSY_E_NS1_11comp_targetILNS1_3genE3ELNS1_11target_archE908ELNS1_3gpuE7ELNS1_3repE0EEENS1_30default_config_static_selectorELNS0_4arch9wavefront6targetE1EEEvT1_
	.globl	_ZN7rocprim17ROCPRIM_400000_NS6detail17trampoline_kernelINS0_14default_configENS1_29reduce_by_key_config_selectorIslN6thrust23THRUST_200600_302600_NS4plusIlEEEEZZNS1_33reduce_by_key_impl_wrapped_configILNS1_25lookback_scan_determinismE0ES3_S9_PsNS6_17constant_iteratorIiNS6_11use_defaultESE_EENS6_10device_ptrIsEENSG_IlEEPmS8_NS6_8equal_toIsEEEE10hipError_tPvRmT2_T3_mT4_T5_T6_T7_T8_P12ihipStream_tbENKUlT_T0_E_clISt17integral_constantIbLb0EES12_IbLb1EEEEDaSY_SZ_EUlSY_E_NS1_11comp_targetILNS1_3genE3ELNS1_11target_archE908ELNS1_3gpuE7ELNS1_3repE0EEENS1_30default_config_static_selectorELNS0_4arch9wavefront6targetE1EEEvT1_
	.p2align	8
	.type	_ZN7rocprim17ROCPRIM_400000_NS6detail17trampoline_kernelINS0_14default_configENS1_29reduce_by_key_config_selectorIslN6thrust23THRUST_200600_302600_NS4plusIlEEEEZZNS1_33reduce_by_key_impl_wrapped_configILNS1_25lookback_scan_determinismE0ES3_S9_PsNS6_17constant_iteratorIiNS6_11use_defaultESE_EENS6_10device_ptrIsEENSG_IlEEPmS8_NS6_8equal_toIsEEEE10hipError_tPvRmT2_T3_mT4_T5_T6_T7_T8_P12ihipStream_tbENKUlT_T0_E_clISt17integral_constantIbLb0EES12_IbLb1EEEEDaSY_SZ_EUlSY_E_NS1_11comp_targetILNS1_3genE3ELNS1_11target_archE908ELNS1_3gpuE7ELNS1_3repE0EEENS1_30default_config_static_selectorELNS0_4arch9wavefront6targetE1EEEvT1_,@function
_ZN7rocprim17ROCPRIM_400000_NS6detail17trampoline_kernelINS0_14default_configENS1_29reduce_by_key_config_selectorIslN6thrust23THRUST_200600_302600_NS4plusIlEEEEZZNS1_33reduce_by_key_impl_wrapped_configILNS1_25lookback_scan_determinismE0ES3_S9_PsNS6_17constant_iteratorIiNS6_11use_defaultESE_EENS6_10device_ptrIsEENSG_IlEEPmS8_NS6_8equal_toIsEEEE10hipError_tPvRmT2_T3_mT4_T5_T6_T7_T8_P12ihipStream_tbENKUlT_T0_E_clISt17integral_constantIbLb0EES12_IbLb1EEEEDaSY_SZ_EUlSY_E_NS1_11comp_targetILNS1_3genE3ELNS1_11target_archE908ELNS1_3gpuE7ELNS1_3repE0EEENS1_30default_config_static_selectorELNS0_4arch9wavefront6targetE1EEEvT1_: ; @_ZN7rocprim17ROCPRIM_400000_NS6detail17trampoline_kernelINS0_14default_configENS1_29reduce_by_key_config_selectorIslN6thrust23THRUST_200600_302600_NS4plusIlEEEEZZNS1_33reduce_by_key_impl_wrapped_configILNS1_25lookback_scan_determinismE0ES3_S9_PsNS6_17constant_iteratorIiNS6_11use_defaultESE_EENS6_10device_ptrIsEENSG_IlEEPmS8_NS6_8equal_toIsEEEE10hipError_tPvRmT2_T3_mT4_T5_T6_T7_T8_P12ihipStream_tbENKUlT_T0_E_clISt17integral_constantIbLb0EES12_IbLb1EEEEDaSY_SZ_EUlSY_E_NS1_11comp_targetILNS1_3genE3ELNS1_11target_archE908ELNS1_3gpuE7ELNS1_3repE0EEENS1_30default_config_static_selectorELNS0_4arch9wavefront6targetE1EEEvT1_
; %bb.0:
	.section	.rodata,"a",@progbits
	.p2align	6, 0x0
	.amdhsa_kernel _ZN7rocprim17ROCPRIM_400000_NS6detail17trampoline_kernelINS0_14default_configENS1_29reduce_by_key_config_selectorIslN6thrust23THRUST_200600_302600_NS4plusIlEEEEZZNS1_33reduce_by_key_impl_wrapped_configILNS1_25lookback_scan_determinismE0ES3_S9_PsNS6_17constant_iteratorIiNS6_11use_defaultESE_EENS6_10device_ptrIsEENSG_IlEEPmS8_NS6_8equal_toIsEEEE10hipError_tPvRmT2_T3_mT4_T5_T6_T7_T8_P12ihipStream_tbENKUlT_T0_E_clISt17integral_constantIbLb0EES12_IbLb1EEEEDaSY_SZ_EUlSY_E_NS1_11comp_targetILNS1_3genE3ELNS1_11target_archE908ELNS1_3gpuE7ELNS1_3repE0EEENS1_30default_config_static_selectorELNS0_4arch9wavefront6targetE1EEEvT1_
		.amdhsa_group_segment_fixed_size 0
		.amdhsa_private_segment_fixed_size 0
		.amdhsa_kernarg_size 144
		.amdhsa_user_sgpr_count 6
		.amdhsa_user_sgpr_private_segment_buffer 1
		.amdhsa_user_sgpr_dispatch_ptr 0
		.amdhsa_user_sgpr_queue_ptr 0
		.amdhsa_user_sgpr_kernarg_segment_ptr 1
		.amdhsa_user_sgpr_dispatch_id 0
		.amdhsa_user_sgpr_flat_scratch_init 0
		.amdhsa_user_sgpr_kernarg_preload_length 0
		.amdhsa_user_sgpr_kernarg_preload_offset 0
		.amdhsa_user_sgpr_private_segment_size 0
		.amdhsa_uses_dynamic_stack 0
		.amdhsa_system_sgpr_private_segment_wavefront_offset 0
		.amdhsa_system_sgpr_workgroup_id_x 1
		.amdhsa_system_sgpr_workgroup_id_y 0
		.amdhsa_system_sgpr_workgroup_id_z 0
		.amdhsa_system_sgpr_workgroup_info 0
		.amdhsa_system_vgpr_workitem_id 0
		.amdhsa_next_free_vgpr 1
		.amdhsa_next_free_sgpr 0
		.amdhsa_accum_offset 4
		.amdhsa_reserve_vcc 0
		.amdhsa_reserve_flat_scratch 0
		.amdhsa_float_round_mode_32 0
		.amdhsa_float_round_mode_16_64 0
		.amdhsa_float_denorm_mode_32 3
		.amdhsa_float_denorm_mode_16_64 3
		.amdhsa_dx10_clamp 1
		.amdhsa_ieee_mode 1
		.amdhsa_fp16_overflow 0
		.amdhsa_tg_split 0
		.amdhsa_exception_fp_ieee_invalid_op 0
		.amdhsa_exception_fp_denorm_src 0
		.amdhsa_exception_fp_ieee_div_zero 0
		.amdhsa_exception_fp_ieee_overflow 0
		.amdhsa_exception_fp_ieee_underflow 0
		.amdhsa_exception_fp_ieee_inexact 0
		.amdhsa_exception_int_div_zero 0
	.end_amdhsa_kernel
	.section	.text._ZN7rocprim17ROCPRIM_400000_NS6detail17trampoline_kernelINS0_14default_configENS1_29reduce_by_key_config_selectorIslN6thrust23THRUST_200600_302600_NS4plusIlEEEEZZNS1_33reduce_by_key_impl_wrapped_configILNS1_25lookback_scan_determinismE0ES3_S9_PsNS6_17constant_iteratorIiNS6_11use_defaultESE_EENS6_10device_ptrIsEENSG_IlEEPmS8_NS6_8equal_toIsEEEE10hipError_tPvRmT2_T3_mT4_T5_T6_T7_T8_P12ihipStream_tbENKUlT_T0_E_clISt17integral_constantIbLb0EES12_IbLb1EEEEDaSY_SZ_EUlSY_E_NS1_11comp_targetILNS1_3genE3ELNS1_11target_archE908ELNS1_3gpuE7ELNS1_3repE0EEENS1_30default_config_static_selectorELNS0_4arch9wavefront6targetE1EEEvT1_,"axG",@progbits,_ZN7rocprim17ROCPRIM_400000_NS6detail17trampoline_kernelINS0_14default_configENS1_29reduce_by_key_config_selectorIslN6thrust23THRUST_200600_302600_NS4plusIlEEEEZZNS1_33reduce_by_key_impl_wrapped_configILNS1_25lookback_scan_determinismE0ES3_S9_PsNS6_17constant_iteratorIiNS6_11use_defaultESE_EENS6_10device_ptrIsEENSG_IlEEPmS8_NS6_8equal_toIsEEEE10hipError_tPvRmT2_T3_mT4_T5_T6_T7_T8_P12ihipStream_tbENKUlT_T0_E_clISt17integral_constantIbLb0EES12_IbLb1EEEEDaSY_SZ_EUlSY_E_NS1_11comp_targetILNS1_3genE3ELNS1_11target_archE908ELNS1_3gpuE7ELNS1_3repE0EEENS1_30default_config_static_selectorELNS0_4arch9wavefront6targetE1EEEvT1_,comdat
.Lfunc_end1500:
	.size	_ZN7rocprim17ROCPRIM_400000_NS6detail17trampoline_kernelINS0_14default_configENS1_29reduce_by_key_config_selectorIslN6thrust23THRUST_200600_302600_NS4plusIlEEEEZZNS1_33reduce_by_key_impl_wrapped_configILNS1_25lookback_scan_determinismE0ES3_S9_PsNS6_17constant_iteratorIiNS6_11use_defaultESE_EENS6_10device_ptrIsEENSG_IlEEPmS8_NS6_8equal_toIsEEEE10hipError_tPvRmT2_T3_mT4_T5_T6_T7_T8_P12ihipStream_tbENKUlT_T0_E_clISt17integral_constantIbLb0EES12_IbLb1EEEEDaSY_SZ_EUlSY_E_NS1_11comp_targetILNS1_3genE3ELNS1_11target_archE908ELNS1_3gpuE7ELNS1_3repE0EEENS1_30default_config_static_selectorELNS0_4arch9wavefront6targetE1EEEvT1_, .Lfunc_end1500-_ZN7rocprim17ROCPRIM_400000_NS6detail17trampoline_kernelINS0_14default_configENS1_29reduce_by_key_config_selectorIslN6thrust23THRUST_200600_302600_NS4plusIlEEEEZZNS1_33reduce_by_key_impl_wrapped_configILNS1_25lookback_scan_determinismE0ES3_S9_PsNS6_17constant_iteratorIiNS6_11use_defaultESE_EENS6_10device_ptrIsEENSG_IlEEPmS8_NS6_8equal_toIsEEEE10hipError_tPvRmT2_T3_mT4_T5_T6_T7_T8_P12ihipStream_tbENKUlT_T0_E_clISt17integral_constantIbLb0EES12_IbLb1EEEEDaSY_SZ_EUlSY_E_NS1_11comp_targetILNS1_3genE3ELNS1_11target_archE908ELNS1_3gpuE7ELNS1_3repE0EEENS1_30default_config_static_selectorELNS0_4arch9wavefront6targetE1EEEvT1_
                                        ; -- End function
	.section	.AMDGPU.csdata,"",@progbits
; Kernel info:
; codeLenInByte = 0
; NumSgprs: 4
; NumVgprs: 0
; NumAgprs: 0
; TotalNumVgprs: 0
; ScratchSize: 0
; MemoryBound: 0
; FloatMode: 240
; IeeeMode: 1
; LDSByteSize: 0 bytes/workgroup (compile time only)
; SGPRBlocks: 0
; VGPRBlocks: 0
; NumSGPRsForWavesPerEU: 4
; NumVGPRsForWavesPerEU: 1
; AccumOffset: 4
; Occupancy: 8
; WaveLimiterHint : 0
; COMPUTE_PGM_RSRC2:SCRATCH_EN: 0
; COMPUTE_PGM_RSRC2:USER_SGPR: 6
; COMPUTE_PGM_RSRC2:TRAP_HANDLER: 0
; COMPUTE_PGM_RSRC2:TGID_X_EN: 1
; COMPUTE_PGM_RSRC2:TGID_Y_EN: 0
; COMPUTE_PGM_RSRC2:TGID_Z_EN: 0
; COMPUTE_PGM_RSRC2:TIDIG_COMP_CNT: 0
; COMPUTE_PGM_RSRC3_GFX90A:ACCUM_OFFSET: 0
; COMPUTE_PGM_RSRC3_GFX90A:TG_SPLIT: 0
	.section	.text._ZN7rocprim17ROCPRIM_400000_NS6detail17trampoline_kernelINS0_14default_configENS1_29reduce_by_key_config_selectorIslN6thrust23THRUST_200600_302600_NS4plusIlEEEEZZNS1_33reduce_by_key_impl_wrapped_configILNS1_25lookback_scan_determinismE0ES3_S9_PsNS6_17constant_iteratorIiNS6_11use_defaultESE_EENS6_10device_ptrIsEENSG_IlEEPmS8_NS6_8equal_toIsEEEE10hipError_tPvRmT2_T3_mT4_T5_T6_T7_T8_P12ihipStream_tbENKUlT_T0_E_clISt17integral_constantIbLb0EES12_IbLb1EEEEDaSY_SZ_EUlSY_E_NS1_11comp_targetILNS1_3genE2ELNS1_11target_archE906ELNS1_3gpuE6ELNS1_3repE0EEENS1_30default_config_static_selectorELNS0_4arch9wavefront6targetE1EEEvT1_,"axG",@progbits,_ZN7rocprim17ROCPRIM_400000_NS6detail17trampoline_kernelINS0_14default_configENS1_29reduce_by_key_config_selectorIslN6thrust23THRUST_200600_302600_NS4plusIlEEEEZZNS1_33reduce_by_key_impl_wrapped_configILNS1_25lookback_scan_determinismE0ES3_S9_PsNS6_17constant_iteratorIiNS6_11use_defaultESE_EENS6_10device_ptrIsEENSG_IlEEPmS8_NS6_8equal_toIsEEEE10hipError_tPvRmT2_T3_mT4_T5_T6_T7_T8_P12ihipStream_tbENKUlT_T0_E_clISt17integral_constantIbLb0EES12_IbLb1EEEEDaSY_SZ_EUlSY_E_NS1_11comp_targetILNS1_3genE2ELNS1_11target_archE906ELNS1_3gpuE6ELNS1_3repE0EEENS1_30default_config_static_selectorELNS0_4arch9wavefront6targetE1EEEvT1_,comdat
	.protected	_ZN7rocprim17ROCPRIM_400000_NS6detail17trampoline_kernelINS0_14default_configENS1_29reduce_by_key_config_selectorIslN6thrust23THRUST_200600_302600_NS4plusIlEEEEZZNS1_33reduce_by_key_impl_wrapped_configILNS1_25lookback_scan_determinismE0ES3_S9_PsNS6_17constant_iteratorIiNS6_11use_defaultESE_EENS6_10device_ptrIsEENSG_IlEEPmS8_NS6_8equal_toIsEEEE10hipError_tPvRmT2_T3_mT4_T5_T6_T7_T8_P12ihipStream_tbENKUlT_T0_E_clISt17integral_constantIbLb0EES12_IbLb1EEEEDaSY_SZ_EUlSY_E_NS1_11comp_targetILNS1_3genE2ELNS1_11target_archE906ELNS1_3gpuE6ELNS1_3repE0EEENS1_30default_config_static_selectorELNS0_4arch9wavefront6targetE1EEEvT1_ ; -- Begin function _ZN7rocprim17ROCPRIM_400000_NS6detail17trampoline_kernelINS0_14default_configENS1_29reduce_by_key_config_selectorIslN6thrust23THRUST_200600_302600_NS4plusIlEEEEZZNS1_33reduce_by_key_impl_wrapped_configILNS1_25lookback_scan_determinismE0ES3_S9_PsNS6_17constant_iteratorIiNS6_11use_defaultESE_EENS6_10device_ptrIsEENSG_IlEEPmS8_NS6_8equal_toIsEEEE10hipError_tPvRmT2_T3_mT4_T5_T6_T7_T8_P12ihipStream_tbENKUlT_T0_E_clISt17integral_constantIbLb0EES12_IbLb1EEEEDaSY_SZ_EUlSY_E_NS1_11comp_targetILNS1_3genE2ELNS1_11target_archE906ELNS1_3gpuE6ELNS1_3repE0EEENS1_30default_config_static_selectorELNS0_4arch9wavefront6targetE1EEEvT1_
	.globl	_ZN7rocprim17ROCPRIM_400000_NS6detail17trampoline_kernelINS0_14default_configENS1_29reduce_by_key_config_selectorIslN6thrust23THRUST_200600_302600_NS4plusIlEEEEZZNS1_33reduce_by_key_impl_wrapped_configILNS1_25lookback_scan_determinismE0ES3_S9_PsNS6_17constant_iteratorIiNS6_11use_defaultESE_EENS6_10device_ptrIsEENSG_IlEEPmS8_NS6_8equal_toIsEEEE10hipError_tPvRmT2_T3_mT4_T5_T6_T7_T8_P12ihipStream_tbENKUlT_T0_E_clISt17integral_constantIbLb0EES12_IbLb1EEEEDaSY_SZ_EUlSY_E_NS1_11comp_targetILNS1_3genE2ELNS1_11target_archE906ELNS1_3gpuE6ELNS1_3repE0EEENS1_30default_config_static_selectorELNS0_4arch9wavefront6targetE1EEEvT1_
	.p2align	8
	.type	_ZN7rocprim17ROCPRIM_400000_NS6detail17trampoline_kernelINS0_14default_configENS1_29reduce_by_key_config_selectorIslN6thrust23THRUST_200600_302600_NS4plusIlEEEEZZNS1_33reduce_by_key_impl_wrapped_configILNS1_25lookback_scan_determinismE0ES3_S9_PsNS6_17constant_iteratorIiNS6_11use_defaultESE_EENS6_10device_ptrIsEENSG_IlEEPmS8_NS6_8equal_toIsEEEE10hipError_tPvRmT2_T3_mT4_T5_T6_T7_T8_P12ihipStream_tbENKUlT_T0_E_clISt17integral_constantIbLb0EES12_IbLb1EEEEDaSY_SZ_EUlSY_E_NS1_11comp_targetILNS1_3genE2ELNS1_11target_archE906ELNS1_3gpuE6ELNS1_3repE0EEENS1_30default_config_static_selectorELNS0_4arch9wavefront6targetE1EEEvT1_,@function
_ZN7rocprim17ROCPRIM_400000_NS6detail17trampoline_kernelINS0_14default_configENS1_29reduce_by_key_config_selectorIslN6thrust23THRUST_200600_302600_NS4plusIlEEEEZZNS1_33reduce_by_key_impl_wrapped_configILNS1_25lookback_scan_determinismE0ES3_S9_PsNS6_17constant_iteratorIiNS6_11use_defaultESE_EENS6_10device_ptrIsEENSG_IlEEPmS8_NS6_8equal_toIsEEEE10hipError_tPvRmT2_T3_mT4_T5_T6_T7_T8_P12ihipStream_tbENKUlT_T0_E_clISt17integral_constantIbLb0EES12_IbLb1EEEEDaSY_SZ_EUlSY_E_NS1_11comp_targetILNS1_3genE2ELNS1_11target_archE906ELNS1_3gpuE6ELNS1_3repE0EEENS1_30default_config_static_selectorELNS0_4arch9wavefront6targetE1EEEvT1_: ; @_ZN7rocprim17ROCPRIM_400000_NS6detail17trampoline_kernelINS0_14default_configENS1_29reduce_by_key_config_selectorIslN6thrust23THRUST_200600_302600_NS4plusIlEEEEZZNS1_33reduce_by_key_impl_wrapped_configILNS1_25lookback_scan_determinismE0ES3_S9_PsNS6_17constant_iteratorIiNS6_11use_defaultESE_EENS6_10device_ptrIsEENSG_IlEEPmS8_NS6_8equal_toIsEEEE10hipError_tPvRmT2_T3_mT4_T5_T6_T7_T8_P12ihipStream_tbENKUlT_T0_E_clISt17integral_constantIbLb0EES12_IbLb1EEEEDaSY_SZ_EUlSY_E_NS1_11comp_targetILNS1_3genE2ELNS1_11target_archE906ELNS1_3gpuE6ELNS1_3repE0EEENS1_30default_config_static_selectorELNS0_4arch9wavefront6targetE1EEEvT1_
; %bb.0:
	.section	.rodata,"a",@progbits
	.p2align	6, 0x0
	.amdhsa_kernel _ZN7rocprim17ROCPRIM_400000_NS6detail17trampoline_kernelINS0_14default_configENS1_29reduce_by_key_config_selectorIslN6thrust23THRUST_200600_302600_NS4plusIlEEEEZZNS1_33reduce_by_key_impl_wrapped_configILNS1_25lookback_scan_determinismE0ES3_S9_PsNS6_17constant_iteratorIiNS6_11use_defaultESE_EENS6_10device_ptrIsEENSG_IlEEPmS8_NS6_8equal_toIsEEEE10hipError_tPvRmT2_T3_mT4_T5_T6_T7_T8_P12ihipStream_tbENKUlT_T0_E_clISt17integral_constantIbLb0EES12_IbLb1EEEEDaSY_SZ_EUlSY_E_NS1_11comp_targetILNS1_3genE2ELNS1_11target_archE906ELNS1_3gpuE6ELNS1_3repE0EEENS1_30default_config_static_selectorELNS0_4arch9wavefront6targetE1EEEvT1_
		.amdhsa_group_segment_fixed_size 0
		.amdhsa_private_segment_fixed_size 0
		.amdhsa_kernarg_size 144
		.amdhsa_user_sgpr_count 6
		.amdhsa_user_sgpr_private_segment_buffer 1
		.amdhsa_user_sgpr_dispatch_ptr 0
		.amdhsa_user_sgpr_queue_ptr 0
		.amdhsa_user_sgpr_kernarg_segment_ptr 1
		.amdhsa_user_sgpr_dispatch_id 0
		.amdhsa_user_sgpr_flat_scratch_init 0
		.amdhsa_user_sgpr_kernarg_preload_length 0
		.amdhsa_user_sgpr_kernarg_preload_offset 0
		.amdhsa_user_sgpr_private_segment_size 0
		.amdhsa_uses_dynamic_stack 0
		.amdhsa_system_sgpr_private_segment_wavefront_offset 0
		.amdhsa_system_sgpr_workgroup_id_x 1
		.amdhsa_system_sgpr_workgroup_id_y 0
		.amdhsa_system_sgpr_workgroup_id_z 0
		.amdhsa_system_sgpr_workgroup_info 0
		.amdhsa_system_vgpr_workitem_id 0
		.amdhsa_next_free_vgpr 1
		.amdhsa_next_free_sgpr 0
		.amdhsa_accum_offset 4
		.amdhsa_reserve_vcc 0
		.amdhsa_reserve_flat_scratch 0
		.amdhsa_float_round_mode_32 0
		.amdhsa_float_round_mode_16_64 0
		.amdhsa_float_denorm_mode_32 3
		.amdhsa_float_denorm_mode_16_64 3
		.amdhsa_dx10_clamp 1
		.amdhsa_ieee_mode 1
		.amdhsa_fp16_overflow 0
		.amdhsa_tg_split 0
		.amdhsa_exception_fp_ieee_invalid_op 0
		.amdhsa_exception_fp_denorm_src 0
		.amdhsa_exception_fp_ieee_div_zero 0
		.amdhsa_exception_fp_ieee_overflow 0
		.amdhsa_exception_fp_ieee_underflow 0
		.amdhsa_exception_fp_ieee_inexact 0
		.amdhsa_exception_int_div_zero 0
	.end_amdhsa_kernel
	.section	.text._ZN7rocprim17ROCPRIM_400000_NS6detail17trampoline_kernelINS0_14default_configENS1_29reduce_by_key_config_selectorIslN6thrust23THRUST_200600_302600_NS4plusIlEEEEZZNS1_33reduce_by_key_impl_wrapped_configILNS1_25lookback_scan_determinismE0ES3_S9_PsNS6_17constant_iteratorIiNS6_11use_defaultESE_EENS6_10device_ptrIsEENSG_IlEEPmS8_NS6_8equal_toIsEEEE10hipError_tPvRmT2_T3_mT4_T5_T6_T7_T8_P12ihipStream_tbENKUlT_T0_E_clISt17integral_constantIbLb0EES12_IbLb1EEEEDaSY_SZ_EUlSY_E_NS1_11comp_targetILNS1_3genE2ELNS1_11target_archE906ELNS1_3gpuE6ELNS1_3repE0EEENS1_30default_config_static_selectorELNS0_4arch9wavefront6targetE1EEEvT1_,"axG",@progbits,_ZN7rocprim17ROCPRIM_400000_NS6detail17trampoline_kernelINS0_14default_configENS1_29reduce_by_key_config_selectorIslN6thrust23THRUST_200600_302600_NS4plusIlEEEEZZNS1_33reduce_by_key_impl_wrapped_configILNS1_25lookback_scan_determinismE0ES3_S9_PsNS6_17constant_iteratorIiNS6_11use_defaultESE_EENS6_10device_ptrIsEENSG_IlEEPmS8_NS6_8equal_toIsEEEE10hipError_tPvRmT2_T3_mT4_T5_T6_T7_T8_P12ihipStream_tbENKUlT_T0_E_clISt17integral_constantIbLb0EES12_IbLb1EEEEDaSY_SZ_EUlSY_E_NS1_11comp_targetILNS1_3genE2ELNS1_11target_archE906ELNS1_3gpuE6ELNS1_3repE0EEENS1_30default_config_static_selectorELNS0_4arch9wavefront6targetE1EEEvT1_,comdat
.Lfunc_end1501:
	.size	_ZN7rocprim17ROCPRIM_400000_NS6detail17trampoline_kernelINS0_14default_configENS1_29reduce_by_key_config_selectorIslN6thrust23THRUST_200600_302600_NS4plusIlEEEEZZNS1_33reduce_by_key_impl_wrapped_configILNS1_25lookback_scan_determinismE0ES3_S9_PsNS6_17constant_iteratorIiNS6_11use_defaultESE_EENS6_10device_ptrIsEENSG_IlEEPmS8_NS6_8equal_toIsEEEE10hipError_tPvRmT2_T3_mT4_T5_T6_T7_T8_P12ihipStream_tbENKUlT_T0_E_clISt17integral_constantIbLb0EES12_IbLb1EEEEDaSY_SZ_EUlSY_E_NS1_11comp_targetILNS1_3genE2ELNS1_11target_archE906ELNS1_3gpuE6ELNS1_3repE0EEENS1_30default_config_static_selectorELNS0_4arch9wavefront6targetE1EEEvT1_, .Lfunc_end1501-_ZN7rocprim17ROCPRIM_400000_NS6detail17trampoline_kernelINS0_14default_configENS1_29reduce_by_key_config_selectorIslN6thrust23THRUST_200600_302600_NS4plusIlEEEEZZNS1_33reduce_by_key_impl_wrapped_configILNS1_25lookback_scan_determinismE0ES3_S9_PsNS6_17constant_iteratorIiNS6_11use_defaultESE_EENS6_10device_ptrIsEENSG_IlEEPmS8_NS6_8equal_toIsEEEE10hipError_tPvRmT2_T3_mT4_T5_T6_T7_T8_P12ihipStream_tbENKUlT_T0_E_clISt17integral_constantIbLb0EES12_IbLb1EEEEDaSY_SZ_EUlSY_E_NS1_11comp_targetILNS1_3genE2ELNS1_11target_archE906ELNS1_3gpuE6ELNS1_3repE0EEENS1_30default_config_static_selectorELNS0_4arch9wavefront6targetE1EEEvT1_
                                        ; -- End function
	.section	.AMDGPU.csdata,"",@progbits
; Kernel info:
; codeLenInByte = 0
; NumSgprs: 4
; NumVgprs: 0
; NumAgprs: 0
; TotalNumVgprs: 0
; ScratchSize: 0
; MemoryBound: 0
; FloatMode: 240
; IeeeMode: 1
; LDSByteSize: 0 bytes/workgroup (compile time only)
; SGPRBlocks: 0
; VGPRBlocks: 0
; NumSGPRsForWavesPerEU: 4
; NumVGPRsForWavesPerEU: 1
; AccumOffset: 4
; Occupancy: 8
; WaveLimiterHint : 0
; COMPUTE_PGM_RSRC2:SCRATCH_EN: 0
; COMPUTE_PGM_RSRC2:USER_SGPR: 6
; COMPUTE_PGM_RSRC2:TRAP_HANDLER: 0
; COMPUTE_PGM_RSRC2:TGID_X_EN: 1
; COMPUTE_PGM_RSRC2:TGID_Y_EN: 0
; COMPUTE_PGM_RSRC2:TGID_Z_EN: 0
; COMPUTE_PGM_RSRC2:TIDIG_COMP_CNT: 0
; COMPUTE_PGM_RSRC3_GFX90A:ACCUM_OFFSET: 0
; COMPUTE_PGM_RSRC3_GFX90A:TG_SPLIT: 0
	.section	.text._ZN7rocprim17ROCPRIM_400000_NS6detail17trampoline_kernelINS0_14default_configENS1_29reduce_by_key_config_selectorIslN6thrust23THRUST_200600_302600_NS4plusIlEEEEZZNS1_33reduce_by_key_impl_wrapped_configILNS1_25lookback_scan_determinismE0ES3_S9_PsNS6_17constant_iteratorIiNS6_11use_defaultESE_EENS6_10device_ptrIsEENSG_IlEEPmS8_NS6_8equal_toIsEEEE10hipError_tPvRmT2_T3_mT4_T5_T6_T7_T8_P12ihipStream_tbENKUlT_T0_E_clISt17integral_constantIbLb0EES12_IbLb1EEEEDaSY_SZ_EUlSY_E_NS1_11comp_targetILNS1_3genE10ELNS1_11target_archE1201ELNS1_3gpuE5ELNS1_3repE0EEENS1_30default_config_static_selectorELNS0_4arch9wavefront6targetE1EEEvT1_,"axG",@progbits,_ZN7rocprim17ROCPRIM_400000_NS6detail17trampoline_kernelINS0_14default_configENS1_29reduce_by_key_config_selectorIslN6thrust23THRUST_200600_302600_NS4plusIlEEEEZZNS1_33reduce_by_key_impl_wrapped_configILNS1_25lookback_scan_determinismE0ES3_S9_PsNS6_17constant_iteratorIiNS6_11use_defaultESE_EENS6_10device_ptrIsEENSG_IlEEPmS8_NS6_8equal_toIsEEEE10hipError_tPvRmT2_T3_mT4_T5_T6_T7_T8_P12ihipStream_tbENKUlT_T0_E_clISt17integral_constantIbLb0EES12_IbLb1EEEEDaSY_SZ_EUlSY_E_NS1_11comp_targetILNS1_3genE10ELNS1_11target_archE1201ELNS1_3gpuE5ELNS1_3repE0EEENS1_30default_config_static_selectorELNS0_4arch9wavefront6targetE1EEEvT1_,comdat
	.protected	_ZN7rocprim17ROCPRIM_400000_NS6detail17trampoline_kernelINS0_14default_configENS1_29reduce_by_key_config_selectorIslN6thrust23THRUST_200600_302600_NS4plusIlEEEEZZNS1_33reduce_by_key_impl_wrapped_configILNS1_25lookback_scan_determinismE0ES3_S9_PsNS6_17constant_iteratorIiNS6_11use_defaultESE_EENS6_10device_ptrIsEENSG_IlEEPmS8_NS6_8equal_toIsEEEE10hipError_tPvRmT2_T3_mT4_T5_T6_T7_T8_P12ihipStream_tbENKUlT_T0_E_clISt17integral_constantIbLb0EES12_IbLb1EEEEDaSY_SZ_EUlSY_E_NS1_11comp_targetILNS1_3genE10ELNS1_11target_archE1201ELNS1_3gpuE5ELNS1_3repE0EEENS1_30default_config_static_selectorELNS0_4arch9wavefront6targetE1EEEvT1_ ; -- Begin function _ZN7rocprim17ROCPRIM_400000_NS6detail17trampoline_kernelINS0_14default_configENS1_29reduce_by_key_config_selectorIslN6thrust23THRUST_200600_302600_NS4plusIlEEEEZZNS1_33reduce_by_key_impl_wrapped_configILNS1_25lookback_scan_determinismE0ES3_S9_PsNS6_17constant_iteratorIiNS6_11use_defaultESE_EENS6_10device_ptrIsEENSG_IlEEPmS8_NS6_8equal_toIsEEEE10hipError_tPvRmT2_T3_mT4_T5_T6_T7_T8_P12ihipStream_tbENKUlT_T0_E_clISt17integral_constantIbLb0EES12_IbLb1EEEEDaSY_SZ_EUlSY_E_NS1_11comp_targetILNS1_3genE10ELNS1_11target_archE1201ELNS1_3gpuE5ELNS1_3repE0EEENS1_30default_config_static_selectorELNS0_4arch9wavefront6targetE1EEEvT1_
	.globl	_ZN7rocprim17ROCPRIM_400000_NS6detail17trampoline_kernelINS0_14default_configENS1_29reduce_by_key_config_selectorIslN6thrust23THRUST_200600_302600_NS4plusIlEEEEZZNS1_33reduce_by_key_impl_wrapped_configILNS1_25lookback_scan_determinismE0ES3_S9_PsNS6_17constant_iteratorIiNS6_11use_defaultESE_EENS6_10device_ptrIsEENSG_IlEEPmS8_NS6_8equal_toIsEEEE10hipError_tPvRmT2_T3_mT4_T5_T6_T7_T8_P12ihipStream_tbENKUlT_T0_E_clISt17integral_constantIbLb0EES12_IbLb1EEEEDaSY_SZ_EUlSY_E_NS1_11comp_targetILNS1_3genE10ELNS1_11target_archE1201ELNS1_3gpuE5ELNS1_3repE0EEENS1_30default_config_static_selectorELNS0_4arch9wavefront6targetE1EEEvT1_
	.p2align	8
	.type	_ZN7rocprim17ROCPRIM_400000_NS6detail17trampoline_kernelINS0_14default_configENS1_29reduce_by_key_config_selectorIslN6thrust23THRUST_200600_302600_NS4plusIlEEEEZZNS1_33reduce_by_key_impl_wrapped_configILNS1_25lookback_scan_determinismE0ES3_S9_PsNS6_17constant_iteratorIiNS6_11use_defaultESE_EENS6_10device_ptrIsEENSG_IlEEPmS8_NS6_8equal_toIsEEEE10hipError_tPvRmT2_T3_mT4_T5_T6_T7_T8_P12ihipStream_tbENKUlT_T0_E_clISt17integral_constantIbLb0EES12_IbLb1EEEEDaSY_SZ_EUlSY_E_NS1_11comp_targetILNS1_3genE10ELNS1_11target_archE1201ELNS1_3gpuE5ELNS1_3repE0EEENS1_30default_config_static_selectorELNS0_4arch9wavefront6targetE1EEEvT1_,@function
_ZN7rocprim17ROCPRIM_400000_NS6detail17trampoline_kernelINS0_14default_configENS1_29reduce_by_key_config_selectorIslN6thrust23THRUST_200600_302600_NS4plusIlEEEEZZNS1_33reduce_by_key_impl_wrapped_configILNS1_25lookback_scan_determinismE0ES3_S9_PsNS6_17constant_iteratorIiNS6_11use_defaultESE_EENS6_10device_ptrIsEENSG_IlEEPmS8_NS6_8equal_toIsEEEE10hipError_tPvRmT2_T3_mT4_T5_T6_T7_T8_P12ihipStream_tbENKUlT_T0_E_clISt17integral_constantIbLb0EES12_IbLb1EEEEDaSY_SZ_EUlSY_E_NS1_11comp_targetILNS1_3genE10ELNS1_11target_archE1201ELNS1_3gpuE5ELNS1_3repE0EEENS1_30default_config_static_selectorELNS0_4arch9wavefront6targetE1EEEvT1_: ; @_ZN7rocprim17ROCPRIM_400000_NS6detail17trampoline_kernelINS0_14default_configENS1_29reduce_by_key_config_selectorIslN6thrust23THRUST_200600_302600_NS4plusIlEEEEZZNS1_33reduce_by_key_impl_wrapped_configILNS1_25lookback_scan_determinismE0ES3_S9_PsNS6_17constant_iteratorIiNS6_11use_defaultESE_EENS6_10device_ptrIsEENSG_IlEEPmS8_NS6_8equal_toIsEEEE10hipError_tPvRmT2_T3_mT4_T5_T6_T7_T8_P12ihipStream_tbENKUlT_T0_E_clISt17integral_constantIbLb0EES12_IbLb1EEEEDaSY_SZ_EUlSY_E_NS1_11comp_targetILNS1_3genE10ELNS1_11target_archE1201ELNS1_3gpuE5ELNS1_3repE0EEENS1_30default_config_static_selectorELNS0_4arch9wavefront6targetE1EEEvT1_
; %bb.0:
	.section	.rodata,"a",@progbits
	.p2align	6, 0x0
	.amdhsa_kernel _ZN7rocprim17ROCPRIM_400000_NS6detail17trampoline_kernelINS0_14default_configENS1_29reduce_by_key_config_selectorIslN6thrust23THRUST_200600_302600_NS4plusIlEEEEZZNS1_33reduce_by_key_impl_wrapped_configILNS1_25lookback_scan_determinismE0ES3_S9_PsNS6_17constant_iteratorIiNS6_11use_defaultESE_EENS6_10device_ptrIsEENSG_IlEEPmS8_NS6_8equal_toIsEEEE10hipError_tPvRmT2_T3_mT4_T5_T6_T7_T8_P12ihipStream_tbENKUlT_T0_E_clISt17integral_constantIbLb0EES12_IbLb1EEEEDaSY_SZ_EUlSY_E_NS1_11comp_targetILNS1_3genE10ELNS1_11target_archE1201ELNS1_3gpuE5ELNS1_3repE0EEENS1_30default_config_static_selectorELNS0_4arch9wavefront6targetE1EEEvT1_
		.amdhsa_group_segment_fixed_size 0
		.amdhsa_private_segment_fixed_size 0
		.amdhsa_kernarg_size 144
		.amdhsa_user_sgpr_count 6
		.amdhsa_user_sgpr_private_segment_buffer 1
		.amdhsa_user_sgpr_dispatch_ptr 0
		.amdhsa_user_sgpr_queue_ptr 0
		.amdhsa_user_sgpr_kernarg_segment_ptr 1
		.amdhsa_user_sgpr_dispatch_id 0
		.amdhsa_user_sgpr_flat_scratch_init 0
		.amdhsa_user_sgpr_kernarg_preload_length 0
		.amdhsa_user_sgpr_kernarg_preload_offset 0
		.amdhsa_user_sgpr_private_segment_size 0
		.amdhsa_uses_dynamic_stack 0
		.amdhsa_system_sgpr_private_segment_wavefront_offset 0
		.amdhsa_system_sgpr_workgroup_id_x 1
		.amdhsa_system_sgpr_workgroup_id_y 0
		.amdhsa_system_sgpr_workgroup_id_z 0
		.amdhsa_system_sgpr_workgroup_info 0
		.amdhsa_system_vgpr_workitem_id 0
		.amdhsa_next_free_vgpr 1
		.amdhsa_next_free_sgpr 0
		.amdhsa_accum_offset 4
		.amdhsa_reserve_vcc 0
		.amdhsa_reserve_flat_scratch 0
		.amdhsa_float_round_mode_32 0
		.amdhsa_float_round_mode_16_64 0
		.amdhsa_float_denorm_mode_32 3
		.amdhsa_float_denorm_mode_16_64 3
		.amdhsa_dx10_clamp 1
		.amdhsa_ieee_mode 1
		.amdhsa_fp16_overflow 0
		.amdhsa_tg_split 0
		.amdhsa_exception_fp_ieee_invalid_op 0
		.amdhsa_exception_fp_denorm_src 0
		.amdhsa_exception_fp_ieee_div_zero 0
		.amdhsa_exception_fp_ieee_overflow 0
		.amdhsa_exception_fp_ieee_underflow 0
		.amdhsa_exception_fp_ieee_inexact 0
		.amdhsa_exception_int_div_zero 0
	.end_amdhsa_kernel
	.section	.text._ZN7rocprim17ROCPRIM_400000_NS6detail17trampoline_kernelINS0_14default_configENS1_29reduce_by_key_config_selectorIslN6thrust23THRUST_200600_302600_NS4plusIlEEEEZZNS1_33reduce_by_key_impl_wrapped_configILNS1_25lookback_scan_determinismE0ES3_S9_PsNS6_17constant_iteratorIiNS6_11use_defaultESE_EENS6_10device_ptrIsEENSG_IlEEPmS8_NS6_8equal_toIsEEEE10hipError_tPvRmT2_T3_mT4_T5_T6_T7_T8_P12ihipStream_tbENKUlT_T0_E_clISt17integral_constantIbLb0EES12_IbLb1EEEEDaSY_SZ_EUlSY_E_NS1_11comp_targetILNS1_3genE10ELNS1_11target_archE1201ELNS1_3gpuE5ELNS1_3repE0EEENS1_30default_config_static_selectorELNS0_4arch9wavefront6targetE1EEEvT1_,"axG",@progbits,_ZN7rocprim17ROCPRIM_400000_NS6detail17trampoline_kernelINS0_14default_configENS1_29reduce_by_key_config_selectorIslN6thrust23THRUST_200600_302600_NS4plusIlEEEEZZNS1_33reduce_by_key_impl_wrapped_configILNS1_25lookback_scan_determinismE0ES3_S9_PsNS6_17constant_iteratorIiNS6_11use_defaultESE_EENS6_10device_ptrIsEENSG_IlEEPmS8_NS6_8equal_toIsEEEE10hipError_tPvRmT2_T3_mT4_T5_T6_T7_T8_P12ihipStream_tbENKUlT_T0_E_clISt17integral_constantIbLb0EES12_IbLb1EEEEDaSY_SZ_EUlSY_E_NS1_11comp_targetILNS1_3genE10ELNS1_11target_archE1201ELNS1_3gpuE5ELNS1_3repE0EEENS1_30default_config_static_selectorELNS0_4arch9wavefront6targetE1EEEvT1_,comdat
.Lfunc_end1502:
	.size	_ZN7rocprim17ROCPRIM_400000_NS6detail17trampoline_kernelINS0_14default_configENS1_29reduce_by_key_config_selectorIslN6thrust23THRUST_200600_302600_NS4plusIlEEEEZZNS1_33reduce_by_key_impl_wrapped_configILNS1_25lookback_scan_determinismE0ES3_S9_PsNS6_17constant_iteratorIiNS6_11use_defaultESE_EENS6_10device_ptrIsEENSG_IlEEPmS8_NS6_8equal_toIsEEEE10hipError_tPvRmT2_T3_mT4_T5_T6_T7_T8_P12ihipStream_tbENKUlT_T0_E_clISt17integral_constantIbLb0EES12_IbLb1EEEEDaSY_SZ_EUlSY_E_NS1_11comp_targetILNS1_3genE10ELNS1_11target_archE1201ELNS1_3gpuE5ELNS1_3repE0EEENS1_30default_config_static_selectorELNS0_4arch9wavefront6targetE1EEEvT1_, .Lfunc_end1502-_ZN7rocprim17ROCPRIM_400000_NS6detail17trampoline_kernelINS0_14default_configENS1_29reduce_by_key_config_selectorIslN6thrust23THRUST_200600_302600_NS4plusIlEEEEZZNS1_33reduce_by_key_impl_wrapped_configILNS1_25lookback_scan_determinismE0ES3_S9_PsNS6_17constant_iteratorIiNS6_11use_defaultESE_EENS6_10device_ptrIsEENSG_IlEEPmS8_NS6_8equal_toIsEEEE10hipError_tPvRmT2_T3_mT4_T5_T6_T7_T8_P12ihipStream_tbENKUlT_T0_E_clISt17integral_constantIbLb0EES12_IbLb1EEEEDaSY_SZ_EUlSY_E_NS1_11comp_targetILNS1_3genE10ELNS1_11target_archE1201ELNS1_3gpuE5ELNS1_3repE0EEENS1_30default_config_static_selectorELNS0_4arch9wavefront6targetE1EEEvT1_
                                        ; -- End function
	.section	.AMDGPU.csdata,"",@progbits
; Kernel info:
; codeLenInByte = 0
; NumSgprs: 4
; NumVgprs: 0
; NumAgprs: 0
; TotalNumVgprs: 0
; ScratchSize: 0
; MemoryBound: 0
; FloatMode: 240
; IeeeMode: 1
; LDSByteSize: 0 bytes/workgroup (compile time only)
; SGPRBlocks: 0
; VGPRBlocks: 0
; NumSGPRsForWavesPerEU: 4
; NumVGPRsForWavesPerEU: 1
; AccumOffset: 4
; Occupancy: 8
; WaveLimiterHint : 0
; COMPUTE_PGM_RSRC2:SCRATCH_EN: 0
; COMPUTE_PGM_RSRC2:USER_SGPR: 6
; COMPUTE_PGM_RSRC2:TRAP_HANDLER: 0
; COMPUTE_PGM_RSRC2:TGID_X_EN: 1
; COMPUTE_PGM_RSRC2:TGID_Y_EN: 0
; COMPUTE_PGM_RSRC2:TGID_Z_EN: 0
; COMPUTE_PGM_RSRC2:TIDIG_COMP_CNT: 0
; COMPUTE_PGM_RSRC3_GFX90A:ACCUM_OFFSET: 0
; COMPUTE_PGM_RSRC3_GFX90A:TG_SPLIT: 0
	.section	.text._ZN7rocprim17ROCPRIM_400000_NS6detail17trampoline_kernelINS0_14default_configENS1_29reduce_by_key_config_selectorIslN6thrust23THRUST_200600_302600_NS4plusIlEEEEZZNS1_33reduce_by_key_impl_wrapped_configILNS1_25lookback_scan_determinismE0ES3_S9_PsNS6_17constant_iteratorIiNS6_11use_defaultESE_EENS6_10device_ptrIsEENSG_IlEEPmS8_NS6_8equal_toIsEEEE10hipError_tPvRmT2_T3_mT4_T5_T6_T7_T8_P12ihipStream_tbENKUlT_T0_E_clISt17integral_constantIbLb0EES12_IbLb1EEEEDaSY_SZ_EUlSY_E_NS1_11comp_targetILNS1_3genE10ELNS1_11target_archE1200ELNS1_3gpuE4ELNS1_3repE0EEENS1_30default_config_static_selectorELNS0_4arch9wavefront6targetE1EEEvT1_,"axG",@progbits,_ZN7rocprim17ROCPRIM_400000_NS6detail17trampoline_kernelINS0_14default_configENS1_29reduce_by_key_config_selectorIslN6thrust23THRUST_200600_302600_NS4plusIlEEEEZZNS1_33reduce_by_key_impl_wrapped_configILNS1_25lookback_scan_determinismE0ES3_S9_PsNS6_17constant_iteratorIiNS6_11use_defaultESE_EENS6_10device_ptrIsEENSG_IlEEPmS8_NS6_8equal_toIsEEEE10hipError_tPvRmT2_T3_mT4_T5_T6_T7_T8_P12ihipStream_tbENKUlT_T0_E_clISt17integral_constantIbLb0EES12_IbLb1EEEEDaSY_SZ_EUlSY_E_NS1_11comp_targetILNS1_3genE10ELNS1_11target_archE1200ELNS1_3gpuE4ELNS1_3repE0EEENS1_30default_config_static_selectorELNS0_4arch9wavefront6targetE1EEEvT1_,comdat
	.protected	_ZN7rocprim17ROCPRIM_400000_NS6detail17trampoline_kernelINS0_14default_configENS1_29reduce_by_key_config_selectorIslN6thrust23THRUST_200600_302600_NS4plusIlEEEEZZNS1_33reduce_by_key_impl_wrapped_configILNS1_25lookback_scan_determinismE0ES3_S9_PsNS6_17constant_iteratorIiNS6_11use_defaultESE_EENS6_10device_ptrIsEENSG_IlEEPmS8_NS6_8equal_toIsEEEE10hipError_tPvRmT2_T3_mT4_T5_T6_T7_T8_P12ihipStream_tbENKUlT_T0_E_clISt17integral_constantIbLb0EES12_IbLb1EEEEDaSY_SZ_EUlSY_E_NS1_11comp_targetILNS1_3genE10ELNS1_11target_archE1200ELNS1_3gpuE4ELNS1_3repE0EEENS1_30default_config_static_selectorELNS0_4arch9wavefront6targetE1EEEvT1_ ; -- Begin function _ZN7rocprim17ROCPRIM_400000_NS6detail17trampoline_kernelINS0_14default_configENS1_29reduce_by_key_config_selectorIslN6thrust23THRUST_200600_302600_NS4plusIlEEEEZZNS1_33reduce_by_key_impl_wrapped_configILNS1_25lookback_scan_determinismE0ES3_S9_PsNS6_17constant_iteratorIiNS6_11use_defaultESE_EENS6_10device_ptrIsEENSG_IlEEPmS8_NS6_8equal_toIsEEEE10hipError_tPvRmT2_T3_mT4_T5_T6_T7_T8_P12ihipStream_tbENKUlT_T0_E_clISt17integral_constantIbLb0EES12_IbLb1EEEEDaSY_SZ_EUlSY_E_NS1_11comp_targetILNS1_3genE10ELNS1_11target_archE1200ELNS1_3gpuE4ELNS1_3repE0EEENS1_30default_config_static_selectorELNS0_4arch9wavefront6targetE1EEEvT1_
	.globl	_ZN7rocprim17ROCPRIM_400000_NS6detail17trampoline_kernelINS0_14default_configENS1_29reduce_by_key_config_selectorIslN6thrust23THRUST_200600_302600_NS4plusIlEEEEZZNS1_33reduce_by_key_impl_wrapped_configILNS1_25lookback_scan_determinismE0ES3_S9_PsNS6_17constant_iteratorIiNS6_11use_defaultESE_EENS6_10device_ptrIsEENSG_IlEEPmS8_NS6_8equal_toIsEEEE10hipError_tPvRmT2_T3_mT4_T5_T6_T7_T8_P12ihipStream_tbENKUlT_T0_E_clISt17integral_constantIbLb0EES12_IbLb1EEEEDaSY_SZ_EUlSY_E_NS1_11comp_targetILNS1_3genE10ELNS1_11target_archE1200ELNS1_3gpuE4ELNS1_3repE0EEENS1_30default_config_static_selectorELNS0_4arch9wavefront6targetE1EEEvT1_
	.p2align	8
	.type	_ZN7rocprim17ROCPRIM_400000_NS6detail17trampoline_kernelINS0_14default_configENS1_29reduce_by_key_config_selectorIslN6thrust23THRUST_200600_302600_NS4plusIlEEEEZZNS1_33reduce_by_key_impl_wrapped_configILNS1_25lookback_scan_determinismE0ES3_S9_PsNS6_17constant_iteratorIiNS6_11use_defaultESE_EENS6_10device_ptrIsEENSG_IlEEPmS8_NS6_8equal_toIsEEEE10hipError_tPvRmT2_T3_mT4_T5_T6_T7_T8_P12ihipStream_tbENKUlT_T0_E_clISt17integral_constantIbLb0EES12_IbLb1EEEEDaSY_SZ_EUlSY_E_NS1_11comp_targetILNS1_3genE10ELNS1_11target_archE1200ELNS1_3gpuE4ELNS1_3repE0EEENS1_30default_config_static_selectorELNS0_4arch9wavefront6targetE1EEEvT1_,@function
_ZN7rocprim17ROCPRIM_400000_NS6detail17trampoline_kernelINS0_14default_configENS1_29reduce_by_key_config_selectorIslN6thrust23THRUST_200600_302600_NS4plusIlEEEEZZNS1_33reduce_by_key_impl_wrapped_configILNS1_25lookback_scan_determinismE0ES3_S9_PsNS6_17constant_iteratorIiNS6_11use_defaultESE_EENS6_10device_ptrIsEENSG_IlEEPmS8_NS6_8equal_toIsEEEE10hipError_tPvRmT2_T3_mT4_T5_T6_T7_T8_P12ihipStream_tbENKUlT_T0_E_clISt17integral_constantIbLb0EES12_IbLb1EEEEDaSY_SZ_EUlSY_E_NS1_11comp_targetILNS1_3genE10ELNS1_11target_archE1200ELNS1_3gpuE4ELNS1_3repE0EEENS1_30default_config_static_selectorELNS0_4arch9wavefront6targetE1EEEvT1_: ; @_ZN7rocprim17ROCPRIM_400000_NS6detail17trampoline_kernelINS0_14default_configENS1_29reduce_by_key_config_selectorIslN6thrust23THRUST_200600_302600_NS4plusIlEEEEZZNS1_33reduce_by_key_impl_wrapped_configILNS1_25lookback_scan_determinismE0ES3_S9_PsNS6_17constant_iteratorIiNS6_11use_defaultESE_EENS6_10device_ptrIsEENSG_IlEEPmS8_NS6_8equal_toIsEEEE10hipError_tPvRmT2_T3_mT4_T5_T6_T7_T8_P12ihipStream_tbENKUlT_T0_E_clISt17integral_constantIbLb0EES12_IbLb1EEEEDaSY_SZ_EUlSY_E_NS1_11comp_targetILNS1_3genE10ELNS1_11target_archE1200ELNS1_3gpuE4ELNS1_3repE0EEENS1_30default_config_static_selectorELNS0_4arch9wavefront6targetE1EEEvT1_
; %bb.0:
	.section	.rodata,"a",@progbits
	.p2align	6, 0x0
	.amdhsa_kernel _ZN7rocprim17ROCPRIM_400000_NS6detail17trampoline_kernelINS0_14default_configENS1_29reduce_by_key_config_selectorIslN6thrust23THRUST_200600_302600_NS4plusIlEEEEZZNS1_33reduce_by_key_impl_wrapped_configILNS1_25lookback_scan_determinismE0ES3_S9_PsNS6_17constant_iteratorIiNS6_11use_defaultESE_EENS6_10device_ptrIsEENSG_IlEEPmS8_NS6_8equal_toIsEEEE10hipError_tPvRmT2_T3_mT4_T5_T6_T7_T8_P12ihipStream_tbENKUlT_T0_E_clISt17integral_constantIbLb0EES12_IbLb1EEEEDaSY_SZ_EUlSY_E_NS1_11comp_targetILNS1_3genE10ELNS1_11target_archE1200ELNS1_3gpuE4ELNS1_3repE0EEENS1_30default_config_static_selectorELNS0_4arch9wavefront6targetE1EEEvT1_
		.amdhsa_group_segment_fixed_size 0
		.amdhsa_private_segment_fixed_size 0
		.amdhsa_kernarg_size 144
		.amdhsa_user_sgpr_count 6
		.amdhsa_user_sgpr_private_segment_buffer 1
		.amdhsa_user_sgpr_dispatch_ptr 0
		.amdhsa_user_sgpr_queue_ptr 0
		.amdhsa_user_sgpr_kernarg_segment_ptr 1
		.amdhsa_user_sgpr_dispatch_id 0
		.amdhsa_user_sgpr_flat_scratch_init 0
		.amdhsa_user_sgpr_kernarg_preload_length 0
		.amdhsa_user_sgpr_kernarg_preload_offset 0
		.amdhsa_user_sgpr_private_segment_size 0
		.amdhsa_uses_dynamic_stack 0
		.amdhsa_system_sgpr_private_segment_wavefront_offset 0
		.amdhsa_system_sgpr_workgroup_id_x 1
		.amdhsa_system_sgpr_workgroup_id_y 0
		.amdhsa_system_sgpr_workgroup_id_z 0
		.amdhsa_system_sgpr_workgroup_info 0
		.amdhsa_system_vgpr_workitem_id 0
		.amdhsa_next_free_vgpr 1
		.amdhsa_next_free_sgpr 0
		.amdhsa_accum_offset 4
		.amdhsa_reserve_vcc 0
		.amdhsa_reserve_flat_scratch 0
		.amdhsa_float_round_mode_32 0
		.amdhsa_float_round_mode_16_64 0
		.amdhsa_float_denorm_mode_32 3
		.amdhsa_float_denorm_mode_16_64 3
		.amdhsa_dx10_clamp 1
		.amdhsa_ieee_mode 1
		.amdhsa_fp16_overflow 0
		.amdhsa_tg_split 0
		.amdhsa_exception_fp_ieee_invalid_op 0
		.amdhsa_exception_fp_denorm_src 0
		.amdhsa_exception_fp_ieee_div_zero 0
		.amdhsa_exception_fp_ieee_overflow 0
		.amdhsa_exception_fp_ieee_underflow 0
		.amdhsa_exception_fp_ieee_inexact 0
		.amdhsa_exception_int_div_zero 0
	.end_amdhsa_kernel
	.section	.text._ZN7rocprim17ROCPRIM_400000_NS6detail17trampoline_kernelINS0_14default_configENS1_29reduce_by_key_config_selectorIslN6thrust23THRUST_200600_302600_NS4plusIlEEEEZZNS1_33reduce_by_key_impl_wrapped_configILNS1_25lookback_scan_determinismE0ES3_S9_PsNS6_17constant_iteratorIiNS6_11use_defaultESE_EENS6_10device_ptrIsEENSG_IlEEPmS8_NS6_8equal_toIsEEEE10hipError_tPvRmT2_T3_mT4_T5_T6_T7_T8_P12ihipStream_tbENKUlT_T0_E_clISt17integral_constantIbLb0EES12_IbLb1EEEEDaSY_SZ_EUlSY_E_NS1_11comp_targetILNS1_3genE10ELNS1_11target_archE1200ELNS1_3gpuE4ELNS1_3repE0EEENS1_30default_config_static_selectorELNS0_4arch9wavefront6targetE1EEEvT1_,"axG",@progbits,_ZN7rocprim17ROCPRIM_400000_NS6detail17trampoline_kernelINS0_14default_configENS1_29reduce_by_key_config_selectorIslN6thrust23THRUST_200600_302600_NS4plusIlEEEEZZNS1_33reduce_by_key_impl_wrapped_configILNS1_25lookback_scan_determinismE0ES3_S9_PsNS6_17constant_iteratorIiNS6_11use_defaultESE_EENS6_10device_ptrIsEENSG_IlEEPmS8_NS6_8equal_toIsEEEE10hipError_tPvRmT2_T3_mT4_T5_T6_T7_T8_P12ihipStream_tbENKUlT_T0_E_clISt17integral_constantIbLb0EES12_IbLb1EEEEDaSY_SZ_EUlSY_E_NS1_11comp_targetILNS1_3genE10ELNS1_11target_archE1200ELNS1_3gpuE4ELNS1_3repE0EEENS1_30default_config_static_selectorELNS0_4arch9wavefront6targetE1EEEvT1_,comdat
.Lfunc_end1503:
	.size	_ZN7rocprim17ROCPRIM_400000_NS6detail17trampoline_kernelINS0_14default_configENS1_29reduce_by_key_config_selectorIslN6thrust23THRUST_200600_302600_NS4plusIlEEEEZZNS1_33reduce_by_key_impl_wrapped_configILNS1_25lookback_scan_determinismE0ES3_S9_PsNS6_17constant_iteratorIiNS6_11use_defaultESE_EENS6_10device_ptrIsEENSG_IlEEPmS8_NS6_8equal_toIsEEEE10hipError_tPvRmT2_T3_mT4_T5_T6_T7_T8_P12ihipStream_tbENKUlT_T0_E_clISt17integral_constantIbLb0EES12_IbLb1EEEEDaSY_SZ_EUlSY_E_NS1_11comp_targetILNS1_3genE10ELNS1_11target_archE1200ELNS1_3gpuE4ELNS1_3repE0EEENS1_30default_config_static_selectorELNS0_4arch9wavefront6targetE1EEEvT1_, .Lfunc_end1503-_ZN7rocprim17ROCPRIM_400000_NS6detail17trampoline_kernelINS0_14default_configENS1_29reduce_by_key_config_selectorIslN6thrust23THRUST_200600_302600_NS4plusIlEEEEZZNS1_33reduce_by_key_impl_wrapped_configILNS1_25lookback_scan_determinismE0ES3_S9_PsNS6_17constant_iteratorIiNS6_11use_defaultESE_EENS6_10device_ptrIsEENSG_IlEEPmS8_NS6_8equal_toIsEEEE10hipError_tPvRmT2_T3_mT4_T5_T6_T7_T8_P12ihipStream_tbENKUlT_T0_E_clISt17integral_constantIbLb0EES12_IbLb1EEEEDaSY_SZ_EUlSY_E_NS1_11comp_targetILNS1_3genE10ELNS1_11target_archE1200ELNS1_3gpuE4ELNS1_3repE0EEENS1_30default_config_static_selectorELNS0_4arch9wavefront6targetE1EEEvT1_
                                        ; -- End function
	.section	.AMDGPU.csdata,"",@progbits
; Kernel info:
; codeLenInByte = 0
; NumSgprs: 4
; NumVgprs: 0
; NumAgprs: 0
; TotalNumVgprs: 0
; ScratchSize: 0
; MemoryBound: 0
; FloatMode: 240
; IeeeMode: 1
; LDSByteSize: 0 bytes/workgroup (compile time only)
; SGPRBlocks: 0
; VGPRBlocks: 0
; NumSGPRsForWavesPerEU: 4
; NumVGPRsForWavesPerEU: 1
; AccumOffset: 4
; Occupancy: 8
; WaveLimiterHint : 0
; COMPUTE_PGM_RSRC2:SCRATCH_EN: 0
; COMPUTE_PGM_RSRC2:USER_SGPR: 6
; COMPUTE_PGM_RSRC2:TRAP_HANDLER: 0
; COMPUTE_PGM_RSRC2:TGID_X_EN: 1
; COMPUTE_PGM_RSRC2:TGID_Y_EN: 0
; COMPUTE_PGM_RSRC2:TGID_Z_EN: 0
; COMPUTE_PGM_RSRC2:TIDIG_COMP_CNT: 0
; COMPUTE_PGM_RSRC3_GFX90A:ACCUM_OFFSET: 0
; COMPUTE_PGM_RSRC3_GFX90A:TG_SPLIT: 0
	.section	.text._ZN7rocprim17ROCPRIM_400000_NS6detail17trampoline_kernelINS0_14default_configENS1_29reduce_by_key_config_selectorIslN6thrust23THRUST_200600_302600_NS4plusIlEEEEZZNS1_33reduce_by_key_impl_wrapped_configILNS1_25lookback_scan_determinismE0ES3_S9_PsNS6_17constant_iteratorIiNS6_11use_defaultESE_EENS6_10device_ptrIsEENSG_IlEEPmS8_NS6_8equal_toIsEEEE10hipError_tPvRmT2_T3_mT4_T5_T6_T7_T8_P12ihipStream_tbENKUlT_T0_E_clISt17integral_constantIbLb0EES12_IbLb1EEEEDaSY_SZ_EUlSY_E_NS1_11comp_targetILNS1_3genE9ELNS1_11target_archE1100ELNS1_3gpuE3ELNS1_3repE0EEENS1_30default_config_static_selectorELNS0_4arch9wavefront6targetE1EEEvT1_,"axG",@progbits,_ZN7rocprim17ROCPRIM_400000_NS6detail17trampoline_kernelINS0_14default_configENS1_29reduce_by_key_config_selectorIslN6thrust23THRUST_200600_302600_NS4plusIlEEEEZZNS1_33reduce_by_key_impl_wrapped_configILNS1_25lookback_scan_determinismE0ES3_S9_PsNS6_17constant_iteratorIiNS6_11use_defaultESE_EENS6_10device_ptrIsEENSG_IlEEPmS8_NS6_8equal_toIsEEEE10hipError_tPvRmT2_T3_mT4_T5_T6_T7_T8_P12ihipStream_tbENKUlT_T0_E_clISt17integral_constantIbLb0EES12_IbLb1EEEEDaSY_SZ_EUlSY_E_NS1_11comp_targetILNS1_3genE9ELNS1_11target_archE1100ELNS1_3gpuE3ELNS1_3repE0EEENS1_30default_config_static_selectorELNS0_4arch9wavefront6targetE1EEEvT1_,comdat
	.protected	_ZN7rocprim17ROCPRIM_400000_NS6detail17trampoline_kernelINS0_14default_configENS1_29reduce_by_key_config_selectorIslN6thrust23THRUST_200600_302600_NS4plusIlEEEEZZNS1_33reduce_by_key_impl_wrapped_configILNS1_25lookback_scan_determinismE0ES3_S9_PsNS6_17constant_iteratorIiNS6_11use_defaultESE_EENS6_10device_ptrIsEENSG_IlEEPmS8_NS6_8equal_toIsEEEE10hipError_tPvRmT2_T3_mT4_T5_T6_T7_T8_P12ihipStream_tbENKUlT_T0_E_clISt17integral_constantIbLb0EES12_IbLb1EEEEDaSY_SZ_EUlSY_E_NS1_11comp_targetILNS1_3genE9ELNS1_11target_archE1100ELNS1_3gpuE3ELNS1_3repE0EEENS1_30default_config_static_selectorELNS0_4arch9wavefront6targetE1EEEvT1_ ; -- Begin function _ZN7rocprim17ROCPRIM_400000_NS6detail17trampoline_kernelINS0_14default_configENS1_29reduce_by_key_config_selectorIslN6thrust23THRUST_200600_302600_NS4plusIlEEEEZZNS1_33reduce_by_key_impl_wrapped_configILNS1_25lookback_scan_determinismE0ES3_S9_PsNS6_17constant_iteratorIiNS6_11use_defaultESE_EENS6_10device_ptrIsEENSG_IlEEPmS8_NS6_8equal_toIsEEEE10hipError_tPvRmT2_T3_mT4_T5_T6_T7_T8_P12ihipStream_tbENKUlT_T0_E_clISt17integral_constantIbLb0EES12_IbLb1EEEEDaSY_SZ_EUlSY_E_NS1_11comp_targetILNS1_3genE9ELNS1_11target_archE1100ELNS1_3gpuE3ELNS1_3repE0EEENS1_30default_config_static_selectorELNS0_4arch9wavefront6targetE1EEEvT1_
	.globl	_ZN7rocprim17ROCPRIM_400000_NS6detail17trampoline_kernelINS0_14default_configENS1_29reduce_by_key_config_selectorIslN6thrust23THRUST_200600_302600_NS4plusIlEEEEZZNS1_33reduce_by_key_impl_wrapped_configILNS1_25lookback_scan_determinismE0ES3_S9_PsNS6_17constant_iteratorIiNS6_11use_defaultESE_EENS6_10device_ptrIsEENSG_IlEEPmS8_NS6_8equal_toIsEEEE10hipError_tPvRmT2_T3_mT4_T5_T6_T7_T8_P12ihipStream_tbENKUlT_T0_E_clISt17integral_constantIbLb0EES12_IbLb1EEEEDaSY_SZ_EUlSY_E_NS1_11comp_targetILNS1_3genE9ELNS1_11target_archE1100ELNS1_3gpuE3ELNS1_3repE0EEENS1_30default_config_static_selectorELNS0_4arch9wavefront6targetE1EEEvT1_
	.p2align	8
	.type	_ZN7rocprim17ROCPRIM_400000_NS6detail17trampoline_kernelINS0_14default_configENS1_29reduce_by_key_config_selectorIslN6thrust23THRUST_200600_302600_NS4plusIlEEEEZZNS1_33reduce_by_key_impl_wrapped_configILNS1_25lookback_scan_determinismE0ES3_S9_PsNS6_17constant_iteratorIiNS6_11use_defaultESE_EENS6_10device_ptrIsEENSG_IlEEPmS8_NS6_8equal_toIsEEEE10hipError_tPvRmT2_T3_mT4_T5_T6_T7_T8_P12ihipStream_tbENKUlT_T0_E_clISt17integral_constantIbLb0EES12_IbLb1EEEEDaSY_SZ_EUlSY_E_NS1_11comp_targetILNS1_3genE9ELNS1_11target_archE1100ELNS1_3gpuE3ELNS1_3repE0EEENS1_30default_config_static_selectorELNS0_4arch9wavefront6targetE1EEEvT1_,@function
_ZN7rocprim17ROCPRIM_400000_NS6detail17trampoline_kernelINS0_14default_configENS1_29reduce_by_key_config_selectorIslN6thrust23THRUST_200600_302600_NS4plusIlEEEEZZNS1_33reduce_by_key_impl_wrapped_configILNS1_25lookback_scan_determinismE0ES3_S9_PsNS6_17constant_iteratorIiNS6_11use_defaultESE_EENS6_10device_ptrIsEENSG_IlEEPmS8_NS6_8equal_toIsEEEE10hipError_tPvRmT2_T3_mT4_T5_T6_T7_T8_P12ihipStream_tbENKUlT_T0_E_clISt17integral_constantIbLb0EES12_IbLb1EEEEDaSY_SZ_EUlSY_E_NS1_11comp_targetILNS1_3genE9ELNS1_11target_archE1100ELNS1_3gpuE3ELNS1_3repE0EEENS1_30default_config_static_selectorELNS0_4arch9wavefront6targetE1EEEvT1_: ; @_ZN7rocprim17ROCPRIM_400000_NS6detail17trampoline_kernelINS0_14default_configENS1_29reduce_by_key_config_selectorIslN6thrust23THRUST_200600_302600_NS4plusIlEEEEZZNS1_33reduce_by_key_impl_wrapped_configILNS1_25lookback_scan_determinismE0ES3_S9_PsNS6_17constant_iteratorIiNS6_11use_defaultESE_EENS6_10device_ptrIsEENSG_IlEEPmS8_NS6_8equal_toIsEEEE10hipError_tPvRmT2_T3_mT4_T5_T6_T7_T8_P12ihipStream_tbENKUlT_T0_E_clISt17integral_constantIbLb0EES12_IbLb1EEEEDaSY_SZ_EUlSY_E_NS1_11comp_targetILNS1_3genE9ELNS1_11target_archE1100ELNS1_3gpuE3ELNS1_3repE0EEENS1_30default_config_static_selectorELNS0_4arch9wavefront6targetE1EEEvT1_
; %bb.0:
	.section	.rodata,"a",@progbits
	.p2align	6, 0x0
	.amdhsa_kernel _ZN7rocprim17ROCPRIM_400000_NS6detail17trampoline_kernelINS0_14default_configENS1_29reduce_by_key_config_selectorIslN6thrust23THRUST_200600_302600_NS4plusIlEEEEZZNS1_33reduce_by_key_impl_wrapped_configILNS1_25lookback_scan_determinismE0ES3_S9_PsNS6_17constant_iteratorIiNS6_11use_defaultESE_EENS6_10device_ptrIsEENSG_IlEEPmS8_NS6_8equal_toIsEEEE10hipError_tPvRmT2_T3_mT4_T5_T6_T7_T8_P12ihipStream_tbENKUlT_T0_E_clISt17integral_constantIbLb0EES12_IbLb1EEEEDaSY_SZ_EUlSY_E_NS1_11comp_targetILNS1_3genE9ELNS1_11target_archE1100ELNS1_3gpuE3ELNS1_3repE0EEENS1_30default_config_static_selectorELNS0_4arch9wavefront6targetE1EEEvT1_
		.amdhsa_group_segment_fixed_size 0
		.amdhsa_private_segment_fixed_size 0
		.amdhsa_kernarg_size 144
		.amdhsa_user_sgpr_count 6
		.amdhsa_user_sgpr_private_segment_buffer 1
		.amdhsa_user_sgpr_dispatch_ptr 0
		.amdhsa_user_sgpr_queue_ptr 0
		.amdhsa_user_sgpr_kernarg_segment_ptr 1
		.amdhsa_user_sgpr_dispatch_id 0
		.amdhsa_user_sgpr_flat_scratch_init 0
		.amdhsa_user_sgpr_kernarg_preload_length 0
		.amdhsa_user_sgpr_kernarg_preload_offset 0
		.amdhsa_user_sgpr_private_segment_size 0
		.amdhsa_uses_dynamic_stack 0
		.amdhsa_system_sgpr_private_segment_wavefront_offset 0
		.amdhsa_system_sgpr_workgroup_id_x 1
		.amdhsa_system_sgpr_workgroup_id_y 0
		.amdhsa_system_sgpr_workgroup_id_z 0
		.amdhsa_system_sgpr_workgroup_info 0
		.amdhsa_system_vgpr_workitem_id 0
		.amdhsa_next_free_vgpr 1
		.amdhsa_next_free_sgpr 0
		.amdhsa_accum_offset 4
		.amdhsa_reserve_vcc 0
		.amdhsa_reserve_flat_scratch 0
		.amdhsa_float_round_mode_32 0
		.amdhsa_float_round_mode_16_64 0
		.amdhsa_float_denorm_mode_32 3
		.amdhsa_float_denorm_mode_16_64 3
		.amdhsa_dx10_clamp 1
		.amdhsa_ieee_mode 1
		.amdhsa_fp16_overflow 0
		.amdhsa_tg_split 0
		.amdhsa_exception_fp_ieee_invalid_op 0
		.amdhsa_exception_fp_denorm_src 0
		.amdhsa_exception_fp_ieee_div_zero 0
		.amdhsa_exception_fp_ieee_overflow 0
		.amdhsa_exception_fp_ieee_underflow 0
		.amdhsa_exception_fp_ieee_inexact 0
		.amdhsa_exception_int_div_zero 0
	.end_amdhsa_kernel
	.section	.text._ZN7rocprim17ROCPRIM_400000_NS6detail17trampoline_kernelINS0_14default_configENS1_29reduce_by_key_config_selectorIslN6thrust23THRUST_200600_302600_NS4plusIlEEEEZZNS1_33reduce_by_key_impl_wrapped_configILNS1_25lookback_scan_determinismE0ES3_S9_PsNS6_17constant_iteratorIiNS6_11use_defaultESE_EENS6_10device_ptrIsEENSG_IlEEPmS8_NS6_8equal_toIsEEEE10hipError_tPvRmT2_T3_mT4_T5_T6_T7_T8_P12ihipStream_tbENKUlT_T0_E_clISt17integral_constantIbLb0EES12_IbLb1EEEEDaSY_SZ_EUlSY_E_NS1_11comp_targetILNS1_3genE9ELNS1_11target_archE1100ELNS1_3gpuE3ELNS1_3repE0EEENS1_30default_config_static_selectorELNS0_4arch9wavefront6targetE1EEEvT1_,"axG",@progbits,_ZN7rocprim17ROCPRIM_400000_NS6detail17trampoline_kernelINS0_14default_configENS1_29reduce_by_key_config_selectorIslN6thrust23THRUST_200600_302600_NS4plusIlEEEEZZNS1_33reduce_by_key_impl_wrapped_configILNS1_25lookback_scan_determinismE0ES3_S9_PsNS6_17constant_iteratorIiNS6_11use_defaultESE_EENS6_10device_ptrIsEENSG_IlEEPmS8_NS6_8equal_toIsEEEE10hipError_tPvRmT2_T3_mT4_T5_T6_T7_T8_P12ihipStream_tbENKUlT_T0_E_clISt17integral_constantIbLb0EES12_IbLb1EEEEDaSY_SZ_EUlSY_E_NS1_11comp_targetILNS1_3genE9ELNS1_11target_archE1100ELNS1_3gpuE3ELNS1_3repE0EEENS1_30default_config_static_selectorELNS0_4arch9wavefront6targetE1EEEvT1_,comdat
.Lfunc_end1504:
	.size	_ZN7rocprim17ROCPRIM_400000_NS6detail17trampoline_kernelINS0_14default_configENS1_29reduce_by_key_config_selectorIslN6thrust23THRUST_200600_302600_NS4plusIlEEEEZZNS1_33reduce_by_key_impl_wrapped_configILNS1_25lookback_scan_determinismE0ES3_S9_PsNS6_17constant_iteratorIiNS6_11use_defaultESE_EENS6_10device_ptrIsEENSG_IlEEPmS8_NS6_8equal_toIsEEEE10hipError_tPvRmT2_T3_mT4_T5_T6_T7_T8_P12ihipStream_tbENKUlT_T0_E_clISt17integral_constantIbLb0EES12_IbLb1EEEEDaSY_SZ_EUlSY_E_NS1_11comp_targetILNS1_3genE9ELNS1_11target_archE1100ELNS1_3gpuE3ELNS1_3repE0EEENS1_30default_config_static_selectorELNS0_4arch9wavefront6targetE1EEEvT1_, .Lfunc_end1504-_ZN7rocprim17ROCPRIM_400000_NS6detail17trampoline_kernelINS0_14default_configENS1_29reduce_by_key_config_selectorIslN6thrust23THRUST_200600_302600_NS4plusIlEEEEZZNS1_33reduce_by_key_impl_wrapped_configILNS1_25lookback_scan_determinismE0ES3_S9_PsNS6_17constant_iteratorIiNS6_11use_defaultESE_EENS6_10device_ptrIsEENSG_IlEEPmS8_NS6_8equal_toIsEEEE10hipError_tPvRmT2_T3_mT4_T5_T6_T7_T8_P12ihipStream_tbENKUlT_T0_E_clISt17integral_constantIbLb0EES12_IbLb1EEEEDaSY_SZ_EUlSY_E_NS1_11comp_targetILNS1_3genE9ELNS1_11target_archE1100ELNS1_3gpuE3ELNS1_3repE0EEENS1_30default_config_static_selectorELNS0_4arch9wavefront6targetE1EEEvT1_
                                        ; -- End function
	.section	.AMDGPU.csdata,"",@progbits
; Kernel info:
; codeLenInByte = 0
; NumSgprs: 4
; NumVgprs: 0
; NumAgprs: 0
; TotalNumVgprs: 0
; ScratchSize: 0
; MemoryBound: 0
; FloatMode: 240
; IeeeMode: 1
; LDSByteSize: 0 bytes/workgroup (compile time only)
; SGPRBlocks: 0
; VGPRBlocks: 0
; NumSGPRsForWavesPerEU: 4
; NumVGPRsForWavesPerEU: 1
; AccumOffset: 4
; Occupancy: 8
; WaveLimiterHint : 0
; COMPUTE_PGM_RSRC2:SCRATCH_EN: 0
; COMPUTE_PGM_RSRC2:USER_SGPR: 6
; COMPUTE_PGM_RSRC2:TRAP_HANDLER: 0
; COMPUTE_PGM_RSRC2:TGID_X_EN: 1
; COMPUTE_PGM_RSRC2:TGID_Y_EN: 0
; COMPUTE_PGM_RSRC2:TGID_Z_EN: 0
; COMPUTE_PGM_RSRC2:TIDIG_COMP_CNT: 0
; COMPUTE_PGM_RSRC3_GFX90A:ACCUM_OFFSET: 0
; COMPUTE_PGM_RSRC3_GFX90A:TG_SPLIT: 0
	.section	.text._ZN7rocprim17ROCPRIM_400000_NS6detail17trampoline_kernelINS0_14default_configENS1_29reduce_by_key_config_selectorIslN6thrust23THRUST_200600_302600_NS4plusIlEEEEZZNS1_33reduce_by_key_impl_wrapped_configILNS1_25lookback_scan_determinismE0ES3_S9_PsNS6_17constant_iteratorIiNS6_11use_defaultESE_EENS6_10device_ptrIsEENSG_IlEEPmS8_NS6_8equal_toIsEEEE10hipError_tPvRmT2_T3_mT4_T5_T6_T7_T8_P12ihipStream_tbENKUlT_T0_E_clISt17integral_constantIbLb0EES12_IbLb1EEEEDaSY_SZ_EUlSY_E_NS1_11comp_targetILNS1_3genE8ELNS1_11target_archE1030ELNS1_3gpuE2ELNS1_3repE0EEENS1_30default_config_static_selectorELNS0_4arch9wavefront6targetE1EEEvT1_,"axG",@progbits,_ZN7rocprim17ROCPRIM_400000_NS6detail17trampoline_kernelINS0_14default_configENS1_29reduce_by_key_config_selectorIslN6thrust23THRUST_200600_302600_NS4plusIlEEEEZZNS1_33reduce_by_key_impl_wrapped_configILNS1_25lookback_scan_determinismE0ES3_S9_PsNS6_17constant_iteratorIiNS6_11use_defaultESE_EENS6_10device_ptrIsEENSG_IlEEPmS8_NS6_8equal_toIsEEEE10hipError_tPvRmT2_T3_mT4_T5_T6_T7_T8_P12ihipStream_tbENKUlT_T0_E_clISt17integral_constantIbLb0EES12_IbLb1EEEEDaSY_SZ_EUlSY_E_NS1_11comp_targetILNS1_3genE8ELNS1_11target_archE1030ELNS1_3gpuE2ELNS1_3repE0EEENS1_30default_config_static_selectorELNS0_4arch9wavefront6targetE1EEEvT1_,comdat
	.protected	_ZN7rocprim17ROCPRIM_400000_NS6detail17trampoline_kernelINS0_14default_configENS1_29reduce_by_key_config_selectorIslN6thrust23THRUST_200600_302600_NS4plusIlEEEEZZNS1_33reduce_by_key_impl_wrapped_configILNS1_25lookback_scan_determinismE0ES3_S9_PsNS6_17constant_iteratorIiNS6_11use_defaultESE_EENS6_10device_ptrIsEENSG_IlEEPmS8_NS6_8equal_toIsEEEE10hipError_tPvRmT2_T3_mT4_T5_T6_T7_T8_P12ihipStream_tbENKUlT_T0_E_clISt17integral_constantIbLb0EES12_IbLb1EEEEDaSY_SZ_EUlSY_E_NS1_11comp_targetILNS1_3genE8ELNS1_11target_archE1030ELNS1_3gpuE2ELNS1_3repE0EEENS1_30default_config_static_selectorELNS0_4arch9wavefront6targetE1EEEvT1_ ; -- Begin function _ZN7rocprim17ROCPRIM_400000_NS6detail17trampoline_kernelINS0_14default_configENS1_29reduce_by_key_config_selectorIslN6thrust23THRUST_200600_302600_NS4plusIlEEEEZZNS1_33reduce_by_key_impl_wrapped_configILNS1_25lookback_scan_determinismE0ES3_S9_PsNS6_17constant_iteratorIiNS6_11use_defaultESE_EENS6_10device_ptrIsEENSG_IlEEPmS8_NS6_8equal_toIsEEEE10hipError_tPvRmT2_T3_mT4_T5_T6_T7_T8_P12ihipStream_tbENKUlT_T0_E_clISt17integral_constantIbLb0EES12_IbLb1EEEEDaSY_SZ_EUlSY_E_NS1_11comp_targetILNS1_3genE8ELNS1_11target_archE1030ELNS1_3gpuE2ELNS1_3repE0EEENS1_30default_config_static_selectorELNS0_4arch9wavefront6targetE1EEEvT1_
	.globl	_ZN7rocprim17ROCPRIM_400000_NS6detail17trampoline_kernelINS0_14default_configENS1_29reduce_by_key_config_selectorIslN6thrust23THRUST_200600_302600_NS4plusIlEEEEZZNS1_33reduce_by_key_impl_wrapped_configILNS1_25lookback_scan_determinismE0ES3_S9_PsNS6_17constant_iteratorIiNS6_11use_defaultESE_EENS6_10device_ptrIsEENSG_IlEEPmS8_NS6_8equal_toIsEEEE10hipError_tPvRmT2_T3_mT4_T5_T6_T7_T8_P12ihipStream_tbENKUlT_T0_E_clISt17integral_constantIbLb0EES12_IbLb1EEEEDaSY_SZ_EUlSY_E_NS1_11comp_targetILNS1_3genE8ELNS1_11target_archE1030ELNS1_3gpuE2ELNS1_3repE0EEENS1_30default_config_static_selectorELNS0_4arch9wavefront6targetE1EEEvT1_
	.p2align	8
	.type	_ZN7rocprim17ROCPRIM_400000_NS6detail17trampoline_kernelINS0_14default_configENS1_29reduce_by_key_config_selectorIslN6thrust23THRUST_200600_302600_NS4plusIlEEEEZZNS1_33reduce_by_key_impl_wrapped_configILNS1_25lookback_scan_determinismE0ES3_S9_PsNS6_17constant_iteratorIiNS6_11use_defaultESE_EENS6_10device_ptrIsEENSG_IlEEPmS8_NS6_8equal_toIsEEEE10hipError_tPvRmT2_T3_mT4_T5_T6_T7_T8_P12ihipStream_tbENKUlT_T0_E_clISt17integral_constantIbLb0EES12_IbLb1EEEEDaSY_SZ_EUlSY_E_NS1_11comp_targetILNS1_3genE8ELNS1_11target_archE1030ELNS1_3gpuE2ELNS1_3repE0EEENS1_30default_config_static_selectorELNS0_4arch9wavefront6targetE1EEEvT1_,@function
_ZN7rocprim17ROCPRIM_400000_NS6detail17trampoline_kernelINS0_14default_configENS1_29reduce_by_key_config_selectorIslN6thrust23THRUST_200600_302600_NS4plusIlEEEEZZNS1_33reduce_by_key_impl_wrapped_configILNS1_25lookback_scan_determinismE0ES3_S9_PsNS6_17constant_iteratorIiNS6_11use_defaultESE_EENS6_10device_ptrIsEENSG_IlEEPmS8_NS6_8equal_toIsEEEE10hipError_tPvRmT2_T3_mT4_T5_T6_T7_T8_P12ihipStream_tbENKUlT_T0_E_clISt17integral_constantIbLb0EES12_IbLb1EEEEDaSY_SZ_EUlSY_E_NS1_11comp_targetILNS1_3genE8ELNS1_11target_archE1030ELNS1_3gpuE2ELNS1_3repE0EEENS1_30default_config_static_selectorELNS0_4arch9wavefront6targetE1EEEvT1_: ; @_ZN7rocprim17ROCPRIM_400000_NS6detail17trampoline_kernelINS0_14default_configENS1_29reduce_by_key_config_selectorIslN6thrust23THRUST_200600_302600_NS4plusIlEEEEZZNS1_33reduce_by_key_impl_wrapped_configILNS1_25lookback_scan_determinismE0ES3_S9_PsNS6_17constant_iteratorIiNS6_11use_defaultESE_EENS6_10device_ptrIsEENSG_IlEEPmS8_NS6_8equal_toIsEEEE10hipError_tPvRmT2_T3_mT4_T5_T6_T7_T8_P12ihipStream_tbENKUlT_T0_E_clISt17integral_constantIbLb0EES12_IbLb1EEEEDaSY_SZ_EUlSY_E_NS1_11comp_targetILNS1_3genE8ELNS1_11target_archE1030ELNS1_3gpuE2ELNS1_3repE0EEENS1_30default_config_static_selectorELNS0_4arch9wavefront6targetE1EEEvT1_
; %bb.0:
	.section	.rodata,"a",@progbits
	.p2align	6, 0x0
	.amdhsa_kernel _ZN7rocprim17ROCPRIM_400000_NS6detail17trampoline_kernelINS0_14default_configENS1_29reduce_by_key_config_selectorIslN6thrust23THRUST_200600_302600_NS4plusIlEEEEZZNS1_33reduce_by_key_impl_wrapped_configILNS1_25lookback_scan_determinismE0ES3_S9_PsNS6_17constant_iteratorIiNS6_11use_defaultESE_EENS6_10device_ptrIsEENSG_IlEEPmS8_NS6_8equal_toIsEEEE10hipError_tPvRmT2_T3_mT4_T5_T6_T7_T8_P12ihipStream_tbENKUlT_T0_E_clISt17integral_constantIbLb0EES12_IbLb1EEEEDaSY_SZ_EUlSY_E_NS1_11comp_targetILNS1_3genE8ELNS1_11target_archE1030ELNS1_3gpuE2ELNS1_3repE0EEENS1_30default_config_static_selectorELNS0_4arch9wavefront6targetE1EEEvT1_
		.amdhsa_group_segment_fixed_size 0
		.amdhsa_private_segment_fixed_size 0
		.amdhsa_kernarg_size 144
		.amdhsa_user_sgpr_count 6
		.amdhsa_user_sgpr_private_segment_buffer 1
		.amdhsa_user_sgpr_dispatch_ptr 0
		.amdhsa_user_sgpr_queue_ptr 0
		.amdhsa_user_sgpr_kernarg_segment_ptr 1
		.amdhsa_user_sgpr_dispatch_id 0
		.amdhsa_user_sgpr_flat_scratch_init 0
		.amdhsa_user_sgpr_kernarg_preload_length 0
		.amdhsa_user_sgpr_kernarg_preload_offset 0
		.amdhsa_user_sgpr_private_segment_size 0
		.amdhsa_uses_dynamic_stack 0
		.amdhsa_system_sgpr_private_segment_wavefront_offset 0
		.amdhsa_system_sgpr_workgroup_id_x 1
		.amdhsa_system_sgpr_workgroup_id_y 0
		.amdhsa_system_sgpr_workgroup_id_z 0
		.amdhsa_system_sgpr_workgroup_info 0
		.amdhsa_system_vgpr_workitem_id 0
		.amdhsa_next_free_vgpr 1
		.amdhsa_next_free_sgpr 0
		.amdhsa_accum_offset 4
		.amdhsa_reserve_vcc 0
		.amdhsa_reserve_flat_scratch 0
		.amdhsa_float_round_mode_32 0
		.amdhsa_float_round_mode_16_64 0
		.amdhsa_float_denorm_mode_32 3
		.amdhsa_float_denorm_mode_16_64 3
		.amdhsa_dx10_clamp 1
		.amdhsa_ieee_mode 1
		.amdhsa_fp16_overflow 0
		.amdhsa_tg_split 0
		.amdhsa_exception_fp_ieee_invalid_op 0
		.amdhsa_exception_fp_denorm_src 0
		.amdhsa_exception_fp_ieee_div_zero 0
		.amdhsa_exception_fp_ieee_overflow 0
		.amdhsa_exception_fp_ieee_underflow 0
		.amdhsa_exception_fp_ieee_inexact 0
		.amdhsa_exception_int_div_zero 0
	.end_amdhsa_kernel
	.section	.text._ZN7rocprim17ROCPRIM_400000_NS6detail17trampoline_kernelINS0_14default_configENS1_29reduce_by_key_config_selectorIslN6thrust23THRUST_200600_302600_NS4plusIlEEEEZZNS1_33reduce_by_key_impl_wrapped_configILNS1_25lookback_scan_determinismE0ES3_S9_PsNS6_17constant_iteratorIiNS6_11use_defaultESE_EENS6_10device_ptrIsEENSG_IlEEPmS8_NS6_8equal_toIsEEEE10hipError_tPvRmT2_T3_mT4_T5_T6_T7_T8_P12ihipStream_tbENKUlT_T0_E_clISt17integral_constantIbLb0EES12_IbLb1EEEEDaSY_SZ_EUlSY_E_NS1_11comp_targetILNS1_3genE8ELNS1_11target_archE1030ELNS1_3gpuE2ELNS1_3repE0EEENS1_30default_config_static_selectorELNS0_4arch9wavefront6targetE1EEEvT1_,"axG",@progbits,_ZN7rocprim17ROCPRIM_400000_NS6detail17trampoline_kernelINS0_14default_configENS1_29reduce_by_key_config_selectorIslN6thrust23THRUST_200600_302600_NS4plusIlEEEEZZNS1_33reduce_by_key_impl_wrapped_configILNS1_25lookback_scan_determinismE0ES3_S9_PsNS6_17constant_iteratorIiNS6_11use_defaultESE_EENS6_10device_ptrIsEENSG_IlEEPmS8_NS6_8equal_toIsEEEE10hipError_tPvRmT2_T3_mT4_T5_T6_T7_T8_P12ihipStream_tbENKUlT_T0_E_clISt17integral_constantIbLb0EES12_IbLb1EEEEDaSY_SZ_EUlSY_E_NS1_11comp_targetILNS1_3genE8ELNS1_11target_archE1030ELNS1_3gpuE2ELNS1_3repE0EEENS1_30default_config_static_selectorELNS0_4arch9wavefront6targetE1EEEvT1_,comdat
.Lfunc_end1505:
	.size	_ZN7rocprim17ROCPRIM_400000_NS6detail17trampoline_kernelINS0_14default_configENS1_29reduce_by_key_config_selectorIslN6thrust23THRUST_200600_302600_NS4plusIlEEEEZZNS1_33reduce_by_key_impl_wrapped_configILNS1_25lookback_scan_determinismE0ES3_S9_PsNS6_17constant_iteratorIiNS6_11use_defaultESE_EENS6_10device_ptrIsEENSG_IlEEPmS8_NS6_8equal_toIsEEEE10hipError_tPvRmT2_T3_mT4_T5_T6_T7_T8_P12ihipStream_tbENKUlT_T0_E_clISt17integral_constantIbLb0EES12_IbLb1EEEEDaSY_SZ_EUlSY_E_NS1_11comp_targetILNS1_3genE8ELNS1_11target_archE1030ELNS1_3gpuE2ELNS1_3repE0EEENS1_30default_config_static_selectorELNS0_4arch9wavefront6targetE1EEEvT1_, .Lfunc_end1505-_ZN7rocprim17ROCPRIM_400000_NS6detail17trampoline_kernelINS0_14default_configENS1_29reduce_by_key_config_selectorIslN6thrust23THRUST_200600_302600_NS4plusIlEEEEZZNS1_33reduce_by_key_impl_wrapped_configILNS1_25lookback_scan_determinismE0ES3_S9_PsNS6_17constant_iteratorIiNS6_11use_defaultESE_EENS6_10device_ptrIsEENSG_IlEEPmS8_NS6_8equal_toIsEEEE10hipError_tPvRmT2_T3_mT4_T5_T6_T7_T8_P12ihipStream_tbENKUlT_T0_E_clISt17integral_constantIbLb0EES12_IbLb1EEEEDaSY_SZ_EUlSY_E_NS1_11comp_targetILNS1_3genE8ELNS1_11target_archE1030ELNS1_3gpuE2ELNS1_3repE0EEENS1_30default_config_static_selectorELNS0_4arch9wavefront6targetE1EEEvT1_
                                        ; -- End function
	.section	.AMDGPU.csdata,"",@progbits
; Kernel info:
; codeLenInByte = 0
; NumSgprs: 4
; NumVgprs: 0
; NumAgprs: 0
; TotalNumVgprs: 0
; ScratchSize: 0
; MemoryBound: 0
; FloatMode: 240
; IeeeMode: 1
; LDSByteSize: 0 bytes/workgroup (compile time only)
; SGPRBlocks: 0
; VGPRBlocks: 0
; NumSGPRsForWavesPerEU: 4
; NumVGPRsForWavesPerEU: 1
; AccumOffset: 4
; Occupancy: 8
; WaveLimiterHint : 0
; COMPUTE_PGM_RSRC2:SCRATCH_EN: 0
; COMPUTE_PGM_RSRC2:USER_SGPR: 6
; COMPUTE_PGM_RSRC2:TRAP_HANDLER: 0
; COMPUTE_PGM_RSRC2:TGID_X_EN: 1
; COMPUTE_PGM_RSRC2:TGID_Y_EN: 0
; COMPUTE_PGM_RSRC2:TGID_Z_EN: 0
; COMPUTE_PGM_RSRC2:TIDIG_COMP_CNT: 0
; COMPUTE_PGM_RSRC3_GFX90A:ACCUM_OFFSET: 0
; COMPUTE_PGM_RSRC3_GFX90A:TG_SPLIT: 0
	.section	.text._ZN7rocprim17ROCPRIM_400000_NS6detail17trampoline_kernelINS0_14default_configENS1_22reduce_config_selectorIN6thrust23THRUST_200600_302600_NS5tupleIblNS6_9null_typeES8_S8_S8_S8_S8_S8_S8_EEEEZNS1_11reduce_implILb1ES3_NS6_12zip_iteratorINS7_INS6_11hip_rocprim26transform_input_iterator_tIbPsNS6_6detail10functional5actorINSH_9compositeIJNSH_27transparent_binary_operatorINS6_8equal_toIvEEEENSI_INSH_8argumentILj0EEEEENSH_5valueIsEEEEEEEEENSD_19counting_iterator_tIlEES8_S8_S8_S8_S8_S8_S8_S8_EEEEPS9_S9_NSD_9__find_if7functorIS9_EEEE10hipError_tPvRmT1_T2_T3_mT4_P12ihipStream_tbEUlT_E0_NS1_11comp_targetILNS1_3genE0ELNS1_11target_archE4294967295ELNS1_3gpuE0ELNS1_3repE0EEENS1_30default_config_static_selectorELNS0_4arch9wavefront6targetE1EEEvS17_,"axG",@progbits,_ZN7rocprim17ROCPRIM_400000_NS6detail17trampoline_kernelINS0_14default_configENS1_22reduce_config_selectorIN6thrust23THRUST_200600_302600_NS5tupleIblNS6_9null_typeES8_S8_S8_S8_S8_S8_S8_EEEEZNS1_11reduce_implILb1ES3_NS6_12zip_iteratorINS7_INS6_11hip_rocprim26transform_input_iterator_tIbPsNS6_6detail10functional5actorINSH_9compositeIJNSH_27transparent_binary_operatorINS6_8equal_toIvEEEENSI_INSH_8argumentILj0EEEEENSH_5valueIsEEEEEEEEENSD_19counting_iterator_tIlEES8_S8_S8_S8_S8_S8_S8_S8_EEEEPS9_S9_NSD_9__find_if7functorIS9_EEEE10hipError_tPvRmT1_T2_T3_mT4_P12ihipStream_tbEUlT_E0_NS1_11comp_targetILNS1_3genE0ELNS1_11target_archE4294967295ELNS1_3gpuE0ELNS1_3repE0EEENS1_30default_config_static_selectorELNS0_4arch9wavefront6targetE1EEEvS17_,comdat
	.protected	_ZN7rocprim17ROCPRIM_400000_NS6detail17trampoline_kernelINS0_14default_configENS1_22reduce_config_selectorIN6thrust23THRUST_200600_302600_NS5tupleIblNS6_9null_typeES8_S8_S8_S8_S8_S8_S8_EEEEZNS1_11reduce_implILb1ES3_NS6_12zip_iteratorINS7_INS6_11hip_rocprim26transform_input_iterator_tIbPsNS6_6detail10functional5actorINSH_9compositeIJNSH_27transparent_binary_operatorINS6_8equal_toIvEEEENSI_INSH_8argumentILj0EEEEENSH_5valueIsEEEEEEEEENSD_19counting_iterator_tIlEES8_S8_S8_S8_S8_S8_S8_S8_EEEEPS9_S9_NSD_9__find_if7functorIS9_EEEE10hipError_tPvRmT1_T2_T3_mT4_P12ihipStream_tbEUlT_E0_NS1_11comp_targetILNS1_3genE0ELNS1_11target_archE4294967295ELNS1_3gpuE0ELNS1_3repE0EEENS1_30default_config_static_selectorELNS0_4arch9wavefront6targetE1EEEvS17_ ; -- Begin function _ZN7rocprim17ROCPRIM_400000_NS6detail17trampoline_kernelINS0_14default_configENS1_22reduce_config_selectorIN6thrust23THRUST_200600_302600_NS5tupleIblNS6_9null_typeES8_S8_S8_S8_S8_S8_S8_EEEEZNS1_11reduce_implILb1ES3_NS6_12zip_iteratorINS7_INS6_11hip_rocprim26transform_input_iterator_tIbPsNS6_6detail10functional5actorINSH_9compositeIJNSH_27transparent_binary_operatorINS6_8equal_toIvEEEENSI_INSH_8argumentILj0EEEEENSH_5valueIsEEEEEEEEENSD_19counting_iterator_tIlEES8_S8_S8_S8_S8_S8_S8_S8_EEEEPS9_S9_NSD_9__find_if7functorIS9_EEEE10hipError_tPvRmT1_T2_T3_mT4_P12ihipStream_tbEUlT_E0_NS1_11comp_targetILNS1_3genE0ELNS1_11target_archE4294967295ELNS1_3gpuE0ELNS1_3repE0EEENS1_30default_config_static_selectorELNS0_4arch9wavefront6targetE1EEEvS17_
	.globl	_ZN7rocprim17ROCPRIM_400000_NS6detail17trampoline_kernelINS0_14default_configENS1_22reduce_config_selectorIN6thrust23THRUST_200600_302600_NS5tupleIblNS6_9null_typeES8_S8_S8_S8_S8_S8_S8_EEEEZNS1_11reduce_implILb1ES3_NS6_12zip_iteratorINS7_INS6_11hip_rocprim26transform_input_iterator_tIbPsNS6_6detail10functional5actorINSH_9compositeIJNSH_27transparent_binary_operatorINS6_8equal_toIvEEEENSI_INSH_8argumentILj0EEEEENSH_5valueIsEEEEEEEEENSD_19counting_iterator_tIlEES8_S8_S8_S8_S8_S8_S8_S8_EEEEPS9_S9_NSD_9__find_if7functorIS9_EEEE10hipError_tPvRmT1_T2_T3_mT4_P12ihipStream_tbEUlT_E0_NS1_11comp_targetILNS1_3genE0ELNS1_11target_archE4294967295ELNS1_3gpuE0ELNS1_3repE0EEENS1_30default_config_static_selectorELNS0_4arch9wavefront6targetE1EEEvS17_
	.p2align	8
	.type	_ZN7rocprim17ROCPRIM_400000_NS6detail17trampoline_kernelINS0_14default_configENS1_22reduce_config_selectorIN6thrust23THRUST_200600_302600_NS5tupleIblNS6_9null_typeES8_S8_S8_S8_S8_S8_S8_EEEEZNS1_11reduce_implILb1ES3_NS6_12zip_iteratorINS7_INS6_11hip_rocprim26transform_input_iterator_tIbPsNS6_6detail10functional5actorINSH_9compositeIJNSH_27transparent_binary_operatorINS6_8equal_toIvEEEENSI_INSH_8argumentILj0EEEEENSH_5valueIsEEEEEEEEENSD_19counting_iterator_tIlEES8_S8_S8_S8_S8_S8_S8_S8_EEEEPS9_S9_NSD_9__find_if7functorIS9_EEEE10hipError_tPvRmT1_T2_T3_mT4_P12ihipStream_tbEUlT_E0_NS1_11comp_targetILNS1_3genE0ELNS1_11target_archE4294967295ELNS1_3gpuE0ELNS1_3repE0EEENS1_30default_config_static_selectorELNS0_4arch9wavefront6targetE1EEEvS17_,@function
_ZN7rocprim17ROCPRIM_400000_NS6detail17trampoline_kernelINS0_14default_configENS1_22reduce_config_selectorIN6thrust23THRUST_200600_302600_NS5tupleIblNS6_9null_typeES8_S8_S8_S8_S8_S8_S8_EEEEZNS1_11reduce_implILb1ES3_NS6_12zip_iteratorINS7_INS6_11hip_rocprim26transform_input_iterator_tIbPsNS6_6detail10functional5actorINSH_9compositeIJNSH_27transparent_binary_operatorINS6_8equal_toIvEEEENSI_INSH_8argumentILj0EEEEENSH_5valueIsEEEEEEEEENSD_19counting_iterator_tIlEES8_S8_S8_S8_S8_S8_S8_S8_EEEEPS9_S9_NSD_9__find_if7functorIS9_EEEE10hipError_tPvRmT1_T2_T3_mT4_P12ihipStream_tbEUlT_E0_NS1_11comp_targetILNS1_3genE0ELNS1_11target_archE4294967295ELNS1_3gpuE0ELNS1_3repE0EEENS1_30default_config_static_selectorELNS0_4arch9wavefront6targetE1EEEvS17_: ; @_ZN7rocprim17ROCPRIM_400000_NS6detail17trampoline_kernelINS0_14default_configENS1_22reduce_config_selectorIN6thrust23THRUST_200600_302600_NS5tupleIblNS6_9null_typeES8_S8_S8_S8_S8_S8_S8_EEEEZNS1_11reduce_implILb1ES3_NS6_12zip_iteratorINS7_INS6_11hip_rocprim26transform_input_iterator_tIbPsNS6_6detail10functional5actorINSH_9compositeIJNSH_27transparent_binary_operatorINS6_8equal_toIvEEEENSI_INSH_8argumentILj0EEEEENSH_5valueIsEEEEEEEEENSD_19counting_iterator_tIlEES8_S8_S8_S8_S8_S8_S8_S8_EEEEPS9_S9_NSD_9__find_if7functorIS9_EEEE10hipError_tPvRmT1_T2_T3_mT4_P12ihipStream_tbEUlT_E0_NS1_11comp_targetILNS1_3genE0ELNS1_11target_archE4294967295ELNS1_3gpuE0ELNS1_3repE0EEENS1_30default_config_static_selectorELNS0_4arch9wavefront6targetE1EEEvS17_
; %bb.0:
	.section	.rodata,"a",@progbits
	.p2align	6, 0x0
	.amdhsa_kernel _ZN7rocprim17ROCPRIM_400000_NS6detail17trampoline_kernelINS0_14default_configENS1_22reduce_config_selectorIN6thrust23THRUST_200600_302600_NS5tupleIblNS6_9null_typeES8_S8_S8_S8_S8_S8_S8_EEEEZNS1_11reduce_implILb1ES3_NS6_12zip_iteratorINS7_INS6_11hip_rocprim26transform_input_iterator_tIbPsNS6_6detail10functional5actorINSH_9compositeIJNSH_27transparent_binary_operatorINS6_8equal_toIvEEEENSI_INSH_8argumentILj0EEEEENSH_5valueIsEEEEEEEEENSD_19counting_iterator_tIlEES8_S8_S8_S8_S8_S8_S8_S8_EEEEPS9_S9_NSD_9__find_if7functorIS9_EEEE10hipError_tPvRmT1_T2_T3_mT4_P12ihipStream_tbEUlT_E0_NS1_11comp_targetILNS1_3genE0ELNS1_11target_archE4294967295ELNS1_3gpuE0ELNS1_3repE0EEENS1_30default_config_static_selectorELNS0_4arch9wavefront6targetE1EEEvS17_
		.amdhsa_group_segment_fixed_size 0
		.amdhsa_private_segment_fixed_size 0
		.amdhsa_kernarg_size 88
		.amdhsa_user_sgpr_count 6
		.amdhsa_user_sgpr_private_segment_buffer 1
		.amdhsa_user_sgpr_dispatch_ptr 0
		.amdhsa_user_sgpr_queue_ptr 0
		.amdhsa_user_sgpr_kernarg_segment_ptr 1
		.amdhsa_user_sgpr_dispatch_id 0
		.amdhsa_user_sgpr_flat_scratch_init 0
		.amdhsa_user_sgpr_kernarg_preload_length 0
		.amdhsa_user_sgpr_kernarg_preload_offset 0
		.amdhsa_user_sgpr_private_segment_size 0
		.amdhsa_uses_dynamic_stack 0
		.amdhsa_system_sgpr_private_segment_wavefront_offset 0
		.amdhsa_system_sgpr_workgroup_id_x 1
		.amdhsa_system_sgpr_workgroup_id_y 0
		.amdhsa_system_sgpr_workgroup_id_z 0
		.amdhsa_system_sgpr_workgroup_info 0
		.amdhsa_system_vgpr_workitem_id 0
		.amdhsa_next_free_vgpr 1
		.amdhsa_next_free_sgpr 0
		.amdhsa_accum_offset 4
		.amdhsa_reserve_vcc 0
		.amdhsa_reserve_flat_scratch 0
		.amdhsa_float_round_mode_32 0
		.amdhsa_float_round_mode_16_64 0
		.amdhsa_float_denorm_mode_32 3
		.amdhsa_float_denorm_mode_16_64 3
		.amdhsa_dx10_clamp 1
		.amdhsa_ieee_mode 1
		.amdhsa_fp16_overflow 0
		.amdhsa_tg_split 0
		.amdhsa_exception_fp_ieee_invalid_op 0
		.amdhsa_exception_fp_denorm_src 0
		.amdhsa_exception_fp_ieee_div_zero 0
		.amdhsa_exception_fp_ieee_overflow 0
		.amdhsa_exception_fp_ieee_underflow 0
		.amdhsa_exception_fp_ieee_inexact 0
		.amdhsa_exception_int_div_zero 0
	.end_amdhsa_kernel
	.section	.text._ZN7rocprim17ROCPRIM_400000_NS6detail17trampoline_kernelINS0_14default_configENS1_22reduce_config_selectorIN6thrust23THRUST_200600_302600_NS5tupleIblNS6_9null_typeES8_S8_S8_S8_S8_S8_S8_EEEEZNS1_11reduce_implILb1ES3_NS6_12zip_iteratorINS7_INS6_11hip_rocprim26transform_input_iterator_tIbPsNS6_6detail10functional5actorINSH_9compositeIJNSH_27transparent_binary_operatorINS6_8equal_toIvEEEENSI_INSH_8argumentILj0EEEEENSH_5valueIsEEEEEEEEENSD_19counting_iterator_tIlEES8_S8_S8_S8_S8_S8_S8_S8_EEEEPS9_S9_NSD_9__find_if7functorIS9_EEEE10hipError_tPvRmT1_T2_T3_mT4_P12ihipStream_tbEUlT_E0_NS1_11comp_targetILNS1_3genE0ELNS1_11target_archE4294967295ELNS1_3gpuE0ELNS1_3repE0EEENS1_30default_config_static_selectorELNS0_4arch9wavefront6targetE1EEEvS17_,"axG",@progbits,_ZN7rocprim17ROCPRIM_400000_NS6detail17trampoline_kernelINS0_14default_configENS1_22reduce_config_selectorIN6thrust23THRUST_200600_302600_NS5tupleIblNS6_9null_typeES8_S8_S8_S8_S8_S8_S8_EEEEZNS1_11reduce_implILb1ES3_NS6_12zip_iteratorINS7_INS6_11hip_rocprim26transform_input_iterator_tIbPsNS6_6detail10functional5actorINSH_9compositeIJNSH_27transparent_binary_operatorINS6_8equal_toIvEEEENSI_INSH_8argumentILj0EEEEENSH_5valueIsEEEEEEEEENSD_19counting_iterator_tIlEES8_S8_S8_S8_S8_S8_S8_S8_EEEEPS9_S9_NSD_9__find_if7functorIS9_EEEE10hipError_tPvRmT1_T2_T3_mT4_P12ihipStream_tbEUlT_E0_NS1_11comp_targetILNS1_3genE0ELNS1_11target_archE4294967295ELNS1_3gpuE0ELNS1_3repE0EEENS1_30default_config_static_selectorELNS0_4arch9wavefront6targetE1EEEvS17_,comdat
.Lfunc_end1506:
	.size	_ZN7rocprim17ROCPRIM_400000_NS6detail17trampoline_kernelINS0_14default_configENS1_22reduce_config_selectorIN6thrust23THRUST_200600_302600_NS5tupleIblNS6_9null_typeES8_S8_S8_S8_S8_S8_S8_EEEEZNS1_11reduce_implILb1ES3_NS6_12zip_iteratorINS7_INS6_11hip_rocprim26transform_input_iterator_tIbPsNS6_6detail10functional5actorINSH_9compositeIJNSH_27transparent_binary_operatorINS6_8equal_toIvEEEENSI_INSH_8argumentILj0EEEEENSH_5valueIsEEEEEEEEENSD_19counting_iterator_tIlEES8_S8_S8_S8_S8_S8_S8_S8_EEEEPS9_S9_NSD_9__find_if7functorIS9_EEEE10hipError_tPvRmT1_T2_T3_mT4_P12ihipStream_tbEUlT_E0_NS1_11comp_targetILNS1_3genE0ELNS1_11target_archE4294967295ELNS1_3gpuE0ELNS1_3repE0EEENS1_30default_config_static_selectorELNS0_4arch9wavefront6targetE1EEEvS17_, .Lfunc_end1506-_ZN7rocprim17ROCPRIM_400000_NS6detail17trampoline_kernelINS0_14default_configENS1_22reduce_config_selectorIN6thrust23THRUST_200600_302600_NS5tupleIblNS6_9null_typeES8_S8_S8_S8_S8_S8_S8_EEEEZNS1_11reduce_implILb1ES3_NS6_12zip_iteratorINS7_INS6_11hip_rocprim26transform_input_iterator_tIbPsNS6_6detail10functional5actorINSH_9compositeIJNSH_27transparent_binary_operatorINS6_8equal_toIvEEEENSI_INSH_8argumentILj0EEEEENSH_5valueIsEEEEEEEEENSD_19counting_iterator_tIlEES8_S8_S8_S8_S8_S8_S8_S8_EEEEPS9_S9_NSD_9__find_if7functorIS9_EEEE10hipError_tPvRmT1_T2_T3_mT4_P12ihipStream_tbEUlT_E0_NS1_11comp_targetILNS1_3genE0ELNS1_11target_archE4294967295ELNS1_3gpuE0ELNS1_3repE0EEENS1_30default_config_static_selectorELNS0_4arch9wavefront6targetE1EEEvS17_
                                        ; -- End function
	.section	.AMDGPU.csdata,"",@progbits
; Kernel info:
; codeLenInByte = 0
; NumSgprs: 4
; NumVgprs: 0
; NumAgprs: 0
; TotalNumVgprs: 0
; ScratchSize: 0
; MemoryBound: 0
; FloatMode: 240
; IeeeMode: 1
; LDSByteSize: 0 bytes/workgroup (compile time only)
; SGPRBlocks: 0
; VGPRBlocks: 0
; NumSGPRsForWavesPerEU: 4
; NumVGPRsForWavesPerEU: 1
; AccumOffset: 4
; Occupancy: 8
; WaveLimiterHint : 0
; COMPUTE_PGM_RSRC2:SCRATCH_EN: 0
; COMPUTE_PGM_RSRC2:USER_SGPR: 6
; COMPUTE_PGM_RSRC2:TRAP_HANDLER: 0
; COMPUTE_PGM_RSRC2:TGID_X_EN: 1
; COMPUTE_PGM_RSRC2:TGID_Y_EN: 0
; COMPUTE_PGM_RSRC2:TGID_Z_EN: 0
; COMPUTE_PGM_RSRC2:TIDIG_COMP_CNT: 0
; COMPUTE_PGM_RSRC3_GFX90A:ACCUM_OFFSET: 0
; COMPUTE_PGM_RSRC3_GFX90A:TG_SPLIT: 0
	.section	.text._ZN7rocprim17ROCPRIM_400000_NS6detail17trampoline_kernelINS0_14default_configENS1_22reduce_config_selectorIN6thrust23THRUST_200600_302600_NS5tupleIblNS6_9null_typeES8_S8_S8_S8_S8_S8_S8_EEEEZNS1_11reduce_implILb1ES3_NS6_12zip_iteratorINS7_INS6_11hip_rocprim26transform_input_iterator_tIbPsNS6_6detail10functional5actorINSH_9compositeIJNSH_27transparent_binary_operatorINS6_8equal_toIvEEEENSI_INSH_8argumentILj0EEEEENSH_5valueIsEEEEEEEEENSD_19counting_iterator_tIlEES8_S8_S8_S8_S8_S8_S8_S8_EEEEPS9_S9_NSD_9__find_if7functorIS9_EEEE10hipError_tPvRmT1_T2_T3_mT4_P12ihipStream_tbEUlT_E0_NS1_11comp_targetILNS1_3genE5ELNS1_11target_archE942ELNS1_3gpuE9ELNS1_3repE0EEENS1_30default_config_static_selectorELNS0_4arch9wavefront6targetE1EEEvS17_,"axG",@progbits,_ZN7rocprim17ROCPRIM_400000_NS6detail17trampoline_kernelINS0_14default_configENS1_22reduce_config_selectorIN6thrust23THRUST_200600_302600_NS5tupleIblNS6_9null_typeES8_S8_S8_S8_S8_S8_S8_EEEEZNS1_11reduce_implILb1ES3_NS6_12zip_iteratorINS7_INS6_11hip_rocprim26transform_input_iterator_tIbPsNS6_6detail10functional5actorINSH_9compositeIJNSH_27transparent_binary_operatorINS6_8equal_toIvEEEENSI_INSH_8argumentILj0EEEEENSH_5valueIsEEEEEEEEENSD_19counting_iterator_tIlEES8_S8_S8_S8_S8_S8_S8_S8_EEEEPS9_S9_NSD_9__find_if7functorIS9_EEEE10hipError_tPvRmT1_T2_T3_mT4_P12ihipStream_tbEUlT_E0_NS1_11comp_targetILNS1_3genE5ELNS1_11target_archE942ELNS1_3gpuE9ELNS1_3repE0EEENS1_30default_config_static_selectorELNS0_4arch9wavefront6targetE1EEEvS17_,comdat
	.protected	_ZN7rocprim17ROCPRIM_400000_NS6detail17trampoline_kernelINS0_14default_configENS1_22reduce_config_selectorIN6thrust23THRUST_200600_302600_NS5tupleIblNS6_9null_typeES8_S8_S8_S8_S8_S8_S8_EEEEZNS1_11reduce_implILb1ES3_NS6_12zip_iteratorINS7_INS6_11hip_rocprim26transform_input_iterator_tIbPsNS6_6detail10functional5actorINSH_9compositeIJNSH_27transparent_binary_operatorINS6_8equal_toIvEEEENSI_INSH_8argumentILj0EEEEENSH_5valueIsEEEEEEEEENSD_19counting_iterator_tIlEES8_S8_S8_S8_S8_S8_S8_S8_EEEEPS9_S9_NSD_9__find_if7functorIS9_EEEE10hipError_tPvRmT1_T2_T3_mT4_P12ihipStream_tbEUlT_E0_NS1_11comp_targetILNS1_3genE5ELNS1_11target_archE942ELNS1_3gpuE9ELNS1_3repE0EEENS1_30default_config_static_selectorELNS0_4arch9wavefront6targetE1EEEvS17_ ; -- Begin function _ZN7rocprim17ROCPRIM_400000_NS6detail17trampoline_kernelINS0_14default_configENS1_22reduce_config_selectorIN6thrust23THRUST_200600_302600_NS5tupleIblNS6_9null_typeES8_S8_S8_S8_S8_S8_S8_EEEEZNS1_11reduce_implILb1ES3_NS6_12zip_iteratorINS7_INS6_11hip_rocprim26transform_input_iterator_tIbPsNS6_6detail10functional5actorINSH_9compositeIJNSH_27transparent_binary_operatorINS6_8equal_toIvEEEENSI_INSH_8argumentILj0EEEEENSH_5valueIsEEEEEEEEENSD_19counting_iterator_tIlEES8_S8_S8_S8_S8_S8_S8_S8_EEEEPS9_S9_NSD_9__find_if7functorIS9_EEEE10hipError_tPvRmT1_T2_T3_mT4_P12ihipStream_tbEUlT_E0_NS1_11comp_targetILNS1_3genE5ELNS1_11target_archE942ELNS1_3gpuE9ELNS1_3repE0EEENS1_30default_config_static_selectorELNS0_4arch9wavefront6targetE1EEEvS17_
	.globl	_ZN7rocprim17ROCPRIM_400000_NS6detail17trampoline_kernelINS0_14default_configENS1_22reduce_config_selectorIN6thrust23THRUST_200600_302600_NS5tupleIblNS6_9null_typeES8_S8_S8_S8_S8_S8_S8_EEEEZNS1_11reduce_implILb1ES3_NS6_12zip_iteratorINS7_INS6_11hip_rocprim26transform_input_iterator_tIbPsNS6_6detail10functional5actorINSH_9compositeIJNSH_27transparent_binary_operatorINS6_8equal_toIvEEEENSI_INSH_8argumentILj0EEEEENSH_5valueIsEEEEEEEEENSD_19counting_iterator_tIlEES8_S8_S8_S8_S8_S8_S8_S8_EEEEPS9_S9_NSD_9__find_if7functorIS9_EEEE10hipError_tPvRmT1_T2_T3_mT4_P12ihipStream_tbEUlT_E0_NS1_11comp_targetILNS1_3genE5ELNS1_11target_archE942ELNS1_3gpuE9ELNS1_3repE0EEENS1_30default_config_static_selectorELNS0_4arch9wavefront6targetE1EEEvS17_
	.p2align	8
	.type	_ZN7rocprim17ROCPRIM_400000_NS6detail17trampoline_kernelINS0_14default_configENS1_22reduce_config_selectorIN6thrust23THRUST_200600_302600_NS5tupleIblNS6_9null_typeES8_S8_S8_S8_S8_S8_S8_EEEEZNS1_11reduce_implILb1ES3_NS6_12zip_iteratorINS7_INS6_11hip_rocprim26transform_input_iterator_tIbPsNS6_6detail10functional5actorINSH_9compositeIJNSH_27transparent_binary_operatorINS6_8equal_toIvEEEENSI_INSH_8argumentILj0EEEEENSH_5valueIsEEEEEEEEENSD_19counting_iterator_tIlEES8_S8_S8_S8_S8_S8_S8_S8_EEEEPS9_S9_NSD_9__find_if7functorIS9_EEEE10hipError_tPvRmT1_T2_T3_mT4_P12ihipStream_tbEUlT_E0_NS1_11comp_targetILNS1_3genE5ELNS1_11target_archE942ELNS1_3gpuE9ELNS1_3repE0EEENS1_30default_config_static_selectorELNS0_4arch9wavefront6targetE1EEEvS17_,@function
_ZN7rocprim17ROCPRIM_400000_NS6detail17trampoline_kernelINS0_14default_configENS1_22reduce_config_selectorIN6thrust23THRUST_200600_302600_NS5tupleIblNS6_9null_typeES8_S8_S8_S8_S8_S8_S8_EEEEZNS1_11reduce_implILb1ES3_NS6_12zip_iteratorINS7_INS6_11hip_rocprim26transform_input_iterator_tIbPsNS6_6detail10functional5actorINSH_9compositeIJNSH_27transparent_binary_operatorINS6_8equal_toIvEEEENSI_INSH_8argumentILj0EEEEENSH_5valueIsEEEEEEEEENSD_19counting_iterator_tIlEES8_S8_S8_S8_S8_S8_S8_S8_EEEEPS9_S9_NSD_9__find_if7functorIS9_EEEE10hipError_tPvRmT1_T2_T3_mT4_P12ihipStream_tbEUlT_E0_NS1_11comp_targetILNS1_3genE5ELNS1_11target_archE942ELNS1_3gpuE9ELNS1_3repE0EEENS1_30default_config_static_selectorELNS0_4arch9wavefront6targetE1EEEvS17_: ; @_ZN7rocprim17ROCPRIM_400000_NS6detail17trampoline_kernelINS0_14default_configENS1_22reduce_config_selectorIN6thrust23THRUST_200600_302600_NS5tupleIblNS6_9null_typeES8_S8_S8_S8_S8_S8_S8_EEEEZNS1_11reduce_implILb1ES3_NS6_12zip_iteratorINS7_INS6_11hip_rocprim26transform_input_iterator_tIbPsNS6_6detail10functional5actorINSH_9compositeIJNSH_27transparent_binary_operatorINS6_8equal_toIvEEEENSI_INSH_8argumentILj0EEEEENSH_5valueIsEEEEEEEEENSD_19counting_iterator_tIlEES8_S8_S8_S8_S8_S8_S8_S8_EEEEPS9_S9_NSD_9__find_if7functorIS9_EEEE10hipError_tPvRmT1_T2_T3_mT4_P12ihipStream_tbEUlT_E0_NS1_11comp_targetILNS1_3genE5ELNS1_11target_archE942ELNS1_3gpuE9ELNS1_3repE0EEENS1_30default_config_static_selectorELNS0_4arch9wavefront6targetE1EEEvS17_
; %bb.0:
	.section	.rodata,"a",@progbits
	.p2align	6, 0x0
	.amdhsa_kernel _ZN7rocprim17ROCPRIM_400000_NS6detail17trampoline_kernelINS0_14default_configENS1_22reduce_config_selectorIN6thrust23THRUST_200600_302600_NS5tupleIblNS6_9null_typeES8_S8_S8_S8_S8_S8_S8_EEEEZNS1_11reduce_implILb1ES3_NS6_12zip_iteratorINS7_INS6_11hip_rocprim26transform_input_iterator_tIbPsNS6_6detail10functional5actorINSH_9compositeIJNSH_27transparent_binary_operatorINS6_8equal_toIvEEEENSI_INSH_8argumentILj0EEEEENSH_5valueIsEEEEEEEEENSD_19counting_iterator_tIlEES8_S8_S8_S8_S8_S8_S8_S8_EEEEPS9_S9_NSD_9__find_if7functorIS9_EEEE10hipError_tPvRmT1_T2_T3_mT4_P12ihipStream_tbEUlT_E0_NS1_11comp_targetILNS1_3genE5ELNS1_11target_archE942ELNS1_3gpuE9ELNS1_3repE0EEENS1_30default_config_static_selectorELNS0_4arch9wavefront6targetE1EEEvS17_
		.amdhsa_group_segment_fixed_size 0
		.amdhsa_private_segment_fixed_size 0
		.amdhsa_kernarg_size 88
		.amdhsa_user_sgpr_count 6
		.amdhsa_user_sgpr_private_segment_buffer 1
		.amdhsa_user_sgpr_dispatch_ptr 0
		.amdhsa_user_sgpr_queue_ptr 0
		.amdhsa_user_sgpr_kernarg_segment_ptr 1
		.amdhsa_user_sgpr_dispatch_id 0
		.amdhsa_user_sgpr_flat_scratch_init 0
		.amdhsa_user_sgpr_kernarg_preload_length 0
		.amdhsa_user_sgpr_kernarg_preload_offset 0
		.amdhsa_user_sgpr_private_segment_size 0
		.amdhsa_uses_dynamic_stack 0
		.amdhsa_system_sgpr_private_segment_wavefront_offset 0
		.amdhsa_system_sgpr_workgroup_id_x 1
		.amdhsa_system_sgpr_workgroup_id_y 0
		.amdhsa_system_sgpr_workgroup_id_z 0
		.amdhsa_system_sgpr_workgroup_info 0
		.amdhsa_system_vgpr_workitem_id 0
		.amdhsa_next_free_vgpr 1
		.amdhsa_next_free_sgpr 0
		.amdhsa_accum_offset 4
		.amdhsa_reserve_vcc 0
		.amdhsa_reserve_flat_scratch 0
		.amdhsa_float_round_mode_32 0
		.amdhsa_float_round_mode_16_64 0
		.amdhsa_float_denorm_mode_32 3
		.amdhsa_float_denorm_mode_16_64 3
		.amdhsa_dx10_clamp 1
		.amdhsa_ieee_mode 1
		.amdhsa_fp16_overflow 0
		.amdhsa_tg_split 0
		.amdhsa_exception_fp_ieee_invalid_op 0
		.amdhsa_exception_fp_denorm_src 0
		.amdhsa_exception_fp_ieee_div_zero 0
		.amdhsa_exception_fp_ieee_overflow 0
		.amdhsa_exception_fp_ieee_underflow 0
		.amdhsa_exception_fp_ieee_inexact 0
		.amdhsa_exception_int_div_zero 0
	.end_amdhsa_kernel
	.section	.text._ZN7rocprim17ROCPRIM_400000_NS6detail17trampoline_kernelINS0_14default_configENS1_22reduce_config_selectorIN6thrust23THRUST_200600_302600_NS5tupleIblNS6_9null_typeES8_S8_S8_S8_S8_S8_S8_EEEEZNS1_11reduce_implILb1ES3_NS6_12zip_iteratorINS7_INS6_11hip_rocprim26transform_input_iterator_tIbPsNS6_6detail10functional5actorINSH_9compositeIJNSH_27transparent_binary_operatorINS6_8equal_toIvEEEENSI_INSH_8argumentILj0EEEEENSH_5valueIsEEEEEEEEENSD_19counting_iterator_tIlEES8_S8_S8_S8_S8_S8_S8_S8_EEEEPS9_S9_NSD_9__find_if7functorIS9_EEEE10hipError_tPvRmT1_T2_T3_mT4_P12ihipStream_tbEUlT_E0_NS1_11comp_targetILNS1_3genE5ELNS1_11target_archE942ELNS1_3gpuE9ELNS1_3repE0EEENS1_30default_config_static_selectorELNS0_4arch9wavefront6targetE1EEEvS17_,"axG",@progbits,_ZN7rocprim17ROCPRIM_400000_NS6detail17trampoline_kernelINS0_14default_configENS1_22reduce_config_selectorIN6thrust23THRUST_200600_302600_NS5tupleIblNS6_9null_typeES8_S8_S8_S8_S8_S8_S8_EEEEZNS1_11reduce_implILb1ES3_NS6_12zip_iteratorINS7_INS6_11hip_rocprim26transform_input_iterator_tIbPsNS6_6detail10functional5actorINSH_9compositeIJNSH_27transparent_binary_operatorINS6_8equal_toIvEEEENSI_INSH_8argumentILj0EEEEENSH_5valueIsEEEEEEEEENSD_19counting_iterator_tIlEES8_S8_S8_S8_S8_S8_S8_S8_EEEEPS9_S9_NSD_9__find_if7functorIS9_EEEE10hipError_tPvRmT1_T2_T3_mT4_P12ihipStream_tbEUlT_E0_NS1_11comp_targetILNS1_3genE5ELNS1_11target_archE942ELNS1_3gpuE9ELNS1_3repE0EEENS1_30default_config_static_selectorELNS0_4arch9wavefront6targetE1EEEvS17_,comdat
.Lfunc_end1507:
	.size	_ZN7rocprim17ROCPRIM_400000_NS6detail17trampoline_kernelINS0_14default_configENS1_22reduce_config_selectorIN6thrust23THRUST_200600_302600_NS5tupleIblNS6_9null_typeES8_S8_S8_S8_S8_S8_S8_EEEEZNS1_11reduce_implILb1ES3_NS6_12zip_iteratorINS7_INS6_11hip_rocprim26transform_input_iterator_tIbPsNS6_6detail10functional5actorINSH_9compositeIJNSH_27transparent_binary_operatorINS6_8equal_toIvEEEENSI_INSH_8argumentILj0EEEEENSH_5valueIsEEEEEEEEENSD_19counting_iterator_tIlEES8_S8_S8_S8_S8_S8_S8_S8_EEEEPS9_S9_NSD_9__find_if7functorIS9_EEEE10hipError_tPvRmT1_T2_T3_mT4_P12ihipStream_tbEUlT_E0_NS1_11comp_targetILNS1_3genE5ELNS1_11target_archE942ELNS1_3gpuE9ELNS1_3repE0EEENS1_30default_config_static_selectorELNS0_4arch9wavefront6targetE1EEEvS17_, .Lfunc_end1507-_ZN7rocprim17ROCPRIM_400000_NS6detail17trampoline_kernelINS0_14default_configENS1_22reduce_config_selectorIN6thrust23THRUST_200600_302600_NS5tupleIblNS6_9null_typeES8_S8_S8_S8_S8_S8_S8_EEEEZNS1_11reduce_implILb1ES3_NS6_12zip_iteratorINS7_INS6_11hip_rocprim26transform_input_iterator_tIbPsNS6_6detail10functional5actorINSH_9compositeIJNSH_27transparent_binary_operatorINS6_8equal_toIvEEEENSI_INSH_8argumentILj0EEEEENSH_5valueIsEEEEEEEEENSD_19counting_iterator_tIlEES8_S8_S8_S8_S8_S8_S8_S8_EEEEPS9_S9_NSD_9__find_if7functorIS9_EEEE10hipError_tPvRmT1_T2_T3_mT4_P12ihipStream_tbEUlT_E0_NS1_11comp_targetILNS1_3genE5ELNS1_11target_archE942ELNS1_3gpuE9ELNS1_3repE0EEENS1_30default_config_static_selectorELNS0_4arch9wavefront6targetE1EEEvS17_
                                        ; -- End function
	.section	.AMDGPU.csdata,"",@progbits
; Kernel info:
; codeLenInByte = 0
; NumSgprs: 4
; NumVgprs: 0
; NumAgprs: 0
; TotalNumVgprs: 0
; ScratchSize: 0
; MemoryBound: 0
; FloatMode: 240
; IeeeMode: 1
; LDSByteSize: 0 bytes/workgroup (compile time only)
; SGPRBlocks: 0
; VGPRBlocks: 0
; NumSGPRsForWavesPerEU: 4
; NumVGPRsForWavesPerEU: 1
; AccumOffset: 4
; Occupancy: 8
; WaveLimiterHint : 0
; COMPUTE_PGM_RSRC2:SCRATCH_EN: 0
; COMPUTE_PGM_RSRC2:USER_SGPR: 6
; COMPUTE_PGM_RSRC2:TRAP_HANDLER: 0
; COMPUTE_PGM_RSRC2:TGID_X_EN: 1
; COMPUTE_PGM_RSRC2:TGID_Y_EN: 0
; COMPUTE_PGM_RSRC2:TGID_Z_EN: 0
; COMPUTE_PGM_RSRC2:TIDIG_COMP_CNT: 0
; COMPUTE_PGM_RSRC3_GFX90A:ACCUM_OFFSET: 0
; COMPUTE_PGM_RSRC3_GFX90A:TG_SPLIT: 0
	.section	.text._ZN7rocprim17ROCPRIM_400000_NS6detail17trampoline_kernelINS0_14default_configENS1_22reduce_config_selectorIN6thrust23THRUST_200600_302600_NS5tupleIblNS6_9null_typeES8_S8_S8_S8_S8_S8_S8_EEEEZNS1_11reduce_implILb1ES3_NS6_12zip_iteratorINS7_INS6_11hip_rocprim26transform_input_iterator_tIbPsNS6_6detail10functional5actorINSH_9compositeIJNSH_27transparent_binary_operatorINS6_8equal_toIvEEEENSI_INSH_8argumentILj0EEEEENSH_5valueIsEEEEEEEEENSD_19counting_iterator_tIlEES8_S8_S8_S8_S8_S8_S8_S8_EEEEPS9_S9_NSD_9__find_if7functorIS9_EEEE10hipError_tPvRmT1_T2_T3_mT4_P12ihipStream_tbEUlT_E0_NS1_11comp_targetILNS1_3genE4ELNS1_11target_archE910ELNS1_3gpuE8ELNS1_3repE0EEENS1_30default_config_static_selectorELNS0_4arch9wavefront6targetE1EEEvS17_,"axG",@progbits,_ZN7rocprim17ROCPRIM_400000_NS6detail17trampoline_kernelINS0_14default_configENS1_22reduce_config_selectorIN6thrust23THRUST_200600_302600_NS5tupleIblNS6_9null_typeES8_S8_S8_S8_S8_S8_S8_EEEEZNS1_11reduce_implILb1ES3_NS6_12zip_iteratorINS7_INS6_11hip_rocprim26transform_input_iterator_tIbPsNS6_6detail10functional5actorINSH_9compositeIJNSH_27transparent_binary_operatorINS6_8equal_toIvEEEENSI_INSH_8argumentILj0EEEEENSH_5valueIsEEEEEEEEENSD_19counting_iterator_tIlEES8_S8_S8_S8_S8_S8_S8_S8_EEEEPS9_S9_NSD_9__find_if7functorIS9_EEEE10hipError_tPvRmT1_T2_T3_mT4_P12ihipStream_tbEUlT_E0_NS1_11comp_targetILNS1_3genE4ELNS1_11target_archE910ELNS1_3gpuE8ELNS1_3repE0EEENS1_30default_config_static_selectorELNS0_4arch9wavefront6targetE1EEEvS17_,comdat
	.protected	_ZN7rocprim17ROCPRIM_400000_NS6detail17trampoline_kernelINS0_14default_configENS1_22reduce_config_selectorIN6thrust23THRUST_200600_302600_NS5tupleIblNS6_9null_typeES8_S8_S8_S8_S8_S8_S8_EEEEZNS1_11reduce_implILb1ES3_NS6_12zip_iteratorINS7_INS6_11hip_rocprim26transform_input_iterator_tIbPsNS6_6detail10functional5actorINSH_9compositeIJNSH_27transparent_binary_operatorINS6_8equal_toIvEEEENSI_INSH_8argumentILj0EEEEENSH_5valueIsEEEEEEEEENSD_19counting_iterator_tIlEES8_S8_S8_S8_S8_S8_S8_S8_EEEEPS9_S9_NSD_9__find_if7functorIS9_EEEE10hipError_tPvRmT1_T2_T3_mT4_P12ihipStream_tbEUlT_E0_NS1_11comp_targetILNS1_3genE4ELNS1_11target_archE910ELNS1_3gpuE8ELNS1_3repE0EEENS1_30default_config_static_selectorELNS0_4arch9wavefront6targetE1EEEvS17_ ; -- Begin function _ZN7rocprim17ROCPRIM_400000_NS6detail17trampoline_kernelINS0_14default_configENS1_22reduce_config_selectorIN6thrust23THRUST_200600_302600_NS5tupleIblNS6_9null_typeES8_S8_S8_S8_S8_S8_S8_EEEEZNS1_11reduce_implILb1ES3_NS6_12zip_iteratorINS7_INS6_11hip_rocprim26transform_input_iterator_tIbPsNS6_6detail10functional5actorINSH_9compositeIJNSH_27transparent_binary_operatorINS6_8equal_toIvEEEENSI_INSH_8argumentILj0EEEEENSH_5valueIsEEEEEEEEENSD_19counting_iterator_tIlEES8_S8_S8_S8_S8_S8_S8_S8_EEEEPS9_S9_NSD_9__find_if7functorIS9_EEEE10hipError_tPvRmT1_T2_T3_mT4_P12ihipStream_tbEUlT_E0_NS1_11comp_targetILNS1_3genE4ELNS1_11target_archE910ELNS1_3gpuE8ELNS1_3repE0EEENS1_30default_config_static_selectorELNS0_4arch9wavefront6targetE1EEEvS17_
	.globl	_ZN7rocprim17ROCPRIM_400000_NS6detail17trampoline_kernelINS0_14default_configENS1_22reduce_config_selectorIN6thrust23THRUST_200600_302600_NS5tupleIblNS6_9null_typeES8_S8_S8_S8_S8_S8_S8_EEEEZNS1_11reduce_implILb1ES3_NS6_12zip_iteratorINS7_INS6_11hip_rocprim26transform_input_iterator_tIbPsNS6_6detail10functional5actorINSH_9compositeIJNSH_27transparent_binary_operatorINS6_8equal_toIvEEEENSI_INSH_8argumentILj0EEEEENSH_5valueIsEEEEEEEEENSD_19counting_iterator_tIlEES8_S8_S8_S8_S8_S8_S8_S8_EEEEPS9_S9_NSD_9__find_if7functorIS9_EEEE10hipError_tPvRmT1_T2_T3_mT4_P12ihipStream_tbEUlT_E0_NS1_11comp_targetILNS1_3genE4ELNS1_11target_archE910ELNS1_3gpuE8ELNS1_3repE0EEENS1_30default_config_static_selectorELNS0_4arch9wavefront6targetE1EEEvS17_
	.p2align	8
	.type	_ZN7rocprim17ROCPRIM_400000_NS6detail17trampoline_kernelINS0_14default_configENS1_22reduce_config_selectorIN6thrust23THRUST_200600_302600_NS5tupleIblNS6_9null_typeES8_S8_S8_S8_S8_S8_S8_EEEEZNS1_11reduce_implILb1ES3_NS6_12zip_iteratorINS7_INS6_11hip_rocprim26transform_input_iterator_tIbPsNS6_6detail10functional5actorINSH_9compositeIJNSH_27transparent_binary_operatorINS6_8equal_toIvEEEENSI_INSH_8argumentILj0EEEEENSH_5valueIsEEEEEEEEENSD_19counting_iterator_tIlEES8_S8_S8_S8_S8_S8_S8_S8_EEEEPS9_S9_NSD_9__find_if7functorIS9_EEEE10hipError_tPvRmT1_T2_T3_mT4_P12ihipStream_tbEUlT_E0_NS1_11comp_targetILNS1_3genE4ELNS1_11target_archE910ELNS1_3gpuE8ELNS1_3repE0EEENS1_30default_config_static_selectorELNS0_4arch9wavefront6targetE1EEEvS17_,@function
_ZN7rocprim17ROCPRIM_400000_NS6detail17trampoline_kernelINS0_14default_configENS1_22reduce_config_selectorIN6thrust23THRUST_200600_302600_NS5tupleIblNS6_9null_typeES8_S8_S8_S8_S8_S8_S8_EEEEZNS1_11reduce_implILb1ES3_NS6_12zip_iteratorINS7_INS6_11hip_rocprim26transform_input_iterator_tIbPsNS6_6detail10functional5actorINSH_9compositeIJNSH_27transparent_binary_operatorINS6_8equal_toIvEEEENSI_INSH_8argumentILj0EEEEENSH_5valueIsEEEEEEEEENSD_19counting_iterator_tIlEES8_S8_S8_S8_S8_S8_S8_S8_EEEEPS9_S9_NSD_9__find_if7functorIS9_EEEE10hipError_tPvRmT1_T2_T3_mT4_P12ihipStream_tbEUlT_E0_NS1_11comp_targetILNS1_3genE4ELNS1_11target_archE910ELNS1_3gpuE8ELNS1_3repE0EEENS1_30default_config_static_selectorELNS0_4arch9wavefront6targetE1EEEvS17_: ; @_ZN7rocprim17ROCPRIM_400000_NS6detail17trampoline_kernelINS0_14default_configENS1_22reduce_config_selectorIN6thrust23THRUST_200600_302600_NS5tupleIblNS6_9null_typeES8_S8_S8_S8_S8_S8_S8_EEEEZNS1_11reduce_implILb1ES3_NS6_12zip_iteratorINS7_INS6_11hip_rocprim26transform_input_iterator_tIbPsNS6_6detail10functional5actorINSH_9compositeIJNSH_27transparent_binary_operatorINS6_8equal_toIvEEEENSI_INSH_8argumentILj0EEEEENSH_5valueIsEEEEEEEEENSD_19counting_iterator_tIlEES8_S8_S8_S8_S8_S8_S8_S8_EEEEPS9_S9_NSD_9__find_if7functorIS9_EEEE10hipError_tPvRmT1_T2_T3_mT4_P12ihipStream_tbEUlT_E0_NS1_11comp_targetILNS1_3genE4ELNS1_11target_archE910ELNS1_3gpuE8ELNS1_3repE0EEENS1_30default_config_static_selectorELNS0_4arch9wavefront6targetE1EEEvS17_
; %bb.0:
	s_load_dword s2, s[4:5], 0x8
	s_load_dwordx8 s[8:15], s[4:5], 0x10
	s_load_dwordx2 s[0:1], s[4:5], 0x0
	s_load_dwordx4 s[16:19], s[4:5], 0x30
	s_mov_b32 s23, 0
	s_waitcnt lgkmcnt(0)
	s_lshr_b32 s24, s2, 16
	s_lshl_b64 s[2:3], s[10:11], 1
	s_add_u32 s20, s0, s2
	s_addc_u32 s21, s1, s3
	s_lshl_b32 s22, s6, 9
	s_lshr_b64 s[0:1], s[12:13], 9
	s_lshl_b64 s[2:3], s[22:23], 1
	s_add_u32 s20, s20, s2
	s_addc_u32 s21, s21, s3
	s_add_u32 s2, s8, s22
	s_addc_u32 s3, s9, 0
	s_add_u32 s8, s2, s10
	s_mov_b32 s7, s23
	s_addc_u32 s9, s3, s11
	s_cmp_lg_u64 s[0:1], s[6:7]
	v_lshlrev_b32_e32 v1, 1, v0
	s_cbranch_scc0 .LBB1508_18
; %bb.1:
	global_load_ushort v2, v1, s[20:21] offset:512
	global_load_ushort v3, v1, s[20:21]
	v_mov_b32_e32 v4, s9
	v_add_co_u32_e32 v5, vcc, s8, v0
	v_addc_co_u32_e32 v4, vcc, 0, v4, vcc
	v_add_co_u32_e32 v6, vcc, 0x100, v5
	v_addc_co_u32_e32 v7, vcc, 0, v4, vcc
	s_waitcnt vmcnt(1)
	v_cmp_eq_u16_e32 vcc, s24, v2
	s_waitcnt vmcnt(0)
	v_cmp_eq_u16_e64 s[0:1], s24, v3
	v_cndmask_b32_e64 v3, v7, v4, s[0:1]
	v_cndmask_b32_e64 v2, v6, v5, s[0:1]
	s_or_b64 s[0:1], s[0:1], vcc
	v_cndmask_b32_e64 v6, 0, 1, s[0:1]
	v_mov_b32_dpp v4, v2 quad_perm:[1,0,3,2] row_mask:0xf bank_mask:0xf bound_ctrl:1
	v_mov_b32_dpp v5, v3 quad_perm:[1,0,3,2] row_mask:0xf bank_mask:0xf bound_ctrl:1
	;; [unrolled: 1-line block ×3, first 2 shown]
	v_and_b32_e32 v8, 1, v7
	v_cmp_eq_u32_e32 vcc, 1, v8
	s_and_saveexec_b64 s[2:3], vcc
; %bb.2:
	v_cmp_lt_i64_e32 vcc, v[2:3], v[4:5]
	v_cndmask_b32_e64 v7, v7, 1, s[0:1]
	s_and_b64 vcc, s[0:1], vcc
	v_cndmask_b32_e32 v2, v4, v2, vcc
	v_and_b32_e32 v4, 1, v7
	v_cndmask_b32_e32 v3, v5, v3, vcc
	v_cmp_eq_u32_e32 vcc, 1, v4
	s_andn2_b64 s[0:1], s[0:1], exec
	s_and_b64 s[10:11], vcc, exec
	v_and_b32_e32 v6, 0xff, v7
	s_or_b64 s[0:1], s[0:1], s[10:11]
; %bb.3:
	s_or_b64 exec, exec, s[2:3]
	v_mov_b32_dpp v7, v6 quad_perm:[2,3,0,1] row_mask:0xf bank_mask:0xf bound_ctrl:1
	v_and_b32_e32 v8, 1, v7
	v_mov_b32_dpp v4, v2 quad_perm:[2,3,0,1] row_mask:0xf bank_mask:0xf bound_ctrl:1
	v_mov_b32_dpp v5, v3 quad_perm:[2,3,0,1] row_mask:0xf bank_mask:0xf bound_ctrl:1
	v_cmp_eq_u32_e32 vcc, 1, v8
	s_and_saveexec_b64 s[2:3], vcc
; %bb.4:
	v_cmp_lt_i64_e32 vcc, v[2:3], v[4:5]
	v_cndmask_b32_e64 v7, v7, 1, s[0:1]
	s_and_b64 vcc, s[0:1], vcc
	v_cndmask_b32_e32 v2, v4, v2, vcc
	v_and_b32_e32 v4, 1, v7
	v_cndmask_b32_e32 v3, v5, v3, vcc
	v_cmp_eq_u32_e32 vcc, 1, v4
	s_andn2_b64 s[0:1], s[0:1], exec
	s_and_b64 s[10:11], vcc, exec
	v_and_b32_e32 v6, 0xff, v7
	s_or_b64 s[0:1], s[0:1], s[10:11]
; %bb.5:
	s_or_b64 exec, exec, s[2:3]
	v_mov_b32_dpp v7, v6 row_ror:4 row_mask:0xf bank_mask:0xf bound_ctrl:1
	v_and_b32_e32 v8, 1, v7
	v_mov_b32_dpp v4, v2 row_ror:4 row_mask:0xf bank_mask:0xf bound_ctrl:1
	v_mov_b32_dpp v5, v3 row_ror:4 row_mask:0xf bank_mask:0xf bound_ctrl:1
	v_cmp_eq_u32_e32 vcc, 1, v8
	s_and_saveexec_b64 s[2:3], vcc
; %bb.6:
	v_cmp_lt_i64_e32 vcc, v[2:3], v[4:5]
	v_cndmask_b32_e64 v7, v7, 1, s[0:1]
	s_and_b64 vcc, s[0:1], vcc
	v_cndmask_b32_e32 v2, v4, v2, vcc
	v_and_b32_e32 v4, 1, v7
	v_cndmask_b32_e32 v3, v5, v3, vcc
	v_cmp_eq_u32_e32 vcc, 1, v4
	s_andn2_b64 s[0:1], s[0:1], exec
	s_and_b64 s[10:11], vcc, exec
	v_and_b32_e32 v6, 0xff, v7
	s_or_b64 s[0:1], s[0:1], s[10:11]
; %bb.7:
	s_or_b64 exec, exec, s[2:3]
	v_mov_b32_dpp v7, v6 row_ror:8 row_mask:0xf bank_mask:0xf bound_ctrl:1
	v_and_b32_e32 v8, 1, v7
	v_mov_b32_dpp v4, v2 row_ror:8 row_mask:0xf bank_mask:0xf bound_ctrl:1
	v_mov_b32_dpp v5, v3 row_ror:8 row_mask:0xf bank_mask:0xf bound_ctrl:1
	v_cmp_eq_u32_e32 vcc, 1, v8
	s_and_saveexec_b64 s[2:3], vcc
; %bb.8:
	v_cmp_lt_i64_e32 vcc, v[2:3], v[4:5]
	v_cndmask_b32_e64 v7, v7, 1, s[0:1]
	s_and_b64 vcc, s[0:1], vcc
	v_cndmask_b32_e32 v2, v4, v2, vcc
	v_and_b32_e32 v4, 1, v7
	v_cndmask_b32_e32 v3, v5, v3, vcc
	v_cmp_eq_u32_e32 vcc, 1, v4
	s_andn2_b64 s[0:1], s[0:1], exec
	s_and_b64 s[10:11], vcc, exec
	v_and_b32_e32 v6, 0xff, v7
	s_or_b64 s[0:1], s[0:1], s[10:11]
; %bb.9:
	s_or_b64 exec, exec, s[2:3]
	v_mov_b32_dpp v7, v6 row_bcast:15 row_mask:0xf bank_mask:0xf bound_ctrl:1
	v_and_b32_e32 v8, 1, v7
	v_mov_b32_dpp v4, v2 row_bcast:15 row_mask:0xf bank_mask:0xf bound_ctrl:1
	v_mov_b32_dpp v5, v3 row_bcast:15 row_mask:0xf bank_mask:0xf bound_ctrl:1
	v_cmp_eq_u32_e32 vcc, 1, v8
	s_and_saveexec_b64 s[2:3], vcc
; %bb.10:
	v_cmp_lt_i64_e32 vcc, v[2:3], v[4:5]
	v_cndmask_b32_e64 v7, v7, 1, s[0:1]
	s_and_b64 vcc, s[0:1], vcc
	v_cndmask_b32_e32 v2, v4, v2, vcc
	v_and_b32_e32 v4, 1, v7
	v_cndmask_b32_e32 v3, v5, v3, vcc
	v_cmp_eq_u32_e32 vcc, 1, v4
	s_andn2_b64 s[0:1], s[0:1], exec
	s_and_b64 s[10:11], vcc, exec
	v_and_b32_e32 v6, 0xff, v7
	s_or_b64 s[0:1], s[0:1], s[10:11]
; %bb.11:
	s_or_b64 exec, exec, s[2:3]
	v_mov_b32_dpp v7, v6 row_bcast:31 row_mask:0xf bank_mask:0xf bound_ctrl:1
	v_and_b32_e32 v8, 1, v7
	v_mov_b32_dpp v4, v2 row_bcast:31 row_mask:0xf bank_mask:0xf bound_ctrl:1
	v_mov_b32_dpp v5, v3 row_bcast:31 row_mask:0xf bank_mask:0xf bound_ctrl:1
	v_cmp_eq_u32_e32 vcc, 1, v8
	s_and_saveexec_b64 s[2:3], vcc
; %bb.12:
	v_cmp_lt_i64_e32 vcc, v[2:3], v[4:5]
	v_and_b32_e32 v6, 0xff, v7
	s_and_b64 vcc, s[0:1], vcc
	v_cndmask_b32_e32 v2, v4, v2, vcc
	v_cndmask_b32_e32 v3, v5, v3, vcc
	v_cndmask_b32_e64 v6, v6, 1, s[0:1]
; %bb.13:
	s_or_b64 exec, exec, s[2:3]
	v_mbcnt_lo_u32_b32 v4, -1, 0
	v_mbcnt_hi_u32_b32 v4, -1, v4
	v_bfrev_b32_e32 v5, 0.5
	v_lshl_or_b32 v5, v4, 2, v5
	ds_bpermute_b32 v6, v5, v6
	ds_bpermute_b32 v2, v5, v2
	ds_bpermute_b32 v3, v5, v3
	v_cmp_eq_u32_e32 vcc, 0, v4
	s_and_saveexec_b64 s[0:1], vcc
	s_cbranch_execz .LBB1508_15
; %bb.14:
	v_lshrrev_b32_e32 v5, 2, v0
	v_and_b32_e32 v5, 48, v5
	s_waitcnt lgkmcnt(2)
	ds_write_b8 v5, v6
	s_waitcnt lgkmcnt(1)
	ds_write_b64 v5, v[2:3] offset:8
.LBB1508_15:
	s_or_b64 exec, exec, s[0:1]
	v_cmp_gt_u32_e32 vcc, 64, v0
	s_waitcnt lgkmcnt(0)
	s_barrier
	s_and_saveexec_b64 s[2:3], vcc
	s_cbranch_execz .LBB1508_17
; %bb.16:
	v_and_b32_e32 v5, 3, v4
	v_lshlrev_b32_e32 v2, 4, v5
	ds_read_u8 v8, v2
	ds_read_b64 v[2:3], v2 offset:8
	v_cmp_ne_u32_e32 vcc, 3, v5
	v_addc_co_u32_e32 v6, vcc, 0, v4, vcc
	s_waitcnt lgkmcnt(1)
	v_and_b32_e32 v7, 0xff, v8
	v_lshlrev_b32_e32 v9, 2, v6
	ds_bpermute_b32 v10, v9, v7
	s_waitcnt lgkmcnt(1)
	ds_bpermute_b32 v6, v9, v2
	ds_bpermute_b32 v7, v9, v3
	v_and_b32_e32 v9, 1, v8
	s_waitcnt lgkmcnt(2)
	v_and_b32_e32 v11, 1, v10
	v_cmp_eq_u32_e64 s[0:1], 1, v11
	s_waitcnt lgkmcnt(0)
	v_cmp_lt_i64_e32 vcc, v[6:7], v[2:3]
	s_and_b64 vcc, s[0:1], vcc
	v_cndmask_b32_e64 v8, v8, 1, s[0:1]
	v_cndmask_b32_e32 v2, v2, v6, vcc
	v_cndmask_b32_e32 v3, v3, v7, vcc
	v_cmp_eq_u32_e32 vcc, 1, v9
	v_cndmask_b32_e32 v8, v10, v8, vcc
	v_cndmask_b32_e32 v3, v7, v3, vcc
	;; [unrolled: 1-line block ×3, first 2 shown]
	v_cmp_gt_u32_e32 vcc, 2, v5
	v_cndmask_b32_e64 v5, 0, 1, vcc
	v_lshlrev_b32_e32 v5, 1, v5
	v_and_b32_e32 v6, 0xff, v8
	v_add_lshl_u32 v5, v5, v4, 2
	ds_bpermute_b32 v6, v5, v6
	ds_bpermute_b32 v4, v5, v2
	ds_bpermute_b32 v5, v5, v3
	v_and_b32_e32 v7, 1, v8
	s_waitcnt lgkmcnt(2)
	v_and_b32_e32 v9, 1, v6
	v_cmp_eq_u32_e64 s[0:1], 1, v9
	s_waitcnt lgkmcnt(0)
	v_cmp_lt_i64_e32 vcc, v[4:5], v[2:3]
	s_and_b64 vcc, s[0:1], vcc
	v_cndmask_b32_e64 v8, v8, 1, s[0:1]
	v_cndmask_b32_e32 v2, v2, v4, vcc
	v_cndmask_b32_e32 v3, v3, v5, vcc
	v_cmp_eq_u32_e32 vcc, 1, v7
	v_cndmask_b32_e32 v6, v6, v8, vcc
	v_cndmask_b32_e32 v3, v5, v3, vcc
	;; [unrolled: 1-line block ×3, first 2 shown]
	v_and_b32_e32 v6, 0xff, v6
.LBB1508_17:
	s_or_b64 exec, exec, s[2:3]
	s_load_dword s10, s[4:5], 0x40
	s_load_dwordx2 s[2:3], s[4:5], 0x48
	s_branch .LBB1508_46
.LBB1508_18:
                                        ; implicit-def: $vgpr2_vgpr3
                                        ; implicit-def: $vgpr6
	s_load_dword s10, s[4:5], 0x40
	s_load_dwordx2 s[2:3], s[4:5], 0x48
	s_cbranch_execz .LBB1508_46
; %bb.19:
	s_sub_i32 s11, s12, s22
	v_pk_mov_b32 v[4:5], 0, 0
	v_cmp_gt_u32_e32 vcc, s11, v0
	v_mov_b32_e32 v6, 0
	v_pk_mov_b32 v[2:3], v[4:5], v[4:5] op_sel:[0,1]
	v_mov_b32_e32 v7, 0
	s_and_saveexec_b64 s[0:1], vcc
	s_cbranch_execz .LBB1508_21
; %bb.20:
	global_load_ushort v7, v1, s[20:21]
	v_mov_b32_e32 v3, s9
	v_add_co_u32_e32 v2, vcc, s8, v0
	v_addc_co_u32_e32 v3, vcc, 0, v3, vcc
	s_waitcnt vmcnt(0)
	v_cmp_eq_u16_e32 vcc, s24, v7
	v_cndmask_b32_e64 v7, 0, 1, vcc
.LBB1508_21:
	s_or_b64 exec, exec, s[0:1]
	v_or_b32_e32 v8, 0x100, v0
	v_cmp_gt_u32_e32 vcc, s11, v8
	s_and_saveexec_b64 s[4:5], vcc
	s_cbranch_execz .LBB1508_23
; %bb.22:
	global_load_ushort v1, v1, s[20:21] offset:512
	v_mov_b32_e32 v5, s9
	v_add_co_u32_e64 v4, s[0:1], s8, v8
	v_addc_co_u32_e64 v5, s[0:1], 0, v5, s[0:1]
	s_waitcnt vmcnt(0)
	v_cmp_eq_u16_e64 s[0:1], s24, v1
	v_cndmask_b32_e64 v6, 0, 1, s[0:1]
.LBB1508_23:
	s_or_b64 exec, exec, s[4:5]
	s_and_saveexec_b64 s[4:5], vcc
	s_cbranch_execz .LBB1508_25
; %bb.24:
	v_and_b32_e32 v8, 1, v6
	v_cmp_lt_i64_e32 vcc, v[4:5], v[2:3]
	v_cmp_eq_u32_e64 s[0:1], 1, v8
	v_and_b32_e32 v1, 1, v7
	s_and_b64 vcc, s[0:1], vcc
	v_cndmask_b32_e64 v7, v7, 1, s[0:1]
	v_cndmask_b32_e32 v2, v2, v4, vcc
	v_cndmask_b32_e32 v3, v3, v5, vcc
	v_cmp_eq_u32_e32 vcc, 1, v1
	v_cndmask_b32_e32 v7, v6, v7, vcc
	v_cndmask_b32_e32 v3, v5, v3, vcc
	;; [unrolled: 1-line block ×3, first 2 shown]
.LBB1508_25:
	s_or_b64 exec, exec, s[4:5]
	v_mbcnt_lo_u32_b32 v1, -1, 0
	v_mbcnt_hi_u32_b32 v1, -1, v1
	v_and_b32_e32 v8, 63, v1
	v_cmp_ne_u32_e32 vcc, 63, v8
	v_addc_co_u32_e32 v4, vcc, 0, v1, vcc
	v_and_b32_e32 v6, 0xffff, v7
	v_lshlrev_b32_e32 v5, 2, v4
	ds_bpermute_b32 v10, v5, v6
	ds_bpermute_b32 v4, v5, v2
	;; [unrolled: 1-line block ×3, first 2 shown]
	s_min_u32 s8, s11, 0x100
	v_and_b32_e32 v9, 0xc0, v0
	v_sub_u32_e64 v9, s8, v9 clamp
	v_add_u32_e32 v11, 1, v8
	v_cmp_lt_u32_e32 vcc, v11, v9
	s_and_saveexec_b64 s[4:5], vcc
	s_cbranch_execz .LBB1508_27
; %bb.26:
	s_waitcnt lgkmcnt(0)
	v_and_b32_e32 v11, 1, v10
	v_cmp_lt_i64_e32 vcc, v[4:5], v[2:3]
	v_cmp_eq_u32_e64 s[0:1], 1, v11
	v_and_b32_e32 v6, 1, v7
	s_and_b64 vcc, s[0:1], vcc
	v_cndmask_b32_e64 v7, v7, 1, s[0:1]
	v_cndmask_b32_e32 v2, v2, v4, vcc
	v_cndmask_b32_e32 v3, v3, v5, vcc
	v_cmp_eq_u32_e32 vcc, 1, v6
	v_cndmask_b32_e32 v7, v10, v7, vcc
	v_cndmask_b32_e32 v3, v5, v3, vcc
	;; [unrolled: 1-line block ×3, first 2 shown]
	v_and_b32_e32 v6, 0xff, v7
.LBB1508_27:
	s_or_b64 exec, exec, s[4:5]
	v_cmp_gt_u32_e32 vcc, 62, v8
	s_waitcnt lgkmcnt(0)
	v_cndmask_b32_e64 v4, 0, 1, vcc
	v_lshlrev_b32_e32 v4, 1, v4
	v_add_lshl_u32 v5, v4, v1, 2
	ds_bpermute_b32 v10, v5, v6
	ds_bpermute_b32 v4, v5, v2
	ds_bpermute_b32 v5, v5, v3
	v_add_u32_e32 v11, 2, v8
	v_cmp_lt_u32_e32 vcc, v11, v9
	s_and_saveexec_b64 s[4:5], vcc
	s_cbranch_execz .LBB1508_29
; %bb.28:
	s_waitcnt lgkmcnt(2)
	v_and_b32_e32 v11, 1, v10
	s_waitcnt lgkmcnt(0)
	v_cmp_lt_i64_e32 vcc, v[4:5], v[2:3]
	v_cmp_eq_u32_e64 s[0:1], 1, v11
	v_and_b32_e32 v6, 1, v7
	s_and_b64 vcc, s[0:1], vcc
	v_cndmask_b32_e64 v7, v7, 1, s[0:1]
	v_cndmask_b32_e32 v2, v2, v4, vcc
	v_cndmask_b32_e32 v3, v3, v5, vcc
	v_cmp_eq_u32_e32 vcc, 1, v6
	v_cndmask_b32_e32 v7, v10, v7, vcc
	v_cndmask_b32_e32 v3, v5, v3, vcc
	v_cndmask_b32_e32 v2, v4, v2, vcc
	v_and_b32_e32 v6, 0xff, v7
.LBB1508_29:
	s_or_b64 exec, exec, s[4:5]
	v_cmp_gt_u32_e32 vcc, 60, v8
	s_waitcnt lgkmcnt(1)
	v_cndmask_b32_e64 v4, 0, 1, vcc
	v_lshlrev_b32_e32 v4, 2, v4
	s_waitcnt lgkmcnt(0)
	v_add_lshl_u32 v5, v4, v1, 2
	ds_bpermute_b32 v10, v5, v6
	ds_bpermute_b32 v4, v5, v2
	ds_bpermute_b32 v5, v5, v3
	v_add_u32_e32 v11, 4, v8
	v_cmp_lt_u32_e32 vcc, v11, v9
	s_and_saveexec_b64 s[4:5], vcc
	s_cbranch_execz .LBB1508_31
; %bb.30:
	s_waitcnt lgkmcnt(2)
	v_and_b32_e32 v11, 1, v10
	s_waitcnt lgkmcnt(0)
	v_cmp_lt_i64_e32 vcc, v[4:5], v[2:3]
	v_cmp_eq_u32_e64 s[0:1], 1, v11
	v_and_b32_e32 v6, 1, v7
	s_and_b64 vcc, s[0:1], vcc
	v_cndmask_b32_e64 v7, v7, 1, s[0:1]
	v_cndmask_b32_e32 v2, v2, v4, vcc
	v_cndmask_b32_e32 v3, v3, v5, vcc
	v_cmp_eq_u32_e32 vcc, 1, v6
	v_cndmask_b32_e32 v7, v10, v7, vcc
	v_cndmask_b32_e32 v3, v5, v3, vcc
	v_cndmask_b32_e32 v2, v4, v2, vcc
	v_and_b32_e32 v6, 0xff, v7
.LBB1508_31:
	s_or_b64 exec, exec, s[4:5]
	v_cmp_gt_u32_e32 vcc, 56, v8
	s_waitcnt lgkmcnt(1)
	v_cndmask_b32_e64 v4, 0, 1, vcc
	v_lshlrev_b32_e32 v4, 3, v4
	s_waitcnt lgkmcnt(0)
	;; [unrolled: 31-line block ×4, first 2 shown]
	v_add_lshl_u32 v5, v4, v1, 2
	ds_bpermute_b32 v10, v5, v6
	ds_bpermute_b32 v4, v5, v2
	;; [unrolled: 1-line block ×3, first 2 shown]
	v_add_u32_e32 v8, 32, v8
	v_cmp_lt_u32_e32 vcc, v8, v9
	s_and_saveexec_b64 s[4:5], vcc
	s_cbranch_execz .LBB1508_37
; %bb.36:
	s_waitcnt lgkmcnt(2)
	v_and_b32_e32 v8, 1, v10
	s_waitcnt lgkmcnt(0)
	v_cmp_lt_i64_e32 vcc, v[4:5], v[2:3]
	v_cmp_eq_u32_e64 s[0:1], 1, v8
	v_and_b32_e32 v6, 1, v7
	s_and_b64 vcc, s[0:1], vcc
	v_cndmask_b32_e64 v7, v7, 1, s[0:1]
	v_cndmask_b32_e32 v2, v2, v4, vcc
	v_cndmask_b32_e32 v3, v3, v5, vcc
	v_cmp_eq_u32_e32 vcc, 1, v6
	v_cndmask_b32_e32 v7, v10, v7, vcc
	v_cndmask_b32_e32 v3, v5, v3, vcc
	;; [unrolled: 1-line block ×3, first 2 shown]
	v_and_b32_e32 v6, 0xff, v7
.LBB1508_37:
	s_or_b64 exec, exec, s[4:5]
	v_cmp_eq_u32_e32 vcc, 0, v1
	s_and_saveexec_b64 s[0:1], vcc
	s_cbranch_execz .LBB1508_39
; %bb.38:
	s_waitcnt lgkmcnt(1)
	v_lshrrev_b32_e32 v4, 2, v0
	v_and_b32_e32 v4, 48, v4
	ds_write_b8 v4, v7 offset:64
	ds_write_b64 v4, v[2:3] offset:72
.LBB1508_39:
	s_or_b64 exec, exec, s[0:1]
	v_cmp_gt_u32_e32 vcc, 4, v0
	s_waitcnt lgkmcnt(0)
	s_barrier
	s_and_saveexec_b64 s[4:5], vcc
	s_cbranch_execz .LBB1508_45
; %bb.40:
	v_lshlrev_b32_e32 v2, 4, v1
	ds_read_u8 v7, v2 offset:64
	ds_read_b64 v[2:3], v2 offset:72
	v_and_b32_e32 v8, 3, v1
	v_cmp_ne_u32_e32 vcc, 3, v8
	v_addc_co_u32_e32 v4, vcc, 0, v1, vcc
	s_waitcnt lgkmcnt(1)
	v_and_b32_e32 v6, 0xff, v7
	v_lshlrev_b32_e32 v5, 2, v4
	ds_bpermute_b32 v9, v5, v6
	s_waitcnt lgkmcnt(1)
	ds_bpermute_b32 v4, v5, v2
	ds_bpermute_b32 v5, v5, v3
	s_add_i32 s8, s8, 63
	s_lshr_b32 s11, s8, 6
	v_add_u32_e32 v10, 1, v8
	v_cmp_gt_u32_e32 vcc, s11, v10
	s_and_saveexec_b64 s[8:9], vcc
	s_cbranch_execz .LBB1508_42
; %bb.41:
	s_waitcnt lgkmcnt(2)
	v_and_b32_e32 v10, 1, v9
	s_waitcnt lgkmcnt(0)
	v_cmp_lt_i64_e32 vcc, v[4:5], v[2:3]
	v_cmp_eq_u32_e64 s[0:1], 1, v10
	v_and_b32_e32 v6, 1, v7
	s_and_b64 vcc, s[0:1], vcc
	v_cndmask_b32_e64 v7, v7, 1, s[0:1]
	v_cndmask_b32_e32 v2, v2, v4, vcc
	v_cndmask_b32_e32 v3, v3, v5, vcc
	v_cmp_eq_u32_e32 vcc, 1, v6
	v_cndmask_b32_e32 v7, v9, v7, vcc
	v_cndmask_b32_e32 v3, v5, v3, vcc
	;; [unrolled: 1-line block ×3, first 2 shown]
	v_and_b32_e32 v6, 0xff, v7
.LBB1508_42:
	s_or_b64 exec, exec, s[8:9]
	v_cmp_gt_u32_e32 vcc, 2, v8
	s_waitcnt lgkmcnt(1)
	v_cndmask_b32_e64 v4, 0, 1, vcc
	v_lshlrev_b32_e32 v4, 1, v4
	s_waitcnt lgkmcnt(0)
	v_add_lshl_u32 v5, v4, v1, 2
	ds_bpermute_b32 v1, v5, v6
	ds_bpermute_b32 v4, v5, v2
	;; [unrolled: 1-line block ×3, first 2 shown]
	v_add_u32_e32 v8, 2, v8
	v_cmp_gt_u32_e32 vcc, s11, v8
	s_and_saveexec_b64 s[8:9], vcc
	s_cbranch_execz .LBB1508_44
; %bb.43:
	s_waitcnt lgkmcnt(2)
	v_and_b32_e32 v8, 1, v1
	s_waitcnt lgkmcnt(0)
	v_cmp_lt_i64_e32 vcc, v[4:5], v[2:3]
	v_cmp_eq_u32_e64 s[0:1], 1, v8
	v_and_b32_e32 v6, 1, v7
	s_and_b64 vcc, s[0:1], vcc
	v_cndmask_b32_e64 v7, v7, 1, s[0:1]
	v_cndmask_b32_e32 v2, v2, v4, vcc
	v_cndmask_b32_e32 v3, v3, v5, vcc
	v_cmp_eq_u32_e32 vcc, 1, v6
	v_cndmask_b32_e32 v1, v1, v7, vcc
	v_cndmask_b32_e32 v3, v5, v3, vcc
	;; [unrolled: 1-line block ×3, first 2 shown]
	v_and_b32_e32 v6, 0xff, v1
.LBB1508_44:
	s_or_b64 exec, exec, s[8:9]
.LBB1508_45:
	s_or_b64 exec, exec, s[4:5]
.LBB1508_46:
	v_cmp_eq_u32_e32 vcc, 0, v0
	s_and_saveexec_b64 s[0:1], vcc
	s_cbranch_execnz .LBB1508_48
; %bb.47:
	s_endpgm
.LBB1508_48:
	s_mul_i32 s0, s18, s17
	s_mul_hi_u32 s1, s18, s16
	s_add_i32 s0, s1, s0
	s_mul_i32 s1, s19, s16
	s_add_i32 s1, s0, s1
	s_mul_i32 s0, s18, s16
	s_lshl_b64 s[0:1], s[0:1], 4
	s_add_u32 s4, s14, s0
	s_addc_u32 s5, s15, s1
	s_cmp_eq_u64 s[12:13], 0
	s_waitcnt lgkmcnt(0)
	v_mov_b32_e32 v0, s3
	s_cselect_b64 vcc, -1, 0
	v_cndmask_b32_e32 v1, v3, v0, vcc
	v_mov_b32_e32 v0, s2
	s_lshl_b64 s[0:1], s[6:7], 4
	v_cndmask_b32_e32 v0, v2, v0, vcc
	v_mov_b32_e32 v2, s10
	s_add_u32 s0, s4, s0
	v_cndmask_b32_e32 v2, v6, v2, vcc
	s_addc_u32 s1, s5, s1
	v_mov_b32_e32 v3, 0
	global_store_byte v3, v2, s[0:1]
	global_store_dwordx2 v3, v[0:1], s[0:1] offset:8
	s_endpgm
	.section	.rodata,"a",@progbits
	.p2align	6, 0x0
	.amdhsa_kernel _ZN7rocprim17ROCPRIM_400000_NS6detail17trampoline_kernelINS0_14default_configENS1_22reduce_config_selectorIN6thrust23THRUST_200600_302600_NS5tupleIblNS6_9null_typeES8_S8_S8_S8_S8_S8_S8_EEEEZNS1_11reduce_implILb1ES3_NS6_12zip_iteratorINS7_INS6_11hip_rocprim26transform_input_iterator_tIbPsNS6_6detail10functional5actorINSH_9compositeIJNSH_27transparent_binary_operatorINS6_8equal_toIvEEEENSI_INSH_8argumentILj0EEEEENSH_5valueIsEEEEEEEEENSD_19counting_iterator_tIlEES8_S8_S8_S8_S8_S8_S8_S8_EEEEPS9_S9_NSD_9__find_if7functorIS9_EEEE10hipError_tPvRmT1_T2_T3_mT4_P12ihipStream_tbEUlT_E0_NS1_11comp_targetILNS1_3genE4ELNS1_11target_archE910ELNS1_3gpuE8ELNS1_3repE0EEENS1_30default_config_static_selectorELNS0_4arch9wavefront6targetE1EEEvS17_
		.amdhsa_group_segment_fixed_size 128
		.amdhsa_private_segment_fixed_size 0
		.amdhsa_kernarg_size 88
		.amdhsa_user_sgpr_count 6
		.amdhsa_user_sgpr_private_segment_buffer 1
		.amdhsa_user_sgpr_dispatch_ptr 0
		.amdhsa_user_sgpr_queue_ptr 0
		.amdhsa_user_sgpr_kernarg_segment_ptr 1
		.amdhsa_user_sgpr_dispatch_id 0
		.amdhsa_user_sgpr_flat_scratch_init 0
		.amdhsa_user_sgpr_kernarg_preload_length 0
		.amdhsa_user_sgpr_kernarg_preload_offset 0
		.amdhsa_user_sgpr_private_segment_size 0
		.amdhsa_uses_dynamic_stack 0
		.amdhsa_system_sgpr_private_segment_wavefront_offset 0
		.amdhsa_system_sgpr_workgroup_id_x 1
		.amdhsa_system_sgpr_workgroup_id_y 0
		.amdhsa_system_sgpr_workgroup_id_z 0
		.amdhsa_system_sgpr_workgroup_info 0
		.amdhsa_system_vgpr_workitem_id 0
		.amdhsa_next_free_vgpr 12
		.amdhsa_next_free_sgpr 25
		.amdhsa_accum_offset 12
		.amdhsa_reserve_vcc 1
		.amdhsa_reserve_flat_scratch 0
		.amdhsa_float_round_mode_32 0
		.amdhsa_float_round_mode_16_64 0
		.amdhsa_float_denorm_mode_32 3
		.amdhsa_float_denorm_mode_16_64 3
		.amdhsa_dx10_clamp 1
		.amdhsa_ieee_mode 1
		.amdhsa_fp16_overflow 0
		.amdhsa_tg_split 0
		.amdhsa_exception_fp_ieee_invalid_op 0
		.amdhsa_exception_fp_denorm_src 0
		.amdhsa_exception_fp_ieee_div_zero 0
		.amdhsa_exception_fp_ieee_overflow 0
		.amdhsa_exception_fp_ieee_underflow 0
		.amdhsa_exception_fp_ieee_inexact 0
		.amdhsa_exception_int_div_zero 0
	.end_amdhsa_kernel
	.section	.text._ZN7rocprim17ROCPRIM_400000_NS6detail17trampoline_kernelINS0_14default_configENS1_22reduce_config_selectorIN6thrust23THRUST_200600_302600_NS5tupleIblNS6_9null_typeES8_S8_S8_S8_S8_S8_S8_EEEEZNS1_11reduce_implILb1ES3_NS6_12zip_iteratorINS7_INS6_11hip_rocprim26transform_input_iterator_tIbPsNS6_6detail10functional5actorINSH_9compositeIJNSH_27transparent_binary_operatorINS6_8equal_toIvEEEENSI_INSH_8argumentILj0EEEEENSH_5valueIsEEEEEEEEENSD_19counting_iterator_tIlEES8_S8_S8_S8_S8_S8_S8_S8_EEEEPS9_S9_NSD_9__find_if7functorIS9_EEEE10hipError_tPvRmT1_T2_T3_mT4_P12ihipStream_tbEUlT_E0_NS1_11comp_targetILNS1_3genE4ELNS1_11target_archE910ELNS1_3gpuE8ELNS1_3repE0EEENS1_30default_config_static_selectorELNS0_4arch9wavefront6targetE1EEEvS17_,"axG",@progbits,_ZN7rocprim17ROCPRIM_400000_NS6detail17trampoline_kernelINS0_14default_configENS1_22reduce_config_selectorIN6thrust23THRUST_200600_302600_NS5tupleIblNS6_9null_typeES8_S8_S8_S8_S8_S8_S8_EEEEZNS1_11reduce_implILb1ES3_NS6_12zip_iteratorINS7_INS6_11hip_rocprim26transform_input_iterator_tIbPsNS6_6detail10functional5actorINSH_9compositeIJNSH_27transparent_binary_operatorINS6_8equal_toIvEEEENSI_INSH_8argumentILj0EEEEENSH_5valueIsEEEEEEEEENSD_19counting_iterator_tIlEES8_S8_S8_S8_S8_S8_S8_S8_EEEEPS9_S9_NSD_9__find_if7functorIS9_EEEE10hipError_tPvRmT1_T2_T3_mT4_P12ihipStream_tbEUlT_E0_NS1_11comp_targetILNS1_3genE4ELNS1_11target_archE910ELNS1_3gpuE8ELNS1_3repE0EEENS1_30default_config_static_selectorELNS0_4arch9wavefront6targetE1EEEvS17_,comdat
.Lfunc_end1508:
	.size	_ZN7rocprim17ROCPRIM_400000_NS6detail17trampoline_kernelINS0_14default_configENS1_22reduce_config_selectorIN6thrust23THRUST_200600_302600_NS5tupleIblNS6_9null_typeES8_S8_S8_S8_S8_S8_S8_EEEEZNS1_11reduce_implILb1ES3_NS6_12zip_iteratorINS7_INS6_11hip_rocprim26transform_input_iterator_tIbPsNS6_6detail10functional5actorINSH_9compositeIJNSH_27transparent_binary_operatorINS6_8equal_toIvEEEENSI_INSH_8argumentILj0EEEEENSH_5valueIsEEEEEEEEENSD_19counting_iterator_tIlEES8_S8_S8_S8_S8_S8_S8_S8_EEEEPS9_S9_NSD_9__find_if7functorIS9_EEEE10hipError_tPvRmT1_T2_T3_mT4_P12ihipStream_tbEUlT_E0_NS1_11comp_targetILNS1_3genE4ELNS1_11target_archE910ELNS1_3gpuE8ELNS1_3repE0EEENS1_30default_config_static_selectorELNS0_4arch9wavefront6targetE1EEEvS17_, .Lfunc_end1508-_ZN7rocprim17ROCPRIM_400000_NS6detail17trampoline_kernelINS0_14default_configENS1_22reduce_config_selectorIN6thrust23THRUST_200600_302600_NS5tupleIblNS6_9null_typeES8_S8_S8_S8_S8_S8_S8_EEEEZNS1_11reduce_implILb1ES3_NS6_12zip_iteratorINS7_INS6_11hip_rocprim26transform_input_iterator_tIbPsNS6_6detail10functional5actorINSH_9compositeIJNSH_27transparent_binary_operatorINS6_8equal_toIvEEEENSI_INSH_8argumentILj0EEEEENSH_5valueIsEEEEEEEEENSD_19counting_iterator_tIlEES8_S8_S8_S8_S8_S8_S8_S8_EEEEPS9_S9_NSD_9__find_if7functorIS9_EEEE10hipError_tPvRmT1_T2_T3_mT4_P12ihipStream_tbEUlT_E0_NS1_11comp_targetILNS1_3genE4ELNS1_11target_archE910ELNS1_3gpuE8ELNS1_3repE0EEENS1_30default_config_static_selectorELNS0_4arch9wavefront6targetE1EEEvS17_
                                        ; -- End function
	.section	.AMDGPU.csdata,"",@progbits
; Kernel info:
; codeLenInByte = 2808
; NumSgprs: 29
; NumVgprs: 12
; NumAgprs: 0
; TotalNumVgprs: 12
; ScratchSize: 0
; MemoryBound: 0
; FloatMode: 240
; IeeeMode: 1
; LDSByteSize: 128 bytes/workgroup (compile time only)
; SGPRBlocks: 3
; VGPRBlocks: 1
; NumSGPRsForWavesPerEU: 29
; NumVGPRsForWavesPerEU: 12
; AccumOffset: 12
; Occupancy: 8
; WaveLimiterHint : 1
; COMPUTE_PGM_RSRC2:SCRATCH_EN: 0
; COMPUTE_PGM_RSRC2:USER_SGPR: 6
; COMPUTE_PGM_RSRC2:TRAP_HANDLER: 0
; COMPUTE_PGM_RSRC2:TGID_X_EN: 1
; COMPUTE_PGM_RSRC2:TGID_Y_EN: 0
; COMPUTE_PGM_RSRC2:TGID_Z_EN: 0
; COMPUTE_PGM_RSRC2:TIDIG_COMP_CNT: 0
; COMPUTE_PGM_RSRC3_GFX90A:ACCUM_OFFSET: 2
; COMPUTE_PGM_RSRC3_GFX90A:TG_SPLIT: 0
	.section	.text._ZN7rocprim17ROCPRIM_400000_NS6detail17trampoline_kernelINS0_14default_configENS1_22reduce_config_selectorIN6thrust23THRUST_200600_302600_NS5tupleIblNS6_9null_typeES8_S8_S8_S8_S8_S8_S8_EEEEZNS1_11reduce_implILb1ES3_NS6_12zip_iteratorINS7_INS6_11hip_rocprim26transform_input_iterator_tIbPsNS6_6detail10functional5actorINSH_9compositeIJNSH_27transparent_binary_operatorINS6_8equal_toIvEEEENSI_INSH_8argumentILj0EEEEENSH_5valueIsEEEEEEEEENSD_19counting_iterator_tIlEES8_S8_S8_S8_S8_S8_S8_S8_EEEEPS9_S9_NSD_9__find_if7functorIS9_EEEE10hipError_tPvRmT1_T2_T3_mT4_P12ihipStream_tbEUlT_E0_NS1_11comp_targetILNS1_3genE3ELNS1_11target_archE908ELNS1_3gpuE7ELNS1_3repE0EEENS1_30default_config_static_selectorELNS0_4arch9wavefront6targetE1EEEvS17_,"axG",@progbits,_ZN7rocprim17ROCPRIM_400000_NS6detail17trampoline_kernelINS0_14default_configENS1_22reduce_config_selectorIN6thrust23THRUST_200600_302600_NS5tupleIblNS6_9null_typeES8_S8_S8_S8_S8_S8_S8_EEEEZNS1_11reduce_implILb1ES3_NS6_12zip_iteratorINS7_INS6_11hip_rocprim26transform_input_iterator_tIbPsNS6_6detail10functional5actorINSH_9compositeIJNSH_27transparent_binary_operatorINS6_8equal_toIvEEEENSI_INSH_8argumentILj0EEEEENSH_5valueIsEEEEEEEEENSD_19counting_iterator_tIlEES8_S8_S8_S8_S8_S8_S8_S8_EEEEPS9_S9_NSD_9__find_if7functorIS9_EEEE10hipError_tPvRmT1_T2_T3_mT4_P12ihipStream_tbEUlT_E0_NS1_11comp_targetILNS1_3genE3ELNS1_11target_archE908ELNS1_3gpuE7ELNS1_3repE0EEENS1_30default_config_static_selectorELNS0_4arch9wavefront6targetE1EEEvS17_,comdat
	.protected	_ZN7rocprim17ROCPRIM_400000_NS6detail17trampoline_kernelINS0_14default_configENS1_22reduce_config_selectorIN6thrust23THRUST_200600_302600_NS5tupleIblNS6_9null_typeES8_S8_S8_S8_S8_S8_S8_EEEEZNS1_11reduce_implILb1ES3_NS6_12zip_iteratorINS7_INS6_11hip_rocprim26transform_input_iterator_tIbPsNS6_6detail10functional5actorINSH_9compositeIJNSH_27transparent_binary_operatorINS6_8equal_toIvEEEENSI_INSH_8argumentILj0EEEEENSH_5valueIsEEEEEEEEENSD_19counting_iterator_tIlEES8_S8_S8_S8_S8_S8_S8_S8_EEEEPS9_S9_NSD_9__find_if7functorIS9_EEEE10hipError_tPvRmT1_T2_T3_mT4_P12ihipStream_tbEUlT_E0_NS1_11comp_targetILNS1_3genE3ELNS1_11target_archE908ELNS1_3gpuE7ELNS1_3repE0EEENS1_30default_config_static_selectorELNS0_4arch9wavefront6targetE1EEEvS17_ ; -- Begin function _ZN7rocprim17ROCPRIM_400000_NS6detail17trampoline_kernelINS0_14default_configENS1_22reduce_config_selectorIN6thrust23THRUST_200600_302600_NS5tupleIblNS6_9null_typeES8_S8_S8_S8_S8_S8_S8_EEEEZNS1_11reduce_implILb1ES3_NS6_12zip_iteratorINS7_INS6_11hip_rocprim26transform_input_iterator_tIbPsNS6_6detail10functional5actorINSH_9compositeIJNSH_27transparent_binary_operatorINS6_8equal_toIvEEEENSI_INSH_8argumentILj0EEEEENSH_5valueIsEEEEEEEEENSD_19counting_iterator_tIlEES8_S8_S8_S8_S8_S8_S8_S8_EEEEPS9_S9_NSD_9__find_if7functorIS9_EEEE10hipError_tPvRmT1_T2_T3_mT4_P12ihipStream_tbEUlT_E0_NS1_11comp_targetILNS1_3genE3ELNS1_11target_archE908ELNS1_3gpuE7ELNS1_3repE0EEENS1_30default_config_static_selectorELNS0_4arch9wavefront6targetE1EEEvS17_
	.globl	_ZN7rocprim17ROCPRIM_400000_NS6detail17trampoline_kernelINS0_14default_configENS1_22reduce_config_selectorIN6thrust23THRUST_200600_302600_NS5tupleIblNS6_9null_typeES8_S8_S8_S8_S8_S8_S8_EEEEZNS1_11reduce_implILb1ES3_NS6_12zip_iteratorINS7_INS6_11hip_rocprim26transform_input_iterator_tIbPsNS6_6detail10functional5actorINSH_9compositeIJNSH_27transparent_binary_operatorINS6_8equal_toIvEEEENSI_INSH_8argumentILj0EEEEENSH_5valueIsEEEEEEEEENSD_19counting_iterator_tIlEES8_S8_S8_S8_S8_S8_S8_S8_EEEEPS9_S9_NSD_9__find_if7functorIS9_EEEE10hipError_tPvRmT1_T2_T3_mT4_P12ihipStream_tbEUlT_E0_NS1_11comp_targetILNS1_3genE3ELNS1_11target_archE908ELNS1_3gpuE7ELNS1_3repE0EEENS1_30default_config_static_selectorELNS0_4arch9wavefront6targetE1EEEvS17_
	.p2align	8
	.type	_ZN7rocprim17ROCPRIM_400000_NS6detail17trampoline_kernelINS0_14default_configENS1_22reduce_config_selectorIN6thrust23THRUST_200600_302600_NS5tupleIblNS6_9null_typeES8_S8_S8_S8_S8_S8_S8_EEEEZNS1_11reduce_implILb1ES3_NS6_12zip_iteratorINS7_INS6_11hip_rocprim26transform_input_iterator_tIbPsNS6_6detail10functional5actorINSH_9compositeIJNSH_27transparent_binary_operatorINS6_8equal_toIvEEEENSI_INSH_8argumentILj0EEEEENSH_5valueIsEEEEEEEEENSD_19counting_iterator_tIlEES8_S8_S8_S8_S8_S8_S8_S8_EEEEPS9_S9_NSD_9__find_if7functorIS9_EEEE10hipError_tPvRmT1_T2_T3_mT4_P12ihipStream_tbEUlT_E0_NS1_11comp_targetILNS1_3genE3ELNS1_11target_archE908ELNS1_3gpuE7ELNS1_3repE0EEENS1_30default_config_static_selectorELNS0_4arch9wavefront6targetE1EEEvS17_,@function
_ZN7rocprim17ROCPRIM_400000_NS6detail17trampoline_kernelINS0_14default_configENS1_22reduce_config_selectorIN6thrust23THRUST_200600_302600_NS5tupleIblNS6_9null_typeES8_S8_S8_S8_S8_S8_S8_EEEEZNS1_11reduce_implILb1ES3_NS6_12zip_iteratorINS7_INS6_11hip_rocprim26transform_input_iterator_tIbPsNS6_6detail10functional5actorINSH_9compositeIJNSH_27transparent_binary_operatorINS6_8equal_toIvEEEENSI_INSH_8argumentILj0EEEEENSH_5valueIsEEEEEEEEENSD_19counting_iterator_tIlEES8_S8_S8_S8_S8_S8_S8_S8_EEEEPS9_S9_NSD_9__find_if7functorIS9_EEEE10hipError_tPvRmT1_T2_T3_mT4_P12ihipStream_tbEUlT_E0_NS1_11comp_targetILNS1_3genE3ELNS1_11target_archE908ELNS1_3gpuE7ELNS1_3repE0EEENS1_30default_config_static_selectorELNS0_4arch9wavefront6targetE1EEEvS17_: ; @_ZN7rocprim17ROCPRIM_400000_NS6detail17trampoline_kernelINS0_14default_configENS1_22reduce_config_selectorIN6thrust23THRUST_200600_302600_NS5tupleIblNS6_9null_typeES8_S8_S8_S8_S8_S8_S8_EEEEZNS1_11reduce_implILb1ES3_NS6_12zip_iteratorINS7_INS6_11hip_rocprim26transform_input_iterator_tIbPsNS6_6detail10functional5actorINSH_9compositeIJNSH_27transparent_binary_operatorINS6_8equal_toIvEEEENSI_INSH_8argumentILj0EEEEENSH_5valueIsEEEEEEEEENSD_19counting_iterator_tIlEES8_S8_S8_S8_S8_S8_S8_S8_EEEEPS9_S9_NSD_9__find_if7functorIS9_EEEE10hipError_tPvRmT1_T2_T3_mT4_P12ihipStream_tbEUlT_E0_NS1_11comp_targetILNS1_3genE3ELNS1_11target_archE908ELNS1_3gpuE7ELNS1_3repE0EEENS1_30default_config_static_selectorELNS0_4arch9wavefront6targetE1EEEvS17_
; %bb.0:
	.section	.rodata,"a",@progbits
	.p2align	6, 0x0
	.amdhsa_kernel _ZN7rocprim17ROCPRIM_400000_NS6detail17trampoline_kernelINS0_14default_configENS1_22reduce_config_selectorIN6thrust23THRUST_200600_302600_NS5tupleIblNS6_9null_typeES8_S8_S8_S8_S8_S8_S8_EEEEZNS1_11reduce_implILb1ES3_NS6_12zip_iteratorINS7_INS6_11hip_rocprim26transform_input_iterator_tIbPsNS6_6detail10functional5actorINSH_9compositeIJNSH_27transparent_binary_operatorINS6_8equal_toIvEEEENSI_INSH_8argumentILj0EEEEENSH_5valueIsEEEEEEEEENSD_19counting_iterator_tIlEES8_S8_S8_S8_S8_S8_S8_S8_EEEEPS9_S9_NSD_9__find_if7functorIS9_EEEE10hipError_tPvRmT1_T2_T3_mT4_P12ihipStream_tbEUlT_E0_NS1_11comp_targetILNS1_3genE3ELNS1_11target_archE908ELNS1_3gpuE7ELNS1_3repE0EEENS1_30default_config_static_selectorELNS0_4arch9wavefront6targetE1EEEvS17_
		.amdhsa_group_segment_fixed_size 0
		.amdhsa_private_segment_fixed_size 0
		.amdhsa_kernarg_size 88
		.amdhsa_user_sgpr_count 6
		.amdhsa_user_sgpr_private_segment_buffer 1
		.amdhsa_user_sgpr_dispatch_ptr 0
		.amdhsa_user_sgpr_queue_ptr 0
		.amdhsa_user_sgpr_kernarg_segment_ptr 1
		.amdhsa_user_sgpr_dispatch_id 0
		.amdhsa_user_sgpr_flat_scratch_init 0
		.amdhsa_user_sgpr_kernarg_preload_length 0
		.amdhsa_user_sgpr_kernarg_preload_offset 0
		.amdhsa_user_sgpr_private_segment_size 0
		.amdhsa_uses_dynamic_stack 0
		.amdhsa_system_sgpr_private_segment_wavefront_offset 0
		.amdhsa_system_sgpr_workgroup_id_x 1
		.amdhsa_system_sgpr_workgroup_id_y 0
		.amdhsa_system_sgpr_workgroup_id_z 0
		.amdhsa_system_sgpr_workgroup_info 0
		.amdhsa_system_vgpr_workitem_id 0
		.amdhsa_next_free_vgpr 1
		.amdhsa_next_free_sgpr 0
		.amdhsa_accum_offset 4
		.amdhsa_reserve_vcc 0
		.amdhsa_reserve_flat_scratch 0
		.amdhsa_float_round_mode_32 0
		.amdhsa_float_round_mode_16_64 0
		.amdhsa_float_denorm_mode_32 3
		.amdhsa_float_denorm_mode_16_64 3
		.amdhsa_dx10_clamp 1
		.amdhsa_ieee_mode 1
		.amdhsa_fp16_overflow 0
		.amdhsa_tg_split 0
		.amdhsa_exception_fp_ieee_invalid_op 0
		.amdhsa_exception_fp_denorm_src 0
		.amdhsa_exception_fp_ieee_div_zero 0
		.amdhsa_exception_fp_ieee_overflow 0
		.amdhsa_exception_fp_ieee_underflow 0
		.amdhsa_exception_fp_ieee_inexact 0
		.amdhsa_exception_int_div_zero 0
	.end_amdhsa_kernel
	.section	.text._ZN7rocprim17ROCPRIM_400000_NS6detail17trampoline_kernelINS0_14default_configENS1_22reduce_config_selectorIN6thrust23THRUST_200600_302600_NS5tupleIblNS6_9null_typeES8_S8_S8_S8_S8_S8_S8_EEEEZNS1_11reduce_implILb1ES3_NS6_12zip_iteratorINS7_INS6_11hip_rocprim26transform_input_iterator_tIbPsNS6_6detail10functional5actorINSH_9compositeIJNSH_27transparent_binary_operatorINS6_8equal_toIvEEEENSI_INSH_8argumentILj0EEEEENSH_5valueIsEEEEEEEEENSD_19counting_iterator_tIlEES8_S8_S8_S8_S8_S8_S8_S8_EEEEPS9_S9_NSD_9__find_if7functorIS9_EEEE10hipError_tPvRmT1_T2_T3_mT4_P12ihipStream_tbEUlT_E0_NS1_11comp_targetILNS1_3genE3ELNS1_11target_archE908ELNS1_3gpuE7ELNS1_3repE0EEENS1_30default_config_static_selectorELNS0_4arch9wavefront6targetE1EEEvS17_,"axG",@progbits,_ZN7rocprim17ROCPRIM_400000_NS6detail17trampoline_kernelINS0_14default_configENS1_22reduce_config_selectorIN6thrust23THRUST_200600_302600_NS5tupleIblNS6_9null_typeES8_S8_S8_S8_S8_S8_S8_EEEEZNS1_11reduce_implILb1ES3_NS6_12zip_iteratorINS7_INS6_11hip_rocprim26transform_input_iterator_tIbPsNS6_6detail10functional5actorINSH_9compositeIJNSH_27transparent_binary_operatorINS6_8equal_toIvEEEENSI_INSH_8argumentILj0EEEEENSH_5valueIsEEEEEEEEENSD_19counting_iterator_tIlEES8_S8_S8_S8_S8_S8_S8_S8_EEEEPS9_S9_NSD_9__find_if7functorIS9_EEEE10hipError_tPvRmT1_T2_T3_mT4_P12ihipStream_tbEUlT_E0_NS1_11comp_targetILNS1_3genE3ELNS1_11target_archE908ELNS1_3gpuE7ELNS1_3repE0EEENS1_30default_config_static_selectorELNS0_4arch9wavefront6targetE1EEEvS17_,comdat
.Lfunc_end1509:
	.size	_ZN7rocprim17ROCPRIM_400000_NS6detail17trampoline_kernelINS0_14default_configENS1_22reduce_config_selectorIN6thrust23THRUST_200600_302600_NS5tupleIblNS6_9null_typeES8_S8_S8_S8_S8_S8_S8_EEEEZNS1_11reduce_implILb1ES3_NS6_12zip_iteratorINS7_INS6_11hip_rocprim26transform_input_iterator_tIbPsNS6_6detail10functional5actorINSH_9compositeIJNSH_27transparent_binary_operatorINS6_8equal_toIvEEEENSI_INSH_8argumentILj0EEEEENSH_5valueIsEEEEEEEEENSD_19counting_iterator_tIlEES8_S8_S8_S8_S8_S8_S8_S8_EEEEPS9_S9_NSD_9__find_if7functorIS9_EEEE10hipError_tPvRmT1_T2_T3_mT4_P12ihipStream_tbEUlT_E0_NS1_11comp_targetILNS1_3genE3ELNS1_11target_archE908ELNS1_3gpuE7ELNS1_3repE0EEENS1_30default_config_static_selectorELNS0_4arch9wavefront6targetE1EEEvS17_, .Lfunc_end1509-_ZN7rocprim17ROCPRIM_400000_NS6detail17trampoline_kernelINS0_14default_configENS1_22reduce_config_selectorIN6thrust23THRUST_200600_302600_NS5tupleIblNS6_9null_typeES8_S8_S8_S8_S8_S8_S8_EEEEZNS1_11reduce_implILb1ES3_NS6_12zip_iteratorINS7_INS6_11hip_rocprim26transform_input_iterator_tIbPsNS6_6detail10functional5actorINSH_9compositeIJNSH_27transparent_binary_operatorINS6_8equal_toIvEEEENSI_INSH_8argumentILj0EEEEENSH_5valueIsEEEEEEEEENSD_19counting_iterator_tIlEES8_S8_S8_S8_S8_S8_S8_S8_EEEEPS9_S9_NSD_9__find_if7functorIS9_EEEE10hipError_tPvRmT1_T2_T3_mT4_P12ihipStream_tbEUlT_E0_NS1_11comp_targetILNS1_3genE3ELNS1_11target_archE908ELNS1_3gpuE7ELNS1_3repE0EEENS1_30default_config_static_selectorELNS0_4arch9wavefront6targetE1EEEvS17_
                                        ; -- End function
	.section	.AMDGPU.csdata,"",@progbits
; Kernel info:
; codeLenInByte = 0
; NumSgprs: 4
; NumVgprs: 0
; NumAgprs: 0
; TotalNumVgprs: 0
; ScratchSize: 0
; MemoryBound: 0
; FloatMode: 240
; IeeeMode: 1
; LDSByteSize: 0 bytes/workgroup (compile time only)
; SGPRBlocks: 0
; VGPRBlocks: 0
; NumSGPRsForWavesPerEU: 4
; NumVGPRsForWavesPerEU: 1
; AccumOffset: 4
; Occupancy: 8
; WaveLimiterHint : 0
; COMPUTE_PGM_RSRC2:SCRATCH_EN: 0
; COMPUTE_PGM_RSRC2:USER_SGPR: 6
; COMPUTE_PGM_RSRC2:TRAP_HANDLER: 0
; COMPUTE_PGM_RSRC2:TGID_X_EN: 1
; COMPUTE_PGM_RSRC2:TGID_Y_EN: 0
; COMPUTE_PGM_RSRC2:TGID_Z_EN: 0
; COMPUTE_PGM_RSRC2:TIDIG_COMP_CNT: 0
; COMPUTE_PGM_RSRC3_GFX90A:ACCUM_OFFSET: 0
; COMPUTE_PGM_RSRC3_GFX90A:TG_SPLIT: 0
	.section	.text._ZN7rocprim17ROCPRIM_400000_NS6detail17trampoline_kernelINS0_14default_configENS1_22reduce_config_selectorIN6thrust23THRUST_200600_302600_NS5tupleIblNS6_9null_typeES8_S8_S8_S8_S8_S8_S8_EEEEZNS1_11reduce_implILb1ES3_NS6_12zip_iteratorINS7_INS6_11hip_rocprim26transform_input_iterator_tIbPsNS6_6detail10functional5actorINSH_9compositeIJNSH_27transparent_binary_operatorINS6_8equal_toIvEEEENSI_INSH_8argumentILj0EEEEENSH_5valueIsEEEEEEEEENSD_19counting_iterator_tIlEES8_S8_S8_S8_S8_S8_S8_S8_EEEEPS9_S9_NSD_9__find_if7functorIS9_EEEE10hipError_tPvRmT1_T2_T3_mT4_P12ihipStream_tbEUlT_E0_NS1_11comp_targetILNS1_3genE2ELNS1_11target_archE906ELNS1_3gpuE6ELNS1_3repE0EEENS1_30default_config_static_selectorELNS0_4arch9wavefront6targetE1EEEvS17_,"axG",@progbits,_ZN7rocprim17ROCPRIM_400000_NS6detail17trampoline_kernelINS0_14default_configENS1_22reduce_config_selectorIN6thrust23THRUST_200600_302600_NS5tupleIblNS6_9null_typeES8_S8_S8_S8_S8_S8_S8_EEEEZNS1_11reduce_implILb1ES3_NS6_12zip_iteratorINS7_INS6_11hip_rocprim26transform_input_iterator_tIbPsNS6_6detail10functional5actorINSH_9compositeIJNSH_27transparent_binary_operatorINS6_8equal_toIvEEEENSI_INSH_8argumentILj0EEEEENSH_5valueIsEEEEEEEEENSD_19counting_iterator_tIlEES8_S8_S8_S8_S8_S8_S8_S8_EEEEPS9_S9_NSD_9__find_if7functorIS9_EEEE10hipError_tPvRmT1_T2_T3_mT4_P12ihipStream_tbEUlT_E0_NS1_11comp_targetILNS1_3genE2ELNS1_11target_archE906ELNS1_3gpuE6ELNS1_3repE0EEENS1_30default_config_static_selectorELNS0_4arch9wavefront6targetE1EEEvS17_,comdat
	.protected	_ZN7rocprim17ROCPRIM_400000_NS6detail17trampoline_kernelINS0_14default_configENS1_22reduce_config_selectorIN6thrust23THRUST_200600_302600_NS5tupleIblNS6_9null_typeES8_S8_S8_S8_S8_S8_S8_EEEEZNS1_11reduce_implILb1ES3_NS6_12zip_iteratorINS7_INS6_11hip_rocprim26transform_input_iterator_tIbPsNS6_6detail10functional5actorINSH_9compositeIJNSH_27transparent_binary_operatorINS6_8equal_toIvEEEENSI_INSH_8argumentILj0EEEEENSH_5valueIsEEEEEEEEENSD_19counting_iterator_tIlEES8_S8_S8_S8_S8_S8_S8_S8_EEEEPS9_S9_NSD_9__find_if7functorIS9_EEEE10hipError_tPvRmT1_T2_T3_mT4_P12ihipStream_tbEUlT_E0_NS1_11comp_targetILNS1_3genE2ELNS1_11target_archE906ELNS1_3gpuE6ELNS1_3repE0EEENS1_30default_config_static_selectorELNS0_4arch9wavefront6targetE1EEEvS17_ ; -- Begin function _ZN7rocprim17ROCPRIM_400000_NS6detail17trampoline_kernelINS0_14default_configENS1_22reduce_config_selectorIN6thrust23THRUST_200600_302600_NS5tupleIblNS6_9null_typeES8_S8_S8_S8_S8_S8_S8_EEEEZNS1_11reduce_implILb1ES3_NS6_12zip_iteratorINS7_INS6_11hip_rocprim26transform_input_iterator_tIbPsNS6_6detail10functional5actorINSH_9compositeIJNSH_27transparent_binary_operatorINS6_8equal_toIvEEEENSI_INSH_8argumentILj0EEEEENSH_5valueIsEEEEEEEEENSD_19counting_iterator_tIlEES8_S8_S8_S8_S8_S8_S8_S8_EEEEPS9_S9_NSD_9__find_if7functorIS9_EEEE10hipError_tPvRmT1_T2_T3_mT4_P12ihipStream_tbEUlT_E0_NS1_11comp_targetILNS1_3genE2ELNS1_11target_archE906ELNS1_3gpuE6ELNS1_3repE0EEENS1_30default_config_static_selectorELNS0_4arch9wavefront6targetE1EEEvS17_
	.globl	_ZN7rocprim17ROCPRIM_400000_NS6detail17trampoline_kernelINS0_14default_configENS1_22reduce_config_selectorIN6thrust23THRUST_200600_302600_NS5tupleIblNS6_9null_typeES8_S8_S8_S8_S8_S8_S8_EEEEZNS1_11reduce_implILb1ES3_NS6_12zip_iteratorINS7_INS6_11hip_rocprim26transform_input_iterator_tIbPsNS6_6detail10functional5actorINSH_9compositeIJNSH_27transparent_binary_operatorINS6_8equal_toIvEEEENSI_INSH_8argumentILj0EEEEENSH_5valueIsEEEEEEEEENSD_19counting_iterator_tIlEES8_S8_S8_S8_S8_S8_S8_S8_EEEEPS9_S9_NSD_9__find_if7functorIS9_EEEE10hipError_tPvRmT1_T2_T3_mT4_P12ihipStream_tbEUlT_E0_NS1_11comp_targetILNS1_3genE2ELNS1_11target_archE906ELNS1_3gpuE6ELNS1_3repE0EEENS1_30default_config_static_selectorELNS0_4arch9wavefront6targetE1EEEvS17_
	.p2align	8
	.type	_ZN7rocprim17ROCPRIM_400000_NS6detail17trampoline_kernelINS0_14default_configENS1_22reduce_config_selectorIN6thrust23THRUST_200600_302600_NS5tupleIblNS6_9null_typeES8_S8_S8_S8_S8_S8_S8_EEEEZNS1_11reduce_implILb1ES3_NS6_12zip_iteratorINS7_INS6_11hip_rocprim26transform_input_iterator_tIbPsNS6_6detail10functional5actorINSH_9compositeIJNSH_27transparent_binary_operatorINS6_8equal_toIvEEEENSI_INSH_8argumentILj0EEEEENSH_5valueIsEEEEEEEEENSD_19counting_iterator_tIlEES8_S8_S8_S8_S8_S8_S8_S8_EEEEPS9_S9_NSD_9__find_if7functorIS9_EEEE10hipError_tPvRmT1_T2_T3_mT4_P12ihipStream_tbEUlT_E0_NS1_11comp_targetILNS1_3genE2ELNS1_11target_archE906ELNS1_3gpuE6ELNS1_3repE0EEENS1_30default_config_static_selectorELNS0_4arch9wavefront6targetE1EEEvS17_,@function
_ZN7rocprim17ROCPRIM_400000_NS6detail17trampoline_kernelINS0_14default_configENS1_22reduce_config_selectorIN6thrust23THRUST_200600_302600_NS5tupleIblNS6_9null_typeES8_S8_S8_S8_S8_S8_S8_EEEEZNS1_11reduce_implILb1ES3_NS6_12zip_iteratorINS7_INS6_11hip_rocprim26transform_input_iterator_tIbPsNS6_6detail10functional5actorINSH_9compositeIJNSH_27transparent_binary_operatorINS6_8equal_toIvEEEENSI_INSH_8argumentILj0EEEEENSH_5valueIsEEEEEEEEENSD_19counting_iterator_tIlEES8_S8_S8_S8_S8_S8_S8_S8_EEEEPS9_S9_NSD_9__find_if7functorIS9_EEEE10hipError_tPvRmT1_T2_T3_mT4_P12ihipStream_tbEUlT_E0_NS1_11comp_targetILNS1_3genE2ELNS1_11target_archE906ELNS1_3gpuE6ELNS1_3repE0EEENS1_30default_config_static_selectorELNS0_4arch9wavefront6targetE1EEEvS17_: ; @_ZN7rocprim17ROCPRIM_400000_NS6detail17trampoline_kernelINS0_14default_configENS1_22reduce_config_selectorIN6thrust23THRUST_200600_302600_NS5tupleIblNS6_9null_typeES8_S8_S8_S8_S8_S8_S8_EEEEZNS1_11reduce_implILb1ES3_NS6_12zip_iteratorINS7_INS6_11hip_rocprim26transform_input_iterator_tIbPsNS6_6detail10functional5actorINSH_9compositeIJNSH_27transparent_binary_operatorINS6_8equal_toIvEEEENSI_INSH_8argumentILj0EEEEENSH_5valueIsEEEEEEEEENSD_19counting_iterator_tIlEES8_S8_S8_S8_S8_S8_S8_S8_EEEEPS9_S9_NSD_9__find_if7functorIS9_EEEE10hipError_tPvRmT1_T2_T3_mT4_P12ihipStream_tbEUlT_E0_NS1_11comp_targetILNS1_3genE2ELNS1_11target_archE906ELNS1_3gpuE6ELNS1_3repE0EEENS1_30default_config_static_selectorELNS0_4arch9wavefront6targetE1EEEvS17_
; %bb.0:
	.section	.rodata,"a",@progbits
	.p2align	6, 0x0
	.amdhsa_kernel _ZN7rocprim17ROCPRIM_400000_NS6detail17trampoline_kernelINS0_14default_configENS1_22reduce_config_selectorIN6thrust23THRUST_200600_302600_NS5tupleIblNS6_9null_typeES8_S8_S8_S8_S8_S8_S8_EEEEZNS1_11reduce_implILb1ES3_NS6_12zip_iteratorINS7_INS6_11hip_rocprim26transform_input_iterator_tIbPsNS6_6detail10functional5actorINSH_9compositeIJNSH_27transparent_binary_operatorINS6_8equal_toIvEEEENSI_INSH_8argumentILj0EEEEENSH_5valueIsEEEEEEEEENSD_19counting_iterator_tIlEES8_S8_S8_S8_S8_S8_S8_S8_EEEEPS9_S9_NSD_9__find_if7functorIS9_EEEE10hipError_tPvRmT1_T2_T3_mT4_P12ihipStream_tbEUlT_E0_NS1_11comp_targetILNS1_3genE2ELNS1_11target_archE906ELNS1_3gpuE6ELNS1_3repE0EEENS1_30default_config_static_selectorELNS0_4arch9wavefront6targetE1EEEvS17_
		.amdhsa_group_segment_fixed_size 0
		.amdhsa_private_segment_fixed_size 0
		.amdhsa_kernarg_size 88
		.amdhsa_user_sgpr_count 6
		.amdhsa_user_sgpr_private_segment_buffer 1
		.amdhsa_user_sgpr_dispatch_ptr 0
		.amdhsa_user_sgpr_queue_ptr 0
		.amdhsa_user_sgpr_kernarg_segment_ptr 1
		.amdhsa_user_sgpr_dispatch_id 0
		.amdhsa_user_sgpr_flat_scratch_init 0
		.amdhsa_user_sgpr_kernarg_preload_length 0
		.amdhsa_user_sgpr_kernarg_preload_offset 0
		.amdhsa_user_sgpr_private_segment_size 0
		.amdhsa_uses_dynamic_stack 0
		.amdhsa_system_sgpr_private_segment_wavefront_offset 0
		.amdhsa_system_sgpr_workgroup_id_x 1
		.amdhsa_system_sgpr_workgroup_id_y 0
		.amdhsa_system_sgpr_workgroup_id_z 0
		.amdhsa_system_sgpr_workgroup_info 0
		.amdhsa_system_vgpr_workitem_id 0
		.amdhsa_next_free_vgpr 1
		.amdhsa_next_free_sgpr 0
		.amdhsa_accum_offset 4
		.amdhsa_reserve_vcc 0
		.amdhsa_reserve_flat_scratch 0
		.amdhsa_float_round_mode_32 0
		.amdhsa_float_round_mode_16_64 0
		.amdhsa_float_denorm_mode_32 3
		.amdhsa_float_denorm_mode_16_64 3
		.amdhsa_dx10_clamp 1
		.amdhsa_ieee_mode 1
		.amdhsa_fp16_overflow 0
		.amdhsa_tg_split 0
		.amdhsa_exception_fp_ieee_invalid_op 0
		.amdhsa_exception_fp_denorm_src 0
		.amdhsa_exception_fp_ieee_div_zero 0
		.amdhsa_exception_fp_ieee_overflow 0
		.amdhsa_exception_fp_ieee_underflow 0
		.amdhsa_exception_fp_ieee_inexact 0
		.amdhsa_exception_int_div_zero 0
	.end_amdhsa_kernel
	.section	.text._ZN7rocprim17ROCPRIM_400000_NS6detail17trampoline_kernelINS0_14default_configENS1_22reduce_config_selectorIN6thrust23THRUST_200600_302600_NS5tupleIblNS6_9null_typeES8_S8_S8_S8_S8_S8_S8_EEEEZNS1_11reduce_implILb1ES3_NS6_12zip_iteratorINS7_INS6_11hip_rocprim26transform_input_iterator_tIbPsNS6_6detail10functional5actorINSH_9compositeIJNSH_27transparent_binary_operatorINS6_8equal_toIvEEEENSI_INSH_8argumentILj0EEEEENSH_5valueIsEEEEEEEEENSD_19counting_iterator_tIlEES8_S8_S8_S8_S8_S8_S8_S8_EEEEPS9_S9_NSD_9__find_if7functorIS9_EEEE10hipError_tPvRmT1_T2_T3_mT4_P12ihipStream_tbEUlT_E0_NS1_11comp_targetILNS1_3genE2ELNS1_11target_archE906ELNS1_3gpuE6ELNS1_3repE0EEENS1_30default_config_static_selectorELNS0_4arch9wavefront6targetE1EEEvS17_,"axG",@progbits,_ZN7rocprim17ROCPRIM_400000_NS6detail17trampoline_kernelINS0_14default_configENS1_22reduce_config_selectorIN6thrust23THRUST_200600_302600_NS5tupleIblNS6_9null_typeES8_S8_S8_S8_S8_S8_S8_EEEEZNS1_11reduce_implILb1ES3_NS6_12zip_iteratorINS7_INS6_11hip_rocprim26transform_input_iterator_tIbPsNS6_6detail10functional5actorINSH_9compositeIJNSH_27transparent_binary_operatorINS6_8equal_toIvEEEENSI_INSH_8argumentILj0EEEEENSH_5valueIsEEEEEEEEENSD_19counting_iterator_tIlEES8_S8_S8_S8_S8_S8_S8_S8_EEEEPS9_S9_NSD_9__find_if7functorIS9_EEEE10hipError_tPvRmT1_T2_T3_mT4_P12ihipStream_tbEUlT_E0_NS1_11comp_targetILNS1_3genE2ELNS1_11target_archE906ELNS1_3gpuE6ELNS1_3repE0EEENS1_30default_config_static_selectorELNS0_4arch9wavefront6targetE1EEEvS17_,comdat
.Lfunc_end1510:
	.size	_ZN7rocprim17ROCPRIM_400000_NS6detail17trampoline_kernelINS0_14default_configENS1_22reduce_config_selectorIN6thrust23THRUST_200600_302600_NS5tupleIblNS6_9null_typeES8_S8_S8_S8_S8_S8_S8_EEEEZNS1_11reduce_implILb1ES3_NS6_12zip_iteratorINS7_INS6_11hip_rocprim26transform_input_iterator_tIbPsNS6_6detail10functional5actorINSH_9compositeIJNSH_27transparent_binary_operatorINS6_8equal_toIvEEEENSI_INSH_8argumentILj0EEEEENSH_5valueIsEEEEEEEEENSD_19counting_iterator_tIlEES8_S8_S8_S8_S8_S8_S8_S8_EEEEPS9_S9_NSD_9__find_if7functorIS9_EEEE10hipError_tPvRmT1_T2_T3_mT4_P12ihipStream_tbEUlT_E0_NS1_11comp_targetILNS1_3genE2ELNS1_11target_archE906ELNS1_3gpuE6ELNS1_3repE0EEENS1_30default_config_static_selectorELNS0_4arch9wavefront6targetE1EEEvS17_, .Lfunc_end1510-_ZN7rocprim17ROCPRIM_400000_NS6detail17trampoline_kernelINS0_14default_configENS1_22reduce_config_selectorIN6thrust23THRUST_200600_302600_NS5tupleIblNS6_9null_typeES8_S8_S8_S8_S8_S8_S8_EEEEZNS1_11reduce_implILb1ES3_NS6_12zip_iteratorINS7_INS6_11hip_rocprim26transform_input_iterator_tIbPsNS6_6detail10functional5actorINSH_9compositeIJNSH_27transparent_binary_operatorINS6_8equal_toIvEEEENSI_INSH_8argumentILj0EEEEENSH_5valueIsEEEEEEEEENSD_19counting_iterator_tIlEES8_S8_S8_S8_S8_S8_S8_S8_EEEEPS9_S9_NSD_9__find_if7functorIS9_EEEE10hipError_tPvRmT1_T2_T3_mT4_P12ihipStream_tbEUlT_E0_NS1_11comp_targetILNS1_3genE2ELNS1_11target_archE906ELNS1_3gpuE6ELNS1_3repE0EEENS1_30default_config_static_selectorELNS0_4arch9wavefront6targetE1EEEvS17_
                                        ; -- End function
	.section	.AMDGPU.csdata,"",@progbits
; Kernel info:
; codeLenInByte = 0
; NumSgprs: 4
; NumVgprs: 0
; NumAgprs: 0
; TotalNumVgprs: 0
; ScratchSize: 0
; MemoryBound: 0
; FloatMode: 240
; IeeeMode: 1
; LDSByteSize: 0 bytes/workgroup (compile time only)
; SGPRBlocks: 0
; VGPRBlocks: 0
; NumSGPRsForWavesPerEU: 4
; NumVGPRsForWavesPerEU: 1
; AccumOffset: 4
; Occupancy: 8
; WaveLimiterHint : 0
; COMPUTE_PGM_RSRC2:SCRATCH_EN: 0
; COMPUTE_PGM_RSRC2:USER_SGPR: 6
; COMPUTE_PGM_RSRC2:TRAP_HANDLER: 0
; COMPUTE_PGM_RSRC2:TGID_X_EN: 1
; COMPUTE_PGM_RSRC2:TGID_Y_EN: 0
; COMPUTE_PGM_RSRC2:TGID_Z_EN: 0
; COMPUTE_PGM_RSRC2:TIDIG_COMP_CNT: 0
; COMPUTE_PGM_RSRC3_GFX90A:ACCUM_OFFSET: 0
; COMPUTE_PGM_RSRC3_GFX90A:TG_SPLIT: 0
	.section	.text._ZN7rocprim17ROCPRIM_400000_NS6detail17trampoline_kernelINS0_14default_configENS1_22reduce_config_selectorIN6thrust23THRUST_200600_302600_NS5tupleIblNS6_9null_typeES8_S8_S8_S8_S8_S8_S8_EEEEZNS1_11reduce_implILb1ES3_NS6_12zip_iteratorINS7_INS6_11hip_rocprim26transform_input_iterator_tIbPsNS6_6detail10functional5actorINSH_9compositeIJNSH_27transparent_binary_operatorINS6_8equal_toIvEEEENSI_INSH_8argumentILj0EEEEENSH_5valueIsEEEEEEEEENSD_19counting_iterator_tIlEES8_S8_S8_S8_S8_S8_S8_S8_EEEEPS9_S9_NSD_9__find_if7functorIS9_EEEE10hipError_tPvRmT1_T2_T3_mT4_P12ihipStream_tbEUlT_E0_NS1_11comp_targetILNS1_3genE10ELNS1_11target_archE1201ELNS1_3gpuE5ELNS1_3repE0EEENS1_30default_config_static_selectorELNS0_4arch9wavefront6targetE1EEEvS17_,"axG",@progbits,_ZN7rocprim17ROCPRIM_400000_NS6detail17trampoline_kernelINS0_14default_configENS1_22reduce_config_selectorIN6thrust23THRUST_200600_302600_NS5tupleIblNS6_9null_typeES8_S8_S8_S8_S8_S8_S8_EEEEZNS1_11reduce_implILb1ES3_NS6_12zip_iteratorINS7_INS6_11hip_rocprim26transform_input_iterator_tIbPsNS6_6detail10functional5actorINSH_9compositeIJNSH_27transparent_binary_operatorINS6_8equal_toIvEEEENSI_INSH_8argumentILj0EEEEENSH_5valueIsEEEEEEEEENSD_19counting_iterator_tIlEES8_S8_S8_S8_S8_S8_S8_S8_EEEEPS9_S9_NSD_9__find_if7functorIS9_EEEE10hipError_tPvRmT1_T2_T3_mT4_P12ihipStream_tbEUlT_E0_NS1_11comp_targetILNS1_3genE10ELNS1_11target_archE1201ELNS1_3gpuE5ELNS1_3repE0EEENS1_30default_config_static_selectorELNS0_4arch9wavefront6targetE1EEEvS17_,comdat
	.protected	_ZN7rocprim17ROCPRIM_400000_NS6detail17trampoline_kernelINS0_14default_configENS1_22reduce_config_selectorIN6thrust23THRUST_200600_302600_NS5tupleIblNS6_9null_typeES8_S8_S8_S8_S8_S8_S8_EEEEZNS1_11reduce_implILb1ES3_NS6_12zip_iteratorINS7_INS6_11hip_rocprim26transform_input_iterator_tIbPsNS6_6detail10functional5actorINSH_9compositeIJNSH_27transparent_binary_operatorINS6_8equal_toIvEEEENSI_INSH_8argumentILj0EEEEENSH_5valueIsEEEEEEEEENSD_19counting_iterator_tIlEES8_S8_S8_S8_S8_S8_S8_S8_EEEEPS9_S9_NSD_9__find_if7functorIS9_EEEE10hipError_tPvRmT1_T2_T3_mT4_P12ihipStream_tbEUlT_E0_NS1_11comp_targetILNS1_3genE10ELNS1_11target_archE1201ELNS1_3gpuE5ELNS1_3repE0EEENS1_30default_config_static_selectorELNS0_4arch9wavefront6targetE1EEEvS17_ ; -- Begin function _ZN7rocprim17ROCPRIM_400000_NS6detail17trampoline_kernelINS0_14default_configENS1_22reduce_config_selectorIN6thrust23THRUST_200600_302600_NS5tupleIblNS6_9null_typeES8_S8_S8_S8_S8_S8_S8_EEEEZNS1_11reduce_implILb1ES3_NS6_12zip_iteratorINS7_INS6_11hip_rocprim26transform_input_iterator_tIbPsNS6_6detail10functional5actorINSH_9compositeIJNSH_27transparent_binary_operatorINS6_8equal_toIvEEEENSI_INSH_8argumentILj0EEEEENSH_5valueIsEEEEEEEEENSD_19counting_iterator_tIlEES8_S8_S8_S8_S8_S8_S8_S8_EEEEPS9_S9_NSD_9__find_if7functorIS9_EEEE10hipError_tPvRmT1_T2_T3_mT4_P12ihipStream_tbEUlT_E0_NS1_11comp_targetILNS1_3genE10ELNS1_11target_archE1201ELNS1_3gpuE5ELNS1_3repE0EEENS1_30default_config_static_selectorELNS0_4arch9wavefront6targetE1EEEvS17_
	.globl	_ZN7rocprim17ROCPRIM_400000_NS6detail17trampoline_kernelINS0_14default_configENS1_22reduce_config_selectorIN6thrust23THRUST_200600_302600_NS5tupleIblNS6_9null_typeES8_S8_S8_S8_S8_S8_S8_EEEEZNS1_11reduce_implILb1ES3_NS6_12zip_iteratorINS7_INS6_11hip_rocprim26transform_input_iterator_tIbPsNS6_6detail10functional5actorINSH_9compositeIJNSH_27transparent_binary_operatorINS6_8equal_toIvEEEENSI_INSH_8argumentILj0EEEEENSH_5valueIsEEEEEEEEENSD_19counting_iterator_tIlEES8_S8_S8_S8_S8_S8_S8_S8_EEEEPS9_S9_NSD_9__find_if7functorIS9_EEEE10hipError_tPvRmT1_T2_T3_mT4_P12ihipStream_tbEUlT_E0_NS1_11comp_targetILNS1_3genE10ELNS1_11target_archE1201ELNS1_3gpuE5ELNS1_3repE0EEENS1_30default_config_static_selectorELNS0_4arch9wavefront6targetE1EEEvS17_
	.p2align	8
	.type	_ZN7rocprim17ROCPRIM_400000_NS6detail17trampoline_kernelINS0_14default_configENS1_22reduce_config_selectorIN6thrust23THRUST_200600_302600_NS5tupleIblNS6_9null_typeES8_S8_S8_S8_S8_S8_S8_EEEEZNS1_11reduce_implILb1ES3_NS6_12zip_iteratorINS7_INS6_11hip_rocprim26transform_input_iterator_tIbPsNS6_6detail10functional5actorINSH_9compositeIJNSH_27transparent_binary_operatorINS6_8equal_toIvEEEENSI_INSH_8argumentILj0EEEEENSH_5valueIsEEEEEEEEENSD_19counting_iterator_tIlEES8_S8_S8_S8_S8_S8_S8_S8_EEEEPS9_S9_NSD_9__find_if7functorIS9_EEEE10hipError_tPvRmT1_T2_T3_mT4_P12ihipStream_tbEUlT_E0_NS1_11comp_targetILNS1_3genE10ELNS1_11target_archE1201ELNS1_3gpuE5ELNS1_3repE0EEENS1_30default_config_static_selectorELNS0_4arch9wavefront6targetE1EEEvS17_,@function
_ZN7rocprim17ROCPRIM_400000_NS6detail17trampoline_kernelINS0_14default_configENS1_22reduce_config_selectorIN6thrust23THRUST_200600_302600_NS5tupleIblNS6_9null_typeES8_S8_S8_S8_S8_S8_S8_EEEEZNS1_11reduce_implILb1ES3_NS6_12zip_iteratorINS7_INS6_11hip_rocprim26transform_input_iterator_tIbPsNS6_6detail10functional5actorINSH_9compositeIJNSH_27transparent_binary_operatorINS6_8equal_toIvEEEENSI_INSH_8argumentILj0EEEEENSH_5valueIsEEEEEEEEENSD_19counting_iterator_tIlEES8_S8_S8_S8_S8_S8_S8_S8_EEEEPS9_S9_NSD_9__find_if7functorIS9_EEEE10hipError_tPvRmT1_T2_T3_mT4_P12ihipStream_tbEUlT_E0_NS1_11comp_targetILNS1_3genE10ELNS1_11target_archE1201ELNS1_3gpuE5ELNS1_3repE0EEENS1_30default_config_static_selectorELNS0_4arch9wavefront6targetE1EEEvS17_: ; @_ZN7rocprim17ROCPRIM_400000_NS6detail17trampoline_kernelINS0_14default_configENS1_22reduce_config_selectorIN6thrust23THRUST_200600_302600_NS5tupleIblNS6_9null_typeES8_S8_S8_S8_S8_S8_S8_EEEEZNS1_11reduce_implILb1ES3_NS6_12zip_iteratorINS7_INS6_11hip_rocprim26transform_input_iterator_tIbPsNS6_6detail10functional5actorINSH_9compositeIJNSH_27transparent_binary_operatorINS6_8equal_toIvEEEENSI_INSH_8argumentILj0EEEEENSH_5valueIsEEEEEEEEENSD_19counting_iterator_tIlEES8_S8_S8_S8_S8_S8_S8_S8_EEEEPS9_S9_NSD_9__find_if7functorIS9_EEEE10hipError_tPvRmT1_T2_T3_mT4_P12ihipStream_tbEUlT_E0_NS1_11comp_targetILNS1_3genE10ELNS1_11target_archE1201ELNS1_3gpuE5ELNS1_3repE0EEENS1_30default_config_static_selectorELNS0_4arch9wavefront6targetE1EEEvS17_
; %bb.0:
	.section	.rodata,"a",@progbits
	.p2align	6, 0x0
	.amdhsa_kernel _ZN7rocprim17ROCPRIM_400000_NS6detail17trampoline_kernelINS0_14default_configENS1_22reduce_config_selectorIN6thrust23THRUST_200600_302600_NS5tupleIblNS6_9null_typeES8_S8_S8_S8_S8_S8_S8_EEEEZNS1_11reduce_implILb1ES3_NS6_12zip_iteratorINS7_INS6_11hip_rocprim26transform_input_iterator_tIbPsNS6_6detail10functional5actorINSH_9compositeIJNSH_27transparent_binary_operatorINS6_8equal_toIvEEEENSI_INSH_8argumentILj0EEEEENSH_5valueIsEEEEEEEEENSD_19counting_iterator_tIlEES8_S8_S8_S8_S8_S8_S8_S8_EEEEPS9_S9_NSD_9__find_if7functorIS9_EEEE10hipError_tPvRmT1_T2_T3_mT4_P12ihipStream_tbEUlT_E0_NS1_11comp_targetILNS1_3genE10ELNS1_11target_archE1201ELNS1_3gpuE5ELNS1_3repE0EEENS1_30default_config_static_selectorELNS0_4arch9wavefront6targetE1EEEvS17_
		.amdhsa_group_segment_fixed_size 0
		.amdhsa_private_segment_fixed_size 0
		.amdhsa_kernarg_size 88
		.amdhsa_user_sgpr_count 6
		.amdhsa_user_sgpr_private_segment_buffer 1
		.amdhsa_user_sgpr_dispatch_ptr 0
		.amdhsa_user_sgpr_queue_ptr 0
		.amdhsa_user_sgpr_kernarg_segment_ptr 1
		.amdhsa_user_sgpr_dispatch_id 0
		.amdhsa_user_sgpr_flat_scratch_init 0
		.amdhsa_user_sgpr_kernarg_preload_length 0
		.amdhsa_user_sgpr_kernarg_preload_offset 0
		.amdhsa_user_sgpr_private_segment_size 0
		.amdhsa_uses_dynamic_stack 0
		.amdhsa_system_sgpr_private_segment_wavefront_offset 0
		.amdhsa_system_sgpr_workgroup_id_x 1
		.amdhsa_system_sgpr_workgroup_id_y 0
		.amdhsa_system_sgpr_workgroup_id_z 0
		.amdhsa_system_sgpr_workgroup_info 0
		.amdhsa_system_vgpr_workitem_id 0
		.amdhsa_next_free_vgpr 1
		.amdhsa_next_free_sgpr 0
		.amdhsa_accum_offset 4
		.amdhsa_reserve_vcc 0
		.amdhsa_reserve_flat_scratch 0
		.amdhsa_float_round_mode_32 0
		.amdhsa_float_round_mode_16_64 0
		.amdhsa_float_denorm_mode_32 3
		.amdhsa_float_denorm_mode_16_64 3
		.amdhsa_dx10_clamp 1
		.amdhsa_ieee_mode 1
		.amdhsa_fp16_overflow 0
		.amdhsa_tg_split 0
		.amdhsa_exception_fp_ieee_invalid_op 0
		.amdhsa_exception_fp_denorm_src 0
		.amdhsa_exception_fp_ieee_div_zero 0
		.amdhsa_exception_fp_ieee_overflow 0
		.amdhsa_exception_fp_ieee_underflow 0
		.amdhsa_exception_fp_ieee_inexact 0
		.amdhsa_exception_int_div_zero 0
	.end_amdhsa_kernel
	.section	.text._ZN7rocprim17ROCPRIM_400000_NS6detail17trampoline_kernelINS0_14default_configENS1_22reduce_config_selectorIN6thrust23THRUST_200600_302600_NS5tupleIblNS6_9null_typeES8_S8_S8_S8_S8_S8_S8_EEEEZNS1_11reduce_implILb1ES3_NS6_12zip_iteratorINS7_INS6_11hip_rocprim26transform_input_iterator_tIbPsNS6_6detail10functional5actorINSH_9compositeIJNSH_27transparent_binary_operatorINS6_8equal_toIvEEEENSI_INSH_8argumentILj0EEEEENSH_5valueIsEEEEEEEEENSD_19counting_iterator_tIlEES8_S8_S8_S8_S8_S8_S8_S8_EEEEPS9_S9_NSD_9__find_if7functorIS9_EEEE10hipError_tPvRmT1_T2_T3_mT4_P12ihipStream_tbEUlT_E0_NS1_11comp_targetILNS1_3genE10ELNS1_11target_archE1201ELNS1_3gpuE5ELNS1_3repE0EEENS1_30default_config_static_selectorELNS0_4arch9wavefront6targetE1EEEvS17_,"axG",@progbits,_ZN7rocprim17ROCPRIM_400000_NS6detail17trampoline_kernelINS0_14default_configENS1_22reduce_config_selectorIN6thrust23THRUST_200600_302600_NS5tupleIblNS6_9null_typeES8_S8_S8_S8_S8_S8_S8_EEEEZNS1_11reduce_implILb1ES3_NS6_12zip_iteratorINS7_INS6_11hip_rocprim26transform_input_iterator_tIbPsNS6_6detail10functional5actorINSH_9compositeIJNSH_27transparent_binary_operatorINS6_8equal_toIvEEEENSI_INSH_8argumentILj0EEEEENSH_5valueIsEEEEEEEEENSD_19counting_iterator_tIlEES8_S8_S8_S8_S8_S8_S8_S8_EEEEPS9_S9_NSD_9__find_if7functorIS9_EEEE10hipError_tPvRmT1_T2_T3_mT4_P12ihipStream_tbEUlT_E0_NS1_11comp_targetILNS1_3genE10ELNS1_11target_archE1201ELNS1_3gpuE5ELNS1_3repE0EEENS1_30default_config_static_selectorELNS0_4arch9wavefront6targetE1EEEvS17_,comdat
.Lfunc_end1511:
	.size	_ZN7rocprim17ROCPRIM_400000_NS6detail17trampoline_kernelINS0_14default_configENS1_22reduce_config_selectorIN6thrust23THRUST_200600_302600_NS5tupleIblNS6_9null_typeES8_S8_S8_S8_S8_S8_S8_EEEEZNS1_11reduce_implILb1ES3_NS6_12zip_iteratorINS7_INS6_11hip_rocprim26transform_input_iterator_tIbPsNS6_6detail10functional5actorINSH_9compositeIJNSH_27transparent_binary_operatorINS6_8equal_toIvEEEENSI_INSH_8argumentILj0EEEEENSH_5valueIsEEEEEEEEENSD_19counting_iterator_tIlEES8_S8_S8_S8_S8_S8_S8_S8_EEEEPS9_S9_NSD_9__find_if7functorIS9_EEEE10hipError_tPvRmT1_T2_T3_mT4_P12ihipStream_tbEUlT_E0_NS1_11comp_targetILNS1_3genE10ELNS1_11target_archE1201ELNS1_3gpuE5ELNS1_3repE0EEENS1_30default_config_static_selectorELNS0_4arch9wavefront6targetE1EEEvS17_, .Lfunc_end1511-_ZN7rocprim17ROCPRIM_400000_NS6detail17trampoline_kernelINS0_14default_configENS1_22reduce_config_selectorIN6thrust23THRUST_200600_302600_NS5tupleIblNS6_9null_typeES8_S8_S8_S8_S8_S8_S8_EEEEZNS1_11reduce_implILb1ES3_NS6_12zip_iteratorINS7_INS6_11hip_rocprim26transform_input_iterator_tIbPsNS6_6detail10functional5actorINSH_9compositeIJNSH_27transparent_binary_operatorINS6_8equal_toIvEEEENSI_INSH_8argumentILj0EEEEENSH_5valueIsEEEEEEEEENSD_19counting_iterator_tIlEES8_S8_S8_S8_S8_S8_S8_S8_EEEEPS9_S9_NSD_9__find_if7functorIS9_EEEE10hipError_tPvRmT1_T2_T3_mT4_P12ihipStream_tbEUlT_E0_NS1_11comp_targetILNS1_3genE10ELNS1_11target_archE1201ELNS1_3gpuE5ELNS1_3repE0EEENS1_30default_config_static_selectorELNS0_4arch9wavefront6targetE1EEEvS17_
                                        ; -- End function
	.section	.AMDGPU.csdata,"",@progbits
; Kernel info:
; codeLenInByte = 0
; NumSgprs: 4
; NumVgprs: 0
; NumAgprs: 0
; TotalNumVgprs: 0
; ScratchSize: 0
; MemoryBound: 0
; FloatMode: 240
; IeeeMode: 1
; LDSByteSize: 0 bytes/workgroup (compile time only)
; SGPRBlocks: 0
; VGPRBlocks: 0
; NumSGPRsForWavesPerEU: 4
; NumVGPRsForWavesPerEU: 1
; AccumOffset: 4
; Occupancy: 8
; WaveLimiterHint : 0
; COMPUTE_PGM_RSRC2:SCRATCH_EN: 0
; COMPUTE_PGM_RSRC2:USER_SGPR: 6
; COMPUTE_PGM_RSRC2:TRAP_HANDLER: 0
; COMPUTE_PGM_RSRC2:TGID_X_EN: 1
; COMPUTE_PGM_RSRC2:TGID_Y_EN: 0
; COMPUTE_PGM_RSRC2:TGID_Z_EN: 0
; COMPUTE_PGM_RSRC2:TIDIG_COMP_CNT: 0
; COMPUTE_PGM_RSRC3_GFX90A:ACCUM_OFFSET: 0
; COMPUTE_PGM_RSRC3_GFX90A:TG_SPLIT: 0
	.section	.text._ZN7rocprim17ROCPRIM_400000_NS6detail17trampoline_kernelINS0_14default_configENS1_22reduce_config_selectorIN6thrust23THRUST_200600_302600_NS5tupleIblNS6_9null_typeES8_S8_S8_S8_S8_S8_S8_EEEEZNS1_11reduce_implILb1ES3_NS6_12zip_iteratorINS7_INS6_11hip_rocprim26transform_input_iterator_tIbPsNS6_6detail10functional5actorINSH_9compositeIJNSH_27transparent_binary_operatorINS6_8equal_toIvEEEENSI_INSH_8argumentILj0EEEEENSH_5valueIsEEEEEEEEENSD_19counting_iterator_tIlEES8_S8_S8_S8_S8_S8_S8_S8_EEEEPS9_S9_NSD_9__find_if7functorIS9_EEEE10hipError_tPvRmT1_T2_T3_mT4_P12ihipStream_tbEUlT_E0_NS1_11comp_targetILNS1_3genE10ELNS1_11target_archE1200ELNS1_3gpuE4ELNS1_3repE0EEENS1_30default_config_static_selectorELNS0_4arch9wavefront6targetE1EEEvS17_,"axG",@progbits,_ZN7rocprim17ROCPRIM_400000_NS6detail17trampoline_kernelINS0_14default_configENS1_22reduce_config_selectorIN6thrust23THRUST_200600_302600_NS5tupleIblNS6_9null_typeES8_S8_S8_S8_S8_S8_S8_EEEEZNS1_11reduce_implILb1ES3_NS6_12zip_iteratorINS7_INS6_11hip_rocprim26transform_input_iterator_tIbPsNS6_6detail10functional5actorINSH_9compositeIJNSH_27transparent_binary_operatorINS6_8equal_toIvEEEENSI_INSH_8argumentILj0EEEEENSH_5valueIsEEEEEEEEENSD_19counting_iterator_tIlEES8_S8_S8_S8_S8_S8_S8_S8_EEEEPS9_S9_NSD_9__find_if7functorIS9_EEEE10hipError_tPvRmT1_T2_T3_mT4_P12ihipStream_tbEUlT_E0_NS1_11comp_targetILNS1_3genE10ELNS1_11target_archE1200ELNS1_3gpuE4ELNS1_3repE0EEENS1_30default_config_static_selectorELNS0_4arch9wavefront6targetE1EEEvS17_,comdat
	.protected	_ZN7rocprim17ROCPRIM_400000_NS6detail17trampoline_kernelINS0_14default_configENS1_22reduce_config_selectorIN6thrust23THRUST_200600_302600_NS5tupleIblNS6_9null_typeES8_S8_S8_S8_S8_S8_S8_EEEEZNS1_11reduce_implILb1ES3_NS6_12zip_iteratorINS7_INS6_11hip_rocprim26transform_input_iterator_tIbPsNS6_6detail10functional5actorINSH_9compositeIJNSH_27transparent_binary_operatorINS6_8equal_toIvEEEENSI_INSH_8argumentILj0EEEEENSH_5valueIsEEEEEEEEENSD_19counting_iterator_tIlEES8_S8_S8_S8_S8_S8_S8_S8_EEEEPS9_S9_NSD_9__find_if7functorIS9_EEEE10hipError_tPvRmT1_T2_T3_mT4_P12ihipStream_tbEUlT_E0_NS1_11comp_targetILNS1_3genE10ELNS1_11target_archE1200ELNS1_3gpuE4ELNS1_3repE0EEENS1_30default_config_static_selectorELNS0_4arch9wavefront6targetE1EEEvS17_ ; -- Begin function _ZN7rocprim17ROCPRIM_400000_NS6detail17trampoline_kernelINS0_14default_configENS1_22reduce_config_selectorIN6thrust23THRUST_200600_302600_NS5tupleIblNS6_9null_typeES8_S8_S8_S8_S8_S8_S8_EEEEZNS1_11reduce_implILb1ES3_NS6_12zip_iteratorINS7_INS6_11hip_rocprim26transform_input_iterator_tIbPsNS6_6detail10functional5actorINSH_9compositeIJNSH_27transparent_binary_operatorINS6_8equal_toIvEEEENSI_INSH_8argumentILj0EEEEENSH_5valueIsEEEEEEEEENSD_19counting_iterator_tIlEES8_S8_S8_S8_S8_S8_S8_S8_EEEEPS9_S9_NSD_9__find_if7functorIS9_EEEE10hipError_tPvRmT1_T2_T3_mT4_P12ihipStream_tbEUlT_E0_NS1_11comp_targetILNS1_3genE10ELNS1_11target_archE1200ELNS1_3gpuE4ELNS1_3repE0EEENS1_30default_config_static_selectorELNS0_4arch9wavefront6targetE1EEEvS17_
	.globl	_ZN7rocprim17ROCPRIM_400000_NS6detail17trampoline_kernelINS0_14default_configENS1_22reduce_config_selectorIN6thrust23THRUST_200600_302600_NS5tupleIblNS6_9null_typeES8_S8_S8_S8_S8_S8_S8_EEEEZNS1_11reduce_implILb1ES3_NS6_12zip_iteratorINS7_INS6_11hip_rocprim26transform_input_iterator_tIbPsNS6_6detail10functional5actorINSH_9compositeIJNSH_27transparent_binary_operatorINS6_8equal_toIvEEEENSI_INSH_8argumentILj0EEEEENSH_5valueIsEEEEEEEEENSD_19counting_iterator_tIlEES8_S8_S8_S8_S8_S8_S8_S8_EEEEPS9_S9_NSD_9__find_if7functorIS9_EEEE10hipError_tPvRmT1_T2_T3_mT4_P12ihipStream_tbEUlT_E0_NS1_11comp_targetILNS1_3genE10ELNS1_11target_archE1200ELNS1_3gpuE4ELNS1_3repE0EEENS1_30default_config_static_selectorELNS0_4arch9wavefront6targetE1EEEvS17_
	.p2align	8
	.type	_ZN7rocprim17ROCPRIM_400000_NS6detail17trampoline_kernelINS0_14default_configENS1_22reduce_config_selectorIN6thrust23THRUST_200600_302600_NS5tupleIblNS6_9null_typeES8_S8_S8_S8_S8_S8_S8_EEEEZNS1_11reduce_implILb1ES3_NS6_12zip_iteratorINS7_INS6_11hip_rocprim26transform_input_iterator_tIbPsNS6_6detail10functional5actorINSH_9compositeIJNSH_27transparent_binary_operatorINS6_8equal_toIvEEEENSI_INSH_8argumentILj0EEEEENSH_5valueIsEEEEEEEEENSD_19counting_iterator_tIlEES8_S8_S8_S8_S8_S8_S8_S8_EEEEPS9_S9_NSD_9__find_if7functorIS9_EEEE10hipError_tPvRmT1_T2_T3_mT4_P12ihipStream_tbEUlT_E0_NS1_11comp_targetILNS1_3genE10ELNS1_11target_archE1200ELNS1_3gpuE4ELNS1_3repE0EEENS1_30default_config_static_selectorELNS0_4arch9wavefront6targetE1EEEvS17_,@function
_ZN7rocprim17ROCPRIM_400000_NS6detail17trampoline_kernelINS0_14default_configENS1_22reduce_config_selectorIN6thrust23THRUST_200600_302600_NS5tupleIblNS6_9null_typeES8_S8_S8_S8_S8_S8_S8_EEEEZNS1_11reduce_implILb1ES3_NS6_12zip_iteratorINS7_INS6_11hip_rocprim26transform_input_iterator_tIbPsNS6_6detail10functional5actorINSH_9compositeIJNSH_27transparent_binary_operatorINS6_8equal_toIvEEEENSI_INSH_8argumentILj0EEEEENSH_5valueIsEEEEEEEEENSD_19counting_iterator_tIlEES8_S8_S8_S8_S8_S8_S8_S8_EEEEPS9_S9_NSD_9__find_if7functorIS9_EEEE10hipError_tPvRmT1_T2_T3_mT4_P12ihipStream_tbEUlT_E0_NS1_11comp_targetILNS1_3genE10ELNS1_11target_archE1200ELNS1_3gpuE4ELNS1_3repE0EEENS1_30default_config_static_selectorELNS0_4arch9wavefront6targetE1EEEvS17_: ; @_ZN7rocprim17ROCPRIM_400000_NS6detail17trampoline_kernelINS0_14default_configENS1_22reduce_config_selectorIN6thrust23THRUST_200600_302600_NS5tupleIblNS6_9null_typeES8_S8_S8_S8_S8_S8_S8_EEEEZNS1_11reduce_implILb1ES3_NS6_12zip_iteratorINS7_INS6_11hip_rocprim26transform_input_iterator_tIbPsNS6_6detail10functional5actorINSH_9compositeIJNSH_27transparent_binary_operatorINS6_8equal_toIvEEEENSI_INSH_8argumentILj0EEEEENSH_5valueIsEEEEEEEEENSD_19counting_iterator_tIlEES8_S8_S8_S8_S8_S8_S8_S8_EEEEPS9_S9_NSD_9__find_if7functorIS9_EEEE10hipError_tPvRmT1_T2_T3_mT4_P12ihipStream_tbEUlT_E0_NS1_11comp_targetILNS1_3genE10ELNS1_11target_archE1200ELNS1_3gpuE4ELNS1_3repE0EEENS1_30default_config_static_selectorELNS0_4arch9wavefront6targetE1EEEvS17_
; %bb.0:
	.section	.rodata,"a",@progbits
	.p2align	6, 0x0
	.amdhsa_kernel _ZN7rocprim17ROCPRIM_400000_NS6detail17trampoline_kernelINS0_14default_configENS1_22reduce_config_selectorIN6thrust23THRUST_200600_302600_NS5tupleIblNS6_9null_typeES8_S8_S8_S8_S8_S8_S8_EEEEZNS1_11reduce_implILb1ES3_NS6_12zip_iteratorINS7_INS6_11hip_rocprim26transform_input_iterator_tIbPsNS6_6detail10functional5actorINSH_9compositeIJNSH_27transparent_binary_operatorINS6_8equal_toIvEEEENSI_INSH_8argumentILj0EEEEENSH_5valueIsEEEEEEEEENSD_19counting_iterator_tIlEES8_S8_S8_S8_S8_S8_S8_S8_EEEEPS9_S9_NSD_9__find_if7functorIS9_EEEE10hipError_tPvRmT1_T2_T3_mT4_P12ihipStream_tbEUlT_E0_NS1_11comp_targetILNS1_3genE10ELNS1_11target_archE1200ELNS1_3gpuE4ELNS1_3repE0EEENS1_30default_config_static_selectorELNS0_4arch9wavefront6targetE1EEEvS17_
		.amdhsa_group_segment_fixed_size 0
		.amdhsa_private_segment_fixed_size 0
		.amdhsa_kernarg_size 88
		.amdhsa_user_sgpr_count 6
		.amdhsa_user_sgpr_private_segment_buffer 1
		.amdhsa_user_sgpr_dispatch_ptr 0
		.amdhsa_user_sgpr_queue_ptr 0
		.amdhsa_user_sgpr_kernarg_segment_ptr 1
		.amdhsa_user_sgpr_dispatch_id 0
		.amdhsa_user_sgpr_flat_scratch_init 0
		.amdhsa_user_sgpr_kernarg_preload_length 0
		.amdhsa_user_sgpr_kernarg_preload_offset 0
		.amdhsa_user_sgpr_private_segment_size 0
		.amdhsa_uses_dynamic_stack 0
		.amdhsa_system_sgpr_private_segment_wavefront_offset 0
		.amdhsa_system_sgpr_workgroup_id_x 1
		.amdhsa_system_sgpr_workgroup_id_y 0
		.amdhsa_system_sgpr_workgroup_id_z 0
		.amdhsa_system_sgpr_workgroup_info 0
		.amdhsa_system_vgpr_workitem_id 0
		.amdhsa_next_free_vgpr 1
		.amdhsa_next_free_sgpr 0
		.amdhsa_accum_offset 4
		.amdhsa_reserve_vcc 0
		.amdhsa_reserve_flat_scratch 0
		.amdhsa_float_round_mode_32 0
		.amdhsa_float_round_mode_16_64 0
		.amdhsa_float_denorm_mode_32 3
		.amdhsa_float_denorm_mode_16_64 3
		.amdhsa_dx10_clamp 1
		.amdhsa_ieee_mode 1
		.amdhsa_fp16_overflow 0
		.amdhsa_tg_split 0
		.amdhsa_exception_fp_ieee_invalid_op 0
		.amdhsa_exception_fp_denorm_src 0
		.amdhsa_exception_fp_ieee_div_zero 0
		.amdhsa_exception_fp_ieee_overflow 0
		.amdhsa_exception_fp_ieee_underflow 0
		.amdhsa_exception_fp_ieee_inexact 0
		.amdhsa_exception_int_div_zero 0
	.end_amdhsa_kernel
	.section	.text._ZN7rocprim17ROCPRIM_400000_NS6detail17trampoline_kernelINS0_14default_configENS1_22reduce_config_selectorIN6thrust23THRUST_200600_302600_NS5tupleIblNS6_9null_typeES8_S8_S8_S8_S8_S8_S8_EEEEZNS1_11reduce_implILb1ES3_NS6_12zip_iteratorINS7_INS6_11hip_rocprim26transform_input_iterator_tIbPsNS6_6detail10functional5actorINSH_9compositeIJNSH_27transparent_binary_operatorINS6_8equal_toIvEEEENSI_INSH_8argumentILj0EEEEENSH_5valueIsEEEEEEEEENSD_19counting_iterator_tIlEES8_S8_S8_S8_S8_S8_S8_S8_EEEEPS9_S9_NSD_9__find_if7functorIS9_EEEE10hipError_tPvRmT1_T2_T3_mT4_P12ihipStream_tbEUlT_E0_NS1_11comp_targetILNS1_3genE10ELNS1_11target_archE1200ELNS1_3gpuE4ELNS1_3repE0EEENS1_30default_config_static_selectorELNS0_4arch9wavefront6targetE1EEEvS17_,"axG",@progbits,_ZN7rocprim17ROCPRIM_400000_NS6detail17trampoline_kernelINS0_14default_configENS1_22reduce_config_selectorIN6thrust23THRUST_200600_302600_NS5tupleIblNS6_9null_typeES8_S8_S8_S8_S8_S8_S8_EEEEZNS1_11reduce_implILb1ES3_NS6_12zip_iteratorINS7_INS6_11hip_rocprim26transform_input_iterator_tIbPsNS6_6detail10functional5actorINSH_9compositeIJNSH_27transparent_binary_operatorINS6_8equal_toIvEEEENSI_INSH_8argumentILj0EEEEENSH_5valueIsEEEEEEEEENSD_19counting_iterator_tIlEES8_S8_S8_S8_S8_S8_S8_S8_EEEEPS9_S9_NSD_9__find_if7functorIS9_EEEE10hipError_tPvRmT1_T2_T3_mT4_P12ihipStream_tbEUlT_E0_NS1_11comp_targetILNS1_3genE10ELNS1_11target_archE1200ELNS1_3gpuE4ELNS1_3repE0EEENS1_30default_config_static_selectorELNS0_4arch9wavefront6targetE1EEEvS17_,comdat
.Lfunc_end1512:
	.size	_ZN7rocprim17ROCPRIM_400000_NS6detail17trampoline_kernelINS0_14default_configENS1_22reduce_config_selectorIN6thrust23THRUST_200600_302600_NS5tupleIblNS6_9null_typeES8_S8_S8_S8_S8_S8_S8_EEEEZNS1_11reduce_implILb1ES3_NS6_12zip_iteratorINS7_INS6_11hip_rocprim26transform_input_iterator_tIbPsNS6_6detail10functional5actorINSH_9compositeIJNSH_27transparent_binary_operatorINS6_8equal_toIvEEEENSI_INSH_8argumentILj0EEEEENSH_5valueIsEEEEEEEEENSD_19counting_iterator_tIlEES8_S8_S8_S8_S8_S8_S8_S8_EEEEPS9_S9_NSD_9__find_if7functorIS9_EEEE10hipError_tPvRmT1_T2_T3_mT4_P12ihipStream_tbEUlT_E0_NS1_11comp_targetILNS1_3genE10ELNS1_11target_archE1200ELNS1_3gpuE4ELNS1_3repE0EEENS1_30default_config_static_selectorELNS0_4arch9wavefront6targetE1EEEvS17_, .Lfunc_end1512-_ZN7rocprim17ROCPRIM_400000_NS6detail17trampoline_kernelINS0_14default_configENS1_22reduce_config_selectorIN6thrust23THRUST_200600_302600_NS5tupleIblNS6_9null_typeES8_S8_S8_S8_S8_S8_S8_EEEEZNS1_11reduce_implILb1ES3_NS6_12zip_iteratorINS7_INS6_11hip_rocprim26transform_input_iterator_tIbPsNS6_6detail10functional5actorINSH_9compositeIJNSH_27transparent_binary_operatorINS6_8equal_toIvEEEENSI_INSH_8argumentILj0EEEEENSH_5valueIsEEEEEEEEENSD_19counting_iterator_tIlEES8_S8_S8_S8_S8_S8_S8_S8_EEEEPS9_S9_NSD_9__find_if7functorIS9_EEEE10hipError_tPvRmT1_T2_T3_mT4_P12ihipStream_tbEUlT_E0_NS1_11comp_targetILNS1_3genE10ELNS1_11target_archE1200ELNS1_3gpuE4ELNS1_3repE0EEENS1_30default_config_static_selectorELNS0_4arch9wavefront6targetE1EEEvS17_
                                        ; -- End function
	.section	.AMDGPU.csdata,"",@progbits
; Kernel info:
; codeLenInByte = 0
; NumSgprs: 4
; NumVgprs: 0
; NumAgprs: 0
; TotalNumVgprs: 0
; ScratchSize: 0
; MemoryBound: 0
; FloatMode: 240
; IeeeMode: 1
; LDSByteSize: 0 bytes/workgroup (compile time only)
; SGPRBlocks: 0
; VGPRBlocks: 0
; NumSGPRsForWavesPerEU: 4
; NumVGPRsForWavesPerEU: 1
; AccumOffset: 4
; Occupancy: 8
; WaveLimiterHint : 0
; COMPUTE_PGM_RSRC2:SCRATCH_EN: 0
; COMPUTE_PGM_RSRC2:USER_SGPR: 6
; COMPUTE_PGM_RSRC2:TRAP_HANDLER: 0
; COMPUTE_PGM_RSRC2:TGID_X_EN: 1
; COMPUTE_PGM_RSRC2:TGID_Y_EN: 0
; COMPUTE_PGM_RSRC2:TGID_Z_EN: 0
; COMPUTE_PGM_RSRC2:TIDIG_COMP_CNT: 0
; COMPUTE_PGM_RSRC3_GFX90A:ACCUM_OFFSET: 0
; COMPUTE_PGM_RSRC3_GFX90A:TG_SPLIT: 0
	.section	.text._ZN7rocprim17ROCPRIM_400000_NS6detail17trampoline_kernelINS0_14default_configENS1_22reduce_config_selectorIN6thrust23THRUST_200600_302600_NS5tupleIblNS6_9null_typeES8_S8_S8_S8_S8_S8_S8_EEEEZNS1_11reduce_implILb1ES3_NS6_12zip_iteratorINS7_INS6_11hip_rocprim26transform_input_iterator_tIbPsNS6_6detail10functional5actorINSH_9compositeIJNSH_27transparent_binary_operatorINS6_8equal_toIvEEEENSI_INSH_8argumentILj0EEEEENSH_5valueIsEEEEEEEEENSD_19counting_iterator_tIlEES8_S8_S8_S8_S8_S8_S8_S8_EEEEPS9_S9_NSD_9__find_if7functorIS9_EEEE10hipError_tPvRmT1_T2_T3_mT4_P12ihipStream_tbEUlT_E0_NS1_11comp_targetILNS1_3genE9ELNS1_11target_archE1100ELNS1_3gpuE3ELNS1_3repE0EEENS1_30default_config_static_selectorELNS0_4arch9wavefront6targetE1EEEvS17_,"axG",@progbits,_ZN7rocprim17ROCPRIM_400000_NS6detail17trampoline_kernelINS0_14default_configENS1_22reduce_config_selectorIN6thrust23THRUST_200600_302600_NS5tupleIblNS6_9null_typeES8_S8_S8_S8_S8_S8_S8_EEEEZNS1_11reduce_implILb1ES3_NS6_12zip_iteratorINS7_INS6_11hip_rocprim26transform_input_iterator_tIbPsNS6_6detail10functional5actorINSH_9compositeIJNSH_27transparent_binary_operatorINS6_8equal_toIvEEEENSI_INSH_8argumentILj0EEEEENSH_5valueIsEEEEEEEEENSD_19counting_iterator_tIlEES8_S8_S8_S8_S8_S8_S8_S8_EEEEPS9_S9_NSD_9__find_if7functorIS9_EEEE10hipError_tPvRmT1_T2_T3_mT4_P12ihipStream_tbEUlT_E0_NS1_11comp_targetILNS1_3genE9ELNS1_11target_archE1100ELNS1_3gpuE3ELNS1_3repE0EEENS1_30default_config_static_selectorELNS0_4arch9wavefront6targetE1EEEvS17_,comdat
	.protected	_ZN7rocprim17ROCPRIM_400000_NS6detail17trampoline_kernelINS0_14default_configENS1_22reduce_config_selectorIN6thrust23THRUST_200600_302600_NS5tupleIblNS6_9null_typeES8_S8_S8_S8_S8_S8_S8_EEEEZNS1_11reduce_implILb1ES3_NS6_12zip_iteratorINS7_INS6_11hip_rocprim26transform_input_iterator_tIbPsNS6_6detail10functional5actorINSH_9compositeIJNSH_27transparent_binary_operatorINS6_8equal_toIvEEEENSI_INSH_8argumentILj0EEEEENSH_5valueIsEEEEEEEEENSD_19counting_iterator_tIlEES8_S8_S8_S8_S8_S8_S8_S8_EEEEPS9_S9_NSD_9__find_if7functorIS9_EEEE10hipError_tPvRmT1_T2_T3_mT4_P12ihipStream_tbEUlT_E0_NS1_11comp_targetILNS1_3genE9ELNS1_11target_archE1100ELNS1_3gpuE3ELNS1_3repE0EEENS1_30default_config_static_selectorELNS0_4arch9wavefront6targetE1EEEvS17_ ; -- Begin function _ZN7rocprim17ROCPRIM_400000_NS6detail17trampoline_kernelINS0_14default_configENS1_22reduce_config_selectorIN6thrust23THRUST_200600_302600_NS5tupleIblNS6_9null_typeES8_S8_S8_S8_S8_S8_S8_EEEEZNS1_11reduce_implILb1ES3_NS6_12zip_iteratorINS7_INS6_11hip_rocprim26transform_input_iterator_tIbPsNS6_6detail10functional5actorINSH_9compositeIJNSH_27transparent_binary_operatorINS6_8equal_toIvEEEENSI_INSH_8argumentILj0EEEEENSH_5valueIsEEEEEEEEENSD_19counting_iterator_tIlEES8_S8_S8_S8_S8_S8_S8_S8_EEEEPS9_S9_NSD_9__find_if7functorIS9_EEEE10hipError_tPvRmT1_T2_T3_mT4_P12ihipStream_tbEUlT_E0_NS1_11comp_targetILNS1_3genE9ELNS1_11target_archE1100ELNS1_3gpuE3ELNS1_3repE0EEENS1_30default_config_static_selectorELNS0_4arch9wavefront6targetE1EEEvS17_
	.globl	_ZN7rocprim17ROCPRIM_400000_NS6detail17trampoline_kernelINS0_14default_configENS1_22reduce_config_selectorIN6thrust23THRUST_200600_302600_NS5tupleIblNS6_9null_typeES8_S8_S8_S8_S8_S8_S8_EEEEZNS1_11reduce_implILb1ES3_NS6_12zip_iteratorINS7_INS6_11hip_rocprim26transform_input_iterator_tIbPsNS6_6detail10functional5actorINSH_9compositeIJNSH_27transparent_binary_operatorINS6_8equal_toIvEEEENSI_INSH_8argumentILj0EEEEENSH_5valueIsEEEEEEEEENSD_19counting_iterator_tIlEES8_S8_S8_S8_S8_S8_S8_S8_EEEEPS9_S9_NSD_9__find_if7functorIS9_EEEE10hipError_tPvRmT1_T2_T3_mT4_P12ihipStream_tbEUlT_E0_NS1_11comp_targetILNS1_3genE9ELNS1_11target_archE1100ELNS1_3gpuE3ELNS1_3repE0EEENS1_30default_config_static_selectorELNS0_4arch9wavefront6targetE1EEEvS17_
	.p2align	8
	.type	_ZN7rocprim17ROCPRIM_400000_NS6detail17trampoline_kernelINS0_14default_configENS1_22reduce_config_selectorIN6thrust23THRUST_200600_302600_NS5tupleIblNS6_9null_typeES8_S8_S8_S8_S8_S8_S8_EEEEZNS1_11reduce_implILb1ES3_NS6_12zip_iteratorINS7_INS6_11hip_rocprim26transform_input_iterator_tIbPsNS6_6detail10functional5actorINSH_9compositeIJNSH_27transparent_binary_operatorINS6_8equal_toIvEEEENSI_INSH_8argumentILj0EEEEENSH_5valueIsEEEEEEEEENSD_19counting_iterator_tIlEES8_S8_S8_S8_S8_S8_S8_S8_EEEEPS9_S9_NSD_9__find_if7functorIS9_EEEE10hipError_tPvRmT1_T2_T3_mT4_P12ihipStream_tbEUlT_E0_NS1_11comp_targetILNS1_3genE9ELNS1_11target_archE1100ELNS1_3gpuE3ELNS1_3repE0EEENS1_30default_config_static_selectorELNS0_4arch9wavefront6targetE1EEEvS17_,@function
_ZN7rocprim17ROCPRIM_400000_NS6detail17trampoline_kernelINS0_14default_configENS1_22reduce_config_selectorIN6thrust23THRUST_200600_302600_NS5tupleIblNS6_9null_typeES8_S8_S8_S8_S8_S8_S8_EEEEZNS1_11reduce_implILb1ES3_NS6_12zip_iteratorINS7_INS6_11hip_rocprim26transform_input_iterator_tIbPsNS6_6detail10functional5actorINSH_9compositeIJNSH_27transparent_binary_operatorINS6_8equal_toIvEEEENSI_INSH_8argumentILj0EEEEENSH_5valueIsEEEEEEEEENSD_19counting_iterator_tIlEES8_S8_S8_S8_S8_S8_S8_S8_EEEEPS9_S9_NSD_9__find_if7functorIS9_EEEE10hipError_tPvRmT1_T2_T3_mT4_P12ihipStream_tbEUlT_E0_NS1_11comp_targetILNS1_3genE9ELNS1_11target_archE1100ELNS1_3gpuE3ELNS1_3repE0EEENS1_30default_config_static_selectorELNS0_4arch9wavefront6targetE1EEEvS17_: ; @_ZN7rocprim17ROCPRIM_400000_NS6detail17trampoline_kernelINS0_14default_configENS1_22reduce_config_selectorIN6thrust23THRUST_200600_302600_NS5tupleIblNS6_9null_typeES8_S8_S8_S8_S8_S8_S8_EEEEZNS1_11reduce_implILb1ES3_NS6_12zip_iteratorINS7_INS6_11hip_rocprim26transform_input_iterator_tIbPsNS6_6detail10functional5actorINSH_9compositeIJNSH_27transparent_binary_operatorINS6_8equal_toIvEEEENSI_INSH_8argumentILj0EEEEENSH_5valueIsEEEEEEEEENSD_19counting_iterator_tIlEES8_S8_S8_S8_S8_S8_S8_S8_EEEEPS9_S9_NSD_9__find_if7functorIS9_EEEE10hipError_tPvRmT1_T2_T3_mT4_P12ihipStream_tbEUlT_E0_NS1_11comp_targetILNS1_3genE9ELNS1_11target_archE1100ELNS1_3gpuE3ELNS1_3repE0EEENS1_30default_config_static_selectorELNS0_4arch9wavefront6targetE1EEEvS17_
; %bb.0:
	.section	.rodata,"a",@progbits
	.p2align	6, 0x0
	.amdhsa_kernel _ZN7rocprim17ROCPRIM_400000_NS6detail17trampoline_kernelINS0_14default_configENS1_22reduce_config_selectorIN6thrust23THRUST_200600_302600_NS5tupleIblNS6_9null_typeES8_S8_S8_S8_S8_S8_S8_EEEEZNS1_11reduce_implILb1ES3_NS6_12zip_iteratorINS7_INS6_11hip_rocprim26transform_input_iterator_tIbPsNS6_6detail10functional5actorINSH_9compositeIJNSH_27transparent_binary_operatorINS6_8equal_toIvEEEENSI_INSH_8argumentILj0EEEEENSH_5valueIsEEEEEEEEENSD_19counting_iterator_tIlEES8_S8_S8_S8_S8_S8_S8_S8_EEEEPS9_S9_NSD_9__find_if7functorIS9_EEEE10hipError_tPvRmT1_T2_T3_mT4_P12ihipStream_tbEUlT_E0_NS1_11comp_targetILNS1_3genE9ELNS1_11target_archE1100ELNS1_3gpuE3ELNS1_3repE0EEENS1_30default_config_static_selectorELNS0_4arch9wavefront6targetE1EEEvS17_
		.amdhsa_group_segment_fixed_size 0
		.amdhsa_private_segment_fixed_size 0
		.amdhsa_kernarg_size 88
		.amdhsa_user_sgpr_count 6
		.amdhsa_user_sgpr_private_segment_buffer 1
		.amdhsa_user_sgpr_dispatch_ptr 0
		.amdhsa_user_sgpr_queue_ptr 0
		.amdhsa_user_sgpr_kernarg_segment_ptr 1
		.amdhsa_user_sgpr_dispatch_id 0
		.amdhsa_user_sgpr_flat_scratch_init 0
		.amdhsa_user_sgpr_kernarg_preload_length 0
		.amdhsa_user_sgpr_kernarg_preload_offset 0
		.amdhsa_user_sgpr_private_segment_size 0
		.amdhsa_uses_dynamic_stack 0
		.amdhsa_system_sgpr_private_segment_wavefront_offset 0
		.amdhsa_system_sgpr_workgroup_id_x 1
		.amdhsa_system_sgpr_workgroup_id_y 0
		.amdhsa_system_sgpr_workgroup_id_z 0
		.amdhsa_system_sgpr_workgroup_info 0
		.amdhsa_system_vgpr_workitem_id 0
		.amdhsa_next_free_vgpr 1
		.amdhsa_next_free_sgpr 0
		.amdhsa_accum_offset 4
		.amdhsa_reserve_vcc 0
		.amdhsa_reserve_flat_scratch 0
		.amdhsa_float_round_mode_32 0
		.amdhsa_float_round_mode_16_64 0
		.amdhsa_float_denorm_mode_32 3
		.amdhsa_float_denorm_mode_16_64 3
		.amdhsa_dx10_clamp 1
		.amdhsa_ieee_mode 1
		.amdhsa_fp16_overflow 0
		.amdhsa_tg_split 0
		.amdhsa_exception_fp_ieee_invalid_op 0
		.amdhsa_exception_fp_denorm_src 0
		.amdhsa_exception_fp_ieee_div_zero 0
		.amdhsa_exception_fp_ieee_overflow 0
		.amdhsa_exception_fp_ieee_underflow 0
		.amdhsa_exception_fp_ieee_inexact 0
		.amdhsa_exception_int_div_zero 0
	.end_amdhsa_kernel
	.section	.text._ZN7rocprim17ROCPRIM_400000_NS6detail17trampoline_kernelINS0_14default_configENS1_22reduce_config_selectorIN6thrust23THRUST_200600_302600_NS5tupleIblNS6_9null_typeES8_S8_S8_S8_S8_S8_S8_EEEEZNS1_11reduce_implILb1ES3_NS6_12zip_iteratorINS7_INS6_11hip_rocprim26transform_input_iterator_tIbPsNS6_6detail10functional5actorINSH_9compositeIJNSH_27transparent_binary_operatorINS6_8equal_toIvEEEENSI_INSH_8argumentILj0EEEEENSH_5valueIsEEEEEEEEENSD_19counting_iterator_tIlEES8_S8_S8_S8_S8_S8_S8_S8_EEEEPS9_S9_NSD_9__find_if7functorIS9_EEEE10hipError_tPvRmT1_T2_T3_mT4_P12ihipStream_tbEUlT_E0_NS1_11comp_targetILNS1_3genE9ELNS1_11target_archE1100ELNS1_3gpuE3ELNS1_3repE0EEENS1_30default_config_static_selectorELNS0_4arch9wavefront6targetE1EEEvS17_,"axG",@progbits,_ZN7rocprim17ROCPRIM_400000_NS6detail17trampoline_kernelINS0_14default_configENS1_22reduce_config_selectorIN6thrust23THRUST_200600_302600_NS5tupleIblNS6_9null_typeES8_S8_S8_S8_S8_S8_S8_EEEEZNS1_11reduce_implILb1ES3_NS6_12zip_iteratorINS7_INS6_11hip_rocprim26transform_input_iterator_tIbPsNS6_6detail10functional5actorINSH_9compositeIJNSH_27transparent_binary_operatorINS6_8equal_toIvEEEENSI_INSH_8argumentILj0EEEEENSH_5valueIsEEEEEEEEENSD_19counting_iterator_tIlEES8_S8_S8_S8_S8_S8_S8_S8_EEEEPS9_S9_NSD_9__find_if7functorIS9_EEEE10hipError_tPvRmT1_T2_T3_mT4_P12ihipStream_tbEUlT_E0_NS1_11comp_targetILNS1_3genE9ELNS1_11target_archE1100ELNS1_3gpuE3ELNS1_3repE0EEENS1_30default_config_static_selectorELNS0_4arch9wavefront6targetE1EEEvS17_,comdat
.Lfunc_end1513:
	.size	_ZN7rocprim17ROCPRIM_400000_NS6detail17trampoline_kernelINS0_14default_configENS1_22reduce_config_selectorIN6thrust23THRUST_200600_302600_NS5tupleIblNS6_9null_typeES8_S8_S8_S8_S8_S8_S8_EEEEZNS1_11reduce_implILb1ES3_NS6_12zip_iteratorINS7_INS6_11hip_rocprim26transform_input_iterator_tIbPsNS6_6detail10functional5actorINSH_9compositeIJNSH_27transparent_binary_operatorINS6_8equal_toIvEEEENSI_INSH_8argumentILj0EEEEENSH_5valueIsEEEEEEEEENSD_19counting_iterator_tIlEES8_S8_S8_S8_S8_S8_S8_S8_EEEEPS9_S9_NSD_9__find_if7functorIS9_EEEE10hipError_tPvRmT1_T2_T3_mT4_P12ihipStream_tbEUlT_E0_NS1_11comp_targetILNS1_3genE9ELNS1_11target_archE1100ELNS1_3gpuE3ELNS1_3repE0EEENS1_30default_config_static_selectorELNS0_4arch9wavefront6targetE1EEEvS17_, .Lfunc_end1513-_ZN7rocprim17ROCPRIM_400000_NS6detail17trampoline_kernelINS0_14default_configENS1_22reduce_config_selectorIN6thrust23THRUST_200600_302600_NS5tupleIblNS6_9null_typeES8_S8_S8_S8_S8_S8_S8_EEEEZNS1_11reduce_implILb1ES3_NS6_12zip_iteratorINS7_INS6_11hip_rocprim26transform_input_iterator_tIbPsNS6_6detail10functional5actorINSH_9compositeIJNSH_27transparent_binary_operatorINS6_8equal_toIvEEEENSI_INSH_8argumentILj0EEEEENSH_5valueIsEEEEEEEEENSD_19counting_iterator_tIlEES8_S8_S8_S8_S8_S8_S8_S8_EEEEPS9_S9_NSD_9__find_if7functorIS9_EEEE10hipError_tPvRmT1_T2_T3_mT4_P12ihipStream_tbEUlT_E0_NS1_11comp_targetILNS1_3genE9ELNS1_11target_archE1100ELNS1_3gpuE3ELNS1_3repE0EEENS1_30default_config_static_selectorELNS0_4arch9wavefront6targetE1EEEvS17_
                                        ; -- End function
	.section	.AMDGPU.csdata,"",@progbits
; Kernel info:
; codeLenInByte = 0
; NumSgprs: 4
; NumVgprs: 0
; NumAgprs: 0
; TotalNumVgprs: 0
; ScratchSize: 0
; MemoryBound: 0
; FloatMode: 240
; IeeeMode: 1
; LDSByteSize: 0 bytes/workgroup (compile time only)
; SGPRBlocks: 0
; VGPRBlocks: 0
; NumSGPRsForWavesPerEU: 4
; NumVGPRsForWavesPerEU: 1
; AccumOffset: 4
; Occupancy: 8
; WaveLimiterHint : 0
; COMPUTE_PGM_RSRC2:SCRATCH_EN: 0
; COMPUTE_PGM_RSRC2:USER_SGPR: 6
; COMPUTE_PGM_RSRC2:TRAP_HANDLER: 0
; COMPUTE_PGM_RSRC2:TGID_X_EN: 1
; COMPUTE_PGM_RSRC2:TGID_Y_EN: 0
; COMPUTE_PGM_RSRC2:TGID_Z_EN: 0
; COMPUTE_PGM_RSRC2:TIDIG_COMP_CNT: 0
; COMPUTE_PGM_RSRC3_GFX90A:ACCUM_OFFSET: 0
; COMPUTE_PGM_RSRC3_GFX90A:TG_SPLIT: 0
	.section	.text._ZN7rocprim17ROCPRIM_400000_NS6detail17trampoline_kernelINS0_14default_configENS1_22reduce_config_selectorIN6thrust23THRUST_200600_302600_NS5tupleIblNS6_9null_typeES8_S8_S8_S8_S8_S8_S8_EEEEZNS1_11reduce_implILb1ES3_NS6_12zip_iteratorINS7_INS6_11hip_rocprim26transform_input_iterator_tIbPsNS6_6detail10functional5actorINSH_9compositeIJNSH_27transparent_binary_operatorINS6_8equal_toIvEEEENSI_INSH_8argumentILj0EEEEENSH_5valueIsEEEEEEEEENSD_19counting_iterator_tIlEES8_S8_S8_S8_S8_S8_S8_S8_EEEEPS9_S9_NSD_9__find_if7functorIS9_EEEE10hipError_tPvRmT1_T2_T3_mT4_P12ihipStream_tbEUlT_E0_NS1_11comp_targetILNS1_3genE8ELNS1_11target_archE1030ELNS1_3gpuE2ELNS1_3repE0EEENS1_30default_config_static_selectorELNS0_4arch9wavefront6targetE1EEEvS17_,"axG",@progbits,_ZN7rocprim17ROCPRIM_400000_NS6detail17trampoline_kernelINS0_14default_configENS1_22reduce_config_selectorIN6thrust23THRUST_200600_302600_NS5tupleIblNS6_9null_typeES8_S8_S8_S8_S8_S8_S8_EEEEZNS1_11reduce_implILb1ES3_NS6_12zip_iteratorINS7_INS6_11hip_rocprim26transform_input_iterator_tIbPsNS6_6detail10functional5actorINSH_9compositeIJNSH_27transparent_binary_operatorINS6_8equal_toIvEEEENSI_INSH_8argumentILj0EEEEENSH_5valueIsEEEEEEEEENSD_19counting_iterator_tIlEES8_S8_S8_S8_S8_S8_S8_S8_EEEEPS9_S9_NSD_9__find_if7functorIS9_EEEE10hipError_tPvRmT1_T2_T3_mT4_P12ihipStream_tbEUlT_E0_NS1_11comp_targetILNS1_3genE8ELNS1_11target_archE1030ELNS1_3gpuE2ELNS1_3repE0EEENS1_30default_config_static_selectorELNS0_4arch9wavefront6targetE1EEEvS17_,comdat
	.protected	_ZN7rocprim17ROCPRIM_400000_NS6detail17trampoline_kernelINS0_14default_configENS1_22reduce_config_selectorIN6thrust23THRUST_200600_302600_NS5tupleIblNS6_9null_typeES8_S8_S8_S8_S8_S8_S8_EEEEZNS1_11reduce_implILb1ES3_NS6_12zip_iteratorINS7_INS6_11hip_rocprim26transform_input_iterator_tIbPsNS6_6detail10functional5actorINSH_9compositeIJNSH_27transparent_binary_operatorINS6_8equal_toIvEEEENSI_INSH_8argumentILj0EEEEENSH_5valueIsEEEEEEEEENSD_19counting_iterator_tIlEES8_S8_S8_S8_S8_S8_S8_S8_EEEEPS9_S9_NSD_9__find_if7functorIS9_EEEE10hipError_tPvRmT1_T2_T3_mT4_P12ihipStream_tbEUlT_E0_NS1_11comp_targetILNS1_3genE8ELNS1_11target_archE1030ELNS1_3gpuE2ELNS1_3repE0EEENS1_30default_config_static_selectorELNS0_4arch9wavefront6targetE1EEEvS17_ ; -- Begin function _ZN7rocprim17ROCPRIM_400000_NS6detail17trampoline_kernelINS0_14default_configENS1_22reduce_config_selectorIN6thrust23THRUST_200600_302600_NS5tupleIblNS6_9null_typeES8_S8_S8_S8_S8_S8_S8_EEEEZNS1_11reduce_implILb1ES3_NS6_12zip_iteratorINS7_INS6_11hip_rocprim26transform_input_iterator_tIbPsNS6_6detail10functional5actorINSH_9compositeIJNSH_27transparent_binary_operatorINS6_8equal_toIvEEEENSI_INSH_8argumentILj0EEEEENSH_5valueIsEEEEEEEEENSD_19counting_iterator_tIlEES8_S8_S8_S8_S8_S8_S8_S8_EEEEPS9_S9_NSD_9__find_if7functorIS9_EEEE10hipError_tPvRmT1_T2_T3_mT4_P12ihipStream_tbEUlT_E0_NS1_11comp_targetILNS1_3genE8ELNS1_11target_archE1030ELNS1_3gpuE2ELNS1_3repE0EEENS1_30default_config_static_selectorELNS0_4arch9wavefront6targetE1EEEvS17_
	.globl	_ZN7rocprim17ROCPRIM_400000_NS6detail17trampoline_kernelINS0_14default_configENS1_22reduce_config_selectorIN6thrust23THRUST_200600_302600_NS5tupleIblNS6_9null_typeES8_S8_S8_S8_S8_S8_S8_EEEEZNS1_11reduce_implILb1ES3_NS6_12zip_iteratorINS7_INS6_11hip_rocprim26transform_input_iterator_tIbPsNS6_6detail10functional5actorINSH_9compositeIJNSH_27transparent_binary_operatorINS6_8equal_toIvEEEENSI_INSH_8argumentILj0EEEEENSH_5valueIsEEEEEEEEENSD_19counting_iterator_tIlEES8_S8_S8_S8_S8_S8_S8_S8_EEEEPS9_S9_NSD_9__find_if7functorIS9_EEEE10hipError_tPvRmT1_T2_T3_mT4_P12ihipStream_tbEUlT_E0_NS1_11comp_targetILNS1_3genE8ELNS1_11target_archE1030ELNS1_3gpuE2ELNS1_3repE0EEENS1_30default_config_static_selectorELNS0_4arch9wavefront6targetE1EEEvS17_
	.p2align	8
	.type	_ZN7rocprim17ROCPRIM_400000_NS6detail17trampoline_kernelINS0_14default_configENS1_22reduce_config_selectorIN6thrust23THRUST_200600_302600_NS5tupleIblNS6_9null_typeES8_S8_S8_S8_S8_S8_S8_EEEEZNS1_11reduce_implILb1ES3_NS6_12zip_iteratorINS7_INS6_11hip_rocprim26transform_input_iterator_tIbPsNS6_6detail10functional5actorINSH_9compositeIJNSH_27transparent_binary_operatorINS6_8equal_toIvEEEENSI_INSH_8argumentILj0EEEEENSH_5valueIsEEEEEEEEENSD_19counting_iterator_tIlEES8_S8_S8_S8_S8_S8_S8_S8_EEEEPS9_S9_NSD_9__find_if7functorIS9_EEEE10hipError_tPvRmT1_T2_T3_mT4_P12ihipStream_tbEUlT_E0_NS1_11comp_targetILNS1_3genE8ELNS1_11target_archE1030ELNS1_3gpuE2ELNS1_3repE0EEENS1_30default_config_static_selectorELNS0_4arch9wavefront6targetE1EEEvS17_,@function
_ZN7rocprim17ROCPRIM_400000_NS6detail17trampoline_kernelINS0_14default_configENS1_22reduce_config_selectorIN6thrust23THRUST_200600_302600_NS5tupleIblNS6_9null_typeES8_S8_S8_S8_S8_S8_S8_EEEEZNS1_11reduce_implILb1ES3_NS6_12zip_iteratorINS7_INS6_11hip_rocprim26transform_input_iterator_tIbPsNS6_6detail10functional5actorINSH_9compositeIJNSH_27transparent_binary_operatorINS6_8equal_toIvEEEENSI_INSH_8argumentILj0EEEEENSH_5valueIsEEEEEEEEENSD_19counting_iterator_tIlEES8_S8_S8_S8_S8_S8_S8_S8_EEEEPS9_S9_NSD_9__find_if7functorIS9_EEEE10hipError_tPvRmT1_T2_T3_mT4_P12ihipStream_tbEUlT_E0_NS1_11comp_targetILNS1_3genE8ELNS1_11target_archE1030ELNS1_3gpuE2ELNS1_3repE0EEENS1_30default_config_static_selectorELNS0_4arch9wavefront6targetE1EEEvS17_: ; @_ZN7rocprim17ROCPRIM_400000_NS6detail17trampoline_kernelINS0_14default_configENS1_22reduce_config_selectorIN6thrust23THRUST_200600_302600_NS5tupleIblNS6_9null_typeES8_S8_S8_S8_S8_S8_S8_EEEEZNS1_11reduce_implILb1ES3_NS6_12zip_iteratorINS7_INS6_11hip_rocprim26transform_input_iterator_tIbPsNS6_6detail10functional5actorINSH_9compositeIJNSH_27transparent_binary_operatorINS6_8equal_toIvEEEENSI_INSH_8argumentILj0EEEEENSH_5valueIsEEEEEEEEENSD_19counting_iterator_tIlEES8_S8_S8_S8_S8_S8_S8_S8_EEEEPS9_S9_NSD_9__find_if7functorIS9_EEEE10hipError_tPvRmT1_T2_T3_mT4_P12ihipStream_tbEUlT_E0_NS1_11comp_targetILNS1_3genE8ELNS1_11target_archE1030ELNS1_3gpuE2ELNS1_3repE0EEENS1_30default_config_static_selectorELNS0_4arch9wavefront6targetE1EEEvS17_
; %bb.0:
	.section	.rodata,"a",@progbits
	.p2align	6, 0x0
	.amdhsa_kernel _ZN7rocprim17ROCPRIM_400000_NS6detail17trampoline_kernelINS0_14default_configENS1_22reduce_config_selectorIN6thrust23THRUST_200600_302600_NS5tupleIblNS6_9null_typeES8_S8_S8_S8_S8_S8_S8_EEEEZNS1_11reduce_implILb1ES3_NS6_12zip_iteratorINS7_INS6_11hip_rocprim26transform_input_iterator_tIbPsNS6_6detail10functional5actorINSH_9compositeIJNSH_27transparent_binary_operatorINS6_8equal_toIvEEEENSI_INSH_8argumentILj0EEEEENSH_5valueIsEEEEEEEEENSD_19counting_iterator_tIlEES8_S8_S8_S8_S8_S8_S8_S8_EEEEPS9_S9_NSD_9__find_if7functorIS9_EEEE10hipError_tPvRmT1_T2_T3_mT4_P12ihipStream_tbEUlT_E0_NS1_11comp_targetILNS1_3genE8ELNS1_11target_archE1030ELNS1_3gpuE2ELNS1_3repE0EEENS1_30default_config_static_selectorELNS0_4arch9wavefront6targetE1EEEvS17_
		.amdhsa_group_segment_fixed_size 0
		.amdhsa_private_segment_fixed_size 0
		.amdhsa_kernarg_size 88
		.amdhsa_user_sgpr_count 6
		.amdhsa_user_sgpr_private_segment_buffer 1
		.amdhsa_user_sgpr_dispatch_ptr 0
		.amdhsa_user_sgpr_queue_ptr 0
		.amdhsa_user_sgpr_kernarg_segment_ptr 1
		.amdhsa_user_sgpr_dispatch_id 0
		.amdhsa_user_sgpr_flat_scratch_init 0
		.amdhsa_user_sgpr_kernarg_preload_length 0
		.amdhsa_user_sgpr_kernarg_preload_offset 0
		.amdhsa_user_sgpr_private_segment_size 0
		.amdhsa_uses_dynamic_stack 0
		.amdhsa_system_sgpr_private_segment_wavefront_offset 0
		.amdhsa_system_sgpr_workgroup_id_x 1
		.amdhsa_system_sgpr_workgroup_id_y 0
		.amdhsa_system_sgpr_workgroup_id_z 0
		.amdhsa_system_sgpr_workgroup_info 0
		.amdhsa_system_vgpr_workitem_id 0
		.amdhsa_next_free_vgpr 1
		.amdhsa_next_free_sgpr 0
		.amdhsa_accum_offset 4
		.amdhsa_reserve_vcc 0
		.amdhsa_reserve_flat_scratch 0
		.amdhsa_float_round_mode_32 0
		.amdhsa_float_round_mode_16_64 0
		.amdhsa_float_denorm_mode_32 3
		.amdhsa_float_denorm_mode_16_64 3
		.amdhsa_dx10_clamp 1
		.amdhsa_ieee_mode 1
		.amdhsa_fp16_overflow 0
		.amdhsa_tg_split 0
		.amdhsa_exception_fp_ieee_invalid_op 0
		.amdhsa_exception_fp_denorm_src 0
		.amdhsa_exception_fp_ieee_div_zero 0
		.amdhsa_exception_fp_ieee_overflow 0
		.amdhsa_exception_fp_ieee_underflow 0
		.amdhsa_exception_fp_ieee_inexact 0
		.amdhsa_exception_int_div_zero 0
	.end_amdhsa_kernel
	.section	.text._ZN7rocprim17ROCPRIM_400000_NS6detail17trampoline_kernelINS0_14default_configENS1_22reduce_config_selectorIN6thrust23THRUST_200600_302600_NS5tupleIblNS6_9null_typeES8_S8_S8_S8_S8_S8_S8_EEEEZNS1_11reduce_implILb1ES3_NS6_12zip_iteratorINS7_INS6_11hip_rocprim26transform_input_iterator_tIbPsNS6_6detail10functional5actorINSH_9compositeIJNSH_27transparent_binary_operatorINS6_8equal_toIvEEEENSI_INSH_8argumentILj0EEEEENSH_5valueIsEEEEEEEEENSD_19counting_iterator_tIlEES8_S8_S8_S8_S8_S8_S8_S8_EEEEPS9_S9_NSD_9__find_if7functorIS9_EEEE10hipError_tPvRmT1_T2_T3_mT4_P12ihipStream_tbEUlT_E0_NS1_11comp_targetILNS1_3genE8ELNS1_11target_archE1030ELNS1_3gpuE2ELNS1_3repE0EEENS1_30default_config_static_selectorELNS0_4arch9wavefront6targetE1EEEvS17_,"axG",@progbits,_ZN7rocprim17ROCPRIM_400000_NS6detail17trampoline_kernelINS0_14default_configENS1_22reduce_config_selectorIN6thrust23THRUST_200600_302600_NS5tupleIblNS6_9null_typeES8_S8_S8_S8_S8_S8_S8_EEEEZNS1_11reduce_implILb1ES3_NS6_12zip_iteratorINS7_INS6_11hip_rocprim26transform_input_iterator_tIbPsNS6_6detail10functional5actorINSH_9compositeIJNSH_27transparent_binary_operatorINS6_8equal_toIvEEEENSI_INSH_8argumentILj0EEEEENSH_5valueIsEEEEEEEEENSD_19counting_iterator_tIlEES8_S8_S8_S8_S8_S8_S8_S8_EEEEPS9_S9_NSD_9__find_if7functorIS9_EEEE10hipError_tPvRmT1_T2_T3_mT4_P12ihipStream_tbEUlT_E0_NS1_11comp_targetILNS1_3genE8ELNS1_11target_archE1030ELNS1_3gpuE2ELNS1_3repE0EEENS1_30default_config_static_selectorELNS0_4arch9wavefront6targetE1EEEvS17_,comdat
.Lfunc_end1514:
	.size	_ZN7rocprim17ROCPRIM_400000_NS6detail17trampoline_kernelINS0_14default_configENS1_22reduce_config_selectorIN6thrust23THRUST_200600_302600_NS5tupleIblNS6_9null_typeES8_S8_S8_S8_S8_S8_S8_EEEEZNS1_11reduce_implILb1ES3_NS6_12zip_iteratorINS7_INS6_11hip_rocprim26transform_input_iterator_tIbPsNS6_6detail10functional5actorINSH_9compositeIJNSH_27transparent_binary_operatorINS6_8equal_toIvEEEENSI_INSH_8argumentILj0EEEEENSH_5valueIsEEEEEEEEENSD_19counting_iterator_tIlEES8_S8_S8_S8_S8_S8_S8_S8_EEEEPS9_S9_NSD_9__find_if7functorIS9_EEEE10hipError_tPvRmT1_T2_T3_mT4_P12ihipStream_tbEUlT_E0_NS1_11comp_targetILNS1_3genE8ELNS1_11target_archE1030ELNS1_3gpuE2ELNS1_3repE0EEENS1_30default_config_static_selectorELNS0_4arch9wavefront6targetE1EEEvS17_, .Lfunc_end1514-_ZN7rocprim17ROCPRIM_400000_NS6detail17trampoline_kernelINS0_14default_configENS1_22reduce_config_selectorIN6thrust23THRUST_200600_302600_NS5tupleIblNS6_9null_typeES8_S8_S8_S8_S8_S8_S8_EEEEZNS1_11reduce_implILb1ES3_NS6_12zip_iteratorINS7_INS6_11hip_rocprim26transform_input_iterator_tIbPsNS6_6detail10functional5actorINSH_9compositeIJNSH_27transparent_binary_operatorINS6_8equal_toIvEEEENSI_INSH_8argumentILj0EEEEENSH_5valueIsEEEEEEEEENSD_19counting_iterator_tIlEES8_S8_S8_S8_S8_S8_S8_S8_EEEEPS9_S9_NSD_9__find_if7functorIS9_EEEE10hipError_tPvRmT1_T2_T3_mT4_P12ihipStream_tbEUlT_E0_NS1_11comp_targetILNS1_3genE8ELNS1_11target_archE1030ELNS1_3gpuE2ELNS1_3repE0EEENS1_30default_config_static_selectorELNS0_4arch9wavefront6targetE1EEEvS17_
                                        ; -- End function
	.section	.AMDGPU.csdata,"",@progbits
; Kernel info:
; codeLenInByte = 0
; NumSgprs: 4
; NumVgprs: 0
; NumAgprs: 0
; TotalNumVgprs: 0
; ScratchSize: 0
; MemoryBound: 0
; FloatMode: 240
; IeeeMode: 1
; LDSByteSize: 0 bytes/workgroup (compile time only)
; SGPRBlocks: 0
; VGPRBlocks: 0
; NumSGPRsForWavesPerEU: 4
; NumVGPRsForWavesPerEU: 1
; AccumOffset: 4
; Occupancy: 8
; WaveLimiterHint : 0
; COMPUTE_PGM_RSRC2:SCRATCH_EN: 0
; COMPUTE_PGM_RSRC2:USER_SGPR: 6
; COMPUTE_PGM_RSRC2:TRAP_HANDLER: 0
; COMPUTE_PGM_RSRC2:TGID_X_EN: 1
; COMPUTE_PGM_RSRC2:TGID_Y_EN: 0
; COMPUTE_PGM_RSRC2:TGID_Z_EN: 0
; COMPUTE_PGM_RSRC2:TIDIG_COMP_CNT: 0
; COMPUTE_PGM_RSRC3_GFX90A:ACCUM_OFFSET: 0
; COMPUTE_PGM_RSRC3_GFX90A:TG_SPLIT: 0
	.section	.text._ZN7rocprim17ROCPRIM_400000_NS6detail17trampoline_kernelINS0_14default_configENS1_22reduce_config_selectorIN6thrust23THRUST_200600_302600_NS5tupleIblNS6_9null_typeES8_S8_S8_S8_S8_S8_S8_EEEEZNS1_11reduce_implILb1ES3_NS6_12zip_iteratorINS7_INS6_11hip_rocprim26transform_input_iterator_tIbPsNS6_6detail10functional5actorINSH_9compositeIJNSH_27transparent_binary_operatorINS6_8equal_toIvEEEENSI_INSH_8argumentILj0EEEEENSH_5valueIsEEEEEEEEENSD_19counting_iterator_tIlEES8_S8_S8_S8_S8_S8_S8_S8_EEEEPS9_S9_NSD_9__find_if7functorIS9_EEEE10hipError_tPvRmT1_T2_T3_mT4_P12ihipStream_tbEUlT_E1_NS1_11comp_targetILNS1_3genE0ELNS1_11target_archE4294967295ELNS1_3gpuE0ELNS1_3repE0EEENS1_30default_config_static_selectorELNS0_4arch9wavefront6targetE1EEEvS17_,"axG",@progbits,_ZN7rocprim17ROCPRIM_400000_NS6detail17trampoline_kernelINS0_14default_configENS1_22reduce_config_selectorIN6thrust23THRUST_200600_302600_NS5tupleIblNS6_9null_typeES8_S8_S8_S8_S8_S8_S8_EEEEZNS1_11reduce_implILb1ES3_NS6_12zip_iteratorINS7_INS6_11hip_rocprim26transform_input_iterator_tIbPsNS6_6detail10functional5actorINSH_9compositeIJNSH_27transparent_binary_operatorINS6_8equal_toIvEEEENSI_INSH_8argumentILj0EEEEENSH_5valueIsEEEEEEEEENSD_19counting_iterator_tIlEES8_S8_S8_S8_S8_S8_S8_S8_EEEEPS9_S9_NSD_9__find_if7functorIS9_EEEE10hipError_tPvRmT1_T2_T3_mT4_P12ihipStream_tbEUlT_E1_NS1_11comp_targetILNS1_3genE0ELNS1_11target_archE4294967295ELNS1_3gpuE0ELNS1_3repE0EEENS1_30default_config_static_selectorELNS0_4arch9wavefront6targetE1EEEvS17_,comdat
	.protected	_ZN7rocprim17ROCPRIM_400000_NS6detail17trampoline_kernelINS0_14default_configENS1_22reduce_config_selectorIN6thrust23THRUST_200600_302600_NS5tupleIblNS6_9null_typeES8_S8_S8_S8_S8_S8_S8_EEEEZNS1_11reduce_implILb1ES3_NS6_12zip_iteratorINS7_INS6_11hip_rocprim26transform_input_iterator_tIbPsNS6_6detail10functional5actorINSH_9compositeIJNSH_27transparent_binary_operatorINS6_8equal_toIvEEEENSI_INSH_8argumentILj0EEEEENSH_5valueIsEEEEEEEEENSD_19counting_iterator_tIlEES8_S8_S8_S8_S8_S8_S8_S8_EEEEPS9_S9_NSD_9__find_if7functorIS9_EEEE10hipError_tPvRmT1_T2_T3_mT4_P12ihipStream_tbEUlT_E1_NS1_11comp_targetILNS1_3genE0ELNS1_11target_archE4294967295ELNS1_3gpuE0ELNS1_3repE0EEENS1_30default_config_static_selectorELNS0_4arch9wavefront6targetE1EEEvS17_ ; -- Begin function _ZN7rocprim17ROCPRIM_400000_NS6detail17trampoline_kernelINS0_14default_configENS1_22reduce_config_selectorIN6thrust23THRUST_200600_302600_NS5tupleIblNS6_9null_typeES8_S8_S8_S8_S8_S8_S8_EEEEZNS1_11reduce_implILb1ES3_NS6_12zip_iteratorINS7_INS6_11hip_rocprim26transform_input_iterator_tIbPsNS6_6detail10functional5actorINSH_9compositeIJNSH_27transparent_binary_operatorINS6_8equal_toIvEEEENSI_INSH_8argumentILj0EEEEENSH_5valueIsEEEEEEEEENSD_19counting_iterator_tIlEES8_S8_S8_S8_S8_S8_S8_S8_EEEEPS9_S9_NSD_9__find_if7functorIS9_EEEE10hipError_tPvRmT1_T2_T3_mT4_P12ihipStream_tbEUlT_E1_NS1_11comp_targetILNS1_3genE0ELNS1_11target_archE4294967295ELNS1_3gpuE0ELNS1_3repE0EEENS1_30default_config_static_selectorELNS0_4arch9wavefront6targetE1EEEvS17_
	.globl	_ZN7rocprim17ROCPRIM_400000_NS6detail17trampoline_kernelINS0_14default_configENS1_22reduce_config_selectorIN6thrust23THRUST_200600_302600_NS5tupleIblNS6_9null_typeES8_S8_S8_S8_S8_S8_S8_EEEEZNS1_11reduce_implILb1ES3_NS6_12zip_iteratorINS7_INS6_11hip_rocprim26transform_input_iterator_tIbPsNS6_6detail10functional5actorINSH_9compositeIJNSH_27transparent_binary_operatorINS6_8equal_toIvEEEENSI_INSH_8argumentILj0EEEEENSH_5valueIsEEEEEEEEENSD_19counting_iterator_tIlEES8_S8_S8_S8_S8_S8_S8_S8_EEEEPS9_S9_NSD_9__find_if7functorIS9_EEEE10hipError_tPvRmT1_T2_T3_mT4_P12ihipStream_tbEUlT_E1_NS1_11comp_targetILNS1_3genE0ELNS1_11target_archE4294967295ELNS1_3gpuE0ELNS1_3repE0EEENS1_30default_config_static_selectorELNS0_4arch9wavefront6targetE1EEEvS17_
	.p2align	8
	.type	_ZN7rocprim17ROCPRIM_400000_NS6detail17trampoline_kernelINS0_14default_configENS1_22reduce_config_selectorIN6thrust23THRUST_200600_302600_NS5tupleIblNS6_9null_typeES8_S8_S8_S8_S8_S8_S8_EEEEZNS1_11reduce_implILb1ES3_NS6_12zip_iteratorINS7_INS6_11hip_rocprim26transform_input_iterator_tIbPsNS6_6detail10functional5actorINSH_9compositeIJNSH_27transparent_binary_operatorINS6_8equal_toIvEEEENSI_INSH_8argumentILj0EEEEENSH_5valueIsEEEEEEEEENSD_19counting_iterator_tIlEES8_S8_S8_S8_S8_S8_S8_S8_EEEEPS9_S9_NSD_9__find_if7functorIS9_EEEE10hipError_tPvRmT1_T2_T3_mT4_P12ihipStream_tbEUlT_E1_NS1_11comp_targetILNS1_3genE0ELNS1_11target_archE4294967295ELNS1_3gpuE0ELNS1_3repE0EEENS1_30default_config_static_selectorELNS0_4arch9wavefront6targetE1EEEvS17_,@function
_ZN7rocprim17ROCPRIM_400000_NS6detail17trampoline_kernelINS0_14default_configENS1_22reduce_config_selectorIN6thrust23THRUST_200600_302600_NS5tupleIblNS6_9null_typeES8_S8_S8_S8_S8_S8_S8_EEEEZNS1_11reduce_implILb1ES3_NS6_12zip_iteratorINS7_INS6_11hip_rocprim26transform_input_iterator_tIbPsNS6_6detail10functional5actorINSH_9compositeIJNSH_27transparent_binary_operatorINS6_8equal_toIvEEEENSI_INSH_8argumentILj0EEEEENSH_5valueIsEEEEEEEEENSD_19counting_iterator_tIlEES8_S8_S8_S8_S8_S8_S8_S8_EEEEPS9_S9_NSD_9__find_if7functorIS9_EEEE10hipError_tPvRmT1_T2_T3_mT4_P12ihipStream_tbEUlT_E1_NS1_11comp_targetILNS1_3genE0ELNS1_11target_archE4294967295ELNS1_3gpuE0ELNS1_3repE0EEENS1_30default_config_static_selectorELNS0_4arch9wavefront6targetE1EEEvS17_: ; @_ZN7rocprim17ROCPRIM_400000_NS6detail17trampoline_kernelINS0_14default_configENS1_22reduce_config_selectorIN6thrust23THRUST_200600_302600_NS5tupleIblNS6_9null_typeES8_S8_S8_S8_S8_S8_S8_EEEEZNS1_11reduce_implILb1ES3_NS6_12zip_iteratorINS7_INS6_11hip_rocprim26transform_input_iterator_tIbPsNS6_6detail10functional5actorINSH_9compositeIJNSH_27transparent_binary_operatorINS6_8equal_toIvEEEENSI_INSH_8argumentILj0EEEEENSH_5valueIsEEEEEEEEENSD_19counting_iterator_tIlEES8_S8_S8_S8_S8_S8_S8_S8_EEEEPS9_S9_NSD_9__find_if7functorIS9_EEEE10hipError_tPvRmT1_T2_T3_mT4_P12ihipStream_tbEUlT_E1_NS1_11comp_targetILNS1_3genE0ELNS1_11target_archE4294967295ELNS1_3gpuE0ELNS1_3repE0EEENS1_30default_config_static_selectorELNS0_4arch9wavefront6targetE1EEEvS17_
; %bb.0:
	.section	.rodata,"a",@progbits
	.p2align	6, 0x0
	.amdhsa_kernel _ZN7rocprim17ROCPRIM_400000_NS6detail17trampoline_kernelINS0_14default_configENS1_22reduce_config_selectorIN6thrust23THRUST_200600_302600_NS5tupleIblNS6_9null_typeES8_S8_S8_S8_S8_S8_S8_EEEEZNS1_11reduce_implILb1ES3_NS6_12zip_iteratorINS7_INS6_11hip_rocprim26transform_input_iterator_tIbPsNS6_6detail10functional5actorINSH_9compositeIJNSH_27transparent_binary_operatorINS6_8equal_toIvEEEENSI_INSH_8argumentILj0EEEEENSH_5valueIsEEEEEEEEENSD_19counting_iterator_tIlEES8_S8_S8_S8_S8_S8_S8_S8_EEEEPS9_S9_NSD_9__find_if7functorIS9_EEEE10hipError_tPvRmT1_T2_T3_mT4_P12ihipStream_tbEUlT_E1_NS1_11comp_targetILNS1_3genE0ELNS1_11target_archE4294967295ELNS1_3gpuE0ELNS1_3repE0EEENS1_30default_config_static_selectorELNS0_4arch9wavefront6targetE1EEEvS17_
		.amdhsa_group_segment_fixed_size 0
		.amdhsa_private_segment_fixed_size 0
		.amdhsa_kernarg_size 72
		.amdhsa_user_sgpr_count 6
		.amdhsa_user_sgpr_private_segment_buffer 1
		.amdhsa_user_sgpr_dispatch_ptr 0
		.amdhsa_user_sgpr_queue_ptr 0
		.amdhsa_user_sgpr_kernarg_segment_ptr 1
		.amdhsa_user_sgpr_dispatch_id 0
		.amdhsa_user_sgpr_flat_scratch_init 0
		.amdhsa_user_sgpr_kernarg_preload_length 0
		.amdhsa_user_sgpr_kernarg_preload_offset 0
		.amdhsa_user_sgpr_private_segment_size 0
		.amdhsa_uses_dynamic_stack 0
		.amdhsa_system_sgpr_private_segment_wavefront_offset 0
		.amdhsa_system_sgpr_workgroup_id_x 1
		.amdhsa_system_sgpr_workgroup_id_y 0
		.amdhsa_system_sgpr_workgroup_id_z 0
		.amdhsa_system_sgpr_workgroup_info 0
		.amdhsa_system_vgpr_workitem_id 0
		.amdhsa_next_free_vgpr 1
		.amdhsa_next_free_sgpr 0
		.amdhsa_accum_offset 4
		.amdhsa_reserve_vcc 0
		.amdhsa_reserve_flat_scratch 0
		.amdhsa_float_round_mode_32 0
		.amdhsa_float_round_mode_16_64 0
		.amdhsa_float_denorm_mode_32 3
		.amdhsa_float_denorm_mode_16_64 3
		.amdhsa_dx10_clamp 1
		.amdhsa_ieee_mode 1
		.amdhsa_fp16_overflow 0
		.amdhsa_tg_split 0
		.amdhsa_exception_fp_ieee_invalid_op 0
		.amdhsa_exception_fp_denorm_src 0
		.amdhsa_exception_fp_ieee_div_zero 0
		.amdhsa_exception_fp_ieee_overflow 0
		.amdhsa_exception_fp_ieee_underflow 0
		.amdhsa_exception_fp_ieee_inexact 0
		.amdhsa_exception_int_div_zero 0
	.end_amdhsa_kernel
	.section	.text._ZN7rocprim17ROCPRIM_400000_NS6detail17trampoline_kernelINS0_14default_configENS1_22reduce_config_selectorIN6thrust23THRUST_200600_302600_NS5tupleIblNS6_9null_typeES8_S8_S8_S8_S8_S8_S8_EEEEZNS1_11reduce_implILb1ES3_NS6_12zip_iteratorINS7_INS6_11hip_rocprim26transform_input_iterator_tIbPsNS6_6detail10functional5actorINSH_9compositeIJNSH_27transparent_binary_operatorINS6_8equal_toIvEEEENSI_INSH_8argumentILj0EEEEENSH_5valueIsEEEEEEEEENSD_19counting_iterator_tIlEES8_S8_S8_S8_S8_S8_S8_S8_EEEEPS9_S9_NSD_9__find_if7functorIS9_EEEE10hipError_tPvRmT1_T2_T3_mT4_P12ihipStream_tbEUlT_E1_NS1_11comp_targetILNS1_3genE0ELNS1_11target_archE4294967295ELNS1_3gpuE0ELNS1_3repE0EEENS1_30default_config_static_selectorELNS0_4arch9wavefront6targetE1EEEvS17_,"axG",@progbits,_ZN7rocprim17ROCPRIM_400000_NS6detail17trampoline_kernelINS0_14default_configENS1_22reduce_config_selectorIN6thrust23THRUST_200600_302600_NS5tupleIblNS6_9null_typeES8_S8_S8_S8_S8_S8_S8_EEEEZNS1_11reduce_implILb1ES3_NS6_12zip_iteratorINS7_INS6_11hip_rocprim26transform_input_iterator_tIbPsNS6_6detail10functional5actorINSH_9compositeIJNSH_27transparent_binary_operatorINS6_8equal_toIvEEEENSI_INSH_8argumentILj0EEEEENSH_5valueIsEEEEEEEEENSD_19counting_iterator_tIlEES8_S8_S8_S8_S8_S8_S8_S8_EEEEPS9_S9_NSD_9__find_if7functorIS9_EEEE10hipError_tPvRmT1_T2_T3_mT4_P12ihipStream_tbEUlT_E1_NS1_11comp_targetILNS1_3genE0ELNS1_11target_archE4294967295ELNS1_3gpuE0ELNS1_3repE0EEENS1_30default_config_static_selectorELNS0_4arch9wavefront6targetE1EEEvS17_,comdat
.Lfunc_end1515:
	.size	_ZN7rocprim17ROCPRIM_400000_NS6detail17trampoline_kernelINS0_14default_configENS1_22reduce_config_selectorIN6thrust23THRUST_200600_302600_NS5tupleIblNS6_9null_typeES8_S8_S8_S8_S8_S8_S8_EEEEZNS1_11reduce_implILb1ES3_NS6_12zip_iteratorINS7_INS6_11hip_rocprim26transform_input_iterator_tIbPsNS6_6detail10functional5actorINSH_9compositeIJNSH_27transparent_binary_operatorINS6_8equal_toIvEEEENSI_INSH_8argumentILj0EEEEENSH_5valueIsEEEEEEEEENSD_19counting_iterator_tIlEES8_S8_S8_S8_S8_S8_S8_S8_EEEEPS9_S9_NSD_9__find_if7functorIS9_EEEE10hipError_tPvRmT1_T2_T3_mT4_P12ihipStream_tbEUlT_E1_NS1_11comp_targetILNS1_3genE0ELNS1_11target_archE4294967295ELNS1_3gpuE0ELNS1_3repE0EEENS1_30default_config_static_selectorELNS0_4arch9wavefront6targetE1EEEvS17_, .Lfunc_end1515-_ZN7rocprim17ROCPRIM_400000_NS6detail17trampoline_kernelINS0_14default_configENS1_22reduce_config_selectorIN6thrust23THRUST_200600_302600_NS5tupleIblNS6_9null_typeES8_S8_S8_S8_S8_S8_S8_EEEEZNS1_11reduce_implILb1ES3_NS6_12zip_iteratorINS7_INS6_11hip_rocprim26transform_input_iterator_tIbPsNS6_6detail10functional5actorINSH_9compositeIJNSH_27transparent_binary_operatorINS6_8equal_toIvEEEENSI_INSH_8argumentILj0EEEEENSH_5valueIsEEEEEEEEENSD_19counting_iterator_tIlEES8_S8_S8_S8_S8_S8_S8_S8_EEEEPS9_S9_NSD_9__find_if7functorIS9_EEEE10hipError_tPvRmT1_T2_T3_mT4_P12ihipStream_tbEUlT_E1_NS1_11comp_targetILNS1_3genE0ELNS1_11target_archE4294967295ELNS1_3gpuE0ELNS1_3repE0EEENS1_30default_config_static_selectorELNS0_4arch9wavefront6targetE1EEEvS17_
                                        ; -- End function
	.section	.AMDGPU.csdata,"",@progbits
; Kernel info:
; codeLenInByte = 0
; NumSgprs: 4
; NumVgprs: 0
; NumAgprs: 0
; TotalNumVgprs: 0
; ScratchSize: 0
; MemoryBound: 0
; FloatMode: 240
; IeeeMode: 1
; LDSByteSize: 0 bytes/workgroup (compile time only)
; SGPRBlocks: 0
; VGPRBlocks: 0
; NumSGPRsForWavesPerEU: 4
; NumVGPRsForWavesPerEU: 1
; AccumOffset: 4
; Occupancy: 8
; WaveLimiterHint : 0
; COMPUTE_PGM_RSRC2:SCRATCH_EN: 0
; COMPUTE_PGM_RSRC2:USER_SGPR: 6
; COMPUTE_PGM_RSRC2:TRAP_HANDLER: 0
; COMPUTE_PGM_RSRC2:TGID_X_EN: 1
; COMPUTE_PGM_RSRC2:TGID_Y_EN: 0
; COMPUTE_PGM_RSRC2:TGID_Z_EN: 0
; COMPUTE_PGM_RSRC2:TIDIG_COMP_CNT: 0
; COMPUTE_PGM_RSRC3_GFX90A:ACCUM_OFFSET: 0
; COMPUTE_PGM_RSRC3_GFX90A:TG_SPLIT: 0
	.section	.text._ZN7rocprim17ROCPRIM_400000_NS6detail17trampoline_kernelINS0_14default_configENS1_22reduce_config_selectorIN6thrust23THRUST_200600_302600_NS5tupleIblNS6_9null_typeES8_S8_S8_S8_S8_S8_S8_EEEEZNS1_11reduce_implILb1ES3_NS6_12zip_iteratorINS7_INS6_11hip_rocprim26transform_input_iterator_tIbPsNS6_6detail10functional5actorINSH_9compositeIJNSH_27transparent_binary_operatorINS6_8equal_toIvEEEENSI_INSH_8argumentILj0EEEEENSH_5valueIsEEEEEEEEENSD_19counting_iterator_tIlEES8_S8_S8_S8_S8_S8_S8_S8_EEEEPS9_S9_NSD_9__find_if7functorIS9_EEEE10hipError_tPvRmT1_T2_T3_mT4_P12ihipStream_tbEUlT_E1_NS1_11comp_targetILNS1_3genE5ELNS1_11target_archE942ELNS1_3gpuE9ELNS1_3repE0EEENS1_30default_config_static_selectorELNS0_4arch9wavefront6targetE1EEEvS17_,"axG",@progbits,_ZN7rocprim17ROCPRIM_400000_NS6detail17trampoline_kernelINS0_14default_configENS1_22reduce_config_selectorIN6thrust23THRUST_200600_302600_NS5tupleIblNS6_9null_typeES8_S8_S8_S8_S8_S8_S8_EEEEZNS1_11reduce_implILb1ES3_NS6_12zip_iteratorINS7_INS6_11hip_rocprim26transform_input_iterator_tIbPsNS6_6detail10functional5actorINSH_9compositeIJNSH_27transparent_binary_operatorINS6_8equal_toIvEEEENSI_INSH_8argumentILj0EEEEENSH_5valueIsEEEEEEEEENSD_19counting_iterator_tIlEES8_S8_S8_S8_S8_S8_S8_S8_EEEEPS9_S9_NSD_9__find_if7functorIS9_EEEE10hipError_tPvRmT1_T2_T3_mT4_P12ihipStream_tbEUlT_E1_NS1_11comp_targetILNS1_3genE5ELNS1_11target_archE942ELNS1_3gpuE9ELNS1_3repE0EEENS1_30default_config_static_selectorELNS0_4arch9wavefront6targetE1EEEvS17_,comdat
	.protected	_ZN7rocprim17ROCPRIM_400000_NS6detail17trampoline_kernelINS0_14default_configENS1_22reduce_config_selectorIN6thrust23THRUST_200600_302600_NS5tupleIblNS6_9null_typeES8_S8_S8_S8_S8_S8_S8_EEEEZNS1_11reduce_implILb1ES3_NS6_12zip_iteratorINS7_INS6_11hip_rocprim26transform_input_iterator_tIbPsNS6_6detail10functional5actorINSH_9compositeIJNSH_27transparent_binary_operatorINS6_8equal_toIvEEEENSI_INSH_8argumentILj0EEEEENSH_5valueIsEEEEEEEEENSD_19counting_iterator_tIlEES8_S8_S8_S8_S8_S8_S8_S8_EEEEPS9_S9_NSD_9__find_if7functorIS9_EEEE10hipError_tPvRmT1_T2_T3_mT4_P12ihipStream_tbEUlT_E1_NS1_11comp_targetILNS1_3genE5ELNS1_11target_archE942ELNS1_3gpuE9ELNS1_3repE0EEENS1_30default_config_static_selectorELNS0_4arch9wavefront6targetE1EEEvS17_ ; -- Begin function _ZN7rocprim17ROCPRIM_400000_NS6detail17trampoline_kernelINS0_14default_configENS1_22reduce_config_selectorIN6thrust23THRUST_200600_302600_NS5tupleIblNS6_9null_typeES8_S8_S8_S8_S8_S8_S8_EEEEZNS1_11reduce_implILb1ES3_NS6_12zip_iteratorINS7_INS6_11hip_rocprim26transform_input_iterator_tIbPsNS6_6detail10functional5actorINSH_9compositeIJNSH_27transparent_binary_operatorINS6_8equal_toIvEEEENSI_INSH_8argumentILj0EEEEENSH_5valueIsEEEEEEEEENSD_19counting_iterator_tIlEES8_S8_S8_S8_S8_S8_S8_S8_EEEEPS9_S9_NSD_9__find_if7functorIS9_EEEE10hipError_tPvRmT1_T2_T3_mT4_P12ihipStream_tbEUlT_E1_NS1_11comp_targetILNS1_3genE5ELNS1_11target_archE942ELNS1_3gpuE9ELNS1_3repE0EEENS1_30default_config_static_selectorELNS0_4arch9wavefront6targetE1EEEvS17_
	.globl	_ZN7rocprim17ROCPRIM_400000_NS6detail17trampoline_kernelINS0_14default_configENS1_22reduce_config_selectorIN6thrust23THRUST_200600_302600_NS5tupleIblNS6_9null_typeES8_S8_S8_S8_S8_S8_S8_EEEEZNS1_11reduce_implILb1ES3_NS6_12zip_iteratorINS7_INS6_11hip_rocprim26transform_input_iterator_tIbPsNS6_6detail10functional5actorINSH_9compositeIJNSH_27transparent_binary_operatorINS6_8equal_toIvEEEENSI_INSH_8argumentILj0EEEEENSH_5valueIsEEEEEEEEENSD_19counting_iterator_tIlEES8_S8_S8_S8_S8_S8_S8_S8_EEEEPS9_S9_NSD_9__find_if7functorIS9_EEEE10hipError_tPvRmT1_T2_T3_mT4_P12ihipStream_tbEUlT_E1_NS1_11comp_targetILNS1_3genE5ELNS1_11target_archE942ELNS1_3gpuE9ELNS1_3repE0EEENS1_30default_config_static_selectorELNS0_4arch9wavefront6targetE1EEEvS17_
	.p2align	8
	.type	_ZN7rocprim17ROCPRIM_400000_NS6detail17trampoline_kernelINS0_14default_configENS1_22reduce_config_selectorIN6thrust23THRUST_200600_302600_NS5tupleIblNS6_9null_typeES8_S8_S8_S8_S8_S8_S8_EEEEZNS1_11reduce_implILb1ES3_NS6_12zip_iteratorINS7_INS6_11hip_rocprim26transform_input_iterator_tIbPsNS6_6detail10functional5actorINSH_9compositeIJNSH_27transparent_binary_operatorINS6_8equal_toIvEEEENSI_INSH_8argumentILj0EEEEENSH_5valueIsEEEEEEEEENSD_19counting_iterator_tIlEES8_S8_S8_S8_S8_S8_S8_S8_EEEEPS9_S9_NSD_9__find_if7functorIS9_EEEE10hipError_tPvRmT1_T2_T3_mT4_P12ihipStream_tbEUlT_E1_NS1_11comp_targetILNS1_3genE5ELNS1_11target_archE942ELNS1_3gpuE9ELNS1_3repE0EEENS1_30default_config_static_selectorELNS0_4arch9wavefront6targetE1EEEvS17_,@function
_ZN7rocprim17ROCPRIM_400000_NS6detail17trampoline_kernelINS0_14default_configENS1_22reduce_config_selectorIN6thrust23THRUST_200600_302600_NS5tupleIblNS6_9null_typeES8_S8_S8_S8_S8_S8_S8_EEEEZNS1_11reduce_implILb1ES3_NS6_12zip_iteratorINS7_INS6_11hip_rocprim26transform_input_iterator_tIbPsNS6_6detail10functional5actorINSH_9compositeIJNSH_27transparent_binary_operatorINS6_8equal_toIvEEEENSI_INSH_8argumentILj0EEEEENSH_5valueIsEEEEEEEEENSD_19counting_iterator_tIlEES8_S8_S8_S8_S8_S8_S8_S8_EEEEPS9_S9_NSD_9__find_if7functorIS9_EEEE10hipError_tPvRmT1_T2_T3_mT4_P12ihipStream_tbEUlT_E1_NS1_11comp_targetILNS1_3genE5ELNS1_11target_archE942ELNS1_3gpuE9ELNS1_3repE0EEENS1_30default_config_static_selectorELNS0_4arch9wavefront6targetE1EEEvS17_: ; @_ZN7rocprim17ROCPRIM_400000_NS6detail17trampoline_kernelINS0_14default_configENS1_22reduce_config_selectorIN6thrust23THRUST_200600_302600_NS5tupleIblNS6_9null_typeES8_S8_S8_S8_S8_S8_S8_EEEEZNS1_11reduce_implILb1ES3_NS6_12zip_iteratorINS7_INS6_11hip_rocprim26transform_input_iterator_tIbPsNS6_6detail10functional5actorINSH_9compositeIJNSH_27transparent_binary_operatorINS6_8equal_toIvEEEENSI_INSH_8argumentILj0EEEEENSH_5valueIsEEEEEEEEENSD_19counting_iterator_tIlEES8_S8_S8_S8_S8_S8_S8_S8_EEEEPS9_S9_NSD_9__find_if7functorIS9_EEEE10hipError_tPvRmT1_T2_T3_mT4_P12ihipStream_tbEUlT_E1_NS1_11comp_targetILNS1_3genE5ELNS1_11target_archE942ELNS1_3gpuE9ELNS1_3repE0EEENS1_30default_config_static_selectorELNS0_4arch9wavefront6targetE1EEEvS17_
; %bb.0:
	.section	.rodata,"a",@progbits
	.p2align	6, 0x0
	.amdhsa_kernel _ZN7rocprim17ROCPRIM_400000_NS6detail17trampoline_kernelINS0_14default_configENS1_22reduce_config_selectorIN6thrust23THRUST_200600_302600_NS5tupleIblNS6_9null_typeES8_S8_S8_S8_S8_S8_S8_EEEEZNS1_11reduce_implILb1ES3_NS6_12zip_iteratorINS7_INS6_11hip_rocprim26transform_input_iterator_tIbPsNS6_6detail10functional5actorINSH_9compositeIJNSH_27transparent_binary_operatorINS6_8equal_toIvEEEENSI_INSH_8argumentILj0EEEEENSH_5valueIsEEEEEEEEENSD_19counting_iterator_tIlEES8_S8_S8_S8_S8_S8_S8_S8_EEEEPS9_S9_NSD_9__find_if7functorIS9_EEEE10hipError_tPvRmT1_T2_T3_mT4_P12ihipStream_tbEUlT_E1_NS1_11comp_targetILNS1_3genE5ELNS1_11target_archE942ELNS1_3gpuE9ELNS1_3repE0EEENS1_30default_config_static_selectorELNS0_4arch9wavefront6targetE1EEEvS17_
		.amdhsa_group_segment_fixed_size 0
		.amdhsa_private_segment_fixed_size 0
		.amdhsa_kernarg_size 72
		.amdhsa_user_sgpr_count 6
		.amdhsa_user_sgpr_private_segment_buffer 1
		.amdhsa_user_sgpr_dispatch_ptr 0
		.amdhsa_user_sgpr_queue_ptr 0
		.amdhsa_user_sgpr_kernarg_segment_ptr 1
		.amdhsa_user_sgpr_dispatch_id 0
		.amdhsa_user_sgpr_flat_scratch_init 0
		.amdhsa_user_sgpr_kernarg_preload_length 0
		.amdhsa_user_sgpr_kernarg_preload_offset 0
		.amdhsa_user_sgpr_private_segment_size 0
		.amdhsa_uses_dynamic_stack 0
		.amdhsa_system_sgpr_private_segment_wavefront_offset 0
		.amdhsa_system_sgpr_workgroup_id_x 1
		.amdhsa_system_sgpr_workgroup_id_y 0
		.amdhsa_system_sgpr_workgroup_id_z 0
		.amdhsa_system_sgpr_workgroup_info 0
		.amdhsa_system_vgpr_workitem_id 0
		.amdhsa_next_free_vgpr 1
		.amdhsa_next_free_sgpr 0
		.amdhsa_accum_offset 4
		.amdhsa_reserve_vcc 0
		.amdhsa_reserve_flat_scratch 0
		.amdhsa_float_round_mode_32 0
		.amdhsa_float_round_mode_16_64 0
		.amdhsa_float_denorm_mode_32 3
		.amdhsa_float_denorm_mode_16_64 3
		.amdhsa_dx10_clamp 1
		.amdhsa_ieee_mode 1
		.amdhsa_fp16_overflow 0
		.amdhsa_tg_split 0
		.amdhsa_exception_fp_ieee_invalid_op 0
		.amdhsa_exception_fp_denorm_src 0
		.amdhsa_exception_fp_ieee_div_zero 0
		.amdhsa_exception_fp_ieee_overflow 0
		.amdhsa_exception_fp_ieee_underflow 0
		.amdhsa_exception_fp_ieee_inexact 0
		.amdhsa_exception_int_div_zero 0
	.end_amdhsa_kernel
	.section	.text._ZN7rocprim17ROCPRIM_400000_NS6detail17trampoline_kernelINS0_14default_configENS1_22reduce_config_selectorIN6thrust23THRUST_200600_302600_NS5tupleIblNS6_9null_typeES8_S8_S8_S8_S8_S8_S8_EEEEZNS1_11reduce_implILb1ES3_NS6_12zip_iteratorINS7_INS6_11hip_rocprim26transform_input_iterator_tIbPsNS6_6detail10functional5actorINSH_9compositeIJNSH_27transparent_binary_operatorINS6_8equal_toIvEEEENSI_INSH_8argumentILj0EEEEENSH_5valueIsEEEEEEEEENSD_19counting_iterator_tIlEES8_S8_S8_S8_S8_S8_S8_S8_EEEEPS9_S9_NSD_9__find_if7functorIS9_EEEE10hipError_tPvRmT1_T2_T3_mT4_P12ihipStream_tbEUlT_E1_NS1_11comp_targetILNS1_3genE5ELNS1_11target_archE942ELNS1_3gpuE9ELNS1_3repE0EEENS1_30default_config_static_selectorELNS0_4arch9wavefront6targetE1EEEvS17_,"axG",@progbits,_ZN7rocprim17ROCPRIM_400000_NS6detail17trampoline_kernelINS0_14default_configENS1_22reduce_config_selectorIN6thrust23THRUST_200600_302600_NS5tupleIblNS6_9null_typeES8_S8_S8_S8_S8_S8_S8_EEEEZNS1_11reduce_implILb1ES3_NS6_12zip_iteratorINS7_INS6_11hip_rocprim26transform_input_iterator_tIbPsNS6_6detail10functional5actorINSH_9compositeIJNSH_27transparent_binary_operatorINS6_8equal_toIvEEEENSI_INSH_8argumentILj0EEEEENSH_5valueIsEEEEEEEEENSD_19counting_iterator_tIlEES8_S8_S8_S8_S8_S8_S8_S8_EEEEPS9_S9_NSD_9__find_if7functorIS9_EEEE10hipError_tPvRmT1_T2_T3_mT4_P12ihipStream_tbEUlT_E1_NS1_11comp_targetILNS1_3genE5ELNS1_11target_archE942ELNS1_3gpuE9ELNS1_3repE0EEENS1_30default_config_static_selectorELNS0_4arch9wavefront6targetE1EEEvS17_,comdat
.Lfunc_end1516:
	.size	_ZN7rocprim17ROCPRIM_400000_NS6detail17trampoline_kernelINS0_14default_configENS1_22reduce_config_selectorIN6thrust23THRUST_200600_302600_NS5tupleIblNS6_9null_typeES8_S8_S8_S8_S8_S8_S8_EEEEZNS1_11reduce_implILb1ES3_NS6_12zip_iteratorINS7_INS6_11hip_rocprim26transform_input_iterator_tIbPsNS6_6detail10functional5actorINSH_9compositeIJNSH_27transparent_binary_operatorINS6_8equal_toIvEEEENSI_INSH_8argumentILj0EEEEENSH_5valueIsEEEEEEEEENSD_19counting_iterator_tIlEES8_S8_S8_S8_S8_S8_S8_S8_EEEEPS9_S9_NSD_9__find_if7functorIS9_EEEE10hipError_tPvRmT1_T2_T3_mT4_P12ihipStream_tbEUlT_E1_NS1_11comp_targetILNS1_3genE5ELNS1_11target_archE942ELNS1_3gpuE9ELNS1_3repE0EEENS1_30default_config_static_selectorELNS0_4arch9wavefront6targetE1EEEvS17_, .Lfunc_end1516-_ZN7rocprim17ROCPRIM_400000_NS6detail17trampoline_kernelINS0_14default_configENS1_22reduce_config_selectorIN6thrust23THRUST_200600_302600_NS5tupleIblNS6_9null_typeES8_S8_S8_S8_S8_S8_S8_EEEEZNS1_11reduce_implILb1ES3_NS6_12zip_iteratorINS7_INS6_11hip_rocprim26transform_input_iterator_tIbPsNS6_6detail10functional5actorINSH_9compositeIJNSH_27transparent_binary_operatorINS6_8equal_toIvEEEENSI_INSH_8argumentILj0EEEEENSH_5valueIsEEEEEEEEENSD_19counting_iterator_tIlEES8_S8_S8_S8_S8_S8_S8_S8_EEEEPS9_S9_NSD_9__find_if7functorIS9_EEEE10hipError_tPvRmT1_T2_T3_mT4_P12ihipStream_tbEUlT_E1_NS1_11comp_targetILNS1_3genE5ELNS1_11target_archE942ELNS1_3gpuE9ELNS1_3repE0EEENS1_30default_config_static_selectorELNS0_4arch9wavefront6targetE1EEEvS17_
                                        ; -- End function
	.section	.AMDGPU.csdata,"",@progbits
; Kernel info:
; codeLenInByte = 0
; NumSgprs: 4
; NumVgprs: 0
; NumAgprs: 0
; TotalNumVgprs: 0
; ScratchSize: 0
; MemoryBound: 0
; FloatMode: 240
; IeeeMode: 1
; LDSByteSize: 0 bytes/workgroup (compile time only)
; SGPRBlocks: 0
; VGPRBlocks: 0
; NumSGPRsForWavesPerEU: 4
; NumVGPRsForWavesPerEU: 1
; AccumOffset: 4
; Occupancy: 8
; WaveLimiterHint : 0
; COMPUTE_PGM_RSRC2:SCRATCH_EN: 0
; COMPUTE_PGM_RSRC2:USER_SGPR: 6
; COMPUTE_PGM_RSRC2:TRAP_HANDLER: 0
; COMPUTE_PGM_RSRC2:TGID_X_EN: 1
; COMPUTE_PGM_RSRC2:TGID_Y_EN: 0
; COMPUTE_PGM_RSRC2:TGID_Z_EN: 0
; COMPUTE_PGM_RSRC2:TIDIG_COMP_CNT: 0
; COMPUTE_PGM_RSRC3_GFX90A:ACCUM_OFFSET: 0
; COMPUTE_PGM_RSRC3_GFX90A:TG_SPLIT: 0
	.section	.text._ZN7rocprim17ROCPRIM_400000_NS6detail17trampoline_kernelINS0_14default_configENS1_22reduce_config_selectorIN6thrust23THRUST_200600_302600_NS5tupleIblNS6_9null_typeES8_S8_S8_S8_S8_S8_S8_EEEEZNS1_11reduce_implILb1ES3_NS6_12zip_iteratorINS7_INS6_11hip_rocprim26transform_input_iterator_tIbPsNS6_6detail10functional5actorINSH_9compositeIJNSH_27transparent_binary_operatorINS6_8equal_toIvEEEENSI_INSH_8argumentILj0EEEEENSH_5valueIsEEEEEEEEENSD_19counting_iterator_tIlEES8_S8_S8_S8_S8_S8_S8_S8_EEEEPS9_S9_NSD_9__find_if7functorIS9_EEEE10hipError_tPvRmT1_T2_T3_mT4_P12ihipStream_tbEUlT_E1_NS1_11comp_targetILNS1_3genE4ELNS1_11target_archE910ELNS1_3gpuE8ELNS1_3repE0EEENS1_30default_config_static_selectorELNS0_4arch9wavefront6targetE1EEEvS17_,"axG",@progbits,_ZN7rocprim17ROCPRIM_400000_NS6detail17trampoline_kernelINS0_14default_configENS1_22reduce_config_selectorIN6thrust23THRUST_200600_302600_NS5tupleIblNS6_9null_typeES8_S8_S8_S8_S8_S8_S8_EEEEZNS1_11reduce_implILb1ES3_NS6_12zip_iteratorINS7_INS6_11hip_rocprim26transform_input_iterator_tIbPsNS6_6detail10functional5actorINSH_9compositeIJNSH_27transparent_binary_operatorINS6_8equal_toIvEEEENSI_INSH_8argumentILj0EEEEENSH_5valueIsEEEEEEEEENSD_19counting_iterator_tIlEES8_S8_S8_S8_S8_S8_S8_S8_EEEEPS9_S9_NSD_9__find_if7functorIS9_EEEE10hipError_tPvRmT1_T2_T3_mT4_P12ihipStream_tbEUlT_E1_NS1_11comp_targetILNS1_3genE4ELNS1_11target_archE910ELNS1_3gpuE8ELNS1_3repE0EEENS1_30default_config_static_selectorELNS0_4arch9wavefront6targetE1EEEvS17_,comdat
	.protected	_ZN7rocprim17ROCPRIM_400000_NS6detail17trampoline_kernelINS0_14default_configENS1_22reduce_config_selectorIN6thrust23THRUST_200600_302600_NS5tupleIblNS6_9null_typeES8_S8_S8_S8_S8_S8_S8_EEEEZNS1_11reduce_implILb1ES3_NS6_12zip_iteratorINS7_INS6_11hip_rocprim26transform_input_iterator_tIbPsNS6_6detail10functional5actorINSH_9compositeIJNSH_27transparent_binary_operatorINS6_8equal_toIvEEEENSI_INSH_8argumentILj0EEEEENSH_5valueIsEEEEEEEEENSD_19counting_iterator_tIlEES8_S8_S8_S8_S8_S8_S8_S8_EEEEPS9_S9_NSD_9__find_if7functorIS9_EEEE10hipError_tPvRmT1_T2_T3_mT4_P12ihipStream_tbEUlT_E1_NS1_11comp_targetILNS1_3genE4ELNS1_11target_archE910ELNS1_3gpuE8ELNS1_3repE0EEENS1_30default_config_static_selectorELNS0_4arch9wavefront6targetE1EEEvS17_ ; -- Begin function _ZN7rocprim17ROCPRIM_400000_NS6detail17trampoline_kernelINS0_14default_configENS1_22reduce_config_selectorIN6thrust23THRUST_200600_302600_NS5tupleIblNS6_9null_typeES8_S8_S8_S8_S8_S8_S8_EEEEZNS1_11reduce_implILb1ES3_NS6_12zip_iteratorINS7_INS6_11hip_rocprim26transform_input_iterator_tIbPsNS6_6detail10functional5actorINSH_9compositeIJNSH_27transparent_binary_operatorINS6_8equal_toIvEEEENSI_INSH_8argumentILj0EEEEENSH_5valueIsEEEEEEEEENSD_19counting_iterator_tIlEES8_S8_S8_S8_S8_S8_S8_S8_EEEEPS9_S9_NSD_9__find_if7functorIS9_EEEE10hipError_tPvRmT1_T2_T3_mT4_P12ihipStream_tbEUlT_E1_NS1_11comp_targetILNS1_3genE4ELNS1_11target_archE910ELNS1_3gpuE8ELNS1_3repE0EEENS1_30default_config_static_selectorELNS0_4arch9wavefront6targetE1EEEvS17_
	.globl	_ZN7rocprim17ROCPRIM_400000_NS6detail17trampoline_kernelINS0_14default_configENS1_22reduce_config_selectorIN6thrust23THRUST_200600_302600_NS5tupleIblNS6_9null_typeES8_S8_S8_S8_S8_S8_S8_EEEEZNS1_11reduce_implILb1ES3_NS6_12zip_iteratorINS7_INS6_11hip_rocprim26transform_input_iterator_tIbPsNS6_6detail10functional5actorINSH_9compositeIJNSH_27transparent_binary_operatorINS6_8equal_toIvEEEENSI_INSH_8argumentILj0EEEEENSH_5valueIsEEEEEEEEENSD_19counting_iterator_tIlEES8_S8_S8_S8_S8_S8_S8_S8_EEEEPS9_S9_NSD_9__find_if7functorIS9_EEEE10hipError_tPvRmT1_T2_T3_mT4_P12ihipStream_tbEUlT_E1_NS1_11comp_targetILNS1_3genE4ELNS1_11target_archE910ELNS1_3gpuE8ELNS1_3repE0EEENS1_30default_config_static_selectorELNS0_4arch9wavefront6targetE1EEEvS17_
	.p2align	8
	.type	_ZN7rocprim17ROCPRIM_400000_NS6detail17trampoline_kernelINS0_14default_configENS1_22reduce_config_selectorIN6thrust23THRUST_200600_302600_NS5tupleIblNS6_9null_typeES8_S8_S8_S8_S8_S8_S8_EEEEZNS1_11reduce_implILb1ES3_NS6_12zip_iteratorINS7_INS6_11hip_rocprim26transform_input_iterator_tIbPsNS6_6detail10functional5actorINSH_9compositeIJNSH_27transparent_binary_operatorINS6_8equal_toIvEEEENSI_INSH_8argumentILj0EEEEENSH_5valueIsEEEEEEEEENSD_19counting_iterator_tIlEES8_S8_S8_S8_S8_S8_S8_S8_EEEEPS9_S9_NSD_9__find_if7functorIS9_EEEE10hipError_tPvRmT1_T2_T3_mT4_P12ihipStream_tbEUlT_E1_NS1_11comp_targetILNS1_3genE4ELNS1_11target_archE910ELNS1_3gpuE8ELNS1_3repE0EEENS1_30default_config_static_selectorELNS0_4arch9wavefront6targetE1EEEvS17_,@function
_ZN7rocprim17ROCPRIM_400000_NS6detail17trampoline_kernelINS0_14default_configENS1_22reduce_config_selectorIN6thrust23THRUST_200600_302600_NS5tupleIblNS6_9null_typeES8_S8_S8_S8_S8_S8_S8_EEEEZNS1_11reduce_implILb1ES3_NS6_12zip_iteratorINS7_INS6_11hip_rocprim26transform_input_iterator_tIbPsNS6_6detail10functional5actorINSH_9compositeIJNSH_27transparent_binary_operatorINS6_8equal_toIvEEEENSI_INSH_8argumentILj0EEEEENSH_5valueIsEEEEEEEEENSD_19counting_iterator_tIlEES8_S8_S8_S8_S8_S8_S8_S8_EEEEPS9_S9_NSD_9__find_if7functorIS9_EEEE10hipError_tPvRmT1_T2_T3_mT4_P12ihipStream_tbEUlT_E1_NS1_11comp_targetILNS1_3genE4ELNS1_11target_archE910ELNS1_3gpuE8ELNS1_3repE0EEENS1_30default_config_static_selectorELNS0_4arch9wavefront6targetE1EEEvS17_: ; @_ZN7rocprim17ROCPRIM_400000_NS6detail17trampoline_kernelINS0_14default_configENS1_22reduce_config_selectorIN6thrust23THRUST_200600_302600_NS5tupleIblNS6_9null_typeES8_S8_S8_S8_S8_S8_S8_EEEEZNS1_11reduce_implILb1ES3_NS6_12zip_iteratorINS7_INS6_11hip_rocprim26transform_input_iterator_tIbPsNS6_6detail10functional5actorINSH_9compositeIJNSH_27transparent_binary_operatorINS6_8equal_toIvEEEENSI_INSH_8argumentILj0EEEEENSH_5valueIsEEEEEEEEENSD_19counting_iterator_tIlEES8_S8_S8_S8_S8_S8_S8_S8_EEEEPS9_S9_NSD_9__find_if7functorIS9_EEEE10hipError_tPvRmT1_T2_T3_mT4_P12ihipStream_tbEUlT_E1_NS1_11comp_targetILNS1_3genE4ELNS1_11target_archE910ELNS1_3gpuE8ELNS1_3repE0EEENS1_30default_config_static_selectorELNS0_4arch9wavefront6targetE1EEEvS17_
; %bb.0:
	s_load_dword s35, s[4:5], 0x4
	s_load_dwordx2 s[24:25], s[4:5], 0x8
	s_load_dword s0, s[4:5], 0x10
	s_load_dwordx4 s[20:23], s[4:5], 0x18
	s_load_dword s33, s[4:5], 0x30
	s_load_dwordx2 s[18:19], s[4:5], 0x38
	s_waitcnt lgkmcnt(0)
	s_lshr_b32 s34, s0, 16
	s_cmp_lt_i32 s35, 4
	s_cbranch_scc1 .LBB1517_21
; %bb.1:
	s_cmp_gt_i32 s35, 7
	s_cbranch_scc0 .LBB1517_22
; %bb.2:
	s_cmp_eq_u32 s35, 8
	s_mov_b64 s[26:27], 0
	s_cbranch_scc0 .LBB1517_23
; %bb.3:
	s_mov_b32 s7, 0
	s_lshl_b32 s30, s6, 11
	s_mov_b32 s31, s7
	s_lshr_b64 s[0:1], s[22:23], 11
	s_lshl_b64 s[2:3], s[30:31], 1
	s_add_u32 s28, s24, s2
	s_addc_u32 s29, s25, s3
	s_add_u32 s36, s20, s30
	s_addc_u32 s37, s21, 0
	s_cmp_lg_u64 s[0:1], s[6:7]
	s_cbranch_scc0 .LBB1517_44
; %bb.4:
	v_lshlrev_b32_e32 v1, 1, v0
	global_load_ushort v2, v1, s[28:29] offset:1024
	global_load_ushort v3, v1, s[28:29] offset:2048
	;; [unrolled: 1-line block ×7, first 2 shown]
	global_load_ushort v9, v1, s[28:29]
	v_mov_b32_e32 v1, s37
	v_add_co_u32_e32 v17, vcc, s36, v0
	v_mov_b32_e32 v10, 0x200
	v_mov_b32_e32 v11, 0x100
	v_addc_co_u32_e32 v1, vcc, 0, v1, vcc
	v_mov_b32_e32 v12, 0x400
	v_mov_b32_e32 v13, 0x300
	v_mov_b32_e32 v14, 0x600
	v_mov_b32_e32 v15, 0x500
	v_mov_b32_e32 v16, 0x700
	s_waitcnt vmcnt(7)
	v_cmp_eq_u16_e32 vcc, s34, v2
	s_waitcnt vmcnt(6)
	v_cmp_eq_u16_e64 s[0:1], s34, v3
	s_waitcnt vmcnt(5)
	v_cmp_eq_u16_e64 s[2:3], s34, v4
	;; [unrolled: 2-line block ×4, first 2 shown]
	v_cndmask_b32_e64 v2, v10, v11, s[10:11]
	s_waitcnt vmcnt(2)
	v_cmp_eq_u16_e64 s[12:13], s34, v7
	s_waitcnt vmcnt(0)
	v_cmp_eq_u16_e64 s[16:17], s34, v9
	s_or_b64 s[10:11], s[16:17], s[10:11]
	s_or_b64 vcc, s[10:11], vcc
	v_cndmask_b32_e64 v3, v12, v13, s[12:13]
	v_cndmask_b32_e64 v2, v2, 0, s[16:17]
	s_or_b64 s[10:11], vcc, s[12:13]
	v_cmp_eq_u16_e64 s[14:15], s34, v8
	v_cndmask_b32_e32 v2, v3, v2, vcc
	s_or_b64 vcc, s[10:11], s[0:1]
	v_cndmask_b32_e64 v4, v14, v15, s[14:15]
	s_or_b64 s[0:1], vcc, s[14:15]
	v_cndmask_b32_e32 v2, v4, v2, vcc
	s_or_b64 vcc, s[0:1], s[2:3]
	v_cndmask_b32_e32 v2, v16, v2, vcc
	v_add_co_u32_e64 v2, s[0:1], v17, v2
	v_addc_co_u32_e64 v3, s[0:1], 0, v1, s[0:1]
	s_or_b64 s[0:1], vcc, s[8:9]
	v_cndmask_b32_e64 v1, 0, 1, s[0:1]
	v_mov_b32_dpp v4, v2 quad_perm:[1,0,3,2] row_mask:0xf bank_mask:0xf bound_ctrl:1
	v_mov_b32_dpp v5, v3 quad_perm:[1,0,3,2] row_mask:0xf bank_mask:0xf bound_ctrl:1
	v_mov_b32_dpp v6, v1 quad_perm:[1,0,3,2] row_mask:0xf bank_mask:0xf bound_ctrl:1
	v_and_b32_e32 v7, 1, v6
	v_cmp_eq_u32_e32 vcc, 1, v7
	s_and_saveexec_b64 s[2:3], vcc
; %bb.5:
	v_cmp_lt_i64_e32 vcc, v[2:3], v[4:5]
	v_cndmask_b32_e64 v6, v6, 1, s[0:1]
	s_and_b64 vcc, s[0:1], vcc
	v_cndmask_b32_e32 v2, v4, v2, vcc
	v_and_b32_e32 v4, 1, v6
	v_cndmask_b32_e32 v3, v5, v3, vcc
	v_cmp_eq_u32_e32 vcc, 1, v4
	s_andn2_b64 s[0:1], s[0:1], exec
	s_and_b64 s[8:9], vcc, exec
	v_and_b32_e32 v1, 0xff, v6
	s_or_b64 s[0:1], s[0:1], s[8:9]
; %bb.6:
	s_or_b64 exec, exec, s[2:3]
	v_mov_b32_dpp v6, v1 quad_perm:[2,3,0,1] row_mask:0xf bank_mask:0xf bound_ctrl:1
	v_and_b32_e32 v7, 1, v6
	v_mov_b32_dpp v4, v2 quad_perm:[2,3,0,1] row_mask:0xf bank_mask:0xf bound_ctrl:1
	v_mov_b32_dpp v5, v3 quad_perm:[2,3,0,1] row_mask:0xf bank_mask:0xf bound_ctrl:1
	v_cmp_eq_u32_e32 vcc, 1, v7
	s_and_saveexec_b64 s[2:3], vcc
; %bb.7:
	v_cmp_lt_i64_e32 vcc, v[2:3], v[4:5]
	v_cndmask_b32_e64 v6, v6, 1, s[0:1]
	s_and_b64 vcc, s[0:1], vcc
	v_cndmask_b32_e32 v2, v4, v2, vcc
	v_and_b32_e32 v4, 1, v6
	v_cndmask_b32_e32 v3, v5, v3, vcc
	v_cmp_eq_u32_e32 vcc, 1, v4
	s_andn2_b64 s[0:1], s[0:1], exec
	s_and_b64 s[8:9], vcc, exec
	v_and_b32_e32 v1, 0xff, v6
	s_or_b64 s[0:1], s[0:1], s[8:9]
; %bb.8:
	s_or_b64 exec, exec, s[2:3]
	v_mov_b32_dpp v6, v1 row_ror:4 row_mask:0xf bank_mask:0xf bound_ctrl:1
	v_and_b32_e32 v7, 1, v6
	v_mov_b32_dpp v4, v2 row_ror:4 row_mask:0xf bank_mask:0xf bound_ctrl:1
	v_mov_b32_dpp v5, v3 row_ror:4 row_mask:0xf bank_mask:0xf bound_ctrl:1
	v_cmp_eq_u32_e32 vcc, 1, v7
	s_and_saveexec_b64 s[2:3], vcc
; %bb.9:
	v_cmp_lt_i64_e32 vcc, v[2:3], v[4:5]
	v_cndmask_b32_e64 v6, v6, 1, s[0:1]
	s_and_b64 vcc, s[0:1], vcc
	v_cndmask_b32_e32 v2, v4, v2, vcc
	v_and_b32_e32 v4, 1, v6
	v_cndmask_b32_e32 v3, v5, v3, vcc
	v_cmp_eq_u32_e32 vcc, 1, v4
	s_andn2_b64 s[0:1], s[0:1], exec
	s_and_b64 s[8:9], vcc, exec
	v_and_b32_e32 v1, 0xff, v6
	s_or_b64 s[0:1], s[0:1], s[8:9]
; %bb.10:
	s_or_b64 exec, exec, s[2:3]
	v_mov_b32_dpp v6, v1 row_ror:8 row_mask:0xf bank_mask:0xf bound_ctrl:1
	v_and_b32_e32 v7, 1, v6
	v_mov_b32_dpp v4, v2 row_ror:8 row_mask:0xf bank_mask:0xf bound_ctrl:1
	v_mov_b32_dpp v5, v3 row_ror:8 row_mask:0xf bank_mask:0xf bound_ctrl:1
	v_cmp_eq_u32_e32 vcc, 1, v7
	s_and_saveexec_b64 s[2:3], vcc
; %bb.11:
	v_cmp_lt_i64_e32 vcc, v[2:3], v[4:5]
	v_cndmask_b32_e64 v6, v6, 1, s[0:1]
	s_and_b64 vcc, s[0:1], vcc
	v_cndmask_b32_e32 v2, v4, v2, vcc
	v_and_b32_e32 v4, 1, v6
	v_cndmask_b32_e32 v3, v5, v3, vcc
	v_cmp_eq_u32_e32 vcc, 1, v4
	s_andn2_b64 s[0:1], s[0:1], exec
	s_and_b64 s[8:9], vcc, exec
	v_and_b32_e32 v1, 0xff, v6
	s_or_b64 s[0:1], s[0:1], s[8:9]
; %bb.12:
	s_or_b64 exec, exec, s[2:3]
	v_mov_b32_dpp v6, v1 row_bcast:15 row_mask:0xf bank_mask:0xf bound_ctrl:1
	v_and_b32_e32 v7, 1, v6
	v_mov_b32_dpp v4, v2 row_bcast:15 row_mask:0xf bank_mask:0xf bound_ctrl:1
	v_mov_b32_dpp v5, v3 row_bcast:15 row_mask:0xf bank_mask:0xf bound_ctrl:1
	v_cmp_eq_u32_e32 vcc, 1, v7
	s_and_saveexec_b64 s[2:3], vcc
; %bb.13:
	v_cmp_lt_i64_e32 vcc, v[2:3], v[4:5]
	v_cndmask_b32_e64 v6, v6, 1, s[0:1]
	s_and_b64 vcc, s[0:1], vcc
	v_cndmask_b32_e32 v2, v4, v2, vcc
	v_and_b32_e32 v4, 1, v6
	v_cndmask_b32_e32 v3, v5, v3, vcc
	v_cmp_eq_u32_e32 vcc, 1, v4
	s_andn2_b64 s[0:1], s[0:1], exec
	s_and_b64 s[8:9], vcc, exec
	v_and_b32_e32 v1, 0xff, v6
	s_or_b64 s[0:1], s[0:1], s[8:9]
; %bb.14:
	s_or_b64 exec, exec, s[2:3]
	v_mov_b32_dpp v6, v1 row_bcast:31 row_mask:0xf bank_mask:0xf bound_ctrl:1
	v_and_b32_e32 v7, 1, v6
	v_mov_b32_dpp v4, v2 row_bcast:31 row_mask:0xf bank_mask:0xf bound_ctrl:1
	v_mov_b32_dpp v5, v3 row_bcast:31 row_mask:0xf bank_mask:0xf bound_ctrl:1
	v_cmp_eq_u32_e32 vcc, 1, v7
	s_and_saveexec_b64 s[2:3], vcc
; %bb.15:
	v_cmp_lt_i64_e32 vcc, v[2:3], v[4:5]
	v_and_b32_e32 v1, 0xff, v6
	s_and_b64 vcc, s[0:1], vcc
	v_cndmask_b32_e32 v2, v4, v2, vcc
	v_cndmask_b32_e32 v3, v5, v3, vcc
	v_cndmask_b32_e64 v1, v1, 1, s[0:1]
; %bb.16:
	s_or_b64 exec, exec, s[2:3]
	v_mbcnt_lo_u32_b32 v4, -1, 0
	v_mbcnt_hi_u32_b32 v4, -1, v4
	v_bfrev_b32_e32 v5, 0.5
	v_lshl_or_b32 v5, v4, 2, v5
	ds_bpermute_b32 v7, v5, v1
	ds_bpermute_b32 v2, v5, v2
	;; [unrolled: 1-line block ×3, first 2 shown]
	v_cmp_eq_u32_e32 vcc, 0, v4
	s_and_saveexec_b64 s[0:1], vcc
	s_cbranch_execz .LBB1517_18
; %bb.17:
	v_lshrrev_b32_e32 v1, 2, v0
	v_and_b32_e32 v1, 48, v1
	s_waitcnt lgkmcnt(2)
	ds_write_b8 v1, v7 offset:192
	s_waitcnt lgkmcnt(1)
	ds_write_b64 v1, v[2:3] offset:200
.LBB1517_18:
	s_or_b64 exec, exec, s[0:1]
	v_cmp_gt_u32_e32 vcc, 64, v0
	s_waitcnt lgkmcnt(0)
	s_barrier
	s_and_saveexec_b64 s[2:3], vcc
	s_cbranch_execz .LBB1517_20
; %bb.19:
	v_and_b32_e32 v1, 3, v4
	v_lshlrev_b32_e32 v2, 4, v1
	ds_read_u8 v5, v2 offset:192
	ds_read_b64 v[2:3], v2 offset:200
	v_cmp_ne_u32_e32 vcc, 3, v1
	v_addc_co_u32_e32 v6, vcc, 0, v4, vcc
	s_waitcnt lgkmcnt(1)
	v_and_b32_e32 v7, 0xff, v5
	v_lshlrev_b32_e32 v8, 2, v6
	ds_bpermute_b32 v9, v8, v7
	s_waitcnt lgkmcnt(1)
	ds_bpermute_b32 v6, v8, v2
	ds_bpermute_b32 v7, v8, v3
	v_and_b32_e32 v8, 1, v5
	s_waitcnt lgkmcnt(2)
	v_and_b32_e32 v10, 1, v9
	v_cmp_eq_u32_e64 s[0:1], 1, v10
	s_waitcnt lgkmcnt(0)
	v_cmp_lt_i64_e32 vcc, v[6:7], v[2:3]
	s_and_b64 vcc, s[0:1], vcc
	v_cndmask_b32_e64 v5, v5, 1, s[0:1]
	v_cndmask_b32_e32 v2, v2, v6, vcc
	v_cndmask_b32_e32 v3, v3, v7, vcc
	v_cmp_eq_u32_e32 vcc, 1, v8
	v_cndmask_b32_e32 v8, v9, v5, vcc
	v_cndmask_b32_e32 v3, v7, v3, vcc
	;; [unrolled: 1-line block ×3, first 2 shown]
	v_cmp_gt_u32_e32 vcc, 2, v1
	v_cndmask_b32_e64 v1, 0, 1, vcc
	v_lshlrev_b32_e32 v1, 1, v1
	v_and_b32_e32 v5, 0xff, v8
	v_add_lshl_u32 v1, v1, v4, 2
	ds_bpermute_b32 v6, v1, v5
	ds_bpermute_b32 v4, v1, v2
	;; [unrolled: 1-line block ×3, first 2 shown]
	v_and_b32_e32 v1, 1, v8
	s_waitcnt lgkmcnt(2)
	v_and_b32_e32 v7, 1, v6
	v_cmp_eq_u32_e64 s[0:1], 1, v7
	s_waitcnt lgkmcnt(0)
	v_cmp_lt_i64_e32 vcc, v[4:5], v[2:3]
	s_and_b64 vcc, s[0:1], vcc
	v_cndmask_b32_e64 v7, v8, 1, s[0:1]
	v_cndmask_b32_e32 v2, v2, v4, vcc
	v_cndmask_b32_e32 v3, v3, v5, vcc
	v_cmp_eq_u32_e32 vcc, 1, v1
	v_cndmask_b32_e32 v1, v6, v7, vcc
	v_cndmask_b32_e32 v3, v5, v3, vcc
	;; [unrolled: 1-line block ×3, first 2 shown]
	v_and_b32_e32 v7, 0xff, v1
.LBB1517_20:
	s_or_b64 exec, exec, s[2:3]
	s_branch .LBB1517_89
.LBB1517_21:
	s_mov_b64 s[10:11], 0
                                        ; implicit-def: $vgpr4_vgpr5
                                        ; implicit-def: $vgpr1
	s_cbranch_execnz .LBB1517_133
	s_branch .LBB1517_208
.LBB1517_22:
	s_mov_b64 s[26:27], -1
.LBB1517_23:
	s_mov_b64 s[10:11], 0
                                        ; implicit-def: $vgpr4_vgpr5
                                        ; implicit-def: $vgpr1
	s_and_b64 vcc, exec, s[26:27]
	s_cbranch_vccz .LBB1517_94
.LBB1517_24:
	s_cmp_eq_u32 s35, 4
	s_cbranch_scc0 .LBB1517_43
; %bb.25:
	s_mov_b32 s7, 0
	s_lshl_b32 s14, s6, 10
	s_mov_b32 s15, s7
	s_lshr_b64 s[0:1], s[22:23], 10
	s_lshl_b64 s[2:3], s[14:15], 1
	s_add_u32 s12, s24, s2
	s_addc_u32 s13, s25, s3
	s_add_u32 s16, s20, s14
	s_addc_u32 s17, s21, 0
	s_cmp_lg_u64 s[0:1], s[6:7]
	s_cbranch_scc0 .LBB1517_95
; %bb.26:
	v_lshlrev_b32_e32 v1, 1, v0
	global_load_ushort v2, v1, s[12:13] offset:1024
	global_load_ushort v3, v1, s[12:13] offset:1536
	s_waitcnt lgkmcnt(1)
	global_load_ushort v4, v1, s[12:13] offset:512
	s_waitcnt lgkmcnt(0)
	global_load_ushort v5, v1, s[12:13]
	v_mov_b32_e32 v1, s17
	v_add_co_u32_e32 v9, vcc, s16, v0
	v_mov_b32_e32 v6, 0x200
	v_mov_b32_e32 v7, 0x100
	v_addc_co_u32_e32 v1, vcc, 0, v1, vcc
	v_mov_b32_e32 v8, 0x300
	s_waitcnt vmcnt(3)
	v_cmp_eq_u16_e32 vcc, s34, v2
	s_waitcnt vmcnt(2)
	v_cmp_eq_u16_e64 s[0:1], s34, v3
	s_waitcnt vmcnt(1)
	v_cmp_eq_u16_e64 s[2:3], s34, v4
	;; [unrolled: 2-line block ×3, first 2 shown]
	v_cndmask_b32_e64 v2, v6, v7, s[2:3]
	s_or_b64 s[2:3], s[8:9], s[2:3]
	v_cndmask_b32_e64 v2, v2, 0, s[8:9]
	s_or_b64 vcc, s[2:3], vcc
	v_cndmask_b32_e32 v2, v8, v2, vcc
	v_add_co_u32_e64 v2, s[2:3], v9, v2
	s_or_b64 s[0:1], vcc, s[0:1]
	v_addc_co_u32_e64 v3, s[2:3], 0, v1, s[2:3]
	v_cndmask_b32_e64 v1, 0, 1, s[0:1]
	v_mov_b32_dpp v4, v2 quad_perm:[1,0,3,2] row_mask:0xf bank_mask:0xf bound_ctrl:1
	v_mov_b32_dpp v5, v3 quad_perm:[1,0,3,2] row_mask:0xf bank_mask:0xf bound_ctrl:1
	;; [unrolled: 1-line block ×3, first 2 shown]
	v_and_b32_e32 v7, 1, v6
	v_cmp_eq_u32_e32 vcc, 1, v7
	s_and_saveexec_b64 s[2:3], vcc
; %bb.27:
	v_cmp_lt_i64_e32 vcc, v[2:3], v[4:5]
	v_cndmask_b32_e64 v6, v6, 1, s[0:1]
	s_and_b64 vcc, s[0:1], vcc
	v_cndmask_b32_e32 v2, v4, v2, vcc
	v_and_b32_e32 v4, 1, v6
	v_cndmask_b32_e32 v3, v5, v3, vcc
	v_cmp_eq_u32_e32 vcc, 1, v4
	s_andn2_b64 s[0:1], s[0:1], exec
	s_and_b64 s[8:9], vcc, exec
	v_and_b32_e32 v1, 0xff, v6
	s_or_b64 s[0:1], s[0:1], s[8:9]
; %bb.28:
	s_or_b64 exec, exec, s[2:3]
	v_mov_b32_dpp v6, v1 quad_perm:[2,3,0,1] row_mask:0xf bank_mask:0xf bound_ctrl:1
	v_and_b32_e32 v7, 1, v6
	v_mov_b32_dpp v4, v2 quad_perm:[2,3,0,1] row_mask:0xf bank_mask:0xf bound_ctrl:1
	v_mov_b32_dpp v5, v3 quad_perm:[2,3,0,1] row_mask:0xf bank_mask:0xf bound_ctrl:1
	v_cmp_eq_u32_e32 vcc, 1, v7
	s_and_saveexec_b64 s[2:3], vcc
; %bb.29:
	v_cmp_lt_i64_e32 vcc, v[2:3], v[4:5]
	v_cndmask_b32_e64 v6, v6, 1, s[0:1]
	s_and_b64 vcc, s[0:1], vcc
	v_cndmask_b32_e32 v2, v4, v2, vcc
	v_and_b32_e32 v4, 1, v6
	v_cndmask_b32_e32 v3, v5, v3, vcc
	v_cmp_eq_u32_e32 vcc, 1, v4
	s_andn2_b64 s[0:1], s[0:1], exec
	s_and_b64 s[8:9], vcc, exec
	v_and_b32_e32 v1, 0xff, v6
	s_or_b64 s[0:1], s[0:1], s[8:9]
; %bb.30:
	s_or_b64 exec, exec, s[2:3]
	v_mov_b32_dpp v6, v1 row_ror:4 row_mask:0xf bank_mask:0xf bound_ctrl:1
	v_and_b32_e32 v7, 1, v6
	v_mov_b32_dpp v4, v2 row_ror:4 row_mask:0xf bank_mask:0xf bound_ctrl:1
	v_mov_b32_dpp v5, v3 row_ror:4 row_mask:0xf bank_mask:0xf bound_ctrl:1
	v_cmp_eq_u32_e32 vcc, 1, v7
	s_and_saveexec_b64 s[2:3], vcc
; %bb.31:
	v_cmp_lt_i64_e32 vcc, v[2:3], v[4:5]
	v_cndmask_b32_e64 v6, v6, 1, s[0:1]
	s_and_b64 vcc, s[0:1], vcc
	v_cndmask_b32_e32 v2, v4, v2, vcc
	v_and_b32_e32 v4, 1, v6
	v_cndmask_b32_e32 v3, v5, v3, vcc
	v_cmp_eq_u32_e32 vcc, 1, v4
	s_andn2_b64 s[0:1], s[0:1], exec
	s_and_b64 s[8:9], vcc, exec
	v_and_b32_e32 v1, 0xff, v6
	s_or_b64 s[0:1], s[0:1], s[8:9]
; %bb.32:
	s_or_b64 exec, exec, s[2:3]
	v_mov_b32_dpp v6, v1 row_ror:8 row_mask:0xf bank_mask:0xf bound_ctrl:1
	v_and_b32_e32 v7, 1, v6
	v_mov_b32_dpp v4, v2 row_ror:8 row_mask:0xf bank_mask:0xf bound_ctrl:1
	v_mov_b32_dpp v5, v3 row_ror:8 row_mask:0xf bank_mask:0xf bound_ctrl:1
	v_cmp_eq_u32_e32 vcc, 1, v7
	s_and_saveexec_b64 s[2:3], vcc
; %bb.33:
	v_cmp_lt_i64_e32 vcc, v[2:3], v[4:5]
	v_cndmask_b32_e64 v6, v6, 1, s[0:1]
	s_and_b64 vcc, s[0:1], vcc
	v_cndmask_b32_e32 v2, v4, v2, vcc
	v_and_b32_e32 v4, 1, v6
	v_cndmask_b32_e32 v3, v5, v3, vcc
	v_cmp_eq_u32_e32 vcc, 1, v4
	s_andn2_b64 s[0:1], s[0:1], exec
	s_and_b64 s[8:9], vcc, exec
	v_and_b32_e32 v1, 0xff, v6
	s_or_b64 s[0:1], s[0:1], s[8:9]
; %bb.34:
	s_or_b64 exec, exec, s[2:3]
	v_mov_b32_dpp v6, v1 row_bcast:15 row_mask:0xf bank_mask:0xf bound_ctrl:1
	v_and_b32_e32 v7, 1, v6
	v_mov_b32_dpp v4, v2 row_bcast:15 row_mask:0xf bank_mask:0xf bound_ctrl:1
	v_mov_b32_dpp v5, v3 row_bcast:15 row_mask:0xf bank_mask:0xf bound_ctrl:1
	v_cmp_eq_u32_e32 vcc, 1, v7
	s_and_saveexec_b64 s[2:3], vcc
; %bb.35:
	v_cmp_lt_i64_e32 vcc, v[2:3], v[4:5]
	v_cndmask_b32_e64 v6, v6, 1, s[0:1]
	s_and_b64 vcc, s[0:1], vcc
	v_cndmask_b32_e32 v2, v4, v2, vcc
	v_and_b32_e32 v4, 1, v6
	v_cndmask_b32_e32 v3, v5, v3, vcc
	v_cmp_eq_u32_e32 vcc, 1, v4
	s_andn2_b64 s[0:1], s[0:1], exec
	s_and_b64 s[8:9], vcc, exec
	v_and_b32_e32 v1, 0xff, v6
	s_or_b64 s[0:1], s[0:1], s[8:9]
; %bb.36:
	s_or_b64 exec, exec, s[2:3]
	v_mov_b32_dpp v6, v1 row_bcast:31 row_mask:0xf bank_mask:0xf bound_ctrl:1
	v_and_b32_e32 v7, 1, v6
	v_mov_b32_dpp v4, v2 row_bcast:31 row_mask:0xf bank_mask:0xf bound_ctrl:1
	v_mov_b32_dpp v5, v3 row_bcast:31 row_mask:0xf bank_mask:0xf bound_ctrl:1
	v_cmp_eq_u32_e32 vcc, 1, v7
	s_and_saveexec_b64 s[2:3], vcc
; %bb.37:
	v_cmp_lt_i64_e32 vcc, v[2:3], v[4:5]
	v_and_b32_e32 v1, 0xff, v6
	s_and_b64 vcc, s[0:1], vcc
	v_cndmask_b32_e32 v2, v4, v2, vcc
	v_cndmask_b32_e32 v3, v5, v3, vcc
	v_cndmask_b32_e64 v1, v1, 1, s[0:1]
; %bb.38:
	s_or_b64 exec, exec, s[2:3]
	v_mbcnt_lo_u32_b32 v4, -1, 0
	v_mbcnt_hi_u32_b32 v4, -1, v4
	v_bfrev_b32_e32 v5, 0.5
	v_lshl_or_b32 v5, v4, 2, v5
	ds_bpermute_b32 v6, v5, v1
	ds_bpermute_b32 v2, v5, v2
	;; [unrolled: 1-line block ×3, first 2 shown]
	v_cmp_eq_u32_e32 vcc, 0, v4
	s_and_saveexec_b64 s[0:1], vcc
	s_cbranch_execz .LBB1517_40
; %bb.39:
	v_lshrrev_b32_e32 v1, 2, v0
	v_and_b32_e32 v1, 48, v1
	s_waitcnt lgkmcnt(2)
	ds_write_b8 v1, v6 offset:128
	s_waitcnt lgkmcnt(1)
	ds_write_b64 v1, v[2:3] offset:136
.LBB1517_40:
	s_or_b64 exec, exec, s[0:1]
	v_cmp_gt_u32_e32 vcc, 64, v0
	s_waitcnt lgkmcnt(0)
	s_barrier
	s_and_saveexec_b64 s[2:3], vcc
	s_cbranch_execz .LBB1517_42
; %bb.41:
	v_and_b32_e32 v1, 3, v4
	v_lshlrev_b32_e32 v2, 4, v1
	ds_read_u8 v5, v2 offset:128
	ds_read_b64 v[2:3], v2 offset:136
	v_cmp_ne_u32_e32 vcc, 3, v1
	v_addc_co_u32_e32 v6, vcc, 0, v4, vcc
	s_waitcnt lgkmcnt(1)
	v_and_b32_e32 v7, 0xff, v5
	v_lshlrev_b32_e32 v8, 2, v6
	ds_bpermute_b32 v9, v8, v7
	s_waitcnt lgkmcnt(1)
	ds_bpermute_b32 v6, v8, v2
	ds_bpermute_b32 v7, v8, v3
	v_and_b32_e32 v8, 1, v5
	s_waitcnt lgkmcnt(2)
	v_and_b32_e32 v10, 1, v9
	v_cmp_eq_u32_e64 s[0:1], 1, v10
	s_waitcnt lgkmcnt(0)
	v_cmp_lt_i64_e32 vcc, v[6:7], v[2:3]
	s_and_b64 vcc, s[0:1], vcc
	v_cndmask_b32_e64 v5, v5, 1, s[0:1]
	v_cndmask_b32_e32 v2, v2, v6, vcc
	v_cndmask_b32_e32 v3, v3, v7, vcc
	v_cmp_eq_u32_e32 vcc, 1, v8
	v_cndmask_b32_e32 v8, v9, v5, vcc
	v_cndmask_b32_e32 v3, v7, v3, vcc
	;; [unrolled: 1-line block ×3, first 2 shown]
	v_cmp_gt_u32_e32 vcc, 2, v1
	v_cndmask_b32_e64 v1, 0, 1, vcc
	v_lshlrev_b32_e32 v1, 1, v1
	v_and_b32_e32 v5, 0xff, v8
	v_add_lshl_u32 v1, v1, v4, 2
	ds_bpermute_b32 v6, v1, v5
	ds_bpermute_b32 v4, v1, v2
	;; [unrolled: 1-line block ×3, first 2 shown]
	v_and_b32_e32 v1, 1, v8
	s_waitcnt lgkmcnt(2)
	v_and_b32_e32 v7, 1, v6
	v_cmp_eq_u32_e64 s[0:1], 1, v7
	s_waitcnt lgkmcnt(0)
	v_cmp_lt_i64_e32 vcc, v[4:5], v[2:3]
	s_and_b64 vcc, s[0:1], vcc
	v_cndmask_b32_e64 v7, v8, 1, s[0:1]
	v_cndmask_b32_e32 v2, v2, v4, vcc
	v_cndmask_b32_e32 v3, v3, v5, vcc
	v_cmp_eq_u32_e32 vcc, 1, v1
	v_cndmask_b32_e32 v1, v6, v7, vcc
	v_cndmask_b32_e32 v3, v5, v3, vcc
	;; [unrolled: 1-line block ×3, first 2 shown]
	v_and_b32_e32 v6, 0xff, v1
.LBB1517_42:
	s_or_b64 exec, exec, s[2:3]
	s_branch .LBB1517_128
.LBB1517_43:
                                        ; implicit-def: $vgpr4_vgpr5
                                        ; implicit-def: $vgpr1
	s_branch .LBB1517_208
.LBB1517_44:
                                        ; implicit-def: $vgpr2_vgpr3
                                        ; implicit-def: $vgpr7
	s_cbranch_execz .LBB1517_89
; %bb.45:
	s_sub_i32 s38, s22, s30
	v_pk_mov_b32 v[10:11], 0, 0
	v_cmp_gt_u32_e32 vcc, s38, v0
	v_mov_b32_e32 v21, 0
	v_pk_mov_b32 v[2:3], v[10:11], v[10:11] op_sel:[0,1]
	v_mov_b32_e32 v1, 0
	s_and_saveexec_b64 s[0:1], vcc
	s_cbranch_execz .LBB1517_47
; %bb.46:
	v_lshlrev_b32_e32 v1, 1, v0
	global_load_ushort v1, v1, s[28:29]
	v_mov_b32_e32 v3, s37
	v_add_co_u32_e32 v2, vcc, s36, v0
	v_addc_co_u32_e32 v3, vcc, 0, v3, vcc
	s_waitcnt vmcnt(0)
	v_cmp_eq_u16_e32 vcc, s34, v1
	v_cndmask_b32_e64 v1, 0, 1, vcc
.LBB1517_47:
	s_or_b64 exec, exec, s[0:1]
	v_or_b32_e32 v4, 0x100, v0
	v_cmp_gt_u32_e64 s[14:15], s38, v4
	s_and_saveexec_b64 s[0:1], s[14:15]
	s_cbranch_execz .LBB1517_49
; %bb.48:
	v_lshlrev_b32_e32 v5, 1, v0
	global_load_ushort v5, v5, s[28:29] offset:512
	v_mov_b32_e32 v6, s37
	v_add_co_u32_e32 v10, vcc, s36, v4
	v_addc_co_u32_e32 v11, vcc, 0, v6, vcc
	s_waitcnt vmcnt(0)
	v_cmp_eq_u16_e32 vcc, s34, v5
	v_cndmask_b32_e64 v21, 0, 1, vcc
.LBB1517_49:
	s_or_b64 exec, exec, s[0:1]
	v_or_b32_e32 v4, 0x200, v0
	v_pk_mov_b32 v[8:9], 0, 0
	v_cmp_gt_u32_e64 s[12:13], s38, v4
	v_mov_b32_e32 v20, 0
	v_pk_mov_b32 v[16:17], v[8:9], v[8:9] op_sel:[0,1]
	v_mov_b32_e32 v24, 0
	s_and_saveexec_b64 s[0:1], s[12:13]
	s_cbranch_execz .LBB1517_51
; %bb.50:
	v_lshlrev_b32_e32 v5, 1, v0
	global_load_ushort v5, v5, s[28:29] offset:1024
	v_mov_b32_e32 v6, s37
	v_add_co_u32_e32 v16, vcc, s36, v4
	v_addc_co_u32_e32 v17, vcc, 0, v6, vcc
	s_waitcnt vmcnt(0)
	v_cmp_eq_u16_e32 vcc, s34, v5
	v_cndmask_b32_e64 v24, 0, 1, vcc
.LBB1517_51:
	s_or_b64 exec, exec, s[0:1]
	v_or_b32_e32 v4, 0x300, v0
	v_cmp_gt_u32_e64 s[10:11], s38, v4
	s_and_saveexec_b64 s[0:1], s[10:11]
	s_cbranch_execz .LBB1517_53
; %bb.52:
	v_lshlrev_b32_e32 v5, 1, v0
	global_load_ushort v5, v5, s[28:29] offset:1536
	v_mov_b32_e32 v6, s37
	v_add_co_u32_e32 v8, vcc, s36, v4
	v_addc_co_u32_e32 v9, vcc, 0, v6, vcc
	s_waitcnt vmcnt(0)
	v_cmp_eq_u16_e32 vcc, s34, v5
	v_cndmask_b32_e64 v20, 0, 1, vcc
.LBB1517_53:
	s_or_b64 exec, exec, s[0:1]
	v_or_b32_e32 v4, 0x400, v0
	v_pk_mov_b32 v[6:7], 0, 0
	v_cmp_gt_u32_e64 s[8:9], s38, v4
	v_mov_b32_e32 v19, 0
	v_pk_mov_b32 v[14:15], v[6:7], v[6:7] op_sel:[0,1]
	v_mov_b32_e32 v23, 0
	s_and_saveexec_b64 s[0:1], s[8:9]
	s_cbranch_execz .LBB1517_55
; %bb.54:
	v_lshlrev_b32_e32 v5, 1, v0
	global_load_ushort v5, v5, s[28:29] offset:2048
	v_mov_b32_e32 v12, s37
	v_add_co_u32_e32 v14, vcc, s36, v4
	v_addc_co_u32_e32 v15, vcc, 0, v12, vcc
	s_waitcnt vmcnt(0)
	v_cmp_eq_u16_e32 vcc, s34, v5
	v_cndmask_b32_e64 v23, 0, 1, vcc
.LBB1517_55:
	s_or_b64 exec, exec, s[0:1]
	v_or_b32_e32 v4, 0x500, v0
	v_cmp_gt_u32_e64 s[2:3], s38, v4
	s_and_saveexec_b64 s[0:1], s[2:3]
	s_cbranch_execz .LBB1517_57
; %bb.56:
	v_lshlrev_b32_e32 v5, 1, v0
	global_load_ushort v5, v5, s[28:29] offset:2560
	v_mov_b32_e32 v7, s37
	v_add_co_u32_e32 v6, vcc, s36, v4
	v_addc_co_u32_e32 v7, vcc, 0, v7, vcc
	s_waitcnt vmcnt(0)
	v_cmp_eq_u16_e32 vcc, s34, v5
	v_cndmask_b32_e64 v19, 0, 1, vcc
.LBB1517_57:
	s_or_b64 exec, exec, s[0:1]
	v_or_b32_e32 v25, 0x600, v0
	v_pk_mov_b32 v[4:5], 0, 0
	v_cmp_gt_u32_e64 s[0:1], s38, v25
	v_mov_b32_e32 v18, 0
	v_mov_b32_e32 v22, 0
	v_pk_mov_b32 v[12:13], v[4:5], v[4:5] op_sel:[0,1]
	s_and_saveexec_b64 s[16:17], s[0:1]
	s_cbranch_execz .LBB1517_59
; %bb.58:
	v_lshlrev_b32_e32 v12, 1, v0
	global_load_ushort v22, v12, s[28:29] offset:3072
	v_mov_b32_e32 v13, s37
	v_add_co_u32_e32 v12, vcc, s36, v25
	v_addc_co_u32_e32 v13, vcc, 0, v13, vcc
	s_waitcnt vmcnt(0)
	v_cmp_eq_u16_e32 vcc, s34, v22
	v_cndmask_b32_e64 v22, 0, 1, vcc
.LBB1517_59:
	s_or_b64 exec, exec, s[16:17]
	v_or_b32_e32 v25, 0x700, v0
	v_cmp_gt_u32_e32 vcc, s38, v25
	s_and_saveexec_b64 s[30:31], vcc
	s_cbranch_execnz .LBB1517_240
; %bb.60:
	s_or_b64 exec, exec, s[30:31]
	s_and_saveexec_b64 s[28:29], s[14:15]
	s_cbranch_execnz .LBB1517_241
.LBB1517_61:
	s_or_b64 exec, exec, s[28:29]
	s_and_saveexec_b64 s[16:17], s[12:13]
	s_cbranch_execnz .LBB1517_242
.LBB1517_62:
	s_or_b64 exec, exec, s[16:17]
	s_and_saveexec_b64 s[14:15], s[10:11]
	s_cbranch_execnz .LBB1517_243
.LBB1517_63:
	s_or_b64 exec, exec, s[14:15]
	s_and_saveexec_b64 s[12:13], s[8:9]
	s_cbranch_execnz .LBB1517_244
.LBB1517_64:
	s_or_b64 exec, exec, s[12:13]
	s_and_saveexec_b64 s[10:11], s[2:3]
	s_cbranch_execnz .LBB1517_245
.LBB1517_65:
	s_or_b64 exec, exec, s[10:11]
	s_and_saveexec_b64 s[8:9], s[0:1]
	s_cbranch_execnz .LBB1517_246
.LBB1517_66:
	s_or_b64 exec, exec, s[8:9]
	s_and_saveexec_b64 s[2:3], vcc
	s_cbranch_execz .LBB1517_68
.LBB1517_67:
	v_and_b32_e32 v7, 1, v18
	v_cmp_lt_i64_e32 vcc, v[4:5], v[2:3]
	v_cmp_eq_u32_e64 s[0:1], 1, v7
	v_and_b32_e32 v6, 1, v1
	s_and_b64 vcc, s[0:1], vcc
	v_cndmask_b32_e64 v1, v1, 1, s[0:1]
	v_cndmask_b32_e32 v2, v2, v4, vcc
	v_cndmask_b32_e32 v3, v3, v5, vcc
	v_cmp_eq_u32_e32 vcc, 1, v6
	v_cndmask_b32_e32 v1, v18, v1, vcc
	v_cndmask_b32_e32 v3, v5, v3, vcc
	;; [unrolled: 1-line block ×3, first 2 shown]
.LBB1517_68:
	s_or_b64 exec, exec, s[2:3]
	v_mbcnt_lo_u32_b32 v4, -1, 0
	v_mbcnt_hi_u32_b32 v6, -1, v4
	v_and_b32_e32 v8, 63, v6
	v_cmp_ne_u32_e32 vcc, 63, v8
	v_addc_co_u32_e32 v4, vcc, 0, v6, vcc
	v_and_b32_e32 v7, 0xffff, v1
	v_lshlrev_b32_e32 v5, 2, v4
	ds_bpermute_b32 v11, v5, v7
	ds_bpermute_b32 v4, v5, v2
	;; [unrolled: 1-line block ×3, first 2 shown]
	s_min_u32 s8, s38, 0x100
	v_and_b32_e32 v9, 0xc0, v0
	v_sub_u32_e64 v10, s8, v9 clamp
	v_add_u32_e32 v9, 1, v8
	v_cmp_lt_u32_e32 vcc, v9, v10
	v_mov_b32_e32 v9, v7
	s_and_saveexec_b64 s[0:1], vcc
	s_xor_b64 s[2:3], exec, s[0:1]
	s_cbranch_execz .LBB1517_70
; %bb.69:
	s_waitcnt lgkmcnt(2)
	v_and_b32_e32 v9, 1, v11
	s_waitcnt lgkmcnt(0)
	v_cmp_lt_i64_e32 vcc, v[4:5], v[2:3]
	v_cmp_eq_u32_e64 s[0:1], 1, v9
	v_and_b32_e32 v1, 1, v1
	s_and_b64 vcc, s[0:1], vcc
	v_cndmask_b32_e64 v7, v7, 1, s[0:1]
	v_cndmask_b32_e32 v2, v2, v4, vcc
	v_cndmask_b32_e32 v3, v3, v5, vcc
	v_cmp_eq_u32_e32 vcc, 1, v1
	v_cndmask_b32_e32 v9, v11, v7, vcc
	v_cndmask_b32_e32 v3, v5, v3, vcc
	;; [unrolled: 1-line block ×3, first 2 shown]
	v_and_b32_e32 v7, 0xff, v9
.LBB1517_70:
	s_or_b64 exec, exec, s[2:3]
	v_cmp_gt_u32_e32 vcc, 62, v8
	v_cndmask_b32_e64 v1, 0, 1, vcc
	v_lshlrev_b32_e32 v1, 1, v1
	s_waitcnt lgkmcnt(0)
	v_add_lshl_u32 v5, v1, v6, 2
	ds_bpermute_b32 v1, v5, v7
	ds_bpermute_b32 v4, v5, v2
	ds_bpermute_b32 v5, v5, v3
	v_add_u32_e32 v11, 2, v8
	v_cmp_lt_u32_e32 vcc, v11, v10
	s_and_saveexec_b64 s[2:3], vcc
	s_cbranch_execz .LBB1517_72
; %bb.71:
	s_waitcnt lgkmcnt(2)
	v_and_b32_e32 v11, 1, v1
	s_waitcnt lgkmcnt(0)
	v_cmp_lt_i64_e32 vcc, v[4:5], v[2:3]
	v_cmp_eq_u32_e64 s[0:1], 1, v11
	v_and_b32_e32 v7, 1, v9
	s_and_b64 vcc, s[0:1], vcc
	v_cndmask_b32_e64 v9, v9, 1, s[0:1]
	v_cndmask_b32_e32 v2, v2, v4, vcc
	v_cndmask_b32_e32 v3, v3, v5, vcc
	v_cmp_eq_u32_e32 vcc, 1, v7
	v_cndmask_b32_e32 v9, v1, v9, vcc
	v_cndmask_b32_e32 v3, v5, v3, vcc
	v_cndmask_b32_e32 v2, v4, v2, vcc
	v_and_b32_e32 v7, 0xff, v9
.LBB1517_72:
	s_or_b64 exec, exec, s[2:3]
	v_cmp_gt_u32_e32 vcc, 60, v8
	s_waitcnt lgkmcnt(2)
	v_cndmask_b32_e64 v1, 0, 1, vcc
	v_lshlrev_b32_e32 v1, 2, v1
	s_waitcnt lgkmcnt(0)
	v_add_lshl_u32 v5, v1, v6, 2
	ds_bpermute_b32 v1, v5, v7
	ds_bpermute_b32 v4, v5, v2
	ds_bpermute_b32 v5, v5, v3
	v_add_u32_e32 v11, 4, v8
	v_cmp_lt_u32_e32 vcc, v11, v10
	s_and_saveexec_b64 s[2:3], vcc
	s_cbranch_execz .LBB1517_74
; %bb.73:
	s_waitcnt lgkmcnt(2)
	v_and_b32_e32 v11, 1, v1
	s_waitcnt lgkmcnt(0)
	v_cmp_lt_i64_e32 vcc, v[4:5], v[2:3]
	v_cmp_eq_u32_e64 s[0:1], 1, v11
	v_and_b32_e32 v7, 1, v9
	s_and_b64 vcc, s[0:1], vcc
	v_cndmask_b32_e64 v9, v9, 1, s[0:1]
	v_cndmask_b32_e32 v2, v2, v4, vcc
	v_cndmask_b32_e32 v3, v3, v5, vcc
	v_cmp_eq_u32_e32 vcc, 1, v7
	v_cndmask_b32_e32 v9, v1, v9, vcc
	v_cndmask_b32_e32 v3, v5, v3, vcc
	v_cndmask_b32_e32 v2, v4, v2, vcc
	v_and_b32_e32 v7, 0xff, v9
.LBB1517_74:
	s_or_b64 exec, exec, s[2:3]
	v_cmp_gt_u32_e32 vcc, 56, v8
	s_waitcnt lgkmcnt(2)
	;; [unrolled: 31-line block ×4, first 2 shown]
	v_cndmask_b32_e64 v1, 0, 1, vcc
	v_lshlrev_b32_e32 v1, 5, v1
	s_waitcnt lgkmcnt(0)
	v_add_lshl_u32 v5, v1, v6, 2
	ds_bpermute_b32 v1, v5, v7
	ds_bpermute_b32 v4, v5, v2
	;; [unrolled: 1-line block ×3, first 2 shown]
	v_add_u32_e32 v8, 32, v8
	v_cmp_lt_u32_e32 vcc, v8, v10
	s_and_saveexec_b64 s[2:3], vcc
	s_cbranch_execz .LBB1517_80
; %bb.79:
	s_waitcnt lgkmcnt(2)
	v_and_b32_e32 v8, 1, v1
	s_waitcnt lgkmcnt(0)
	v_cmp_lt_i64_e32 vcc, v[4:5], v[2:3]
	v_cmp_eq_u32_e64 s[0:1], 1, v8
	v_and_b32_e32 v7, 1, v9
	s_and_b64 vcc, s[0:1], vcc
	v_cndmask_b32_e64 v8, v9, 1, s[0:1]
	v_cndmask_b32_e32 v2, v2, v4, vcc
	v_cndmask_b32_e32 v3, v3, v5, vcc
	v_cmp_eq_u32_e32 vcc, 1, v7
	v_cndmask_b32_e32 v9, v1, v8, vcc
	v_cndmask_b32_e32 v3, v5, v3, vcc
	;; [unrolled: 1-line block ×3, first 2 shown]
	v_and_b32_e32 v7, 0xff, v9
.LBB1517_80:
	s_or_b64 exec, exec, s[2:3]
	v_cmp_eq_u32_e32 vcc, 0, v6
	s_and_saveexec_b64 s[0:1], vcc
	s_cbranch_execz .LBB1517_82
; %bb.81:
	s_waitcnt lgkmcnt(2)
	v_lshrrev_b32_e32 v1, 2, v0
	v_and_b32_e32 v1, 48, v1
	ds_write_b8 v1, v9 offset:256
	ds_write_b64 v1, v[2:3] offset:264
.LBB1517_82:
	s_or_b64 exec, exec, s[0:1]
	v_cmp_gt_u32_e32 vcc, 4, v0
	s_waitcnt lgkmcnt(0)
	s_barrier
	s_and_saveexec_b64 s[2:3], vcc
	s_cbranch_execz .LBB1517_88
; %bb.83:
	v_lshlrev_b32_e32 v2, 4, v6
	ds_read_u8 v1, v2 offset:256
	ds_read_b64 v[2:3], v2 offset:264
	v_and_b32_e32 v8, 3, v6
	v_cmp_ne_u32_e32 vcc, 3, v8
	v_addc_co_u32_e32 v4, vcc, 0, v6, vcc
	s_waitcnt lgkmcnt(1)
	v_and_b32_e32 v7, 0xff, v1
	v_lshlrev_b32_e32 v5, 2, v4
	ds_bpermute_b32 v9, v5, v7
	s_waitcnt lgkmcnt(1)
	ds_bpermute_b32 v4, v5, v2
	ds_bpermute_b32 v5, v5, v3
	s_add_i32 s8, s8, 63
	s_lshr_b32 s10, s8, 6
	v_add_u32_e32 v10, 1, v8
	v_cmp_gt_u32_e32 vcc, s10, v10
	s_and_saveexec_b64 s[8:9], vcc
	s_cbranch_execz .LBB1517_85
; %bb.84:
	s_waitcnt lgkmcnt(2)
	v_and_b32_e32 v10, 1, v9
	s_waitcnt lgkmcnt(0)
	v_cmp_lt_i64_e32 vcc, v[4:5], v[2:3]
	v_cmp_eq_u32_e64 s[0:1], 1, v10
	v_and_b32_e32 v7, 1, v1
	s_and_b64 vcc, s[0:1], vcc
	v_cndmask_b32_e64 v1, v1, 1, s[0:1]
	v_cndmask_b32_e32 v2, v2, v4, vcc
	v_cndmask_b32_e32 v3, v3, v5, vcc
	v_cmp_eq_u32_e32 vcc, 1, v7
	v_cndmask_b32_e32 v1, v9, v1, vcc
	v_cndmask_b32_e32 v3, v5, v3, vcc
	;; [unrolled: 1-line block ×3, first 2 shown]
	v_and_b32_e32 v7, 0xff, v1
.LBB1517_85:
	s_or_b64 exec, exec, s[8:9]
	v_cmp_gt_u32_e32 vcc, 2, v8
	s_waitcnt lgkmcnt(1)
	v_cndmask_b32_e64 v4, 0, 1, vcc
	v_lshlrev_b32_e32 v4, 1, v4
	s_waitcnt lgkmcnt(0)
	v_add_lshl_u32 v5, v4, v6, 2
	ds_bpermute_b32 v6, v5, v7
	ds_bpermute_b32 v4, v5, v2
	;; [unrolled: 1-line block ×3, first 2 shown]
	v_add_u32_e32 v8, 2, v8
	v_cmp_gt_u32_e32 vcc, s10, v8
	s_and_saveexec_b64 s[8:9], vcc
	s_cbranch_execz .LBB1517_87
; %bb.86:
	s_waitcnt lgkmcnt(2)
	v_and_b32_e32 v8, 1, v6
	s_waitcnt lgkmcnt(0)
	v_cmp_lt_i64_e32 vcc, v[4:5], v[2:3]
	v_cmp_eq_u32_e64 s[0:1], 1, v8
	v_and_b32_e32 v7, 1, v1
	s_and_b64 vcc, s[0:1], vcc
	v_cndmask_b32_e64 v1, v1, 1, s[0:1]
	v_cndmask_b32_e32 v2, v2, v4, vcc
	v_cndmask_b32_e32 v3, v3, v5, vcc
	v_cmp_eq_u32_e32 vcc, 1, v7
	v_cndmask_b32_e32 v1, v6, v1, vcc
	v_cndmask_b32_e32 v3, v5, v3, vcc
	;; [unrolled: 1-line block ×3, first 2 shown]
	v_and_b32_e32 v7, 0xff, v1
.LBB1517_87:
	s_or_b64 exec, exec, s[8:9]
.LBB1517_88:
	s_or_b64 exec, exec, s[2:3]
.LBB1517_89:
	v_cmp_eq_u32_e32 vcc, 0, v0
	s_mov_b64 s[10:11], 0
                                        ; implicit-def: $vgpr4_vgpr5
                                        ; implicit-def: $vgpr1
	s_and_saveexec_b64 s[0:1], vcc
	s_xor_b64 s[8:9], exec, s[0:1]
	s_cbranch_execz .LBB1517_93
; %bb.90:
	s_cmp_eq_u64 s[22:23], 0
	s_waitcnt lgkmcnt(0)
	v_pk_mov_b32 v[4:5], s[18:19], s[18:19] op_sel:[0,1]
	v_mov_b32_e32 v1, s33
	s_cbranch_scc1 .LBB1517_92
; %bb.91:
	v_and_b32_e32 v1, 1, v7
	s_bitcmp1_b32 s33, 0
	v_mov_b32_e32 v4, s33
	v_cmp_eq_u32_e32 vcc, 1, v1
	v_cmp_gt_i64_e64 s[2:3], s[18:19], v[2:3]
	v_cndmask_b32_e64 v1, v4, 1, vcc
	s_cselect_b64 s[0:1], -1, 0
	v_mov_b32_e32 v4, s18
	s_and_b64 vcc, vcc, s[2:3]
	v_mov_b32_e32 v5, s19
	v_cndmask_b32_e32 v4, v4, v2, vcc
	v_cndmask_b32_e32 v5, v5, v3, vcc
	v_cndmask_b32_e64 v1, v7, v1, s[0:1]
	v_cndmask_b32_e64 v5, v3, v5, s[0:1]
	;; [unrolled: 1-line block ×3, first 2 shown]
.LBB1517_92:
	s_mov_b64 s[10:11], exec
.LBB1517_93:
	s_or_b64 exec, exec, s[8:9]
	s_and_b64 vcc, exec, s[26:27]
	s_cbranch_vccnz .LBB1517_24
.LBB1517_94:
	s_branch .LBB1517_208
.LBB1517_95:
                                        ; implicit-def: $vgpr2_vgpr3
                                        ; implicit-def: $vgpr6
	s_cbranch_execz .LBB1517_128
; %bb.96:
	s_sub_i32 s26, s22, s14
	s_waitcnt lgkmcnt(2)
	v_pk_mov_b32 v[6:7], 0, 0
	v_cmp_gt_u32_e32 vcc, s26, v0
	v_mov_b32_e32 v11, 0
	v_pk_mov_b32 v[2:3], v[6:7], v[6:7] op_sel:[0,1]
	v_mov_b32_e32 v10, 0
	s_and_saveexec_b64 s[0:1], vcc
	s_cbranch_execz .LBB1517_98
; %bb.97:
	v_lshlrev_b32_e32 v1, 1, v0
	global_load_ushort v1, v1, s[12:13]
	v_mov_b32_e32 v3, s17
	v_add_co_u32_e32 v2, vcc, s16, v0
	v_addc_co_u32_e32 v3, vcc, 0, v3, vcc
	s_waitcnt vmcnt(0)
	v_cmp_eq_u16_e32 vcc, s34, v1
	v_cndmask_b32_e64 v10, 0, 1, vcc
.LBB1517_98:
	s_or_b64 exec, exec, s[0:1]
	v_or_b32_e32 v1, 0x100, v0
	v_cmp_gt_u32_e64 s[2:3], s26, v1
	s_and_saveexec_b64 s[0:1], s[2:3]
	s_cbranch_execz .LBB1517_100
; %bb.99:
	s_waitcnt lgkmcnt(1)
	v_lshlrev_b32_e32 v4, 1, v0
	global_load_ushort v4, v4, s[12:13] offset:512
	s_waitcnt lgkmcnt(0)
	v_mov_b32_e32 v5, s17
	v_add_co_u32_e32 v6, vcc, s16, v1
	v_addc_co_u32_e32 v7, vcc, 0, v5, vcc
	s_waitcnt vmcnt(0)
	v_cmp_eq_u16_e32 vcc, s34, v4
	v_cndmask_b32_e64 v11, 0, 1, vcc
.LBB1517_100:
	s_or_b64 exec, exec, s[0:1]
	v_or_b32_e32 v13, 0x200, v0
	s_waitcnt lgkmcnt(0)
	v_pk_mov_b32 v[4:5], 0, 0
	v_cmp_gt_u32_e64 s[0:1], s26, v13
	v_mov_b32_e32 v1, 0
	v_pk_mov_b32 v[8:9], v[4:5], v[4:5] op_sel:[0,1]
	v_mov_b32_e32 v12, 0
	s_and_saveexec_b64 s[8:9], s[0:1]
	s_cbranch_execz .LBB1517_102
; %bb.101:
	v_lshlrev_b32_e32 v8, 1, v0
	global_load_ushort v12, v8, s[12:13] offset:1024
	v_mov_b32_e32 v9, s17
	v_add_co_u32_e32 v8, vcc, s16, v13
	v_addc_co_u32_e32 v9, vcc, 0, v9, vcc
	s_waitcnt vmcnt(0)
	v_cmp_eq_u16_e32 vcc, s34, v12
	v_cndmask_b32_e64 v12, 0, 1, vcc
.LBB1517_102:
	s_or_b64 exec, exec, s[8:9]
	v_or_b32_e32 v13, 0x300, v0
	v_cmp_gt_u32_e32 vcc, s26, v13
	s_and_saveexec_b64 s[14:15], vcc
	s_cbranch_execnz .LBB1517_247
; %bb.103:
	s_or_b64 exec, exec, s[14:15]
	s_and_saveexec_b64 s[12:13], s[2:3]
	s_cbranch_execnz .LBB1517_248
.LBB1517_104:
	s_or_b64 exec, exec, s[12:13]
	s_and_saveexec_b64 s[8:9], s[0:1]
	s_cbranch_execnz .LBB1517_249
.LBB1517_105:
	s_or_b64 exec, exec, s[8:9]
	s_and_saveexec_b64 s[2:3], vcc
	s_cbranch_execz .LBB1517_107
.LBB1517_106:
	v_and_b32_e32 v7, 1, v1
	v_cmp_lt_i64_e32 vcc, v[4:5], v[2:3]
	v_cmp_eq_u32_e64 s[0:1], 1, v7
	v_and_b32_e32 v6, 1, v10
	s_and_b64 vcc, s[0:1], vcc
	v_cndmask_b32_e64 v7, v10, 1, s[0:1]
	v_cndmask_b32_e32 v2, v2, v4, vcc
	v_cndmask_b32_e32 v3, v3, v5, vcc
	v_cmp_eq_u32_e32 vcc, 1, v6
	v_cndmask_b32_e32 v10, v1, v7, vcc
	v_cndmask_b32_e32 v3, v5, v3, vcc
	;; [unrolled: 1-line block ×3, first 2 shown]
.LBB1517_107:
	s_or_b64 exec, exec, s[2:3]
	v_mbcnt_lo_u32_b32 v1, -1, 0
	v_mbcnt_hi_u32_b32 v1, -1, v1
	v_and_b32_e32 v7, 63, v1
	v_cmp_ne_u32_e32 vcc, 63, v7
	v_addc_co_u32_e32 v4, vcc, 0, v1, vcc
	v_and_b32_e32 v6, 0xffff, v10
	v_lshlrev_b32_e32 v5, 2, v4
	ds_bpermute_b32 v11, v5, v6
	ds_bpermute_b32 v4, v5, v2
	;; [unrolled: 1-line block ×3, first 2 shown]
	s_min_u32 s8, s26, 0x100
	v_and_b32_e32 v8, 0xc0, v0
	v_sub_u32_e64 v9, s8, v8 clamp
	v_add_u32_e32 v8, 1, v7
	v_cmp_lt_u32_e32 vcc, v8, v9
	v_mov_b32_e32 v8, v6
	s_and_saveexec_b64 s[0:1], vcc
	s_xor_b64 s[2:3], exec, s[0:1]
	s_cbranch_execz .LBB1517_109
; %bb.108:
	v_and_b32_e32 v8, 1, v10
	s_waitcnt lgkmcnt(2)
	v_and_b32_e32 v10, 1, v11
	s_waitcnt lgkmcnt(0)
	v_cmp_lt_i64_e32 vcc, v[4:5], v[2:3]
	v_cmp_eq_u32_e64 s[0:1], 1, v10
	s_and_b64 vcc, s[0:1], vcc
	v_cndmask_b32_e64 v6, v6, 1, s[0:1]
	v_cndmask_b32_e32 v2, v2, v4, vcc
	v_cndmask_b32_e32 v3, v3, v5, vcc
	v_cmp_eq_u32_e32 vcc, 1, v8
	v_cndmask_b32_e32 v8, v11, v6, vcc
	v_cndmask_b32_e32 v3, v5, v3, vcc
	;; [unrolled: 1-line block ×3, first 2 shown]
	v_and_b32_e32 v6, 0xff, v8
.LBB1517_109:
	s_or_b64 exec, exec, s[2:3]
	v_cmp_gt_u32_e32 vcc, 62, v7
	s_waitcnt lgkmcnt(1)
	v_cndmask_b32_e64 v4, 0, 1, vcc
	v_lshlrev_b32_e32 v4, 1, v4
	s_waitcnt lgkmcnt(0)
	v_add_lshl_u32 v5, v4, v1, 2
	ds_bpermute_b32 v10, v5, v6
	ds_bpermute_b32 v4, v5, v2
	ds_bpermute_b32 v5, v5, v3
	v_add_u32_e32 v11, 2, v7
	v_cmp_lt_u32_e32 vcc, v11, v9
	s_and_saveexec_b64 s[2:3], vcc
	s_cbranch_execz .LBB1517_111
; %bb.110:
	s_waitcnt lgkmcnt(2)
	v_and_b32_e32 v11, 1, v10
	s_waitcnt lgkmcnt(0)
	v_cmp_lt_i64_e32 vcc, v[4:5], v[2:3]
	v_cmp_eq_u32_e64 s[0:1], 1, v11
	v_and_b32_e32 v6, 1, v8
	s_and_b64 vcc, s[0:1], vcc
	v_cndmask_b32_e64 v8, v8, 1, s[0:1]
	v_cndmask_b32_e32 v2, v2, v4, vcc
	v_cndmask_b32_e32 v3, v3, v5, vcc
	v_cmp_eq_u32_e32 vcc, 1, v6
	v_cndmask_b32_e32 v8, v10, v8, vcc
	v_cndmask_b32_e32 v3, v5, v3, vcc
	v_cndmask_b32_e32 v2, v4, v2, vcc
	v_and_b32_e32 v6, 0xff, v8
.LBB1517_111:
	s_or_b64 exec, exec, s[2:3]
	v_cmp_gt_u32_e32 vcc, 60, v7
	s_waitcnt lgkmcnt(1)
	v_cndmask_b32_e64 v4, 0, 1, vcc
	v_lshlrev_b32_e32 v4, 2, v4
	s_waitcnt lgkmcnt(0)
	v_add_lshl_u32 v5, v4, v1, 2
	ds_bpermute_b32 v10, v5, v6
	ds_bpermute_b32 v4, v5, v2
	ds_bpermute_b32 v5, v5, v3
	v_add_u32_e32 v11, 4, v7
	v_cmp_lt_u32_e32 vcc, v11, v9
	s_and_saveexec_b64 s[2:3], vcc
	s_cbranch_execz .LBB1517_113
; %bb.112:
	s_waitcnt lgkmcnt(2)
	v_and_b32_e32 v11, 1, v10
	s_waitcnt lgkmcnt(0)
	v_cmp_lt_i64_e32 vcc, v[4:5], v[2:3]
	v_cmp_eq_u32_e64 s[0:1], 1, v11
	v_and_b32_e32 v6, 1, v8
	s_and_b64 vcc, s[0:1], vcc
	v_cndmask_b32_e64 v8, v8, 1, s[0:1]
	v_cndmask_b32_e32 v2, v2, v4, vcc
	v_cndmask_b32_e32 v3, v3, v5, vcc
	v_cmp_eq_u32_e32 vcc, 1, v6
	v_cndmask_b32_e32 v8, v10, v8, vcc
	v_cndmask_b32_e32 v3, v5, v3, vcc
	v_cndmask_b32_e32 v2, v4, v2, vcc
	v_and_b32_e32 v6, 0xff, v8
.LBB1517_113:
	;; [unrolled: 31-line block ×5, first 2 shown]
	s_or_b64 exec, exec, s[2:3]
	v_cmp_eq_u32_e32 vcc, 0, v1
	s_and_saveexec_b64 s[0:1], vcc
	s_cbranch_execz .LBB1517_121
; %bb.120:
	s_waitcnt lgkmcnt(1)
	v_lshrrev_b32_e32 v4, 2, v0
	v_and_b32_e32 v4, 48, v4
	ds_write_b8 v4, v8 offset:256
	ds_write_b64 v4, v[2:3] offset:264
.LBB1517_121:
	s_or_b64 exec, exec, s[0:1]
	v_cmp_gt_u32_e32 vcc, 4, v0
	s_waitcnt lgkmcnt(0)
	s_barrier
	s_and_saveexec_b64 s[2:3], vcc
	s_cbranch_execz .LBB1517_127
; %bb.122:
	v_lshlrev_b32_e32 v2, 4, v1
	ds_read_u8 v7, v2 offset:256
	ds_read_b64 v[2:3], v2 offset:264
	v_and_b32_e32 v8, 3, v1
	v_cmp_ne_u32_e32 vcc, 3, v8
	v_addc_co_u32_e32 v4, vcc, 0, v1, vcc
	s_waitcnt lgkmcnt(1)
	v_and_b32_e32 v6, 0xff, v7
	v_lshlrev_b32_e32 v5, 2, v4
	ds_bpermute_b32 v9, v5, v6
	s_waitcnt lgkmcnt(1)
	ds_bpermute_b32 v4, v5, v2
	ds_bpermute_b32 v5, v5, v3
	s_add_i32 s8, s8, 63
	s_lshr_b32 s12, s8, 6
	v_add_u32_e32 v10, 1, v8
	v_cmp_gt_u32_e32 vcc, s12, v10
	s_and_saveexec_b64 s[8:9], vcc
	s_cbranch_execz .LBB1517_124
; %bb.123:
	s_waitcnt lgkmcnt(2)
	v_and_b32_e32 v10, 1, v9
	s_waitcnt lgkmcnt(0)
	v_cmp_lt_i64_e32 vcc, v[4:5], v[2:3]
	v_cmp_eq_u32_e64 s[0:1], 1, v10
	v_and_b32_e32 v6, 1, v7
	s_and_b64 vcc, s[0:1], vcc
	v_cndmask_b32_e64 v7, v7, 1, s[0:1]
	v_cndmask_b32_e32 v2, v2, v4, vcc
	v_cndmask_b32_e32 v3, v3, v5, vcc
	v_cmp_eq_u32_e32 vcc, 1, v6
	v_cndmask_b32_e32 v7, v9, v7, vcc
	v_cndmask_b32_e32 v3, v5, v3, vcc
	;; [unrolled: 1-line block ×3, first 2 shown]
	v_and_b32_e32 v6, 0xff, v7
.LBB1517_124:
	s_or_b64 exec, exec, s[8:9]
	v_cmp_gt_u32_e32 vcc, 2, v8
	s_waitcnt lgkmcnt(1)
	v_cndmask_b32_e64 v4, 0, 1, vcc
	v_lshlrev_b32_e32 v4, 1, v4
	s_waitcnt lgkmcnt(0)
	v_add_lshl_u32 v5, v4, v1, 2
	ds_bpermute_b32 v1, v5, v6
	ds_bpermute_b32 v4, v5, v2
	;; [unrolled: 1-line block ×3, first 2 shown]
	v_add_u32_e32 v8, 2, v8
	v_cmp_gt_u32_e32 vcc, s12, v8
	s_and_saveexec_b64 s[8:9], vcc
	s_cbranch_execz .LBB1517_126
; %bb.125:
	s_waitcnt lgkmcnt(2)
	v_and_b32_e32 v8, 1, v1
	s_waitcnt lgkmcnt(0)
	v_cmp_lt_i64_e32 vcc, v[4:5], v[2:3]
	v_cmp_eq_u32_e64 s[0:1], 1, v8
	v_and_b32_e32 v6, 1, v7
	s_and_b64 vcc, s[0:1], vcc
	v_cndmask_b32_e64 v7, v7, 1, s[0:1]
	v_cndmask_b32_e32 v2, v2, v4, vcc
	v_cndmask_b32_e32 v3, v3, v5, vcc
	v_cmp_eq_u32_e32 vcc, 1, v6
	v_cndmask_b32_e32 v1, v1, v7, vcc
	v_cndmask_b32_e32 v3, v5, v3, vcc
	;; [unrolled: 1-line block ×3, first 2 shown]
	v_and_b32_e32 v6, 0xff, v1
.LBB1517_126:
	s_or_b64 exec, exec, s[8:9]
.LBB1517_127:
	s_or_b64 exec, exec, s[2:3]
.LBB1517_128:
	v_cmp_eq_u32_e32 vcc, 0, v0
                                        ; implicit-def: $vgpr4_vgpr5
                                        ; implicit-def: $vgpr1
	s_and_saveexec_b64 s[0:1], vcc
	s_xor_b64 s[8:9], exec, s[0:1]
	s_cbranch_execz .LBB1517_132
; %bb.129:
	s_cmp_eq_u64 s[22:23], 0
	s_waitcnt lgkmcnt(0)
	v_pk_mov_b32 v[4:5], s[18:19], s[18:19] op_sel:[0,1]
	v_mov_b32_e32 v1, s33
	s_cbranch_scc1 .LBB1517_131
; %bb.130:
	v_and_b32_e32 v1, 1, v6
	s_bitcmp1_b32 s33, 0
	v_mov_b32_e32 v4, s33
	v_cmp_eq_u32_e32 vcc, 1, v1
	v_cmp_gt_i64_e64 s[2:3], s[18:19], v[2:3]
	v_cndmask_b32_e64 v1, v4, 1, vcc
	s_cselect_b64 s[0:1], -1, 0
	v_mov_b32_e32 v4, s18
	s_and_b64 vcc, vcc, s[2:3]
	v_mov_b32_e32 v5, s19
	v_cndmask_b32_e32 v4, v4, v2, vcc
	v_cndmask_b32_e32 v5, v5, v3, vcc
	v_cndmask_b32_e64 v1, v6, v1, s[0:1]
	v_cndmask_b32_e64 v5, v3, v5, s[0:1]
	;; [unrolled: 1-line block ×3, first 2 shown]
.LBB1517_131:
	s_or_b64 s[10:11], s[10:11], exec
.LBB1517_132:
	s_or_b64 exec, exec, s[8:9]
	s_branch .LBB1517_208
.LBB1517_133:
	s_cmp_gt_i32 s35, 1
	s_cbranch_scc0 .LBB1517_153
; %bb.134:
	s_cmp_eq_u32 s35, 2
	s_cbranch_scc0 .LBB1517_154
; %bb.135:
	s_mov_b32 s7, 0
	s_lshl_b32 s8, s6, 9
	s_mov_b32 s9, s7
	s_lshr_b64 s[0:1], s[22:23], 9
	s_lshl_b64 s[2:3], s[8:9], 1
	s_add_u32 s2, s24, s2
	s_addc_u32 s3, s25, s3
	s_add_u32 s14, s20, s8
	s_addc_u32 s15, s21, 0
	s_cmp_lg_u64 s[0:1], s[6:7]
	s_cbranch_scc0 .LBB1517_155
; %bb.136:
	s_waitcnt lgkmcnt(2)
	v_lshlrev_b32_e32 v1, 1, v0
	global_load_ushort v2, v1, s[2:3] offset:512
	global_load_ushort v3, v1, s[2:3]
	v_mov_b32_e32 v1, s15
	s_waitcnt lgkmcnt(1)
	v_add_co_u32_e32 v4, vcc, s14, v0
	v_addc_co_u32_e32 v1, vcc, 0, v1, vcc
	s_waitcnt lgkmcnt(0)
	v_add_co_u32_e32 v5, vcc, 0x100, v4
	v_addc_co_u32_e32 v6, vcc, 0, v1, vcc
	s_waitcnt vmcnt(1)
	v_cmp_eq_u16_e32 vcc, s34, v2
	s_waitcnt vmcnt(0)
	v_cmp_eq_u16_e64 s[0:1], s34, v3
	v_cndmask_b32_e64 v3, v6, v1, s[0:1]
	v_cndmask_b32_e64 v2, v5, v4, s[0:1]
	s_or_b64 s[0:1], s[0:1], vcc
	v_cndmask_b32_e64 v1, 0, 1, s[0:1]
	v_mov_b32_dpp v4, v2 quad_perm:[1,0,3,2] row_mask:0xf bank_mask:0xf bound_ctrl:1
	v_mov_b32_dpp v5, v3 quad_perm:[1,0,3,2] row_mask:0xf bank_mask:0xf bound_ctrl:1
	;; [unrolled: 1-line block ×3, first 2 shown]
	v_and_b32_e32 v7, 1, v6
	v_cmp_eq_u32_e32 vcc, 1, v7
	s_and_saveexec_b64 s[12:13], vcc
; %bb.137:
	v_cmp_lt_i64_e32 vcc, v[2:3], v[4:5]
	v_cndmask_b32_e64 v6, v6, 1, s[0:1]
	s_and_b64 vcc, s[0:1], vcc
	v_cndmask_b32_e32 v2, v4, v2, vcc
	v_and_b32_e32 v4, 1, v6
	v_cndmask_b32_e32 v3, v5, v3, vcc
	v_cmp_eq_u32_e32 vcc, 1, v4
	s_andn2_b64 s[0:1], s[0:1], exec
	s_and_b64 s[16:17], vcc, exec
	v_and_b32_e32 v1, 0xff, v6
	s_or_b64 s[0:1], s[0:1], s[16:17]
; %bb.138:
	s_or_b64 exec, exec, s[12:13]
	v_mov_b32_dpp v6, v1 quad_perm:[2,3,0,1] row_mask:0xf bank_mask:0xf bound_ctrl:1
	v_and_b32_e32 v7, 1, v6
	v_mov_b32_dpp v4, v2 quad_perm:[2,3,0,1] row_mask:0xf bank_mask:0xf bound_ctrl:1
	v_mov_b32_dpp v5, v3 quad_perm:[2,3,0,1] row_mask:0xf bank_mask:0xf bound_ctrl:1
	v_cmp_eq_u32_e32 vcc, 1, v7
	s_and_saveexec_b64 s[12:13], vcc
; %bb.139:
	v_cmp_lt_i64_e32 vcc, v[2:3], v[4:5]
	v_cndmask_b32_e64 v6, v6, 1, s[0:1]
	s_and_b64 vcc, s[0:1], vcc
	v_cndmask_b32_e32 v2, v4, v2, vcc
	v_and_b32_e32 v4, 1, v6
	v_cndmask_b32_e32 v3, v5, v3, vcc
	v_cmp_eq_u32_e32 vcc, 1, v4
	s_andn2_b64 s[0:1], s[0:1], exec
	s_and_b64 s[16:17], vcc, exec
	v_and_b32_e32 v1, 0xff, v6
	s_or_b64 s[0:1], s[0:1], s[16:17]
; %bb.140:
	s_or_b64 exec, exec, s[12:13]
	v_mov_b32_dpp v6, v1 row_ror:4 row_mask:0xf bank_mask:0xf bound_ctrl:1
	v_and_b32_e32 v7, 1, v6
	v_mov_b32_dpp v4, v2 row_ror:4 row_mask:0xf bank_mask:0xf bound_ctrl:1
	v_mov_b32_dpp v5, v3 row_ror:4 row_mask:0xf bank_mask:0xf bound_ctrl:1
	v_cmp_eq_u32_e32 vcc, 1, v7
	s_and_saveexec_b64 s[12:13], vcc
; %bb.141:
	v_cmp_lt_i64_e32 vcc, v[2:3], v[4:5]
	v_cndmask_b32_e64 v6, v6, 1, s[0:1]
	s_and_b64 vcc, s[0:1], vcc
	v_cndmask_b32_e32 v2, v4, v2, vcc
	v_and_b32_e32 v4, 1, v6
	v_cndmask_b32_e32 v3, v5, v3, vcc
	v_cmp_eq_u32_e32 vcc, 1, v4
	s_andn2_b64 s[0:1], s[0:1], exec
	s_and_b64 s[16:17], vcc, exec
	v_and_b32_e32 v1, 0xff, v6
	s_or_b64 s[0:1], s[0:1], s[16:17]
; %bb.142:
	s_or_b64 exec, exec, s[12:13]
	v_mov_b32_dpp v6, v1 row_ror:8 row_mask:0xf bank_mask:0xf bound_ctrl:1
	v_and_b32_e32 v7, 1, v6
	v_mov_b32_dpp v4, v2 row_ror:8 row_mask:0xf bank_mask:0xf bound_ctrl:1
	v_mov_b32_dpp v5, v3 row_ror:8 row_mask:0xf bank_mask:0xf bound_ctrl:1
	v_cmp_eq_u32_e32 vcc, 1, v7
	s_and_saveexec_b64 s[12:13], vcc
; %bb.143:
	v_cmp_lt_i64_e32 vcc, v[2:3], v[4:5]
	v_cndmask_b32_e64 v6, v6, 1, s[0:1]
	s_and_b64 vcc, s[0:1], vcc
	v_cndmask_b32_e32 v2, v4, v2, vcc
	v_and_b32_e32 v4, 1, v6
	v_cndmask_b32_e32 v3, v5, v3, vcc
	v_cmp_eq_u32_e32 vcc, 1, v4
	s_andn2_b64 s[0:1], s[0:1], exec
	s_and_b64 s[16:17], vcc, exec
	v_and_b32_e32 v1, 0xff, v6
	s_or_b64 s[0:1], s[0:1], s[16:17]
; %bb.144:
	s_or_b64 exec, exec, s[12:13]
	v_mov_b32_dpp v6, v1 row_bcast:15 row_mask:0xf bank_mask:0xf bound_ctrl:1
	v_and_b32_e32 v7, 1, v6
	v_mov_b32_dpp v4, v2 row_bcast:15 row_mask:0xf bank_mask:0xf bound_ctrl:1
	v_mov_b32_dpp v5, v3 row_bcast:15 row_mask:0xf bank_mask:0xf bound_ctrl:1
	v_cmp_eq_u32_e32 vcc, 1, v7
	s_and_saveexec_b64 s[12:13], vcc
; %bb.145:
	v_cmp_lt_i64_e32 vcc, v[2:3], v[4:5]
	v_cndmask_b32_e64 v6, v6, 1, s[0:1]
	s_and_b64 vcc, s[0:1], vcc
	v_cndmask_b32_e32 v2, v4, v2, vcc
	v_and_b32_e32 v4, 1, v6
	v_cndmask_b32_e32 v3, v5, v3, vcc
	v_cmp_eq_u32_e32 vcc, 1, v4
	s_andn2_b64 s[0:1], s[0:1], exec
	s_and_b64 s[16:17], vcc, exec
	v_and_b32_e32 v1, 0xff, v6
	s_or_b64 s[0:1], s[0:1], s[16:17]
; %bb.146:
	s_or_b64 exec, exec, s[12:13]
	v_mov_b32_dpp v6, v1 row_bcast:31 row_mask:0xf bank_mask:0xf bound_ctrl:1
	v_and_b32_e32 v7, 1, v6
	v_mov_b32_dpp v4, v2 row_bcast:31 row_mask:0xf bank_mask:0xf bound_ctrl:1
	v_mov_b32_dpp v5, v3 row_bcast:31 row_mask:0xf bank_mask:0xf bound_ctrl:1
	v_cmp_eq_u32_e32 vcc, 1, v7
	s_and_saveexec_b64 s[12:13], vcc
; %bb.147:
	v_cmp_lt_i64_e32 vcc, v[2:3], v[4:5]
	v_and_b32_e32 v1, 0xff, v6
	s_and_b64 vcc, s[0:1], vcc
	v_cndmask_b32_e32 v2, v4, v2, vcc
	v_cndmask_b32_e32 v3, v5, v3, vcc
	v_cndmask_b32_e64 v1, v1, 1, s[0:1]
; %bb.148:
	s_or_b64 exec, exec, s[12:13]
	v_mbcnt_lo_u32_b32 v4, -1, 0
	v_mbcnt_hi_u32_b32 v4, -1, v4
	v_bfrev_b32_e32 v5, 0.5
	v_lshl_or_b32 v5, v4, 2, v5
	ds_bpermute_b32 v6, v5, v1
	ds_bpermute_b32 v2, v5, v2
	;; [unrolled: 1-line block ×3, first 2 shown]
	v_cmp_eq_u32_e32 vcc, 0, v4
	s_and_saveexec_b64 s[0:1], vcc
	s_cbranch_execz .LBB1517_150
; %bb.149:
	v_lshrrev_b32_e32 v1, 2, v0
	v_and_b32_e32 v1, 48, v1
	s_waitcnt lgkmcnt(2)
	ds_write_b8 v1, v6 offset:64
	s_waitcnt lgkmcnt(1)
	ds_write_b64 v1, v[2:3] offset:72
.LBB1517_150:
	s_or_b64 exec, exec, s[0:1]
	v_cmp_gt_u32_e32 vcc, 64, v0
	s_waitcnt lgkmcnt(0)
	s_barrier
	s_and_saveexec_b64 s[12:13], vcc
	s_cbranch_execz .LBB1517_152
; %bb.151:
	v_and_b32_e32 v1, 3, v4
	v_lshlrev_b32_e32 v2, 4, v1
	ds_read_u8 v5, v2 offset:64
	ds_read_b64 v[2:3], v2 offset:72
	v_cmp_ne_u32_e32 vcc, 3, v1
	v_addc_co_u32_e32 v6, vcc, 0, v4, vcc
	s_waitcnt lgkmcnt(1)
	v_and_b32_e32 v7, 0xff, v5
	v_lshlrev_b32_e32 v8, 2, v6
	ds_bpermute_b32 v9, v8, v7
	s_waitcnt lgkmcnt(1)
	ds_bpermute_b32 v6, v8, v2
	ds_bpermute_b32 v7, v8, v3
	v_and_b32_e32 v8, 1, v5
	s_waitcnt lgkmcnt(2)
	v_and_b32_e32 v10, 1, v9
	v_cmp_eq_u32_e64 s[0:1], 1, v10
	s_waitcnt lgkmcnt(0)
	v_cmp_lt_i64_e32 vcc, v[6:7], v[2:3]
	s_and_b64 vcc, s[0:1], vcc
	v_cndmask_b32_e64 v5, v5, 1, s[0:1]
	v_cndmask_b32_e32 v2, v2, v6, vcc
	v_cndmask_b32_e32 v3, v3, v7, vcc
	v_cmp_eq_u32_e32 vcc, 1, v8
	v_cndmask_b32_e32 v8, v9, v5, vcc
	v_cndmask_b32_e32 v3, v7, v3, vcc
	v_cndmask_b32_e32 v2, v6, v2, vcc
	v_cmp_gt_u32_e32 vcc, 2, v1
	v_cndmask_b32_e64 v1, 0, 1, vcc
	v_lshlrev_b32_e32 v1, 1, v1
	v_and_b32_e32 v5, 0xff, v8
	v_add_lshl_u32 v1, v1, v4, 2
	ds_bpermute_b32 v6, v1, v5
	ds_bpermute_b32 v4, v1, v2
	;; [unrolled: 1-line block ×3, first 2 shown]
	v_and_b32_e32 v1, 1, v8
	s_waitcnt lgkmcnt(2)
	v_and_b32_e32 v7, 1, v6
	v_cmp_eq_u32_e64 s[0:1], 1, v7
	s_waitcnt lgkmcnt(0)
	v_cmp_lt_i64_e32 vcc, v[4:5], v[2:3]
	s_and_b64 vcc, s[0:1], vcc
	v_cndmask_b32_e64 v7, v8, 1, s[0:1]
	v_cndmask_b32_e32 v2, v2, v4, vcc
	v_cndmask_b32_e32 v3, v3, v5, vcc
	v_cmp_eq_u32_e32 vcc, 1, v1
	v_cndmask_b32_e32 v1, v6, v7, vcc
	v_cndmask_b32_e32 v3, v5, v3, vcc
	;; [unrolled: 1-line block ×3, first 2 shown]
	v_and_b32_e32 v6, 0xff, v1
.LBB1517_152:
	s_or_b64 exec, exec, s[12:13]
	s_branch .LBB1517_183
.LBB1517_153:
                                        ; implicit-def: $vgpr4_vgpr5
                                        ; implicit-def: $vgpr1
	s_cbranch_execnz .LBB1517_188
	s_branch .LBB1517_208
.LBB1517_154:
                                        ; implicit-def: $vgpr4_vgpr5
                                        ; implicit-def: $vgpr1
	s_branch .LBB1517_208
.LBB1517_155:
                                        ; implicit-def: $vgpr2_vgpr3
                                        ; implicit-def: $vgpr6
	s_cbranch_execz .LBB1517_183
; %bb.156:
	s_sub_i32 s12, s22, s8
	s_waitcnt lgkmcnt(0)
	v_pk_mov_b32 v[4:5], 0, 0
	v_cmp_gt_u32_e32 vcc, s12, v0
	v_mov_b32_e32 v1, 0
	v_pk_mov_b32 v[2:3], v[4:5], v[4:5] op_sel:[0,1]
	v_mov_b32_e32 v7, 0
	s_and_saveexec_b64 s[0:1], vcc
	s_cbranch_execz .LBB1517_158
; %bb.157:
	v_lshlrev_b32_e32 v2, 1, v0
	global_load_ushort v6, v2, s[2:3]
	v_mov_b32_e32 v3, s15
	v_add_co_u32_e32 v2, vcc, s14, v0
	v_addc_co_u32_e32 v3, vcc, 0, v3, vcc
	s_waitcnt vmcnt(0)
	v_cmp_eq_u16_e32 vcc, s34, v6
	v_cndmask_b32_e64 v7, 0, 1, vcc
.LBB1517_158:
	s_or_b64 exec, exec, s[0:1]
	v_or_b32_e32 v6, 0x100, v0
	v_cmp_gt_u32_e32 vcc, s12, v6
	s_and_saveexec_b64 s[8:9], vcc
	s_cbranch_execz .LBB1517_160
; %bb.159:
	v_lshlrev_b32_e32 v1, 1, v0
	global_load_ushort v1, v1, s[2:3] offset:512
	v_mov_b32_e32 v5, s15
	v_add_co_u32_e64 v4, s[0:1], s14, v6
	v_addc_co_u32_e64 v5, s[0:1], 0, v5, s[0:1]
	s_waitcnt vmcnt(0)
	v_cmp_eq_u16_e64 s[0:1], s34, v1
	v_cndmask_b32_e64 v1, 0, 1, s[0:1]
.LBB1517_160:
	s_or_b64 exec, exec, s[8:9]
	s_and_saveexec_b64 s[2:3], vcc
	s_cbranch_execz .LBB1517_162
; %bb.161:
	v_and_b32_e32 v8, 1, v1
	v_cmp_lt_i64_e32 vcc, v[4:5], v[2:3]
	v_cmp_eq_u32_e64 s[0:1], 1, v8
	v_and_b32_e32 v6, 1, v7
	s_and_b64 vcc, s[0:1], vcc
	v_cndmask_b32_e64 v7, v7, 1, s[0:1]
	v_cndmask_b32_e32 v2, v2, v4, vcc
	v_cndmask_b32_e32 v3, v3, v5, vcc
	v_cmp_eq_u32_e32 vcc, 1, v6
	v_cndmask_b32_e32 v7, v1, v7, vcc
	v_cndmask_b32_e32 v3, v5, v3, vcc
	;; [unrolled: 1-line block ×3, first 2 shown]
.LBB1517_162:
	s_or_b64 exec, exec, s[2:3]
	v_mbcnt_lo_u32_b32 v1, -1, 0
	v_mbcnt_hi_u32_b32 v1, -1, v1
	v_and_b32_e32 v8, 63, v1
	v_cmp_ne_u32_e32 vcc, 63, v8
	v_addc_co_u32_e32 v4, vcc, 0, v1, vcc
	v_and_b32_e32 v6, 0xffff, v7
	v_lshlrev_b32_e32 v5, 2, v4
	ds_bpermute_b32 v10, v5, v6
	ds_bpermute_b32 v4, v5, v2
	;; [unrolled: 1-line block ×3, first 2 shown]
	s_min_u32 s8, s12, 0x100
	v_and_b32_e32 v9, 0xc0, v0
	v_sub_u32_e64 v9, s8, v9 clamp
	v_add_u32_e32 v11, 1, v8
	v_cmp_lt_u32_e32 vcc, v11, v9
	s_and_saveexec_b64 s[2:3], vcc
	s_cbranch_execz .LBB1517_164
; %bb.163:
	s_waitcnt lgkmcnt(2)
	v_and_b32_e32 v11, 1, v10
	s_waitcnt lgkmcnt(0)
	v_cmp_lt_i64_e32 vcc, v[4:5], v[2:3]
	v_cmp_eq_u32_e64 s[0:1], 1, v11
	v_and_b32_e32 v6, 1, v7
	s_and_b64 vcc, s[0:1], vcc
	v_cndmask_b32_e64 v7, v7, 1, s[0:1]
	v_cndmask_b32_e32 v2, v2, v4, vcc
	v_cndmask_b32_e32 v3, v3, v5, vcc
	v_cmp_eq_u32_e32 vcc, 1, v6
	v_cndmask_b32_e32 v7, v10, v7, vcc
	v_cndmask_b32_e32 v3, v5, v3, vcc
	v_cndmask_b32_e32 v2, v4, v2, vcc
	v_and_b32_e32 v6, 0xff, v7
.LBB1517_164:
	s_or_b64 exec, exec, s[2:3]
	v_cmp_gt_u32_e32 vcc, 62, v8
	s_waitcnt lgkmcnt(1)
	v_cndmask_b32_e64 v4, 0, 1, vcc
	v_lshlrev_b32_e32 v4, 1, v4
	s_waitcnt lgkmcnt(0)
	v_add_lshl_u32 v5, v4, v1, 2
	ds_bpermute_b32 v10, v5, v6
	ds_bpermute_b32 v4, v5, v2
	ds_bpermute_b32 v5, v5, v3
	v_add_u32_e32 v11, 2, v8
	v_cmp_lt_u32_e32 vcc, v11, v9
	s_and_saveexec_b64 s[2:3], vcc
	s_cbranch_execz .LBB1517_166
; %bb.165:
	s_waitcnt lgkmcnt(2)
	v_and_b32_e32 v11, 1, v10
	s_waitcnt lgkmcnt(0)
	v_cmp_lt_i64_e32 vcc, v[4:5], v[2:3]
	v_cmp_eq_u32_e64 s[0:1], 1, v11
	v_and_b32_e32 v6, 1, v7
	s_and_b64 vcc, s[0:1], vcc
	v_cndmask_b32_e64 v7, v7, 1, s[0:1]
	v_cndmask_b32_e32 v2, v2, v4, vcc
	v_cndmask_b32_e32 v3, v3, v5, vcc
	v_cmp_eq_u32_e32 vcc, 1, v6
	v_cndmask_b32_e32 v7, v10, v7, vcc
	v_cndmask_b32_e32 v3, v5, v3, vcc
	v_cndmask_b32_e32 v2, v4, v2, vcc
	v_and_b32_e32 v6, 0xff, v7
.LBB1517_166:
	s_or_b64 exec, exec, s[2:3]
	v_cmp_gt_u32_e32 vcc, 60, v8
	s_waitcnt lgkmcnt(1)
	v_cndmask_b32_e64 v4, 0, 1, vcc
	v_lshlrev_b32_e32 v4, 2, v4
	s_waitcnt lgkmcnt(0)
	v_add_lshl_u32 v5, v4, v1, 2
	ds_bpermute_b32 v10, v5, v6
	ds_bpermute_b32 v4, v5, v2
	ds_bpermute_b32 v5, v5, v3
	;; [unrolled: 31-line block ×5, first 2 shown]
	v_add_u32_e32 v8, 32, v8
	v_cmp_lt_u32_e32 vcc, v8, v9
	s_and_saveexec_b64 s[2:3], vcc
	s_cbranch_execz .LBB1517_174
; %bb.173:
	s_waitcnt lgkmcnt(2)
	v_and_b32_e32 v8, 1, v10
	s_waitcnt lgkmcnt(0)
	v_cmp_lt_i64_e32 vcc, v[4:5], v[2:3]
	v_cmp_eq_u32_e64 s[0:1], 1, v8
	v_and_b32_e32 v6, 1, v7
	s_and_b64 vcc, s[0:1], vcc
	v_cndmask_b32_e64 v7, v7, 1, s[0:1]
	v_cndmask_b32_e32 v2, v2, v4, vcc
	v_cndmask_b32_e32 v3, v3, v5, vcc
	v_cmp_eq_u32_e32 vcc, 1, v6
	v_cndmask_b32_e32 v7, v10, v7, vcc
	v_cndmask_b32_e32 v3, v5, v3, vcc
	;; [unrolled: 1-line block ×3, first 2 shown]
	v_and_b32_e32 v6, 0xff, v7
.LBB1517_174:
	s_or_b64 exec, exec, s[2:3]
	v_cmp_eq_u32_e32 vcc, 0, v1
	s_and_saveexec_b64 s[0:1], vcc
	s_cbranch_execz .LBB1517_176
; %bb.175:
	s_waitcnt lgkmcnt(1)
	v_lshrrev_b32_e32 v4, 2, v0
	v_and_b32_e32 v4, 48, v4
	ds_write_b8 v4, v7 offset:256
	ds_write_b64 v4, v[2:3] offset:264
.LBB1517_176:
	s_or_b64 exec, exec, s[0:1]
	v_cmp_gt_u32_e32 vcc, 4, v0
	s_waitcnt lgkmcnt(0)
	s_barrier
	s_and_saveexec_b64 s[2:3], vcc
	s_cbranch_execz .LBB1517_182
; %bb.177:
	v_lshlrev_b32_e32 v2, 4, v1
	ds_read_u8 v7, v2 offset:256
	ds_read_b64 v[2:3], v2 offset:264
	v_and_b32_e32 v8, 3, v1
	v_cmp_ne_u32_e32 vcc, 3, v8
	v_addc_co_u32_e32 v4, vcc, 0, v1, vcc
	s_waitcnt lgkmcnt(1)
	v_and_b32_e32 v6, 0xff, v7
	v_lshlrev_b32_e32 v5, 2, v4
	ds_bpermute_b32 v9, v5, v6
	s_waitcnt lgkmcnt(1)
	ds_bpermute_b32 v4, v5, v2
	ds_bpermute_b32 v5, v5, v3
	s_add_i32 s8, s8, 63
	s_lshr_b32 s12, s8, 6
	v_add_u32_e32 v10, 1, v8
	v_cmp_gt_u32_e32 vcc, s12, v10
	s_and_saveexec_b64 s[8:9], vcc
	s_cbranch_execz .LBB1517_179
; %bb.178:
	s_waitcnt lgkmcnt(2)
	v_and_b32_e32 v10, 1, v9
	s_waitcnt lgkmcnt(0)
	v_cmp_lt_i64_e32 vcc, v[4:5], v[2:3]
	v_cmp_eq_u32_e64 s[0:1], 1, v10
	v_and_b32_e32 v6, 1, v7
	s_and_b64 vcc, s[0:1], vcc
	v_cndmask_b32_e64 v7, v7, 1, s[0:1]
	v_cndmask_b32_e32 v2, v2, v4, vcc
	v_cndmask_b32_e32 v3, v3, v5, vcc
	v_cmp_eq_u32_e32 vcc, 1, v6
	v_cndmask_b32_e32 v7, v9, v7, vcc
	v_cndmask_b32_e32 v3, v5, v3, vcc
	;; [unrolled: 1-line block ×3, first 2 shown]
	v_and_b32_e32 v6, 0xff, v7
.LBB1517_179:
	s_or_b64 exec, exec, s[8:9]
	v_cmp_gt_u32_e32 vcc, 2, v8
	s_waitcnt lgkmcnt(1)
	v_cndmask_b32_e64 v4, 0, 1, vcc
	v_lshlrev_b32_e32 v4, 1, v4
	s_waitcnt lgkmcnt(0)
	v_add_lshl_u32 v5, v4, v1, 2
	ds_bpermute_b32 v1, v5, v6
	ds_bpermute_b32 v4, v5, v2
	;; [unrolled: 1-line block ×3, first 2 shown]
	v_add_u32_e32 v8, 2, v8
	v_cmp_gt_u32_e32 vcc, s12, v8
	s_and_saveexec_b64 s[8:9], vcc
	s_cbranch_execz .LBB1517_181
; %bb.180:
	s_waitcnt lgkmcnt(2)
	v_and_b32_e32 v8, 1, v1
	s_waitcnt lgkmcnt(0)
	v_cmp_lt_i64_e32 vcc, v[4:5], v[2:3]
	v_cmp_eq_u32_e64 s[0:1], 1, v8
	v_and_b32_e32 v6, 1, v7
	s_and_b64 vcc, s[0:1], vcc
	v_cndmask_b32_e64 v7, v7, 1, s[0:1]
	v_cndmask_b32_e32 v2, v2, v4, vcc
	v_cndmask_b32_e32 v3, v3, v5, vcc
	v_cmp_eq_u32_e32 vcc, 1, v6
	v_cndmask_b32_e32 v1, v1, v7, vcc
	v_cndmask_b32_e32 v3, v5, v3, vcc
	;; [unrolled: 1-line block ×3, first 2 shown]
	v_and_b32_e32 v6, 0xff, v1
.LBB1517_181:
	s_or_b64 exec, exec, s[8:9]
.LBB1517_182:
	s_or_b64 exec, exec, s[2:3]
.LBB1517_183:
	v_cmp_eq_u32_e32 vcc, 0, v0
                                        ; implicit-def: $vgpr4_vgpr5
                                        ; implicit-def: $vgpr1
	s_and_saveexec_b64 s[0:1], vcc
	s_xor_b64 s[8:9], exec, s[0:1]
	s_cbranch_execz .LBB1517_187
; %bb.184:
	s_cmp_eq_u64 s[22:23], 0
	s_waitcnt lgkmcnt(0)
	v_pk_mov_b32 v[4:5], s[18:19], s[18:19] op_sel:[0,1]
	v_mov_b32_e32 v1, s33
	s_cbranch_scc1 .LBB1517_186
; %bb.185:
	v_and_b32_e32 v1, 1, v6
	s_bitcmp1_b32 s33, 0
	v_mov_b32_e32 v4, s33
	v_cmp_eq_u32_e32 vcc, 1, v1
	v_cmp_gt_i64_e64 s[2:3], s[18:19], v[2:3]
	v_cndmask_b32_e64 v1, v4, 1, vcc
	s_cselect_b64 s[0:1], -1, 0
	v_mov_b32_e32 v4, s18
	s_and_b64 vcc, vcc, s[2:3]
	v_mov_b32_e32 v5, s19
	v_cndmask_b32_e32 v4, v4, v2, vcc
	v_cndmask_b32_e32 v5, v5, v3, vcc
	v_cndmask_b32_e64 v1, v6, v1, s[0:1]
	v_cndmask_b32_e64 v5, v3, v5, s[0:1]
	;; [unrolled: 1-line block ×3, first 2 shown]
.LBB1517_186:
	s_or_b64 s[10:11], s[10:11], exec
.LBB1517_187:
	s_or_b64 exec, exec, s[8:9]
	s_branch .LBB1517_208
.LBB1517_188:
	s_cmp_eq_u32 s35, 1
	s_cbranch_scc0 .LBB1517_207
; %bb.189:
	s_mov_b32 s3, 0
	s_lshl_b32 s2, s6, 8
	s_mov_b32 s7, s3
	s_lshr_b64 s[0:1], s[22:23], 8
	s_cmp_lg_u64 s[0:1], s[6:7]
	s_cbranch_scc0 .LBB1517_211
; %bb.190:
	s_lshl_b64 s[0:1], s[2:3], 1
	s_add_u32 s0, s24, s0
	s_addc_u32 s1, s25, s1
	s_waitcnt lgkmcnt(2)
	v_lshlrev_b32_e32 v1, 1, v0
	global_load_ushort v1, v1, s[0:1]
	s_add_u32 s0, s20, s2
	s_addc_u32 s1, s21, 0
	v_mov_b32_e32 v3, s1
	v_add_co_u32_e32 v2, vcc, s0, v0
	v_addc_co_u32_e32 v3, vcc, 0, v3, vcc
	s_waitcnt lgkmcnt(1)
	v_mov_b32_dpp v4, v2 quad_perm:[1,0,3,2] row_mask:0xf bank_mask:0xf bound_ctrl:1
	s_waitcnt lgkmcnt(0)
	v_mov_b32_dpp v5, v3 quad_perm:[1,0,3,2] row_mask:0xf bank_mask:0xf bound_ctrl:1
	s_waitcnt vmcnt(0)
	v_cmp_eq_u16_e32 vcc, s34, v1
	v_cndmask_b32_e64 v1, 0, 1, vcc
	v_cndmask_b32_e64 v6, 0, 1, vcc
	s_nop 0
	v_mov_b32_dpp v1, v1 quad_perm:[1,0,3,2] row_mask:0xf bank_mask:0xf bound_ctrl:1
	v_and_b32_e32 v7, 1, v1
	v_cmp_eq_u32_e64 s[0:1], 1, v7
	s_and_saveexec_b64 s[8:9], s[0:1]
; %bb.191:
	v_cmp_lt_i64_e64 s[0:1], v[2:3], v[4:5]
	v_cndmask_b32_e64 v6, v1, 1, vcc
	s_and_b64 vcc, vcc, s[0:1]
	v_cndmask_b32_e32 v3, v5, v3, vcc
	v_cndmask_b32_e32 v2, v4, v2, vcc
; %bb.192:
	s_or_b64 exec, exec, s[8:9]
	v_and_b32_e32 v1, 0xff, v6
	v_and_b32_e32 v6, 1, v6
	v_mov_b32_dpp v4, v2 quad_perm:[2,3,0,1] row_mask:0xf bank_mask:0xf bound_ctrl:1
	v_mov_b32_dpp v7, v1 quad_perm:[2,3,0,1] row_mask:0xf bank_mask:0xf bound_ctrl:1
	v_and_b32_e32 v8, 1, v7
	v_mov_b32_dpp v5, v3 quad_perm:[2,3,0,1] row_mask:0xf bank_mask:0xf bound_ctrl:1
	v_cmp_eq_u32_e32 vcc, 1, v8
	v_cmp_eq_u32_e64 s[0:1], 1, v6
	s_and_saveexec_b64 s[8:9], vcc
; %bb.193:
	v_cmp_lt_i64_e32 vcc, v[2:3], v[4:5]
	v_cndmask_b32_e64 v6, v7, 1, s[0:1]
	s_and_b64 vcc, s[0:1], vcc
	v_cndmask_b32_e32 v2, v4, v2, vcc
	v_and_b32_e32 v4, 1, v6
	v_cndmask_b32_e32 v3, v5, v3, vcc
	v_cmp_eq_u32_e32 vcc, 1, v4
	s_andn2_b64 s[0:1], s[0:1], exec
	s_and_b64 s[12:13], vcc, exec
	v_and_b32_e32 v1, 0xff, v6
	s_or_b64 s[0:1], s[0:1], s[12:13]
; %bb.194:
	s_or_b64 exec, exec, s[8:9]
	v_mov_b32_dpp v6, v1 row_ror:4 row_mask:0xf bank_mask:0xf bound_ctrl:1
	v_and_b32_e32 v7, 1, v6
	v_mov_b32_dpp v4, v2 row_ror:4 row_mask:0xf bank_mask:0xf bound_ctrl:1
	v_mov_b32_dpp v5, v3 row_ror:4 row_mask:0xf bank_mask:0xf bound_ctrl:1
	v_cmp_eq_u32_e32 vcc, 1, v7
	s_and_saveexec_b64 s[8:9], vcc
; %bb.195:
	v_cmp_lt_i64_e32 vcc, v[2:3], v[4:5]
	v_cndmask_b32_e64 v6, v6, 1, s[0:1]
	s_and_b64 vcc, s[0:1], vcc
	v_cndmask_b32_e32 v2, v4, v2, vcc
	v_and_b32_e32 v4, 1, v6
	v_cndmask_b32_e32 v3, v5, v3, vcc
	v_cmp_eq_u32_e32 vcc, 1, v4
	s_andn2_b64 s[0:1], s[0:1], exec
	s_and_b64 s[12:13], vcc, exec
	v_and_b32_e32 v1, 0xff, v6
	s_or_b64 s[0:1], s[0:1], s[12:13]
; %bb.196:
	s_or_b64 exec, exec, s[8:9]
	v_mov_b32_dpp v6, v1 row_ror:8 row_mask:0xf bank_mask:0xf bound_ctrl:1
	v_and_b32_e32 v7, 1, v6
	v_mov_b32_dpp v4, v2 row_ror:8 row_mask:0xf bank_mask:0xf bound_ctrl:1
	v_mov_b32_dpp v5, v3 row_ror:8 row_mask:0xf bank_mask:0xf bound_ctrl:1
	v_cmp_eq_u32_e32 vcc, 1, v7
	s_and_saveexec_b64 s[8:9], vcc
; %bb.197:
	v_cmp_lt_i64_e32 vcc, v[2:3], v[4:5]
	v_cndmask_b32_e64 v6, v6, 1, s[0:1]
	s_and_b64 vcc, s[0:1], vcc
	v_cndmask_b32_e32 v2, v4, v2, vcc
	v_and_b32_e32 v4, 1, v6
	v_cndmask_b32_e32 v3, v5, v3, vcc
	v_cmp_eq_u32_e32 vcc, 1, v4
	s_andn2_b64 s[0:1], s[0:1], exec
	s_and_b64 s[12:13], vcc, exec
	v_and_b32_e32 v1, 0xff, v6
	s_or_b64 s[0:1], s[0:1], s[12:13]
; %bb.198:
	s_or_b64 exec, exec, s[8:9]
	v_mov_b32_dpp v6, v1 row_bcast:15 row_mask:0xf bank_mask:0xf bound_ctrl:1
	v_and_b32_e32 v7, 1, v6
	v_mov_b32_dpp v4, v2 row_bcast:15 row_mask:0xf bank_mask:0xf bound_ctrl:1
	v_mov_b32_dpp v5, v3 row_bcast:15 row_mask:0xf bank_mask:0xf bound_ctrl:1
	v_cmp_eq_u32_e32 vcc, 1, v7
	s_and_saveexec_b64 s[8:9], vcc
; %bb.199:
	v_cmp_lt_i64_e32 vcc, v[2:3], v[4:5]
	v_cndmask_b32_e64 v6, v6, 1, s[0:1]
	s_and_b64 vcc, s[0:1], vcc
	v_cndmask_b32_e32 v2, v4, v2, vcc
	v_and_b32_e32 v4, 1, v6
	v_cndmask_b32_e32 v3, v5, v3, vcc
	v_cmp_eq_u32_e32 vcc, 1, v4
	s_andn2_b64 s[0:1], s[0:1], exec
	s_and_b64 s[12:13], vcc, exec
	v_and_b32_e32 v1, 0xff, v6
	s_or_b64 s[0:1], s[0:1], s[12:13]
; %bb.200:
	s_or_b64 exec, exec, s[8:9]
	v_mov_b32_dpp v6, v1 row_bcast:31 row_mask:0xf bank_mask:0xf bound_ctrl:1
	v_and_b32_e32 v7, 1, v6
	v_mov_b32_dpp v4, v2 row_bcast:31 row_mask:0xf bank_mask:0xf bound_ctrl:1
	v_mov_b32_dpp v5, v3 row_bcast:31 row_mask:0xf bank_mask:0xf bound_ctrl:1
	v_cmp_eq_u32_e32 vcc, 1, v7
	s_and_saveexec_b64 s[8:9], vcc
; %bb.201:
	v_cmp_lt_i64_e32 vcc, v[2:3], v[4:5]
	v_and_b32_e32 v1, 0xff, v6
	s_and_b64 vcc, s[0:1], vcc
	v_cndmask_b32_e32 v2, v4, v2, vcc
	v_cndmask_b32_e32 v3, v5, v3, vcc
	v_cndmask_b32_e64 v1, v1, 1, s[0:1]
; %bb.202:
	s_or_b64 exec, exec, s[8:9]
	v_mbcnt_lo_u32_b32 v4, -1, 0
	v_mbcnt_hi_u32_b32 v4, -1, v4
	v_bfrev_b32_e32 v5, 0.5
	v_lshl_or_b32 v5, v4, 2, v5
	ds_bpermute_b32 v6, v5, v1
	ds_bpermute_b32 v2, v5, v2
	;; [unrolled: 1-line block ×3, first 2 shown]
	v_cmp_eq_u32_e32 vcc, 0, v4
	s_and_saveexec_b64 s[0:1], vcc
	s_cbranch_execz .LBB1517_204
; %bb.203:
	v_lshrrev_b32_e32 v1, 2, v0
	v_and_b32_e32 v1, 48, v1
	s_waitcnt lgkmcnt(2)
	ds_write_b8 v1, v6
	s_waitcnt lgkmcnt(1)
	ds_write_b64 v1, v[2:3] offset:8
.LBB1517_204:
	s_or_b64 exec, exec, s[0:1]
	v_cmp_gt_u32_e32 vcc, 64, v0
	s_waitcnt lgkmcnt(0)
	s_barrier
	s_and_saveexec_b64 s[8:9], vcc
	s_cbranch_execz .LBB1517_206
; %bb.205:
	v_and_b32_e32 v1, 3, v4
	v_lshlrev_b32_e32 v2, 4, v1
	ds_read_u8 v5, v2
	ds_read_b64 v[2:3], v2 offset:8
	v_cmp_ne_u32_e32 vcc, 3, v1
	v_addc_co_u32_e32 v6, vcc, 0, v4, vcc
	s_waitcnt lgkmcnt(1)
	v_and_b32_e32 v7, 0xff, v5
	v_lshlrev_b32_e32 v8, 2, v6
	ds_bpermute_b32 v9, v8, v7
	s_waitcnt lgkmcnt(1)
	ds_bpermute_b32 v6, v8, v2
	ds_bpermute_b32 v7, v8, v3
	v_and_b32_e32 v8, 1, v5
	s_waitcnt lgkmcnt(2)
	v_and_b32_e32 v10, 1, v9
	v_cmp_eq_u32_e64 s[0:1], 1, v10
	s_waitcnt lgkmcnt(0)
	v_cmp_lt_i64_e32 vcc, v[6:7], v[2:3]
	s_and_b64 vcc, s[0:1], vcc
	v_cndmask_b32_e64 v5, v5, 1, s[0:1]
	v_cndmask_b32_e32 v2, v2, v6, vcc
	v_cndmask_b32_e32 v3, v3, v7, vcc
	v_cmp_eq_u32_e32 vcc, 1, v8
	v_cndmask_b32_e32 v8, v9, v5, vcc
	v_cndmask_b32_e32 v3, v7, v3, vcc
	;; [unrolled: 1-line block ×3, first 2 shown]
	v_cmp_gt_u32_e32 vcc, 2, v1
	v_cndmask_b32_e64 v1, 0, 1, vcc
	v_lshlrev_b32_e32 v1, 1, v1
	v_and_b32_e32 v5, 0xff, v8
	v_add_lshl_u32 v1, v1, v4, 2
	ds_bpermute_b32 v6, v1, v5
	ds_bpermute_b32 v4, v1, v2
	;; [unrolled: 1-line block ×3, first 2 shown]
	v_and_b32_e32 v1, 1, v8
	s_waitcnt lgkmcnt(2)
	v_and_b32_e32 v7, 1, v6
	v_cmp_eq_u32_e64 s[0:1], 1, v7
	s_waitcnt lgkmcnt(0)
	v_cmp_lt_i64_e32 vcc, v[4:5], v[2:3]
	s_and_b64 vcc, s[0:1], vcc
	v_cndmask_b32_e64 v7, v8, 1, s[0:1]
	v_cndmask_b32_e32 v2, v2, v4, vcc
	v_cndmask_b32_e32 v3, v3, v5, vcc
	v_cmp_eq_u32_e32 vcc, 1, v1
	v_cndmask_b32_e32 v1, v6, v7, vcc
	v_cndmask_b32_e32 v3, v5, v3, vcc
	;; [unrolled: 1-line block ×3, first 2 shown]
	v_and_b32_e32 v6, 0xff, v1
.LBB1517_206:
	s_or_b64 exec, exec, s[8:9]
	s_branch .LBB1517_235
.LBB1517_207:
                                        ; implicit-def: $vgpr4_vgpr5
                                        ; implicit-def: $vgpr1
                                        ; implicit-def: $sgpr6_sgpr7
.LBB1517_208:
	s_and_saveexec_b64 s[0:1], s[10:11]
	s_cbranch_execz .LBB1517_210
.LBB1517_209:
	s_load_dwordx2 s[0:1], s[4:5], 0x28
	s_lshl_b64 s[2:3], s[6:7], 4
	v_mov_b32_e32 v0, 0
	s_waitcnt lgkmcnt(0)
	s_add_u32 s0, s0, s2
	s_addc_u32 s1, s1, s3
	global_store_byte v0, v1, s[0:1]
	global_store_dwordx2 v0, v[4:5], s[0:1] offset:8
.LBB1517_210:
	s_endpgm
.LBB1517_211:
                                        ; implicit-def: $vgpr2_vgpr3
                                        ; implicit-def: $vgpr6
	s_cbranch_execz .LBB1517_235
; %bb.212:
	s_sub_i32 s8, s22, s2
	v_cmp_gt_u32_e32 vcc, s8, v0
	v_pk_mov_b32 v[2:3], 0, 0
	v_mov_b32_e32 v7, 0
	s_and_saveexec_b64 s[0:1], vcc
	s_cbranch_execz .LBB1517_214
; %bb.213:
	s_add_u32 s9, s20, s2
	s_addc_u32 s12, s21, 0
	s_lshl_b64 s[2:3], s[2:3], 1
	s_add_u32 s2, s24, s2
	s_addc_u32 s3, s25, s3
	s_waitcnt lgkmcnt(2)
	v_lshlrev_b32_e32 v1, 1, v0
	global_load_ushort v1, v1, s[2:3]
	v_mov_b32_e32 v3, s12
	v_add_co_u32_e32 v2, vcc, s9, v0
	v_addc_co_u32_e32 v3, vcc, 0, v3, vcc
	s_waitcnt vmcnt(0)
	v_cmp_eq_u16_e32 vcc, s34, v1
	v_cndmask_b32_e64 v7, 0, 1, vcc
.LBB1517_214:
	s_or_b64 exec, exec, s[0:1]
	s_waitcnt lgkmcnt(2)
	v_mbcnt_lo_u32_b32 v1, -1, 0
	v_mbcnt_hi_u32_b32 v1, -1, v1
	v_and_b32_e32 v8, 63, v1
	v_cmp_ne_u32_e32 vcc, 63, v8
	s_waitcnt lgkmcnt(1)
	v_addc_co_u32_e32 v4, vcc, 0, v1, vcc
	v_and_b32_e32 v6, 0xffff, v7
	s_waitcnt lgkmcnt(0)
	v_lshlrev_b32_e32 v5, 2, v4
	ds_bpermute_b32 v10, v5, v6
	ds_bpermute_b32 v4, v5, v2
	;; [unrolled: 1-line block ×3, first 2 shown]
	s_min_u32 s8, s8, 0x100
	v_and_b32_e32 v9, 0xc0, v0
	v_sub_u32_e64 v9, s8, v9 clamp
	v_add_u32_e32 v11, 1, v8
	v_cmp_lt_u32_e32 vcc, v11, v9
	s_and_saveexec_b64 s[2:3], vcc
	s_cbranch_execz .LBB1517_216
; %bb.215:
	s_waitcnt lgkmcnt(2)
	v_and_b32_e32 v11, 1, v10
	s_waitcnt lgkmcnt(0)
	v_cmp_lt_i64_e32 vcc, v[4:5], v[2:3]
	v_cmp_eq_u32_e64 s[0:1], 1, v11
	v_and_b32_e32 v6, 1, v7
	s_and_b64 vcc, s[0:1], vcc
	v_cndmask_b32_e64 v7, v7, 1, s[0:1]
	v_cndmask_b32_e32 v2, v2, v4, vcc
	v_cndmask_b32_e32 v3, v3, v5, vcc
	v_cmp_eq_u32_e32 vcc, 1, v6
	v_cndmask_b32_e32 v7, v10, v7, vcc
	v_cndmask_b32_e32 v3, v5, v3, vcc
	v_cndmask_b32_e32 v2, v4, v2, vcc
	v_and_b32_e32 v6, 0xff, v7
.LBB1517_216:
	s_or_b64 exec, exec, s[2:3]
	v_cmp_gt_u32_e32 vcc, 62, v8
	s_waitcnt lgkmcnt(1)
	v_cndmask_b32_e64 v4, 0, 1, vcc
	v_lshlrev_b32_e32 v4, 1, v4
	s_waitcnt lgkmcnt(0)
	v_add_lshl_u32 v5, v4, v1, 2
	ds_bpermute_b32 v10, v5, v6
	ds_bpermute_b32 v4, v5, v2
	ds_bpermute_b32 v5, v5, v3
	v_add_u32_e32 v11, 2, v8
	v_cmp_lt_u32_e32 vcc, v11, v9
	s_and_saveexec_b64 s[2:3], vcc
	s_cbranch_execz .LBB1517_218
; %bb.217:
	s_waitcnt lgkmcnt(2)
	v_and_b32_e32 v11, 1, v10
	s_waitcnt lgkmcnt(0)
	v_cmp_lt_i64_e32 vcc, v[4:5], v[2:3]
	v_cmp_eq_u32_e64 s[0:1], 1, v11
	v_and_b32_e32 v6, 1, v7
	s_and_b64 vcc, s[0:1], vcc
	v_cndmask_b32_e64 v7, v7, 1, s[0:1]
	v_cndmask_b32_e32 v2, v2, v4, vcc
	v_cndmask_b32_e32 v3, v3, v5, vcc
	v_cmp_eq_u32_e32 vcc, 1, v6
	v_cndmask_b32_e32 v7, v10, v7, vcc
	v_cndmask_b32_e32 v3, v5, v3, vcc
	v_cndmask_b32_e32 v2, v4, v2, vcc
	v_and_b32_e32 v6, 0xff, v7
.LBB1517_218:
	s_or_b64 exec, exec, s[2:3]
	v_cmp_gt_u32_e32 vcc, 60, v8
	s_waitcnt lgkmcnt(1)
	v_cndmask_b32_e64 v4, 0, 1, vcc
	v_lshlrev_b32_e32 v4, 2, v4
	s_waitcnt lgkmcnt(0)
	v_add_lshl_u32 v5, v4, v1, 2
	ds_bpermute_b32 v10, v5, v6
	ds_bpermute_b32 v4, v5, v2
	ds_bpermute_b32 v5, v5, v3
	;; [unrolled: 31-line block ×5, first 2 shown]
	v_add_u32_e32 v8, 32, v8
	v_cmp_lt_u32_e32 vcc, v8, v9
	s_and_saveexec_b64 s[2:3], vcc
	s_cbranch_execz .LBB1517_226
; %bb.225:
	s_waitcnt lgkmcnt(2)
	v_and_b32_e32 v8, 1, v10
	s_waitcnt lgkmcnt(0)
	v_cmp_lt_i64_e32 vcc, v[4:5], v[2:3]
	v_cmp_eq_u32_e64 s[0:1], 1, v8
	v_and_b32_e32 v6, 1, v7
	s_and_b64 vcc, s[0:1], vcc
	v_cndmask_b32_e64 v7, v7, 1, s[0:1]
	v_cndmask_b32_e32 v2, v2, v4, vcc
	v_cndmask_b32_e32 v3, v3, v5, vcc
	v_cmp_eq_u32_e32 vcc, 1, v6
	v_cndmask_b32_e32 v7, v10, v7, vcc
	v_cndmask_b32_e32 v3, v5, v3, vcc
	;; [unrolled: 1-line block ×3, first 2 shown]
	v_and_b32_e32 v6, 0xff, v7
.LBB1517_226:
	s_or_b64 exec, exec, s[2:3]
	v_cmp_eq_u32_e32 vcc, 0, v1
	s_and_saveexec_b64 s[0:1], vcc
	s_cbranch_execz .LBB1517_228
; %bb.227:
	s_waitcnt lgkmcnt(1)
	v_lshrrev_b32_e32 v4, 2, v0
	v_and_b32_e32 v4, 48, v4
	ds_write_b8 v4, v7 offset:256
	ds_write_b64 v4, v[2:3] offset:264
.LBB1517_228:
	s_or_b64 exec, exec, s[0:1]
	v_cmp_gt_u32_e32 vcc, 4, v0
	s_waitcnt lgkmcnt(0)
	s_barrier
	s_and_saveexec_b64 s[2:3], vcc
	s_cbranch_execz .LBB1517_234
; %bb.229:
	v_lshlrev_b32_e32 v2, 4, v1
	ds_read_u8 v7, v2 offset:256
	ds_read_b64 v[2:3], v2 offset:264
	v_and_b32_e32 v8, 3, v1
	v_cmp_ne_u32_e32 vcc, 3, v8
	v_addc_co_u32_e32 v4, vcc, 0, v1, vcc
	s_waitcnt lgkmcnt(1)
	v_and_b32_e32 v6, 0xff, v7
	v_lshlrev_b32_e32 v5, 2, v4
	ds_bpermute_b32 v9, v5, v6
	s_waitcnt lgkmcnt(1)
	ds_bpermute_b32 v4, v5, v2
	ds_bpermute_b32 v5, v5, v3
	s_add_i32 s8, s8, 63
	s_lshr_b32 s12, s8, 6
	v_add_u32_e32 v10, 1, v8
	v_cmp_gt_u32_e32 vcc, s12, v10
	s_and_saveexec_b64 s[8:9], vcc
	s_cbranch_execz .LBB1517_231
; %bb.230:
	s_waitcnt lgkmcnt(2)
	v_and_b32_e32 v10, 1, v9
	s_waitcnt lgkmcnt(0)
	v_cmp_lt_i64_e32 vcc, v[4:5], v[2:3]
	v_cmp_eq_u32_e64 s[0:1], 1, v10
	v_and_b32_e32 v6, 1, v7
	s_and_b64 vcc, s[0:1], vcc
	v_cndmask_b32_e64 v7, v7, 1, s[0:1]
	v_cndmask_b32_e32 v2, v2, v4, vcc
	v_cndmask_b32_e32 v3, v3, v5, vcc
	v_cmp_eq_u32_e32 vcc, 1, v6
	v_cndmask_b32_e32 v7, v9, v7, vcc
	v_cndmask_b32_e32 v3, v5, v3, vcc
	;; [unrolled: 1-line block ×3, first 2 shown]
	v_and_b32_e32 v6, 0xff, v7
.LBB1517_231:
	s_or_b64 exec, exec, s[8:9]
	v_cmp_gt_u32_e32 vcc, 2, v8
	s_waitcnt lgkmcnt(1)
	v_cndmask_b32_e64 v4, 0, 1, vcc
	v_lshlrev_b32_e32 v4, 1, v4
	s_waitcnt lgkmcnt(0)
	v_add_lshl_u32 v5, v4, v1, 2
	ds_bpermute_b32 v1, v5, v6
	ds_bpermute_b32 v4, v5, v2
	;; [unrolled: 1-line block ×3, first 2 shown]
	v_add_u32_e32 v8, 2, v8
	v_cmp_gt_u32_e32 vcc, s12, v8
	s_and_saveexec_b64 s[8:9], vcc
	s_cbranch_execz .LBB1517_233
; %bb.232:
	s_waitcnt lgkmcnt(2)
	v_and_b32_e32 v8, 1, v1
	s_waitcnt lgkmcnt(0)
	v_cmp_lt_i64_e32 vcc, v[4:5], v[2:3]
	v_cmp_eq_u32_e64 s[0:1], 1, v8
	v_and_b32_e32 v6, 1, v7
	s_and_b64 vcc, s[0:1], vcc
	v_cndmask_b32_e64 v7, v7, 1, s[0:1]
	v_cndmask_b32_e32 v2, v2, v4, vcc
	v_cndmask_b32_e32 v3, v3, v5, vcc
	v_cmp_eq_u32_e32 vcc, 1, v6
	v_cndmask_b32_e32 v1, v1, v7, vcc
	v_cndmask_b32_e32 v3, v5, v3, vcc
	;; [unrolled: 1-line block ×3, first 2 shown]
	v_and_b32_e32 v6, 0xff, v1
.LBB1517_233:
	s_or_b64 exec, exec, s[8:9]
.LBB1517_234:
	s_or_b64 exec, exec, s[2:3]
.LBB1517_235:
	v_cmp_eq_u32_e32 vcc, 0, v0
                                        ; implicit-def: $vgpr4_vgpr5
                                        ; implicit-def: $vgpr1
	s_and_saveexec_b64 s[8:9], vcc
	s_cbranch_execz .LBB1517_239
; %bb.236:
	s_cmp_eq_u64 s[22:23], 0
	s_waitcnt lgkmcnt(0)
	v_pk_mov_b32 v[4:5], s[18:19], s[18:19] op_sel:[0,1]
	v_mov_b32_e32 v1, s33
	s_cbranch_scc1 .LBB1517_238
; %bb.237:
	v_and_b32_e32 v0, 1, v6
	s_bitcmp1_b32 s33, 0
	v_mov_b32_e32 v1, s33
	v_cmp_eq_u32_e32 vcc, 1, v0
	v_cmp_gt_i64_e64 s[2:3], s[18:19], v[2:3]
	v_cndmask_b32_e64 v0, v1, 1, vcc
	s_cselect_b64 s[0:1], -1, 0
	v_mov_b32_e32 v1, s18
	s_and_b64 vcc, vcc, s[2:3]
	v_cndmask_b32_e32 v4, v1, v2, vcc
	v_mov_b32_e32 v1, s19
	v_cndmask_b32_e32 v5, v1, v3, vcc
	v_cndmask_b32_e64 v1, v6, v0, s[0:1]
	v_cndmask_b32_e64 v5, v3, v5, s[0:1]
	;; [unrolled: 1-line block ×3, first 2 shown]
.LBB1517_238:
	s_or_b64 s[10:11], s[10:11], exec
.LBB1517_239:
	s_or_b64 exec, exec, s[8:9]
	s_and_saveexec_b64 s[0:1], s[10:11]
	s_cbranch_execnz .LBB1517_209
	s_branch .LBB1517_210
.LBB1517_240:
	v_lshlrev_b32_e32 v4, 1, v0
	global_load_ushort v18, v4, s[28:29] offset:3584
	v_mov_b32_e32 v5, s37
	v_add_co_u32_e64 v4, s[16:17], s36, v25
	v_addc_co_u32_e64 v5, s[16:17], 0, v5, s[16:17]
	s_waitcnt vmcnt(0)
	v_cmp_eq_u16_e64 s[16:17], s34, v18
	v_cndmask_b32_e64 v18, 0, 1, s[16:17]
	s_or_b64 exec, exec, s[30:31]
	s_and_saveexec_b64 s[28:29], s[14:15]
	s_cbranch_execz .LBB1517_61
.LBB1517_241:
	v_and_b32_e32 v26, 1, v21
	v_cmp_lt_i64_e64 s[14:15], v[10:11], v[2:3]
	v_cmp_eq_u32_e64 s[16:17], 1, v26
	v_and_b32_e32 v25, 1, v1
	s_and_b64 s[14:15], s[16:17], s[14:15]
	v_cndmask_b32_e64 v1, v1, 1, s[16:17]
	v_cndmask_b32_e64 v2, v2, v10, s[14:15]
	;; [unrolled: 1-line block ×3, first 2 shown]
	v_cmp_eq_u32_e64 s[14:15], 1, v25
	v_cndmask_b32_e64 v1, v21, v1, s[14:15]
	v_cndmask_b32_e64 v3, v11, v3, s[14:15]
	;; [unrolled: 1-line block ×3, first 2 shown]
	s_or_b64 exec, exec, s[28:29]
	s_and_saveexec_b64 s[16:17], s[12:13]
	s_cbranch_execz .LBB1517_62
.LBB1517_242:
	v_and_b32_e32 v11, 1, v24
	v_cmp_lt_i64_e64 s[12:13], v[16:17], v[2:3]
	v_cmp_eq_u32_e64 s[14:15], 1, v11
	v_and_b32_e32 v10, 1, v1
	s_and_b64 s[12:13], s[14:15], s[12:13]
	v_cndmask_b32_e64 v1, v1, 1, s[14:15]
	v_cndmask_b32_e64 v2, v2, v16, s[12:13]
	;; [unrolled: 1-line block ×3, first 2 shown]
	v_cmp_eq_u32_e64 s[12:13], 1, v10
	v_cndmask_b32_e64 v1, v24, v1, s[12:13]
	v_cndmask_b32_e64 v3, v17, v3, s[12:13]
	;; [unrolled: 1-line block ×3, first 2 shown]
	s_or_b64 exec, exec, s[16:17]
	s_and_saveexec_b64 s[14:15], s[10:11]
	s_cbranch_execz .LBB1517_63
.LBB1517_243:
	v_and_b32_e32 v11, 1, v20
	v_cmp_lt_i64_e64 s[10:11], v[8:9], v[2:3]
	v_cmp_eq_u32_e64 s[12:13], 1, v11
	v_and_b32_e32 v10, 1, v1
	s_and_b64 s[10:11], s[12:13], s[10:11]
	v_cndmask_b32_e64 v1, v1, 1, s[12:13]
	v_cndmask_b32_e64 v2, v2, v8, s[10:11]
	;; [unrolled: 1-line block ×3, first 2 shown]
	v_cmp_eq_u32_e64 s[10:11], 1, v10
	v_cndmask_b32_e64 v1, v20, v1, s[10:11]
	v_cndmask_b32_e64 v3, v9, v3, s[10:11]
	;; [unrolled: 1-line block ×3, first 2 shown]
	s_or_b64 exec, exec, s[14:15]
	s_and_saveexec_b64 s[12:13], s[8:9]
	s_cbranch_execz .LBB1517_64
.LBB1517_244:
	v_and_b32_e32 v9, 1, v23
	v_cmp_lt_i64_e64 s[8:9], v[14:15], v[2:3]
	v_cmp_eq_u32_e64 s[10:11], 1, v9
	v_and_b32_e32 v8, 1, v1
	s_and_b64 s[8:9], s[10:11], s[8:9]
	v_cndmask_b32_e64 v1, v1, 1, s[10:11]
	v_cndmask_b32_e64 v2, v2, v14, s[8:9]
	;; [unrolled: 1-line block ×3, first 2 shown]
	v_cmp_eq_u32_e64 s[8:9], 1, v8
	v_cndmask_b32_e64 v1, v23, v1, s[8:9]
	v_cndmask_b32_e64 v3, v15, v3, s[8:9]
	v_cndmask_b32_e64 v2, v14, v2, s[8:9]
	s_or_b64 exec, exec, s[12:13]
	s_and_saveexec_b64 s[10:11], s[2:3]
	s_cbranch_execz .LBB1517_65
.LBB1517_245:
	v_and_b32_e32 v9, 1, v19
	v_cmp_lt_i64_e64 s[2:3], v[6:7], v[2:3]
	v_cmp_eq_u32_e64 s[8:9], 1, v9
	v_and_b32_e32 v8, 1, v1
	s_and_b64 s[2:3], s[8:9], s[2:3]
	v_cndmask_b32_e64 v1, v1, 1, s[8:9]
	v_cndmask_b32_e64 v2, v2, v6, s[2:3]
	;; [unrolled: 1-line block ×3, first 2 shown]
	v_cmp_eq_u32_e64 s[2:3], 1, v8
	v_cndmask_b32_e64 v1, v19, v1, s[2:3]
	v_cndmask_b32_e64 v3, v7, v3, s[2:3]
	;; [unrolled: 1-line block ×3, first 2 shown]
	s_or_b64 exec, exec, s[10:11]
	s_and_saveexec_b64 s[8:9], s[0:1]
	s_cbranch_execz .LBB1517_66
.LBB1517_246:
	v_and_b32_e32 v7, 1, v22
	v_cmp_lt_i64_e64 s[0:1], v[12:13], v[2:3]
	v_cmp_eq_u32_e64 s[2:3], 1, v7
	v_and_b32_e32 v6, 1, v1
	s_and_b64 s[0:1], s[2:3], s[0:1]
	v_cndmask_b32_e64 v1, v1, 1, s[2:3]
	v_cndmask_b32_e64 v2, v2, v12, s[0:1]
	;; [unrolled: 1-line block ×3, first 2 shown]
	v_cmp_eq_u32_e64 s[0:1], 1, v6
	v_cndmask_b32_e64 v1, v22, v1, s[0:1]
	v_cndmask_b32_e64 v3, v13, v3, s[0:1]
	;; [unrolled: 1-line block ×3, first 2 shown]
	s_or_b64 exec, exec, s[8:9]
	s_and_saveexec_b64 s[2:3], vcc
	s_cbranch_execnz .LBB1517_67
	s_branch .LBB1517_68
.LBB1517_247:
	v_lshlrev_b32_e32 v1, 1, v0
	global_load_ushort v1, v1, s[12:13] offset:1536
	v_mov_b32_e32 v5, s17
	v_add_co_u32_e64 v4, s[8:9], s16, v13
	v_addc_co_u32_e64 v5, s[8:9], 0, v5, s[8:9]
	s_waitcnt vmcnt(0)
	v_cmp_eq_u16_e64 s[8:9], s34, v1
	v_cndmask_b32_e64 v1, 0, 1, s[8:9]
	s_or_b64 exec, exec, s[14:15]
	s_and_saveexec_b64 s[12:13], s[2:3]
	s_cbranch_execz .LBB1517_104
.LBB1517_248:
	v_and_b32_e32 v14, 1, v11
	v_cmp_lt_i64_e64 s[2:3], v[6:7], v[2:3]
	v_cmp_eq_u32_e64 s[8:9], 1, v14
	v_and_b32_e32 v13, 1, v10
	s_and_b64 s[2:3], s[8:9], s[2:3]
	v_cndmask_b32_e64 v10, v10, 1, s[8:9]
	v_cndmask_b32_e64 v2, v2, v6, s[2:3]
	;; [unrolled: 1-line block ×3, first 2 shown]
	v_cmp_eq_u32_e64 s[2:3], 1, v13
	v_cndmask_b32_e64 v10, v11, v10, s[2:3]
	v_cndmask_b32_e64 v3, v7, v3, s[2:3]
	;; [unrolled: 1-line block ×3, first 2 shown]
	s_or_b64 exec, exec, s[12:13]
	s_and_saveexec_b64 s[8:9], s[0:1]
	s_cbranch_execz .LBB1517_105
.LBB1517_249:
	v_and_b32_e32 v7, 1, v12
	v_cmp_lt_i64_e64 s[0:1], v[8:9], v[2:3]
	v_cmp_eq_u32_e64 s[2:3], 1, v7
	v_and_b32_e32 v6, 1, v10
	s_and_b64 s[0:1], s[2:3], s[0:1]
	v_cndmask_b32_e64 v7, v10, 1, s[2:3]
	v_cndmask_b32_e64 v2, v2, v8, s[0:1]
	;; [unrolled: 1-line block ×3, first 2 shown]
	v_cmp_eq_u32_e64 s[0:1], 1, v6
	v_cndmask_b32_e64 v10, v12, v7, s[0:1]
	v_cndmask_b32_e64 v3, v9, v3, s[0:1]
	;; [unrolled: 1-line block ×3, first 2 shown]
	s_or_b64 exec, exec, s[8:9]
	s_and_saveexec_b64 s[2:3], vcc
	s_cbranch_execnz .LBB1517_106
	s_branch .LBB1517_107
	.section	.rodata,"a",@progbits
	.p2align	6, 0x0
	.amdhsa_kernel _ZN7rocprim17ROCPRIM_400000_NS6detail17trampoline_kernelINS0_14default_configENS1_22reduce_config_selectorIN6thrust23THRUST_200600_302600_NS5tupleIblNS6_9null_typeES8_S8_S8_S8_S8_S8_S8_EEEEZNS1_11reduce_implILb1ES3_NS6_12zip_iteratorINS7_INS6_11hip_rocprim26transform_input_iterator_tIbPsNS6_6detail10functional5actorINSH_9compositeIJNSH_27transparent_binary_operatorINS6_8equal_toIvEEEENSI_INSH_8argumentILj0EEEEENSH_5valueIsEEEEEEEEENSD_19counting_iterator_tIlEES8_S8_S8_S8_S8_S8_S8_S8_EEEEPS9_S9_NSD_9__find_if7functorIS9_EEEE10hipError_tPvRmT1_T2_T3_mT4_P12ihipStream_tbEUlT_E1_NS1_11comp_targetILNS1_3genE4ELNS1_11target_archE910ELNS1_3gpuE8ELNS1_3repE0EEENS1_30default_config_static_selectorELNS0_4arch9wavefront6targetE1EEEvS17_
		.amdhsa_group_segment_fixed_size 320
		.amdhsa_private_segment_fixed_size 0
		.amdhsa_kernarg_size 72
		.amdhsa_user_sgpr_count 6
		.amdhsa_user_sgpr_private_segment_buffer 1
		.amdhsa_user_sgpr_dispatch_ptr 0
		.amdhsa_user_sgpr_queue_ptr 0
		.amdhsa_user_sgpr_kernarg_segment_ptr 1
		.amdhsa_user_sgpr_dispatch_id 0
		.amdhsa_user_sgpr_flat_scratch_init 0
		.amdhsa_user_sgpr_kernarg_preload_length 0
		.amdhsa_user_sgpr_kernarg_preload_offset 0
		.amdhsa_user_sgpr_private_segment_size 0
		.amdhsa_uses_dynamic_stack 0
		.amdhsa_system_sgpr_private_segment_wavefront_offset 0
		.amdhsa_system_sgpr_workgroup_id_x 1
		.amdhsa_system_sgpr_workgroup_id_y 0
		.amdhsa_system_sgpr_workgroup_id_z 0
		.amdhsa_system_sgpr_workgroup_info 0
		.amdhsa_system_vgpr_workitem_id 0
		.amdhsa_next_free_vgpr 27
		.amdhsa_next_free_sgpr 39
		.amdhsa_accum_offset 28
		.amdhsa_reserve_vcc 1
		.amdhsa_reserve_flat_scratch 0
		.amdhsa_float_round_mode_32 0
		.amdhsa_float_round_mode_16_64 0
		.amdhsa_float_denorm_mode_32 3
		.amdhsa_float_denorm_mode_16_64 3
		.amdhsa_dx10_clamp 1
		.amdhsa_ieee_mode 1
		.amdhsa_fp16_overflow 0
		.amdhsa_tg_split 0
		.amdhsa_exception_fp_ieee_invalid_op 0
		.amdhsa_exception_fp_denorm_src 0
		.amdhsa_exception_fp_ieee_div_zero 0
		.amdhsa_exception_fp_ieee_overflow 0
		.amdhsa_exception_fp_ieee_underflow 0
		.amdhsa_exception_fp_ieee_inexact 0
		.amdhsa_exception_int_div_zero 0
	.end_amdhsa_kernel
	.section	.text._ZN7rocprim17ROCPRIM_400000_NS6detail17trampoline_kernelINS0_14default_configENS1_22reduce_config_selectorIN6thrust23THRUST_200600_302600_NS5tupleIblNS6_9null_typeES8_S8_S8_S8_S8_S8_S8_EEEEZNS1_11reduce_implILb1ES3_NS6_12zip_iteratorINS7_INS6_11hip_rocprim26transform_input_iterator_tIbPsNS6_6detail10functional5actorINSH_9compositeIJNSH_27transparent_binary_operatorINS6_8equal_toIvEEEENSI_INSH_8argumentILj0EEEEENSH_5valueIsEEEEEEEEENSD_19counting_iterator_tIlEES8_S8_S8_S8_S8_S8_S8_S8_EEEEPS9_S9_NSD_9__find_if7functorIS9_EEEE10hipError_tPvRmT1_T2_T3_mT4_P12ihipStream_tbEUlT_E1_NS1_11comp_targetILNS1_3genE4ELNS1_11target_archE910ELNS1_3gpuE8ELNS1_3repE0EEENS1_30default_config_static_selectorELNS0_4arch9wavefront6targetE1EEEvS17_,"axG",@progbits,_ZN7rocprim17ROCPRIM_400000_NS6detail17trampoline_kernelINS0_14default_configENS1_22reduce_config_selectorIN6thrust23THRUST_200600_302600_NS5tupleIblNS6_9null_typeES8_S8_S8_S8_S8_S8_S8_EEEEZNS1_11reduce_implILb1ES3_NS6_12zip_iteratorINS7_INS6_11hip_rocprim26transform_input_iterator_tIbPsNS6_6detail10functional5actorINSH_9compositeIJNSH_27transparent_binary_operatorINS6_8equal_toIvEEEENSI_INSH_8argumentILj0EEEEENSH_5valueIsEEEEEEEEENSD_19counting_iterator_tIlEES8_S8_S8_S8_S8_S8_S8_S8_EEEEPS9_S9_NSD_9__find_if7functorIS9_EEEE10hipError_tPvRmT1_T2_T3_mT4_P12ihipStream_tbEUlT_E1_NS1_11comp_targetILNS1_3genE4ELNS1_11target_archE910ELNS1_3gpuE8ELNS1_3repE0EEENS1_30default_config_static_selectorELNS0_4arch9wavefront6targetE1EEEvS17_,comdat
.Lfunc_end1517:
	.size	_ZN7rocprim17ROCPRIM_400000_NS6detail17trampoline_kernelINS0_14default_configENS1_22reduce_config_selectorIN6thrust23THRUST_200600_302600_NS5tupleIblNS6_9null_typeES8_S8_S8_S8_S8_S8_S8_EEEEZNS1_11reduce_implILb1ES3_NS6_12zip_iteratorINS7_INS6_11hip_rocprim26transform_input_iterator_tIbPsNS6_6detail10functional5actorINSH_9compositeIJNSH_27transparent_binary_operatorINS6_8equal_toIvEEEENSI_INSH_8argumentILj0EEEEENSH_5valueIsEEEEEEEEENSD_19counting_iterator_tIlEES8_S8_S8_S8_S8_S8_S8_S8_EEEEPS9_S9_NSD_9__find_if7functorIS9_EEEE10hipError_tPvRmT1_T2_T3_mT4_P12ihipStream_tbEUlT_E1_NS1_11comp_targetILNS1_3genE4ELNS1_11target_archE910ELNS1_3gpuE8ELNS1_3repE0EEENS1_30default_config_static_selectorELNS0_4arch9wavefront6targetE1EEEvS17_, .Lfunc_end1517-_ZN7rocprim17ROCPRIM_400000_NS6detail17trampoline_kernelINS0_14default_configENS1_22reduce_config_selectorIN6thrust23THRUST_200600_302600_NS5tupleIblNS6_9null_typeES8_S8_S8_S8_S8_S8_S8_EEEEZNS1_11reduce_implILb1ES3_NS6_12zip_iteratorINS7_INS6_11hip_rocprim26transform_input_iterator_tIbPsNS6_6detail10functional5actorINSH_9compositeIJNSH_27transparent_binary_operatorINS6_8equal_toIvEEEENSI_INSH_8argumentILj0EEEEENSH_5valueIsEEEEEEEEENSD_19counting_iterator_tIlEES8_S8_S8_S8_S8_S8_S8_S8_EEEEPS9_S9_NSD_9__find_if7functorIS9_EEEE10hipError_tPvRmT1_T2_T3_mT4_P12ihipStream_tbEUlT_E1_NS1_11comp_targetILNS1_3genE4ELNS1_11target_archE910ELNS1_3gpuE8ELNS1_3repE0EEENS1_30default_config_static_selectorELNS0_4arch9wavefront6targetE1EEEvS17_
                                        ; -- End function
	.section	.AMDGPU.csdata,"",@progbits
; Kernel info:
; codeLenInByte = 12940
; NumSgprs: 43
; NumVgprs: 27
; NumAgprs: 0
; TotalNumVgprs: 27
; ScratchSize: 0
; MemoryBound: 0
; FloatMode: 240
; IeeeMode: 1
; LDSByteSize: 320 bytes/workgroup (compile time only)
; SGPRBlocks: 5
; VGPRBlocks: 3
; NumSGPRsForWavesPerEU: 43
; NumVGPRsForWavesPerEU: 27
; AccumOffset: 28
; Occupancy: 8
; WaveLimiterHint : 1
; COMPUTE_PGM_RSRC2:SCRATCH_EN: 0
; COMPUTE_PGM_RSRC2:USER_SGPR: 6
; COMPUTE_PGM_RSRC2:TRAP_HANDLER: 0
; COMPUTE_PGM_RSRC2:TGID_X_EN: 1
; COMPUTE_PGM_RSRC2:TGID_Y_EN: 0
; COMPUTE_PGM_RSRC2:TGID_Z_EN: 0
; COMPUTE_PGM_RSRC2:TIDIG_COMP_CNT: 0
; COMPUTE_PGM_RSRC3_GFX90A:ACCUM_OFFSET: 6
; COMPUTE_PGM_RSRC3_GFX90A:TG_SPLIT: 0
	.section	.text._ZN7rocprim17ROCPRIM_400000_NS6detail17trampoline_kernelINS0_14default_configENS1_22reduce_config_selectorIN6thrust23THRUST_200600_302600_NS5tupleIblNS6_9null_typeES8_S8_S8_S8_S8_S8_S8_EEEEZNS1_11reduce_implILb1ES3_NS6_12zip_iteratorINS7_INS6_11hip_rocprim26transform_input_iterator_tIbPsNS6_6detail10functional5actorINSH_9compositeIJNSH_27transparent_binary_operatorINS6_8equal_toIvEEEENSI_INSH_8argumentILj0EEEEENSH_5valueIsEEEEEEEEENSD_19counting_iterator_tIlEES8_S8_S8_S8_S8_S8_S8_S8_EEEEPS9_S9_NSD_9__find_if7functorIS9_EEEE10hipError_tPvRmT1_T2_T3_mT4_P12ihipStream_tbEUlT_E1_NS1_11comp_targetILNS1_3genE3ELNS1_11target_archE908ELNS1_3gpuE7ELNS1_3repE0EEENS1_30default_config_static_selectorELNS0_4arch9wavefront6targetE1EEEvS17_,"axG",@progbits,_ZN7rocprim17ROCPRIM_400000_NS6detail17trampoline_kernelINS0_14default_configENS1_22reduce_config_selectorIN6thrust23THRUST_200600_302600_NS5tupleIblNS6_9null_typeES8_S8_S8_S8_S8_S8_S8_EEEEZNS1_11reduce_implILb1ES3_NS6_12zip_iteratorINS7_INS6_11hip_rocprim26transform_input_iterator_tIbPsNS6_6detail10functional5actorINSH_9compositeIJNSH_27transparent_binary_operatorINS6_8equal_toIvEEEENSI_INSH_8argumentILj0EEEEENSH_5valueIsEEEEEEEEENSD_19counting_iterator_tIlEES8_S8_S8_S8_S8_S8_S8_S8_EEEEPS9_S9_NSD_9__find_if7functorIS9_EEEE10hipError_tPvRmT1_T2_T3_mT4_P12ihipStream_tbEUlT_E1_NS1_11comp_targetILNS1_3genE3ELNS1_11target_archE908ELNS1_3gpuE7ELNS1_3repE0EEENS1_30default_config_static_selectorELNS0_4arch9wavefront6targetE1EEEvS17_,comdat
	.protected	_ZN7rocprim17ROCPRIM_400000_NS6detail17trampoline_kernelINS0_14default_configENS1_22reduce_config_selectorIN6thrust23THRUST_200600_302600_NS5tupleIblNS6_9null_typeES8_S8_S8_S8_S8_S8_S8_EEEEZNS1_11reduce_implILb1ES3_NS6_12zip_iteratorINS7_INS6_11hip_rocprim26transform_input_iterator_tIbPsNS6_6detail10functional5actorINSH_9compositeIJNSH_27transparent_binary_operatorINS6_8equal_toIvEEEENSI_INSH_8argumentILj0EEEEENSH_5valueIsEEEEEEEEENSD_19counting_iterator_tIlEES8_S8_S8_S8_S8_S8_S8_S8_EEEEPS9_S9_NSD_9__find_if7functorIS9_EEEE10hipError_tPvRmT1_T2_T3_mT4_P12ihipStream_tbEUlT_E1_NS1_11comp_targetILNS1_3genE3ELNS1_11target_archE908ELNS1_3gpuE7ELNS1_3repE0EEENS1_30default_config_static_selectorELNS0_4arch9wavefront6targetE1EEEvS17_ ; -- Begin function _ZN7rocprim17ROCPRIM_400000_NS6detail17trampoline_kernelINS0_14default_configENS1_22reduce_config_selectorIN6thrust23THRUST_200600_302600_NS5tupleIblNS6_9null_typeES8_S8_S8_S8_S8_S8_S8_EEEEZNS1_11reduce_implILb1ES3_NS6_12zip_iteratorINS7_INS6_11hip_rocprim26transform_input_iterator_tIbPsNS6_6detail10functional5actorINSH_9compositeIJNSH_27transparent_binary_operatorINS6_8equal_toIvEEEENSI_INSH_8argumentILj0EEEEENSH_5valueIsEEEEEEEEENSD_19counting_iterator_tIlEES8_S8_S8_S8_S8_S8_S8_S8_EEEEPS9_S9_NSD_9__find_if7functorIS9_EEEE10hipError_tPvRmT1_T2_T3_mT4_P12ihipStream_tbEUlT_E1_NS1_11comp_targetILNS1_3genE3ELNS1_11target_archE908ELNS1_3gpuE7ELNS1_3repE0EEENS1_30default_config_static_selectorELNS0_4arch9wavefront6targetE1EEEvS17_
	.globl	_ZN7rocprim17ROCPRIM_400000_NS6detail17trampoline_kernelINS0_14default_configENS1_22reduce_config_selectorIN6thrust23THRUST_200600_302600_NS5tupleIblNS6_9null_typeES8_S8_S8_S8_S8_S8_S8_EEEEZNS1_11reduce_implILb1ES3_NS6_12zip_iteratorINS7_INS6_11hip_rocprim26transform_input_iterator_tIbPsNS6_6detail10functional5actorINSH_9compositeIJNSH_27transparent_binary_operatorINS6_8equal_toIvEEEENSI_INSH_8argumentILj0EEEEENSH_5valueIsEEEEEEEEENSD_19counting_iterator_tIlEES8_S8_S8_S8_S8_S8_S8_S8_EEEEPS9_S9_NSD_9__find_if7functorIS9_EEEE10hipError_tPvRmT1_T2_T3_mT4_P12ihipStream_tbEUlT_E1_NS1_11comp_targetILNS1_3genE3ELNS1_11target_archE908ELNS1_3gpuE7ELNS1_3repE0EEENS1_30default_config_static_selectorELNS0_4arch9wavefront6targetE1EEEvS17_
	.p2align	8
	.type	_ZN7rocprim17ROCPRIM_400000_NS6detail17trampoline_kernelINS0_14default_configENS1_22reduce_config_selectorIN6thrust23THRUST_200600_302600_NS5tupleIblNS6_9null_typeES8_S8_S8_S8_S8_S8_S8_EEEEZNS1_11reduce_implILb1ES3_NS6_12zip_iteratorINS7_INS6_11hip_rocprim26transform_input_iterator_tIbPsNS6_6detail10functional5actorINSH_9compositeIJNSH_27transparent_binary_operatorINS6_8equal_toIvEEEENSI_INSH_8argumentILj0EEEEENSH_5valueIsEEEEEEEEENSD_19counting_iterator_tIlEES8_S8_S8_S8_S8_S8_S8_S8_EEEEPS9_S9_NSD_9__find_if7functorIS9_EEEE10hipError_tPvRmT1_T2_T3_mT4_P12ihipStream_tbEUlT_E1_NS1_11comp_targetILNS1_3genE3ELNS1_11target_archE908ELNS1_3gpuE7ELNS1_3repE0EEENS1_30default_config_static_selectorELNS0_4arch9wavefront6targetE1EEEvS17_,@function
_ZN7rocprim17ROCPRIM_400000_NS6detail17trampoline_kernelINS0_14default_configENS1_22reduce_config_selectorIN6thrust23THRUST_200600_302600_NS5tupleIblNS6_9null_typeES8_S8_S8_S8_S8_S8_S8_EEEEZNS1_11reduce_implILb1ES3_NS6_12zip_iteratorINS7_INS6_11hip_rocprim26transform_input_iterator_tIbPsNS6_6detail10functional5actorINSH_9compositeIJNSH_27transparent_binary_operatorINS6_8equal_toIvEEEENSI_INSH_8argumentILj0EEEEENSH_5valueIsEEEEEEEEENSD_19counting_iterator_tIlEES8_S8_S8_S8_S8_S8_S8_S8_EEEEPS9_S9_NSD_9__find_if7functorIS9_EEEE10hipError_tPvRmT1_T2_T3_mT4_P12ihipStream_tbEUlT_E1_NS1_11comp_targetILNS1_3genE3ELNS1_11target_archE908ELNS1_3gpuE7ELNS1_3repE0EEENS1_30default_config_static_selectorELNS0_4arch9wavefront6targetE1EEEvS17_: ; @_ZN7rocprim17ROCPRIM_400000_NS6detail17trampoline_kernelINS0_14default_configENS1_22reduce_config_selectorIN6thrust23THRUST_200600_302600_NS5tupleIblNS6_9null_typeES8_S8_S8_S8_S8_S8_S8_EEEEZNS1_11reduce_implILb1ES3_NS6_12zip_iteratorINS7_INS6_11hip_rocprim26transform_input_iterator_tIbPsNS6_6detail10functional5actorINSH_9compositeIJNSH_27transparent_binary_operatorINS6_8equal_toIvEEEENSI_INSH_8argumentILj0EEEEENSH_5valueIsEEEEEEEEENSD_19counting_iterator_tIlEES8_S8_S8_S8_S8_S8_S8_S8_EEEEPS9_S9_NSD_9__find_if7functorIS9_EEEE10hipError_tPvRmT1_T2_T3_mT4_P12ihipStream_tbEUlT_E1_NS1_11comp_targetILNS1_3genE3ELNS1_11target_archE908ELNS1_3gpuE7ELNS1_3repE0EEENS1_30default_config_static_selectorELNS0_4arch9wavefront6targetE1EEEvS17_
; %bb.0:
	.section	.rodata,"a",@progbits
	.p2align	6, 0x0
	.amdhsa_kernel _ZN7rocprim17ROCPRIM_400000_NS6detail17trampoline_kernelINS0_14default_configENS1_22reduce_config_selectorIN6thrust23THRUST_200600_302600_NS5tupleIblNS6_9null_typeES8_S8_S8_S8_S8_S8_S8_EEEEZNS1_11reduce_implILb1ES3_NS6_12zip_iteratorINS7_INS6_11hip_rocprim26transform_input_iterator_tIbPsNS6_6detail10functional5actorINSH_9compositeIJNSH_27transparent_binary_operatorINS6_8equal_toIvEEEENSI_INSH_8argumentILj0EEEEENSH_5valueIsEEEEEEEEENSD_19counting_iterator_tIlEES8_S8_S8_S8_S8_S8_S8_S8_EEEEPS9_S9_NSD_9__find_if7functorIS9_EEEE10hipError_tPvRmT1_T2_T3_mT4_P12ihipStream_tbEUlT_E1_NS1_11comp_targetILNS1_3genE3ELNS1_11target_archE908ELNS1_3gpuE7ELNS1_3repE0EEENS1_30default_config_static_selectorELNS0_4arch9wavefront6targetE1EEEvS17_
		.amdhsa_group_segment_fixed_size 0
		.amdhsa_private_segment_fixed_size 0
		.amdhsa_kernarg_size 72
		.amdhsa_user_sgpr_count 6
		.amdhsa_user_sgpr_private_segment_buffer 1
		.amdhsa_user_sgpr_dispatch_ptr 0
		.amdhsa_user_sgpr_queue_ptr 0
		.amdhsa_user_sgpr_kernarg_segment_ptr 1
		.amdhsa_user_sgpr_dispatch_id 0
		.amdhsa_user_sgpr_flat_scratch_init 0
		.amdhsa_user_sgpr_kernarg_preload_length 0
		.amdhsa_user_sgpr_kernarg_preload_offset 0
		.amdhsa_user_sgpr_private_segment_size 0
		.amdhsa_uses_dynamic_stack 0
		.amdhsa_system_sgpr_private_segment_wavefront_offset 0
		.amdhsa_system_sgpr_workgroup_id_x 1
		.amdhsa_system_sgpr_workgroup_id_y 0
		.amdhsa_system_sgpr_workgroup_id_z 0
		.amdhsa_system_sgpr_workgroup_info 0
		.amdhsa_system_vgpr_workitem_id 0
		.amdhsa_next_free_vgpr 1
		.amdhsa_next_free_sgpr 0
		.amdhsa_accum_offset 4
		.amdhsa_reserve_vcc 0
		.amdhsa_reserve_flat_scratch 0
		.amdhsa_float_round_mode_32 0
		.amdhsa_float_round_mode_16_64 0
		.amdhsa_float_denorm_mode_32 3
		.amdhsa_float_denorm_mode_16_64 3
		.amdhsa_dx10_clamp 1
		.amdhsa_ieee_mode 1
		.amdhsa_fp16_overflow 0
		.amdhsa_tg_split 0
		.amdhsa_exception_fp_ieee_invalid_op 0
		.amdhsa_exception_fp_denorm_src 0
		.amdhsa_exception_fp_ieee_div_zero 0
		.amdhsa_exception_fp_ieee_overflow 0
		.amdhsa_exception_fp_ieee_underflow 0
		.amdhsa_exception_fp_ieee_inexact 0
		.amdhsa_exception_int_div_zero 0
	.end_amdhsa_kernel
	.section	.text._ZN7rocprim17ROCPRIM_400000_NS6detail17trampoline_kernelINS0_14default_configENS1_22reduce_config_selectorIN6thrust23THRUST_200600_302600_NS5tupleIblNS6_9null_typeES8_S8_S8_S8_S8_S8_S8_EEEEZNS1_11reduce_implILb1ES3_NS6_12zip_iteratorINS7_INS6_11hip_rocprim26transform_input_iterator_tIbPsNS6_6detail10functional5actorINSH_9compositeIJNSH_27transparent_binary_operatorINS6_8equal_toIvEEEENSI_INSH_8argumentILj0EEEEENSH_5valueIsEEEEEEEEENSD_19counting_iterator_tIlEES8_S8_S8_S8_S8_S8_S8_S8_EEEEPS9_S9_NSD_9__find_if7functorIS9_EEEE10hipError_tPvRmT1_T2_T3_mT4_P12ihipStream_tbEUlT_E1_NS1_11comp_targetILNS1_3genE3ELNS1_11target_archE908ELNS1_3gpuE7ELNS1_3repE0EEENS1_30default_config_static_selectorELNS0_4arch9wavefront6targetE1EEEvS17_,"axG",@progbits,_ZN7rocprim17ROCPRIM_400000_NS6detail17trampoline_kernelINS0_14default_configENS1_22reduce_config_selectorIN6thrust23THRUST_200600_302600_NS5tupleIblNS6_9null_typeES8_S8_S8_S8_S8_S8_S8_EEEEZNS1_11reduce_implILb1ES3_NS6_12zip_iteratorINS7_INS6_11hip_rocprim26transform_input_iterator_tIbPsNS6_6detail10functional5actorINSH_9compositeIJNSH_27transparent_binary_operatorINS6_8equal_toIvEEEENSI_INSH_8argumentILj0EEEEENSH_5valueIsEEEEEEEEENSD_19counting_iterator_tIlEES8_S8_S8_S8_S8_S8_S8_S8_EEEEPS9_S9_NSD_9__find_if7functorIS9_EEEE10hipError_tPvRmT1_T2_T3_mT4_P12ihipStream_tbEUlT_E1_NS1_11comp_targetILNS1_3genE3ELNS1_11target_archE908ELNS1_3gpuE7ELNS1_3repE0EEENS1_30default_config_static_selectorELNS0_4arch9wavefront6targetE1EEEvS17_,comdat
.Lfunc_end1518:
	.size	_ZN7rocprim17ROCPRIM_400000_NS6detail17trampoline_kernelINS0_14default_configENS1_22reduce_config_selectorIN6thrust23THRUST_200600_302600_NS5tupleIblNS6_9null_typeES8_S8_S8_S8_S8_S8_S8_EEEEZNS1_11reduce_implILb1ES3_NS6_12zip_iteratorINS7_INS6_11hip_rocprim26transform_input_iterator_tIbPsNS6_6detail10functional5actorINSH_9compositeIJNSH_27transparent_binary_operatorINS6_8equal_toIvEEEENSI_INSH_8argumentILj0EEEEENSH_5valueIsEEEEEEEEENSD_19counting_iterator_tIlEES8_S8_S8_S8_S8_S8_S8_S8_EEEEPS9_S9_NSD_9__find_if7functorIS9_EEEE10hipError_tPvRmT1_T2_T3_mT4_P12ihipStream_tbEUlT_E1_NS1_11comp_targetILNS1_3genE3ELNS1_11target_archE908ELNS1_3gpuE7ELNS1_3repE0EEENS1_30default_config_static_selectorELNS0_4arch9wavefront6targetE1EEEvS17_, .Lfunc_end1518-_ZN7rocprim17ROCPRIM_400000_NS6detail17trampoline_kernelINS0_14default_configENS1_22reduce_config_selectorIN6thrust23THRUST_200600_302600_NS5tupleIblNS6_9null_typeES8_S8_S8_S8_S8_S8_S8_EEEEZNS1_11reduce_implILb1ES3_NS6_12zip_iteratorINS7_INS6_11hip_rocprim26transform_input_iterator_tIbPsNS6_6detail10functional5actorINSH_9compositeIJNSH_27transparent_binary_operatorINS6_8equal_toIvEEEENSI_INSH_8argumentILj0EEEEENSH_5valueIsEEEEEEEEENSD_19counting_iterator_tIlEES8_S8_S8_S8_S8_S8_S8_S8_EEEEPS9_S9_NSD_9__find_if7functorIS9_EEEE10hipError_tPvRmT1_T2_T3_mT4_P12ihipStream_tbEUlT_E1_NS1_11comp_targetILNS1_3genE3ELNS1_11target_archE908ELNS1_3gpuE7ELNS1_3repE0EEENS1_30default_config_static_selectorELNS0_4arch9wavefront6targetE1EEEvS17_
                                        ; -- End function
	.section	.AMDGPU.csdata,"",@progbits
; Kernel info:
; codeLenInByte = 0
; NumSgprs: 4
; NumVgprs: 0
; NumAgprs: 0
; TotalNumVgprs: 0
; ScratchSize: 0
; MemoryBound: 0
; FloatMode: 240
; IeeeMode: 1
; LDSByteSize: 0 bytes/workgroup (compile time only)
; SGPRBlocks: 0
; VGPRBlocks: 0
; NumSGPRsForWavesPerEU: 4
; NumVGPRsForWavesPerEU: 1
; AccumOffset: 4
; Occupancy: 8
; WaveLimiterHint : 0
; COMPUTE_PGM_RSRC2:SCRATCH_EN: 0
; COMPUTE_PGM_RSRC2:USER_SGPR: 6
; COMPUTE_PGM_RSRC2:TRAP_HANDLER: 0
; COMPUTE_PGM_RSRC2:TGID_X_EN: 1
; COMPUTE_PGM_RSRC2:TGID_Y_EN: 0
; COMPUTE_PGM_RSRC2:TGID_Z_EN: 0
; COMPUTE_PGM_RSRC2:TIDIG_COMP_CNT: 0
; COMPUTE_PGM_RSRC3_GFX90A:ACCUM_OFFSET: 0
; COMPUTE_PGM_RSRC3_GFX90A:TG_SPLIT: 0
	.section	.text._ZN7rocprim17ROCPRIM_400000_NS6detail17trampoline_kernelINS0_14default_configENS1_22reduce_config_selectorIN6thrust23THRUST_200600_302600_NS5tupleIblNS6_9null_typeES8_S8_S8_S8_S8_S8_S8_EEEEZNS1_11reduce_implILb1ES3_NS6_12zip_iteratorINS7_INS6_11hip_rocprim26transform_input_iterator_tIbPsNS6_6detail10functional5actorINSH_9compositeIJNSH_27transparent_binary_operatorINS6_8equal_toIvEEEENSI_INSH_8argumentILj0EEEEENSH_5valueIsEEEEEEEEENSD_19counting_iterator_tIlEES8_S8_S8_S8_S8_S8_S8_S8_EEEEPS9_S9_NSD_9__find_if7functorIS9_EEEE10hipError_tPvRmT1_T2_T3_mT4_P12ihipStream_tbEUlT_E1_NS1_11comp_targetILNS1_3genE2ELNS1_11target_archE906ELNS1_3gpuE6ELNS1_3repE0EEENS1_30default_config_static_selectorELNS0_4arch9wavefront6targetE1EEEvS17_,"axG",@progbits,_ZN7rocprim17ROCPRIM_400000_NS6detail17trampoline_kernelINS0_14default_configENS1_22reduce_config_selectorIN6thrust23THRUST_200600_302600_NS5tupleIblNS6_9null_typeES8_S8_S8_S8_S8_S8_S8_EEEEZNS1_11reduce_implILb1ES3_NS6_12zip_iteratorINS7_INS6_11hip_rocprim26transform_input_iterator_tIbPsNS6_6detail10functional5actorINSH_9compositeIJNSH_27transparent_binary_operatorINS6_8equal_toIvEEEENSI_INSH_8argumentILj0EEEEENSH_5valueIsEEEEEEEEENSD_19counting_iterator_tIlEES8_S8_S8_S8_S8_S8_S8_S8_EEEEPS9_S9_NSD_9__find_if7functorIS9_EEEE10hipError_tPvRmT1_T2_T3_mT4_P12ihipStream_tbEUlT_E1_NS1_11comp_targetILNS1_3genE2ELNS1_11target_archE906ELNS1_3gpuE6ELNS1_3repE0EEENS1_30default_config_static_selectorELNS0_4arch9wavefront6targetE1EEEvS17_,comdat
	.protected	_ZN7rocprim17ROCPRIM_400000_NS6detail17trampoline_kernelINS0_14default_configENS1_22reduce_config_selectorIN6thrust23THRUST_200600_302600_NS5tupleIblNS6_9null_typeES8_S8_S8_S8_S8_S8_S8_EEEEZNS1_11reduce_implILb1ES3_NS6_12zip_iteratorINS7_INS6_11hip_rocprim26transform_input_iterator_tIbPsNS6_6detail10functional5actorINSH_9compositeIJNSH_27transparent_binary_operatorINS6_8equal_toIvEEEENSI_INSH_8argumentILj0EEEEENSH_5valueIsEEEEEEEEENSD_19counting_iterator_tIlEES8_S8_S8_S8_S8_S8_S8_S8_EEEEPS9_S9_NSD_9__find_if7functorIS9_EEEE10hipError_tPvRmT1_T2_T3_mT4_P12ihipStream_tbEUlT_E1_NS1_11comp_targetILNS1_3genE2ELNS1_11target_archE906ELNS1_3gpuE6ELNS1_3repE0EEENS1_30default_config_static_selectorELNS0_4arch9wavefront6targetE1EEEvS17_ ; -- Begin function _ZN7rocprim17ROCPRIM_400000_NS6detail17trampoline_kernelINS0_14default_configENS1_22reduce_config_selectorIN6thrust23THRUST_200600_302600_NS5tupleIblNS6_9null_typeES8_S8_S8_S8_S8_S8_S8_EEEEZNS1_11reduce_implILb1ES3_NS6_12zip_iteratorINS7_INS6_11hip_rocprim26transform_input_iterator_tIbPsNS6_6detail10functional5actorINSH_9compositeIJNSH_27transparent_binary_operatorINS6_8equal_toIvEEEENSI_INSH_8argumentILj0EEEEENSH_5valueIsEEEEEEEEENSD_19counting_iterator_tIlEES8_S8_S8_S8_S8_S8_S8_S8_EEEEPS9_S9_NSD_9__find_if7functorIS9_EEEE10hipError_tPvRmT1_T2_T3_mT4_P12ihipStream_tbEUlT_E1_NS1_11comp_targetILNS1_3genE2ELNS1_11target_archE906ELNS1_3gpuE6ELNS1_3repE0EEENS1_30default_config_static_selectorELNS0_4arch9wavefront6targetE1EEEvS17_
	.globl	_ZN7rocprim17ROCPRIM_400000_NS6detail17trampoline_kernelINS0_14default_configENS1_22reduce_config_selectorIN6thrust23THRUST_200600_302600_NS5tupleIblNS6_9null_typeES8_S8_S8_S8_S8_S8_S8_EEEEZNS1_11reduce_implILb1ES3_NS6_12zip_iteratorINS7_INS6_11hip_rocprim26transform_input_iterator_tIbPsNS6_6detail10functional5actorINSH_9compositeIJNSH_27transparent_binary_operatorINS6_8equal_toIvEEEENSI_INSH_8argumentILj0EEEEENSH_5valueIsEEEEEEEEENSD_19counting_iterator_tIlEES8_S8_S8_S8_S8_S8_S8_S8_EEEEPS9_S9_NSD_9__find_if7functorIS9_EEEE10hipError_tPvRmT1_T2_T3_mT4_P12ihipStream_tbEUlT_E1_NS1_11comp_targetILNS1_3genE2ELNS1_11target_archE906ELNS1_3gpuE6ELNS1_3repE0EEENS1_30default_config_static_selectorELNS0_4arch9wavefront6targetE1EEEvS17_
	.p2align	8
	.type	_ZN7rocprim17ROCPRIM_400000_NS6detail17trampoline_kernelINS0_14default_configENS1_22reduce_config_selectorIN6thrust23THRUST_200600_302600_NS5tupleIblNS6_9null_typeES8_S8_S8_S8_S8_S8_S8_EEEEZNS1_11reduce_implILb1ES3_NS6_12zip_iteratorINS7_INS6_11hip_rocprim26transform_input_iterator_tIbPsNS6_6detail10functional5actorINSH_9compositeIJNSH_27transparent_binary_operatorINS6_8equal_toIvEEEENSI_INSH_8argumentILj0EEEEENSH_5valueIsEEEEEEEEENSD_19counting_iterator_tIlEES8_S8_S8_S8_S8_S8_S8_S8_EEEEPS9_S9_NSD_9__find_if7functorIS9_EEEE10hipError_tPvRmT1_T2_T3_mT4_P12ihipStream_tbEUlT_E1_NS1_11comp_targetILNS1_3genE2ELNS1_11target_archE906ELNS1_3gpuE6ELNS1_3repE0EEENS1_30default_config_static_selectorELNS0_4arch9wavefront6targetE1EEEvS17_,@function
_ZN7rocprim17ROCPRIM_400000_NS6detail17trampoline_kernelINS0_14default_configENS1_22reduce_config_selectorIN6thrust23THRUST_200600_302600_NS5tupleIblNS6_9null_typeES8_S8_S8_S8_S8_S8_S8_EEEEZNS1_11reduce_implILb1ES3_NS6_12zip_iteratorINS7_INS6_11hip_rocprim26transform_input_iterator_tIbPsNS6_6detail10functional5actorINSH_9compositeIJNSH_27transparent_binary_operatorINS6_8equal_toIvEEEENSI_INSH_8argumentILj0EEEEENSH_5valueIsEEEEEEEEENSD_19counting_iterator_tIlEES8_S8_S8_S8_S8_S8_S8_S8_EEEEPS9_S9_NSD_9__find_if7functorIS9_EEEE10hipError_tPvRmT1_T2_T3_mT4_P12ihipStream_tbEUlT_E1_NS1_11comp_targetILNS1_3genE2ELNS1_11target_archE906ELNS1_3gpuE6ELNS1_3repE0EEENS1_30default_config_static_selectorELNS0_4arch9wavefront6targetE1EEEvS17_: ; @_ZN7rocprim17ROCPRIM_400000_NS6detail17trampoline_kernelINS0_14default_configENS1_22reduce_config_selectorIN6thrust23THRUST_200600_302600_NS5tupleIblNS6_9null_typeES8_S8_S8_S8_S8_S8_S8_EEEEZNS1_11reduce_implILb1ES3_NS6_12zip_iteratorINS7_INS6_11hip_rocprim26transform_input_iterator_tIbPsNS6_6detail10functional5actorINSH_9compositeIJNSH_27transparent_binary_operatorINS6_8equal_toIvEEEENSI_INSH_8argumentILj0EEEEENSH_5valueIsEEEEEEEEENSD_19counting_iterator_tIlEES8_S8_S8_S8_S8_S8_S8_S8_EEEEPS9_S9_NSD_9__find_if7functorIS9_EEEE10hipError_tPvRmT1_T2_T3_mT4_P12ihipStream_tbEUlT_E1_NS1_11comp_targetILNS1_3genE2ELNS1_11target_archE906ELNS1_3gpuE6ELNS1_3repE0EEENS1_30default_config_static_selectorELNS0_4arch9wavefront6targetE1EEEvS17_
; %bb.0:
	.section	.rodata,"a",@progbits
	.p2align	6, 0x0
	.amdhsa_kernel _ZN7rocprim17ROCPRIM_400000_NS6detail17trampoline_kernelINS0_14default_configENS1_22reduce_config_selectorIN6thrust23THRUST_200600_302600_NS5tupleIblNS6_9null_typeES8_S8_S8_S8_S8_S8_S8_EEEEZNS1_11reduce_implILb1ES3_NS6_12zip_iteratorINS7_INS6_11hip_rocprim26transform_input_iterator_tIbPsNS6_6detail10functional5actorINSH_9compositeIJNSH_27transparent_binary_operatorINS6_8equal_toIvEEEENSI_INSH_8argumentILj0EEEEENSH_5valueIsEEEEEEEEENSD_19counting_iterator_tIlEES8_S8_S8_S8_S8_S8_S8_S8_EEEEPS9_S9_NSD_9__find_if7functorIS9_EEEE10hipError_tPvRmT1_T2_T3_mT4_P12ihipStream_tbEUlT_E1_NS1_11comp_targetILNS1_3genE2ELNS1_11target_archE906ELNS1_3gpuE6ELNS1_3repE0EEENS1_30default_config_static_selectorELNS0_4arch9wavefront6targetE1EEEvS17_
		.amdhsa_group_segment_fixed_size 0
		.amdhsa_private_segment_fixed_size 0
		.amdhsa_kernarg_size 72
		.amdhsa_user_sgpr_count 6
		.amdhsa_user_sgpr_private_segment_buffer 1
		.amdhsa_user_sgpr_dispatch_ptr 0
		.amdhsa_user_sgpr_queue_ptr 0
		.amdhsa_user_sgpr_kernarg_segment_ptr 1
		.amdhsa_user_sgpr_dispatch_id 0
		.amdhsa_user_sgpr_flat_scratch_init 0
		.amdhsa_user_sgpr_kernarg_preload_length 0
		.amdhsa_user_sgpr_kernarg_preload_offset 0
		.amdhsa_user_sgpr_private_segment_size 0
		.amdhsa_uses_dynamic_stack 0
		.amdhsa_system_sgpr_private_segment_wavefront_offset 0
		.amdhsa_system_sgpr_workgroup_id_x 1
		.amdhsa_system_sgpr_workgroup_id_y 0
		.amdhsa_system_sgpr_workgroup_id_z 0
		.amdhsa_system_sgpr_workgroup_info 0
		.amdhsa_system_vgpr_workitem_id 0
		.amdhsa_next_free_vgpr 1
		.amdhsa_next_free_sgpr 0
		.amdhsa_accum_offset 4
		.amdhsa_reserve_vcc 0
		.amdhsa_reserve_flat_scratch 0
		.amdhsa_float_round_mode_32 0
		.amdhsa_float_round_mode_16_64 0
		.amdhsa_float_denorm_mode_32 3
		.amdhsa_float_denorm_mode_16_64 3
		.amdhsa_dx10_clamp 1
		.amdhsa_ieee_mode 1
		.amdhsa_fp16_overflow 0
		.amdhsa_tg_split 0
		.amdhsa_exception_fp_ieee_invalid_op 0
		.amdhsa_exception_fp_denorm_src 0
		.amdhsa_exception_fp_ieee_div_zero 0
		.amdhsa_exception_fp_ieee_overflow 0
		.amdhsa_exception_fp_ieee_underflow 0
		.amdhsa_exception_fp_ieee_inexact 0
		.amdhsa_exception_int_div_zero 0
	.end_amdhsa_kernel
	.section	.text._ZN7rocprim17ROCPRIM_400000_NS6detail17trampoline_kernelINS0_14default_configENS1_22reduce_config_selectorIN6thrust23THRUST_200600_302600_NS5tupleIblNS6_9null_typeES8_S8_S8_S8_S8_S8_S8_EEEEZNS1_11reduce_implILb1ES3_NS6_12zip_iteratorINS7_INS6_11hip_rocprim26transform_input_iterator_tIbPsNS6_6detail10functional5actorINSH_9compositeIJNSH_27transparent_binary_operatorINS6_8equal_toIvEEEENSI_INSH_8argumentILj0EEEEENSH_5valueIsEEEEEEEEENSD_19counting_iterator_tIlEES8_S8_S8_S8_S8_S8_S8_S8_EEEEPS9_S9_NSD_9__find_if7functorIS9_EEEE10hipError_tPvRmT1_T2_T3_mT4_P12ihipStream_tbEUlT_E1_NS1_11comp_targetILNS1_3genE2ELNS1_11target_archE906ELNS1_3gpuE6ELNS1_3repE0EEENS1_30default_config_static_selectorELNS0_4arch9wavefront6targetE1EEEvS17_,"axG",@progbits,_ZN7rocprim17ROCPRIM_400000_NS6detail17trampoline_kernelINS0_14default_configENS1_22reduce_config_selectorIN6thrust23THRUST_200600_302600_NS5tupleIblNS6_9null_typeES8_S8_S8_S8_S8_S8_S8_EEEEZNS1_11reduce_implILb1ES3_NS6_12zip_iteratorINS7_INS6_11hip_rocprim26transform_input_iterator_tIbPsNS6_6detail10functional5actorINSH_9compositeIJNSH_27transparent_binary_operatorINS6_8equal_toIvEEEENSI_INSH_8argumentILj0EEEEENSH_5valueIsEEEEEEEEENSD_19counting_iterator_tIlEES8_S8_S8_S8_S8_S8_S8_S8_EEEEPS9_S9_NSD_9__find_if7functorIS9_EEEE10hipError_tPvRmT1_T2_T3_mT4_P12ihipStream_tbEUlT_E1_NS1_11comp_targetILNS1_3genE2ELNS1_11target_archE906ELNS1_3gpuE6ELNS1_3repE0EEENS1_30default_config_static_selectorELNS0_4arch9wavefront6targetE1EEEvS17_,comdat
.Lfunc_end1519:
	.size	_ZN7rocprim17ROCPRIM_400000_NS6detail17trampoline_kernelINS0_14default_configENS1_22reduce_config_selectorIN6thrust23THRUST_200600_302600_NS5tupleIblNS6_9null_typeES8_S8_S8_S8_S8_S8_S8_EEEEZNS1_11reduce_implILb1ES3_NS6_12zip_iteratorINS7_INS6_11hip_rocprim26transform_input_iterator_tIbPsNS6_6detail10functional5actorINSH_9compositeIJNSH_27transparent_binary_operatorINS6_8equal_toIvEEEENSI_INSH_8argumentILj0EEEEENSH_5valueIsEEEEEEEEENSD_19counting_iterator_tIlEES8_S8_S8_S8_S8_S8_S8_S8_EEEEPS9_S9_NSD_9__find_if7functorIS9_EEEE10hipError_tPvRmT1_T2_T3_mT4_P12ihipStream_tbEUlT_E1_NS1_11comp_targetILNS1_3genE2ELNS1_11target_archE906ELNS1_3gpuE6ELNS1_3repE0EEENS1_30default_config_static_selectorELNS0_4arch9wavefront6targetE1EEEvS17_, .Lfunc_end1519-_ZN7rocprim17ROCPRIM_400000_NS6detail17trampoline_kernelINS0_14default_configENS1_22reduce_config_selectorIN6thrust23THRUST_200600_302600_NS5tupleIblNS6_9null_typeES8_S8_S8_S8_S8_S8_S8_EEEEZNS1_11reduce_implILb1ES3_NS6_12zip_iteratorINS7_INS6_11hip_rocprim26transform_input_iterator_tIbPsNS6_6detail10functional5actorINSH_9compositeIJNSH_27transparent_binary_operatorINS6_8equal_toIvEEEENSI_INSH_8argumentILj0EEEEENSH_5valueIsEEEEEEEEENSD_19counting_iterator_tIlEES8_S8_S8_S8_S8_S8_S8_S8_EEEEPS9_S9_NSD_9__find_if7functorIS9_EEEE10hipError_tPvRmT1_T2_T3_mT4_P12ihipStream_tbEUlT_E1_NS1_11comp_targetILNS1_3genE2ELNS1_11target_archE906ELNS1_3gpuE6ELNS1_3repE0EEENS1_30default_config_static_selectorELNS0_4arch9wavefront6targetE1EEEvS17_
                                        ; -- End function
	.section	.AMDGPU.csdata,"",@progbits
; Kernel info:
; codeLenInByte = 0
; NumSgprs: 4
; NumVgprs: 0
; NumAgprs: 0
; TotalNumVgprs: 0
; ScratchSize: 0
; MemoryBound: 0
; FloatMode: 240
; IeeeMode: 1
; LDSByteSize: 0 bytes/workgroup (compile time only)
; SGPRBlocks: 0
; VGPRBlocks: 0
; NumSGPRsForWavesPerEU: 4
; NumVGPRsForWavesPerEU: 1
; AccumOffset: 4
; Occupancy: 8
; WaveLimiterHint : 0
; COMPUTE_PGM_RSRC2:SCRATCH_EN: 0
; COMPUTE_PGM_RSRC2:USER_SGPR: 6
; COMPUTE_PGM_RSRC2:TRAP_HANDLER: 0
; COMPUTE_PGM_RSRC2:TGID_X_EN: 1
; COMPUTE_PGM_RSRC2:TGID_Y_EN: 0
; COMPUTE_PGM_RSRC2:TGID_Z_EN: 0
; COMPUTE_PGM_RSRC2:TIDIG_COMP_CNT: 0
; COMPUTE_PGM_RSRC3_GFX90A:ACCUM_OFFSET: 0
; COMPUTE_PGM_RSRC3_GFX90A:TG_SPLIT: 0
	.section	.text._ZN7rocprim17ROCPRIM_400000_NS6detail17trampoline_kernelINS0_14default_configENS1_22reduce_config_selectorIN6thrust23THRUST_200600_302600_NS5tupleIblNS6_9null_typeES8_S8_S8_S8_S8_S8_S8_EEEEZNS1_11reduce_implILb1ES3_NS6_12zip_iteratorINS7_INS6_11hip_rocprim26transform_input_iterator_tIbPsNS6_6detail10functional5actorINSH_9compositeIJNSH_27transparent_binary_operatorINS6_8equal_toIvEEEENSI_INSH_8argumentILj0EEEEENSH_5valueIsEEEEEEEEENSD_19counting_iterator_tIlEES8_S8_S8_S8_S8_S8_S8_S8_EEEEPS9_S9_NSD_9__find_if7functorIS9_EEEE10hipError_tPvRmT1_T2_T3_mT4_P12ihipStream_tbEUlT_E1_NS1_11comp_targetILNS1_3genE10ELNS1_11target_archE1201ELNS1_3gpuE5ELNS1_3repE0EEENS1_30default_config_static_selectorELNS0_4arch9wavefront6targetE1EEEvS17_,"axG",@progbits,_ZN7rocprim17ROCPRIM_400000_NS6detail17trampoline_kernelINS0_14default_configENS1_22reduce_config_selectorIN6thrust23THRUST_200600_302600_NS5tupleIblNS6_9null_typeES8_S8_S8_S8_S8_S8_S8_EEEEZNS1_11reduce_implILb1ES3_NS6_12zip_iteratorINS7_INS6_11hip_rocprim26transform_input_iterator_tIbPsNS6_6detail10functional5actorINSH_9compositeIJNSH_27transparent_binary_operatorINS6_8equal_toIvEEEENSI_INSH_8argumentILj0EEEEENSH_5valueIsEEEEEEEEENSD_19counting_iterator_tIlEES8_S8_S8_S8_S8_S8_S8_S8_EEEEPS9_S9_NSD_9__find_if7functorIS9_EEEE10hipError_tPvRmT1_T2_T3_mT4_P12ihipStream_tbEUlT_E1_NS1_11comp_targetILNS1_3genE10ELNS1_11target_archE1201ELNS1_3gpuE5ELNS1_3repE0EEENS1_30default_config_static_selectorELNS0_4arch9wavefront6targetE1EEEvS17_,comdat
	.protected	_ZN7rocprim17ROCPRIM_400000_NS6detail17trampoline_kernelINS0_14default_configENS1_22reduce_config_selectorIN6thrust23THRUST_200600_302600_NS5tupleIblNS6_9null_typeES8_S8_S8_S8_S8_S8_S8_EEEEZNS1_11reduce_implILb1ES3_NS6_12zip_iteratorINS7_INS6_11hip_rocprim26transform_input_iterator_tIbPsNS6_6detail10functional5actorINSH_9compositeIJNSH_27transparent_binary_operatorINS6_8equal_toIvEEEENSI_INSH_8argumentILj0EEEEENSH_5valueIsEEEEEEEEENSD_19counting_iterator_tIlEES8_S8_S8_S8_S8_S8_S8_S8_EEEEPS9_S9_NSD_9__find_if7functorIS9_EEEE10hipError_tPvRmT1_T2_T3_mT4_P12ihipStream_tbEUlT_E1_NS1_11comp_targetILNS1_3genE10ELNS1_11target_archE1201ELNS1_3gpuE5ELNS1_3repE0EEENS1_30default_config_static_selectorELNS0_4arch9wavefront6targetE1EEEvS17_ ; -- Begin function _ZN7rocprim17ROCPRIM_400000_NS6detail17trampoline_kernelINS0_14default_configENS1_22reduce_config_selectorIN6thrust23THRUST_200600_302600_NS5tupleIblNS6_9null_typeES8_S8_S8_S8_S8_S8_S8_EEEEZNS1_11reduce_implILb1ES3_NS6_12zip_iteratorINS7_INS6_11hip_rocprim26transform_input_iterator_tIbPsNS6_6detail10functional5actorINSH_9compositeIJNSH_27transparent_binary_operatorINS6_8equal_toIvEEEENSI_INSH_8argumentILj0EEEEENSH_5valueIsEEEEEEEEENSD_19counting_iterator_tIlEES8_S8_S8_S8_S8_S8_S8_S8_EEEEPS9_S9_NSD_9__find_if7functorIS9_EEEE10hipError_tPvRmT1_T2_T3_mT4_P12ihipStream_tbEUlT_E1_NS1_11comp_targetILNS1_3genE10ELNS1_11target_archE1201ELNS1_3gpuE5ELNS1_3repE0EEENS1_30default_config_static_selectorELNS0_4arch9wavefront6targetE1EEEvS17_
	.globl	_ZN7rocprim17ROCPRIM_400000_NS6detail17trampoline_kernelINS0_14default_configENS1_22reduce_config_selectorIN6thrust23THRUST_200600_302600_NS5tupleIblNS6_9null_typeES8_S8_S8_S8_S8_S8_S8_EEEEZNS1_11reduce_implILb1ES3_NS6_12zip_iteratorINS7_INS6_11hip_rocprim26transform_input_iterator_tIbPsNS6_6detail10functional5actorINSH_9compositeIJNSH_27transparent_binary_operatorINS6_8equal_toIvEEEENSI_INSH_8argumentILj0EEEEENSH_5valueIsEEEEEEEEENSD_19counting_iterator_tIlEES8_S8_S8_S8_S8_S8_S8_S8_EEEEPS9_S9_NSD_9__find_if7functorIS9_EEEE10hipError_tPvRmT1_T2_T3_mT4_P12ihipStream_tbEUlT_E1_NS1_11comp_targetILNS1_3genE10ELNS1_11target_archE1201ELNS1_3gpuE5ELNS1_3repE0EEENS1_30default_config_static_selectorELNS0_4arch9wavefront6targetE1EEEvS17_
	.p2align	8
	.type	_ZN7rocprim17ROCPRIM_400000_NS6detail17trampoline_kernelINS0_14default_configENS1_22reduce_config_selectorIN6thrust23THRUST_200600_302600_NS5tupleIblNS6_9null_typeES8_S8_S8_S8_S8_S8_S8_EEEEZNS1_11reduce_implILb1ES3_NS6_12zip_iteratorINS7_INS6_11hip_rocprim26transform_input_iterator_tIbPsNS6_6detail10functional5actorINSH_9compositeIJNSH_27transparent_binary_operatorINS6_8equal_toIvEEEENSI_INSH_8argumentILj0EEEEENSH_5valueIsEEEEEEEEENSD_19counting_iterator_tIlEES8_S8_S8_S8_S8_S8_S8_S8_EEEEPS9_S9_NSD_9__find_if7functorIS9_EEEE10hipError_tPvRmT1_T2_T3_mT4_P12ihipStream_tbEUlT_E1_NS1_11comp_targetILNS1_3genE10ELNS1_11target_archE1201ELNS1_3gpuE5ELNS1_3repE0EEENS1_30default_config_static_selectorELNS0_4arch9wavefront6targetE1EEEvS17_,@function
_ZN7rocprim17ROCPRIM_400000_NS6detail17trampoline_kernelINS0_14default_configENS1_22reduce_config_selectorIN6thrust23THRUST_200600_302600_NS5tupleIblNS6_9null_typeES8_S8_S8_S8_S8_S8_S8_EEEEZNS1_11reduce_implILb1ES3_NS6_12zip_iteratorINS7_INS6_11hip_rocprim26transform_input_iterator_tIbPsNS6_6detail10functional5actorINSH_9compositeIJNSH_27transparent_binary_operatorINS6_8equal_toIvEEEENSI_INSH_8argumentILj0EEEEENSH_5valueIsEEEEEEEEENSD_19counting_iterator_tIlEES8_S8_S8_S8_S8_S8_S8_S8_EEEEPS9_S9_NSD_9__find_if7functorIS9_EEEE10hipError_tPvRmT1_T2_T3_mT4_P12ihipStream_tbEUlT_E1_NS1_11comp_targetILNS1_3genE10ELNS1_11target_archE1201ELNS1_3gpuE5ELNS1_3repE0EEENS1_30default_config_static_selectorELNS0_4arch9wavefront6targetE1EEEvS17_: ; @_ZN7rocprim17ROCPRIM_400000_NS6detail17trampoline_kernelINS0_14default_configENS1_22reduce_config_selectorIN6thrust23THRUST_200600_302600_NS5tupleIblNS6_9null_typeES8_S8_S8_S8_S8_S8_S8_EEEEZNS1_11reduce_implILb1ES3_NS6_12zip_iteratorINS7_INS6_11hip_rocprim26transform_input_iterator_tIbPsNS6_6detail10functional5actorINSH_9compositeIJNSH_27transparent_binary_operatorINS6_8equal_toIvEEEENSI_INSH_8argumentILj0EEEEENSH_5valueIsEEEEEEEEENSD_19counting_iterator_tIlEES8_S8_S8_S8_S8_S8_S8_S8_EEEEPS9_S9_NSD_9__find_if7functorIS9_EEEE10hipError_tPvRmT1_T2_T3_mT4_P12ihipStream_tbEUlT_E1_NS1_11comp_targetILNS1_3genE10ELNS1_11target_archE1201ELNS1_3gpuE5ELNS1_3repE0EEENS1_30default_config_static_selectorELNS0_4arch9wavefront6targetE1EEEvS17_
; %bb.0:
	.section	.rodata,"a",@progbits
	.p2align	6, 0x0
	.amdhsa_kernel _ZN7rocprim17ROCPRIM_400000_NS6detail17trampoline_kernelINS0_14default_configENS1_22reduce_config_selectorIN6thrust23THRUST_200600_302600_NS5tupleIblNS6_9null_typeES8_S8_S8_S8_S8_S8_S8_EEEEZNS1_11reduce_implILb1ES3_NS6_12zip_iteratorINS7_INS6_11hip_rocprim26transform_input_iterator_tIbPsNS6_6detail10functional5actorINSH_9compositeIJNSH_27transparent_binary_operatorINS6_8equal_toIvEEEENSI_INSH_8argumentILj0EEEEENSH_5valueIsEEEEEEEEENSD_19counting_iterator_tIlEES8_S8_S8_S8_S8_S8_S8_S8_EEEEPS9_S9_NSD_9__find_if7functorIS9_EEEE10hipError_tPvRmT1_T2_T3_mT4_P12ihipStream_tbEUlT_E1_NS1_11comp_targetILNS1_3genE10ELNS1_11target_archE1201ELNS1_3gpuE5ELNS1_3repE0EEENS1_30default_config_static_selectorELNS0_4arch9wavefront6targetE1EEEvS17_
		.amdhsa_group_segment_fixed_size 0
		.amdhsa_private_segment_fixed_size 0
		.amdhsa_kernarg_size 72
		.amdhsa_user_sgpr_count 6
		.amdhsa_user_sgpr_private_segment_buffer 1
		.amdhsa_user_sgpr_dispatch_ptr 0
		.amdhsa_user_sgpr_queue_ptr 0
		.amdhsa_user_sgpr_kernarg_segment_ptr 1
		.amdhsa_user_sgpr_dispatch_id 0
		.amdhsa_user_sgpr_flat_scratch_init 0
		.amdhsa_user_sgpr_kernarg_preload_length 0
		.amdhsa_user_sgpr_kernarg_preload_offset 0
		.amdhsa_user_sgpr_private_segment_size 0
		.amdhsa_uses_dynamic_stack 0
		.amdhsa_system_sgpr_private_segment_wavefront_offset 0
		.amdhsa_system_sgpr_workgroup_id_x 1
		.amdhsa_system_sgpr_workgroup_id_y 0
		.amdhsa_system_sgpr_workgroup_id_z 0
		.amdhsa_system_sgpr_workgroup_info 0
		.amdhsa_system_vgpr_workitem_id 0
		.amdhsa_next_free_vgpr 1
		.amdhsa_next_free_sgpr 0
		.amdhsa_accum_offset 4
		.amdhsa_reserve_vcc 0
		.amdhsa_reserve_flat_scratch 0
		.amdhsa_float_round_mode_32 0
		.amdhsa_float_round_mode_16_64 0
		.amdhsa_float_denorm_mode_32 3
		.amdhsa_float_denorm_mode_16_64 3
		.amdhsa_dx10_clamp 1
		.amdhsa_ieee_mode 1
		.amdhsa_fp16_overflow 0
		.amdhsa_tg_split 0
		.amdhsa_exception_fp_ieee_invalid_op 0
		.amdhsa_exception_fp_denorm_src 0
		.amdhsa_exception_fp_ieee_div_zero 0
		.amdhsa_exception_fp_ieee_overflow 0
		.amdhsa_exception_fp_ieee_underflow 0
		.amdhsa_exception_fp_ieee_inexact 0
		.amdhsa_exception_int_div_zero 0
	.end_amdhsa_kernel
	.section	.text._ZN7rocprim17ROCPRIM_400000_NS6detail17trampoline_kernelINS0_14default_configENS1_22reduce_config_selectorIN6thrust23THRUST_200600_302600_NS5tupleIblNS6_9null_typeES8_S8_S8_S8_S8_S8_S8_EEEEZNS1_11reduce_implILb1ES3_NS6_12zip_iteratorINS7_INS6_11hip_rocprim26transform_input_iterator_tIbPsNS6_6detail10functional5actorINSH_9compositeIJNSH_27transparent_binary_operatorINS6_8equal_toIvEEEENSI_INSH_8argumentILj0EEEEENSH_5valueIsEEEEEEEEENSD_19counting_iterator_tIlEES8_S8_S8_S8_S8_S8_S8_S8_EEEEPS9_S9_NSD_9__find_if7functorIS9_EEEE10hipError_tPvRmT1_T2_T3_mT4_P12ihipStream_tbEUlT_E1_NS1_11comp_targetILNS1_3genE10ELNS1_11target_archE1201ELNS1_3gpuE5ELNS1_3repE0EEENS1_30default_config_static_selectorELNS0_4arch9wavefront6targetE1EEEvS17_,"axG",@progbits,_ZN7rocprim17ROCPRIM_400000_NS6detail17trampoline_kernelINS0_14default_configENS1_22reduce_config_selectorIN6thrust23THRUST_200600_302600_NS5tupleIblNS6_9null_typeES8_S8_S8_S8_S8_S8_S8_EEEEZNS1_11reduce_implILb1ES3_NS6_12zip_iteratorINS7_INS6_11hip_rocprim26transform_input_iterator_tIbPsNS6_6detail10functional5actorINSH_9compositeIJNSH_27transparent_binary_operatorINS6_8equal_toIvEEEENSI_INSH_8argumentILj0EEEEENSH_5valueIsEEEEEEEEENSD_19counting_iterator_tIlEES8_S8_S8_S8_S8_S8_S8_S8_EEEEPS9_S9_NSD_9__find_if7functorIS9_EEEE10hipError_tPvRmT1_T2_T3_mT4_P12ihipStream_tbEUlT_E1_NS1_11comp_targetILNS1_3genE10ELNS1_11target_archE1201ELNS1_3gpuE5ELNS1_3repE0EEENS1_30default_config_static_selectorELNS0_4arch9wavefront6targetE1EEEvS17_,comdat
.Lfunc_end1520:
	.size	_ZN7rocprim17ROCPRIM_400000_NS6detail17trampoline_kernelINS0_14default_configENS1_22reduce_config_selectorIN6thrust23THRUST_200600_302600_NS5tupleIblNS6_9null_typeES8_S8_S8_S8_S8_S8_S8_EEEEZNS1_11reduce_implILb1ES3_NS6_12zip_iteratorINS7_INS6_11hip_rocprim26transform_input_iterator_tIbPsNS6_6detail10functional5actorINSH_9compositeIJNSH_27transparent_binary_operatorINS6_8equal_toIvEEEENSI_INSH_8argumentILj0EEEEENSH_5valueIsEEEEEEEEENSD_19counting_iterator_tIlEES8_S8_S8_S8_S8_S8_S8_S8_EEEEPS9_S9_NSD_9__find_if7functorIS9_EEEE10hipError_tPvRmT1_T2_T3_mT4_P12ihipStream_tbEUlT_E1_NS1_11comp_targetILNS1_3genE10ELNS1_11target_archE1201ELNS1_3gpuE5ELNS1_3repE0EEENS1_30default_config_static_selectorELNS0_4arch9wavefront6targetE1EEEvS17_, .Lfunc_end1520-_ZN7rocprim17ROCPRIM_400000_NS6detail17trampoline_kernelINS0_14default_configENS1_22reduce_config_selectorIN6thrust23THRUST_200600_302600_NS5tupleIblNS6_9null_typeES8_S8_S8_S8_S8_S8_S8_EEEEZNS1_11reduce_implILb1ES3_NS6_12zip_iteratorINS7_INS6_11hip_rocprim26transform_input_iterator_tIbPsNS6_6detail10functional5actorINSH_9compositeIJNSH_27transparent_binary_operatorINS6_8equal_toIvEEEENSI_INSH_8argumentILj0EEEEENSH_5valueIsEEEEEEEEENSD_19counting_iterator_tIlEES8_S8_S8_S8_S8_S8_S8_S8_EEEEPS9_S9_NSD_9__find_if7functorIS9_EEEE10hipError_tPvRmT1_T2_T3_mT4_P12ihipStream_tbEUlT_E1_NS1_11comp_targetILNS1_3genE10ELNS1_11target_archE1201ELNS1_3gpuE5ELNS1_3repE0EEENS1_30default_config_static_selectorELNS0_4arch9wavefront6targetE1EEEvS17_
                                        ; -- End function
	.section	.AMDGPU.csdata,"",@progbits
; Kernel info:
; codeLenInByte = 0
; NumSgprs: 4
; NumVgprs: 0
; NumAgprs: 0
; TotalNumVgprs: 0
; ScratchSize: 0
; MemoryBound: 0
; FloatMode: 240
; IeeeMode: 1
; LDSByteSize: 0 bytes/workgroup (compile time only)
; SGPRBlocks: 0
; VGPRBlocks: 0
; NumSGPRsForWavesPerEU: 4
; NumVGPRsForWavesPerEU: 1
; AccumOffset: 4
; Occupancy: 8
; WaveLimiterHint : 0
; COMPUTE_PGM_RSRC2:SCRATCH_EN: 0
; COMPUTE_PGM_RSRC2:USER_SGPR: 6
; COMPUTE_PGM_RSRC2:TRAP_HANDLER: 0
; COMPUTE_PGM_RSRC2:TGID_X_EN: 1
; COMPUTE_PGM_RSRC2:TGID_Y_EN: 0
; COMPUTE_PGM_RSRC2:TGID_Z_EN: 0
; COMPUTE_PGM_RSRC2:TIDIG_COMP_CNT: 0
; COMPUTE_PGM_RSRC3_GFX90A:ACCUM_OFFSET: 0
; COMPUTE_PGM_RSRC3_GFX90A:TG_SPLIT: 0
	.section	.text._ZN7rocprim17ROCPRIM_400000_NS6detail17trampoline_kernelINS0_14default_configENS1_22reduce_config_selectorIN6thrust23THRUST_200600_302600_NS5tupleIblNS6_9null_typeES8_S8_S8_S8_S8_S8_S8_EEEEZNS1_11reduce_implILb1ES3_NS6_12zip_iteratorINS7_INS6_11hip_rocprim26transform_input_iterator_tIbPsNS6_6detail10functional5actorINSH_9compositeIJNSH_27transparent_binary_operatorINS6_8equal_toIvEEEENSI_INSH_8argumentILj0EEEEENSH_5valueIsEEEEEEEEENSD_19counting_iterator_tIlEES8_S8_S8_S8_S8_S8_S8_S8_EEEEPS9_S9_NSD_9__find_if7functorIS9_EEEE10hipError_tPvRmT1_T2_T3_mT4_P12ihipStream_tbEUlT_E1_NS1_11comp_targetILNS1_3genE10ELNS1_11target_archE1200ELNS1_3gpuE4ELNS1_3repE0EEENS1_30default_config_static_selectorELNS0_4arch9wavefront6targetE1EEEvS17_,"axG",@progbits,_ZN7rocprim17ROCPRIM_400000_NS6detail17trampoline_kernelINS0_14default_configENS1_22reduce_config_selectorIN6thrust23THRUST_200600_302600_NS5tupleIblNS6_9null_typeES8_S8_S8_S8_S8_S8_S8_EEEEZNS1_11reduce_implILb1ES3_NS6_12zip_iteratorINS7_INS6_11hip_rocprim26transform_input_iterator_tIbPsNS6_6detail10functional5actorINSH_9compositeIJNSH_27transparent_binary_operatorINS6_8equal_toIvEEEENSI_INSH_8argumentILj0EEEEENSH_5valueIsEEEEEEEEENSD_19counting_iterator_tIlEES8_S8_S8_S8_S8_S8_S8_S8_EEEEPS9_S9_NSD_9__find_if7functorIS9_EEEE10hipError_tPvRmT1_T2_T3_mT4_P12ihipStream_tbEUlT_E1_NS1_11comp_targetILNS1_3genE10ELNS1_11target_archE1200ELNS1_3gpuE4ELNS1_3repE0EEENS1_30default_config_static_selectorELNS0_4arch9wavefront6targetE1EEEvS17_,comdat
	.protected	_ZN7rocprim17ROCPRIM_400000_NS6detail17trampoline_kernelINS0_14default_configENS1_22reduce_config_selectorIN6thrust23THRUST_200600_302600_NS5tupleIblNS6_9null_typeES8_S8_S8_S8_S8_S8_S8_EEEEZNS1_11reduce_implILb1ES3_NS6_12zip_iteratorINS7_INS6_11hip_rocprim26transform_input_iterator_tIbPsNS6_6detail10functional5actorINSH_9compositeIJNSH_27transparent_binary_operatorINS6_8equal_toIvEEEENSI_INSH_8argumentILj0EEEEENSH_5valueIsEEEEEEEEENSD_19counting_iterator_tIlEES8_S8_S8_S8_S8_S8_S8_S8_EEEEPS9_S9_NSD_9__find_if7functorIS9_EEEE10hipError_tPvRmT1_T2_T3_mT4_P12ihipStream_tbEUlT_E1_NS1_11comp_targetILNS1_3genE10ELNS1_11target_archE1200ELNS1_3gpuE4ELNS1_3repE0EEENS1_30default_config_static_selectorELNS0_4arch9wavefront6targetE1EEEvS17_ ; -- Begin function _ZN7rocprim17ROCPRIM_400000_NS6detail17trampoline_kernelINS0_14default_configENS1_22reduce_config_selectorIN6thrust23THRUST_200600_302600_NS5tupleIblNS6_9null_typeES8_S8_S8_S8_S8_S8_S8_EEEEZNS1_11reduce_implILb1ES3_NS6_12zip_iteratorINS7_INS6_11hip_rocprim26transform_input_iterator_tIbPsNS6_6detail10functional5actorINSH_9compositeIJNSH_27transparent_binary_operatorINS6_8equal_toIvEEEENSI_INSH_8argumentILj0EEEEENSH_5valueIsEEEEEEEEENSD_19counting_iterator_tIlEES8_S8_S8_S8_S8_S8_S8_S8_EEEEPS9_S9_NSD_9__find_if7functorIS9_EEEE10hipError_tPvRmT1_T2_T3_mT4_P12ihipStream_tbEUlT_E1_NS1_11comp_targetILNS1_3genE10ELNS1_11target_archE1200ELNS1_3gpuE4ELNS1_3repE0EEENS1_30default_config_static_selectorELNS0_4arch9wavefront6targetE1EEEvS17_
	.globl	_ZN7rocprim17ROCPRIM_400000_NS6detail17trampoline_kernelINS0_14default_configENS1_22reduce_config_selectorIN6thrust23THRUST_200600_302600_NS5tupleIblNS6_9null_typeES8_S8_S8_S8_S8_S8_S8_EEEEZNS1_11reduce_implILb1ES3_NS6_12zip_iteratorINS7_INS6_11hip_rocprim26transform_input_iterator_tIbPsNS6_6detail10functional5actorINSH_9compositeIJNSH_27transparent_binary_operatorINS6_8equal_toIvEEEENSI_INSH_8argumentILj0EEEEENSH_5valueIsEEEEEEEEENSD_19counting_iterator_tIlEES8_S8_S8_S8_S8_S8_S8_S8_EEEEPS9_S9_NSD_9__find_if7functorIS9_EEEE10hipError_tPvRmT1_T2_T3_mT4_P12ihipStream_tbEUlT_E1_NS1_11comp_targetILNS1_3genE10ELNS1_11target_archE1200ELNS1_3gpuE4ELNS1_3repE0EEENS1_30default_config_static_selectorELNS0_4arch9wavefront6targetE1EEEvS17_
	.p2align	8
	.type	_ZN7rocprim17ROCPRIM_400000_NS6detail17trampoline_kernelINS0_14default_configENS1_22reduce_config_selectorIN6thrust23THRUST_200600_302600_NS5tupleIblNS6_9null_typeES8_S8_S8_S8_S8_S8_S8_EEEEZNS1_11reduce_implILb1ES3_NS6_12zip_iteratorINS7_INS6_11hip_rocprim26transform_input_iterator_tIbPsNS6_6detail10functional5actorINSH_9compositeIJNSH_27transparent_binary_operatorINS6_8equal_toIvEEEENSI_INSH_8argumentILj0EEEEENSH_5valueIsEEEEEEEEENSD_19counting_iterator_tIlEES8_S8_S8_S8_S8_S8_S8_S8_EEEEPS9_S9_NSD_9__find_if7functorIS9_EEEE10hipError_tPvRmT1_T2_T3_mT4_P12ihipStream_tbEUlT_E1_NS1_11comp_targetILNS1_3genE10ELNS1_11target_archE1200ELNS1_3gpuE4ELNS1_3repE0EEENS1_30default_config_static_selectorELNS0_4arch9wavefront6targetE1EEEvS17_,@function
_ZN7rocprim17ROCPRIM_400000_NS6detail17trampoline_kernelINS0_14default_configENS1_22reduce_config_selectorIN6thrust23THRUST_200600_302600_NS5tupleIblNS6_9null_typeES8_S8_S8_S8_S8_S8_S8_EEEEZNS1_11reduce_implILb1ES3_NS6_12zip_iteratorINS7_INS6_11hip_rocprim26transform_input_iterator_tIbPsNS6_6detail10functional5actorINSH_9compositeIJNSH_27transparent_binary_operatorINS6_8equal_toIvEEEENSI_INSH_8argumentILj0EEEEENSH_5valueIsEEEEEEEEENSD_19counting_iterator_tIlEES8_S8_S8_S8_S8_S8_S8_S8_EEEEPS9_S9_NSD_9__find_if7functorIS9_EEEE10hipError_tPvRmT1_T2_T3_mT4_P12ihipStream_tbEUlT_E1_NS1_11comp_targetILNS1_3genE10ELNS1_11target_archE1200ELNS1_3gpuE4ELNS1_3repE0EEENS1_30default_config_static_selectorELNS0_4arch9wavefront6targetE1EEEvS17_: ; @_ZN7rocprim17ROCPRIM_400000_NS6detail17trampoline_kernelINS0_14default_configENS1_22reduce_config_selectorIN6thrust23THRUST_200600_302600_NS5tupleIblNS6_9null_typeES8_S8_S8_S8_S8_S8_S8_EEEEZNS1_11reduce_implILb1ES3_NS6_12zip_iteratorINS7_INS6_11hip_rocprim26transform_input_iterator_tIbPsNS6_6detail10functional5actorINSH_9compositeIJNSH_27transparent_binary_operatorINS6_8equal_toIvEEEENSI_INSH_8argumentILj0EEEEENSH_5valueIsEEEEEEEEENSD_19counting_iterator_tIlEES8_S8_S8_S8_S8_S8_S8_S8_EEEEPS9_S9_NSD_9__find_if7functorIS9_EEEE10hipError_tPvRmT1_T2_T3_mT4_P12ihipStream_tbEUlT_E1_NS1_11comp_targetILNS1_3genE10ELNS1_11target_archE1200ELNS1_3gpuE4ELNS1_3repE0EEENS1_30default_config_static_selectorELNS0_4arch9wavefront6targetE1EEEvS17_
; %bb.0:
	.section	.rodata,"a",@progbits
	.p2align	6, 0x0
	.amdhsa_kernel _ZN7rocprim17ROCPRIM_400000_NS6detail17trampoline_kernelINS0_14default_configENS1_22reduce_config_selectorIN6thrust23THRUST_200600_302600_NS5tupleIblNS6_9null_typeES8_S8_S8_S8_S8_S8_S8_EEEEZNS1_11reduce_implILb1ES3_NS6_12zip_iteratorINS7_INS6_11hip_rocprim26transform_input_iterator_tIbPsNS6_6detail10functional5actorINSH_9compositeIJNSH_27transparent_binary_operatorINS6_8equal_toIvEEEENSI_INSH_8argumentILj0EEEEENSH_5valueIsEEEEEEEEENSD_19counting_iterator_tIlEES8_S8_S8_S8_S8_S8_S8_S8_EEEEPS9_S9_NSD_9__find_if7functorIS9_EEEE10hipError_tPvRmT1_T2_T3_mT4_P12ihipStream_tbEUlT_E1_NS1_11comp_targetILNS1_3genE10ELNS1_11target_archE1200ELNS1_3gpuE4ELNS1_3repE0EEENS1_30default_config_static_selectorELNS0_4arch9wavefront6targetE1EEEvS17_
		.amdhsa_group_segment_fixed_size 0
		.amdhsa_private_segment_fixed_size 0
		.amdhsa_kernarg_size 72
		.amdhsa_user_sgpr_count 6
		.amdhsa_user_sgpr_private_segment_buffer 1
		.amdhsa_user_sgpr_dispatch_ptr 0
		.amdhsa_user_sgpr_queue_ptr 0
		.amdhsa_user_sgpr_kernarg_segment_ptr 1
		.amdhsa_user_sgpr_dispatch_id 0
		.amdhsa_user_sgpr_flat_scratch_init 0
		.amdhsa_user_sgpr_kernarg_preload_length 0
		.amdhsa_user_sgpr_kernarg_preload_offset 0
		.amdhsa_user_sgpr_private_segment_size 0
		.amdhsa_uses_dynamic_stack 0
		.amdhsa_system_sgpr_private_segment_wavefront_offset 0
		.amdhsa_system_sgpr_workgroup_id_x 1
		.amdhsa_system_sgpr_workgroup_id_y 0
		.amdhsa_system_sgpr_workgroup_id_z 0
		.amdhsa_system_sgpr_workgroup_info 0
		.amdhsa_system_vgpr_workitem_id 0
		.amdhsa_next_free_vgpr 1
		.amdhsa_next_free_sgpr 0
		.amdhsa_accum_offset 4
		.amdhsa_reserve_vcc 0
		.amdhsa_reserve_flat_scratch 0
		.amdhsa_float_round_mode_32 0
		.amdhsa_float_round_mode_16_64 0
		.amdhsa_float_denorm_mode_32 3
		.amdhsa_float_denorm_mode_16_64 3
		.amdhsa_dx10_clamp 1
		.amdhsa_ieee_mode 1
		.amdhsa_fp16_overflow 0
		.amdhsa_tg_split 0
		.amdhsa_exception_fp_ieee_invalid_op 0
		.amdhsa_exception_fp_denorm_src 0
		.amdhsa_exception_fp_ieee_div_zero 0
		.amdhsa_exception_fp_ieee_overflow 0
		.amdhsa_exception_fp_ieee_underflow 0
		.amdhsa_exception_fp_ieee_inexact 0
		.amdhsa_exception_int_div_zero 0
	.end_amdhsa_kernel
	.section	.text._ZN7rocprim17ROCPRIM_400000_NS6detail17trampoline_kernelINS0_14default_configENS1_22reduce_config_selectorIN6thrust23THRUST_200600_302600_NS5tupleIblNS6_9null_typeES8_S8_S8_S8_S8_S8_S8_EEEEZNS1_11reduce_implILb1ES3_NS6_12zip_iteratorINS7_INS6_11hip_rocprim26transform_input_iterator_tIbPsNS6_6detail10functional5actorINSH_9compositeIJNSH_27transparent_binary_operatorINS6_8equal_toIvEEEENSI_INSH_8argumentILj0EEEEENSH_5valueIsEEEEEEEEENSD_19counting_iterator_tIlEES8_S8_S8_S8_S8_S8_S8_S8_EEEEPS9_S9_NSD_9__find_if7functorIS9_EEEE10hipError_tPvRmT1_T2_T3_mT4_P12ihipStream_tbEUlT_E1_NS1_11comp_targetILNS1_3genE10ELNS1_11target_archE1200ELNS1_3gpuE4ELNS1_3repE0EEENS1_30default_config_static_selectorELNS0_4arch9wavefront6targetE1EEEvS17_,"axG",@progbits,_ZN7rocprim17ROCPRIM_400000_NS6detail17trampoline_kernelINS0_14default_configENS1_22reduce_config_selectorIN6thrust23THRUST_200600_302600_NS5tupleIblNS6_9null_typeES8_S8_S8_S8_S8_S8_S8_EEEEZNS1_11reduce_implILb1ES3_NS6_12zip_iteratorINS7_INS6_11hip_rocprim26transform_input_iterator_tIbPsNS6_6detail10functional5actorINSH_9compositeIJNSH_27transparent_binary_operatorINS6_8equal_toIvEEEENSI_INSH_8argumentILj0EEEEENSH_5valueIsEEEEEEEEENSD_19counting_iterator_tIlEES8_S8_S8_S8_S8_S8_S8_S8_EEEEPS9_S9_NSD_9__find_if7functorIS9_EEEE10hipError_tPvRmT1_T2_T3_mT4_P12ihipStream_tbEUlT_E1_NS1_11comp_targetILNS1_3genE10ELNS1_11target_archE1200ELNS1_3gpuE4ELNS1_3repE0EEENS1_30default_config_static_selectorELNS0_4arch9wavefront6targetE1EEEvS17_,comdat
.Lfunc_end1521:
	.size	_ZN7rocprim17ROCPRIM_400000_NS6detail17trampoline_kernelINS0_14default_configENS1_22reduce_config_selectorIN6thrust23THRUST_200600_302600_NS5tupleIblNS6_9null_typeES8_S8_S8_S8_S8_S8_S8_EEEEZNS1_11reduce_implILb1ES3_NS6_12zip_iteratorINS7_INS6_11hip_rocprim26transform_input_iterator_tIbPsNS6_6detail10functional5actorINSH_9compositeIJNSH_27transparent_binary_operatorINS6_8equal_toIvEEEENSI_INSH_8argumentILj0EEEEENSH_5valueIsEEEEEEEEENSD_19counting_iterator_tIlEES8_S8_S8_S8_S8_S8_S8_S8_EEEEPS9_S9_NSD_9__find_if7functorIS9_EEEE10hipError_tPvRmT1_T2_T3_mT4_P12ihipStream_tbEUlT_E1_NS1_11comp_targetILNS1_3genE10ELNS1_11target_archE1200ELNS1_3gpuE4ELNS1_3repE0EEENS1_30default_config_static_selectorELNS0_4arch9wavefront6targetE1EEEvS17_, .Lfunc_end1521-_ZN7rocprim17ROCPRIM_400000_NS6detail17trampoline_kernelINS0_14default_configENS1_22reduce_config_selectorIN6thrust23THRUST_200600_302600_NS5tupleIblNS6_9null_typeES8_S8_S8_S8_S8_S8_S8_EEEEZNS1_11reduce_implILb1ES3_NS6_12zip_iteratorINS7_INS6_11hip_rocprim26transform_input_iterator_tIbPsNS6_6detail10functional5actorINSH_9compositeIJNSH_27transparent_binary_operatorINS6_8equal_toIvEEEENSI_INSH_8argumentILj0EEEEENSH_5valueIsEEEEEEEEENSD_19counting_iterator_tIlEES8_S8_S8_S8_S8_S8_S8_S8_EEEEPS9_S9_NSD_9__find_if7functorIS9_EEEE10hipError_tPvRmT1_T2_T3_mT4_P12ihipStream_tbEUlT_E1_NS1_11comp_targetILNS1_3genE10ELNS1_11target_archE1200ELNS1_3gpuE4ELNS1_3repE0EEENS1_30default_config_static_selectorELNS0_4arch9wavefront6targetE1EEEvS17_
                                        ; -- End function
	.section	.AMDGPU.csdata,"",@progbits
; Kernel info:
; codeLenInByte = 0
; NumSgprs: 4
; NumVgprs: 0
; NumAgprs: 0
; TotalNumVgprs: 0
; ScratchSize: 0
; MemoryBound: 0
; FloatMode: 240
; IeeeMode: 1
; LDSByteSize: 0 bytes/workgroup (compile time only)
; SGPRBlocks: 0
; VGPRBlocks: 0
; NumSGPRsForWavesPerEU: 4
; NumVGPRsForWavesPerEU: 1
; AccumOffset: 4
; Occupancy: 8
; WaveLimiterHint : 0
; COMPUTE_PGM_RSRC2:SCRATCH_EN: 0
; COMPUTE_PGM_RSRC2:USER_SGPR: 6
; COMPUTE_PGM_RSRC2:TRAP_HANDLER: 0
; COMPUTE_PGM_RSRC2:TGID_X_EN: 1
; COMPUTE_PGM_RSRC2:TGID_Y_EN: 0
; COMPUTE_PGM_RSRC2:TGID_Z_EN: 0
; COMPUTE_PGM_RSRC2:TIDIG_COMP_CNT: 0
; COMPUTE_PGM_RSRC3_GFX90A:ACCUM_OFFSET: 0
; COMPUTE_PGM_RSRC3_GFX90A:TG_SPLIT: 0
	.section	.text._ZN7rocprim17ROCPRIM_400000_NS6detail17trampoline_kernelINS0_14default_configENS1_22reduce_config_selectorIN6thrust23THRUST_200600_302600_NS5tupleIblNS6_9null_typeES8_S8_S8_S8_S8_S8_S8_EEEEZNS1_11reduce_implILb1ES3_NS6_12zip_iteratorINS7_INS6_11hip_rocprim26transform_input_iterator_tIbPsNS6_6detail10functional5actorINSH_9compositeIJNSH_27transparent_binary_operatorINS6_8equal_toIvEEEENSI_INSH_8argumentILj0EEEEENSH_5valueIsEEEEEEEEENSD_19counting_iterator_tIlEES8_S8_S8_S8_S8_S8_S8_S8_EEEEPS9_S9_NSD_9__find_if7functorIS9_EEEE10hipError_tPvRmT1_T2_T3_mT4_P12ihipStream_tbEUlT_E1_NS1_11comp_targetILNS1_3genE9ELNS1_11target_archE1100ELNS1_3gpuE3ELNS1_3repE0EEENS1_30default_config_static_selectorELNS0_4arch9wavefront6targetE1EEEvS17_,"axG",@progbits,_ZN7rocprim17ROCPRIM_400000_NS6detail17trampoline_kernelINS0_14default_configENS1_22reduce_config_selectorIN6thrust23THRUST_200600_302600_NS5tupleIblNS6_9null_typeES8_S8_S8_S8_S8_S8_S8_EEEEZNS1_11reduce_implILb1ES3_NS6_12zip_iteratorINS7_INS6_11hip_rocprim26transform_input_iterator_tIbPsNS6_6detail10functional5actorINSH_9compositeIJNSH_27transparent_binary_operatorINS6_8equal_toIvEEEENSI_INSH_8argumentILj0EEEEENSH_5valueIsEEEEEEEEENSD_19counting_iterator_tIlEES8_S8_S8_S8_S8_S8_S8_S8_EEEEPS9_S9_NSD_9__find_if7functorIS9_EEEE10hipError_tPvRmT1_T2_T3_mT4_P12ihipStream_tbEUlT_E1_NS1_11comp_targetILNS1_3genE9ELNS1_11target_archE1100ELNS1_3gpuE3ELNS1_3repE0EEENS1_30default_config_static_selectorELNS0_4arch9wavefront6targetE1EEEvS17_,comdat
	.protected	_ZN7rocprim17ROCPRIM_400000_NS6detail17trampoline_kernelINS0_14default_configENS1_22reduce_config_selectorIN6thrust23THRUST_200600_302600_NS5tupleIblNS6_9null_typeES8_S8_S8_S8_S8_S8_S8_EEEEZNS1_11reduce_implILb1ES3_NS6_12zip_iteratorINS7_INS6_11hip_rocprim26transform_input_iterator_tIbPsNS6_6detail10functional5actorINSH_9compositeIJNSH_27transparent_binary_operatorINS6_8equal_toIvEEEENSI_INSH_8argumentILj0EEEEENSH_5valueIsEEEEEEEEENSD_19counting_iterator_tIlEES8_S8_S8_S8_S8_S8_S8_S8_EEEEPS9_S9_NSD_9__find_if7functorIS9_EEEE10hipError_tPvRmT1_T2_T3_mT4_P12ihipStream_tbEUlT_E1_NS1_11comp_targetILNS1_3genE9ELNS1_11target_archE1100ELNS1_3gpuE3ELNS1_3repE0EEENS1_30default_config_static_selectorELNS0_4arch9wavefront6targetE1EEEvS17_ ; -- Begin function _ZN7rocprim17ROCPRIM_400000_NS6detail17trampoline_kernelINS0_14default_configENS1_22reduce_config_selectorIN6thrust23THRUST_200600_302600_NS5tupleIblNS6_9null_typeES8_S8_S8_S8_S8_S8_S8_EEEEZNS1_11reduce_implILb1ES3_NS6_12zip_iteratorINS7_INS6_11hip_rocprim26transform_input_iterator_tIbPsNS6_6detail10functional5actorINSH_9compositeIJNSH_27transparent_binary_operatorINS6_8equal_toIvEEEENSI_INSH_8argumentILj0EEEEENSH_5valueIsEEEEEEEEENSD_19counting_iterator_tIlEES8_S8_S8_S8_S8_S8_S8_S8_EEEEPS9_S9_NSD_9__find_if7functorIS9_EEEE10hipError_tPvRmT1_T2_T3_mT4_P12ihipStream_tbEUlT_E1_NS1_11comp_targetILNS1_3genE9ELNS1_11target_archE1100ELNS1_3gpuE3ELNS1_3repE0EEENS1_30default_config_static_selectorELNS0_4arch9wavefront6targetE1EEEvS17_
	.globl	_ZN7rocprim17ROCPRIM_400000_NS6detail17trampoline_kernelINS0_14default_configENS1_22reduce_config_selectorIN6thrust23THRUST_200600_302600_NS5tupleIblNS6_9null_typeES8_S8_S8_S8_S8_S8_S8_EEEEZNS1_11reduce_implILb1ES3_NS6_12zip_iteratorINS7_INS6_11hip_rocprim26transform_input_iterator_tIbPsNS6_6detail10functional5actorINSH_9compositeIJNSH_27transparent_binary_operatorINS6_8equal_toIvEEEENSI_INSH_8argumentILj0EEEEENSH_5valueIsEEEEEEEEENSD_19counting_iterator_tIlEES8_S8_S8_S8_S8_S8_S8_S8_EEEEPS9_S9_NSD_9__find_if7functorIS9_EEEE10hipError_tPvRmT1_T2_T3_mT4_P12ihipStream_tbEUlT_E1_NS1_11comp_targetILNS1_3genE9ELNS1_11target_archE1100ELNS1_3gpuE3ELNS1_3repE0EEENS1_30default_config_static_selectorELNS0_4arch9wavefront6targetE1EEEvS17_
	.p2align	8
	.type	_ZN7rocprim17ROCPRIM_400000_NS6detail17trampoline_kernelINS0_14default_configENS1_22reduce_config_selectorIN6thrust23THRUST_200600_302600_NS5tupleIblNS6_9null_typeES8_S8_S8_S8_S8_S8_S8_EEEEZNS1_11reduce_implILb1ES3_NS6_12zip_iteratorINS7_INS6_11hip_rocprim26transform_input_iterator_tIbPsNS6_6detail10functional5actorINSH_9compositeIJNSH_27transparent_binary_operatorINS6_8equal_toIvEEEENSI_INSH_8argumentILj0EEEEENSH_5valueIsEEEEEEEEENSD_19counting_iterator_tIlEES8_S8_S8_S8_S8_S8_S8_S8_EEEEPS9_S9_NSD_9__find_if7functorIS9_EEEE10hipError_tPvRmT1_T2_T3_mT4_P12ihipStream_tbEUlT_E1_NS1_11comp_targetILNS1_3genE9ELNS1_11target_archE1100ELNS1_3gpuE3ELNS1_3repE0EEENS1_30default_config_static_selectorELNS0_4arch9wavefront6targetE1EEEvS17_,@function
_ZN7rocprim17ROCPRIM_400000_NS6detail17trampoline_kernelINS0_14default_configENS1_22reduce_config_selectorIN6thrust23THRUST_200600_302600_NS5tupleIblNS6_9null_typeES8_S8_S8_S8_S8_S8_S8_EEEEZNS1_11reduce_implILb1ES3_NS6_12zip_iteratorINS7_INS6_11hip_rocprim26transform_input_iterator_tIbPsNS6_6detail10functional5actorINSH_9compositeIJNSH_27transparent_binary_operatorINS6_8equal_toIvEEEENSI_INSH_8argumentILj0EEEEENSH_5valueIsEEEEEEEEENSD_19counting_iterator_tIlEES8_S8_S8_S8_S8_S8_S8_S8_EEEEPS9_S9_NSD_9__find_if7functorIS9_EEEE10hipError_tPvRmT1_T2_T3_mT4_P12ihipStream_tbEUlT_E1_NS1_11comp_targetILNS1_3genE9ELNS1_11target_archE1100ELNS1_3gpuE3ELNS1_3repE0EEENS1_30default_config_static_selectorELNS0_4arch9wavefront6targetE1EEEvS17_: ; @_ZN7rocprim17ROCPRIM_400000_NS6detail17trampoline_kernelINS0_14default_configENS1_22reduce_config_selectorIN6thrust23THRUST_200600_302600_NS5tupleIblNS6_9null_typeES8_S8_S8_S8_S8_S8_S8_EEEEZNS1_11reduce_implILb1ES3_NS6_12zip_iteratorINS7_INS6_11hip_rocprim26transform_input_iterator_tIbPsNS6_6detail10functional5actorINSH_9compositeIJNSH_27transparent_binary_operatorINS6_8equal_toIvEEEENSI_INSH_8argumentILj0EEEEENSH_5valueIsEEEEEEEEENSD_19counting_iterator_tIlEES8_S8_S8_S8_S8_S8_S8_S8_EEEEPS9_S9_NSD_9__find_if7functorIS9_EEEE10hipError_tPvRmT1_T2_T3_mT4_P12ihipStream_tbEUlT_E1_NS1_11comp_targetILNS1_3genE9ELNS1_11target_archE1100ELNS1_3gpuE3ELNS1_3repE0EEENS1_30default_config_static_selectorELNS0_4arch9wavefront6targetE1EEEvS17_
; %bb.0:
	.section	.rodata,"a",@progbits
	.p2align	6, 0x0
	.amdhsa_kernel _ZN7rocprim17ROCPRIM_400000_NS6detail17trampoline_kernelINS0_14default_configENS1_22reduce_config_selectorIN6thrust23THRUST_200600_302600_NS5tupleIblNS6_9null_typeES8_S8_S8_S8_S8_S8_S8_EEEEZNS1_11reduce_implILb1ES3_NS6_12zip_iteratorINS7_INS6_11hip_rocprim26transform_input_iterator_tIbPsNS6_6detail10functional5actorINSH_9compositeIJNSH_27transparent_binary_operatorINS6_8equal_toIvEEEENSI_INSH_8argumentILj0EEEEENSH_5valueIsEEEEEEEEENSD_19counting_iterator_tIlEES8_S8_S8_S8_S8_S8_S8_S8_EEEEPS9_S9_NSD_9__find_if7functorIS9_EEEE10hipError_tPvRmT1_T2_T3_mT4_P12ihipStream_tbEUlT_E1_NS1_11comp_targetILNS1_3genE9ELNS1_11target_archE1100ELNS1_3gpuE3ELNS1_3repE0EEENS1_30default_config_static_selectorELNS0_4arch9wavefront6targetE1EEEvS17_
		.amdhsa_group_segment_fixed_size 0
		.amdhsa_private_segment_fixed_size 0
		.amdhsa_kernarg_size 72
		.amdhsa_user_sgpr_count 6
		.amdhsa_user_sgpr_private_segment_buffer 1
		.amdhsa_user_sgpr_dispatch_ptr 0
		.amdhsa_user_sgpr_queue_ptr 0
		.amdhsa_user_sgpr_kernarg_segment_ptr 1
		.amdhsa_user_sgpr_dispatch_id 0
		.amdhsa_user_sgpr_flat_scratch_init 0
		.amdhsa_user_sgpr_kernarg_preload_length 0
		.amdhsa_user_sgpr_kernarg_preload_offset 0
		.amdhsa_user_sgpr_private_segment_size 0
		.amdhsa_uses_dynamic_stack 0
		.amdhsa_system_sgpr_private_segment_wavefront_offset 0
		.amdhsa_system_sgpr_workgroup_id_x 1
		.amdhsa_system_sgpr_workgroup_id_y 0
		.amdhsa_system_sgpr_workgroup_id_z 0
		.amdhsa_system_sgpr_workgroup_info 0
		.amdhsa_system_vgpr_workitem_id 0
		.amdhsa_next_free_vgpr 1
		.amdhsa_next_free_sgpr 0
		.amdhsa_accum_offset 4
		.amdhsa_reserve_vcc 0
		.amdhsa_reserve_flat_scratch 0
		.amdhsa_float_round_mode_32 0
		.amdhsa_float_round_mode_16_64 0
		.amdhsa_float_denorm_mode_32 3
		.amdhsa_float_denorm_mode_16_64 3
		.amdhsa_dx10_clamp 1
		.amdhsa_ieee_mode 1
		.amdhsa_fp16_overflow 0
		.amdhsa_tg_split 0
		.amdhsa_exception_fp_ieee_invalid_op 0
		.amdhsa_exception_fp_denorm_src 0
		.amdhsa_exception_fp_ieee_div_zero 0
		.amdhsa_exception_fp_ieee_overflow 0
		.amdhsa_exception_fp_ieee_underflow 0
		.amdhsa_exception_fp_ieee_inexact 0
		.amdhsa_exception_int_div_zero 0
	.end_amdhsa_kernel
	.section	.text._ZN7rocprim17ROCPRIM_400000_NS6detail17trampoline_kernelINS0_14default_configENS1_22reduce_config_selectorIN6thrust23THRUST_200600_302600_NS5tupleIblNS6_9null_typeES8_S8_S8_S8_S8_S8_S8_EEEEZNS1_11reduce_implILb1ES3_NS6_12zip_iteratorINS7_INS6_11hip_rocprim26transform_input_iterator_tIbPsNS6_6detail10functional5actorINSH_9compositeIJNSH_27transparent_binary_operatorINS6_8equal_toIvEEEENSI_INSH_8argumentILj0EEEEENSH_5valueIsEEEEEEEEENSD_19counting_iterator_tIlEES8_S8_S8_S8_S8_S8_S8_S8_EEEEPS9_S9_NSD_9__find_if7functorIS9_EEEE10hipError_tPvRmT1_T2_T3_mT4_P12ihipStream_tbEUlT_E1_NS1_11comp_targetILNS1_3genE9ELNS1_11target_archE1100ELNS1_3gpuE3ELNS1_3repE0EEENS1_30default_config_static_selectorELNS0_4arch9wavefront6targetE1EEEvS17_,"axG",@progbits,_ZN7rocprim17ROCPRIM_400000_NS6detail17trampoline_kernelINS0_14default_configENS1_22reduce_config_selectorIN6thrust23THRUST_200600_302600_NS5tupleIblNS6_9null_typeES8_S8_S8_S8_S8_S8_S8_EEEEZNS1_11reduce_implILb1ES3_NS6_12zip_iteratorINS7_INS6_11hip_rocprim26transform_input_iterator_tIbPsNS6_6detail10functional5actorINSH_9compositeIJNSH_27transparent_binary_operatorINS6_8equal_toIvEEEENSI_INSH_8argumentILj0EEEEENSH_5valueIsEEEEEEEEENSD_19counting_iterator_tIlEES8_S8_S8_S8_S8_S8_S8_S8_EEEEPS9_S9_NSD_9__find_if7functorIS9_EEEE10hipError_tPvRmT1_T2_T3_mT4_P12ihipStream_tbEUlT_E1_NS1_11comp_targetILNS1_3genE9ELNS1_11target_archE1100ELNS1_3gpuE3ELNS1_3repE0EEENS1_30default_config_static_selectorELNS0_4arch9wavefront6targetE1EEEvS17_,comdat
.Lfunc_end1522:
	.size	_ZN7rocprim17ROCPRIM_400000_NS6detail17trampoline_kernelINS0_14default_configENS1_22reduce_config_selectorIN6thrust23THRUST_200600_302600_NS5tupleIblNS6_9null_typeES8_S8_S8_S8_S8_S8_S8_EEEEZNS1_11reduce_implILb1ES3_NS6_12zip_iteratorINS7_INS6_11hip_rocprim26transform_input_iterator_tIbPsNS6_6detail10functional5actorINSH_9compositeIJNSH_27transparent_binary_operatorINS6_8equal_toIvEEEENSI_INSH_8argumentILj0EEEEENSH_5valueIsEEEEEEEEENSD_19counting_iterator_tIlEES8_S8_S8_S8_S8_S8_S8_S8_EEEEPS9_S9_NSD_9__find_if7functorIS9_EEEE10hipError_tPvRmT1_T2_T3_mT4_P12ihipStream_tbEUlT_E1_NS1_11comp_targetILNS1_3genE9ELNS1_11target_archE1100ELNS1_3gpuE3ELNS1_3repE0EEENS1_30default_config_static_selectorELNS0_4arch9wavefront6targetE1EEEvS17_, .Lfunc_end1522-_ZN7rocprim17ROCPRIM_400000_NS6detail17trampoline_kernelINS0_14default_configENS1_22reduce_config_selectorIN6thrust23THRUST_200600_302600_NS5tupleIblNS6_9null_typeES8_S8_S8_S8_S8_S8_S8_EEEEZNS1_11reduce_implILb1ES3_NS6_12zip_iteratorINS7_INS6_11hip_rocprim26transform_input_iterator_tIbPsNS6_6detail10functional5actorINSH_9compositeIJNSH_27transparent_binary_operatorINS6_8equal_toIvEEEENSI_INSH_8argumentILj0EEEEENSH_5valueIsEEEEEEEEENSD_19counting_iterator_tIlEES8_S8_S8_S8_S8_S8_S8_S8_EEEEPS9_S9_NSD_9__find_if7functorIS9_EEEE10hipError_tPvRmT1_T2_T3_mT4_P12ihipStream_tbEUlT_E1_NS1_11comp_targetILNS1_3genE9ELNS1_11target_archE1100ELNS1_3gpuE3ELNS1_3repE0EEENS1_30default_config_static_selectorELNS0_4arch9wavefront6targetE1EEEvS17_
                                        ; -- End function
	.section	.AMDGPU.csdata,"",@progbits
; Kernel info:
; codeLenInByte = 0
; NumSgprs: 4
; NumVgprs: 0
; NumAgprs: 0
; TotalNumVgprs: 0
; ScratchSize: 0
; MemoryBound: 0
; FloatMode: 240
; IeeeMode: 1
; LDSByteSize: 0 bytes/workgroup (compile time only)
; SGPRBlocks: 0
; VGPRBlocks: 0
; NumSGPRsForWavesPerEU: 4
; NumVGPRsForWavesPerEU: 1
; AccumOffset: 4
; Occupancy: 8
; WaveLimiterHint : 0
; COMPUTE_PGM_RSRC2:SCRATCH_EN: 0
; COMPUTE_PGM_RSRC2:USER_SGPR: 6
; COMPUTE_PGM_RSRC2:TRAP_HANDLER: 0
; COMPUTE_PGM_RSRC2:TGID_X_EN: 1
; COMPUTE_PGM_RSRC2:TGID_Y_EN: 0
; COMPUTE_PGM_RSRC2:TGID_Z_EN: 0
; COMPUTE_PGM_RSRC2:TIDIG_COMP_CNT: 0
; COMPUTE_PGM_RSRC3_GFX90A:ACCUM_OFFSET: 0
; COMPUTE_PGM_RSRC3_GFX90A:TG_SPLIT: 0
	.section	.text._ZN7rocprim17ROCPRIM_400000_NS6detail17trampoline_kernelINS0_14default_configENS1_22reduce_config_selectorIN6thrust23THRUST_200600_302600_NS5tupleIblNS6_9null_typeES8_S8_S8_S8_S8_S8_S8_EEEEZNS1_11reduce_implILb1ES3_NS6_12zip_iteratorINS7_INS6_11hip_rocprim26transform_input_iterator_tIbPsNS6_6detail10functional5actorINSH_9compositeIJNSH_27transparent_binary_operatorINS6_8equal_toIvEEEENSI_INSH_8argumentILj0EEEEENSH_5valueIsEEEEEEEEENSD_19counting_iterator_tIlEES8_S8_S8_S8_S8_S8_S8_S8_EEEEPS9_S9_NSD_9__find_if7functorIS9_EEEE10hipError_tPvRmT1_T2_T3_mT4_P12ihipStream_tbEUlT_E1_NS1_11comp_targetILNS1_3genE8ELNS1_11target_archE1030ELNS1_3gpuE2ELNS1_3repE0EEENS1_30default_config_static_selectorELNS0_4arch9wavefront6targetE1EEEvS17_,"axG",@progbits,_ZN7rocprim17ROCPRIM_400000_NS6detail17trampoline_kernelINS0_14default_configENS1_22reduce_config_selectorIN6thrust23THRUST_200600_302600_NS5tupleIblNS6_9null_typeES8_S8_S8_S8_S8_S8_S8_EEEEZNS1_11reduce_implILb1ES3_NS6_12zip_iteratorINS7_INS6_11hip_rocprim26transform_input_iterator_tIbPsNS6_6detail10functional5actorINSH_9compositeIJNSH_27transparent_binary_operatorINS6_8equal_toIvEEEENSI_INSH_8argumentILj0EEEEENSH_5valueIsEEEEEEEEENSD_19counting_iterator_tIlEES8_S8_S8_S8_S8_S8_S8_S8_EEEEPS9_S9_NSD_9__find_if7functorIS9_EEEE10hipError_tPvRmT1_T2_T3_mT4_P12ihipStream_tbEUlT_E1_NS1_11comp_targetILNS1_3genE8ELNS1_11target_archE1030ELNS1_3gpuE2ELNS1_3repE0EEENS1_30default_config_static_selectorELNS0_4arch9wavefront6targetE1EEEvS17_,comdat
	.protected	_ZN7rocprim17ROCPRIM_400000_NS6detail17trampoline_kernelINS0_14default_configENS1_22reduce_config_selectorIN6thrust23THRUST_200600_302600_NS5tupleIblNS6_9null_typeES8_S8_S8_S8_S8_S8_S8_EEEEZNS1_11reduce_implILb1ES3_NS6_12zip_iteratorINS7_INS6_11hip_rocprim26transform_input_iterator_tIbPsNS6_6detail10functional5actorINSH_9compositeIJNSH_27transparent_binary_operatorINS6_8equal_toIvEEEENSI_INSH_8argumentILj0EEEEENSH_5valueIsEEEEEEEEENSD_19counting_iterator_tIlEES8_S8_S8_S8_S8_S8_S8_S8_EEEEPS9_S9_NSD_9__find_if7functorIS9_EEEE10hipError_tPvRmT1_T2_T3_mT4_P12ihipStream_tbEUlT_E1_NS1_11comp_targetILNS1_3genE8ELNS1_11target_archE1030ELNS1_3gpuE2ELNS1_3repE0EEENS1_30default_config_static_selectorELNS0_4arch9wavefront6targetE1EEEvS17_ ; -- Begin function _ZN7rocprim17ROCPRIM_400000_NS6detail17trampoline_kernelINS0_14default_configENS1_22reduce_config_selectorIN6thrust23THRUST_200600_302600_NS5tupleIblNS6_9null_typeES8_S8_S8_S8_S8_S8_S8_EEEEZNS1_11reduce_implILb1ES3_NS6_12zip_iteratorINS7_INS6_11hip_rocprim26transform_input_iterator_tIbPsNS6_6detail10functional5actorINSH_9compositeIJNSH_27transparent_binary_operatorINS6_8equal_toIvEEEENSI_INSH_8argumentILj0EEEEENSH_5valueIsEEEEEEEEENSD_19counting_iterator_tIlEES8_S8_S8_S8_S8_S8_S8_S8_EEEEPS9_S9_NSD_9__find_if7functorIS9_EEEE10hipError_tPvRmT1_T2_T3_mT4_P12ihipStream_tbEUlT_E1_NS1_11comp_targetILNS1_3genE8ELNS1_11target_archE1030ELNS1_3gpuE2ELNS1_3repE0EEENS1_30default_config_static_selectorELNS0_4arch9wavefront6targetE1EEEvS17_
	.globl	_ZN7rocprim17ROCPRIM_400000_NS6detail17trampoline_kernelINS0_14default_configENS1_22reduce_config_selectorIN6thrust23THRUST_200600_302600_NS5tupleIblNS6_9null_typeES8_S8_S8_S8_S8_S8_S8_EEEEZNS1_11reduce_implILb1ES3_NS6_12zip_iteratorINS7_INS6_11hip_rocprim26transform_input_iterator_tIbPsNS6_6detail10functional5actorINSH_9compositeIJNSH_27transparent_binary_operatorINS6_8equal_toIvEEEENSI_INSH_8argumentILj0EEEEENSH_5valueIsEEEEEEEEENSD_19counting_iterator_tIlEES8_S8_S8_S8_S8_S8_S8_S8_EEEEPS9_S9_NSD_9__find_if7functorIS9_EEEE10hipError_tPvRmT1_T2_T3_mT4_P12ihipStream_tbEUlT_E1_NS1_11comp_targetILNS1_3genE8ELNS1_11target_archE1030ELNS1_3gpuE2ELNS1_3repE0EEENS1_30default_config_static_selectorELNS0_4arch9wavefront6targetE1EEEvS17_
	.p2align	8
	.type	_ZN7rocprim17ROCPRIM_400000_NS6detail17trampoline_kernelINS0_14default_configENS1_22reduce_config_selectorIN6thrust23THRUST_200600_302600_NS5tupleIblNS6_9null_typeES8_S8_S8_S8_S8_S8_S8_EEEEZNS1_11reduce_implILb1ES3_NS6_12zip_iteratorINS7_INS6_11hip_rocprim26transform_input_iterator_tIbPsNS6_6detail10functional5actorINSH_9compositeIJNSH_27transparent_binary_operatorINS6_8equal_toIvEEEENSI_INSH_8argumentILj0EEEEENSH_5valueIsEEEEEEEEENSD_19counting_iterator_tIlEES8_S8_S8_S8_S8_S8_S8_S8_EEEEPS9_S9_NSD_9__find_if7functorIS9_EEEE10hipError_tPvRmT1_T2_T3_mT4_P12ihipStream_tbEUlT_E1_NS1_11comp_targetILNS1_3genE8ELNS1_11target_archE1030ELNS1_3gpuE2ELNS1_3repE0EEENS1_30default_config_static_selectorELNS0_4arch9wavefront6targetE1EEEvS17_,@function
_ZN7rocprim17ROCPRIM_400000_NS6detail17trampoline_kernelINS0_14default_configENS1_22reduce_config_selectorIN6thrust23THRUST_200600_302600_NS5tupleIblNS6_9null_typeES8_S8_S8_S8_S8_S8_S8_EEEEZNS1_11reduce_implILb1ES3_NS6_12zip_iteratorINS7_INS6_11hip_rocprim26transform_input_iterator_tIbPsNS6_6detail10functional5actorINSH_9compositeIJNSH_27transparent_binary_operatorINS6_8equal_toIvEEEENSI_INSH_8argumentILj0EEEEENSH_5valueIsEEEEEEEEENSD_19counting_iterator_tIlEES8_S8_S8_S8_S8_S8_S8_S8_EEEEPS9_S9_NSD_9__find_if7functorIS9_EEEE10hipError_tPvRmT1_T2_T3_mT4_P12ihipStream_tbEUlT_E1_NS1_11comp_targetILNS1_3genE8ELNS1_11target_archE1030ELNS1_3gpuE2ELNS1_3repE0EEENS1_30default_config_static_selectorELNS0_4arch9wavefront6targetE1EEEvS17_: ; @_ZN7rocprim17ROCPRIM_400000_NS6detail17trampoline_kernelINS0_14default_configENS1_22reduce_config_selectorIN6thrust23THRUST_200600_302600_NS5tupleIblNS6_9null_typeES8_S8_S8_S8_S8_S8_S8_EEEEZNS1_11reduce_implILb1ES3_NS6_12zip_iteratorINS7_INS6_11hip_rocprim26transform_input_iterator_tIbPsNS6_6detail10functional5actorINSH_9compositeIJNSH_27transparent_binary_operatorINS6_8equal_toIvEEEENSI_INSH_8argumentILj0EEEEENSH_5valueIsEEEEEEEEENSD_19counting_iterator_tIlEES8_S8_S8_S8_S8_S8_S8_S8_EEEEPS9_S9_NSD_9__find_if7functorIS9_EEEE10hipError_tPvRmT1_T2_T3_mT4_P12ihipStream_tbEUlT_E1_NS1_11comp_targetILNS1_3genE8ELNS1_11target_archE1030ELNS1_3gpuE2ELNS1_3repE0EEENS1_30default_config_static_selectorELNS0_4arch9wavefront6targetE1EEEvS17_
; %bb.0:
	.section	.rodata,"a",@progbits
	.p2align	6, 0x0
	.amdhsa_kernel _ZN7rocprim17ROCPRIM_400000_NS6detail17trampoline_kernelINS0_14default_configENS1_22reduce_config_selectorIN6thrust23THRUST_200600_302600_NS5tupleIblNS6_9null_typeES8_S8_S8_S8_S8_S8_S8_EEEEZNS1_11reduce_implILb1ES3_NS6_12zip_iteratorINS7_INS6_11hip_rocprim26transform_input_iterator_tIbPsNS6_6detail10functional5actorINSH_9compositeIJNSH_27transparent_binary_operatorINS6_8equal_toIvEEEENSI_INSH_8argumentILj0EEEEENSH_5valueIsEEEEEEEEENSD_19counting_iterator_tIlEES8_S8_S8_S8_S8_S8_S8_S8_EEEEPS9_S9_NSD_9__find_if7functorIS9_EEEE10hipError_tPvRmT1_T2_T3_mT4_P12ihipStream_tbEUlT_E1_NS1_11comp_targetILNS1_3genE8ELNS1_11target_archE1030ELNS1_3gpuE2ELNS1_3repE0EEENS1_30default_config_static_selectorELNS0_4arch9wavefront6targetE1EEEvS17_
		.amdhsa_group_segment_fixed_size 0
		.amdhsa_private_segment_fixed_size 0
		.amdhsa_kernarg_size 72
		.amdhsa_user_sgpr_count 6
		.amdhsa_user_sgpr_private_segment_buffer 1
		.amdhsa_user_sgpr_dispatch_ptr 0
		.amdhsa_user_sgpr_queue_ptr 0
		.amdhsa_user_sgpr_kernarg_segment_ptr 1
		.amdhsa_user_sgpr_dispatch_id 0
		.amdhsa_user_sgpr_flat_scratch_init 0
		.amdhsa_user_sgpr_kernarg_preload_length 0
		.amdhsa_user_sgpr_kernarg_preload_offset 0
		.amdhsa_user_sgpr_private_segment_size 0
		.amdhsa_uses_dynamic_stack 0
		.amdhsa_system_sgpr_private_segment_wavefront_offset 0
		.amdhsa_system_sgpr_workgroup_id_x 1
		.amdhsa_system_sgpr_workgroup_id_y 0
		.amdhsa_system_sgpr_workgroup_id_z 0
		.amdhsa_system_sgpr_workgroup_info 0
		.amdhsa_system_vgpr_workitem_id 0
		.amdhsa_next_free_vgpr 1
		.amdhsa_next_free_sgpr 0
		.amdhsa_accum_offset 4
		.amdhsa_reserve_vcc 0
		.amdhsa_reserve_flat_scratch 0
		.amdhsa_float_round_mode_32 0
		.amdhsa_float_round_mode_16_64 0
		.amdhsa_float_denorm_mode_32 3
		.amdhsa_float_denorm_mode_16_64 3
		.amdhsa_dx10_clamp 1
		.amdhsa_ieee_mode 1
		.amdhsa_fp16_overflow 0
		.amdhsa_tg_split 0
		.amdhsa_exception_fp_ieee_invalid_op 0
		.amdhsa_exception_fp_denorm_src 0
		.amdhsa_exception_fp_ieee_div_zero 0
		.amdhsa_exception_fp_ieee_overflow 0
		.amdhsa_exception_fp_ieee_underflow 0
		.amdhsa_exception_fp_ieee_inexact 0
		.amdhsa_exception_int_div_zero 0
	.end_amdhsa_kernel
	.section	.text._ZN7rocprim17ROCPRIM_400000_NS6detail17trampoline_kernelINS0_14default_configENS1_22reduce_config_selectorIN6thrust23THRUST_200600_302600_NS5tupleIblNS6_9null_typeES8_S8_S8_S8_S8_S8_S8_EEEEZNS1_11reduce_implILb1ES3_NS6_12zip_iteratorINS7_INS6_11hip_rocprim26transform_input_iterator_tIbPsNS6_6detail10functional5actorINSH_9compositeIJNSH_27transparent_binary_operatorINS6_8equal_toIvEEEENSI_INSH_8argumentILj0EEEEENSH_5valueIsEEEEEEEEENSD_19counting_iterator_tIlEES8_S8_S8_S8_S8_S8_S8_S8_EEEEPS9_S9_NSD_9__find_if7functorIS9_EEEE10hipError_tPvRmT1_T2_T3_mT4_P12ihipStream_tbEUlT_E1_NS1_11comp_targetILNS1_3genE8ELNS1_11target_archE1030ELNS1_3gpuE2ELNS1_3repE0EEENS1_30default_config_static_selectorELNS0_4arch9wavefront6targetE1EEEvS17_,"axG",@progbits,_ZN7rocprim17ROCPRIM_400000_NS6detail17trampoline_kernelINS0_14default_configENS1_22reduce_config_selectorIN6thrust23THRUST_200600_302600_NS5tupleIblNS6_9null_typeES8_S8_S8_S8_S8_S8_S8_EEEEZNS1_11reduce_implILb1ES3_NS6_12zip_iteratorINS7_INS6_11hip_rocprim26transform_input_iterator_tIbPsNS6_6detail10functional5actorINSH_9compositeIJNSH_27transparent_binary_operatorINS6_8equal_toIvEEEENSI_INSH_8argumentILj0EEEEENSH_5valueIsEEEEEEEEENSD_19counting_iterator_tIlEES8_S8_S8_S8_S8_S8_S8_S8_EEEEPS9_S9_NSD_9__find_if7functorIS9_EEEE10hipError_tPvRmT1_T2_T3_mT4_P12ihipStream_tbEUlT_E1_NS1_11comp_targetILNS1_3genE8ELNS1_11target_archE1030ELNS1_3gpuE2ELNS1_3repE0EEENS1_30default_config_static_selectorELNS0_4arch9wavefront6targetE1EEEvS17_,comdat
.Lfunc_end1523:
	.size	_ZN7rocprim17ROCPRIM_400000_NS6detail17trampoline_kernelINS0_14default_configENS1_22reduce_config_selectorIN6thrust23THRUST_200600_302600_NS5tupleIblNS6_9null_typeES8_S8_S8_S8_S8_S8_S8_EEEEZNS1_11reduce_implILb1ES3_NS6_12zip_iteratorINS7_INS6_11hip_rocprim26transform_input_iterator_tIbPsNS6_6detail10functional5actorINSH_9compositeIJNSH_27transparent_binary_operatorINS6_8equal_toIvEEEENSI_INSH_8argumentILj0EEEEENSH_5valueIsEEEEEEEEENSD_19counting_iterator_tIlEES8_S8_S8_S8_S8_S8_S8_S8_EEEEPS9_S9_NSD_9__find_if7functorIS9_EEEE10hipError_tPvRmT1_T2_T3_mT4_P12ihipStream_tbEUlT_E1_NS1_11comp_targetILNS1_3genE8ELNS1_11target_archE1030ELNS1_3gpuE2ELNS1_3repE0EEENS1_30default_config_static_selectorELNS0_4arch9wavefront6targetE1EEEvS17_, .Lfunc_end1523-_ZN7rocprim17ROCPRIM_400000_NS6detail17trampoline_kernelINS0_14default_configENS1_22reduce_config_selectorIN6thrust23THRUST_200600_302600_NS5tupleIblNS6_9null_typeES8_S8_S8_S8_S8_S8_S8_EEEEZNS1_11reduce_implILb1ES3_NS6_12zip_iteratorINS7_INS6_11hip_rocprim26transform_input_iterator_tIbPsNS6_6detail10functional5actorINSH_9compositeIJNSH_27transparent_binary_operatorINS6_8equal_toIvEEEENSI_INSH_8argumentILj0EEEEENSH_5valueIsEEEEEEEEENSD_19counting_iterator_tIlEES8_S8_S8_S8_S8_S8_S8_S8_EEEEPS9_S9_NSD_9__find_if7functorIS9_EEEE10hipError_tPvRmT1_T2_T3_mT4_P12ihipStream_tbEUlT_E1_NS1_11comp_targetILNS1_3genE8ELNS1_11target_archE1030ELNS1_3gpuE2ELNS1_3repE0EEENS1_30default_config_static_selectorELNS0_4arch9wavefront6targetE1EEEvS17_
                                        ; -- End function
	.section	.AMDGPU.csdata,"",@progbits
; Kernel info:
; codeLenInByte = 0
; NumSgprs: 4
; NumVgprs: 0
; NumAgprs: 0
; TotalNumVgprs: 0
; ScratchSize: 0
; MemoryBound: 0
; FloatMode: 240
; IeeeMode: 1
; LDSByteSize: 0 bytes/workgroup (compile time only)
; SGPRBlocks: 0
; VGPRBlocks: 0
; NumSGPRsForWavesPerEU: 4
; NumVGPRsForWavesPerEU: 1
; AccumOffset: 4
; Occupancy: 8
; WaveLimiterHint : 0
; COMPUTE_PGM_RSRC2:SCRATCH_EN: 0
; COMPUTE_PGM_RSRC2:USER_SGPR: 6
; COMPUTE_PGM_RSRC2:TRAP_HANDLER: 0
; COMPUTE_PGM_RSRC2:TGID_X_EN: 1
; COMPUTE_PGM_RSRC2:TGID_Y_EN: 0
; COMPUTE_PGM_RSRC2:TGID_Z_EN: 0
; COMPUTE_PGM_RSRC2:TIDIG_COMP_CNT: 0
; COMPUTE_PGM_RSRC3_GFX90A:ACCUM_OFFSET: 0
; COMPUTE_PGM_RSRC3_GFX90A:TG_SPLIT: 0
	.section	.text._ZN7rocprim17ROCPRIM_400000_NS6detail17trampoline_kernelINS0_13kernel_configILj256ELj4ELj4294967295EEENS1_37radix_sort_block_sort_config_selectorIdlEEZNS1_21radix_sort_block_sortIS4_Lb0EPdS8_N6thrust23THRUST_200600_302600_NS10device_ptrIlEESC_NS0_19identity_decomposerEEE10hipError_tT1_T2_T3_T4_jRjT5_jjP12ihipStream_tbEUlT_E_NS1_11comp_targetILNS1_3genE0ELNS1_11target_archE4294967295ELNS1_3gpuE0ELNS1_3repE0EEENS1_44radix_sort_block_sort_config_static_selectorELNS0_4arch9wavefront6targetE1EEEvSF_,"axG",@progbits,_ZN7rocprim17ROCPRIM_400000_NS6detail17trampoline_kernelINS0_13kernel_configILj256ELj4ELj4294967295EEENS1_37radix_sort_block_sort_config_selectorIdlEEZNS1_21radix_sort_block_sortIS4_Lb0EPdS8_N6thrust23THRUST_200600_302600_NS10device_ptrIlEESC_NS0_19identity_decomposerEEE10hipError_tT1_T2_T3_T4_jRjT5_jjP12ihipStream_tbEUlT_E_NS1_11comp_targetILNS1_3genE0ELNS1_11target_archE4294967295ELNS1_3gpuE0ELNS1_3repE0EEENS1_44radix_sort_block_sort_config_static_selectorELNS0_4arch9wavefront6targetE1EEEvSF_,comdat
	.protected	_ZN7rocprim17ROCPRIM_400000_NS6detail17trampoline_kernelINS0_13kernel_configILj256ELj4ELj4294967295EEENS1_37radix_sort_block_sort_config_selectorIdlEEZNS1_21radix_sort_block_sortIS4_Lb0EPdS8_N6thrust23THRUST_200600_302600_NS10device_ptrIlEESC_NS0_19identity_decomposerEEE10hipError_tT1_T2_T3_T4_jRjT5_jjP12ihipStream_tbEUlT_E_NS1_11comp_targetILNS1_3genE0ELNS1_11target_archE4294967295ELNS1_3gpuE0ELNS1_3repE0EEENS1_44radix_sort_block_sort_config_static_selectorELNS0_4arch9wavefront6targetE1EEEvSF_ ; -- Begin function _ZN7rocprim17ROCPRIM_400000_NS6detail17trampoline_kernelINS0_13kernel_configILj256ELj4ELj4294967295EEENS1_37radix_sort_block_sort_config_selectorIdlEEZNS1_21radix_sort_block_sortIS4_Lb0EPdS8_N6thrust23THRUST_200600_302600_NS10device_ptrIlEESC_NS0_19identity_decomposerEEE10hipError_tT1_T2_T3_T4_jRjT5_jjP12ihipStream_tbEUlT_E_NS1_11comp_targetILNS1_3genE0ELNS1_11target_archE4294967295ELNS1_3gpuE0ELNS1_3repE0EEENS1_44radix_sort_block_sort_config_static_selectorELNS0_4arch9wavefront6targetE1EEEvSF_
	.globl	_ZN7rocprim17ROCPRIM_400000_NS6detail17trampoline_kernelINS0_13kernel_configILj256ELj4ELj4294967295EEENS1_37radix_sort_block_sort_config_selectorIdlEEZNS1_21radix_sort_block_sortIS4_Lb0EPdS8_N6thrust23THRUST_200600_302600_NS10device_ptrIlEESC_NS0_19identity_decomposerEEE10hipError_tT1_T2_T3_T4_jRjT5_jjP12ihipStream_tbEUlT_E_NS1_11comp_targetILNS1_3genE0ELNS1_11target_archE4294967295ELNS1_3gpuE0ELNS1_3repE0EEENS1_44radix_sort_block_sort_config_static_selectorELNS0_4arch9wavefront6targetE1EEEvSF_
	.p2align	8
	.type	_ZN7rocprim17ROCPRIM_400000_NS6detail17trampoline_kernelINS0_13kernel_configILj256ELj4ELj4294967295EEENS1_37radix_sort_block_sort_config_selectorIdlEEZNS1_21radix_sort_block_sortIS4_Lb0EPdS8_N6thrust23THRUST_200600_302600_NS10device_ptrIlEESC_NS0_19identity_decomposerEEE10hipError_tT1_T2_T3_T4_jRjT5_jjP12ihipStream_tbEUlT_E_NS1_11comp_targetILNS1_3genE0ELNS1_11target_archE4294967295ELNS1_3gpuE0ELNS1_3repE0EEENS1_44radix_sort_block_sort_config_static_selectorELNS0_4arch9wavefront6targetE1EEEvSF_,@function
_ZN7rocprim17ROCPRIM_400000_NS6detail17trampoline_kernelINS0_13kernel_configILj256ELj4ELj4294967295EEENS1_37radix_sort_block_sort_config_selectorIdlEEZNS1_21radix_sort_block_sortIS4_Lb0EPdS8_N6thrust23THRUST_200600_302600_NS10device_ptrIlEESC_NS0_19identity_decomposerEEE10hipError_tT1_T2_T3_T4_jRjT5_jjP12ihipStream_tbEUlT_E_NS1_11comp_targetILNS1_3genE0ELNS1_11target_archE4294967295ELNS1_3gpuE0ELNS1_3repE0EEENS1_44radix_sort_block_sort_config_static_selectorELNS0_4arch9wavefront6targetE1EEEvSF_: ; @_ZN7rocprim17ROCPRIM_400000_NS6detail17trampoline_kernelINS0_13kernel_configILj256ELj4ELj4294967295EEENS1_37radix_sort_block_sort_config_selectorIdlEEZNS1_21radix_sort_block_sortIS4_Lb0EPdS8_N6thrust23THRUST_200600_302600_NS10device_ptrIlEESC_NS0_19identity_decomposerEEE10hipError_tT1_T2_T3_T4_jRjT5_jjP12ihipStream_tbEUlT_E_NS1_11comp_targetILNS1_3genE0ELNS1_11target_archE4294967295ELNS1_3gpuE0ELNS1_3repE0EEENS1_44radix_sort_block_sort_config_static_selectorELNS0_4arch9wavefront6targetE1EEEvSF_
; %bb.0:
	.section	.rodata,"a",@progbits
	.p2align	6, 0x0
	.amdhsa_kernel _ZN7rocprim17ROCPRIM_400000_NS6detail17trampoline_kernelINS0_13kernel_configILj256ELj4ELj4294967295EEENS1_37radix_sort_block_sort_config_selectorIdlEEZNS1_21radix_sort_block_sortIS4_Lb0EPdS8_N6thrust23THRUST_200600_302600_NS10device_ptrIlEESC_NS0_19identity_decomposerEEE10hipError_tT1_T2_T3_T4_jRjT5_jjP12ihipStream_tbEUlT_E_NS1_11comp_targetILNS1_3genE0ELNS1_11target_archE4294967295ELNS1_3gpuE0ELNS1_3repE0EEENS1_44radix_sort_block_sort_config_static_selectorELNS0_4arch9wavefront6targetE1EEEvSF_
		.amdhsa_group_segment_fixed_size 0
		.amdhsa_private_segment_fixed_size 0
		.amdhsa_kernarg_size 48
		.amdhsa_user_sgpr_count 6
		.amdhsa_user_sgpr_private_segment_buffer 1
		.amdhsa_user_sgpr_dispatch_ptr 0
		.amdhsa_user_sgpr_queue_ptr 0
		.amdhsa_user_sgpr_kernarg_segment_ptr 1
		.amdhsa_user_sgpr_dispatch_id 0
		.amdhsa_user_sgpr_flat_scratch_init 0
		.amdhsa_user_sgpr_kernarg_preload_length 0
		.amdhsa_user_sgpr_kernarg_preload_offset 0
		.amdhsa_user_sgpr_private_segment_size 0
		.amdhsa_uses_dynamic_stack 0
		.amdhsa_system_sgpr_private_segment_wavefront_offset 0
		.amdhsa_system_sgpr_workgroup_id_x 1
		.amdhsa_system_sgpr_workgroup_id_y 0
		.amdhsa_system_sgpr_workgroup_id_z 0
		.amdhsa_system_sgpr_workgroup_info 0
		.amdhsa_system_vgpr_workitem_id 0
		.amdhsa_next_free_vgpr 1
		.amdhsa_next_free_sgpr 0
		.amdhsa_accum_offset 4
		.amdhsa_reserve_vcc 0
		.amdhsa_reserve_flat_scratch 0
		.amdhsa_float_round_mode_32 0
		.amdhsa_float_round_mode_16_64 0
		.amdhsa_float_denorm_mode_32 3
		.amdhsa_float_denorm_mode_16_64 3
		.amdhsa_dx10_clamp 1
		.amdhsa_ieee_mode 1
		.amdhsa_fp16_overflow 0
		.amdhsa_tg_split 0
		.amdhsa_exception_fp_ieee_invalid_op 0
		.amdhsa_exception_fp_denorm_src 0
		.amdhsa_exception_fp_ieee_div_zero 0
		.amdhsa_exception_fp_ieee_overflow 0
		.amdhsa_exception_fp_ieee_underflow 0
		.amdhsa_exception_fp_ieee_inexact 0
		.amdhsa_exception_int_div_zero 0
	.end_amdhsa_kernel
	.section	.text._ZN7rocprim17ROCPRIM_400000_NS6detail17trampoline_kernelINS0_13kernel_configILj256ELj4ELj4294967295EEENS1_37radix_sort_block_sort_config_selectorIdlEEZNS1_21radix_sort_block_sortIS4_Lb0EPdS8_N6thrust23THRUST_200600_302600_NS10device_ptrIlEESC_NS0_19identity_decomposerEEE10hipError_tT1_T2_T3_T4_jRjT5_jjP12ihipStream_tbEUlT_E_NS1_11comp_targetILNS1_3genE0ELNS1_11target_archE4294967295ELNS1_3gpuE0ELNS1_3repE0EEENS1_44radix_sort_block_sort_config_static_selectorELNS0_4arch9wavefront6targetE1EEEvSF_,"axG",@progbits,_ZN7rocprim17ROCPRIM_400000_NS6detail17trampoline_kernelINS0_13kernel_configILj256ELj4ELj4294967295EEENS1_37radix_sort_block_sort_config_selectorIdlEEZNS1_21radix_sort_block_sortIS4_Lb0EPdS8_N6thrust23THRUST_200600_302600_NS10device_ptrIlEESC_NS0_19identity_decomposerEEE10hipError_tT1_T2_T3_T4_jRjT5_jjP12ihipStream_tbEUlT_E_NS1_11comp_targetILNS1_3genE0ELNS1_11target_archE4294967295ELNS1_3gpuE0ELNS1_3repE0EEENS1_44radix_sort_block_sort_config_static_selectorELNS0_4arch9wavefront6targetE1EEEvSF_,comdat
.Lfunc_end1524:
	.size	_ZN7rocprim17ROCPRIM_400000_NS6detail17trampoline_kernelINS0_13kernel_configILj256ELj4ELj4294967295EEENS1_37radix_sort_block_sort_config_selectorIdlEEZNS1_21radix_sort_block_sortIS4_Lb0EPdS8_N6thrust23THRUST_200600_302600_NS10device_ptrIlEESC_NS0_19identity_decomposerEEE10hipError_tT1_T2_T3_T4_jRjT5_jjP12ihipStream_tbEUlT_E_NS1_11comp_targetILNS1_3genE0ELNS1_11target_archE4294967295ELNS1_3gpuE0ELNS1_3repE0EEENS1_44radix_sort_block_sort_config_static_selectorELNS0_4arch9wavefront6targetE1EEEvSF_, .Lfunc_end1524-_ZN7rocprim17ROCPRIM_400000_NS6detail17trampoline_kernelINS0_13kernel_configILj256ELj4ELj4294967295EEENS1_37radix_sort_block_sort_config_selectorIdlEEZNS1_21radix_sort_block_sortIS4_Lb0EPdS8_N6thrust23THRUST_200600_302600_NS10device_ptrIlEESC_NS0_19identity_decomposerEEE10hipError_tT1_T2_T3_T4_jRjT5_jjP12ihipStream_tbEUlT_E_NS1_11comp_targetILNS1_3genE0ELNS1_11target_archE4294967295ELNS1_3gpuE0ELNS1_3repE0EEENS1_44radix_sort_block_sort_config_static_selectorELNS0_4arch9wavefront6targetE1EEEvSF_
                                        ; -- End function
	.section	.AMDGPU.csdata,"",@progbits
; Kernel info:
; codeLenInByte = 0
; NumSgprs: 4
; NumVgprs: 0
; NumAgprs: 0
; TotalNumVgprs: 0
; ScratchSize: 0
; MemoryBound: 0
; FloatMode: 240
; IeeeMode: 1
; LDSByteSize: 0 bytes/workgroup (compile time only)
; SGPRBlocks: 0
; VGPRBlocks: 0
; NumSGPRsForWavesPerEU: 4
; NumVGPRsForWavesPerEU: 1
; AccumOffset: 4
; Occupancy: 8
; WaveLimiterHint : 0
; COMPUTE_PGM_RSRC2:SCRATCH_EN: 0
; COMPUTE_PGM_RSRC2:USER_SGPR: 6
; COMPUTE_PGM_RSRC2:TRAP_HANDLER: 0
; COMPUTE_PGM_RSRC2:TGID_X_EN: 1
; COMPUTE_PGM_RSRC2:TGID_Y_EN: 0
; COMPUTE_PGM_RSRC2:TGID_Z_EN: 0
; COMPUTE_PGM_RSRC2:TIDIG_COMP_CNT: 0
; COMPUTE_PGM_RSRC3_GFX90A:ACCUM_OFFSET: 0
; COMPUTE_PGM_RSRC3_GFX90A:TG_SPLIT: 0
	.section	.text._ZN7rocprim17ROCPRIM_400000_NS6detail17trampoline_kernelINS0_13kernel_configILj256ELj4ELj4294967295EEENS1_37radix_sort_block_sort_config_selectorIdlEEZNS1_21radix_sort_block_sortIS4_Lb0EPdS8_N6thrust23THRUST_200600_302600_NS10device_ptrIlEESC_NS0_19identity_decomposerEEE10hipError_tT1_T2_T3_T4_jRjT5_jjP12ihipStream_tbEUlT_E_NS1_11comp_targetILNS1_3genE5ELNS1_11target_archE942ELNS1_3gpuE9ELNS1_3repE0EEENS1_44radix_sort_block_sort_config_static_selectorELNS0_4arch9wavefront6targetE1EEEvSF_,"axG",@progbits,_ZN7rocprim17ROCPRIM_400000_NS6detail17trampoline_kernelINS0_13kernel_configILj256ELj4ELj4294967295EEENS1_37radix_sort_block_sort_config_selectorIdlEEZNS1_21radix_sort_block_sortIS4_Lb0EPdS8_N6thrust23THRUST_200600_302600_NS10device_ptrIlEESC_NS0_19identity_decomposerEEE10hipError_tT1_T2_T3_T4_jRjT5_jjP12ihipStream_tbEUlT_E_NS1_11comp_targetILNS1_3genE5ELNS1_11target_archE942ELNS1_3gpuE9ELNS1_3repE0EEENS1_44radix_sort_block_sort_config_static_selectorELNS0_4arch9wavefront6targetE1EEEvSF_,comdat
	.protected	_ZN7rocprim17ROCPRIM_400000_NS6detail17trampoline_kernelINS0_13kernel_configILj256ELj4ELj4294967295EEENS1_37radix_sort_block_sort_config_selectorIdlEEZNS1_21radix_sort_block_sortIS4_Lb0EPdS8_N6thrust23THRUST_200600_302600_NS10device_ptrIlEESC_NS0_19identity_decomposerEEE10hipError_tT1_T2_T3_T4_jRjT5_jjP12ihipStream_tbEUlT_E_NS1_11comp_targetILNS1_3genE5ELNS1_11target_archE942ELNS1_3gpuE9ELNS1_3repE0EEENS1_44radix_sort_block_sort_config_static_selectorELNS0_4arch9wavefront6targetE1EEEvSF_ ; -- Begin function _ZN7rocprim17ROCPRIM_400000_NS6detail17trampoline_kernelINS0_13kernel_configILj256ELj4ELj4294967295EEENS1_37radix_sort_block_sort_config_selectorIdlEEZNS1_21radix_sort_block_sortIS4_Lb0EPdS8_N6thrust23THRUST_200600_302600_NS10device_ptrIlEESC_NS0_19identity_decomposerEEE10hipError_tT1_T2_T3_T4_jRjT5_jjP12ihipStream_tbEUlT_E_NS1_11comp_targetILNS1_3genE5ELNS1_11target_archE942ELNS1_3gpuE9ELNS1_3repE0EEENS1_44radix_sort_block_sort_config_static_selectorELNS0_4arch9wavefront6targetE1EEEvSF_
	.globl	_ZN7rocprim17ROCPRIM_400000_NS6detail17trampoline_kernelINS0_13kernel_configILj256ELj4ELj4294967295EEENS1_37radix_sort_block_sort_config_selectorIdlEEZNS1_21radix_sort_block_sortIS4_Lb0EPdS8_N6thrust23THRUST_200600_302600_NS10device_ptrIlEESC_NS0_19identity_decomposerEEE10hipError_tT1_T2_T3_T4_jRjT5_jjP12ihipStream_tbEUlT_E_NS1_11comp_targetILNS1_3genE5ELNS1_11target_archE942ELNS1_3gpuE9ELNS1_3repE0EEENS1_44radix_sort_block_sort_config_static_selectorELNS0_4arch9wavefront6targetE1EEEvSF_
	.p2align	8
	.type	_ZN7rocprim17ROCPRIM_400000_NS6detail17trampoline_kernelINS0_13kernel_configILj256ELj4ELj4294967295EEENS1_37radix_sort_block_sort_config_selectorIdlEEZNS1_21radix_sort_block_sortIS4_Lb0EPdS8_N6thrust23THRUST_200600_302600_NS10device_ptrIlEESC_NS0_19identity_decomposerEEE10hipError_tT1_T2_T3_T4_jRjT5_jjP12ihipStream_tbEUlT_E_NS1_11comp_targetILNS1_3genE5ELNS1_11target_archE942ELNS1_3gpuE9ELNS1_3repE0EEENS1_44radix_sort_block_sort_config_static_selectorELNS0_4arch9wavefront6targetE1EEEvSF_,@function
_ZN7rocprim17ROCPRIM_400000_NS6detail17trampoline_kernelINS0_13kernel_configILj256ELj4ELj4294967295EEENS1_37radix_sort_block_sort_config_selectorIdlEEZNS1_21radix_sort_block_sortIS4_Lb0EPdS8_N6thrust23THRUST_200600_302600_NS10device_ptrIlEESC_NS0_19identity_decomposerEEE10hipError_tT1_T2_T3_T4_jRjT5_jjP12ihipStream_tbEUlT_E_NS1_11comp_targetILNS1_3genE5ELNS1_11target_archE942ELNS1_3gpuE9ELNS1_3repE0EEENS1_44radix_sort_block_sort_config_static_selectorELNS0_4arch9wavefront6targetE1EEEvSF_: ; @_ZN7rocprim17ROCPRIM_400000_NS6detail17trampoline_kernelINS0_13kernel_configILj256ELj4ELj4294967295EEENS1_37radix_sort_block_sort_config_selectorIdlEEZNS1_21radix_sort_block_sortIS4_Lb0EPdS8_N6thrust23THRUST_200600_302600_NS10device_ptrIlEESC_NS0_19identity_decomposerEEE10hipError_tT1_T2_T3_T4_jRjT5_jjP12ihipStream_tbEUlT_E_NS1_11comp_targetILNS1_3genE5ELNS1_11target_archE942ELNS1_3gpuE9ELNS1_3repE0EEENS1_44radix_sort_block_sort_config_static_selectorELNS0_4arch9wavefront6targetE1EEEvSF_
; %bb.0:
	.section	.rodata,"a",@progbits
	.p2align	6, 0x0
	.amdhsa_kernel _ZN7rocprim17ROCPRIM_400000_NS6detail17trampoline_kernelINS0_13kernel_configILj256ELj4ELj4294967295EEENS1_37radix_sort_block_sort_config_selectorIdlEEZNS1_21radix_sort_block_sortIS4_Lb0EPdS8_N6thrust23THRUST_200600_302600_NS10device_ptrIlEESC_NS0_19identity_decomposerEEE10hipError_tT1_T2_T3_T4_jRjT5_jjP12ihipStream_tbEUlT_E_NS1_11comp_targetILNS1_3genE5ELNS1_11target_archE942ELNS1_3gpuE9ELNS1_3repE0EEENS1_44radix_sort_block_sort_config_static_selectorELNS0_4arch9wavefront6targetE1EEEvSF_
		.amdhsa_group_segment_fixed_size 0
		.amdhsa_private_segment_fixed_size 0
		.amdhsa_kernarg_size 48
		.amdhsa_user_sgpr_count 6
		.amdhsa_user_sgpr_private_segment_buffer 1
		.amdhsa_user_sgpr_dispatch_ptr 0
		.amdhsa_user_sgpr_queue_ptr 0
		.amdhsa_user_sgpr_kernarg_segment_ptr 1
		.amdhsa_user_sgpr_dispatch_id 0
		.amdhsa_user_sgpr_flat_scratch_init 0
		.amdhsa_user_sgpr_kernarg_preload_length 0
		.amdhsa_user_sgpr_kernarg_preload_offset 0
		.amdhsa_user_sgpr_private_segment_size 0
		.amdhsa_uses_dynamic_stack 0
		.amdhsa_system_sgpr_private_segment_wavefront_offset 0
		.amdhsa_system_sgpr_workgroup_id_x 1
		.amdhsa_system_sgpr_workgroup_id_y 0
		.amdhsa_system_sgpr_workgroup_id_z 0
		.amdhsa_system_sgpr_workgroup_info 0
		.amdhsa_system_vgpr_workitem_id 0
		.amdhsa_next_free_vgpr 1
		.amdhsa_next_free_sgpr 0
		.amdhsa_accum_offset 4
		.amdhsa_reserve_vcc 0
		.amdhsa_reserve_flat_scratch 0
		.amdhsa_float_round_mode_32 0
		.amdhsa_float_round_mode_16_64 0
		.amdhsa_float_denorm_mode_32 3
		.amdhsa_float_denorm_mode_16_64 3
		.amdhsa_dx10_clamp 1
		.amdhsa_ieee_mode 1
		.amdhsa_fp16_overflow 0
		.amdhsa_tg_split 0
		.amdhsa_exception_fp_ieee_invalid_op 0
		.amdhsa_exception_fp_denorm_src 0
		.amdhsa_exception_fp_ieee_div_zero 0
		.amdhsa_exception_fp_ieee_overflow 0
		.amdhsa_exception_fp_ieee_underflow 0
		.amdhsa_exception_fp_ieee_inexact 0
		.amdhsa_exception_int_div_zero 0
	.end_amdhsa_kernel
	.section	.text._ZN7rocprim17ROCPRIM_400000_NS6detail17trampoline_kernelINS0_13kernel_configILj256ELj4ELj4294967295EEENS1_37radix_sort_block_sort_config_selectorIdlEEZNS1_21radix_sort_block_sortIS4_Lb0EPdS8_N6thrust23THRUST_200600_302600_NS10device_ptrIlEESC_NS0_19identity_decomposerEEE10hipError_tT1_T2_T3_T4_jRjT5_jjP12ihipStream_tbEUlT_E_NS1_11comp_targetILNS1_3genE5ELNS1_11target_archE942ELNS1_3gpuE9ELNS1_3repE0EEENS1_44radix_sort_block_sort_config_static_selectorELNS0_4arch9wavefront6targetE1EEEvSF_,"axG",@progbits,_ZN7rocprim17ROCPRIM_400000_NS6detail17trampoline_kernelINS0_13kernel_configILj256ELj4ELj4294967295EEENS1_37radix_sort_block_sort_config_selectorIdlEEZNS1_21radix_sort_block_sortIS4_Lb0EPdS8_N6thrust23THRUST_200600_302600_NS10device_ptrIlEESC_NS0_19identity_decomposerEEE10hipError_tT1_T2_T3_T4_jRjT5_jjP12ihipStream_tbEUlT_E_NS1_11comp_targetILNS1_3genE5ELNS1_11target_archE942ELNS1_3gpuE9ELNS1_3repE0EEENS1_44radix_sort_block_sort_config_static_selectorELNS0_4arch9wavefront6targetE1EEEvSF_,comdat
.Lfunc_end1525:
	.size	_ZN7rocprim17ROCPRIM_400000_NS6detail17trampoline_kernelINS0_13kernel_configILj256ELj4ELj4294967295EEENS1_37radix_sort_block_sort_config_selectorIdlEEZNS1_21radix_sort_block_sortIS4_Lb0EPdS8_N6thrust23THRUST_200600_302600_NS10device_ptrIlEESC_NS0_19identity_decomposerEEE10hipError_tT1_T2_T3_T4_jRjT5_jjP12ihipStream_tbEUlT_E_NS1_11comp_targetILNS1_3genE5ELNS1_11target_archE942ELNS1_3gpuE9ELNS1_3repE0EEENS1_44radix_sort_block_sort_config_static_selectorELNS0_4arch9wavefront6targetE1EEEvSF_, .Lfunc_end1525-_ZN7rocprim17ROCPRIM_400000_NS6detail17trampoline_kernelINS0_13kernel_configILj256ELj4ELj4294967295EEENS1_37radix_sort_block_sort_config_selectorIdlEEZNS1_21radix_sort_block_sortIS4_Lb0EPdS8_N6thrust23THRUST_200600_302600_NS10device_ptrIlEESC_NS0_19identity_decomposerEEE10hipError_tT1_T2_T3_T4_jRjT5_jjP12ihipStream_tbEUlT_E_NS1_11comp_targetILNS1_3genE5ELNS1_11target_archE942ELNS1_3gpuE9ELNS1_3repE0EEENS1_44radix_sort_block_sort_config_static_selectorELNS0_4arch9wavefront6targetE1EEEvSF_
                                        ; -- End function
	.section	.AMDGPU.csdata,"",@progbits
; Kernel info:
; codeLenInByte = 0
; NumSgprs: 4
; NumVgprs: 0
; NumAgprs: 0
; TotalNumVgprs: 0
; ScratchSize: 0
; MemoryBound: 0
; FloatMode: 240
; IeeeMode: 1
; LDSByteSize: 0 bytes/workgroup (compile time only)
; SGPRBlocks: 0
; VGPRBlocks: 0
; NumSGPRsForWavesPerEU: 4
; NumVGPRsForWavesPerEU: 1
; AccumOffset: 4
; Occupancy: 8
; WaveLimiterHint : 0
; COMPUTE_PGM_RSRC2:SCRATCH_EN: 0
; COMPUTE_PGM_RSRC2:USER_SGPR: 6
; COMPUTE_PGM_RSRC2:TRAP_HANDLER: 0
; COMPUTE_PGM_RSRC2:TGID_X_EN: 1
; COMPUTE_PGM_RSRC2:TGID_Y_EN: 0
; COMPUTE_PGM_RSRC2:TGID_Z_EN: 0
; COMPUTE_PGM_RSRC2:TIDIG_COMP_CNT: 0
; COMPUTE_PGM_RSRC3_GFX90A:ACCUM_OFFSET: 0
; COMPUTE_PGM_RSRC3_GFX90A:TG_SPLIT: 0
	.section	.text._ZN7rocprim17ROCPRIM_400000_NS6detail17trampoline_kernelINS0_13kernel_configILj256ELj4ELj4294967295EEENS1_37radix_sort_block_sort_config_selectorIdlEEZNS1_21radix_sort_block_sortIS4_Lb0EPdS8_N6thrust23THRUST_200600_302600_NS10device_ptrIlEESC_NS0_19identity_decomposerEEE10hipError_tT1_T2_T3_T4_jRjT5_jjP12ihipStream_tbEUlT_E_NS1_11comp_targetILNS1_3genE4ELNS1_11target_archE910ELNS1_3gpuE8ELNS1_3repE0EEENS1_44radix_sort_block_sort_config_static_selectorELNS0_4arch9wavefront6targetE1EEEvSF_,"axG",@progbits,_ZN7rocprim17ROCPRIM_400000_NS6detail17trampoline_kernelINS0_13kernel_configILj256ELj4ELj4294967295EEENS1_37radix_sort_block_sort_config_selectorIdlEEZNS1_21radix_sort_block_sortIS4_Lb0EPdS8_N6thrust23THRUST_200600_302600_NS10device_ptrIlEESC_NS0_19identity_decomposerEEE10hipError_tT1_T2_T3_T4_jRjT5_jjP12ihipStream_tbEUlT_E_NS1_11comp_targetILNS1_3genE4ELNS1_11target_archE910ELNS1_3gpuE8ELNS1_3repE0EEENS1_44radix_sort_block_sort_config_static_selectorELNS0_4arch9wavefront6targetE1EEEvSF_,comdat
	.protected	_ZN7rocprim17ROCPRIM_400000_NS6detail17trampoline_kernelINS0_13kernel_configILj256ELj4ELj4294967295EEENS1_37radix_sort_block_sort_config_selectorIdlEEZNS1_21radix_sort_block_sortIS4_Lb0EPdS8_N6thrust23THRUST_200600_302600_NS10device_ptrIlEESC_NS0_19identity_decomposerEEE10hipError_tT1_T2_T3_T4_jRjT5_jjP12ihipStream_tbEUlT_E_NS1_11comp_targetILNS1_3genE4ELNS1_11target_archE910ELNS1_3gpuE8ELNS1_3repE0EEENS1_44radix_sort_block_sort_config_static_selectorELNS0_4arch9wavefront6targetE1EEEvSF_ ; -- Begin function _ZN7rocprim17ROCPRIM_400000_NS6detail17trampoline_kernelINS0_13kernel_configILj256ELj4ELj4294967295EEENS1_37radix_sort_block_sort_config_selectorIdlEEZNS1_21radix_sort_block_sortIS4_Lb0EPdS8_N6thrust23THRUST_200600_302600_NS10device_ptrIlEESC_NS0_19identity_decomposerEEE10hipError_tT1_T2_T3_T4_jRjT5_jjP12ihipStream_tbEUlT_E_NS1_11comp_targetILNS1_3genE4ELNS1_11target_archE910ELNS1_3gpuE8ELNS1_3repE0EEENS1_44radix_sort_block_sort_config_static_selectorELNS0_4arch9wavefront6targetE1EEEvSF_
	.globl	_ZN7rocprim17ROCPRIM_400000_NS6detail17trampoline_kernelINS0_13kernel_configILj256ELj4ELj4294967295EEENS1_37radix_sort_block_sort_config_selectorIdlEEZNS1_21radix_sort_block_sortIS4_Lb0EPdS8_N6thrust23THRUST_200600_302600_NS10device_ptrIlEESC_NS0_19identity_decomposerEEE10hipError_tT1_T2_T3_T4_jRjT5_jjP12ihipStream_tbEUlT_E_NS1_11comp_targetILNS1_3genE4ELNS1_11target_archE910ELNS1_3gpuE8ELNS1_3repE0EEENS1_44radix_sort_block_sort_config_static_selectorELNS0_4arch9wavefront6targetE1EEEvSF_
	.p2align	8
	.type	_ZN7rocprim17ROCPRIM_400000_NS6detail17trampoline_kernelINS0_13kernel_configILj256ELj4ELj4294967295EEENS1_37radix_sort_block_sort_config_selectorIdlEEZNS1_21radix_sort_block_sortIS4_Lb0EPdS8_N6thrust23THRUST_200600_302600_NS10device_ptrIlEESC_NS0_19identity_decomposerEEE10hipError_tT1_T2_T3_T4_jRjT5_jjP12ihipStream_tbEUlT_E_NS1_11comp_targetILNS1_3genE4ELNS1_11target_archE910ELNS1_3gpuE8ELNS1_3repE0EEENS1_44radix_sort_block_sort_config_static_selectorELNS0_4arch9wavefront6targetE1EEEvSF_,@function
_ZN7rocprim17ROCPRIM_400000_NS6detail17trampoline_kernelINS0_13kernel_configILj256ELj4ELj4294967295EEENS1_37radix_sort_block_sort_config_selectorIdlEEZNS1_21radix_sort_block_sortIS4_Lb0EPdS8_N6thrust23THRUST_200600_302600_NS10device_ptrIlEESC_NS0_19identity_decomposerEEE10hipError_tT1_T2_T3_T4_jRjT5_jjP12ihipStream_tbEUlT_E_NS1_11comp_targetILNS1_3genE4ELNS1_11target_archE910ELNS1_3gpuE8ELNS1_3repE0EEENS1_44radix_sort_block_sort_config_static_selectorELNS0_4arch9wavefront6targetE1EEEvSF_: ; @_ZN7rocprim17ROCPRIM_400000_NS6detail17trampoline_kernelINS0_13kernel_configILj256ELj4ELj4294967295EEENS1_37radix_sort_block_sort_config_selectorIdlEEZNS1_21radix_sort_block_sortIS4_Lb0EPdS8_N6thrust23THRUST_200600_302600_NS10device_ptrIlEESC_NS0_19identity_decomposerEEE10hipError_tT1_T2_T3_T4_jRjT5_jjP12ihipStream_tbEUlT_E_NS1_11comp_targetILNS1_3genE4ELNS1_11target_archE910ELNS1_3gpuE8ELNS1_3repE0EEENS1_44radix_sort_block_sort_config_static_selectorELNS0_4arch9wavefront6targetE1EEEvSF_
; %bb.0:
	s_load_dword s7, s[4:5], 0x20
	s_load_dwordx8 s[36:43], s[4:5], 0x0
	s_lshl_b32 s0, s6, 10
	s_mov_b32 s1, 0
	v_mbcnt_lo_u32_b32 v1, -1, 0
	s_waitcnt lgkmcnt(0)
	s_lshr_b32 s2, s7, 10
	s_cmp_lg_u32 s6, s2
	s_cselect_b64 s[30:31], -1, 0
	s_lshl_b64 s[28:29], s[0:1], 3
	v_mbcnt_hi_u32_b32 v1, -1, v1
	v_and_b32_e32 v10, 0x3ff, v0
	s_add_u32 s1, s36, s28
	v_and_b32_e32 v15, 63, v1
	s_addc_u32 s3, s37, s29
	v_lshlrev_b32_e32 v14, 2, v10
	v_lshlrev_b32_e32 v18, 3, v15
	v_and_b32_e32 v16, 0x300, v14
	v_mov_b32_e32 v2, s3
	v_add_co_u32_e32 v3, vcc, s1, v18
	v_addc_co_u32_e32 v2, vcc, 0, v2, vcc
	v_lshlrev_b32_e32 v19, 3, v16
	v_add_co_u32_e32 v12, vcc, v3, v19
	s_cmp_eq_u32 s6, s2
	v_addc_co_u32_e32 v13, vcc, 0, v2, vcc
	v_or_b32_e32 v11, v15, v16
	s_cbranch_scc1 .LBB1526_2
; %bb.1:
	s_add_u32 s1, s40, s28
	s_addc_u32 s2, s41, s29
	v_mov_b32_e32 v17, s2
	v_add_co_u32_e32 v20, vcc, s1, v18
	v_addc_co_u32_e32 v17, vcc, 0, v17, vcc
	v_add_co_u32_e32 v20, vcc, v20, v19
	v_addc_co_u32_e32 v21, vcc, 0, v17, vcc
	global_load_dwordx2 v[2:3], v[12:13], off
	global_load_dwordx2 v[4:5], v[12:13], off offset:512
	global_load_dwordx2 v[6:7], v[12:13], off offset:1024
	global_load_dwordx2 v[8:9], v[12:13], off offset:1536
	global_load_dwordx2 v[28:29], v[20:21], off
	global_load_dwordx2 v[30:31], v[20:21], off offset:512
	global_load_dwordx2 v[32:33], v[20:21], off offset:1024
	;; [unrolled: 1-line block ×3, first 2 shown]
	v_or_b32_e32 v20, v15, v16
	v_or_b32_e32 v15, 64, v20
	;; [unrolled: 1-line block ×4, first 2 shown]
	s_load_dwordx2 s[34:35], s[4:5], 0x28
	s_sub_i32 s33, s7, s0
	s_cbranch_execz .LBB1526_3
	s_branch .LBB1526_17
.LBB1526_2:
                                        ; implicit-def: $vgpr2_vgpr3_vgpr4_vgpr5_vgpr6_vgpr7_vgpr8_vgpr9
                                        ; implicit-def: $vgpr28_vgpr29
                                        ; implicit-def: $vgpr30_vgpr31
                                        ; implicit-def: $vgpr32_vgpr33
                                        ; implicit-def: $vgpr34_vgpr35
                                        ; implicit-def: $vgpr20
                                        ; implicit-def: $vgpr15
                                        ; implicit-def: $vgpr16
                                        ; implicit-def: $vgpr17
	s_load_dwordx2 s[34:35], s[4:5], 0x28
	s_sub_i32 s33, s7, s0
.LBB1526_3:
	s_brev_b32 s9, -2
	s_mov_b32 s8, -1
	s_mov_b32 s10, s8
	s_mov_b32 s11, s9
	;; [unrolled: 1-line block ×6, first 2 shown]
	s_waitcnt vmcnt(4)
	v_pk_mov_b32 v[2:3], s[8:9], s[8:9] op_sel:[0,1]
	v_cmp_gt_u32_e32 vcc, s33, v11
	v_pk_mov_b32 v[4:5], s[10:11], s[10:11] op_sel:[0,1]
	v_pk_mov_b32 v[6:7], s[12:13], s[12:13] op_sel:[0,1]
	;; [unrolled: 1-line block ×3, first 2 shown]
	s_and_saveexec_b64 s[0:1], vcc
	s_cbranch_execz .LBB1526_5
; %bb.4:
	global_load_dwordx2 v[2:3], v[12:13], off
	v_mov_b32_e32 v4, -1
	v_bfrev_b32_e32 v5, -2
	v_mov_b32_e32 v6, v4
	v_mov_b32_e32 v7, v5
	;; [unrolled: 1-line block ×4, first 2 shown]
.LBB1526_5:
	s_or_b64 exec, exec, s[0:1]
	v_or_b32_e32 v15, 64, v11
	v_cmp_gt_u32_e64 s[0:1], s33, v15
	s_and_saveexec_b64 s[2:3], s[0:1]
	s_cbranch_execz .LBB1526_7
; %bb.6:
	global_load_dwordx2 v[4:5], v[12:13], off offset:512
.LBB1526_7:
	s_or_b64 exec, exec, s[2:3]
	v_or_b32_e32 v16, 0x80, v11
	v_cmp_gt_u32_e64 s[2:3], s33, v16
	s_and_saveexec_b64 s[6:7], s[2:3]
	s_cbranch_execz .LBB1526_9
; %bb.8:
	global_load_dwordx2 v[6:7], v[12:13], off offset:1024
.LBB1526_9:
	;; [unrolled: 8-line block ×3, first 2 shown]
	s_or_b64 exec, exec, s[8:9]
	s_add_u32 s8, s40, s28
	s_addc_u32 s9, s41, s29
	v_mov_b32_e32 v12, s9
	v_add_co_u32_e64 v13, s[8:9], s8, v18
	v_addc_co_u32_e64 v18, s[8:9], 0, v12, s[8:9]
	v_add_co_u32_e64 v12, s[8:9], v13, v19
	v_addc_co_u32_e64 v13, s[8:9], 0, v18, s[8:9]
                                        ; implicit-def: $vgpr28_vgpr29
	s_and_saveexec_b64 s[8:9], vcc
	s_cbranch_execnz .LBB1526_54
; %bb.12:
	s_or_b64 exec, exec, s[8:9]
                                        ; implicit-def: $vgpr30_vgpr31
	s_and_saveexec_b64 s[8:9], s[0:1]
	s_cbranch_execnz .LBB1526_55
.LBB1526_13:
	s_or_b64 exec, exec, s[8:9]
                                        ; implicit-def: $vgpr32_vgpr33
	s_and_saveexec_b64 s[0:1], s[2:3]
	s_cbranch_execnz .LBB1526_56
.LBB1526_14:
	s_or_b64 exec, exec, s[0:1]
                                        ; implicit-def: $vgpr34_vgpr35
	s_and_saveexec_b64 s[0:1], s[6:7]
	s_cbranch_execz .LBB1526_16
.LBB1526_15:
	global_load_dwordx2 v[34:35], v[12:13], off offset:1536
.LBB1526_16:
	s_or_b64 exec, exec, s[0:1]
	v_mov_b32_e32 v20, v11
.LBB1526_17:
	v_bfrev_b32_e32 v11, 1
	s_waitcnt vmcnt(0)
	v_cmp_lt_i64_e32 vcc, -1, v[2:3]
	s_load_dword s2, s[4:5], 0x3c
	v_cndmask_b32_e32 v12, -1, v11, vcc
	v_ashrrev_i32_e32 v13, 31, v3
	v_cmp_lt_i64_e32 vcc, -1, v[4:5]
	v_xor_b32_e32 v3, v12, v3
	v_xor_b32_e32 v2, v13, v2
	v_cndmask_b32_e32 v12, -1, v11, vcc
	v_ashrrev_i32_e32 v13, 31, v5
	v_cmp_lt_i64_e32 vcc, -1, v[6:7]
	s_waitcnt lgkmcnt(0)
	s_add_i32 s40, s35, s34
	v_xor_b32_e32 v36, v13, v4
	v_cndmask_b32_e32 v4, -1, v11, vcc
	v_cmp_lt_i64_e32 vcc, -1, v[8:9]
	v_xor_b32_e32 v39, v4, v7
	v_cndmask_b32_e32 v4, -1, v11, vcc
	s_getpc_b64 s[0:1]
	s_add_u32 s0, s0, _ZN7rocprim17ROCPRIM_400000_NS16block_radix_sortIdLj256ELj4ElLj1ELj1ELj0ELNS0_26block_radix_rank_algorithmE1ELNS0_18block_padding_hintE2ELNS0_4arch9wavefront6targetE1EE19radix_bits_per_passE@rel32@lo+4
	s_addc_u32 s1, s1, _ZN7rocprim17ROCPRIM_400000_NS16block_radix_sortIdLj256ELj4ElLj1ELj1ELj0ELNS0_26block_radix_rank_algorithmE1ELNS0_18block_padding_hintE2ELNS0_4arch9wavefront6targetE1EE19radix_bits_per_passE@rel32@hi+12
	v_xor_b32_e32 v37, v12, v5
	v_ashrrev_i32_e32 v5, 31, v7
	v_xor_b32_e32 v41, v4, v9
	s_load_dword s41, s[0:1], 0x0
	s_lshr_b32 s0, s2, 16
	v_bfe_u32 v4, v0, 10, 10
	v_bfe_u32 v0, v0, 20, 10
	v_xor_b32_e32 v38, v5, v6
	v_ashrrev_i32_e32 v5, 31, v9
	s_and_b32 s1, s2, 0xffff
	v_mad_u32_u24 v0, v0, s0, v4
	v_xor_b32_e32 v40, v5, v8
	v_mad_u64_u32 v[4:5], s[0:1], v0, s1, v[10:11]
	v_and_b32_e32 v0, 15, v1
	v_cmp_eq_u32_e64 s[0:1], 0, v0
	v_cmp_lt_u32_e64 s[2:3], 1, v0
	v_cmp_lt_u32_e64 s[4:5], 3, v0
	;; [unrolled: 1-line block ×3, first 2 shown]
	v_and_b32_e32 v0, 16, v1
	v_cmp_eq_u32_e64 s[8:9], 0, v0
	v_and_b32_e32 v0, 0x3c0, v10
	v_min_u32_e32 v0, 0xc0, v0
	v_or_b32_e32 v0, 63, v0
	v_lshrrev_b32_e32 v43, 6, v4
	v_cmp_eq_u32_e64 s[12:13], v0, v10
	v_add_u32_e32 v0, -1, v1
	v_and_b32_e32 v4, 64, v1
	v_cmp_lt_i32_e32 vcc, v0, v4
	v_cndmask_b32_e32 v0, v0, v1, vcc
	s_mov_b32 s26, 0
	v_lshlrev_b32_e32 v44, 2, v0
	v_lshrrev_b32_e32 v0, 4, v10
	s_mov_b32 s36, -1
	v_lshlrev_b32_e32 v42, 2, v14
	v_cmp_lt_u32_e64 s[10:11], 31, v1
	v_cmp_eq_u32_e64 s[18:19], 0, v1
	v_and_b32_e32 v45, 60, v0
	v_mul_i32_i24_e32 v0, -12, v10
	v_and_b32_e32 v1, 3, v1
	s_mov_b32 s27, s26
	s_mov_b32 s44, s26
	;; [unrolled: 1-line block ×3, first 2 shown]
	s_brev_b32 s37, -2
	v_cmp_gt_u32_e64 s[14:15], 4, v10
	v_cmp_lt_u32_e64 s[16:17], 63, v10
	v_cmp_eq_u32_e64 s[20:21], 0, v10
	v_cmp_eq_u32_e64 s[22:23], 0, v1
	v_cmp_lt_u32_e64 s[24:25], 1, v1
	v_add_u32_e32 v46, -4, v45
	v_lshlrev_b32_e32 v47, 3, v20
	v_lshlrev_b32_e32 v48, 3, v15
	;; [unrolled: 1-line block ×4, first 2 shown]
	v_add_u32_e32 v51, v42, v0
	v_pk_mov_b32 v[14:15], s[26:27], s[26:27] op_sel:[0,1]
	v_pk_mov_b32 v[16:17], s[44:45], s[44:45] op_sel:[0,1]
	v_mov_b32_e32 v18, 0
	s_branch .LBB1526_19
.LBB1526_18:                            ;   in Loop: Header=BB1526_19 Depth=1
	s_barrier
	ds_write_b64 v0, v[26:27]
	ds_write_b64 v1, v[24:25]
	;; [unrolled: 1-line block ×4, first 2 shown]
	s_waitcnt lgkmcnt(0)
	s_barrier
	ds_read_b64 v[2:3], v47
	ds_read_b64 v[36:37], v48
	;; [unrolled: 1-line block ×4, first 2 shown]
	s_waitcnt lgkmcnt(0)
	s_barrier
	ds_write_b64 v0, v[12:13]
	ds_write_b64 v1, v[8:9]
	;; [unrolled: 1-line block ×4, first 2 shown]
	s_waitcnt lgkmcnt(0)
	s_barrier
	ds_read_b64 v[28:29], v47
	ds_read_b64 v[30:31], v48
	;; [unrolled: 1-line block ×4, first 2 shown]
	s_add_i32 s35, s35, -8
	s_waitcnt lgkmcnt(0)
	s_barrier
	s_cbranch_execz .LBB1526_35
.LBB1526_19:                            ; =>This Inner Loop Header: Depth=1
	v_pk_mov_b32 v[26:27], v[2:3], v[2:3] op_sel:[0,1]
	s_waitcnt lgkmcnt(0)
	s_min_u32 s26, s41, s35
	v_cmp_ne_u64_e32 vcc, s[36:37], v[26:27]
	s_lshl_b32 s26, -1, s26
	v_cndmask_b32_e32 v1, v11, v27, vcc
	v_cndmask_b32_e32 v0, 0, v26, vcc
	s_not_b32 s44, s26
	v_lshrrev_b64 v[0:1], s34, v[0:1]
	v_and_b32_e32 v0, s44, v0
	v_lshl_add_u32 v1, v0, 2, v43
	v_pk_mov_b32 v[12:13], v[28:29], v[28:29] op_sel:[0,1]
	v_lshl_add_u32 v28, v1, 2, 16
	v_and_b32_e32 v1, 1, v0
	v_add_co_u32_e32 v2, vcc, -1, v1
	v_addc_co_u32_e64 v3, s[26:27], 0, -1, vcc
	v_cmp_ne_u32_e32 vcc, 0, v1
	v_lshlrev_b32_e32 v19, 30, v0
	v_xor_b32_e32 v1, vcc_hi, v3
	v_not_b32_e32 v3, v19
	v_xor_b32_e32 v2, vcc_lo, v2
	v_cmp_gt_i64_e32 vcc, 0, v[18:19]
	v_ashrrev_i32_e32 v3, 31, v3
	v_and_b32_e32 v1, exec_hi, v1
	v_xor_b32_e32 v19, vcc_hi, v3
	v_and_b32_e32 v2, exec_lo, v2
	v_xor_b32_e32 v3, vcc_lo, v3
	v_and_b32_e32 v1, v1, v19
	v_lshlrev_b32_e32 v19, 29, v0
	v_and_b32_e32 v2, v2, v3
	v_not_b32_e32 v3, v19
	v_cmp_gt_i64_e32 vcc, 0, v[18:19]
	v_ashrrev_i32_e32 v3, 31, v3
	v_xor_b32_e32 v19, vcc_hi, v3
	v_xor_b32_e32 v3, vcc_lo, v3
	v_and_b32_e32 v1, v1, v19
	v_lshlrev_b32_e32 v19, 28, v0
	v_and_b32_e32 v2, v2, v3
	v_not_b32_e32 v3, v19
	v_cmp_gt_i64_e32 vcc, 0, v[18:19]
	v_ashrrev_i32_e32 v3, 31, v3
	v_xor_b32_e32 v19, vcc_hi, v3
	;; [unrolled: 8-line block ×5, first 2 shown]
	v_and_b32_e32 v1, v1, v19
	v_lshlrev_b32_e32 v19, 24, v0
	v_not_b32_e32 v0, v19
	v_xor_b32_e32 v3, vcc_lo, v3
	v_cmp_gt_i64_e32 vcc, 0, v[18:19]
	v_ashrrev_i32_e32 v0, 31, v0
	v_and_b32_e32 v2, v2, v3
	v_xor_b32_e32 v3, vcc_hi, v0
	v_xor_b32_e32 v0, vcc_lo, v0
	v_and_b32_e32 v0, v2, v0
	v_and_b32_e32 v1, v1, v3
	v_mbcnt_lo_u32_b32 v2, v0, 0
	v_mbcnt_hi_u32_b32 v29, v1, v2
	v_cmp_eq_u32_e32 vcc, 0, v29
	v_cmp_ne_u64_e64 s[26:27], 0, v[0:1]
	v_pk_mov_b32 v[20:21], v[40:41], v[40:41] op_sel:[0,1]
	v_pk_mov_b32 v[22:23], v[38:39], v[38:39] op_sel:[0,1]
	;; [unrolled: 1-line block ×6, first 2 shown]
	s_and_b64 s[46:47], s[26:27], vcc
	ds_write2_b64 v42, v[14:15], v[16:17] offset0:2 offset1:3
	s_waitcnt lgkmcnt(0)
	s_barrier
	s_waitcnt lgkmcnt(0)
	; wave barrier
	s_and_saveexec_b64 s[26:27], s[46:47]
	s_cbranch_execz .LBB1526_21
; %bb.20:                               ;   in Loop: Header=BB1526_19 Depth=1
	v_bcnt_u32_b32 v0, v0, 0
	v_bcnt_u32_b32 v0, v1, v0
	ds_write_b32 v28, v0
.LBB1526_21:                            ;   in Loop: Header=BB1526_19 Depth=1
	s_or_b64 exec, exec, s[26:27]
	v_cmp_ne_u64_e32 vcc, s[36:37], v[24:25]
	v_cndmask_b32_e32 v1, v11, v25, vcc
	v_cndmask_b32_e32 v0, 0, v24, vcc
	v_lshrrev_b64 v[0:1], s34, v[0:1]
	v_and_b32_e32 v0, s44, v0
	v_lshlrev_b32_e32 v1, 2, v0
	v_add_lshl_u32 v1, v1, v43, 2
	; wave barrier
	v_add_u32_e32 v31, 16, v1
	ds_read_b32 v30, v1 offset:16
	v_and_b32_e32 v1, 1, v0
	v_add_co_u32_e32 v2, vcc, -1, v1
	v_addc_co_u32_e64 v3, s[26:27], 0, -1, vcc
	v_cmp_ne_u32_e32 vcc, 0, v1
	v_lshlrev_b32_e32 v19, 30, v0
	v_xor_b32_e32 v1, vcc_hi, v3
	v_not_b32_e32 v3, v19
	v_xor_b32_e32 v2, vcc_lo, v2
	v_cmp_gt_i64_e32 vcc, 0, v[18:19]
	v_ashrrev_i32_e32 v3, 31, v3
	v_and_b32_e32 v1, exec_hi, v1
	v_xor_b32_e32 v19, vcc_hi, v3
	v_and_b32_e32 v2, exec_lo, v2
	v_xor_b32_e32 v3, vcc_lo, v3
	v_and_b32_e32 v1, v1, v19
	v_lshlrev_b32_e32 v19, 29, v0
	v_and_b32_e32 v2, v2, v3
	v_not_b32_e32 v3, v19
	v_cmp_gt_i64_e32 vcc, 0, v[18:19]
	v_ashrrev_i32_e32 v3, 31, v3
	v_xor_b32_e32 v19, vcc_hi, v3
	v_xor_b32_e32 v3, vcc_lo, v3
	v_and_b32_e32 v1, v1, v19
	v_lshlrev_b32_e32 v19, 28, v0
	v_and_b32_e32 v2, v2, v3
	v_not_b32_e32 v3, v19
	v_cmp_gt_i64_e32 vcc, 0, v[18:19]
	v_ashrrev_i32_e32 v3, 31, v3
	v_xor_b32_e32 v19, vcc_hi, v3
	;; [unrolled: 8-line block ×5, first 2 shown]
	v_and_b32_e32 v1, v1, v19
	v_lshlrev_b32_e32 v19, 24, v0
	v_not_b32_e32 v0, v19
	v_xor_b32_e32 v3, vcc_lo, v3
	v_cmp_gt_i64_e32 vcc, 0, v[18:19]
	v_ashrrev_i32_e32 v0, 31, v0
	v_and_b32_e32 v2, v2, v3
	v_xor_b32_e32 v3, vcc_hi, v0
	v_xor_b32_e32 v0, vcc_lo, v0
	v_and_b32_e32 v0, v2, v0
	v_and_b32_e32 v1, v1, v3
	v_mbcnt_lo_u32_b32 v2, v0, 0
	v_mbcnt_hi_u32_b32 v32, v1, v2
	v_cmp_eq_u32_e32 vcc, 0, v32
	v_cmp_ne_u64_e64 s[26:27], 0, v[0:1]
	s_and_b64 s[46:47], s[26:27], vcc
	; wave barrier
	s_and_saveexec_b64 s[26:27], s[46:47]
	s_cbranch_execz .LBB1526_23
; %bb.22:                               ;   in Loop: Header=BB1526_19 Depth=1
	v_bcnt_u32_b32 v0, v0, 0
	v_bcnt_u32_b32 v0, v1, v0
	s_waitcnt lgkmcnt(0)
	v_add_u32_e32 v0, v30, v0
	ds_write_b32 v31, v0
.LBB1526_23:                            ;   in Loop: Header=BB1526_19 Depth=1
	s_or_b64 exec, exec, s[26:27]
	v_cmp_ne_u64_e32 vcc, s[36:37], v[22:23]
	v_cndmask_b32_e32 v1, v11, v23, vcc
	v_cndmask_b32_e32 v0, 0, v22, vcc
	v_lshrrev_b64 v[0:1], s34, v[0:1]
	v_and_b32_e32 v0, s44, v0
	v_lshlrev_b32_e32 v1, 2, v0
	v_add_lshl_u32 v1, v1, v43, 2
	; wave barrier
	v_add_u32_e32 v34, 16, v1
	ds_read_b32 v33, v1 offset:16
	v_and_b32_e32 v1, 1, v0
	v_add_co_u32_e32 v2, vcc, -1, v1
	v_addc_co_u32_e64 v3, s[26:27], 0, -1, vcc
	v_cmp_ne_u32_e32 vcc, 0, v1
	v_lshlrev_b32_e32 v19, 30, v0
	v_xor_b32_e32 v1, vcc_hi, v3
	v_not_b32_e32 v3, v19
	v_xor_b32_e32 v2, vcc_lo, v2
	v_cmp_gt_i64_e32 vcc, 0, v[18:19]
	v_ashrrev_i32_e32 v3, 31, v3
	v_and_b32_e32 v1, exec_hi, v1
	v_xor_b32_e32 v19, vcc_hi, v3
	v_and_b32_e32 v2, exec_lo, v2
	v_xor_b32_e32 v3, vcc_lo, v3
	v_and_b32_e32 v1, v1, v19
	v_lshlrev_b32_e32 v19, 29, v0
	v_and_b32_e32 v2, v2, v3
	v_not_b32_e32 v3, v19
	v_cmp_gt_i64_e32 vcc, 0, v[18:19]
	v_ashrrev_i32_e32 v3, 31, v3
	v_xor_b32_e32 v19, vcc_hi, v3
	v_xor_b32_e32 v3, vcc_lo, v3
	v_and_b32_e32 v1, v1, v19
	v_lshlrev_b32_e32 v19, 28, v0
	v_and_b32_e32 v2, v2, v3
	v_not_b32_e32 v3, v19
	v_cmp_gt_i64_e32 vcc, 0, v[18:19]
	v_ashrrev_i32_e32 v3, 31, v3
	v_xor_b32_e32 v19, vcc_hi, v3
	;; [unrolled: 8-line block ×5, first 2 shown]
	v_and_b32_e32 v1, v1, v19
	v_lshlrev_b32_e32 v19, 24, v0
	v_not_b32_e32 v0, v19
	v_xor_b32_e32 v3, vcc_lo, v3
	v_cmp_gt_i64_e32 vcc, 0, v[18:19]
	v_ashrrev_i32_e32 v0, 31, v0
	v_and_b32_e32 v2, v2, v3
	v_xor_b32_e32 v3, vcc_hi, v0
	v_xor_b32_e32 v0, vcc_lo, v0
	v_and_b32_e32 v0, v2, v0
	v_and_b32_e32 v1, v1, v3
	v_mbcnt_lo_u32_b32 v2, v0, 0
	v_mbcnt_hi_u32_b32 v35, v1, v2
	v_cmp_eq_u32_e32 vcc, 0, v35
	v_cmp_ne_u64_e64 s[26:27], 0, v[0:1]
	s_and_b64 s[46:47], s[26:27], vcc
	; wave barrier
	s_and_saveexec_b64 s[26:27], s[46:47]
	s_cbranch_execz .LBB1526_25
; %bb.24:                               ;   in Loop: Header=BB1526_19 Depth=1
	v_bcnt_u32_b32 v0, v0, 0
	v_bcnt_u32_b32 v0, v1, v0
	s_waitcnt lgkmcnt(0)
	v_add_u32_e32 v0, v33, v0
	ds_write_b32 v34, v0
.LBB1526_25:                            ;   in Loop: Header=BB1526_19 Depth=1
	s_or_b64 exec, exec, s[26:27]
	v_cmp_ne_u64_e32 vcc, s[36:37], v[20:21]
	v_cndmask_b32_e32 v1, v11, v21, vcc
	v_cndmask_b32_e32 v0, 0, v20, vcc
	v_lshrrev_b64 v[0:1], s34, v[0:1]
	v_and_b32_e32 v0, s44, v0
	v_lshlrev_b32_e32 v1, 2, v0
	v_add_lshl_u32 v1, v1, v43, 2
	; wave barrier
	v_add_u32_e32 v37, 16, v1
	ds_read_b32 v36, v1 offset:16
	v_and_b32_e32 v1, 1, v0
	v_add_co_u32_e32 v2, vcc, -1, v1
	v_addc_co_u32_e64 v3, s[26:27], 0, -1, vcc
	v_cmp_ne_u32_e32 vcc, 0, v1
	v_lshlrev_b32_e32 v19, 30, v0
	v_xor_b32_e32 v1, vcc_hi, v3
	v_not_b32_e32 v3, v19
	v_xor_b32_e32 v2, vcc_lo, v2
	v_cmp_gt_i64_e32 vcc, 0, v[18:19]
	v_ashrrev_i32_e32 v3, 31, v3
	v_and_b32_e32 v1, exec_hi, v1
	v_xor_b32_e32 v19, vcc_hi, v3
	v_and_b32_e32 v2, exec_lo, v2
	v_xor_b32_e32 v3, vcc_lo, v3
	v_and_b32_e32 v1, v1, v19
	v_lshlrev_b32_e32 v19, 29, v0
	v_and_b32_e32 v2, v2, v3
	v_not_b32_e32 v3, v19
	v_cmp_gt_i64_e32 vcc, 0, v[18:19]
	v_ashrrev_i32_e32 v3, 31, v3
	v_xor_b32_e32 v19, vcc_hi, v3
	v_xor_b32_e32 v3, vcc_lo, v3
	v_and_b32_e32 v1, v1, v19
	v_lshlrev_b32_e32 v19, 28, v0
	v_and_b32_e32 v2, v2, v3
	v_not_b32_e32 v3, v19
	v_cmp_gt_i64_e32 vcc, 0, v[18:19]
	v_ashrrev_i32_e32 v3, 31, v3
	v_xor_b32_e32 v19, vcc_hi, v3
	;; [unrolled: 8-line block ×5, first 2 shown]
	v_and_b32_e32 v1, v1, v19
	v_lshlrev_b32_e32 v19, 24, v0
	v_not_b32_e32 v0, v19
	v_xor_b32_e32 v3, vcc_lo, v3
	v_cmp_gt_i64_e32 vcc, 0, v[18:19]
	v_ashrrev_i32_e32 v0, 31, v0
	v_and_b32_e32 v2, v2, v3
	v_xor_b32_e32 v3, vcc_hi, v0
	v_xor_b32_e32 v0, vcc_lo, v0
	v_and_b32_e32 v0, v2, v0
	v_and_b32_e32 v1, v1, v3
	v_mbcnt_lo_u32_b32 v2, v0, 0
	v_mbcnt_hi_u32_b32 v19, v1, v2
	v_cmp_eq_u32_e32 vcc, 0, v19
	v_cmp_ne_u64_e64 s[26:27], 0, v[0:1]
	s_and_b64 s[44:45], s[26:27], vcc
	; wave barrier
	s_and_saveexec_b64 s[26:27], s[44:45]
	s_cbranch_execz .LBB1526_27
; %bb.26:                               ;   in Loop: Header=BB1526_19 Depth=1
	v_bcnt_u32_b32 v0, v0, 0
	v_bcnt_u32_b32 v0, v1, v0
	s_waitcnt lgkmcnt(0)
	v_add_u32_e32 v0, v36, v0
	ds_write_b32 v37, v0
.LBB1526_27:                            ;   in Loop: Header=BB1526_19 Depth=1
	s_or_b64 exec, exec, s[26:27]
	; wave barrier
	s_waitcnt lgkmcnt(0)
	s_barrier
	ds_read2_b64 v[0:3], v42 offset0:2 offset1:3
	s_waitcnt lgkmcnt(0)
	v_add_u32_e32 v38, v1, v0
	v_add3_u32 v3, v38, v2, v3
	s_nop 1
	v_mov_b32_dpp v38, v3 row_shr:1 row_mask:0xf bank_mask:0xf
	v_cndmask_b32_e64 v38, v38, 0, s[0:1]
	v_add_u32_e32 v3, v38, v3
	s_nop 1
	v_mov_b32_dpp v38, v3 row_shr:2 row_mask:0xf bank_mask:0xf
	v_cndmask_b32_e64 v38, 0, v38, s[2:3]
	v_add_u32_e32 v3, v3, v38
	;; [unrolled: 4-line block ×4, first 2 shown]
	s_nop 1
	v_mov_b32_dpp v38, v3 row_bcast:15 row_mask:0xf bank_mask:0xf
	v_cndmask_b32_e64 v38, v38, 0, s[8:9]
	v_add_u32_e32 v3, v3, v38
	s_nop 1
	v_mov_b32_dpp v38, v3 row_bcast:31 row_mask:0xf bank_mask:0xf
	v_cndmask_b32_e64 v38, 0, v38, s[10:11]
	v_add_u32_e32 v3, v3, v38
	s_and_saveexec_b64 s[26:27], s[12:13]
	s_cbranch_execz .LBB1526_29
; %bb.28:                               ;   in Loop: Header=BB1526_19 Depth=1
	ds_write_b32 v45, v3
.LBB1526_29:                            ;   in Loop: Header=BB1526_19 Depth=1
	s_or_b64 exec, exec, s[26:27]
	s_waitcnt lgkmcnt(0)
	s_barrier
	s_and_saveexec_b64 s[26:27], s[14:15]
	s_cbranch_execz .LBB1526_31
; %bb.30:                               ;   in Loop: Header=BB1526_19 Depth=1
	ds_read_b32 v38, v51
	s_waitcnt lgkmcnt(0)
	s_nop 0
	v_mov_b32_dpp v39, v38 row_shr:1 row_mask:0xf bank_mask:0xf
	v_cndmask_b32_e64 v39, v39, 0, s[22:23]
	v_add_u32_e32 v38, v39, v38
	s_nop 1
	v_mov_b32_dpp v39, v38 row_shr:2 row_mask:0xf bank_mask:0xf
	v_cndmask_b32_e64 v39, 0, v39, s[24:25]
	v_add_u32_e32 v38, v38, v39
	ds_write_b32 v51, v38
.LBB1526_31:                            ;   in Loop: Header=BB1526_19 Depth=1
	s_or_b64 exec, exec, s[26:27]
	v_mov_b32_e32 v38, 0
	s_waitcnt lgkmcnt(0)
	s_barrier
	s_and_saveexec_b64 s[26:27], s[16:17]
	s_cbranch_execz .LBB1526_33
; %bb.32:                               ;   in Loop: Header=BB1526_19 Depth=1
	ds_read_b32 v38, v46
.LBB1526_33:                            ;   in Loop: Header=BB1526_19 Depth=1
	s_or_b64 exec, exec, s[26:27]
	s_waitcnt lgkmcnt(0)
	v_add_u32_e32 v3, v38, v3
	ds_bpermute_b32 v3, v44, v3
	s_add_i32 s34, s34, 8
	s_cmp_ge_u32 s34, s40
	s_waitcnt lgkmcnt(0)
	v_cndmask_b32_e64 v3, v3, v38, s[18:19]
	v_cndmask_b32_e64 v38, v3, 0, s[20:21]
	v_add_u32_e32 v39, v38, v0
	v_add_u32_e32 v0, v39, v1
	;; [unrolled: 1-line block ×3, first 2 shown]
	ds_write2_b64 v42, v[38:39], v[0:1] offset0:2 offset1:3
	s_waitcnt lgkmcnt(0)
	s_barrier
	ds_read_b32 v0, v28
	ds_read_b32 v1, v31
	;; [unrolled: 1-line block ×4, first 2 shown]
	v_lshlrev_b32_e32 v28, 3, v29
	s_waitcnt lgkmcnt(3)
	v_lshl_add_u32 v0, v0, 3, v28
	v_lshlrev_b32_e32 v28, 3, v32
	v_lshlrev_b32_e32 v29, 3, v30
	s_waitcnt lgkmcnt(2)
	v_lshlrev_b32_e32 v1, 3, v1
	v_add3_u32 v1, v28, v29, v1
	v_lshlrev_b32_e32 v28, 3, v35
	v_lshlrev_b32_e32 v29, 3, v33
	s_waitcnt lgkmcnt(1)
	v_lshlrev_b32_e32 v2, 3, v2
	v_add3_u32 v52, v28, v29, v2
	;; [unrolled: 5-line block ×3, first 2 shown]
	s_cbranch_scc0 .LBB1526_18
; %bb.34:
                                        ; implicit-def: $vgpr40_vgpr41
                                        ; implicit-def: $vgpr38_vgpr39
                                        ; implicit-def: $vgpr36_vgpr37
                                        ; implicit-def: $vgpr2_vgpr3
                                        ; implicit-def: $sgpr34
                                        ; implicit-def: $vgpr28_vgpr29
                                        ; implicit-def: $vgpr30_vgpr31
                                        ; implicit-def: $vgpr32_vgpr33
                                        ; implicit-def: $vgpr34_vgpr35
.LBB1526_35:
	v_lshlrev_b32_e32 v11, 3, v10
	s_barrier
	ds_write_b64 v0, v[26:27]
	ds_write_b64 v1, v[24:25]
	ds_write_b64 v52, v[22:23]
	ds_write_b64 v19, v[20:21]
	s_waitcnt lgkmcnt(0)
	s_barrier
	ds_read2st64_b64 v[14:17], v11 offset1:4
	ds_read2st64_b64 v[20:23], v11 offset0:8 offset1:12
	s_waitcnt lgkmcnt(0)
	s_barrier
	ds_write_b64 v0, v[12:13]
	ds_write_b64 v1, v[8:9]
	;; [unrolled: 1-line block ×4, first 2 shown]
	v_bfrev_b32_e32 v8, 1
	v_cmp_lt_i64_e32 vcc, -1, v[14:15]
	v_cndmask_b32_e64 v9, v8, -1, vcc
	v_ashrrev_i32_e32 v12, 31, v15
	v_cmp_lt_i64_e32 vcc, -1, v[16:17]
	v_not_b32_e32 v12, v12
	v_xor_b32_e32 v19, v9, v15
	v_cndmask_b32_e64 v9, v8, -1, vcc
	v_cmp_lt_i64_e32 vcc, -1, v[20:21]
	v_xor_b32_e32 v18, v12, v14
	v_ashrrev_i32_e32 v12, 31, v17
	v_xor_b32_e32 v17, v9, v17
	v_cndmask_b32_e64 v9, v8, -1, vcc
	s_waitcnt lgkmcnt(0)
	s_barrier
	ds_read2st64_b64 v[4:7], v11 offset1:4
	ds_read2st64_b64 v[0:3], v11 offset0:8 offset1:12
	v_xor_b32_e32 v13, v9, v21
	v_cmp_lt_i64_e32 vcc, -1, v[22:23]
	v_ashrrev_i32_e32 v9, 31, v23
	s_add_u32 s2, s38, s28
	v_not_b32_e32 v12, v12
	v_cndmask_b32_e64 v8, v8, -1, vcc
	v_not_b32_e32 v14, v9
	s_addc_u32 s3, s39, s29
	v_xor_b32_e32 v16, v12, v16
	v_ashrrev_i32_e32 v12, 31, v21
	v_xor_b32_e32 v9, v8, v23
	v_xor_b32_e32 v8, v14, v22
	v_mov_b32_e32 v15, s3
	v_add_co_u32_e32 v14, vcc, s2, v11
	v_not_b32_e32 v12, v12
	v_addc_co_u32_e32 v15, vcc, 0, v15, vcc
	s_mov_b64 s[0:1], -1
	v_xor_b32_e32 v12, v12, v20
	s_andn2_b64 vcc, exec, s[30:31]
	s_mov_b64 s[6:7], 0
	s_cbranch_vccz .LBB1526_39
; %bb.36:
	s_andn2_b64 vcc, exec, s[0:1]
	s_cbranch_vccz .LBB1526_40
.LBB1526_37:
	s_and_saveexec_b64 s[0:1], s[6:7]
	s_cbranch_execnz .LBB1526_53
.LBB1526_38:
	s_endpgm
.LBB1526_39:
	v_add_co_u32_e32 v20, vcc, 0x1000, v14
	s_add_u32 s0, s42, s28
	v_addc_co_u32_e32 v21, vcc, 0, v15, vcc
	s_addc_u32 s1, s43, s29
	global_store_dwordx2 v[14:15], v[18:19], off
	global_store_dwordx2 v[14:15], v[16:17], off offset:2048
	global_store_dwordx2 v[20:21], v[12:13], off
	global_store_dwordx2 v[20:21], v[8:9], off offset:2048
	v_mov_b32_e32 v20, s1
	v_add_co_u32_e32 v21, vcc, s0, v11
	v_addc_co_u32_e32 v22, vcc, 0, v20, vcc
	v_add_co_u32_e32 v20, vcc, 0x1000, v21
	s_waitcnt lgkmcnt(1)
	global_store_dwordx2 v11, v[4:5], s[0:1]
	global_store_dwordx2 v11, v[6:7], s[0:1] offset:2048
	v_addc_co_u32_e32 v21, vcc, 0, v22, vcc
	s_mov_b64 s[6:7], -1
	s_waitcnt lgkmcnt(0)
	global_store_dwordx2 v[20:21], v[0:1], off
	s_cbranch_execnz .LBB1526_37
.LBB1526_40:
	v_cmp_gt_u32_e64 s[0:1], s33, v10
	s_and_saveexec_b64 s[2:3], s[0:1]
	s_cbranch_execz .LBB1526_42
; %bb.41:
	global_store_dwordx2 v[14:15], v[18:19], off
.LBB1526_42:
	s_or_b64 exec, exec, s[2:3]
	v_add_u32_e32 v18, 0x100, v10
	v_cmp_gt_u32_e64 s[2:3], s33, v18
	s_and_saveexec_b64 s[4:5], s[2:3]
	s_cbranch_execz .LBB1526_44
; %bb.43:
	global_store_dwordx2 v[14:15], v[16:17], off offset:2048
.LBB1526_44:
	s_or_b64 exec, exec, s[4:5]
	v_add_u32_e32 v16, 0x200, v10
	v_cmp_gt_u32_e64 s[4:5], s33, v16
	s_and_saveexec_b64 s[6:7], s[4:5]
	s_cbranch_execz .LBB1526_46
; %bb.45:
	v_add_co_u32_e32 v16, vcc, 0x1000, v14
	v_addc_co_u32_e32 v17, vcc, 0, v15, vcc
	global_store_dwordx2 v[16:17], v[12:13], off
.LBB1526_46:
	s_or_b64 exec, exec, s[6:7]
	v_add_u32_e32 v10, 0x300, v10
	v_cmp_gt_u32_e64 s[6:7], s33, v10
	s_and_saveexec_b64 s[8:9], s[6:7]
	s_cbranch_execz .LBB1526_48
; %bb.47:
	v_add_co_u32_e32 v12, vcc, 0x1000, v14
	v_addc_co_u32_e32 v13, vcc, 0, v15, vcc
	global_store_dwordx2 v[12:13], v[8:9], off offset:2048
.LBB1526_48:
	s_or_b64 exec, exec, s[8:9]
	s_add_u32 s8, s42, s28
	s_addc_u32 s9, s43, s29
	v_mov_b32_e32 v9, s9
	v_add_co_u32_e32 v8, vcc, s8, v11
	v_addc_co_u32_e32 v9, vcc, 0, v9, vcc
	s_and_saveexec_b64 s[8:9], s[0:1]
	s_cbranch_execnz .LBB1526_57
; %bb.49:
	s_or_b64 exec, exec, s[8:9]
	s_and_saveexec_b64 s[0:1], s[2:3]
	s_cbranch_execnz .LBB1526_58
.LBB1526_50:
	s_or_b64 exec, exec, s[0:1]
	s_and_saveexec_b64 s[0:1], s[4:5]
	s_cbranch_execz .LBB1526_52
.LBB1526_51:
	s_waitcnt lgkmcnt(1)
	v_add_co_u32_e32 v4, vcc, 0x1000, v8
	v_addc_co_u32_e32 v5, vcc, 0, v9, vcc
	s_waitcnt lgkmcnt(0)
	global_store_dwordx2 v[4:5], v[0:1], off
.LBB1526_52:
	s_or_b64 exec, exec, s[0:1]
	s_and_saveexec_b64 s[0:1], s[6:7]
	s_cbranch_execz .LBB1526_38
.LBB1526_53:
	s_add_u32 s0, s42, s28
	s_addc_u32 s1, s43, s29
	s_waitcnt lgkmcnt(0)
	v_mov_b32_e32 v0, s1
	v_add_co_u32_e32 v1, vcc, s0, v11
	v_addc_co_u32_e32 v4, vcc, 0, v0, vcc
	v_add_co_u32_e32 v0, vcc, 0x1000, v1
	v_addc_co_u32_e32 v1, vcc, 0, v4, vcc
	global_store_dwordx2 v[0:1], v[2:3], off offset:2048
	s_endpgm
.LBB1526_54:
	global_load_dwordx2 v[28:29], v[12:13], off
	s_or_b64 exec, exec, s[8:9]
                                        ; implicit-def: $vgpr30_vgpr31
	s_and_saveexec_b64 s[8:9], s[0:1]
	s_cbranch_execz .LBB1526_13
.LBB1526_55:
	global_load_dwordx2 v[30:31], v[12:13], off offset:512
	s_or_b64 exec, exec, s[8:9]
                                        ; implicit-def: $vgpr32_vgpr33
	s_and_saveexec_b64 s[0:1], s[2:3]
	s_cbranch_execz .LBB1526_14
.LBB1526_56:
	global_load_dwordx2 v[32:33], v[12:13], off offset:1024
	s_or_b64 exec, exec, s[0:1]
                                        ; implicit-def: $vgpr34_vgpr35
	s_and_saveexec_b64 s[0:1], s[6:7]
	s_cbranch_execnz .LBB1526_15
	s_branch .LBB1526_16
.LBB1526_57:
	s_waitcnt lgkmcnt(1)
	global_store_dwordx2 v[8:9], v[4:5], off
	s_or_b64 exec, exec, s[8:9]
	s_and_saveexec_b64 s[0:1], s[2:3]
	s_cbranch_execz .LBB1526_50
.LBB1526_58:
	s_waitcnt lgkmcnt(1)
	global_store_dwordx2 v[8:9], v[6:7], off offset:2048
	s_or_b64 exec, exec, s[0:1]
	s_and_saveexec_b64 s[0:1], s[4:5]
	s_cbranch_execnz .LBB1526_51
	s_branch .LBB1526_52
	.section	.rodata,"a",@progbits
	.p2align	6, 0x0
	.amdhsa_kernel _ZN7rocprim17ROCPRIM_400000_NS6detail17trampoline_kernelINS0_13kernel_configILj256ELj4ELj4294967295EEENS1_37radix_sort_block_sort_config_selectorIdlEEZNS1_21radix_sort_block_sortIS4_Lb0EPdS8_N6thrust23THRUST_200600_302600_NS10device_ptrIlEESC_NS0_19identity_decomposerEEE10hipError_tT1_T2_T3_T4_jRjT5_jjP12ihipStream_tbEUlT_E_NS1_11comp_targetILNS1_3genE4ELNS1_11target_archE910ELNS1_3gpuE8ELNS1_3repE0EEENS1_44radix_sort_block_sort_config_static_selectorELNS0_4arch9wavefront6targetE1EEEvSF_
		.amdhsa_group_segment_fixed_size 8192
		.amdhsa_private_segment_fixed_size 0
		.amdhsa_kernarg_size 304
		.amdhsa_user_sgpr_count 6
		.amdhsa_user_sgpr_private_segment_buffer 1
		.amdhsa_user_sgpr_dispatch_ptr 0
		.amdhsa_user_sgpr_queue_ptr 0
		.amdhsa_user_sgpr_kernarg_segment_ptr 1
		.amdhsa_user_sgpr_dispatch_id 0
		.amdhsa_user_sgpr_flat_scratch_init 0
		.amdhsa_user_sgpr_kernarg_preload_length 0
		.amdhsa_user_sgpr_kernarg_preload_offset 0
		.amdhsa_user_sgpr_private_segment_size 0
		.amdhsa_uses_dynamic_stack 0
		.amdhsa_system_sgpr_private_segment_wavefront_offset 0
		.amdhsa_system_sgpr_workgroup_id_x 1
		.amdhsa_system_sgpr_workgroup_id_y 0
		.amdhsa_system_sgpr_workgroup_id_z 0
		.amdhsa_system_sgpr_workgroup_info 0
		.amdhsa_system_vgpr_workitem_id 2
		.amdhsa_next_free_vgpr 53
		.amdhsa_next_free_sgpr 48
		.amdhsa_accum_offset 56
		.amdhsa_reserve_vcc 1
		.amdhsa_reserve_flat_scratch 0
		.amdhsa_float_round_mode_32 0
		.amdhsa_float_round_mode_16_64 0
		.amdhsa_float_denorm_mode_32 3
		.amdhsa_float_denorm_mode_16_64 3
		.amdhsa_dx10_clamp 1
		.amdhsa_ieee_mode 1
		.amdhsa_fp16_overflow 0
		.amdhsa_tg_split 0
		.amdhsa_exception_fp_ieee_invalid_op 0
		.amdhsa_exception_fp_denorm_src 0
		.amdhsa_exception_fp_ieee_div_zero 0
		.amdhsa_exception_fp_ieee_overflow 0
		.amdhsa_exception_fp_ieee_underflow 0
		.amdhsa_exception_fp_ieee_inexact 0
		.amdhsa_exception_int_div_zero 0
	.end_amdhsa_kernel
	.section	.text._ZN7rocprim17ROCPRIM_400000_NS6detail17trampoline_kernelINS0_13kernel_configILj256ELj4ELj4294967295EEENS1_37radix_sort_block_sort_config_selectorIdlEEZNS1_21radix_sort_block_sortIS4_Lb0EPdS8_N6thrust23THRUST_200600_302600_NS10device_ptrIlEESC_NS0_19identity_decomposerEEE10hipError_tT1_T2_T3_T4_jRjT5_jjP12ihipStream_tbEUlT_E_NS1_11comp_targetILNS1_3genE4ELNS1_11target_archE910ELNS1_3gpuE8ELNS1_3repE0EEENS1_44radix_sort_block_sort_config_static_selectorELNS0_4arch9wavefront6targetE1EEEvSF_,"axG",@progbits,_ZN7rocprim17ROCPRIM_400000_NS6detail17trampoline_kernelINS0_13kernel_configILj256ELj4ELj4294967295EEENS1_37radix_sort_block_sort_config_selectorIdlEEZNS1_21radix_sort_block_sortIS4_Lb0EPdS8_N6thrust23THRUST_200600_302600_NS10device_ptrIlEESC_NS0_19identity_decomposerEEE10hipError_tT1_T2_T3_T4_jRjT5_jjP12ihipStream_tbEUlT_E_NS1_11comp_targetILNS1_3genE4ELNS1_11target_archE910ELNS1_3gpuE8ELNS1_3repE0EEENS1_44radix_sort_block_sort_config_static_selectorELNS0_4arch9wavefront6targetE1EEEvSF_,comdat
.Lfunc_end1526:
	.size	_ZN7rocprim17ROCPRIM_400000_NS6detail17trampoline_kernelINS0_13kernel_configILj256ELj4ELj4294967295EEENS1_37radix_sort_block_sort_config_selectorIdlEEZNS1_21radix_sort_block_sortIS4_Lb0EPdS8_N6thrust23THRUST_200600_302600_NS10device_ptrIlEESC_NS0_19identity_decomposerEEE10hipError_tT1_T2_T3_T4_jRjT5_jjP12ihipStream_tbEUlT_E_NS1_11comp_targetILNS1_3genE4ELNS1_11target_archE910ELNS1_3gpuE8ELNS1_3repE0EEENS1_44radix_sort_block_sort_config_static_selectorELNS0_4arch9wavefront6targetE1EEEvSF_, .Lfunc_end1526-_ZN7rocprim17ROCPRIM_400000_NS6detail17trampoline_kernelINS0_13kernel_configILj256ELj4ELj4294967295EEENS1_37radix_sort_block_sort_config_selectorIdlEEZNS1_21radix_sort_block_sortIS4_Lb0EPdS8_N6thrust23THRUST_200600_302600_NS10device_ptrIlEESC_NS0_19identity_decomposerEEE10hipError_tT1_T2_T3_T4_jRjT5_jjP12ihipStream_tbEUlT_E_NS1_11comp_targetILNS1_3genE4ELNS1_11target_archE910ELNS1_3gpuE8ELNS1_3repE0EEENS1_44radix_sort_block_sort_config_static_selectorELNS0_4arch9wavefront6targetE1EEEvSF_
                                        ; -- End function
	.section	.AMDGPU.csdata,"",@progbits
; Kernel info:
; codeLenInByte = 4164
; NumSgprs: 52
; NumVgprs: 53
; NumAgprs: 0
; TotalNumVgprs: 53
; ScratchSize: 0
; MemoryBound: 1
; FloatMode: 240
; IeeeMode: 1
; LDSByteSize: 8192 bytes/workgroup (compile time only)
; SGPRBlocks: 6
; VGPRBlocks: 6
; NumSGPRsForWavesPerEU: 52
; NumVGPRsForWavesPerEU: 53
; AccumOffset: 56
; Occupancy: 8
; WaveLimiterHint : 1
; COMPUTE_PGM_RSRC2:SCRATCH_EN: 0
; COMPUTE_PGM_RSRC2:USER_SGPR: 6
; COMPUTE_PGM_RSRC2:TRAP_HANDLER: 0
; COMPUTE_PGM_RSRC2:TGID_X_EN: 1
; COMPUTE_PGM_RSRC2:TGID_Y_EN: 0
; COMPUTE_PGM_RSRC2:TGID_Z_EN: 0
; COMPUTE_PGM_RSRC2:TIDIG_COMP_CNT: 2
; COMPUTE_PGM_RSRC3_GFX90A:ACCUM_OFFSET: 13
; COMPUTE_PGM_RSRC3_GFX90A:TG_SPLIT: 0
	.section	.text._ZN7rocprim17ROCPRIM_400000_NS6detail17trampoline_kernelINS0_13kernel_configILj256ELj4ELj4294967295EEENS1_37radix_sort_block_sort_config_selectorIdlEEZNS1_21radix_sort_block_sortIS4_Lb0EPdS8_N6thrust23THRUST_200600_302600_NS10device_ptrIlEESC_NS0_19identity_decomposerEEE10hipError_tT1_T2_T3_T4_jRjT5_jjP12ihipStream_tbEUlT_E_NS1_11comp_targetILNS1_3genE3ELNS1_11target_archE908ELNS1_3gpuE7ELNS1_3repE0EEENS1_44radix_sort_block_sort_config_static_selectorELNS0_4arch9wavefront6targetE1EEEvSF_,"axG",@progbits,_ZN7rocprim17ROCPRIM_400000_NS6detail17trampoline_kernelINS0_13kernel_configILj256ELj4ELj4294967295EEENS1_37radix_sort_block_sort_config_selectorIdlEEZNS1_21radix_sort_block_sortIS4_Lb0EPdS8_N6thrust23THRUST_200600_302600_NS10device_ptrIlEESC_NS0_19identity_decomposerEEE10hipError_tT1_T2_T3_T4_jRjT5_jjP12ihipStream_tbEUlT_E_NS1_11comp_targetILNS1_3genE3ELNS1_11target_archE908ELNS1_3gpuE7ELNS1_3repE0EEENS1_44radix_sort_block_sort_config_static_selectorELNS0_4arch9wavefront6targetE1EEEvSF_,comdat
	.protected	_ZN7rocprim17ROCPRIM_400000_NS6detail17trampoline_kernelINS0_13kernel_configILj256ELj4ELj4294967295EEENS1_37radix_sort_block_sort_config_selectorIdlEEZNS1_21radix_sort_block_sortIS4_Lb0EPdS8_N6thrust23THRUST_200600_302600_NS10device_ptrIlEESC_NS0_19identity_decomposerEEE10hipError_tT1_T2_T3_T4_jRjT5_jjP12ihipStream_tbEUlT_E_NS1_11comp_targetILNS1_3genE3ELNS1_11target_archE908ELNS1_3gpuE7ELNS1_3repE0EEENS1_44radix_sort_block_sort_config_static_selectorELNS0_4arch9wavefront6targetE1EEEvSF_ ; -- Begin function _ZN7rocprim17ROCPRIM_400000_NS6detail17trampoline_kernelINS0_13kernel_configILj256ELj4ELj4294967295EEENS1_37radix_sort_block_sort_config_selectorIdlEEZNS1_21radix_sort_block_sortIS4_Lb0EPdS8_N6thrust23THRUST_200600_302600_NS10device_ptrIlEESC_NS0_19identity_decomposerEEE10hipError_tT1_T2_T3_T4_jRjT5_jjP12ihipStream_tbEUlT_E_NS1_11comp_targetILNS1_3genE3ELNS1_11target_archE908ELNS1_3gpuE7ELNS1_3repE0EEENS1_44radix_sort_block_sort_config_static_selectorELNS0_4arch9wavefront6targetE1EEEvSF_
	.globl	_ZN7rocprim17ROCPRIM_400000_NS6detail17trampoline_kernelINS0_13kernel_configILj256ELj4ELj4294967295EEENS1_37radix_sort_block_sort_config_selectorIdlEEZNS1_21radix_sort_block_sortIS4_Lb0EPdS8_N6thrust23THRUST_200600_302600_NS10device_ptrIlEESC_NS0_19identity_decomposerEEE10hipError_tT1_T2_T3_T4_jRjT5_jjP12ihipStream_tbEUlT_E_NS1_11comp_targetILNS1_3genE3ELNS1_11target_archE908ELNS1_3gpuE7ELNS1_3repE0EEENS1_44radix_sort_block_sort_config_static_selectorELNS0_4arch9wavefront6targetE1EEEvSF_
	.p2align	8
	.type	_ZN7rocprim17ROCPRIM_400000_NS6detail17trampoline_kernelINS0_13kernel_configILj256ELj4ELj4294967295EEENS1_37radix_sort_block_sort_config_selectorIdlEEZNS1_21radix_sort_block_sortIS4_Lb0EPdS8_N6thrust23THRUST_200600_302600_NS10device_ptrIlEESC_NS0_19identity_decomposerEEE10hipError_tT1_T2_T3_T4_jRjT5_jjP12ihipStream_tbEUlT_E_NS1_11comp_targetILNS1_3genE3ELNS1_11target_archE908ELNS1_3gpuE7ELNS1_3repE0EEENS1_44radix_sort_block_sort_config_static_selectorELNS0_4arch9wavefront6targetE1EEEvSF_,@function
_ZN7rocprim17ROCPRIM_400000_NS6detail17trampoline_kernelINS0_13kernel_configILj256ELj4ELj4294967295EEENS1_37radix_sort_block_sort_config_selectorIdlEEZNS1_21radix_sort_block_sortIS4_Lb0EPdS8_N6thrust23THRUST_200600_302600_NS10device_ptrIlEESC_NS0_19identity_decomposerEEE10hipError_tT1_T2_T3_T4_jRjT5_jjP12ihipStream_tbEUlT_E_NS1_11comp_targetILNS1_3genE3ELNS1_11target_archE908ELNS1_3gpuE7ELNS1_3repE0EEENS1_44radix_sort_block_sort_config_static_selectorELNS0_4arch9wavefront6targetE1EEEvSF_: ; @_ZN7rocprim17ROCPRIM_400000_NS6detail17trampoline_kernelINS0_13kernel_configILj256ELj4ELj4294967295EEENS1_37radix_sort_block_sort_config_selectorIdlEEZNS1_21radix_sort_block_sortIS4_Lb0EPdS8_N6thrust23THRUST_200600_302600_NS10device_ptrIlEESC_NS0_19identity_decomposerEEE10hipError_tT1_T2_T3_T4_jRjT5_jjP12ihipStream_tbEUlT_E_NS1_11comp_targetILNS1_3genE3ELNS1_11target_archE908ELNS1_3gpuE7ELNS1_3repE0EEENS1_44radix_sort_block_sort_config_static_selectorELNS0_4arch9wavefront6targetE1EEEvSF_
; %bb.0:
	.section	.rodata,"a",@progbits
	.p2align	6, 0x0
	.amdhsa_kernel _ZN7rocprim17ROCPRIM_400000_NS6detail17trampoline_kernelINS0_13kernel_configILj256ELj4ELj4294967295EEENS1_37radix_sort_block_sort_config_selectorIdlEEZNS1_21radix_sort_block_sortIS4_Lb0EPdS8_N6thrust23THRUST_200600_302600_NS10device_ptrIlEESC_NS0_19identity_decomposerEEE10hipError_tT1_T2_T3_T4_jRjT5_jjP12ihipStream_tbEUlT_E_NS1_11comp_targetILNS1_3genE3ELNS1_11target_archE908ELNS1_3gpuE7ELNS1_3repE0EEENS1_44radix_sort_block_sort_config_static_selectorELNS0_4arch9wavefront6targetE1EEEvSF_
		.amdhsa_group_segment_fixed_size 0
		.amdhsa_private_segment_fixed_size 0
		.amdhsa_kernarg_size 48
		.amdhsa_user_sgpr_count 6
		.amdhsa_user_sgpr_private_segment_buffer 1
		.amdhsa_user_sgpr_dispatch_ptr 0
		.amdhsa_user_sgpr_queue_ptr 0
		.amdhsa_user_sgpr_kernarg_segment_ptr 1
		.amdhsa_user_sgpr_dispatch_id 0
		.amdhsa_user_sgpr_flat_scratch_init 0
		.amdhsa_user_sgpr_kernarg_preload_length 0
		.amdhsa_user_sgpr_kernarg_preload_offset 0
		.amdhsa_user_sgpr_private_segment_size 0
		.amdhsa_uses_dynamic_stack 0
		.amdhsa_system_sgpr_private_segment_wavefront_offset 0
		.amdhsa_system_sgpr_workgroup_id_x 1
		.amdhsa_system_sgpr_workgroup_id_y 0
		.amdhsa_system_sgpr_workgroup_id_z 0
		.amdhsa_system_sgpr_workgroup_info 0
		.amdhsa_system_vgpr_workitem_id 0
		.amdhsa_next_free_vgpr 1
		.amdhsa_next_free_sgpr 0
		.amdhsa_accum_offset 4
		.amdhsa_reserve_vcc 0
		.amdhsa_reserve_flat_scratch 0
		.amdhsa_float_round_mode_32 0
		.amdhsa_float_round_mode_16_64 0
		.amdhsa_float_denorm_mode_32 3
		.amdhsa_float_denorm_mode_16_64 3
		.amdhsa_dx10_clamp 1
		.amdhsa_ieee_mode 1
		.amdhsa_fp16_overflow 0
		.amdhsa_tg_split 0
		.amdhsa_exception_fp_ieee_invalid_op 0
		.amdhsa_exception_fp_denorm_src 0
		.amdhsa_exception_fp_ieee_div_zero 0
		.amdhsa_exception_fp_ieee_overflow 0
		.amdhsa_exception_fp_ieee_underflow 0
		.amdhsa_exception_fp_ieee_inexact 0
		.amdhsa_exception_int_div_zero 0
	.end_amdhsa_kernel
	.section	.text._ZN7rocprim17ROCPRIM_400000_NS6detail17trampoline_kernelINS0_13kernel_configILj256ELj4ELj4294967295EEENS1_37radix_sort_block_sort_config_selectorIdlEEZNS1_21radix_sort_block_sortIS4_Lb0EPdS8_N6thrust23THRUST_200600_302600_NS10device_ptrIlEESC_NS0_19identity_decomposerEEE10hipError_tT1_T2_T3_T4_jRjT5_jjP12ihipStream_tbEUlT_E_NS1_11comp_targetILNS1_3genE3ELNS1_11target_archE908ELNS1_3gpuE7ELNS1_3repE0EEENS1_44radix_sort_block_sort_config_static_selectorELNS0_4arch9wavefront6targetE1EEEvSF_,"axG",@progbits,_ZN7rocprim17ROCPRIM_400000_NS6detail17trampoline_kernelINS0_13kernel_configILj256ELj4ELj4294967295EEENS1_37radix_sort_block_sort_config_selectorIdlEEZNS1_21radix_sort_block_sortIS4_Lb0EPdS8_N6thrust23THRUST_200600_302600_NS10device_ptrIlEESC_NS0_19identity_decomposerEEE10hipError_tT1_T2_T3_T4_jRjT5_jjP12ihipStream_tbEUlT_E_NS1_11comp_targetILNS1_3genE3ELNS1_11target_archE908ELNS1_3gpuE7ELNS1_3repE0EEENS1_44radix_sort_block_sort_config_static_selectorELNS0_4arch9wavefront6targetE1EEEvSF_,comdat
.Lfunc_end1527:
	.size	_ZN7rocprim17ROCPRIM_400000_NS6detail17trampoline_kernelINS0_13kernel_configILj256ELj4ELj4294967295EEENS1_37radix_sort_block_sort_config_selectorIdlEEZNS1_21radix_sort_block_sortIS4_Lb0EPdS8_N6thrust23THRUST_200600_302600_NS10device_ptrIlEESC_NS0_19identity_decomposerEEE10hipError_tT1_T2_T3_T4_jRjT5_jjP12ihipStream_tbEUlT_E_NS1_11comp_targetILNS1_3genE3ELNS1_11target_archE908ELNS1_3gpuE7ELNS1_3repE0EEENS1_44radix_sort_block_sort_config_static_selectorELNS0_4arch9wavefront6targetE1EEEvSF_, .Lfunc_end1527-_ZN7rocprim17ROCPRIM_400000_NS6detail17trampoline_kernelINS0_13kernel_configILj256ELj4ELj4294967295EEENS1_37radix_sort_block_sort_config_selectorIdlEEZNS1_21radix_sort_block_sortIS4_Lb0EPdS8_N6thrust23THRUST_200600_302600_NS10device_ptrIlEESC_NS0_19identity_decomposerEEE10hipError_tT1_T2_T3_T4_jRjT5_jjP12ihipStream_tbEUlT_E_NS1_11comp_targetILNS1_3genE3ELNS1_11target_archE908ELNS1_3gpuE7ELNS1_3repE0EEENS1_44radix_sort_block_sort_config_static_selectorELNS0_4arch9wavefront6targetE1EEEvSF_
                                        ; -- End function
	.section	.AMDGPU.csdata,"",@progbits
; Kernel info:
; codeLenInByte = 0
; NumSgprs: 4
; NumVgprs: 0
; NumAgprs: 0
; TotalNumVgprs: 0
; ScratchSize: 0
; MemoryBound: 0
; FloatMode: 240
; IeeeMode: 1
; LDSByteSize: 0 bytes/workgroup (compile time only)
; SGPRBlocks: 0
; VGPRBlocks: 0
; NumSGPRsForWavesPerEU: 4
; NumVGPRsForWavesPerEU: 1
; AccumOffset: 4
; Occupancy: 8
; WaveLimiterHint : 0
; COMPUTE_PGM_RSRC2:SCRATCH_EN: 0
; COMPUTE_PGM_RSRC2:USER_SGPR: 6
; COMPUTE_PGM_RSRC2:TRAP_HANDLER: 0
; COMPUTE_PGM_RSRC2:TGID_X_EN: 1
; COMPUTE_PGM_RSRC2:TGID_Y_EN: 0
; COMPUTE_PGM_RSRC2:TGID_Z_EN: 0
; COMPUTE_PGM_RSRC2:TIDIG_COMP_CNT: 0
; COMPUTE_PGM_RSRC3_GFX90A:ACCUM_OFFSET: 0
; COMPUTE_PGM_RSRC3_GFX90A:TG_SPLIT: 0
	.section	.text._ZN7rocprim17ROCPRIM_400000_NS6detail17trampoline_kernelINS0_13kernel_configILj256ELj4ELj4294967295EEENS1_37radix_sort_block_sort_config_selectorIdlEEZNS1_21radix_sort_block_sortIS4_Lb0EPdS8_N6thrust23THRUST_200600_302600_NS10device_ptrIlEESC_NS0_19identity_decomposerEEE10hipError_tT1_T2_T3_T4_jRjT5_jjP12ihipStream_tbEUlT_E_NS1_11comp_targetILNS1_3genE2ELNS1_11target_archE906ELNS1_3gpuE6ELNS1_3repE0EEENS1_44radix_sort_block_sort_config_static_selectorELNS0_4arch9wavefront6targetE1EEEvSF_,"axG",@progbits,_ZN7rocprim17ROCPRIM_400000_NS6detail17trampoline_kernelINS0_13kernel_configILj256ELj4ELj4294967295EEENS1_37radix_sort_block_sort_config_selectorIdlEEZNS1_21radix_sort_block_sortIS4_Lb0EPdS8_N6thrust23THRUST_200600_302600_NS10device_ptrIlEESC_NS0_19identity_decomposerEEE10hipError_tT1_T2_T3_T4_jRjT5_jjP12ihipStream_tbEUlT_E_NS1_11comp_targetILNS1_3genE2ELNS1_11target_archE906ELNS1_3gpuE6ELNS1_3repE0EEENS1_44radix_sort_block_sort_config_static_selectorELNS0_4arch9wavefront6targetE1EEEvSF_,comdat
	.protected	_ZN7rocprim17ROCPRIM_400000_NS6detail17trampoline_kernelINS0_13kernel_configILj256ELj4ELj4294967295EEENS1_37radix_sort_block_sort_config_selectorIdlEEZNS1_21radix_sort_block_sortIS4_Lb0EPdS8_N6thrust23THRUST_200600_302600_NS10device_ptrIlEESC_NS0_19identity_decomposerEEE10hipError_tT1_T2_T3_T4_jRjT5_jjP12ihipStream_tbEUlT_E_NS1_11comp_targetILNS1_3genE2ELNS1_11target_archE906ELNS1_3gpuE6ELNS1_3repE0EEENS1_44radix_sort_block_sort_config_static_selectorELNS0_4arch9wavefront6targetE1EEEvSF_ ; -- Begin function _ZN7rocprim17ROCPRIM_400000_NS6detail17trampoline_kernelINS0_13kernel_configILj256ELj4ELj4294967295EEENS1_37radix_sort_block_sort_config_selectorIdlEEZNS1_21radix_sort_block_sortIS4_Lb0EPdS8_N6thrust23THRUST_200600_302600_NS10device_ptrIlEESC_NS0_19identity_decomposerEEE10hipError_tT1_T2_T3_T4_jRjT5_jjP12ihipStream_tbEUlT_E_NS1_11comp_targetILNS1_3genE2ELNS1_11target_archE906ELNS1_3gpuE6ELNS1_3repE0EEENS1_44radix_sort_block_sort_config_static_selectorELNS0_4arch9wavefront6targetE1EEEvSF_
	.globl	_ZN7rocprim17ROCPRIM_400000_NS6detail17trampoline_kernelINS0_13kernel_configILj256ELj4ELj4294967295EEENS1_37radix_sort_block_sort_config_selectorIdlEEZNS1_21radix_sort_block_sortIS4_Lb0EPdS8_N6thrust23THRUST_200600_302600_NS10device_ptrIlEESC_NS0_19identity_decomposerEEE10hipError_tT1_T2_T3_T4_jRjT5_jjP12ihipStream_tbEUlT_E_NS1_11comp_targetILNS1_3genE2ELNS1_11target_archE906ELNS1_3gpuE6ELNS1_3repE0EEENS1_44radix_sort_block_sort_config_static_selectorELNS0_4arch9wavefront6targetE1EEEvSF_
	.p2align	8
	.type	_ZN7rocprim17ROCPRIM_400000_NS6detail17trampoline_kernelINS0_13kernel_configILj256ELj4ELj4294967295EEENS1_37radix_sort_block_sort_config_selectorIdlEEZNS1_21radix_sort_block_sortIS4_Lb0EPdS8_N6thrust23THRUST_200600_302600_NS10device_ptrIlEESC_NS0_19identity_decomposerEEE10hipError_tT1_T2_T3_T4_jRjT5_jjP12ihipStream_tbEUlT_E_NS1_11comp_targetILNS1_3genE2ELNS1_11target_archE906ELNS1_3gpuE6ELNS1_3repE0EEENS1_44radix_sort_block_sort_config_static_selectorELNS0_4arch9wavefront6targetE1EEEvSF_,@function
_ZN7rocprim17ROCPRIM_400000_NS6detail17trampoline_kernelINS0_13kernel_configILj256ELj4ELj4294967295EEENS1_37radix_sort_block_sort_config_selectorIdlEEZNS1_21radix_sort_block_sortIS4_Lb0EPdS8_N6thrust23THRUST_200600_302600_NS10device_ptrIlEESC_NS0_19identity_decomposerEEE10hipError_tT1_T2_T3_T4_jRjT5_jjP12ihipStream_tbEUlT_E_NS1_11comp_targetILNS1_3genE2ELNS1_11target_archE906ELNS1_3gpuE6ELNS1_3repE0EEENS1_44radix_sort_block_sort_config_static_selectorELNS0_4arch9wavefront6targetE1EEEvSF_: ; @_ZN7rocprim17ROCPRIM_400000_NS6detail17trampoline_kernelINS0_13kernel_configILj256ELj4ELj4294967295EEENS1_37radix_sort_block_sort_config_selectorIdlEEZNS1_21radix_sort_block_sortIS4_Lb0EPdS8_N6thrust23THRUST_200600_302600_NS10device_ptrIlEESC_NS0_19identity_decomposerEEE10hipError_tT1_T2_T3_T4_jRjT5_jjP12ihipStream_tbEUlT_E_NS1_11comp_targetILNS1_3genE2ELNS1_11target_archE906ELNS1_3gpuE6ELNS1_3repE0EEENS1_44radix_sort_block_sort_config_static_selectorELNS0_4arch9wavefront6targetE1EEEvSF_
; %bb.0:
	.section	.rodata,"a",@progbits
	.p2align	6, 0x0
	.amdhsa_kernel _ZN7rocprim17ROCPRIM_400000_NS6detail17trampoline_kernelINS0_13kernel_configILj256ELj4ELj4294967295EEENS1_37radix_sort_block_sort_config_selectorIdlEEZNS1_21radix_sort_block_sortIS4_Lb0EPdS8_N6thrust23THRUST_200600_302600_NS10device_ptrIlEESC_NS0_19identity_decomposerEEE10hipError_tT1_T2_T3_T4_jRjT5_jjP12ihipStream_tbEUlT_E_NS1_11comp_targetILNS1_3genE2ELNS1_11target_archE906ELNS1_3gpuE6ELNS1_3repE0EEENS1_44radix_sort_block_sort_config_static_selectorELNS0_4arch9wavefront6targetE1EEEvSF_
		.amdhsa_group_segment_fixed_size 0
		.amdhsa_private_segment_fixed_size 0
		.amdhsa_kernarg_size 48
		.amdhsa_user_sgpr_count 6
		.amdhsa_user_sgpr_private_segment_buffer 1
		.amdhsa_user_sgpr_dispatch_ptr 0
		.amdhsa_user_sgpr_queue_ptr 0
		.amdhsa_user_sgpr_kernarg_segment_ptr 1
		.amdhsa_user_sgpr_dispatch_id 0
		.amdhsa_user_sgpr_flat_scratch_init 0
		.amdhsa_user_sgpr_kernarg_preload_length 0
		.amdhsa_user_sgpr_kernarg_preload_offset 0
		.amdhsa_user_sgpr_private_segment_size 0
		.amdhsa_uses_dynamic_stack 0
		.amdhsa_system_sgpr_private_segment_wavefront_offset 0
		.amdhsa_system_sgpr_workgroup_id_x 1
		.amdhsa_system_sgpr_workgroup_id_y 0
		.amdhsa_system_sgpr_workgroup_id_z 0
		.amdhsa_system_sgpr_workgroup_info 0
		.amdhsa_system_vgpr_workitem_id 0
		.amdhsa_next_free_vgpr 1
		.amdhsa_next_free_sgpr 0
		.amdhsa_accum_offset 4
		.amdhsa_reserve_vcc 0
		.amdhsa_reserve_flat_scratch 0
		.amdhsa_float_round_mode_32 0
		.amdhsa_float_round_mode_16_64 0
		.amdhsa_float_denorm_mode_32 3
		.amdhsa_float_denorm_mode_16_64 3
		.amdhsa_dx10_clamp 1
		.amdhsa_ieee_mode 1
		.amdhsa_fp16_overflow 0
		.amdhsa_tg_split 0
		.amdhsa_exception_fp_ieee_invalid_op 0
		.amdhsa_exception_fp_denorm_src 0
		.amdhsa_exception_fp_ieee_div_zero 0
		.amdhsa_exception_fp_ieee_overflow 0
		.amdhsa_exception_fp_ieee_underflow 0
		.amdhsa_exception_fp_ieee_inexact 0
		.amdhsa_exception_int_div_zero 0
	.end_amdhsa_kernel
	.section	.text._ZN7rocprim17ROCPRIM_400000_NS6detail17trampoline_kernelINS0_13kernel_configILj256ELj4ELj4294967295EEENS1_37radix_sort_block_sort_config_selectorIdlEEZNS1_21radix_sort_block_sortIS4_Lb0EPdS8_N6thrust23THRUST_200600_302600_NS10device_ptrIlEESC_NS0_19identity_decomposerEEE10hipError_tT1_T2_T3_T4_jRjT5_jjP12ihipStream_tbEUlT_E_NS1_11comp_targetILNS1_3genE2ELNS1_11target_archE906ELNS1_3gpuE6ELNS1_3repE0EEENS1_44radix_sort_block_sort_config_static_selectorELNS0_4arch9wavefront6targetE1EEEvSF_,"axG",@progbits,_ZN7rocprim17ROCPRIM_400000_NS6detail17trampoline_kernelINS0_13kernel_configILj256ELj4ELj4294967295EEENS1_37radix_sort_block_sort_config_selectorIdlEEZNS1_21radix_sort_block_sortIS4_Lb0EPdS8_N6thrust23THRUST_200600_302600_NS10device_ptrIlEESC_NS0_19identity_decomposerEEE10hipError_tT1_T2_T3_T4_jRjT5_jjP12ihipStream_tbEUlT_E_NS1_11comp_targetILNS1_3genE2ELNS1_11target_archE906ELNS1_3gpuE6ELNS1_3repE0EEENS1_44radix_sort_block_sort_config_static_selectorELNS0_4arch9wavefront6targetE1EEEvSF_,comdat
.Lfunc_end1528:
	.size	_ZN7rocprim17ROCPRIM_400000_NS6detail17trampoline_kernelINS0_13kernel_configILj256ELj4ELj4294967295EEENS1_37radix_sort_block_sort_config_selectorIdlEEZNS1_21radix_sort_block_sortIS4_Lb0EPdS8_N6thrust23THRUST_200600_302600_NS10device_ptrIlEESC_NS0_19identity_decomposerEEE10hipError_tT1_T2_T3_T4_jRjT5_jjP12ihipStream_tbEUlT_E_NS1_11comp_targetILNS1_3genE2ELNS1_11target_archE906ELNS1_3gpuE6ELNS1_3repE0EEENS1_44radix_sort_block_sort_config_static_selectorELNS0_4arch9wavefront6targetE1EEEvSF_, .Lfunc_end1528-_ZN7rocprim17ROCPRIM_400000_NS6detail17trampoline_kernelINS0_13kernel_configILj256ELj4ELj4294967295EEENS1_37radix_sort_block_sort_config_selectorIdlEEZNS1_21radix_sort_block_sortIS4_Lb0EPdS8_N6thrust23THRUST_200600_302600_NS10device_ptrIlEESC_NS0_19identity_decomposerEEE10hipError_tT1_T2_T3_T4_jRjT5_jjP12ihipStream_tbEUlT_E_NS1_11comp_targetILNS1_3genE2ELNS1_11target_archE906ELNS1_3gpuE6ELNS1_3repE0EEENS1_44radix_sort_block_sort_config_static_selectorELNS0_4arch9wavefront6targetE1EEEvSF_
                                        ; -- End function
	.section	.AMDGPU.csdata,"",@progbits
; Kernel info:
; codeLenInByte = 0
; NumSgprs: 4
; NumVgprs: 0
; NumAgprs: 0
; TotalNumVgprs: 0
; ScratchSize: 0
; MemoryBound: 0
; FloatMode: 240
; IeeeMode: 1
; LDSByteSize: 0 bytes/workgroup (compile time only)
; SGPRBlocks: 0
; VGPRBlocks: 0
; NumSGPRsForWavesPerEU: 4
; NumVGPRsForWavesPerEU: 1
; AccumOffset: 4
; Occupancy: 8
; WaveLimiterHint : 0
; COMPUTE_PGM_RSRC2:SCRATCH_EN: 0
; COMPUTE_PGM_RSRC2:USER_SGPR: 6
; COMPUTE_PGM_RSRC2:TRAP_HANDLER: 0
; COMPUTE_PGM_RSRC2:TGID_X_EN: 1
; COMPUTE_PGM_RSRC2:TGID_Y_EN: 0
; COMPUTE_PGM_RSRC2:TGID_Z_EN: 0
; COMPUTE_PGM_RSRC2:TIDIG_COMP_CNT: 0
; COMPUTE_PGM_RSRC3_GFX90A:ACCUM_OFFSET: 0
; COMPUTE_PGM_RSRC3_GFX90A:TG_SPLIT: 0
	.section	.text._ZN7rocprim17ROCPRIM_400000_NS6detail17trampoline_kernelINS0_13kernel_configILj256ELj4ELj4294967295EEENS1_37radix_sort_block_sort_config_selectorIdlEEZNS1_21radix_sort_block_sortIS4_Lb0EPdS8_N6thrust23THRUST_200600_302600_NS10device_ptrIlEESC_NS0_19identity_decomposerEEE10hipError_tT1_T2_T3_T4_jRjT5_jjP12ihipStream_tbEUlT_E_NS1_11comp_targetILNS1_3genE10ELNS1_11target_archE1201ELNS1_3gpuE5ELNS1_3repE0EEENS1_44radix_sort_block_sort_config_static_selectorELNS0_4arch9wavefront6targetE1EEEvSF_,"axG",@progbits,_ZN7rocprim17ROCPRIM_400000_NS6detail17trampoline_kernelINS0_13kernel_configILj256ELj4ELj4294967295EEENS1_37radix_sort_block_sort_config_selectorIdlEEZNS1_21radix_sort_block_sortIS4_Lb0EPdS8_N6thrust23THRUST_200600_302600_NS10device_ptrIlEESC_NS0_19identity_decomposerEEE10hipError_tT1_T2_T3_T4_jRjT5_jjP12ihipStream_tbEUlT_E_NS1_11comp_targetILNS1_3genE10ELNS1_11target_archE1201ELNS1_3gpuE5ELNS1_3repE0EEENS1_44radix_sort_block_sort_config_static_selectorELNS0_4arch9wavefront6targetE1EEEvSF_,comdat
	.protected	_ZN7rocprim17ROCPRIM_400000_NS6detail17trampoline_kernelINS0_13kernel_configILj256ELj4ELj4294967295EEENS1_37radix_sort_block_sort_config_selectorIdlEEZNS1_21radix_sort_block_sortIS4_Lb0EPdS8_N6thrust23THRUST_200600_302600_NS10device_ptrIlEESC_NS0_19identity_decomposerEEE10hipError_tT1_T2_T3_T4_jRjT5_jjP12ihipStream_tbEUlT_E_NS1_11comp_targetILNS1_3genE10ELNS1_11target_archE1201ELNS1_3gpuE5ELNS1_3repE0EEENS1_44radix_sort_block_sort_config_static_selectorELNS0_4arch9wavefront6targetE1EEEvSF_ ; -- Begin function _ZN7rocprim17ROCPRIM_400000_NS6detail17trampoline_kernelINS0_13kernel_configILj256ELj4ELj4294967295EEENS1_37radix_sort_block_sort_config_selectorIdlEEZNS1_21radix_sort_block_sortIS4_Lb0EPdS8_N6thrust23THRUST_200600_302600_NS10device_ptrIlEESC_NS0_19identity_decomposerEEE10hipError_tT1_T2_T3_T4_jRjT5_jjP12ihipStream_tbEUlT_E_NS1_11comp_targetILNS1_3genE10ELNS1_11target_archE1201ELNS1_3gpuE5ELNS1_3repE0EEENS1_44radix_sort_block_sort_config_static_selectorELNS0_4arch9wavefront6targetE1EEEvSF_
	.globl	_ZN7rocprim17ROCPRIM_400000_NS6detail17trampoline_kernelINS0_13kernel_configILj256ELj4ELj4294967295EEENS1_37radix_sort_block_sort_config_selectorIdlEEZNS1_21radix_sort_block_sortIS4_Lb0EPdS8_N6thrust23THRUST_200600_302600_NS10device_ptrIlEESC_NS0_19identity_decomposerEEE10hipError_tT1_T2_T3_T4_jRjT5_jjP12ihipStream_tbEUlT_E_NS1_11comp_targetILNS1_3genE10ELNS1_11target_archE1201ELNS1_3gpuE5ELNS1_3repE0EEENS1_44radix_sort_block_sort_config_static_selectorELNS0_4arch9wavefront6targetE1EEEvSF_
	.p2align	8
	.type	_ZN7rocprim17ROCPRIM_400000_NS6detail17trampoline_kernelINS0_13kernel_configILj256ELj4ELj4294967295EEENS1_37radix_sort_block_sort_config_selectorIdlEEZNS1_21radix_sort_block_sortIS4_Lb0EPdS8_N6thrust23THRUST_200600_302600_NS10device_ptrIlEESC_NS0_19identity_decomposerEEE10hipError_tT1_T2_T3_T4_jRjT5_jjP12ihipStream_tbEUlT_E_NS1_11comp_targetILNS1_3genE10ELNS1_11target_archE1201ELNS1_3gpuE5ELNS1_3repE0EEENS1_44radix_sort_block_sort_config_static_selectorELNS0_4arch9wavefront6targetE1EEEvSF_,@function
_ZN7rocprim17ROCPRIM_400000_NS6detail17trampoline_kernelINS0_13kernel_configILj256ELj4ELj4294967295EEENS1_37radix_sort_block_sort_config_selectorIdlEEZNS1_21radix_sort_block_sortIS4_Lb0EPdS8_N6thrust23THRUST_200600_302600_NS10device_ptrIlEESC_NS0_19identity_decomposerEEE10hipError_tT1_T2_T3_T4_jRjT5_jjP12ihipStream_tbEUlT_E_NS1_11comp_targetILNS1_3genE10ELNS1_11target_archE1201ELNS1_3gpuE5ELNS1_3repE0EEENS1_44radix_sort_block_sort_config_static_selectorELNS0_4arch9wavefront6targetE1EEEvSF_: ; @_ZN7rocprim17ROCPRIM_400000_NS6detail17trampoline_kernelINS0_13kernel_configILj256ELj4ELj4294967295EEENS1_37radix_sort_block_sort_config_selectorIdlEEZNS1_21radix_sort_block_sortIS4_Lb0EPdS8_N6thrust23THRUST_200600_302600_NS10device_ptrIlEESC_NS0_19identity_decomposerEEE10hipError_tT1_T2_T3_T4_jRjT5_jjP12ihipStream_tbEUlT_E_NS1_11comp_targetILNS1_3genE10ELNS1_11target_archE1201ELNS1_3gpuE5ELNS1_3repE0EEENS1_44radix_sort_block_sort_config_static_selectorELNS0_4arch9wavefront6targetE1EEEvSF_
; %bb.0:
	.section	.rodata,"a",@progbits
	.p2align	6, 0x0
	.amdhsa_kernel _ZN7rocprim17ROCPRIM_400000_NS6detail17trampoline_kernelINS0_13kernel_configILj256ELj4ELj4294967295EEENS1_37radix_sort_block_sort_config_selectorIdlEEZNS1_21radix_sort_block_sortIS4_Lb0EPdS8_N6thrust23THRUST_200600_302600_NS10device_ptrIlEESC_NS0_19identity_decomposerEEE10hipError_tT1_T2_T3_T4_jRjT5_jjP12ihipStream_tbEUlT_E_NS1_11comp_targetILNS1_3genE10ELNS1_11target_archE1201ELNS1_3gpuE5ELNS1_3repE0EEENS1_44radix_sort_block_sort_config_static_selectorELNS0_4arch9wavefront6targetE1EEEvSF_
		.amdhsa_group_segment_fixed_size 0
		.amdhsa_private_segment_fixed_size 0
		.amdhsa_kernarg_size 48
		.amdhsa_user_sgpr_count 6
		.amdhsa_user_sgpr_private_segment_buffer 1
		.amdhsa_user_sgpr_dispatch_ptr 0
		.amdhsa_user_sgpr_queue_ptr 0
		.amdhsa_user_sgpr_kernarg_segment_ptr 1
		.amdhsa_user_sgpr_dispatch_id 0
		.amdhsa_user_sgpr_flat_scratch_init 0
		.amdhsa_user_sgpr_kernarg_preload_length 0
		.amdhsa_user_sgpr_kernarg_preload_offset 0
		.amdhsa_user_sgpr_private_segment_size 0
		.amdhsa_uses_dynamic_stack 0
		.amdhsa_system_sgpr_private_segment_wavefront_offset 0
		.amdhsa_system_sgpr_workgroup_id_x 1
		.amdhsa_system_sgpr_workgroup_id_y 0
		.amdhsa_system_sgpr_workgroup_id_z 0
		.amdhsa_system_sgpr_workgroup_info 0
		.amdhsa_system_vgpr_workitem_id 0
		.amdhsa_next_free_vgpr 1
		.amdhsa_next_free_sgpr 0
		.amdhsa_accum_offset 4
		.amdhsa_reserve_vcc 0
		.amdhsa_reserve_flat_scratch 0
		.amdhsa_float_round_mode_32 0
		.amdhsa_float_round_mode_16_64 0
		.amdhsa_float_denorm_mode_32 3
		.amdhsa_float_denorm_mode_16_64 3
		.amdhsa_dx10_clamp 1
		.amdhsa_ieee_mode 1
		.amdhsa_fp16_overflow 0
		.amdhsa_tg_split 0
		.amdhsa_exception_fp_ieee_invalid_op 0
		.amdhsa_exception_fp_denorm_src 0
		.amdhsa_exception_fp_ieee_div_zero 0
		.amdhsa_exception_fp_ieee_overflow 0
		.amdhsa_exception_fp_ieee_underflow 0
		.amdhsa_exception_fp_ieee_inexact 0
		.amdhsa_exception_int_div_zero 0
	.end_amdhsa_kernel
	.section	.text._ZN7rocprim17ROCPRIM_400000_NS6detail17trampoline_kernelINS0_13kernel_configILj256ELj4ELj4294967295EEENS1_37radix_sort_block_sort_config_selectorIdlEEZNS1_21radix_sort_block_sortIS4_Lb0EPdS8_N6thrust23THRUST_200600_302600_NS10device_ptrIlEESC_NS0_19identity_decomposerEEE10hipError_tT1_T2_T3_T4_jRjT5_jjP12ihipStream_tbEUlT_E_NS1_11comp_targetILNS1_3genE10ELNS1_11target_archE1201ELNS1_3gpuE5ELNS1_3repE0EEENS1_44radix_sort_block_sort_config_static_selectorELNS0_4arch9wavefront6targetE1EEEvSF_,"axG",@progbits,_ZN7rocprim17ROCPRIM_400000_NS6detail17trampoline_kernelINS0_13kernel_configILj256ELj4ELj4294967295EEENS1_37radix_sort_block_sort_config_selectorIdlEEZNS1_21radix_sort_block_sortIS4_Lb0EPdS8_N6thrust23THRUST_200600_302600_NS10device_ptrIlEESC_NS0_19identity_decomposerEEE10hipError_tT1_T2_T3_T4_jRjT5_jjP12ihipStream_tbEUlT_E_NS1_11comp_targetILNS1_3genE10ELNS1_11target_archE1201ELNS1_3gpuE5ELNS1_3repE0EEENS1_44radix_sort_block_sort_config_static_selectorELNS0_4arch9wavefront6targetE1EEEvSF_,comdat
.Lfunc_end1529:
	.size	_ZN7rocprim17ROCPRIM_400000_NS6detail17trampoline_kernelINS0_13kernel_configILj256ELj4ELj4294967295EEENS1_37radix_sort_block_sort_config_selectorIdlEEZNS1_21radix_sort_block_sortIS4_Lb0EPdS8_N6thrust23THRUST_200600_302600_NS10device_ptrIlEESC_NS0_19identity_decomposerEEE10hipError_tT1_T2_T3_T4_jRjT5_jjP12ihipStream_tbEUlT_E_NS1_11comp_targetILNS1_3genE10ELNS1_11target_archE1201ELNS1_3gpuE5ELNS1_3repE0EEENS1_44radix_sort_block_sort_config_static_selectorELNS0_4arch9wavefront6targetE1EEEvSF_, .Lfunc_end1529-_ZN7rocprim17ROCPRIM_400000_NS6detail17trampoline_kernelINS0_13kernel_configILj256ELj4ELj4294967295EEENS1_37radix_sort_block_sort_config_selectorIdlEEZNS1_21radix_sort_block_sortIS4_Lb0EPdS8_N6thrust23THRUST_200600_302600_NS10device_ptrIlEESC_NS0_19identity_decomposerEEE10hipError_tT1_T2_T3_T4_jRjT5_jjP12ihipStream_tbEUlT_E_NS1_11comp_targetILNS1_3genE10ELNS1_11target_archE1201ELNS1_3gpuE5ELNS1_3repE0EEENS1_44radix_sort_block_sort_config_static_selectorELNS0_4arch9wavefront6targetE1EEEvSF_
                                        ; -- End function
	.section	.AMDGPU.csdata,"",@progbits
; Kernel info:
; codeLenInByte = 0
; NumSgprs: 4
; NumVgprs: 0
; NumAgprs: 0
; TotalNumVgprs: 0
; ScratchSize: 0
; MemoryBound: 0
; FloatMode: 240
; IeeeMode: 1
; LDSByteSize: 0 bytes/workgroup (compile time only)
; SGPRBlocks: 0
; VGPRBlocks: 0
; NumSGPRsForWavesPerEU: 4
; NumVGPRsForWavesPerEU: 1
; AccumOffset: 4
; Occupancy: 8
; WaveLimiterHint : 0
; COMPUTE_PGM_RSRC2:SCRATCH_EN: 0
; COMPUTE_PGM_RSRC2:USER_SGPR: 6
; COMPUTE_PGM_RSRC2:TRAP_HANDLER: 0
; COMPUTE_PGM_RSRC2:TGID_X_EN: 1
; COMPUTE_PGM_RSRC2:TGID_Y_EN: 0
; COMPUTE_PGM_RSRC2:TGID_Z_EN: 0
; COMPUTE_PGM_RSRC2:TIDIG_COMP_CNT: 0
; COMPUTE_PGM_RSRC3_GFX90A:ACCUM_OFFSET: 0
; COMPUTE_PGM_RSRC3_GFX90A:TG_SPLIT: 0
	.section	.text._ZN7rocprim17ROCPRIM_400000_NS6detail17trampoline_kernelINS0_13kernel_configILj256ELj4ELj4294967295EEENS1_37radix_sort_block_sort_config_selectorIdlEEZNS1_21radix_sort_block_sortIS4_Lb0EPdS8_N6thrust23THRUST_200600_302600_NS10device_ptrIlEESC_NS0_19identity_decomposerEEE10hipError_tT1_T2_T3_T4_jRjT5_jjP12ihipStream_tbEUlT_E_NS1_11comp_targetILNS1_3genE10ELNS1_11target_archE1200ELNS1_3gpuE4ELNS1_3repE0EEENS1_44radix_sort_block_sort_config_static_selectorELNS0_4arch9wavefront6targetE1EEEvSF_,"axG",@progbits,_ZN7rocprim17ROCPRIM_400000_NS6detail17trampoline_kernelINS0_13kernel_configILj256ELj4ELj4294967295EEENS1_37radix_sort_block_sort_config_selectorIdlEEZNS1_21radix_sort_block_sortIS4_Lb0EPdS8_N6thrust23THRUST_200600_302600_NS10device_ptrIlEESC_NS0_19identity_decomposerEEE10hipError_tT1_T2_T3_T4_jRjT5_jjP12ihipStream_tbEUlT_E_NS1_11comp_targetILNS1_3genE10ELNS1_11target_archE1200ELNS1_3gpuE4ELNS1_3repE0EEENS1_44radix_sort_block_sort_config_static_selectorELNS0_4arch9wavefront6targetE1EEEvSF_,comdat
	.protected	_ZN7rocprim17ROCPRIM_400000_NS6detail17trampoline_kernelINS0_13kernel_configILj256ELj4ELj4294967295EEENS1_37radix_sort_block_sort_config_selectorIdlEEZNS1_21radix_sort_block_sortIS4_Lb0EPdS8_N6thrust23THRUST_200600_302600_NS10device_ptrIlEESC_NS0_19identity_decomposerEEE10hipError_tT1_T2_T3_T4_jRjT5_jjP12ihipStream_tbEUlT_E_NS1_11comp_targetILNS1_3genE10ELNS1_11target_archE1200ELNS1_3gpuE4ELNS1_3repE0EEENS1_44radix_sort_block_sort_config_static_selectorELNS0_4arch9wavefront6targetE1EEEvSF_ ; -- Begin function _ZN7rocprim17ROCPRIM_400000_NS6detail17trampoline_kernelINS0_13kernel_configILj256ELj4ELj4294967295EEENS1_37radix_sort_block_sort_config_selectorIdlEEZNS1_21radix_sort_block_sortIS4_Lb0EPdS8_N6thrust23THRUST_200600_302600_NS10device_ptrIlEESC_NS0_19identity_decomposerEEE10hipError_tT1_T2_T3_T4_jRjT5_jjP12ihipStream_tbEUlT_E_NS1_11comp_targetILNS1_3genE10ELNS1_11target_archE1200ELNS1_3gpuE4ELNS1_3repE0EEENS1_44radix_sort_block_sort_config_static_selectorELNS0_4arch9wavefront6targetE1EEEvSF_
	.globl	_ZN7rocprim17ROCPRIM_400000_NS6detail17trampoline_kernelINS0_13kernel_configILj256ELj4ELj4294967295EEENS1_37radix_sort_block_sort_config_selectorIdlEEZNS1_21radix_sort_block_sortIS4_Lb0EPdS8_N6thrust23THRUST_200600_302600_NS10device_ptrIlEESC_NS0_19identity_decomposerEEE10hipError_tT1_T2_T3_T4_jRjT5_jjP12ihipStream_tbEUlT_E_NS1_11comp_targetILNS1_3genE10ELNS1_11target_archE1200ELNS1_3gpuE4ELNS1_3repE0EEENS1_44radix_sort_block_sort_config_static_selectorELNS0_4arch9wavefront6targetE1EEEvSF_
	.p2align	8
	.type	_ZN7rocprim17ROCPRIM_400000_NS6detail17trampoline_kernelINS0_13kernel_configILj256ELj4ELj4294967295EEENS1_37radix_sort_block_sort_config_selectorIdlEEZNS1_21radix_sort_block_sortIS4_Lb0EPdS8_N6thrust23THRUST_200600_302600_NS10device_ptrIlEESC_NS0_19identity_decomposerEEE10hipError_tT1_T2_T3_T4_jRjT5_jjP12ihipStream_tbEUlT_E_NS1_11comp_targetILNS1_3genE10ELNS1_11target_archE1200ELNS1_3gpuE4ELNS1_3repE0EEENS1_44radix_sort_block_sort_config_static_selectorELNS0_4arch9wavefront6targetE1EEEvSF_,@function
_ZN7rocprim17ROCPRIM_400000_NS6detail17trampoline_kernelINS0_13kernel_configILj256ELj4ELj4294967295EEENS1_37radix_sort_block_sort_config_selectorIdlEEZNS1_21radix_sort_block_sortIS4_Lb0EPdS8_N6thrust23THRUST_200600_302600_NS10device_ptrIlEESC_NS0_19identity_decomposerEEE10hipError_tT1_T2_T3_T4_jRjT5_jjP12ihipStream_tbEUlT_E_NS1_11comp_targetILNS1_3genE10ELNS1_11target_archE1200ELNS1_3gpuE4ELNS1_3repE0EEENS1_44radix_sort_block_sort_config_static_selectorELNS0_4arch9wavefront6targetE1EEEvSF_: ; @_ZN7rocprim17ROCPRIM_400000_NS6detail17trampoline_kernelINS0_13kernel_configILj256ELj4ELj4294967295EEENS1_37radix_sort_block_sort_config_selectorIdlEEZNS1_21radix_sort_block_sortIS4_Lb0EPdS8_N6thrust23THRUST_200600_302600_NS10device_ptrIlEESC_NS0_19identity_decomposerEEE10hipError_tT1_T2_T3_T4_jRjT5_jjP12ihipStream_tbEUlT_E_NS1_11comp_targetILNS1_3genE10ELNS1_11target_archE1200ELNS1_3gpuE4ELNS1_3repE0EEENS1_44radix_sort_block_sort_config_static_selectorELNS0_4arch9wavefront6targetE1EEEvSF_
; %bb.0:
	.section	.rodata,"a",@progbits
	.p2align	6, 0x0
	.amdhsa_kernel _ZN7rocprim17ROCPRIM_400000_NS6detail17trampoline_kernelINS0_13kernel_configILj256ELj4ELj4294967295EEENS1_37radix_sort_block_sort_config_selectorIdlEEZNS1_21radix_sort_block_sortIS4_Lb0EPdS8_N6thrust23THRUST_200600_302600_NS10device_ptrIlEESC_NS0_19identity_decomposerEEE10hipError_tT1_T2_T3_T4_jRjT5_jjP12ihipStream_tbEUlT_E_NS1_11comp_targetILNS1_3genE10ELNS1_11target_archE1200ELNS1_3gpuE4ELNS1_3repE0EEENS1_44radix_sort_block_sort_config_static_selectorELNS0_4arch9wavefront6targetE1EEEvSF_
		.amdhsa_group_segment_fixed_size 0
		.amdhsa_private_segment_fixed_size 0
		.amdhsa_kernarg_size 48
		.amdhsa_user_sgpr_count 6
		.amdhsa_user_sgpr_private_segment_buffer 1
		.amdhsa_user_sgpr_dispatch_ptr 0
		.amdhsa_user_sgpr_queue_ptr 0
		.amdhsa_user_sgpr_kernarg_segment_ptr 1
		.amdhsa_user_sgpr_dispatch_id 0
		.amdhsa_user_sgpr_flat_scratch_init 0
		.amdhsa_user_sgpr_kernarg_preload_length 0
		.amdhsa_user_sgpr_kernarg_preload_offset 0
		.amdhsa_user_sgpr_private_segment_size 0
		.amdhsa_uses_dynamic_stack 0
		.amdhsa_system_sgpr_private_segment_wavefront_offset 0
		.amdhsa_system_sgpr_workgroup_id_x 1
		.amdhsa_system_sgpr_workgroup_id_y 0
		.amdhsa_system_sgpr_workgroup_id_z 0
		.amdhsa_system_sgpr_workgroup_info 0
		.amdhsa_system_vgpr_workitem_id 0
		.amdhsa_next_free_vgpr 1
		.amdhsa_next_free_sgpr 0
		.amdhsa_accum_offset 4
		.amdhsa_reserve_vcc 0
		.amdhsa_reserve_flat_scratch 0
		.amdhsa_float_round_mode_32 0
		.amdhsa_float_round_mode_16_64 0
		.amdhsa_float_denorm_mode_32 3
		.amdhsa_float_denorm_mode_16_64 3
		.amdhsa_dx10_clamp 1
		.amdhsa_ieee_mode 1
		.amdhsa_fp16_overflow 0
		.amdhsa_tg_split 0
		.amdhsa_exception_fp_ieee_invalid_op 0
		.amdhsa_exception_fp_denorm_src 0
		.amdhsa_exception_fp_ieee_div_zero 0
		.amdhsa_exception_fp_ieee_overflow 0
		.amdhsa_exception_fp_ieee_underflow 0
		.amdhsa_exception_fp_ieee_inexact 0
		.amdhsa_exception_int_div_zero 0
	.end_amdhsa_kernel
	.section	.text._ZN7rocprim17ROCPRIM_400000_NS6detail17trampoline_kernelINS0_13kernel_configILj256ELj4ELj4294967295EEENS1_37radix_sort_block_sort_config_selectorIdlEEZNS1_21radix_sort_block_sortIS4_Lb0EPdS8_N6thrust23THRUST_200600_302600_NS10device_ptrIlEESC_NS0_19identity_decomposerEEE10hipError_tT1_T2_T3_T4_jRjT5_jjP12ihipStream_tbEUlT_E_NS1_11comp_targetILNS1_3genE10ELNS1_11target_archE1200ELNS1_3gpuE4ELNS1_3repE0EEENS1_44radix_sort_block_sort_config_static_selectorELNS0_4arch9wavefront6targetE1EEEvSF_,"axG",@progbits,_ZN7rocprim17ROCPRIM_400000_NS6detail17trampoline_kernelINS0_13kernel_configILj256ELj4ELj4294967295EEENS1_37radix_sort_block_sort_config_selectorIdlEEZNS1_21radix_sort_block_sortIS4_Lb0EPdS8_N6thrust23THRUST_200600_302600_NS10device_ptrIlEESC_NS0_19identity_decomposerEEE10hipError_tT1_T2_T3_T4_jRjT5_jjP12ihipStream_tbEUlT_E_NS1_11comp_targetILNS1_3genE10ELNS1_11target_archE1200ELNS1_3gpuE4ELNS1_3repE0EEENS1_44radix_sort_block_sort_config_static_selectorELNS0_4arch9wavefront6targetE1EEEvSF_,comdat
.Lfunc_end1530:
	.size	_ZN7rocprim17ROCPRIM_400000_NS6detail17trampoline_kernelINS0_13kernel_configILj256ELj4ELj4294967295EEENS1_37radix_sort_block_sort_config_selectorIdlEEZNS1_21radix_sort_block_sortIS4_Lb0EPdS8_N6thrust23THRUST_200600_302600_NS10device_ptrIlEESC_NS0_19identity_decomposerEEE10hipError_tT1_T2_T3_T4_jRjT5_jjP12ihipStream_tbEUlT_E_NS1_11comp_targetILNS1_3genE10ELNS1_11target_archE1200ELNS1_3gpuE4ELNS1_3repE0EEENS1_44radix_sort_block_sort_config_static_selectorELNS0_4arch9wavefront6targetE1EEEvSF_, .Lfunc_end1530-_ZN7rocprim17ROCPRIM_400000_NS6detail17trampoline_kernelINS0_13kernel_configILj256ELj4ELj4294967295EEENS1_37radix_sort_block_sort_config_selectorIdlEEZNS1_21radix_sort_block_sortIS4_Lb0EPdS8_N6thrust23THRUST_200600_302600_NS10device_ptrIlEESC_NS0_19identity_decomposerEEE10hipError_tT1_T2_T3_T4_jRjT5_jjP12ihipStream_tbEUlT_E_NS1_11comp_targetILNS1_3genE10ELNS1_11target_archE1200ELNS1_3gpuE4ELNS1_3repE0EEENS1_44radix_sort_block_sort_config_static_selectorELNS0_4arch9wavefront6targetE1EEEvSF_
                                        ; -- End function
	.section	.AMDGPU.csdata,"",@progbits
; Kernel info:
; codeLenInByte = 0
; NumSgprs: 4
; NumVgprs: 0
; NumAgprs: 0
; TotalNumVgprs: 0
; ScratchSize: 0
; MemoryBound: 0
; FloatMode: 240
; IeeeMode: 1
; LDSByteSize: 0 bytes/workgroup (compile time only)
; SGPRBlocks: 0
; VGPRBlocks: 0
; NumSGPRsForWavesPerEU: 4
; NumVGPRsForWavesPerEU: 1
; AccumOffset: 4
; Occupancy: 8
; WaveLimiterHint : 0
; COMPUTE_PGM_RSRC2:SCRATCH_EN: 0
; COMPUTE_PGM_RSRC2:USER_SGPR: 6
; COMPUTE_PGM_RSRC2:TRAP_HANDLER: 0
; COMPUTE_PGM_RSRC2:TGID_X_EN: 1
; COMPUTE_PGM_RSRC2:TGID_Y_EN: 0
; COMPUTE_PGM_RSRC2:TGID_Z_EN: 0
; COMPUTE_PGM_RSRC2:TIDIG_COMP_CNT: 0
; COMPUTE_PGM_RSRC3_GFX90A:ACCUM_OFFSET: 0
; COMPUTE_PGM_RSRC3_GFX90A:TG_SPLIT: 0
	.section	.text._ZN7rocprim17ROCPRIM_400000_NS6detail17trampoline_kernelINS0_13kernel_configILj256ELj4ELj4294967295EEENS1_37radix_sort_block_sort_config_selectorIdlEEZNS1_21radix_sort_block_sortIS4_Lb0EPdS8_N6thrust23THRUST_200600_302600_NS10device_ptrIlEESC_NS0_19identity_decomposerEEE10hipError_tT1_T2_T3_T4_jRjT5_jjP12ihipStream_tbEUlT_E_NS1_11comp_targetILNS1_3genE9ELNS1_11target_archE1100ELNS1_3gpuE3ELNS1_3repE0EEENS1_44radix_sort_block_sort_config_static_selectorELNS0_4arch9wavefront6targetE1EEEvSF_,"axG",@progbits,_ZN7rocprim17ROCPRIM_400000_NS6detail17trampoline_kernelINS0_13kernel_configILj256ELj4ELj4294967295EEENS1_37radix_sort_block_sort_config_selectorIdlEEZNS1_21radix_sort_block_sortIS4_Lb0EPdS8_N6thrust23THRUST_200600_302600_NS10device_ptrIlEESC_NS0_19identity_decomposerEEE10hipError_tT1_T2_T3_T4_jRjT5_jjP12ihipStream_tbEUlT_E_NS1_11comp_targetILNS1_3genE9ELNS1_11target_archE1100ELNS1_3gpuE3ELNS1_3repE0EEENS1_44radix_sort_block_sort_config_static_selectorELNS0_4arch9wavefront6targetE1EEEvSF_,comdat
	.protected	_ZN7rocprim17ROCPRIM_400000_NS6detail17trampoline_kernelINS0_13kernel_configILj256ELj4ELj4294967295EEENS1_37radix_sort_block_sort_config_selectorIdlEEZNS1_21radix_sort_block_sortIS4_Lb0EPdS8_N6thrust23THRUST_200600_302600_NS10device_ptrIlEESC_NS0_19identity_decomposerEEE10hipError_tT1_T2_T3_T4_jRjT5_jjP12ihipStream_tbEUlT_E_NS1_11comp_targetILNS1_3genE9ELNS1_11target_archE1100ELNS1_3gpuE3ELNS1_3repE0EEENS1_44radix_sort_block_sort_config_static_selectorELNS0_4arch9wavefront6targetE1EEEvSF_ ; -- Begin function _ZN7rocprim17ROCPRIM_400000_NS6detail17trampoline_kernelINS0_13kernel_configILj256ELj4ELj4294967295EEENS1_37radix_sort_block_sort_config_selectorIdlEEZNS1_21radix_sort_block_sortIS4_Lb0EPdS8_N6thrust23THRUST_200600_302600_NS10device_ptrIlEESC_NS0_19identity_decomposerEEE10hipError_tT1_T2_T3_T4_jRjT5_jjP12ihipStream_tbEUlT_E_NS1_11comp_targetILNS1_3genE9ELNS1_11target_archE1100ELNS1_3gpuE3ELNS1_3repE0EEENS1_44radix_sort_block_sort_config_static_selectorELNS0_4arch9wavefront6targetE1EEEvSF_
	.globl	_ZN7rocprim17ROCPRIM_400000_NS6detail17trampoline_kernelINS0_13kernel_configILj256ELj4ELj4294967295EEENS1_37radix_sort_block_sort_config_selectorIdlEEZNS1_21radix_sort_block_sortIS4_Lb0EPdS8_N6thrust23THRUST_200600_302600_NS10device_ptrIlEESC_NS0_19identity_decomposerEEE10hipError_tT1_T2_T3_T4_jRjT5_jjP12ihipStream_tbEUlT_E_NS1_11comp_targetILNS1_3genE9ELNS1_11target_archE1100ELNS1_3gpuE3ELNS1_3repE0EEENS1_44radix_sort_block_sort_config_static_selectorELNS0_4arch9wavefront6targetE1EEEvSF_
	.p2align	8
	.type	_ZN7rocprim17ROCPRIM_400000_NS6detail17trampoline_kernelINS0_13kernel_configILj256ELj4ELj4294967295EEENS1_37radix_sort_block_sort_config_selectorIdlEEZNS1_21radix_sort_block_sortIS4_Lb0EPdS8_N6thrust23THRUST_200600_302600_NS10device_ptrIlEESC_NS0_19identity_decomposerEEE10hipError_tT1_T2_T3_T4_jRjT5_jjP12ihipStream_tbEUlT_E_NS1_11comp_targetILNS1_3genE9ELNS1_11target_archE1100ELNS1_3gpuE3ELNS1_3repE0EEENS1_44radix_sort_block_sort_config_static_selectorELNS0_4arch9wavefront6targetE1EEEvSF_,@function
_ZN7rocprim17ROCPRIM_400000_NS6detail17trampoline_kernelINS0_13kernel_configILj256ELj4ELj4294967295EEENS1_37radix_sort_block_sort_config_selectorIdlEEZNS1_21radix_sort_block_sortIS4_Lb0EPdS8_N6thrust23THRUST_200600_302600_NS10device_ptrIlEESC_NS0_19identity_decomposerEEE10hipError_tT1_T2_T3_T4_jRjT5_jjP12ihipStream_tbEUlT_E_NS1_11comp_targetILNS1_3genE9ELNS1_11target_archE1100ELNS1_3gpuE3ELNS1_3repE0EEENS1_44radix_sort_block_sort_config_static_selectorELNS0_4arch9wavefront6targetE1EEEvSF_: ; @_ZN7rocprim17ROCPRIM_400000_NS6detail17trampoline_kernelINS0_13kernel_configILj256ELj4ELj4294967295EEENS1_37radix_sort_block_sort_config_selectorIdlEEZNS1_21radix_sort_block_sortIS4_Lb0EPdS8_N6thrust23THRUST_200600_302600_NS10device_ptrIlEESC_NS0_19identity_decomposerEEE10hipError_tT1_T2_T3_T4_jRjT5_jjP12ihipStream_tbEUlT_E_NS1_11comp_targetILNS1_3genE9ELNS1_11target_archE1100ELNS1_3gpuE3ELNS1_3repE0EEENS1_44radix_sort_block_sort_config_static_selectorELNS0_4arch9wavefront6targetE1EEEvSF_
; %bb.0:
	.section	.rodata,"a",@progbits
	.p2align	6, 0x0
	.amdhsa_kernel _ZN7rocprim17ROCPRIM_400000_NS6detail17trampoline_kernelINS0_13kernel_configILj256ELj4ELj4294967295EEENS1_37radix_sort_block_sort_config_selectorIdlEEZNS1_21radix_sort_block_sortIS4_Lb0EPdS8_N6thrust23THRUST_200600_302600_NS10device_ptrIlEESC_NS0_19identity_decomposerEEE10hipError_tT1_T2_T3_T4_jRjT5_jjP12ihipStream_tbEUlT_E_NS1_11comp_targetILNS1_3genE9ELNS1_11target_archE1100ELNS1_3gpuE3ELNS1_3repE0EEENS1_44radix_sort_block_sort_config_static_selectorELNS0_4arch9wavefront6targetE1EEEvSF_
		.amdhsa_group_segment_fixed_size 0
		.amdhsa_private_segment_fixed_size 0
		.amdhsa_kernarg_size 48
		.amdhsa_user_sgpr_count 6
		.amdhsa_user_sgpr_private_segment_buffer 1
		.amdhsa_user_sgpr_dispatch_ptr 0
		.amdhsa_user_sgpr_queue_ptr 0
		.amdhsa_user_sgpr_kernarg_segment_ptr 1
		.amdhsa_user_sgpr_dispatch_id 0
		.amdhsa_user_sgpr_flat_scratch_init 0
		.amdhsa_user_sgpr_kernarg_preload_length 0
		.amdhsa_user_sgpr_kernarg_preload_offset 0
		.amdhsa_user_sgpr_private_segment_size 0
		.amdhsa_uses_dynamic_stack 0
		.amdhsa_system_sgpr_private_segment_wavefront_offset 0
		.amdhsa_system_sgpr_workgroup_id_x 1
		.amdhsa_system_sgpr_workgroup_id_y 0
		.amdhsa_system_sgpr_workgroup_id_z 0
		.amdhsa_system_sgpr_workgroup_info 0
		.amdhsa_system_vgpr_workitem_id 0
		.amdhsa_next_free_vgpr 1
		.amdhsa_next_free_sgpr 0
		.amdhsa_accum_offset 4
		.amdhsa_reserve_vcc 0
		.amdhsa_reserve_flat_scratch 0
		.amdhsa_float_round_mode_32 0
		.amdhsa_float_round_mode_16_64 0
		.amdhsa_float_denorm_mode_32 3
		.amdhsa_float_denorm_mode_16_64 3
		.amdhsa_dx10_clamp 1
		.amdhsa_ieee_mode 1
		.amdhsa_fp16_overflow 0
		.amdhsa_tg_split 0
		.amdhsa_exception_fp_ieee_invalid_op 0
		.amdhsa_exception_fp_denorm_src 0
		.amdhsa_exception_fp_ieee_div_zero 0
		.amdhsa_exception_fp_ieee_overflow 0
		.amdhsa_exception_fp_ieee_underflow 0
		.amdhsa_exception_fp_ieee_inexact 0
		.amdhsa_exception_int_div_zero 0
	.end_amdhsa_kernel
	.section	.text._ZN7rocprim17ROCPRIM_400000_NS6detail17trampoline_kernelINS0_13kernel_configILj256ELj4ELj4294967295EEENS1_37radix_sort_block_sort_config_selectorIdlEEZNS1_21radix_sort_block_sortIS4_Lb0EPdS8_N6thrust23THRUST_200600_302600_NS10device_ptrIlEESC_NS0_19identity_decomposerEEE10hipError_tT1_T2_T3_T4_jRjT5_jjP12ihipStream_tbEUlT_E_NS1_11comp_targetILNS1_3genE9ELNS1_11target_archE1100ELNS1_3gpuE3ELNS1_3repE0EEENS1_44radix_sort_block_sort_config_static_selectorELNS0_4arch9wavefront6targetE1EEEvSF_,"axG",@progbits,_ZN7rocprim17ROCPRIM_400000_NS6detail17trampoline_kernelINS0_13kernel_configILj256ELj4ELj4294967295EEENS1_37radix_sort_block_sort_config_selectorIdlEEZNS1_21radix_sort_block_sortIS4_Lb0EPdS8_N6thrust23THRUST_200600_302600_NS10device_ptrIlEESC_NS0_19identity_decomposerEEE10hipError_tT1_T2_T3_T4_jRjT5_jjP12ihipStream_tbEUlT_E_NS1_11comp_targetILNS1_3genE9ELNS1_11target_archE1100ELNS1_3gpuE3ELNS1_3repE0EEENS1_44radix_sort_block_sort_config_static_selectorELNS0_4arch9wavefront6targetE1EEEvSF_,comdat
.Lfunc_end1531:
	.size	_ZN7rocprim17ROCPRIM_400000_NS6detail17trampoline_kernelINS0_13kernel_configILj256ELj4ELj4294967295EEENS1_37radix_sort_block_sort_config_selectorIdlEEZNS1_21radix_sort_block_sortIS4_Lb0EPdS8_N6thrust23THRUST_200600_302600_NS10device_ptrIlEESC_NS0_19identity_decomposerEEE10hipError_tT1_T2_T3_T4_jRjT5_jjP12ihipStream_tbEUlT_E_NS1_11comp_targetILNS1_3genE9ELNS1_11target_archE1100ELNS1_3gpuE3ELNS1_3repE0EEENS1_44radix_sort_block_sort_config_static_selectorELNS0_4arch9wavefront6targetE1EEEvSF_, .Lfunc_end1531-_ZN7rocprim17ROCPRIM_400000_NS6detail17trampoline_kernelINS0_13kernel_configILj256ELj4ELj4294967295EEENS1_37radix_sort_block_sort_config_selectorIdlEEZNS1_21radix_sort_block_sortIS4_Lb0EPdS8_N6thrust23THRUST_200600_302600_NS10device_ptrIlEESC_NS0_19identity_decomposerEEE10hipError_tT1_T2_T3_T4_jRjT5_jjP12ihipStream_tbEUlT_E_NS1_11comp_targetILNS1_3genE9ELNS1_11target_archE1100ELNS1_3gpuE3ELNS1_3repE0EEENS1_44radix_sort_block_sort_config_static_selectorELNS0_4arch9wavefront6targetE1EEEvSF_
                                        ; -- End function
	.section	.AMDGPU.csdata,"",@progbits
; Kernel info:
; codeLenInByte = 0
; NumSgprs: 4
; NumVgprs: 0
; NumAgprs: 0
; TotalNumVgprs: 0
; ScratchSize: 0
; MemoryBound: 0
; FloatMode: 240
; IeeeMode: 1
; LDSByteSize: 0 bytes/workgroup (compile time only)
; SGPRBlocks: 0
; VGPRBlocks: 0
; NumSGPRsForWavesPerEU: 4
; NumVGPRsForWavesPerEU: 1
; AccumOffset: 4
; Occupancy: 8
; WaveLimiterHint : 0
; COMPUTE_PGM_RSRC2:SCRATCH_EN: 0
; COMPUTE_PGM_RSRC2:USER_SGPR: 6
; COMPUTE_PGM_RSRC2:TRAP_HANDLER: 0
; COMPUTE_PGM_RSRC2:TGID_X_EN: 1
; COMPUTE_PGM_RSRC2:TGID_Y_EN: 0
; COMPUTE_PGM_RSRC2:TGID_Z_EN: 0
; COMPUTE_PGM_RSRC2:TIDIG_COMP_CNT: 0
; COMPUTE_PGM_RSRC3_GFX90A:ACCUM_OFFSET: 0
; COMPUTE_PGM_RSRC3_GFX90A:TG_SPLIT: 0
	.section	.text._ZN7rocprim17ROCPRIM_400000_NS6detail17trampoline_kernelINS0_13kernel_configILj256ELj4ELj4294967295EEENS1_37radix_sort_block_sort_config_selectorIdlEEZNS1_21radix_sort_block_sortIS4_Lb0EPdS8_N6thrust23THRUST_200600_302600_NS10device_ptrIlEESC_NS0_19identity_decomposerEEE10hipError_tT1_T2_T3_T4_jRjT5_jjP12ihipStream_tbEUlT_E_NS1_11comp_targetILNS1_3genE8ELNS1_11target_archE1030ELNS1_3gpuE2ELNS1_3repE0EEENS1_44radix_sort_block_sort_config_static_selectorELNS0_4arch9wavefront6targetE1EEEvSF_,"axG",@progbits,_ZN7rocprim17ROCPRIM_400000_NS6detail17trampoline_kernelINS0_13kernel_configILj256ELj4ELj4294967295EEENS1_37radix_sort_block_sort_config_selectorIdlEEZNS1_21radix_sort_block_sortIS4_Lb0EPdS8_N6thrust23THRUST_200600_302600_NS10device_ptrIlEESC_NS0_19identity_decomposerEEE10hipError_tT1_T2_T3_T4_jRjT5_jjP12ihipStream_tbEUlT_E_NS1_11comp_targetILNS1_3genE8ELNS1_11target_archE1030ELNS1_3gpuE2ELNS1_3repE0EEENS1_44radix_sort_block_sort_config_static_selectorELNS0_4arch9wavefront6targetE1EEEvSF_,comdat
	.protected	_ZN7rocprim17ROCPRIM_400000_NS6detail17trampoline_kernelINS0_13kernel_configILj256ELj4ELj4294967295EEENS1_37radix_sort_block_sort_config_selectorIdlEEZNS1_21radix_sort_block_sortIS4_Lb0EPdS8_N6thrust23THRUST_200600_302600_NS10device_ptrIlEESC_NS0_19identity_decomposerEEE10hipError_tT1_T2_T3_T4_jRjT5_jjP12ihipStream_tbEUlT_E_NS1_11comp_targetILNS1_3genE8ELNS1_11target_archE1030ELNS1_3gpuE2ELNS1_3repE0EEENS1_44radix_sort_block_sort_config_static_selectorELNS0_4arch9wavefront6targetE1EEEvSF_ ; -- Begin function _ZN7rocprim17ROCPRIM_400000_NS6detail17trampoline_kernelINS0_13kernel_configILj256ELj4ELj4294967295EEENS1_37radix_sort_block_sort_config_selectorIdlEEZNS1_21radix_sort_block_sortIS4_Lb0EPdS8_N6thrust23THRUST_200600_302600_NS10device_ptrIlEESC_NS0_19identity_decomposerEEE10hipError_tT1_T2_T3_T4_jRjT5_jjP12ihipStream_tbEUlT_E_NS1_11comp_targetILNS1_3genE8ELNS1_11target_archE1030ELNS1_3gpuE2ELNS1_3repE0EEENS1_44radix_sort_block_sort_config_static_selectorELNS0_4arch9wavefront6targetE1EEEvSF_
	.globl	_ZN7rocprim17ROCPRIM_400000_NS6detail17trampoline_kernelINS0_13kernel_configILj256ELj4ELj4294967295EEENS1_37radix_sort_block_sort_config_selectorIdlEEZNS1_21radix_sort_block_sortIS4_Lb0EPdS8_N6thrust23THRUST_200600_302600_NS10device_ptrIlEESC_NS0_19identity_decomposerEEE10hipError_tT1_T2_T3_T4_jRjT5_jjP12ihipStream_tbEUlT_E_NS1_11comp_targetILNS1_3genE8ELNS1_11target_archE1030ELNS1_3gpuE2ELNS1_3repE0EEENS1_44radix_sort_block_sort_config_static_selectorELNS0_4arch9wavefront6targetE1EEEvSF_
	.p2align	8
	.type	_ZN7rocprim17ROCPRIM_400000_NS6detail17trampoline_kernelINS0_13kernel_configILj256ELj4ELj4294967295EEENS1_37radix_sort_block_sort_config_selectorIdlEEZNS1_21radix_sort_block_sortIS4_Lb0EPdS8_N6thrust23THRUST_200600_302600_NS10device_ptrIlEESC_NS0_19identity_decomposerEEE10hipError_tT1_T2_T3_T4_jRjT5_jjP12ihipStream_tbEUlT_E_NS1_11comp_targetILNS1_3genE8ELNS1_11target_archE1030ELNS1_3gpuE2ELNS1_3repE0EEENS1_44radix_sort_block_sort_config_static_selectorELNS0_4arch9wavefront6targetE1EEEvSF_,@function
_ZN7rocprim17ROCPRIM_400000_NS6detail17trampoline_kernelINS0_13kernel_configILj256ELj4ELj4294967295EEENS1_37radix_sort_block_sort_config_selectorIdlEEZNS1_21radix_sort_block_sortIS4_Lb0EPdS8_N6thrust23THRUST_200600_302600_NS10device_ptrIlEESC_NS0_19identity_decomposerEEE10hipError_tT1_T2_T3_T4_jRjT5_jjP12ihipStream_tbEUlT_E_NS1_11comp_targetILNS1_3genE8ELNS1_11target_archE1030ELNS1_3gpuE2ELNS1_3repE0EEENS1_44radix_sort_block_sort_config_static_selectorELNS0_4arch9wavefront6targetE1EEEvSF_: ; @_ZN7rocprim17ROCPRIM_400000_NS6detail17trampoline_kernelINS0_13kernel_configILj256ELj4ELj4294967295EEENS1_37radix_sort_block_sort_config_selectorIdlEEZNS1_21radix_sort_block_sortIS4_Lb0EPdS8_N6thrust23THRUST_200600_302600_NS10device_ptrIlEESC_NS0_19identity_decomposerEEE10hipError_tT1_T2_T3_T4_jRjT5_jjP12ihipStream_tbEUlT_E_NS1_11comp_targetILNS1_3genE8ELNS1_11target_archE1030ELNS1_3gpuE2ELNS1_3repE0EEENS1_44radix_sort_block_sort_config_static_selectorELNS0_4arch9wavefront6targetE1EEEvSF_
; %bb.0:
	.section	.rodata,"a",@progbits
	.p2align	6, 0x0
	.amdhsa_kernel _ZN7rocprim17ROCPRIM_400000_NS6detail17trampoline_kernelINS0_13kernel_configILj256ELj4ELj4294967295EEENS1_37radix_sort_block_sort_config_selectorIdlEEZNS1_21radix_sort_block_sortIS4_Lb0EPdS8_N6thrust23THRUST_200600_302600_NS10device_ptrIlEESC_NS0_19identity_decomposerEEE10hipError_tT1_T2_T3_T4_jRjT5_jjP12ihipStream_tbEUlT_E_NS1_11comp_targetILNS1_3genE8ELNS1_11target_archE1030ELNS1_3gpuE2ELNS1_3repE0EEENS1_44radix_sort_block_sort_config_static_selectorELNS0_4arch9wavefront6targetE1EEEvSF_
		.amdhsa_group_segment_fixed_size 0
		.amdhsa_private_segment_fixed_size 0
		.amdhsa_kernarg_size 48
		.amdhsa_user_sgpr_count 6
		.amdhsa_user_sgpr_private_segment_buffer 1
		.amdhsa_user_sgpr_dispatch_ptr 0
		.amdhsa_user_sgpr_queue_ptr 0
		.amdhsa_user_sgpr_kernarg_segment_ptr 1
		.amdhsa_user_sgpr_dispatch_id 0
		.amdhsa_user_sgpr_flat_scratch_init 0
		.amdhsa_user_sgpr_kernarg_preload_length 0
		.amdhsa_user_sgpr_kernarg_preload_offset 0
		.amdhsa_user_sgpr_private_segment_size 0
		.amdhsa_uses_dynamic_stack 0
		.amdhsa_system_sgpr_private_segment_wavefront_offset 0
		.amdhsa_system_sgpr_workgroup_id_x 1
		.amdhsa_system_sgpr_workgroup_id_y 0
		.amdhsa_system_sgpr_workgroup_id_z 0
		.amdhsa_system_sgpr_workgroup_info 0
		.amdhsa_system_vgpr_workitem_id 0
		.amdhsa_next_free_vgpr 1
		.amdhsa_next_free_sgpr 0
		.amdhsa_accum_offset 4
		.amdhsa_reserve_vcc 0
		.amdhsa_reserve_flat_scratch 0
		.amdhsa_float_round_mode_32 0
		.amdhsa_float_round_mode_16_64 0
		.amdhsa_float_denorm_mode_32 3
		.amdhsa_float_denorm_mode_16_64 3
		.amdhsa_dx10_clamp 1
		.amdhsa_ieee_mode 1
		.amdhsa_fp16_overflow 0
		.amdhsa_tg_split 0
		.amdhsa_exception_fp_ieee_invalid_op 0
		.amdhsa_exception_fp_denorm_src 0
		.amdhsa_exception_fp_ieee_div_zero 0
		.amdhsa_exception_fp_ieee_overflow 0
		.amdhsa_exception_fp_ieee_underflow 0
		.amdhsa_exception_fp_ieee_inexact 0
		.amdhsa_exception_int_div_zero 0
	.end_amdhsa_kernel
	.section	.text._ZN7rocprim17ROCPRIM_400000_NS6detail17trampoline_kernelINS0_13kernel_configILj256ELj4ELj4294967295EEENS1_37radix_sort_block_sort_config_selectorIdlEEZNS1_21radix_sort_block_sortIS4_Lb0EPdS8_N6thrust23THRUST_200600_302600_NS10device_ptrIlEESC_NS0_19identity_decomposerEEE10hipError_tT1_T2_T3_T4_jRjT5_jjP12ihipStream_tbEUlT_E_NS1_11comp_targetILNS1_3genE8ELNS1_11target_archE1030ELNS1_3gpuE2ELNS1_3repE0EEENS1_44radix_sort_block_sort_config_static_selectorELNS0_4arch9wavefront6targetE1EEEvSF_,"axG",@progbits,_ZN7rocprim17ROCPRIM_400000_NS6detail17trampoline_kernelINS0_13kernel_configILj256ELj4ELj4294967295EEENS1_37radix_sort_block_sort_config_selectorIdlEEZNS1_21radix_sort_block_sortIS4_Lb0EPdS8_N6thrust23THRUST_200600_302600_NS10device_ptrIlEESC_NS0_19identity_decomposerEEE10hipError_tT1_T2_T3_T4_jRjT5_jjP12ihipStream_tbEUlT_E_NS1_11comp_targetILNS1_3genE8ELNS1_11target_archE1030ELNS1_3gpuE2ELNS1_3repE0EEENS1_44radix_sort_block_sort_config_static_selectorELNS0_4arch9wavefront6targetE1EEEvSF_,comdat
.Lfunc_end1532:
	.size	_ZN7rocprim17ROCPRIM_400000_NS6detail17trampoline_kernelINS0_13kernel_configILj256ELj4ELj4294967295EEENS1_37radix_sort_block_sort_config_selectorIdlEEZNS1_21radix_sort_block_sortIS4_Lb0EPdS8_N6thrust23THRUST_200600_302600_NS10device_ptrIlEESC_NS0_19identity_decomposerEEE10hipError_tT1_T2_T3_T4_jRjT5_jjP12ihipStream_tbEUlT_E_NS1_11comp_targetILNS1_3genE8ELNS1_11target_archE1030ELNS1_3gpuE2ELNS1_3repE0EEENS1_44radix_sort_block_sort_config_static_selectorELNS0_4arch9wavefront6targetE1EEEvSF_, .Lfunc_end1532-_ZN7rocprim17ROCPRIM_400000_NS6detail17trampoline_kernelINS0_13kernel_configILj256ELj4ELj4294967295EEENS1_37radix_sort_block_sort_config_selectorIdlEEZNS1_21radix_sort_block_sortIS4_Lb0EPdS8_N6thrust23THRUST_200600_302600_NS10device_ptrIlEESC_NS0_19identity_decomposerEEE10hipError_tT1_T2_T3_T4_jRjT5_jjP12ihipStream_tbEUlT_E_NS1_11comp_targetILNS1_3genE8ELNS1_11target_archE1030ELNS1_3gpuE2ELNS1_3repE0EEENS1_44radix_sort_block_sort_config_static_selectorELNS0_4arch9wavefront6targetE1EEEvSF_
                                        ; -- End function
	.section	.AMDGPU.csdata,"",@progbits
; Kernel info:
; codeLenInByte = 0
; NumSgprs: 4
; NumVgprs: 0
; NumAgprs: 0
; TotalNumVgprs: 0
; ScratchSize: 0
; MemoryBound: 0
; FloatMode: 240
; IeeeMode: 1
; LDSByteSize: 0 bytes/workgroup (compile time only)
; SGPRBlocks: 0
; VGPRBlocks: 0
; NumSGPRsForWavesPerEU: 4
; NumVGPRsForWavesPerEU: 1
; AccumOffset: 4
; Occupancy: 8
; WaveLimiterHint : 0
; COMPUTE_PGM_RSRC2:SCRATCH_EN: 0
; COMPUTE_PGM_RSRC2:USER_SGPR: 6
; COMPUTE_PGM_RSRC2:TRAP_HANDLER: 0
; COMPUTE_PGM_RSRC2:TGID_X_EN: 1
; COMPUTE_PGM_RSRC2:TGID_Y_EN: 0
; COMPUTE_PGM_RSRC2:TGID_Z_EN: 0
; COMPUTE_PGM_RSRC2:TIDIG_COMP_CNT: 0
; COMPUTE_PGM_RSRC3_GFX90A:ACCUM_OFFSET: 0
; COMPUTE_PGM_RSRC3_GFX90A:TG_SPLIT: 0
	.section	.text._ZN7rocprim17ROCPRIM_400000_NS6detail44device_merge_sort_compile_time_verifier_archINS1_11comp_targetILNS1_3genE0ELNS1_11target_archE4294967295ELNS1_3gpuE0ELNS1_3repE0EEES8_NS1_28merge_sort_block_sort_configILj256ELj4ELNS0_20block_sort_algorithmE0EEENS0_14default_configENS1_37merge_sort_block_sort_config_selectorIdlEENS1_38merge_sort_block_merge_config_selectorIdlEEEEvv,"axG",@progbits,_ZN7rocprim17ROCPRIM_400000_NS6detail44device_merge_sort_compile_time_verifier_archINS1_11comp_targetILNS1_3genE0ELNS1_11target_archE4294967295ELNS1_3gpuE0ELNS1_3repE0EEES8_NS1_28merge_sort_block_sort_configILj256ELj4ELNS0_20block_sort_algorithmE0EEENS0_14default_configENS1_37merge_sort_block_sort_config_selectorIdlEENS1_38merge_sort_block_merge_config_selectorIdlEEEEvv,comdat
	.protected	_ZN7rocprim17ROCPRIM_400000_NS6detail44device_merge_sort_compile_time_verifier_archINS1_11comp_targetILNS1_3genE0ELNS1_11target_archE4294967295ELNS1_3gpuE0ELNS1_3repE0EEES8_NS1_28merge_sort_block_sort_configILj256ELj4ELNS0_20block_sort_algorithmE0EEENS0_14default_configENS1_37merge_sort_block_sort_config_selectorIdlEENS1_38merge_sort_block_merge_config_selectorIdlEEEEvv ; -- Begin function _ZN7rocprim17ROCPRIM_400000_NS6detail44device_merge_sort_compile_time_verifier_archINS1_11comp_targetILNS1_3genE0ELNS1_11target_archE4294967295ELNS1_3gpuE0ELNS1_3repE0EEES8_NS1_28merge_sort_block_sort_configILj256ELj4ELNS0_20block_sort_algorithmE0EEENS0_14default_configENS1_37merge_sort_block_sort_config_selectorIdlEENS1_38merge_sort_block_merge_config_selectorIdlEEEEvv
	.globl	_ZN7rocprim17ROCPRIM_400000_NS6detail44device_merge_sort_compile_time_verifier_archINS1_11comp_targetILNS1_3genE0ELNS1_11target_archE4294967295ELNS1_3gpuE0ELNS1_3repE0EEES8_NS1_28merge_sort_block_sort_configILj256ELj4ELNS0_20block_sort_algorithmE0EEENS0_14default_configENS1_37merge_sort_block_sort_config_selectorIdlEENS1_38merge_sort_block_merge_config_selectorIdlEEEEvv
	.p2align	8
	.type	_ZN7rocprim17ROCPRIM_400000_NS6detail44device_merge_sort_compile_time_verifier_archINS1_11comp_targetILNS1_3genE0ELNS1_11target_archE4294967295ELNS1_3gpuE0ELNS1_3repE0EEES8_NS1_28merge_sort_block_sort_configILj256ELj4ELNS0_20block_sort_algorithmE0EEENS0_14default_configENS1_37merge_sort_block_sort_config_selectorIdlEENS1_38merge_sort_block_merge_config_selectorIdlEEEEvv,@function
_ZN7rocprim17ROCPRIM_400000_NS6detail44device_merge_sort_compile_time_verifier_archINS1_11comp_targetILNS1_3genE0ELNS1_11target_archE4294967295ELNS1_3gpuE0ELNS1_3repE0EEES8_NS1_28merge_sort_block_sort_configILj256ELj4ELNS0_20block_sort_algorithmE0EEENS0_14default_configENS1_37merge_sort_block_sort_config_selectorIdlEENS1_38merge_sort_block_merge_config_selectorIdlEEEEvv: ; @_ZN7rocprim17ROCPRIM_400000_NS6detail44device_merge_sort_compile_time_verifier_archINS1_11comp_targetILNS1_3genE0ELNS1_11target_archE4294967295ELNS1_3gpuE0ELNS1_3repE0EEES8_NS1_28merge_sort_block_sort_configILj256ELj4ELNS0_20block_sort_algorithmE0EEENS0_14default_configENS1_37merge_sort_block_sort_config_selectorIdlEENS1_38merge_sort_block_merge_config_selectorIdlEEEEvv
; %bb.0:
	s_endpgm
	.section	.rodata,"a",@progbits
	.p2align	6, 0x0
	.amdhsa_kernel _ZN7rocprim17ROCPRIM_400000_NS6detail44device_merge_sort_compile_time_verifier_archINS1_11comp_targetILNS1_3genE0ELNS1_11target_archE4294967295ELNS1_3gpuE0ELNS1_3repE0EEES8_NS1_28merge_sort_block_sort_configILj256ELj4ELNS0_20block_sort_algorithmE0EEENS0_14default_configENS1_37merge_sort_block_sort_config_selectorIdlEENS1_38merge_sort_block_merge_config_selectorIdlEEEEvv
		.amdhsa_group_segment_fixed_size 0
		.amdhsa_private_segment_fixed_size 0
		.amdhsa_kernarg_size 0
		.amdhsa_user_sgpr_count 4
		.amdhsa_user_sgpr_private_segment_buffer 1
		.amdhsa_user_sgpr_dispatch_ptr 0
		.amdhsa_user_sgpr_queue_ptr 0
		.amdhsa_user_sgpr_kernarg_segment_ptr 0
		.amdhsa_user_sgpr_dispatch_id 0
		.amdhsa_user_sgpr_flat_scratch_init 0
		.amdhsa_user_sgpr_kernarg_preload_length 0
		.amdhsa_user_sgpr_kernarg_preload_offset 0
		.amdhsa_user_sgpr_private_segment_size 0
		.amdhsa_uses_dynamic_stack 0
		.amdhsa_system_sgpr_private_segment_wavefront_offset 0
		.amdhsa_system_sgpr_workgroup_id_x 1
		.amdhsa_system_sgpr_workgroup_id_y 0
		.amdhsa_system_sgpr_workgroup_id_z 0
		.amdhsa_system_sgpr_workgroup_info 0
		.amdhsa_system_vgpr_workitem_id 0
		.amdhsa_next_free_vgpr 1
		.amdhsa_next_free_sgpr 0
		.amdhsa_accum_offset 4
		.amdhsa_reserve_vcc 0
		.amdhsa_reserve_flat_scratch 0
		.amdhsa_float_round_mode_32 0
		.amdhsa_float_round_mode_16_64 0
		.amdhsa_float_denorm_mode_32 3
		.amdhsa_float_denorm_mode_16_64 3
		.amdhsa_dx10_clamp 1
		.amdhsa_ieee_mode 1
		.amdhsa_fp16_overflow 0
		.amdhsa_tg_split 0
		.amdhsa_exception_fp_ieee_invalid_op 0
		.amdhsa_exception_fp_denorm_src 0
		.amdhsa_exception_fp_ieee_div_zero 0
		.amdhsa_exception_fp_ieee_overflow 0
		.amdhsa_exception_fp_ieee_underflow 0
		.amdhsa_exception_fp_ieee_inexact 0
		.amdhsa_exception_int_div_zero 0
	.end_amdhsa_kernel
	.section	.text._ZN7rocprim17ROCPRIM_400000_NS6detail44device_merge_sort_compile_time_verifier_archINS1_11comp_targetILNS1_3genE0ELNS1_11target_archE4294967295ELNS1_3gpuE0ELNS1_3repE0EEES8_NS1_28merge_sort_block_sort_configILj256ELj4ELNS0_20block_sort_algorithmE0EEENS0_14default_configENS1_37merge_sort_block_sort_config_selectorIdlEENS1_38merge_sort_block_merge_config_selectorIdlEEEEvv,"axG",@progbits,_ZN7rocprim17ROCPRIM_400000_NS6detail44device_merge_sort_compile_time_verifier_archINS1_11comp_targetILNS1_3genE0ELNS1_11target_archE4294967295ELNS1_3gpuE0ELNS1_3repE0EEES8_NS1_28merge_sort_block_sort_configILj256ELj4ELNS0_20block_sort_algorithmE0EEENS0_14default_configENS1_37merge_sort_block_sort_config_selectorIdlEENS1_38merge_sort_block_merge_config_selectorIdlEEEEvv,comdat
.Lfunc_end1533:
	.size	_ZN7rocprim17ROCPRIM_400000_NS6detail44device_merge_sort_compile_time_verifier_archINS1_11comp_targetILNS1_3genE0ELNS1_11target_archE4294967295ELNS1_3gpuE0ELNS1_3repE0EEES8_NS1_28merge_sort_block_sort_configILj256ELj4ELNS0_20block_sort_algorithmE0EEENS0_14default_configENS1_37merge_sort_block_sort_config_selectorIdlEENS1_38merge_sort_block_merge_config_selectorIdlEEEEvv, .Lfunc_end1533-_ZN7rocprim17ROCPRIM_400000_NS6detail44device_merge_sort_compile_time_verifier_archINS1_11comp_targetILNS1_3genE0ELNS1_11target_archE4294967295ELNS1_3gpuE0ELNS1_3repE0EEES8_NS1_28merge_sort_block_sort_configILj256ELj4ELNS0_20block_sort_algorithmE0EEENS0_14default_configENS1_37merge_sort_block_sort_config_selectorIdlEENS1_38merge_sort_block_merge_config_selectorIdlEEEEvv
                                        ; -- End function
	.section	.AMDGPU.csdata,"",@progbits
; Kernel info:
; codeLenInByte = 4
; NumSgprs: 4
; NumVgprs: 0
; NumAgprs: 0
; TotalNumVgprs: 0
; ScratchSize: 0
; MemoryBound: 0
; FloatMode: 240
; IeeeMode: 1
; LDSByteSize: 0 bytes/workgroup (compile time only)
; SGPRBlocks: 0
; VGPRBlocks: 0
; NumSGPRsForWavesPerEU: 4
; NumVGPRsForWavesPerEU: 1
; AccumOffset: 4
; Occupancy: 8
; WaveLimiterHint : 0
; COMPUTE_PGM_RSRC2:SCRATCH_EN: 0
; COMPUTE_PGM_RSRC2:USER_SGPR: 4
; COMPUTE_PGM_RSRC2:TRAP_HANDLER: 0
; COMPUTE_PGM_RSRC2:TGID_X_EN: 1
; COMPUTE_PGM_RSRC2:TGID_Y_EN: 0
; COMPUTE_PGM_RSRC2:TGID_Z_EN: 0
; COMPUTE_PGM_RSRC2:TIDIG_COMP_CNT: 0
; COMPUTE_PGM_RSRC3_GFX90A:ACCUM_OFFSET: 0
; COMPUTE_PGM_RSRC3_GFX90A:TG_SPLIT: 0
	.section	.text._ZN7rocprim17ROCPRIM_400000_NS6detail44device_merge_sort_compile_time_verifier_archINS1_11comp_targetILNS1_3genE5ELNS1_11target_archE942ELNS1_3gpuE9ELNS1_3repE0EEES8_NS1_28merge_sort_block_sort_configILj256ELj4ELNS0_20block_sort_algorithmE0EEENS0_14default_configENS1_37merge_sort_block_sort_config_selectorIdlEENS1_38merge_sort_block_merge_config_selectorIdlEEEEvv,"axG",@progbits,_ZN7rocprim17ROCPRIM_400000_NS6detail44device_merge_sort_compile_time_verifier_archINS1_11comp_targetILNS1_3genE5ELNS1_11target_archE942ELNS1_3gpuE9ELNS1_3repE0EEES8_NS1_28merge_sort_block_sort_configILj256ELj4ELNS0_20block_sort_algorithmE0EEENS0_14default_configENS1_37merge_sort_block_sort_config_selectorIdlEENS1_38merge_sort_block_merge_config_selectorIdlEEEEvv,comdat
	.protected	_ZN7rocprim17ROCPRIM_400000_NS6detail44device_merge_sort_compile_time_verifier_archINS1_11comp_targetILNS1_3genE5ELNS1_11target_archE942ELNS1_3gpuE9ELNS1_3repE0EEES8_NS1_28merge_sort_block_sort_configILj256ELj4ELNS0_20block_sort_algorithmE0EEENS0_14default_configENS1_37merge_sort_block_sort_config_selectorIdlEENS1_38merge_sort_block_merge_config_selectorIdlEEEEvv ; -- Begin function _ZN7rocprim17ROCPRIM_400000_NS6detail44device_merge_sort_compile_time_verifier_archINS1_11comp_targetILNS1_3genE5ELNS1_11target_archE942ELNS1_3gpuE9ELNS1_3repE0EEES8_NS1_28merge_sort_block_sort_configILj256ELj4ELNS0_20block_sort_algorithmE0EEENS0_14default_configENS1_37merge_sort_block_sort_config_selectorIdlEENS1_38merge_sort_block_merge_config_selectorIdlEEEEvv
	.globl	_ZN7rocprim17ROCPRIM_400000_NS6detail44device_merge_sort_compile_time_verifier_archINS1_11comp_targetILNS1_3genE5ELNS1_11target_archE942ELNS1_3gpuE9ELNS1_3repE0EEES8_NS1_28merge_sort_block_sort_configILj256ELj4ELNS0_20block_sort_algorithmE0EEENS0_14default_configENS1_37merge_sort_block_sort_config_selectorIdlEENS1_38merge_sort_block_merge_config_selectorIdlEEEEvv
	.p2align	8
	.type	_ZN7rocprim17ROCPRIM_400000_NS6detail44device_merge_sort_compile_time_verifier_archINS1_11comp_targetILNS1_3genE5ELNS1_11target_archE942ELNS1_3gpuE9ELNS1_3repE0EEES8_NS1_28merge_sort_block_sort_configILj256ELj4ELNS0_20block_sort_algorithmE0EEENS0_14default_configENS1_37merge_sort_block_sort_config_selectorIdlEENS1_38merge_sort_block_merge_config_selectorIdlEEEEvv,@function
_ZN7rocprim17ROCPRIM_400000_NS6detail44device_merge_sort_compile_time_verifier_archINS1_11comp_targetILNS1_3genE5ELNS1_11target_archE942ELNS1_3gpuE9ELNS1_3repE0EEES8_NS1_28merge_sort_block_sort_configILj256ELj4ELNS0_20block_sort_algorithmE0EEENS0_14default_configENS1_37merge_sort_block_sort_config_selectorIdlEENS1_38merge_sort_block_merge_config_selectorIdlEEEEvv: ; @_ZN7rocprim17ROCPRIM_400000_NS6detail44device_merge_sort_compile_time_verifier_archINS1_11comp_targetILNS1_3genE5ELNS1_11target_archE942ELNS1_3gpuE9ELNS1_3repE0EEES8_NS1_28merge_sort_block_sort_configILj256ELj4ELNS0_20block_sort_algorithmE0EEENS0_14default_configENS1_37merge_sort_block_sort_config_selectorIdlEENS1_38merge_sort_block_merge_config_selectorIdlEEEEvv
; %bb.0:
	s_endpgm
	.section	.rodata,"a",@progbits
	.p2align	6, 0x0
	.amdhsa_kernel _ZN7rocprim17ROCPRIM_400000_NS6detail44device_merge_sort_compile_time_verifier_archINS1_11comp_targetILNS1_3genE5ELNS1_11target_archE942ELNS1_3gpuE9ELNS1_3repE0EEES8_NS1_28merge_sort_block_sort_configILj256ELj4ELNS0_20block_sort_algorithmE0EEENS0_14default_configENS1_37merge_sort_block_sort_config_selectorIdlEENS1_38merge_sort_block_merge_config_selectorIdlEEEEvv
		.amdhsa_group_segment_fixed_size 0
		.amdhsa_private_segment_fixed_size 0
		.amdhsa_kernarg_size 0
		.amdhsa_user_sgpr_count 4
		.amdhsa_user_sgpr_private_segment_buffer 1
		.amdhsa_user_sgpr_dispatch_ptr 0
		.amdhsa_user_sgpr_queue_ptr 0
		.amdhsa_user_sgpr_kernarg_segment_ptr 0
		.amdhsa_user_sgpr_dispatch_id 0
		.amdhsa_user_sgpr_flat_scratch_init 0
		.amdhsa_user_sgpr_kernarg_preload_length 0
		.amdhsa_user_sgpr_kernarg_preload_offset 0
		.amdhsa_user_sgpr_private_segment_size 0
		.amdhsa_uses_dynamic_stack 0
		.amdhsa_system_sgpr_private_segment_wavefront_offset 0
		.amdhsa_system_sgpr_workgroup_id_x 1
		.amdhsa_system_sgpr_workgroup_id_y 0
		.amdhsa_system_sgpr_workgroup_id_z 0
		.amdhsa_system_sgpr_workgroup_info 0
		.amdhsa_system_vgpr_workitem_id 0
		.amdhsa_next_free_vgpr 1
		.amdhsa_next_free_sgpr 0
		.amdhsa_accum_offset 4
		.amdhsa_reserve_vcc 0
		.amdhsa_reserve_flat_scratch 0
		.amdhsa_float_round_mode_32 0
		.amdhsa_float_round_mode_16_64 0
		.amdhsa_float_denorm_mode_32 3
		.amdhsa_float_denorm_mode_16_64 3
		.amdhsa_dx10_clamp 1
		.amdhsa_ieee_mode 1
		.amdhsa_fp16_overflow 0
		.amdhsa_tg_split 0
		.amdhsa_exception_fp_ieee_invalid_op 0
		.amdhsa_exception_fp_denorm_src 0
		.amdhsa_exception_fp_ieee_div_zero 0
		.amdhsa_exception_fp_ieee_overflow 0
		.amdhsa_exception_fp_ieee_underflow 0
		.amdhsa_exception_fp_ieee_inexact 0
		.amdhsa_exception_int_div_zero 0
	.end_amdhsa_kernel
	.section	.text._ZN7rocprim17ROCPRIM_400000_NS6detail44device_merge_sort_compile_time_verifier_archINS1_11comp_targetILNS1_3genE5ELNS1_11target_archE942ELNS1_3gpuE9ELNS1_3repE0EEES8_NS1_28merge_sort_block_sort_configILj256ELj4ELNS0_20block_sort_algorithmE0EEENS0_14default_configENS1_37merge_sort_block_sort_config_selectorIdlEENS1_38merge_sort_block_merge_config_selectorIdlEEEEvv,"axG",@progbits,_ZN7rocprim17ROCPRIM_400000_NS6detail44device_merge_sort_compile_time_verifier_archINS1_11comp_targetILNS1_3genE5ELNS1_11target_archE942ELNS1_3gpuE9ELNS1_3repE0EEES8_NS1_28merge_sort_block_sort_configILj256ELj4ELNS0_20block_sort_algorithmE0EEENS0_14default_configENS1_37merge_sort_block_sort_config_selectorIdlEENS1_38merge_sort_block_merge_config_selectorIdlEEEEvv,comdat
.Lfunc_end1534:
	.size	_ZN7rocprim17ROCPRIM_400000_NS6detail44device_merge_sort_compile_time_verifier_archINS1_11comp_targetILNS1_3genE5ELNS1_11target_archE942ELNS1_3gpuE9ELNS1_3repE0EEES8_NS1_28merge_sort_block_sort_configILj256ELj4ELNS0_20block_sort_algorithmE0EEENS0_14default_configENS1_37merge_sort_block_sort_config_selectorIdlEENS1_38merge_sort_block_merge_config_selectorIdlEEEEvv, .Lfunc_end1534-_ZN7rocprim17ROCPRIM_400000_NS6detail44device_merge_sort_compile_time_verifier_archINS1_11comp_targetILNS1_3genE5ELNS1_11target_archE942ELNS1_3gpuE9ELNS1_3repE0EEES8_NS1_28merge_sort_block_sort_configILj256ELj4ELNS0_20block_sort_algorithmE0EEENS0_14default_configENS1_37merge_sort_block_sort_config_selectorIdlEENS1_38merge_sort_block_merge_config_selectorIdlEEEEvv
                                        ; -- End function
	.section	.AMDGPU.csdata,"",@progbits
; Kernel info:
; codeLenInByte = 4
; NumSgprs: 4
; NumVgprs: 0
; NumAgprs: 0
; TotalNumVgprs: 0
; ScratchSize: 0
; MemoryBound: 0
; FloatMode: 240
; IeeeMode: 1
; LDSByteSize: 0 bytes/workgroup (compile time only)
; SGPRBlocks: 0
; VGPRBlocks: 0
; NumSGPRsForWavesPerEU: 4
; NumVGPRsForWavesPerEU: 1
; AccumOffset: 4
; Occupancy: 8
; WaveLimiterHint : 0
; COMPUTE_PGM_RSRC2:SCRATCH_EN: 0
; COMPUTE_PGM_RSRC2:USER_SGPR: 4
; COMPUTE_PGM_RSRC2:TRAP_HANDLER: 0
; COMPUTE_PGM_RSRC2:TGID_X_EN: 1
; COMPUTE_PGM_RSRC2:TGID_Y_EN: 0
; COMPUTE_PGM_RSRC2:TGID_Z_EN: 0
; COMPUTE_PGM_RSRC2:TIDIG_COMP_CNT: 0
; COMPUTE_PGM_RSRC3_GFX90A:ACCUM_OFFSET: 0
; COMPUTE_PGM_RSRC3_GFX90A:TG_SPLIT: 0
	.section	.text._ZN7rocprim17ROCPRIM_400000_NS6detail44device_merge_sort_compile_time_verifier_archINS1_11comp_targetILNS1_3genE4ELNS1_11target_archE910ELNS1_3gpuE8ELNS1_3repE0EEES8_NS1_28merge_sort_block_sort_configILj256ELj4ELNS0_20block_sort_algorithmE0EEENS0_14default_configENS1_37merge_sort_block_sort_config_selectorIdlEENS1_38merge_sort_block_merge_config_selectorIdlEEEEvv,"axG",@progbits,_ZN7rocprim17ROCPRIM_400000_NS6detail44device_merge_sort_compile_time_verifier_archINS1_11comp_targetILNS1_3genE4ELNS1_11target_archE910ELNS1_3gpuE8ELNS1_3repE0EEES8_NS1_28merge_sort_block_sort_configILj256ELj4ELNS0_20block_sort_algorithmE0EEENS0_14default_configENS1_37merge_sort_block_sort_config_selectorIdlEENS1_38merge_sort_block_merge_config_selectorIdlEEEEvv,comdat
	.protected	_ZN7rocprim17ROCPRIM_400000_NS6detail44device_merge_sort_compile_time_verifier_archINS1_11comp_targetILNS1_3genE4ELNS1_11target_archE910ELNS1_3gpuE8ELNS1_3repE0EEES8_NS1_28merge_sort_block_sort_configILj256ELj4ELNS0_20block_sort_algorithmE0EEENS0_14default_configENS1_37merge_sort_block_sort_config_selectorIdlEENS1_38merge_sort_block_merge_config_selectorIdlEEEEvv ; -- Begin function _ZN7rocprim17ROCPRIM_400000_NS6detail44device_merge_sort_compile_time_verifier_archINS1_11comp_targetILNS1_3genE4ELNS1_11target_archE910ELNS1_3gpuE8ELNS1_3repE0EEES8_NS1_28merge_sort_block_sort_configILj256ELj4ELNS0_20block_sort_algorithmE0EEENS0_14default_configENS1_37merge_sort_block_sort_config_selectorIdlEENS1_38merge_sort_block_merge_config_selectorIdlEEEEvv
	.globl	_ZN7rocprim17ROCPRIM_400000_NS6detail44device_merge_sort_compile_time_verifier_archINS1_11comp_targetILNS1_3genE4ELNS1_11target_archE910ELNS1_3gpuE8ELNS1_3repE0EEES8_NS1_28merge_sort_block_sort_configILj256ELj4ELNS0_20block_sort_algorithmE0EEENS0_14default_configENS1_37merge_sort_block_sort_config_selectorIdlEENS1_38merge_sort_block_merge_config_selectorIdlEEEEvv
	.p2align	8
	.type	_ZN7rocprim17ROCPRIM_400000_NS6detail44device_merge_sort_compile_time_verifier_archINS1_11comp_targetILNS1_3genE4ELNS1_11target_archE910ELNS1_3gpuE8ELNS1_3repE0EEES8_NS1_28merge_sort_block_sort_configILj256ELj4ELNS0_20block_sort_algorithmE0EEENS0_14default_configENS1_37merge_sort_block_sort_config_selectorIdlEENS1_38merge_sort_block_merge_config_selectorIdlEEEEvv,@function
_ZN7rocprim17ROCPRIM_400000_NS6detail44device_merge_sort_compile_time_verifier_archINS1_11comp_targetILNS1_3genE4ELNS1_11target_archE910ELNS1_3gpuE8ELNS1_3repE0EEES8_NS1_28merge_sort_block_sort_configILj256ELj4ELNS0_20block_sort_algorithmE0EEENS0_14default_configENS1_37merge_sort_block_sort_config_selectorIdlEENS1_38merge_sort_block_merge_config_selectorIdlEEEEvv: ; @_ZN7rocprim17ROCPRIM_400000_NS6detail44device_merge_sort_compile_time_verifier_archINS1_11comp_targetILNS1_3genE4ELNS1_11target_archE910ELNS1_3gpuE8ELNS1_3repE0EEES8_NS1_28merge_sort_block_sort_configILj256ELj4ELNS0_20block_sort_algorithmE0EEENS0_14default_configENS1_37merge_sort_block_sort_config_selectorIdlEENS1_38merge_sort_block_merge_config_selectorIdlEEEEvv
; %bb.0:
	s_endpgm
	.section	.rodata,"a",@progbits
	.p2align	6, 0x0
	.amdhsa_kernel _ZN7rocprim17ROCPRIM_400000_NS6detail44device_merge_sort_compile_time_verifier_archINS1_11comp_targetILNS1_3genE4ELNS1_11target_archE910ELNS1_3gpuE8ELNS1_3repE0EEES8_NS1_28merge_sort_block_sort_configILj256ELj4ELNS0_20block_sort_algorithmE0EEENS0_14default_configENS1_37merge_sort_block_sort_config_selectorIdlEENS1_38merge_sort_block_merge_config_selectorIdlEEEEvv
		.amdhsa_group_segment_fixed_size 0
		.amdhsa_private_segment_fixed_size 0
		.amdhsa_kernarg_size 0
		.amdhsa_user_sgpr_count 4
		.amdhsa_user_sgpr_private_segment_buffer 1
		.amdhsa_user_sgpr_dispatch_ptr 0
		.amdhsa_user_sgpr_queue_ptr 0
		.amdhsa_user_sgpr_kernarg_segment_ptr 0
		.amdhsa_user_sgpr_dispatch_id 0
		.amdhsa_user_sgpr_flat_scratch_init 0
		.amdhsa_user_sgpr_kernarg_preload_length 0
		.amdhsa_user_sgpr_kernarg_preload_offset 0
		.amdhsa_user_sgpr_private_segment_size 0
		.amdhsa_uses_dynamic_stack 0
		.amdhsa_system_sgpr_private_segment_wavefront_offset 0
		.amdhsa_system_sgpr_workgroup_id_x 1
		.amdhsa_system_sgpr_workgroup_id_y 0
		.amdhsa_system_sgpr_workgroup_id_z 0
		.amdhsa_system_sgpr_workgroup_info 0
		.amdhsa_system_vgpr_workitem_id 0
		.amdhsa_next_free_vgpr 1
		.amdhsa_next_free_sgpr 0
		.amdhsa_accum_offset 4
		.amdhsa_reserve_vcc 0
		.amdhsa_reserve_flat_scratch 0
		.amdhsa_float_round_mode_32 0
		.amdhsa_float_round_mode_16_64 0
		.amdhsa_float_denorm_mode_32 3
		.amdhsa_float_denorm_mode_16_64 3
		.amdhsa_dx10_clamp 1
		.amdhsa_ieee_mode 1
		.amdhsa_fp16_overflow 0
		.amdhsa_tg_split 0
		.amdhsa_exception_fp_ieee_invalid_op 0
		.amdhsa_exception_fp_denorm_src 0
		.amdhsa_exception_fp_ieee_div_zero 0
		.amdhsa_exception_fp_ieee_overflow 0
		.amdhsa_exception_fp_ieee_underflow 0
		.amdhsa_exception_fp_ieee_inexact 0
		.amdhsa_exception_int_div_zero 0
	.end_amdhsa_kernel
	.section	.text._ZN7rocprim17ROCPRIM_400000_NS6detail44device_merge_sort_compile_time_verifier_archINS1_11comp_targetILNS1_3genE4ELNS1_11target_archE910ELNS1_3gpuE8ELNS1_3repE0EEES8_NS1_28merge_sort_block_sort_configILj256ELj4ELNS0_20block_sort_algorithmE0EEENS0_14default_configENS1_37merge_sort_block_sort_config_selectorIdlEENS1_38merge_sort_block_merge_config_selectorIdlEEEEvv,"axG",@progbits,_ZN7rocprim17ROCPRIM_400000_NS6detail44device_merge_sort_compile_time_verifier_archINS1_11comp_targetILNS1_3genE4ELNS1_11target_archE910ELNS1_3gpuE8ELNS1_3repE0EEES8_NS1_28merge_sort_block_sort_configILj256ELj4ELNS0_20block_sort_algorithmE0EEENS0_14default_configENS1_37merge_sort_block_sort_config_selectorIdlEENS1_38merge_sort_block_merge_config_selectorIdlEEEEvv,comdat
.Lfunc_end1535:
	.size	_ZN7rocprim17ROCPRIM_400000_NS6detail44device_merge_sort_compile_time_verifier_archINS1_11comp_targetILNS1_3genE4ELNS1_11target_archE910ELNS1_3gpuE8ELNS1_3repE0EEES8_NS1_28merge_sort_block_sort_configILj256ELj4ELNS0_20block_sort_algorithmE0EEENS0_14default_configENS1_37merge_sort_block_sort_config_selectorIdlEENS1_38merge_sort_block_merge_config_selectorIdlEEEEvv, .Lfunc_end1535-_ZN7rocprim17ROCPRIM_400000_NS6detail44device_merge_sort_compile_time_verifier_archINS1_11comp_targetILNS1_3genE4ELNS1_11target_archE910ELNS1_3gpuE8ELNS1_3repE0EEES8_NS1_28merge_sort_block_sort_configILj256ELj4ELNS0_20block_sort_algorithmE0EEENS0_14default_configENS1_37merge_sort_block_sort_config_selectorIdlEENS1_38merge_sort_block_merge_config_selectorIdlEEEEvv
                                        ; -- End function
	.section	.AMDGPU.csdata,"",@progbits
; Kernel info:
; codeLenInByte = 4
; NumSgprs: 4
; NumVgprs: 0
; NumAgprs: 0
; TotalNumVgprs: 0
; ScratchSize: 0
; MemoryBound: 0
; FloatMode: 240
; IeeeMode: 1
; LDSByteSize: 0 bytes/workgroup (compile time only)
; SGPRBlocks: 0
; VGPRBlocks: 0
; NumSGPRsForWavesPerEU: 4
; NumVGPRsForWavesPerEU: 1
; AccumOffset: 4
; Occupancy: 8
; WaveLimiterHint : 0
; COMPUTE_PGM_RSRC2:SCRATCH_EN: 0
; COMPUTE_PGM_RSRC2:USER_SGPR: 4
; COMPUTE_PGM_RSRC2:TRAP_HANDLER: 0
; COMPUTE_PGM_RSRC2:TGID_X_EN: 1
; COMPUTE_PGM_RSRC2:TGID_Y_EN: 0
; COMPUTE_PGM_RSRC2:TGID_Z_EN: 0
; COMPUTE_PGM_RSRC2:TIDIG_COMP_CNT: 0
; COMPUTE_PGM_RSRC3_GFX90A:ACCUM_OFFSET: 0
; COMPUTE_PGM_RSRC3_GFX90A:TG_SPLIT: 0
	.section	.text._ZN7rocprim17ROCPRIM_400000_NS6detail44device_merge_sort_compile_time_verifier_archINS1_11comp_targetILNS1_3genE3ELNS1_11target_archE908ELNS1_3gpuE7ELNS1_3repE0EEES8_NS1_28merge_sort_block_sort_configILj256ELj4ELNS0_20block_sort_algorithmE0EEENS0_14default_configENS1_37merge_sort_block_sort_config_selectorIdlEENS1_38merge_sort_block_merge_config_selectorIdlEEEEvv,"axG",@progbits,_ZN7rocprim17ROCPRIM_400000_NS6detail44device_merge_sort_compile_time_verifier_archINS1_11comp_targetILNS1_3genE3ELNS1_11target_archE908ELNS1_3gpuE7ELNS1_3repE0EEES8_NS1_28merge_sort_block_sort_configILj256ELj4ELNS0_20block_sort_algorithmE0EEENS0_14default_configENS1_37merge_sort_block_sort_config_selectorIdlEENS1_38merge_sort_block_merge_config_selectorIdlEEEEvv,comdat
	.protected	_ZN7rocprim17ROCPRIM_400000_NS6detail44device_merge_sort_compile_time_verifier_archINS1_11comp_targetILNS1_3genE3ELNS1_11target_archE908ELNS1_3gpuE7ELNS1_3repE0EEES8_NS1_28merge_sort_block_sort_configILj256ELj4ELNS0_20block_sort_algorithmE0EEENS0_14default_configENS1_37merge_sort_block_sort_config_selectorIdlEENS1_38merge_sort_block_merge_config_selectorIdlEEEEvv ; -- Begin function _ZN7rocprim17ROCPRIM_400000_NS6detail44device_merge_sort_compile_time_verifier_archINS1_11comp_targetILNS1_3genE3ELNS1_11target_archE908ELNS1_3gpuE7ELNS1_3repE0EEES8_NS1_28merge_sort_block_sort_configILj256ELj4ELNS0_20block_sort_algorithmE0EEENS0_14default_configENS1_37merge_sort_block_sort_config_selectorIdlEENS1_38merge_sort_block_merge_config_selectorIdlEEEEvv
	.globl	_ZN7rocprim17ROCPRIM_400000_NS6detail44device_merge_sort_compile_time_verifier_archINS1_11comp_targetILNS1_3genE3ELNS1_11target_archE908ELNS1_3gpuE7ELNS1_3repE0EEES8_NS1_28merge_sort_block_sort_configILj256ELj4ELNS0_20block_sort_algorithmE0EEENS0_14default_configENS1_37merge_sort_block_sort_config_selectorIdlEENS1_38merge_sort_block_merge_config_selectorIdlEEEEvv
	.p2align	8
	.type	_ZN7rocprim17ROCPRIM_400000_NS6detail44device_merge_sort_compile_time_verifier_archINS1_11comp_targetILNS1_3genE3ELNS1_11target_archE908ELNS1_3gpuE7ELNS1_3repE0EEES8_NS1_28merge_sort_block_sort_configILj256ELj4ELNS0_20block_sort_algorithmE0EEENS0_14default_configENS1_37merge_sort_block_sort_config_selectorIdlEENS1_38merge_sort_block_merge_config_selectorIdlEEEEvv,@function
_ZN7rocprim17ROCPRIM_400000_NS6detail44device_merge_sort_compile_time_verifier_archINS1_11comp_targetILNS1_3genE3ELNS1_11target_archE908ELNS1_3gpuE7ELNS1_3repE0EEES8_NS1_28merge_sort_block_sort_configILj256ELj4ELNS0_20block_sort_algorithmE0EEENS0_14default_configENS1_37merge_sort_block_sort_config_selectorIdlEENS1_38merge_sort_block_merge_config_selectorIdlEEEEvv: ; @_ZN7rocprim17ROCPRIM_400000_NS6detail44device_merge_sort_compile_time_verifier_archINS1_11comp_targetILNS1_3genE3ELNS1_11target_archE908ELNS1_3gpuE7ELNS1_3repE0EEES8_NS1_28merge_sort_block_sort_configILj256ELj4ELNS0_20block_sort_algorithmE0EEENS0_14default_configENS1_37merge_sort_block_sort_config_selectorIdlEENS1_38merge_sort_block_merge_config_selectorIdlEEEEvv
; %bb.0:
	s_endpgm
	.section	.rodata,"a",@progbits
	.p2align	6, 0x0
	.amdhsa_kernel _ZN7rocprim17ROCPRIM_400000_NS6detail44device_merge_sort_compile_time_verifier_archINS1_11comp_targetILNS1_3genE3ELNS1_11target_archE908ELNS1_3gpuE7ELNS1_3repE0EEES8_NS1_28merge_sort_block_sort_configILj256ELj4ELNS0_20block_sort_algorithmE0EEENS0_14default_configENS1_37merge_sort_block_sort_config_selectorIdlEENS1_38merge_sort_block_merge_config_selectorIdlEEEEvv
		.amdhsa_group_segment_fixed_size 0
		.amdhsa_private_segment_fixed_size 0
		.amdhsa_kernarg_size 0
		.amdhsa_user_sgpr_count 4
		.amdhsa_user_sgpr_private_segment_buffer 1
		.amdhsa_user_sgpr_dispatch_ptr 0
		.amdhsa_user_sgpr_queue_ptr 0
		.amdhsa_user_sgpr_kernarg_segment_ptr 0
		.amdhsa_user_sgpr_dispatch_id 0
		.amdhsa_user_sgpr_flat_scratch_init 0
		.amdhsa_user_sgpr_kernarg_preload_length 0
		.amdhsa_user_sgpr_kernarg_preload_offset 0
		.amdhsa_user_sgpr_private_segment_size 0
		.amdhsa_uses_dynamic_stack 0
		.amdhsa_system_sgpr_private_segment_wavefront_offset 0
		.amdhsa_system_sgpr_workgroup_id_x 1
		.amdhsa_system_sgpr_workgroup_id_y 0
		.amdhsa_system_sgpr_workgroup_id_z 0
		.amdhsa_system_sgpr_workgroup_info 0
		.amdhsa_system_vgpr_workitem_id 0
		.amdhsa_next_free_vgpr 1
		.amdhsa_next_free_sgpr 0
		.amdhsa_accum_offset 4
		.amdhsa_reserve_vcc 0
		.amdhsa_reserve_flat_scratch 0
		.amdhsa_float_round_mode_32 0
		.amdhsa_float_round_mode_16_64 0
		.amdhsa_float_denorm_mode_32 3
		.amdhsa_float_denorm_mode_16_64 3
		.amdhsa_dx10_clamp 1
		.amdhsa_ieee_mode 1
		.amdhsa_fp16_overflow 0
		.amdhsa_tg_split 0
		.amdhsa_exception_fp_ieee_invalid_op 0
		.amdhsa_exception_fp_denorm_src 0
		.amdhsa_exception_fp_ieee_div_zero 0
		.amdhsa_exception_fp_ieee_overflow 0
		.amdhsa_exception_fp_ieee_underflow 0
		.amdhsa_exception_fp_ieee_inexact 0
		.amdhsa_exception_int_div_zero 0
	.end_amdhsa_kernel
	.section	.text._ZN7rocprim17ROCPRIM_400000_NS6detail44device_merge_sort_compile_time_verifier_archINS1_11comp_targetILNS1_3genE3ELNS1_11target_archE908ELNS1_3gpuE7ELNS1_3repE0EEES8_NS1_28merge_sort_block_sort_configILj256ELj4ELNS0_20block_sort_algorithmE0EEENS0_14default_configENS1_37merge_sort_block_sort_config_selectorIdlEENS1_38merge_sort_block_merge_config_selectorIdlEEEEvv,"axG",@progbits,_ZN7rocprim17ROCPRIM_400000_NS6detail44device_merge_sort_compile_time_verifier_archINS1_11comp_targetILNS1_3genE3ELNS1_11target_archE908ELNS1_3gpuE7ELNS1_3repE0EEES8_NS1_28merge_sort_block_sort_configILj256ELj4ELNS0_20block_sort_algorithmE0EEENS0_14default_configENS1_37merge_sort_block_sort_config_selectorIdlEENS1_38merge_sort_block_merge_config_selectorIdlEEEEvv,comdat
.Lfunc_end1536:
	.size	_ZN7rocprim17ROCPRIM_400000_NS6detail44device_merge_sort_compile_time_verifier_archINS1_11comp_targetILNS1_3genE3ELNS1_11target_archE908ELNS1_3gpuE7ELNS1_3repE0EEES8_NS1_28merge_sort_block_sort_configILj256ELj4ELNS0_20block_sort_algorithmE0EEENS0_14default_configENS1_37merge_sort_block_sort_config_selectorIdlEENS1_38merge_sort_block_merge_config_selectorIdlEEEEvv, .Lfunc_end1536-_ZN7rocprim17ROCPRIM_400000_NS6detail44device_merge_sort_compile_time_verifier_archINS1_11comp_targetILNS1_3genE3ELNS1_11target_archE908ELNS1_3gpuE7ELNS1_3repE0EEES8_NS1_28merge_sort_block_sort_configILj256ELj4ELNS0_20block_sort_algorithmE0EEENS0_14default_configENS1_37merge_sort_block_sort_config_selectorIdlEENS1_38merge_sort_block_merge_config_selectorIdlEEEEvv
                                        ; -- End function
	.section	.AMDGPU.csdata,"",@progbits
; Kernel info:
; codeLenInByte = 4
; NumSgprs: 4
; NumVgprs: 0
; NumAgprs: 0
; TotalNumVgprs: 0
; ScratchSize: 0
; MemoryBound: 0
; FloatMode: 240
; IeeeMode: 1
; LDSByteSize: 0 bytes/workgroup (compile time only)
; SGPRBlocks: 0
; VGPRBlocks: 0
; NumSGPRsForWavesPerEU: 4
; NumVGPRsForWavesPerEU: 1
; AccumOffset: 4
; Occupancy: 8
; WaveLimiterHint : 0
; COMPUTE_PGM_RSRC2:SCRATCH_EN: 0
; COMPUTE_PGM_RSRC2:USER_SGPR: 4
; COMPUTE_PGM_RSRC2:TRAP_HANDLER: 0
; COMPUTE_PGM_RSRC2:TGID_X_EN: 1
; COMPUTE_PGM_RSRC2:TGID_Y_EN: 0
; COMPUTE_PGM_RSRC2:TGID_Z_EN: 0
; COMPUTE_PGM_RSRC2:TIDIG_COMP_CNT: 0
; COMPUTE_PGM_RSRC3_GFX90A:ACCUM_OFFSET: 0
; COMPUTE_PGM_RSRC3_GFX90A:TG_SPLIT: 0
	.section	.text._ZN7rocprim17ROCPRIM_400000_NS6detail44device_merge_sort_compile_time_verifier_archINS1_11comp_targetILNS1_3genE2ELNS1_11target_archE906ELNS1_3gpuE6ELNS1_3repE0EEES8_NS1_28merge_sort_block_sort_configILj256ELj4ELNS0_20block_sort_algorithmE0EEENS0_14default_configENS1_37merge_sort_block_sort_config_selectorIdlEENS1_38merge_sort_block_merge_config_selectorIdlEEEEvv,"axG",@progbits,_ZN7rocprim17ROCPRIM_400000_NS6detail44device_merge_sort_compile_time_verifier_archINS1_11comp_targetILNS1_3genE2ELNS1_11target_archE906ELNS1_3gpuE6ELNS1_3repE0EEES8_NS1_28merge_sort_block_sort_configILj256ELj4ELNS0_20block_sort_algorithmE0EEENS0_14default_configENS1_37merge_sort_block_sort_config_selectorIdlEENS1_38merge_sort_block_merge_config_selectorIdlEEEEvv,comdat
	.protected	_ZN7rocprim17ROCPRIM_400000_NS6detail44device_merge_sort_compile_time_verifier_archINS1_11comp_targetILNS1_3genE2ELNS1_11target_archE906ELNS1_3gpuE6ELNS1_3repE0EEES8_NS1_28merge_sort_block_sort_configILj256ELj4ELNS0_20block_sort_algorithmE0EEENS0_14default_configENS1_37merge_sort_block_sort_config_selectorIdlEENS1_38merge_sort_block_merge_config_selectorIdlEEEEvv ; -- Begin function _ZN7rocprim17ROCPRIM_400000_NS6detail44device_merge_sort_compile_time_verifier_archINS1_11comp_targetILNS1_3genE2ELNS1_11target_archE906ELNS1_3gpuE6ELNS1_3repE0EEES8_NS1_28merge_sort_block_sort_configILj256ELj4ELNS0_20block_sort_algorithmE0EEENS0_14default_configENS1_37merge_sort_block_sort_config_selectorIdlEENS1_38merge_sort_block_merge_config_selectorIdlEEEEvv
	.globl	_ZN7rocprim17ROCPRIM_400000_NS6detail44device_merge_sort_compile_time_verifier_archINS1_11comp_targetILNS1_3genE2ELNS1_11target_archE906ELNS1_3gpuE6ELNS1_3repE0EEES8_NS1_28merge_sort_block_sort_configILj256ELj4ELNS0_20block_sort_algorithmE0EEENS0_14default_configENS1_37merge_sort_block_sort_config_selectorIdlEENS1_38merge_sort_block_merge_config_selectorIdlEEEEvv
	.p2align	8
	.type	_ZN7rocprim17ROCPRIM_400000_NS6detail44device_merge_sort_compile_time_verifier_archINS1_11comp_targetILNS1_3genE2ELNS1_11target_archE906ELNS1_3gpuE6ELNS1_3repE0EEES8_NS1_28merge_sort_block_sort_configILj256ELj4ELNS0_20block_sort_algorithmE0EEENS0_14default_configENS1_37merge_sort_block_sort_config_selectorIdlEENS1_38merge_sort_block_merge_config_selectorIdlEEEEvv,@function
_ZN7rocprim17ROCPRIM_400000_NS6detail44device_merge_sort_compile_time_verifier_archINS1_11comp_targetILNS1_3genE2ELNS1_11target_archE906ELNS1_3gpuE6ELNS1_3repE0EEES8_NS1_28merge_sort_block_sort_configILj256ELj4ELNS0_20block_sort_algorithmE0EEENS0_14default_configENS1_37merge_sort_block_sort_config_selectorIdlEENS1_38merge_sort_block_merge_config_selectorIdlEEEEvv: ; @_ZN7rocprim17ROCPRIM_400000_NS6detail44device_merge_sort_compile_time_verifier_archINS1_11comp_targetILNS1_3genE2ELNS1_11target_archE906ELNS1_3gpuE6ELNS1_3repE0EEES8_NS1_28merge_sort_block_sort_configILj256ELj4ELNS0_20block_sort_algorithmE0EEENS0_14default_configENS1_37merge_sort_block_sort_config_selectorIdlEENS1_38merge_sort_block_merge_config_selectorIdlEEEEvv
; %bb.0:
	s_endpgm
	.section	.rodata,"a",@progbits
	.p2align	6, 0x0
	.amdhsa_kernel _ZN7rocprim17ROCPRIM_400000_NS6detail44device_merge_sort_compile_time_verifier_archINS1_11comp_targetILNS1_3genE2ELNS1_11target_archE906ELNS1_3gpuE6ELNS1_3repE0EEES8_NS1_28merge_sort_block_sort_configILj256ELj4ELNS0_20block_sort_algorithmE0EEENS0_14default_configENS1_37merge_sort_block_sort_config_selectorIdlEENS1_38merge_sort_block_merge_config_selectorIdlEEEEvv
		.amdhsa_group_segment_fixed_size 0
		.amdhsa_private_segment_fixed_size 0
		.amdhsa_kernarg_size 0
		.amdhsa_user_sgpr_count 4
		.amdhsa_user_sgpr_private_segment_buffer 1
		.amdhsa_user_sgpr_dispatch_ptr 0
		.amdhsa_user_sgpr_queue_ptr 0
		.amdhsa_user_sgpr_kernarg_segment_ptr 0
		.amdhsa_user_sgpr_dispatch_id 0
		.amdhsa_user_sgpr_flat_scratch_init 0
		.amdhsa_user_sgpr_kernarg_preload_length 0
		.amdhsa_user_sgpr_kernarg_preload_offset 0
		.amdhsa_user_sgpr_private_segment_size 0
		.amdhsa_uses_dynamic_stack 0
		.amdhsa_system_sgpr_private_segment_wavefront_offset 0
		.amdhsa_system_sgpr_workgroup_id_x 1
		.amdhsa_system_sgpr_workgroup_id_y 0
		.amdhsa_system_sgpr_workgroup_id_z 0
		.amdhsa_system_sgpr_workgroup_info 0
		.amdhsa_system_vgpr_workitem_id 0
		.amdhsa_next_free_vgpr 1
		.amdhsa_next_free_sgpr 0
		.amdhsa_accum_offset 4
		.amdhsa_reserve_vcc 0
		.amdhsa_reserve_flat_scratch 0
		.amdhsa_float_round_mode_32 0
		.amdhsa_float_round_mode_16_64 0
		.amdhsa_float_denorm_mode_32 3
		.amdhsa_float_denorm_mode_16_64 3
		.amdhsa_dx10_clamp 1
		.amdhsa_ieee_mode 1
		.amdhsa_fp16_overflow 0
		.amdhsa_tg_split 0
		.amdhsa_exception_fp_ieee_invalid_op 0
		.amdhsa_exception_fp_denorm_src 0
		.amdhsa_exception_fp_ieee_div_zero 0
		.amdhsa_exception_fp_ieee_overflow 0
		.amdhsa_exception_fp_ieee_underflow 0
		.amdhsa_exception_fp_ieee_inexact 0
		.amdhsa_exception_int_div_zero 0
	.end_amdhsa_kernel
	.section	.text._ZN7rocprim17ROCPRIM_400000_NS6detail44device_merge_sort_compile_time_verifier_archINS1_11comp_targetILNS1_3genE2ELNS1_11target_archE906ELNS1_3gpuE6ELNS1_3repE0EEES8_NS1_28merge_sort_block_sort_configILj256ELj4ELNS0_20block_sort_algorithmE0EEENS0_14default_configENS1_37merge_sort_block_sort_config_selectorIdlEENS1_38merge_sort_block_merge_config_selectorIdlEEEEvv,"axG",@progbits,_ZN7rocprim17ROCPRIM_400000_NS6detail44device_merge_sort_compile_time_verifier_archINS1_11comp_targetILNS1_3genE2ELNS1_11target_archE906ELNS1_3gpuE6ELNS1_3repE0EEES8_NS1_28merge_sort_block_sort_configILj256ELj4ELNS0_20block_sort_algorithmE0EEENS0_14default_configENS1_37merge_sort_block_sort_config_selectorIdlEENS1_38merge_sort_block_merge_config_selectorIdlEEEEvv,comdat
.Lfunc_end1537:
	.size	_ZN7rocprim17ROCPRIM_400000_NS6detail44device_merge_sort_compile_time_verifier_archINS1_11comp_targetILNS1_3genE2ELNS1_11target_archE906ELNS1_3gpuE6ELNS1_3repE0EEES8_NS1_28merge_sort_block_sort_configILj256ELj4ELNS0_20block_sort_algorithmE0EEENS0_14default_configENS1_37merge_sort_block_sort_config_selectorIdlEENS1_38merge_sort_block_merge_config_selectorIdlEEEEvv, .Lfunc_end1537-_ZN7rocprim17ROCPRIM_400000_NS6detail44device_merge_sort_compile_time_verifier_archINS1_11comp_targetILNS1_3genE2ELNS1_11target_archE906ELNS1_3gpuE6ELNS1_3repE0EEES8_NS1_28merge_sort_block_sort_configILj256ELj4ELNS0_20block_sort_algorithmE0EEENS0_14default_configENS1_37merge_sort_block_sort_config_selectorIdlEENS1_38merge_sort_block_merge_config_selectorIdlEEEEvv
                                        ; -- End function
	.section	.AMDGPU.csdata,"",@progbits
; Kernel info:
; codeLenInByte = 4
; NumSgprs: 4
; NumVgprs: 0
; NumAgprs: 0
; TotalNumVgprs: 0
; ScratchSize: 0
; MemoryBound: 0
; FloatMode: 240
; IeeeMode: 1
; LDSByteSize: 0 bytes/workgroup (compile time only)
; SGPRBlocks: 0
; VGPRBlocks: 0
; NumSGPRsForWavesPerEU: 4
; NumVGPRsForWavesPerEU: 1
; AccumOffset: 4
; Occupancy: 8
; WaveLimiterHint : 0
; COMPUTE_PGM_RSRC2:SCRATCH_EN: 0
; COMPUTE_PGM_RSRC2:USER_SGPR: 4
; COMPUTE_PGM_RSRC2:TRAP_HANDLER: 0
; COMPUTE_PGM_RSRC2:TGID_X_EN: 1
; COMPUTE_PGM_RSRC2:TGID_Y_EN: 0
; COMPUTE_PGM_RSRC2:TGID_Z_EN: 0
; COMPUTE_PGM_RSRC2:TIDIG_COMP_CNT: 0
; COMPUTE_PGM_RSRC3_GFX90A:ACCUM_OFFSET: 0
; COMPUTE_PGM_RSRC3_GFX90A:TG_SPLIT: 0
	.section	.text._ZN7rocprim17ROCPRIM_400000_NS6detail44device_merge_sort_compile_time_verifier_archINS1_11comp_targetILNS1_3genE10ELNS1_11target_archE1201ELNS1_3gpuE5ELNS1_3repE0EEES8_NS1_28merge_sort_block_sort_configILj256ELj4ELNS0_20block_sort_algorithmE0EEENS0_14default_configENS1_37merge_sort_block_sort_config_selectorIdlEENS1_38merge_sort_block_merge_config_selectorIdlEEEEvv,"axG",@progbits,_ZN7rocprim17ROCPRIM_400000_NS6detail44device_merge_sort_compile_time_verifier_archINS1_11comp_targetILNS1_3genE10ELNS1_11target_archE1201ELNS1_3gpuE5ELNS1_3repE0EEES8_NS1_28merge_sort_block_sort_configILj256ELj4ELNS0_20block_sort_algorithmE0EEENS0_14default_configENS1_37merge_sort_block_sort_config_selectorIdlEENS1_38merge_sort_block_merge_config_selectorIdlEEEEvv,comdat
	.protected	_ZN7rocprim17ROCPRIM_400000_NS6detail44device_merge_sort_compile_time_verifier_archINS1_11comp_targetILNS1_3genE10ELNS1_11target_archE1201ELNS1_3gpuE5ELNS1_3repE0EEES8_NS1_28merge_sort_block_sort_configILj256ELj4ELNS0_20block_sort_algorithmE0EEENS0_14default_configENS1_37merge_sort_block_sort_config_selectorIdlEENS1_38merge_sort_block_merge_config_selectorIdlEEEEvv ; -- Begin function _ZN7rocprim17ROCPRIM_400000_NS6detail44device_merge_sort_compile_time_verifier_archINS1_11comp_targetILNS1_3genE10ELNS1_11target_archE1201ELNS1_3gpuE5ELNS1_3repE0EEES8_NS1_28merge_sort_block_sort_configILj256ELj4ELNS0_20block_sort_algorithmE0EEENS0_14default_configENS1_37merge_sort_block_sort_config_selectorIdlEENS1_38merge_sort_block_merge_config_selectorIdlEEEEvv
	.globl	_ZN7rocprim17ROCPRIM_400000_NS6detail44device_merge_sort_compile_time_verifier_archINS1_11comp_targetILNS1_3genE10ELNS1_11target_archE1201ELNS1_3gpuE5ELNS1_3repE0EEES8_NS1_28merge_sort_block_sort_configILj256ELj4ELNS0_20block_sort_algorithmE0EEENS0_14default_configENS1_37merge_sort_block_sort_config_selectorIdlEENS1_38merge_sort_block_merge_config_selectorIdlEEEEvv
	.p2align	8
	.type	_ZN7rocprim17ROCPRIM_400000_NS6detail44device_merge_sort_compile_time_verifier_archINS1_11comp_targetILNS1_3genE10ELNS1_11target_archE1201ELNS1_3gpuE5ELNS1_3repE0EEES8_NS1_28merge_sort_block_sort_configILj256ELj4ELNS0_20block_sort_algorithmE0EEENS0_14default_configENS1_37merge_sort_block_sort_config_selectorIdlEENS1_38merge_sort_block_merge_config_selectorIdlEEEEvv,@function
_ZN7rocprim17ROCPRIM_400000_NS6detail44device_merge_sort_compile_time_verifier_archINS1_11comp_targetILNS1_3genE10ELNS1_11target_archE1201ELNS1_3gpuE5ELNS1_3repE0EEES8_NS1_28merge_sort_block_sort_configILj256ELj4ELNS0_20block_sort_algorithmE0EEENS0_14default_configENS1_37merge_sort_block_sort_config_selectorIdlEENS1_38merge_sort_block_merge_config_selectorIdlEEEEvv: ; @_ZN7rocprim17ROCPRIM_400000_NS6detail44device_merge_sort_compile_time_verifier_archINS1_11comp_targetILNS1_3genE10ELNS1_11target_archE1201ELNS1_3gpuE5ELNS1_3repE0EEES8_NS1_28merge_sort_block_sort_configILj256ELj4ELNS0_20block_sort_algorithmE0EEENS0_14default_configENS1_37merge_sort_block_sort_config_selectorIdlEENS1_38merge_sort_block_merge_config_selectorIdlEEEEvv
; %bb.0:
	s_endpgm
	.section	.rodata,"a",@progbits
	.p2align	6, 0x0
	.amdhsa_kernel _ZN7rocprim17ROCPRIM_400000_NS6detail44device_merge_sort_compile_time_verifier_archINS1_11comp_targetILNS1_3genE10ELNS1_11target_archE1201ELNS1_3gpuE5ELNS1_3repE0EEES8_NS1_28merge_sort_block_sort_configILj256ELj4ELNS0_20block_sort_algorithmE0EEENS0_14default_configENS1_37merge_sort_block_sort_config_selectorIdlEENS1_38merge_sort_block_merge_config_selectorIdlEEEEvv
		.amdhsa_group_segment_fixed_size 0
		.amdhsa_private_segment_fixed_size 0
		.amdhsa_kernarg_size 0
		.amdhsa_user_sgpr_count 4
		.amdhsa_user_sgpr_private_segment_buffer 1
		.amdhsa_user_sgpr_dispatch_ptr 0
		.amdhsa_user_sgpr_queue_ptr 0
		.amdhsa_user_sgpr_kernarg_segment_ptr 0
		.amdhsa_user_sgpr_dispatch_id 0
		.amdhsa_user_sgpr_flat_scratch_init 0
		.amdhsa_user_sgpr_kernarg_preload_length 0
		.amdhsa_user_sgpr_kernarg_preload_offset 0
		.amdhsa_user_sgpr_private_segment_size 0
		.amdhsa_uses_dynamic_stack 0
		.amdhsa_system_sgpr_private_segment_wavefront_offset 0
		.amdhsa_system_sgpr_workgroup_id_x 1
		.amdhsa_system_sgpr_workgroup_id_y 0
		.amdhsa_system_sgpr_workgroup_id_z 0
		.amdhsa_system_sgpr_workgroup_info 0
		.amdhsa_system_vgpr_workitem_id 0
		.amdhsa_next_free_vgpr 1
		.amdhsa_next_free_sgpr 0
		.amdhsa_accum_offset 4
		.amdhsa_reserve_vcc 0
		.amdhsa_reserve_flat_scratch 0
		.amdhsa_float_round_mode_32 0
		.amdhsa_float_round_mode_16_64 0
		.amdhsa_float_denorm_mode_32 3
		.amdhsa_float_denorm_mode_16_64 3
		.amdhsa_dx10_clamp 1
		.amdhsa_ieee_mode 1
		.amdhsa_fp16_overflow 0
		.amdhsa_tg_split 0
		.amdhsa_exception_fp_ieee_invalid_op 0
		.amdhsa_exception_fp_denorm_src 0
		.amdhsa_exception_fp_ieee_div_zero 0
		.amdhsa_exception_fp_ieee_overflow 0
		.amdhsa_exception_fp_ieee_underflow 0
		.amdhsa_exception_fp_ieee_inexact 0
		.amdhsa_exception_int_div_zero 0
	.end_amdhsa_kernel
	.section	.text._ZN7rocprim17ROCPRIM_400000_NS6detail44device_merge_sort_compile_time_verifier_archINS1_11comp_targetILNS1_3genE10ELNS1_11target_archE1201ELNS1_3gpuE5ELNS1_3repE0EEES8_NS1_28merge_sort_block_sort_configILj256ELj4ELNS0_20block_sort_algorithmE0EEENS0_14default_configENS1_37merge_sort_block_sort_config_selectorIdlEENS1_38merge_sort_block_merge_config_selectorIdlEEEEvv,"axG",@progbits,_ZN7rocprim17ROCPRIM_400000_NS6detail44device_merge_sort_compile_time_verifier_archINS1_11comp_targetILNS1_3genE10ELNS1_11target_archE1201ELNS1_3gpuE5ELNS1_3repE0EEES8_NS1_28merge_sort_block_sort_configILj256ELj4ELNS0_20block_sort_algorithmE0EEENS0_14default_configENS1_37merge_sort_block_sort_config_selectorIdlEENS1_38merge_sort_block_merge_config_selectorIdlEEEEvv,comdat
.Lfunc_end1538:
	.size	_ZN7rocprim17ROCPRIM_400000_NS6detail44device_merge_sort_compile_time_verifier_archINS1_11comp_targetILNS1_3genE10ELNS1_11target_archE1201ELNS1_3gpuE5ELNS1_3repE0EEES8_NS1_28merge_sort_block_sort_configILj256ELj4ELNS0_20block_sort_algorithmE0EEENS0_14default_configENS1_37merge_sort_block_sort_config_selectorIdlEENS1_38merge_sort_block_merge_config_selectorIdlEEEEvv, .Lfunc_end1538-_ZN7rocprim17ROCPRIM_400000_NS6detail44device_merge_sort_compile_time_verifier_archINS1_11comp_targetILNS1_3genE10ELNS1_11target_archE1201ELNS1_3gpuE5ELNS1_3repE0EEES8_NS1_28merge_sort_block_sort_configILj256ELj4ELNS0_20block_sort_algorithmE0EEENS0_14default_configENS1_37merge_sort_block_sort_config_selectorIdlEENS1_38merge_sort_block_merge_config_selectorIdlEEEEvv
                                        ; -- End function
	.section	.AMDGPU.csdata,"",@progbits
; Kernel info:
; codeLenInByte = 4
; NumSgprs: 4
; NumVgprs: 0
; NumAgprs: 0
; TotalNumVgprs: 0
; ScratchSize: 0
; MemoryBound: 0
; FloatMode: 240
; IeeeMode: 1
; LDSByteSize: 0 bytes/workgroup (compile time only)
; SGPRBlocks: 0
; VGPRBlocks: 0
; NumSGPRsForWavesPerEU: 4
; NumVGPRsForWavesPerEU: 1
; AccumOffset: 4
; Occupancy: 8
; WaveLimiterHint : 0
; COMPUTE_PGM_RSRC2:SCRATCH_EN: 0
; COMPUTE_PGM_RSRC2:USER_SGPR: 4
; COMPUTE_PGM_RSRC2:TRAP_HANDLER: 0
; COMPUTE_PGM_RSRC2:TGID_X_EN: 1
; COMPUTE_PGM_RSRC2:TGID_Y_EN: 0
; COMPUTE_PGM_RSRC2:TGID_Z_EN: 0
; COMPUTE_PGM_RSRC2:TIDIG_COMP_CNT: 0
; COMPUTE_PGM_RSRC3_GFX90A:ACCUM_OFFSET: 0
; COMPUTE_PGM_RSRC3_GFX90A:TG_SPLIT: 0
	.section	.text._ZN7rocprim17ROCPRIM_400000_NS6detail44device_merge_sort_compile_time_verifier_archINS1_11comp_targetILNS1_3genE10ELNS1_11target_archE1200ELNS1_3gpuE4ELNS1_3repE0EEENS3_ILS4_10ELS5_1201ELS6_5ELS7_0EEENS1_28merge_sort_block_sort_configILj256ELj4ELNS0_20block_sort_algorithmE0EEENS0_14default_configENS1_37merge_sort_block_sort_config_selectorIdlEENS1_38merge_sort_block_merge_config_selectorIdlEEEEvv,"axG",@progbits,_ZN7rocprim17ROCPRIM_400000_NS6detail44device_merge_sort_compile_time_verifier_archINS1_11comp_targetILNS1_3genE10ELNS1_11target_archE1200ELNS1_3gpuE4ELNS1_3repE0EEENS3_ILS4_10ELS5_1201ELS6_5ELS7_0EEENS1_28merge_sort_block_sort_configILj256ELj4ELNS0_20block_sort_algorithmE0EEENS0_14default_configENS1_37merge_sort_block_sort_config_selectorIdlEENS1_38merge_sort_block_merge_config_selectorIdlEEEEvv,comdat
	.protected	_ZN7rocprim17ROCPRIM_400000_NS6detail44device_merge_sort_compile_time_verifier_archINS1_11comp_targetILNS1_3genE10ELNS1_11target_archE1200ELNS1_3gpuE4ELNS1_3repE0EEENS3_ILS4_10ELS5_1201ELS6_5ELS7_0EEENS1_28merge_sort_block_sort_configILj256ELj4ELNS0_20block_sort_algorithmE0EEENS0_14default_configENS1_37merge_sort_block_sort_config_selectorIdlEENS1_38merge_sort_block_merge_config_selectorIdlEEEEvv ; -- Begin function _ZN7rocprim17ROCPRIM_400000_NS6detail44device_merge_sort_compile_time_verifier_archINS1_11comp_targetILNS1_3genE10ELNS1_11target_archE1200ELNS1_3gpuE4ELNS1_3repE0EEENS3_ILS4_10ELS5_1201ELS6_5ELS7_0EEENS1_28merge_sort_block_sort_configILj256ELj4ELNS0_20block_sort_algorithmE0EEENS0_14default_configENS1_37merge_sort_block_sort_config_selectorIdlEENS1_38merge_sort_block_merge_config_selectorIdlEEEEvv
	.globl	_ZN7rocprim17ROCPRIM_400000_NS6detail44device_merge_sort_compile_time_verifier_archINS1_11comp_targetILNS1_3genE10ELNS1_11target_archE1200ELNS1_3gpuE4ELNS1_3repE0EEENS3_ILS4_10ELS5_1201ELS6_5ELS7_0EEENS1_28merge_sort_block_sort_configILj256ELj4ELNS0_20block_sort_algorithmE0EEENS0_14default_configENS1_37merge_sort_block_sort_config_selectorIdlEENS1_38merge_sort_block_merge_config_selectorIdlEEEEvv
	.p2align	8
	.type	_ZN7rocprim17ROCPRIM_400000_NS6detail44device_merge_sort_compile_time_verifier_archINS1_11comp_targetILNS1_3genE10ELNS1_11target_archE1200ELNS1_3gpuE4ELNS1_3repE0EEENS3_ILS4_10ELS5_1201ELS6_5ELS7_0EEENS1_28merge_sort_block_sort_configILj256ELj4ELNS0_20block_sort_algorithmE0EEENS0_14default_configENS1_37merge_sort_block_sort_config_selectorIdlEENS1_38merge_sort_block_merge_config_selectorIdlEEEEvv,@function
_ZN7rocprim17ROCPRIM_400000_NS6detail44device_merge_sort_compile_time_verifier_archINS1_11comp_targetILNS1_3genE10ELNS1_11target_archE1200ELNS1_3gpuE4ELNS1_3repE0EEENS3_ILS4_10ELS5_1201ELS6_5ELS7_0EEENS1_28merge_sort_block_sort_configILj256ELj4ELNS0_20block_sort_algorithmE0EEENS0_14default_configENS1_37merge_sort_block_sort_config_selectorIdlEENS1_38merge_sort_block_merge_config_selectorIdlEEEEvv: ; @_ZN7rocprim17ROCPRIM_400000_NS6detail44device_merge_sort_compile_time_verifier_archINS1_11comp_targetILNS1_3genE10ELNS1_11target_archE1200ELNS1_3gpuE4ELNS1_3repE0EEENS3_ILS4_10ELS5_1201ELS6_5ELS7_0EEENS1_28merge_sort_block_sort_configILj256ELj4ELNS0_20block_sort_algorithmE0EEENS0_14default_configENS1_37merge_sort_block_sort_config_selectorIdlEENS1_38merge_sort_block_merge_config_selectorIdlEEEEvv
; %bb.0:
	s_endpgm
	.section	.rodata,"a",@progbits
	.p2align	6, 0x0
	.amdhsa_kernel _ZN7rocprim17ROCPRIM_400000_NS6detail44device_merge_sort_compile_time_verifier_archINS1_11comp_targetILNS1_3genE10ELNS1_11target_archE1200ELNS1_3gpuE4ELNS1_3repE0EEENS3_ILS4_10ELS5_1201ELS6_5ELS7_0EEENS1_28merge_sort_block_sort_configILj256ELj4ELNS0_20block_sort_algorithmE0EEENS0_14default_configENS1_37merge_sort_block_sort_config_selectorIdlEENS1_38merge_sort_block_merge_config_selectorIdlEEEEvv
		.amdhsa_group_segment_fixed_size 0
		.amdhsa_private_segment_fixed_size 0
		.amdhsa_kernarg_size 0
		.amdhsa_user_sgpr_count 4
		.amdhsa_user_sgpr_private_segment_buffer 1
		.amdhsa_user_sgpr_dispatch_ptr 0
		.amdhsa_user_sgpr_queue_ptr 0
		.amdhsa_user_sgpr_kernarg_segment_ptr 0
		.amdhsa_user_sgpr_dispatch_id 0
		.amdhsa_user_sgpr_flat_scratch_init 0
		.amdhsa_user_sgpr_kernarg_preload_length 0
		.amdhsa_user_sgpr_kernarg_preload_offset 0
		.amdhsa_user_sgpr_private_segment_size 0
		.amdhsa_uses_dynamic_stack 0
		.amdhsa_system_sgpr_private_segment_wavefront_offset 0
		.amdhsa_system_sgpr_workgroup_id_x 1
		.amdhsa_system_sgpr_workgroup_id_y 0
		.amdhsa_system_sgpr_workgroup_id_z 0
		.amdhsa_system_sgpr_workgroup_info 0
		.amdhsa_system_vgpr_workitem_id 0
		.amdhsa_next_free_vgpr 1
		.amdhsa_next_free_sgpr 0
		.amdhsa_accum_offset 4
		.amdhsa_reserve_vcc 0
		.amdhsa_reserve_flat_scratch 0
		.amdhsa_float_round_mode_32 0
		.amdhsa_float_round_mode_16_64 0
		.amdhsa_float_denorm_mode_32 3
		.amdhsa_float_denorm_mode_16_64 3
		.amdhsa_dx10_clamp 1
		.amdhsa_ieee_mode 1
		.amdhsa_fp16_overflow 0
		.amdhsa_tg_split 0
		.amdhsa_exception_fp_ieee_invalid_op 0
		.amdhsa_exception_fp_denorm_src 0
		.amdhsa_exception_fp_ieee_div_zero 0
		.amdhsa_exception_fp_ieee_overflow 0
		.amdhsa_exception_fp_ieee_underflow 0
		.amdhsa_exception_fp_ieee_inexact 0
		.amdhsa_exception_int_div_zero 0
	.end_amdhsa_kernel
	.section	.text._ZN7rocprim17ROCPRIM_400000_NS6detail44device_merge_sort_compile_time_verifier_archINS1_11comp_targetILNS1_3genE10ELNS1_11target_archE1200ELNS1_3gpuE4ELNS1_3repE0EEENS3_ILS4_10ELS5_1201ELS6_5ELS7_0EEENS1_28merge_sort_block_sort_configILj256ELj4ELNS0_20block_sort_algorithmE0EEENS0_14default_configENS1_37merge_sort_block_sort_config_selectorIdlEENS1_38merge_sort_block_merge_config_selectorIdlEEEEvv,"axG",@progbits,_ZN7rocprim17ROCPRIM_400000_NS6detail44device_merge_sort_compile_time_verifier_archINS1_11comp_targetILNS1_3genE10ELNS1_11target_archE1200ELNS1_3gpuE4ELNS1_3repE0EEENS3_ILS4_10ELS5_1201ELS6_5ELS7_0EEENS1_28merge_sort_block_sort_configILj256ELj4ELNS0_20block_sort_algorithmE0EEENS0_14default_configENS1_37merge_sort_block_sort_config_selectorIdlEENS1_38merge_sort_block_merge_config_selectorIdlEEEEvv,comdat
.Lfunc_end1539:
	.size	_ZN7rocprim17ROCPRIM_400000_NS6detail44device_merge_sort_compile_time_verifier_archINS1_11comp_targetILNS1_3genE10ELNS1_11target_archE1200ELNS1_3gpuE4ELNS1_3repE0EEENS3_ILS4_10ELS5_1201ELS6_5ELS7_0EEENS1_28merge_sort_block_sort_configILj256ELj4ELNS0_20block_sort_algorithmE0EEENS0_14default_configENS1_37merge_sort_block_sort_config_selectorIdlEENS1_38merge_sort_block_merge_config_selectorIdlEEEEvv, .Lfunc_end1539-_ZN7rocprim17ROCPRIM_400000_NS6detail44device_merge_sort_compile_time_verifier_archINS1_11comp_targetILNS1_3genE10ELNS1_11target_archE1200ELNS1_3gpuE4ELNS1_3repE0EEENS3_ILS4_10ELS5_1201ELS6_5ELS7_0EEENS1_28merge_sort_block_sort_configILj256ELj4ELNS0_20block_sort_algorithmE0EEENS0_14default_configENS1_37merge_sort_block_sort_config_selectorIdlEENS1_38merge_sort_block_merge_config_selectorIdlEEEEvv
                                        ; -- End function
	.section	.AMDGPU.csdata,"",@progbits
; Kernel info:
; codeLenInByte = 4
; NumSgprs: 4
; NumVgprs: 0
; NumAgprs: 0
; TotalNumVgprs: 0
; ScratchSize: 0
; MemoryBound: 0
; FloatMode: 240
; IeeeMode: 1
; LDSByteSize: 0 bytes/workgroup (compile time only)
; SGPRBlocks: 0
; VGPRBlocks: 0
; NumSGPRsForWavesPerEU: 4
; NumVGPRsForWavesPerEU: 1
; AccumOffset: 4
; Occupancy: 8
; WaveLimiterHint : 0
; COMPUTE_PGM_RSRC2:SCRATCH_EN: 0
; COMPUTE_PGM_RSRC2:USER_SGPR: 4
; COMPUTE_PGM_RSRC2:TRAP_HANDLER: 0
; COMPUTE_PGM_RSRC2:TGID_X_EN: 1
; COMPUTE_PGM_RSRC2:TGID_Y_EN: 0
; COMPUTE_PGM_RSRC2:TGID_Z_EN: 0
; COMPUTE_PGM_RSRC2:TIDIG_COMP_CNT: 0
; COMPUTE_PGM_RSRC3_GFX90A:ACCUM_OFFSET: 0
; COMPUTE_PGM_RSRC3_GFX90A:TG_SPLIT: 0
	.section	.text._ZN7rocprim17ROCPRIM_400000_NS6detail44device_merge_sort_compile_time_verifier_archINS1_11comp_targetILNS1_3genE9ELNS1_11target_archE1100ELNS1_3gpuE3ELNS1_3repE0EEES8_NS1_28merge_sort_block_sort_configILj256ELj4ELNS0_20block_sort_algorithmE0EEENS0_14default_configENS1_37merge_sort_block_sort_config_selectorIdlEENS1_38merge_sort_block_merge_config_selectorIdlEEEEvv,"axG",@progbits,_ZN7rocprim17ROCPRIM_400000_NS6detail44device_merge_sort_compile_time_verifier_archINS1_11comp_targetILNS1_3genE9ELNS1_11target_archE1100ELNS1_3gpuE3ELNS1_3repE0EEES8_NS1_28merge_sort_block_sort_configILj256ELj4ELNS0_20block_sort_algorithmE0EEENS0_14default_configENS1_37merge_sort_block_sort_config_selectorIdlEENS1_38merge_sort_block_merge_config_selectorIdlEEEEvv,comdat
	.protected	_ZN7rocprim17ROCPRIM_400000_NS6detail44device_merge_sort_compile_time_verifier_archINS1_11comp_targetILNS1_3genE9ELNS1_11target_archE1100ELNS1_3gpuE3ELNS1_3repE0EEES8_NS1_28merge_sort_block_sort_configILj256ELj4ELNS0_20block_sort_algorithmE0EEENS0_14default_configENS1_37merge_sort_block_sort_config_selectorIdlEENS1_38merge_sort_block_merge_config_selectorIdlEEEEvv ; -- Begin function _ZN7rocprim17ROCPRIM_400000_NS6detail44device_merge_sort_compile_time_verifier_archINS1_11comp_targetILNS1_3genE9ELNS1_11target_archE1100ELNS1_3gpuE3ELNS1_3repE0EEES8_NS1_28merge_sort_block_sort_configILj256ELj4ELNS0_20block_sort_algorithmE0EEENS0_14default_configENS1_37merge_sort_block_sort_config_selectorIdlEENS1_38merge_sort_block_merge_config_selectorIdlEEEEvv
	.globl	_ZN7rocprim17ROCPRIM_400000_NS6detail44device_merge_sort_compile_time_verifier_archINS1_11comp_targetILNS1_3genE9ELNS1_11target_archE1100ELNS1_3gpuE3ELNS1_3repE0EEES8_NS1_28merge_sort_block_sort_configILj256ELj4ELNS0_20block_sort_algorithmE0EEENS0_14default_configENS1_37merge_sort_block_sort_config_selectorIdlEENS1_38merge_sort_block_merge_config_selectorIdlEEEEvv
	.p2align	8
	.type	_ZN7rocprim17ROCPRIM_400000_NS6detail44device_merge_sort_compile_time_verifier_archINS1_11comp_targetILNS1_3genE9ELNS1_11target_archE1100ELNS1_3gpuE3ELNS1_3repE0EEES8_NS1_28merge_sort_block_sort_configILj256ELj4ELNS0_20block_sort_algorithmE0EEENS0_14default_configENS1_37merge_sort_block_sort_config_selectorIdlEENS1_38merge_sort_block_merge_config_selectorIdlEEEEvv,@function
_ZN7rocprim17ROCPRIM_400000_NS6detail44device_merge_sort_compile_time_verifier_archINS1_11comp_targetILNS1_3genE9ELNS1_11target_archE1100ELNS1_3gpuE3ELNS1_3repE0EEES8_NS1_28merge_sort_block_sort_configILj256ELj4ELNS0_20block_sort_algorithmE0EEENS0_14default_configENS1_37merge_sort_block_sort_config_selectorIdlEENS1_38merge_sort_block_merge_config_selectorIdlEEEEvv: ; @_ZN7rocprim17ROCPRIM_400000_NS6detail44device_merge_sort_compile_time_verifier_archINS1_11comp_targetILNS1_3genE9ELNS1_11target_archE1100ELNS1_3gpuE3ELNS1_3repE0EEES8_NS1_28merge_sort_block_sort_configILj256ELj4ELNS0_20block_sort_algorithmE0EEENS0_14default_configENS1_37merge_sort_block_sort_config_selectorIdlEENS1_38merge_sort_block_merge_config_selectorIdlEEEEvv
; %bb.0:
	s_endpgm
	.section	.rodata,"a",@progbits
	.p2align	6, 0x0
	.amdhsa_kernel _ZN7rocprim17ROCPRIM_400000_NS6detail44device_merge_sort_compile_time_verifier_archINS1_11comp_targetILNS1_3genE9ELNS1_11target_archE1100ELNS1_3gpuE3ELNS1_3repE0EEES8_NS1_28merge_sort_block_sort_configILj256ELj4ELNS0_20block_sort_algorithmE0EEENS0_14default_configENS1_37merge_sort_block_sort_config_selectorIdlEENS1_38merge_sort_block_merge_config_selectorIdlEEEEvv
		.amdhsa_group_segment_fixed_size 0
		.amdhsa_private_segment_fixed_size 0
		.amdhsa_kernarg_size 0
		.amdhsa_user_sgpr_count 4
		.amdhsa_user_sgpr_private_segment_buffer 1
		.amdhsa_user_sgpr_dispatch_ptr 0
		.amdhsa_user_sgpr_queue_ptr 0
		.amdhsa_user_sgpr_kernarg_segment_ptr 0
		.amdhsa_user_sgpr_dispatch_id 0
		.amdhsa_user_sgpr_flat_scratch_init 0
		.amdhsa_user_sgpr_kernarg_preload_length 0
		.amdhsa_user_sgpr_kernarg_preload_offset 0
		.amdhsa_user_sgpr_private_segment_size 0
		.amdhsa_uses_dynamic_stack 0
		.amdhsa_system_sgpr_private_segment_wavefront_offset 0
		.amdhsa_system_sgpr_workgroup_id_x 1
		.amdhsa_system_sgpr_workgroup_id_y 0
		.amdhsa_system_sgpr_workgroup_id_z 0
		.amdhsa_system_sgpr_workgroup_info 0
		.amdhsa_system_vgpr_workitem_id 0
		.amdhsa_next_free_vgpr 1
		.amdhsa_next_free_sgpr 0
		.amdhsa_accum_offset 4
		.amdhsa_reserve_vcc 0
		.amdhsa_reserve_flat_scratch 0
		.amdhsa_float_round_mode_32 0
		.amdhsa_float_round_mode_16_64 0
		.amdhsa_float_denorm_mode_32 3
		.amdhsa_float_denorm_mode_16_64 3
		.amdhsa_dx10_clamp 1
		.amdhsa_ieee_mode 1
		.amdhsa_fp16_overflow 0
		.amdhsa_tg_split 0
		.amdhsa_exception_fp_ieee_invalid_op 0
		.amdhsa_exception_fp_denorm_src 0
		.amdhsa_exception_fp_ieee_div_zero 0
		.amdhsa_exception_fp_ieee_overflow 0
		.amdhsa_exception_fp_ieee_underflow 0
		.amdhsa_exception_fp_ieee_inexact 0
		.amdhsa_exception_int_div_zero 0
	.end_amdhsa_kernel
	.section	.text._ZN7rocprim17ROCPRIM_400000_NS6detail44device_merge_sort_compile_time_verifier_archINS1_11comp_targetILNS1_3genE9ELNS1_11target_archE1100ELNS1_3gpuE3ELNS1_3repE0EEES8_NS1_28merge_sort_block_sort_configILj256ELj4ELNS0_20block_sort_algorithmE0EEENS0_14default_configENS1_37merge_sort_block_sort_config_selectorIdlEENS1_38merge_sort_block_merge_config_selectorIdlEEEEvv,"axG",@progbits,_ZN7rocprim17ROCPRIM_400000_NS6detail44device_merge_sort_compile_time_verifier_archINS1_11comp_targetILNS1_3genE9ELNS1_11target_archE1100ELNS1_3gpuE3ELNS1_3repE0EEES8_NS1_28merge_sort_block_sort_configILj256ELj4ELNS0_20block_sort_algorithmE0EEENS0_14default_configENS1_37merge_sort_block_sort_config_selectorIdlEENS1_38merge_sort_block_merge_config_selectorIdlEEEEvv,comdat
.Lfunc_end1540:
	.size	_ZN7rocprim17ROCPRIM_400000_NS6detail44device_merge_sort_compile_time_verifier_archINS1_11comp_targetILNS1_3genE9ELNS1_11target_archE1100ELNS1_3gpuE3ELNS1_3repE0EEES8_NS1_28merge_sort_block_sort_configILj256ELj4ELNS0_20block_sort_algorithmE0EEENS0_14default_configENS1_37merge_sort_block_sort_config_selectorIdlEENS1_38merge_sort_block_merge_config_selectorIdlEEEEvv, .Lfunc_end1540-_ZN7rocprim17ROCPRIM_400000_NS6detail44device_merge_sort_compile_time_verifier_archINS1_11comp_targetILNS1_3genE9ELNS1_11target_archE1100ELNS1_3gpuE3ELNS1_3repE0EEES8_NS1_28merge_sort_block_sort_configILj256ELj4ELNS0_20block_sort_algorithmE0EEENS0_14default_configENS1_37merge_sort_block_sort_config_selectorIdlEENS1_38merge_sort_block_merge_config_selectorIdlEEEEvv
                                        ; -- End function
	.section	.AMDGPU.csdata,"",@progbits
; Kernel info:
; codeLenInByte = 4
; NumSgprs: 4
; NumVgprs: 0
; NumAgprs: 0
; TotalNumVgprs: 0
; ScratchSize: 0
; MemoryBound: 0
; FloatMode: 240
; IeeeMode: 1
; LDSByteSize: 0 bytes/workgroup (compile time only)
; SGPRBlocks: 0
; VGPRBlocks: 0
; NumSGPRsForWavesPerEU: 4
; NumVGPRsForWavesPerEU: 1
; AccumOffset: 4
; Occupancy: 8
; WaveLimiterHint : 0
; COMPUTE_PGM_RSRC2:SCRATCH_EN: 0
; COMPUTE_PGM_RSRC2:USER_SGPR: 4
; COMPUTE_PGM_RSRC2:TRAP_HANDLER: 0
; COMPUTE_PGM_RSRC2:TGID_X_EN: 1
; COMPUTE_PGM_RSRC2:TGID_Y_EN: 0
; COMPUTE_PGM_RSRC2:TGID_Z_EN: 0
; COMPUTE_PGM_RSRC2:TIDIG_COMP_CNT: 0
; COMPUTE_PGM_RSRC3_GFX90A:ACCUM_OFFSET: 0
; COMPUTE_PGM_RSRC3_GFX90A:TG_SPLIT: 0
	.section	.text._ZN7rocprim17ROCPRIM_400000_NS6detail44device_merge_sort_compile_time_verifier_archINS1_11comp_targetILNS1_3genE8ELNS1_11target_archE1030ELNS1_3gpuE2ELNS1_3repE0EEES8_NS1_28merge_sort_block_sort_configILj256ELj4ELNS0_20block_sort_algorithmE0EEENS0_14default_configENS1_37merge_sort_block_sort_config_selectorIdlEENS1_38merge_sort_block_merge_config_selectorIdlEEEEvv,"axG",@progbits,_ZN7rocprim17ROCPRIM_400000_NS6detail44device_merge_sort_compile_time_verifier_archINS1_11comp_targetILNS1_3genE8ELNS1_11target_archE1030ELNS1_3gpuE2ELNS1_3repE0EEES8_NS1_28merge_sort_block_sort_configILj256ELj4ELNS0_20block_sort_algorithmE0EEENS0_14default_configENS1_37merge_sort_block_sort_config_selectorIdlEENS1_38merge_sort_block_merge_config_selectorIdlEEEEvv,comdat
	.protected	_ZN7rocprim17ROCPRIM_400000_NS6detail44device_merge_sort_compile_time_verifier_archINS1_11comp_targetILNS1_3genE8ELNS1_11target_archE1030ELNS1_3gpuE2ELNS1_3repE0EEES8_NS1_28merge_sort_block_sort_configILj256ELj4ELNS0_20block_sort_algorithmE0EEENS0_14default_configENS1_37merge_sort_block_sort_config_selectorIdlEENS1_38merge_sort_block_merge_config_selectorIdlEEEEvv ; -- Begin function _ZN7rocprim17ROCPRIM_400000_NS6detail44device_merge_sort_compile_time_verifier_archINS1_11comp_targetILNS1_3genE8ELNS1_11target_archE1030ELNS1_3gpuE2ELNS1_3repE0EEES8_NS1_28merge_sort_block_sort_configILj256ELj4ELNS0_20block_sort_algorithmE0EEENS0_14default_configENS1_37merge_sort_block_sort_config_selectorIdlEENS1_38merge_sort_block_merge_config_selectorIdlEEEEvv
	.globl	_ZN7rocprim17ROCPRIM_400000_NS6detail44device_merge_sort_compile_time_verifier_archINS1_11comp_targetILNS1_3genE8ELNS1_11target_archE1030ELNS1_3gpuE2ELNS1_3repE0EEES8_NS1_28merge_sort_block_sort_configILj256ELj4ELNS0_20block_sort_algorithmE0EEENS0_14default_configENS1_37merge_sort_block_sort_config_selectorIdlEENS1_38merge_sort_block_merge_config_selectorIdlEEEEvv
	.p2align	8
	.type	_ZN7rocprim17ROCPRIM_400000_NS6detail44device_merge_sort_compile_time_verifier_archINS1_11comp_targetILNS1_3genE8ELNS1_11target_archE1030ELNS1_3gpuE2ELNS1_3repE0EEES8_NS1_28merge_sort_block_sort_configILj256ELj4ELNS0_20block_sort_algorithmE0EEENS0_14default_configENS1_37merge_sort_block_sort_config_selectorIdlEENS1_38merge_sort_block_merge_config_selectorIdlEEEEvv,@function
_ZN7rocprim17ROCPRIM_400000_NS6detail44device_merge_sort_compile_time_verifier_archINS1_11comp_targetILNS1_3genE8ELNS1_11target_archE1030ELNS1_3gpuE2ELNS1_3repE0EEES8_NS1_28merge_sort_block_sort_configILj256ELj4ELNS0_20block_sort_algorithmE0EEENS0_14default_configENS1_37merge_sort_block_sort_config_selectorIdlEENS1_38merge_sort_block_merge_config_selectorIdlEEEEvv: ; @_ZN7rocprim17ROCPRIM_400000_NS6detail44device_merge_sort_compile_time_verifier_archINS1_11comp_targetILNS1_3genE8ELNS1_11target_archE1030ELNS1_3gpuE2ELNS1_3repE0EEES8_NS1_28merge_sort_block_sort_configILj256ELj4ELNS0_20block_sort_algorithmE0EEENS0_14default_configENS1_37merge_sort_block_sort_config_selectorIdlEENS1_38merge_sort_block_merge_config_selectorIdlEEEEvv
; %bb.0:
	s_endpgm
	.section	.rodata,"a",@progbits
	.p2align	6, 0x0
	.amdhsa_kernel _ZN7rocprim17ROCPRIM_400000_NS6detail44device_merge_sort_compile_time_verifier_archINS1_11comp_targetILNS1_3genE8ELNS1_11target_archE1030ELNS1_3gpuE2ELNS1_3repE0EEES8_NS1_28merge_sort_block_sort_configILj256ELj4ELNS0_20block_sort_algorithmE0EEENS0_14default_configENS1_37merge_sort_block_sort_config_selectorIdlEENS1_38merge_sort_block_merge_config_selectorIdlEEEEvv
		.amdhsa_group_segment_fixed_size 0
		.amdhsa_private_segment_fixed_size 0
		.amdhsa_kernarg_size 0
		.amdhsa_user_sgpr_count 4
		.amdhsa_user_sgpr_private_segment_buffer 1
		.amdhsa_user_sgpr_dispatch_ptr 0
		.amdhsa_user_sgpr_queue_ptr 0
		.amdhsa_user_sgpr_kernarg_segment_ptr 0
		.amdhsa_user_sgpr_dispatch_id 0
		.amdhsa_user_sgpr_flat_scratch_init 0
		.amdhsa_user_sgpr_kernarg_preload_length 0
		.amdhsa_user_sgpr_kernarg_preload_offset 0
		.amdhsa_user_sgpr_private_segment_size 0
		.amdhsa_uses_dynamic_stack 0
		.amdhsa_system_sgpr_private_segment_wavefront_offset 0
		.amdhsa_system_sgpr_workgroup_id_x 1
		.amdhsa_system_sgpr_workgroup_id_y 0
		.amdhsa_system_sgpr_workgroup_id_z 0
		.amdhsa_system_sgpr_workgroup_info 0
		.amdhsa_system_vgpr_workitem_id 0
		.amdhsa_next_free_vgpr 1
		.amdhsa_next_free_sgpr 0
		.amdhsa_accum_offset 4
		.amdhsa_reserve_vcc 0
		.amdhsa_reserve_flat_scratch 0
		.amdhsa_float_round_mode_32 0
		.amdhsa_float_round_mode_16_64 0
		.amdhsa_float_denorm_mode_32 3
		.amdhsa_float_denorm_mode_16_64 3
		.amdhsa_dx10_clamp 1
		.amdhsa_ieee_mode 1
		.amdhsa_fp16_overflow 0
		.amdhsa_tg_split 0
		.amdhsa_exception_fp_ieee_invalid_op 0
		.amdhsa_exception_fp_denorm_src 0
		.amdhsa_exception_fp_ieee_div_zero 0
		.amdhsa_exception_fp_ieee_overflow 0
		.amdhsa_exception_fp_ieee_underflow 0
		.amdhsa_exception_fp_ieee_inexact 0
		.amdhsa_exception_int_div_zero 0
	.end_amdhsa_kernel
	.section	.text._ZN7rocprim17ROCPRIM_400000_NS6detail44device_merge_sort_compile_time_verifier_archINS1_11comp_targetILNS1_3genE8ELNS1_11target_archE1030ELNS1_3gpuE2ELNS1_3repE0EEES8_NS1_28merge_sort_block_sort_configILj256ELj4ELNS0_20block_sort_algorithmE0EEENS0_14default_configENS1_37merge_sort_block_sort_config_selectorIdlEENS1_38merge_sort_block_merge_config_selectorIdlEEEEvv,"axG",@progbits,_ZN7rocprim17ROCPRIM_400000_NS6detail44device_merge_sort_compile_time_verifier_archINS1_11comp_targetILNS1_3genE8ELNS1_11target_archE1030ELNS1_3gpuE2ELNS1_3repE0EEES8_NS1_28merge_sort_block_sort_configILj256ELj4ELNS0_20block_sort_algorithmE0EEENS0_14default_configENS1_37merge_sort_block_sort_config_selectorIdlEENS1_38merge_sort_block_merge_config_selectorIdlEEEEvv,comdat
.Lfunc_end1541:
	.size	_ZN7rocprim17ROCPRIM_400000_NS6detail44device_merge_sort_compile_time_verifier_archINS1_11comp_targetILNS1_3genE8ELNS1_11target_archE1030ELNS1_3gpuE2ELNS1_3repE0EEES8_NS1_28merge_sort_block_sort_configILj256ELj4ELNS0_20block_sort_algorithmE0EEENS0_14default_configENS1_37merge_sort_block_sort_config_selectorIdlEENS1_38merge_sort_block_merge_config_selectorIdlEEEEvv, .Lfunc_end1541-_ZN7rocprim17ROCPRIM_400000_NS6detail44device_merge_sort_compile_time_verifier_archINS1_11comp_targetILNS1_3genE8ELNS1_11target_archE1030ELNS1_3gpuE2ELNS1_3repE0EEES8_NS1_28merge_sort_block_sort_configILj256ELj4ELNS0_20block_sort_algorithmE0EEENS0_14default_configENS1_37merge_sort_block_sort_config_selectorIdlEENS1_38merge_sort_block_merge_config_selectorIdlEEEEvv
                                        ; -- End function
	.section	.AMDGPU.csdata,"",@progbits
; Kernel info:
; codeLenInByte = 4
; NumSgprs: 4
; NumVgprs: 0
; NumAgprs: 0
; TotalNumVgprs: 0
; ScratchSize: 0
; MemoryBound: 0
; FloatMode: 240
; IeeeMode: 1
; LDSByteSize: 0 bytes/workgroup (compile time only)
; SGPRBlocks: 0
; VGPRBlocks: 0
; NumSGPRsForWavesPerEU: 4
; NumVGPRsForWavesPerEU: 1
; AccumOffset: 4
; Occupancy: 8
; WaveLimiterHint : 0
; COMPUTE_PGM_RSRC2:SCRATCH_EN: 0
; COMPUTE_PGM_RSRC2:USER_SGPR: 4
; COMPUTE_PGM_RSRC2:TRAP_HANDLER: 0
; COMPUTE_PGM_RSRC2:TGID_X_EN: 1
; COMPUTE_PGM_RSRC2:TGID_Y_EN: 0
; COMPUTE_PGM_RSRC2:TGID_Z_EN: 0
; COMPUTE_PGM_RSRC2:TIDIG_COMP_CNT: 0
; COMPUTE_PGM_RSRC3_GFX90A:ACCUM_OFFSET: 0
; COMPUTE_PGM_RSRC3_GFX90A:TG_SPLIT: 0
	.section	.text._ZN7rocprim17ROCPRIM_400000_NS6detail17trampoline_kernelINS0_14default_configENS1_38merge_sort_block_merge_config_selectorIdlEEZZNS1_27merge_sort_block_merge_implIS3_PdN6thrust23THRUST_200600_302600_NS10device_ptrIlEEjNS1_19radix_merge_compareILb0ELb0EdNS0_19identity_decomposerEEEEE10hipError_tT0_T1_T2_jT3_P12ihipStream_tbPNSt15iterator_traitsISG_E10value_typeEPNSM_ISH_E10value_typeEPSI_NS1_7vsmem_tEENKUlT_SG_SH_SI_E_clIS7_S7_PlSB_EESF_SV_SG_SH_SI_EUlSV_E_NS1_11comp_targetILNS1_3genE0ELNS1_11target_archE4294967295ELNS1_3gpuE0ELNS1_3repE0EEENS1_48merge_mergepath_partition_config_static_selectorELNS0_4arch9wavefront6targetE1EEEvSH_,"axG",@progbits,_ZN7rocprim17ROCPRIM_400000_NS6detail17trampoline_kernelINS0_14default_configENS1_38merge_sort_block_merge_config_selectorIdlEEZZNS1_27merge_sort_block_merge_implIS3_PdN6thrust23THRUST_200600_302600_NS10device_ptrIlEEjNS1_19radix_merge_compareILb0ELb0EdNS0_19identity_decomposerEEEEE10hipError_tT0_T1_T2_jT3_P12ihipStream_tbPNSt15iterator_traitsISG_E10value_typeEPNSM_ISH_E10value_typeEPSI_NS1_7vsmem_tEENKUlT_SG_SH_SI_E_clIS7_S7_PlSB_EESF_SV_SG_SH_SI_EUlSV_E_NS1_11comp_targetILNS1_3genE0ELNS1_11target_archE4294967295ELNS1_3gpuE0ELNS1_3repE0EEENS1_48merge_mergepath_partition_config_static_selectorELNS0_4arch9wavefront6targetE1EEEvSH_,comdat
	.protected	_ZN7rocprim17ROCPRIM_400000_NS6detail17trampoline_kernelINS0_14default_configENS1_38merge_sort_block_merge_config_selectorIdlEEZZNS1_27merge_sort_block_merge_implIS3_PdN6thrust23THRUST_200600_302600_NS10device_ptrIlEEjNS1_19radix_merge_compareILb0ELb0EdNS0_19identity_decomposerEEEEE10hipError_tT0_T1_T2_jT3_P12ihipStream_tbPNSt15iterator_traitsISG_E10value_typeEPNSM_ISH_E10value_typeEPSI_NS1_7vsmem_tEENKUlT_SG_SH_SI_E_clIS7_S7_PlSB_EESF_SV_SG_SH_SI_EUlSV_E_NS1_11comp_targetILNS1_3genE0ELNS1_11target_archE4294967295ELNS1_3gpuE0ELNS1_3repE0EEENS1_48merge_mergepath_partition_config_static_selectorELNS0_4arch9wavefront6targetE1EEEvSH_ ; -- Begin function _ZN7rocprim17ROCPRIM_400000_NS6detail17trampoline_kernelINS0_14default_configENS1_38merge_sort_block_merge_config_selectorIdlEEZZNS1_27merge_sort_block_merge_implIS3_PdN6thrust23THRUST_200600_302600_NS10device_ptrIlEEjNS1_19radix_merge_compareILb0ELb0EdNS0_19identity_decomposerEEEEE10hipError_tT0_T1_T2_jT3_P12ihipStream_tbPNSt15iterator_traitsISG_E10value_typeEPNSM_ISH_E10value_typeEPSI_NS1_7vsmem_tEENKUlT_SG_SH_SI_E_clIS7_S7_PlSB_EESF_SV_SG_SH_SI_EUlSV_E_NS1_11comp_targetILNS1_3genE0ELNS1_11target_archE4294967295ELNS1_3gpuE0ELNS1_3repE0EEENS1_48merge_mergepath_partition_config_static_selectorELNS0_4arch9wavefront6targetE1EEEvSH_
	.globl	_ZN7rocprim17ROCPRIM_400000_NS6detail17trampoline_kernelINS0_14default_configENS1_38merge_sort_block_merge_config_selectorIdlEEZZNS1_27merge_sort_block_merge_implIS3_PdN6thrust23THRUST_200600_302600_NS10device_ptrIlEEjNS1_19radix_merge_compareILb0ELb0EdNS0_19identity_decomposerEEEEE10hipError_tT0_T1_T2_jT3_P12ihipStream_tbPNSt15iterator_traitsISG_E10value_typeEPNSM_ISH_E10value_typeEPSI_NS1_7vsmem_tEENKUlT_SG_SH_SI_E_clIS7_S7_PlSB_EESF_SV_SG_SH_SI_EUlSV_E_NS1_11comp_targetILNS1_3genE0ELNS1_11target_archE4294967295ELNS1_3gpuE0ELNS1_3repE0EEENS1_48merge_mergepath_partition_config_static_selectorELNS0_4arch9wavefront6targetE1EEEvSH_
	.p2align	8
	.type	_ZN7rocprim17ROCPRIM_400000_NS6detail17trampoline_kernelINS0_14default_configENS1_38merge_sort_block_merge_config_selectorIdlEEZZNS1_27merge_sort_block_merge_implIS3_PdN6thrust23THRUST_200600_302600_NS10device_ptrIlEEjNS1_19radix_merge_compareILb0ELb0EdNS0_19identity_decomposerEEEEE10hipError_tT0_T1_T2_jT3_P12ihipStream_tbPNSt15iterator_traitsISG_E10value_typeEPNSM_ISH_E10value_typeEPSI_NS1_7vsmem_tEENKUlT_SG_SH_SI_E_clIS7_S7_PlSB_EESF_SV_SG_SH_SI_EUlSV_E_NS1_11comp_targetILNS1_3genE0ELNS1_11target_archE4294967295ELNS1_3gpuE0ELNS1_3repE0EEENS1_48merge_mergepath_partition_config_static_selectorELNS0_4arch9wavefront6targetE1EEEvSH_,@function
_ZN7rocprim17ROCPRIM_400000_NS6detail17trampoline_kernelINS0_14default_configENS1_38merge_sort_block_merge_config_selectorIdlEEZZNS1_27merge_sort_block_merge_implIS3_PdN6thrust23THRUST_200600_302600_NS10device_ptrIlEEjNS1_19radix_merge_compareILb0ELb0EdNS0_19identity_decomposerEEEEE10hipError_tT0_T1_T2_jT3_P12ihipStream_tbPNSt15iterator_traitsISG_E10value_typeEPNSM_ISH_E10value_typeEPSI_NS1_7vsmem_tEENKUlT_SG_SH_SI_E_clIS7_S7_PlSB_EESF_SV_SG_SH_SI_EUlSV_E_NS1_11comp_targetILNS1_3genE0ELNS1_11target_archE4294967295ELNS1_3gpuE0ELNS1_3repE0EEENS1_48merge_mergepath_partition_config_static_selectorELNS0_4arch9wavefront6targetE1EEEvSH_: ; @_ZN7rocprim17ROCPRIM_400000_NS6detail17trampoline_kernelINS0_14default_configENS1_38merge_sort_block_merge_config_selectorIdlEEZZNS1_27merge_sort_block_merge_implIS3_PdN6thrust23THRUST_200600_302600_NS10device_ptrIlEEjNS1_19radix_merge_compareILb0ELb0EdNS0_19identity_decomposerEEEEE10hipError_tT0_T1_T2_jT3_P12ihipStream_tbPNSt15iterator_traitsISG_E10value_typeEPNSM_ISH_E10value_typeEPSI_NS1_7vsmem_tEENKUlT_SG_SH_SI_E_clIS7_S7_PlSB_EESF_SV_SG_SH_SI_EUlSV_E_NS1_11comp_targetILNS1_3genE0ELNS1_11target_archE4294967295ELNS1_3gpuE0ELNS1_3repE0EEENS1_48merge_mergepath_partition_config_static_selectorELNS0_4arch9wavefront6targetE1EEEvSH_
; %bb.0:
	.section	.rodata,"a",@progbits
	.p2align	6, 0x0
	.amdhsa_kernel _ZN7rocprim17ROCPRIM_400000_NS6detail17trampoline_kernelINS0_14default_configENS1_38merge_sort_block_merge_config_selectorIdlEEZZNS1_27merge_sort_block_merge_implIS3_PdN6thrust23THRUST_200600_302600_NS10device_ptrIlEEjNS1_19radix_merge_compareILb0ELb0EdNS0_19identity_decomposerEEEEE10hipError_tT0_T1_T2_jT3_P12ihipStream_tbPNSt15iterator_traitsISG_E10value_typeEPNSM_ISH_E10value_typeEPSI_NS1_7vsmem_tEENKUlT_SG_SH_SI_E_clIS7_S7_PlSB_EESF_SV_SG_SH_SI_EUlSV_E_NS1_11comp_targetILNS1_3genE0ELNS1_11target_archE4294967295ELNS1_3gpuE0ELNS1_3repE0EEENS1_48merge_mergepath_partition_config_static_selectorELNS0_4arch9wavefront6targetE1EEEvSH_
		.amdhsa_group_segment_fixed_size 0
		.amdhsa_private_segment_fixed_size 0
		.amdhsa_kernarg_size 40
		.amdhsa_user_sgpr_count 6
		.amdhsa_user_sgpr_private_segment_buffer 1
		.amdhsa_user_sgpr_dispatch_ptr 0
		.amdhsa_user_sgpr_queue_ptr 0
		.amdhsa_user_sgpr_kernarg_segment_ptr 1
		.amdhsa_user_sgpr_dispatch_id 0
		.amdhsa_user_sgpr_flat_scratch_init 0
		.amdhsa_user_sgpr_kernarg_preload_length 0
		.amdhsa_user_sgpr_kernarg_preload_offset 0
		.amdhsa_user_sgpr_private_segment_size 0
		.amdhsa_uses_dynamic_stack 0
		.amdhsa_system_sgpr_private_segment_wavefront_offset 0
		.amdhsa_system_sgpr_workgroup_id_x 1
		.amdhsa_system_sgpr_workgroup_id_y 0
		.amdhsa_system_sgpr_workgroup_id_z 0
		.amdhsa_system_sgpr_workgroup_info 0
		.amdhsa_system_vgpr_workitem_id 0
		.amdhsa_next_free_vgpr 1
		.amdhsa_next_free_sgpr 0
		.amdhsa_accum_offset 4
		.amdhsa_reserve_vcc 0
		.amdhsa_reserve_flat_scratch 0
		.amdhsa_float_round_mode_32 0
		.amdhsa_float_round_mode_16_64 0
		.amdhsa_float_denorm_mode_32 3
		.amdhsa_float_denorm_mode_16_64 3
		.amdhsa_dx10_clamp 1
		.amdhsa_ieee_mode 1
		.amdhsa_fp16_overflow 0
		.amdhsa_tg_split 0
		.amdhsa_exception_fp_ieee_invalid_op 0
		.amdhsa_exception_fp_denorm_src 0
		.amdhsa_exception_fp_ieee_div_zero 0
		.amdhsa_exception_fp_ieee_overflow 0
		.amdhsa_exception_fp_ieee_underflow 0
		.amdhsa_exception_fp_ieee_inexact 0
		.amdhsa_exception_int_div_zero 0
	.end_amdhsa_kernel
	.section	.text._ZN7rocprim17ROCPRIM_400000_NS6detail17trampoline_kernelINS0_14default_configENS1_38merge_sort_block_merge_config_selectorIdlEEZZNS1_27merge_sort_block_merge_implIS3_PdN6thrust23THRUST_200600_302600_NS10device_ptrIlEEjNS1_19radix_merge_compareILb0ELb0EdNS0_19identity_decomposerEEEEE10hipError_tT0_T1_T2_jT3_P12ihipStream_tbPNSt15iterator_traitsISG_E10value_typeEPNSM_ISH_E10value_typeEPSI_NS1_7vsmem_tEENKUlT_SG_SH_SI_E_clIS7_S7_PlSB_EESF_SV_SG_SH_SI_EUlSV_E_NS1_11comp_targetILNS1_3genE0ELNS1_11target_archE4294967295ELNS1_3gpuE0ELNS1_3repE0EEENS1_48merge_mergepath_partition_config_static_selectorELNS0_4arch9wavefront6targetE1EEEvSH_,"axG",@progbits,_ZN7rocprim17ROCPRIM_400000_NS6detail17trampoline_kernelINS0_14default_configENS1_38merge_sort_block_merge_config_selectorIdlEEZZNS1_27merge_sort_block_merge_implIS3_PdN6thrust23THRUST_200600_302600_NS10device_ptrIlEEjNS1_19radix_merge_compareILb0ELb0EdNS0_19identity_decomposerEEEEE10hipError_tT0_T1_T2_jT3_P12ihipStream_tbPNSt15iterator_traitsISG_E10value_typeEPNSM_ISH_E10value_typeEPSI_NS1_7vsmem_tEENKUlT_SG_SH_SI_E_clIS7_S7_PlSB_EESF_SV_SG_SH_SI_EUlSV_E_NS1_11comp_targetILNS1_3genE0ELNS1_11target_archE4294967295ELNS1_3gpuE0ELNS1_3repE0EEENS1_48merge_mergepath_partition_config_static_selectorELNS0_4arch9wavefront6targetE1EEEvSH_,comdat
.Lfunc_end1542:
	.size	_ZN7rocprim17ROCPRIM_400000_NS6detail17trampoline_kernelINS0_14default_configENS1_38merge_sort_block_merge_config_selectorIdlEEZZNS1_27merge_sort_block_merge_implIS3_PdN6thrust23THRUST_200600_302600_NS10device_ptrIlEEjNS1_19radix_merge_compareILb0ELb0EdNS0_19identity_decomposerEEEEE10hipError_tT0_T1_T2_jT3_P12ihipStream_tbPNSt15iterator_traitsISG_E10value_typeEPNSM_ISH_E10value_typeEPSI_NS1_7vsmem_tEENKUlT_SG_SH_SI_E_clIS7_S7_PlSB_EESF_SV_SG_SH_SI_EUlSV_E_NS1_11comp_targetILNS1_3genE0ELNS1_11target_archE4294967295ELNS1_3gpuE0ELNS1_3repE0EEENS1_48merge_mergepath_partition_config_static_selectorELNS0_4arch9wavefront6targetE1EEEvSH_, .Lfunc_end1542-_ZN7rocprim17ROCPRIM_400000_NS6detail17trampoline_kernelINS0_14default_configENS1_38merge_sort_block_merge_config_selectorIdlEEZZNS1_27merge_sort_block_merge_implIS3_PdN6thrust23THRUST_200600_302600_NS10device_ptrIlEEjNS1_19radix_merge_compareILb0ELb0EdNS0_19identity_decomposerEEEEE10hipError_tT0_T1_T2_jT3_P12ihipStream_tbPNSt15iterator_traitsISG_E10value_typeEPNSM_ISH_E10value_typeEPSI_NS1_7vsmem_tEENKUlT_SG_SH_SI_E_clIS7_S7_PlSB_EESF_SV_SG_SH_SI_EUlSV_E_NS1_11comp_targetILNS1_3genE0ELNS1_11target_archE4294967295ELNS1_3gpuE0ELNS1_3repE0EEENS1_48merge_mergepath_partition_config_static_selectorELNS0_4arch9wavefront6targetE1EEEvSH_
                                        ; -- End function
	.section	.AMDGPU.csdata,"",@progbits
; Kernel info:
; codeLenInByte = 0
; NumSgprs: 4
; NumVgprs: 0
; NumAgprs: 0
; TotalNumVgprs: 0
; ScratchSize: 0
; MemoryBound: 0
; FloatMode: 240
; IeeeMode: 1
; LDSByteSize: 0 bytes/workgroup (compile time only)
; SGPRBlocks: 0
; VGPRBlocks: 0
; NumSGPRsForWavesPerEU: 4
; NumVGPRsForWavesPerEU: 1
; AccumOffset: 4
; Occupancy: 8
; WaveLimiterHint : 0
; COMPUTE_PGM_RSRC2:SCRATCH_EN: 0
; COMPUTE_PGM_RSRC2:USER_SGPR: 6
; COMPUTE_PGM_RSRC2:TRAP_HANDLER: 0
; COMPUTE_PGM_RSRC2:TGID_X_EN: 1
; COMPUTE_PGM_RSRC2:TGID_Y_EN: 0
; COMPUTE_PGM_RSRC2:TGID_Z_EN: 0
; COMPUTE_PGM_RSRC2:TIDIG_COMP_CNT: 0
; COMPUTE_PGM_RSRC3_GFX90A:ACCUM_OFFSET: 0
; COMPUTE_PGM_RSRC3_GFX90A:TG_SPLIT: 0
	.section	.text._ZN7rocprim17ROCPRIM_400000_NS6detail17trampoline_kernelINS0_14default_configENS1_38merge_sort_block_merge_config_selectorIdlEEZZNS1_27merge_sort_block_merge_implIS3_PdN6thrust23THRUST_200600_302600_NS10device_ptrIlEEjNS1_19radix_merge_compareILb0ELb0EdNS0_19identity_decomposerEEEEE10hipError_tT0_T1_T2_jT3_P12ihipStream_tbPNSt15iterator_traitsISG_E10value_typeEPNSM_ISH_E10value_typeEPSI_NS1_7vsmem_tEENKUlT_SG_SH_SI_E_clIS7_S7_PlSB_EESF_SV_SG_SH_SI_EUlSV_E_NS1_11comp_targetILNS1_3genE10ELNS1_11target_archE1201ELNS1_3gpuE5ELNS1_3repE0EEENS1_48merge_mergepath_partition_config_static_selectorELNS0_4arch9wavefront6targetE1EEEvSH_,"axG",@progbits,_ZN7rocprim17ROCPRIM_400000_NS6detail17trampoline_kernelINS0_14default_configENS1_38merge_sort_block_merge_config_selectorIdlEEZZNS1_27merge_sort_block_merge_implIS3_PdN6thrust23THRUST_200600_302600_NS10device_ptrIlEEjNS1_19radix_merge_compareILb0ELb0EdNS0_19identity_decomposerEEEEE10hipError_tT0_T1_T2_jT3_P12ihipStream_tbPNSt15iterator_traitsISG_E10value_typeEPNSM_ISH_E10value_typeEPSI_NS1_7vsmem_tEENKUlT_SG_SH_SI_E_clIS7_S7_PlSB_EESF_SV_SG_SH_SI_EUlSV_E_NS1_11comp_targetILNS1_3genE10ELNS1_11target_archE1201ELNS1_3gpuE5ELNS1_3repE0EEENS1_48merge_mergepath_partition_config_static_selectorELNS0_4arch9wavefront6targetE1EEEvSH_,comdat
	.protected	_ZN7rocprim17ROCPRIM_400000_NS6detail17trampoline_kernelINS0_14default_configENS1_38merge_sort_block_merge_config_selectorIdlEEZZNS1_27merge_sort_block_merge_implIS3_PdN6thrust23THRUST_200600_302600_NS10device_ptrIlEEjNS1_19radix_merge_compareILb0ELb0EdNS0_19identity_decomposerEEEEE10hipError_tT0_T1_T2_jT3_P12ihipStream_tbPNSt15iterator_traitsISG_E10value_typeEPNSM_ISH_E10value_typeEPSI_NS1_7vsmem_tEENKUlT_SG_SH_SI_E_clIS7_S7_PlSB_EESF_SV_SG_SH_SI_EUlSV_E_NS1_11comp_targetILNS1_3genE10ELNS1_11target_archE1201ELNS1_3gpuE5ELNS1_3repE0EEENS1_48merge_mergepath_partition_config_static_selectorELNS0_4arch9wavefront6targetE1EEEvSH_ ; -- Begin function _ZN7rocprim17ROCPRIM_400000_NS6detail17trampoline_kernelINS0_14default_configENS1_38merge_sort_block_merge_config_selectorIdlEEZZNS1_27merge_sort_block_merge_implIS3_PdN6thrust23THRUST_200600_302600_NS10device_ptrIlEEjNS1_19radix_merge_compareILb0ELb0EdNS0_19identity_decomposerEEEEE10hipError_tT0_T1_T2_jT3_P12ihipStream_tbPNSt15iterator_traitsISG_E10value_typeEPNSM_ISH_E10value_typeEPSI_NS1_7vsmem_tEENKUlT_SG_SH_SI_E_clIS7_S7_PlSB_EESF_SV_SG_SH_SI_EUlSV_E_NS1_11comp_targetILNS1_3genE10ELNS1_11target_archE1201ELNS1_3gpuE5ELNS1_3repE0EEENS1_48merge_mergepath_partition_config_static_selectorELNS0_4arch9wavefront6targetE1EEEvSH_
	.globl	_ZN7rocprim17ROCPRIM_400000_NS6detail17trampoline_kernelINS0_14default_configENS1_38merge_sort_block_merge_config_selectorIdlEEZZNS1_27merge_sort_block_merge_implIS3_PdN6thrust23THRUST_200600_302600_NS10device_ptrIlEEjNS1_19radix_merge_compareILb0ELb0EdNS0_19identity_decomposerEEEEE10hipError_tT0_T1_T2_jT3_P12ihipStream_tbPNSt15iterator_traitsISG_E10value_typeEPNSM_ISH_E10value_typeEPSI_NS1_7vsmem_tEENKUlT_SG_SH_SI_E_clIS7_S7_PlSB_EESF_SV_SG_SH_SI_EUlSV_E_NS1_11comp_targetILNS1_3genE10ELNS1_11target_archE1201ELNS1_3gpuE5ELNS1_3repE0EEENS1_48merge_mergepath_partition_config_static_selectorELNS0_4arch9wavefront6targetE1EEEvSH_
	.p2align	8
	.type	_ZN7rocprim17ROCPRIM_400000_NS6detail17trampoline_kernelINS0_14default_configENS1_38merge_sort_block_merge_config_selectorIdlEEZZNS1_27merge_sort_block_merge_implIS3_PdN6thrust23THRUST_200600_302600_NS10device_ptrIlEEjNS1_19radix_merge_compareILb0ELb0EdNS0_19identity_decomposerEEEEE10hipError_tT0_T1_T2_jT3_P12ihipStream_tbPNSt15iterator_traitsISG_E10value_typeEPNSM_ISH_E10value_typeEPSI_NS1_7vsmem_tEENKUlT_SG_SH_SI_E_clIS7_S7_PlSB_EESF_SV_SG_SH_SI_EUlSV_E_NS1_11comp_targetILNS1_3genE10ELNS1_11target_archE1201ELNS1_3gpuE5ELNS1_3repE0EEENS1_48merge_mergepath_partition_config_static_selectorELNS0_4arch9wavefront6targetE1EEEvSH_,@function
_ZN7rocprim17ROCPRIM_400000_NS6detail17trampoline_kernelINS0_14default_configENS1_38merge_sort_block_merge_config_selectorIdlEEZZNS1_27merge_sort_block_merge_implIS3_PdN6thrust23THRUST_200600_302600_NS10device_ptrIlEEjNS1_19radix_merge_compareILb0ELb0EdNS0_19identity_decomposerEEEEE10hipError_tT0_T1_T2_jT3_P12ihipStream_tbPNSt15iterator_traitsISG_E10value_typeEPNSM_ISH_E10value_typeEPSI_NS1_7vsmem_tEENKUlT_SG_SH_SI_E_clIS7_S7_PlSB_EESF_SV_SG_SH_SI_EUlSV_E_NS1_11comp_targetILNS1_3genE10ELNS1_11target_archE1201ELNS1_3gpuE5ELNS1_3repE0EEENS1_48merge_mergepath_partition_config_static_selectorELNS0_4arch9wavefront6targetE1EEEvSH_: ; @_ZN7rocprim17ROCPRIM_400000_NS6detail17trampoline_kernelINS0_14default_configENS1_38merge_sort_block_merge_config_selectorIdlEEZZNS1_27merge_sort_block_merge_implIS3_PdN6thrust23THRUST_200600_302600_NS10device_ptrIlEEjNS1_19radix_merge_compareILb0ELb0EdNS0_19identity_decomposerEEEEE10hipError_tT0_T1_T2_jT3_P12ihipStream_tbPNSt15iterator_traitsISG_E10value_typeEPNSM_ISH_E10value_typeEPSI_NS1_7vsmem_tEENKUlT_SG_SH_SI_E_clIS7_S7_PlSB_EESF_SV_SG_SH_SI_EUlSV_E_NS1_11comp_targetILNS1_3genE10ELNS1_11target_archE1201ELNS1_3gpuE5ELNS1_3repE0EEENS1_48merge_mergepath_partition_config_static_selectorELNS0_4arch9wavefront6targetE1EEEvSH_
; %bb.0:
	.section	.rodata,"a",@progbits
	.p2align	6, 0x0
	.amdhsa_kernel _ZN7rocprim17ROCPRIM_400000_NS6detail17trampoline_kernelINS0_14default_configENS1_38merge_sort_block_merge_config_selectorIdlEEZZNS1_27merge_sort_block_merge_implIS3_PdN6thrust23THRUST_200600_302600_NS10device_ptrIlEEjNS1_19radix_merge_compareILb0ELb0EdNS0_19identity_decomposerEEEEE10hipError_tT0_T1_T2_jT3_P12ihipStream_tbPNSt15iterator_traitsISG_E10value_typeEPNSM_ISH_E10value_typeEPSI_NS1_7vsmem_tEENKUlT_SG_SH_SI_E_clIS7_S7_PlSB_EESF_SV_SG_SH_SI_EUlSV_E_NS1_11comp_targetILNS1_3genE10ELNS1_11target_archE1201ELNS1_3gpuE5ELNS1_3repE0EEENS1_48merge_mergepath_partition_config_static_selectorELNS0_4arch9wavefront6targetE1EEEvSH_
		.amdhsa_group_segment_fixed_size 0
		.amdhsa_private_segment_fixed_size 0
		.amdhsa_kernarg_size 40
		.amdhsa_user_sgpr_count 6
		.amdhsa_user_sgpr_private_segment_buffer 1
		.amdhsa_user_sgpr_dispatch_ptr 0
		.amdhsa_user_sgpr_queue_ptr 0
		.amdhsa_user_sgpr_kernarg_segment_ptr 1
		.amdhsa_user_sgpr_dispatch_id 0
		.amdhsa_user_sgpr_flat_scratch_init 0
		.amdhsa_user_sgpr_kernarg_preload_length 0
		.amdhsa_user_sgpr_kernarg_preload_offset 0
		.amdhsa_user_sgpr_private_segment_size 0
		.amdhsa_uses_dynamic_stack 0
		.amdhsa_system_sgpr_private_segment_wavefront_offset 0
		.amdhsa_system_sgpr_workgroup_id_x 1
		.amdhsa_system_sgpr_workgroup_id_y 0
		.amdhsa_system_sgpr_workgroup_id_z 0
		.amdhsa_system_sgpr_workgroup_info 0
		.amdhsa_system_vgpr_workitem_id 0
		.amdhsa_next_free_vgpr 1
		.amdhsa_next_free_sgpr 0
		.amdhsa_accum_offset 4
		.amdhsa_reserve_vcc 0
		.amdhsa_reserve_flat_scratch 0
		.amdhsa_float_round_mode_32 0
		.amdhsa_float_round_mode_16_64 0
		.amdhsa_float_denorm_mode_32 3
		.amdhsa_float_denorm_mode_16_64 3
		.amdhsa_dx10_clamp 1
		.amdhsa_ieee_mode 1
		.amdhsa_fp16_overflow 0
		.amdhsa_tg_split 0
		.amdhsa_exception_fp_ieee_invalid_op 0
		.amdhsa_exception_fp_denorm_src 0
		.amdhsa_exception_fp_ieee_div_zero 0
		.amdhsa_exception_fp_ieee_overflow 0
		.amdhsa_exception_fp_ieee_underflow 0
		.amdhsa_exception_fp_ieee_inexact 0
		.amdhsa_exception_int_div_zero 0
	.end_amdhsa_kernel
	.section	.text._ZN7rocprim17ROCPRIM_400000_NS6detail17trampoline_kernelINS0_14default_configENS1_38merge_sort_block_merge_config_selectorIdlEEZZNS1_27merge_sort_block_merge_implIS3_PdN6thrust23THRUST_200600_302600_NS10device_ptrIlEEjNS1_19radix_merge_compareILb0ELb0EdNS0_19identity_decomposerEEEEE10hipError_tT0_T1_T2_jT3_P12ihipStream_tbPNSt15iterator_traitsISG_E10value_typeEPNSM_ISH_E10value_typeEPSI_NS1_7vsmem_tEENKUlT_SG_SH_SI_E_clIS7_S7_PlSB_EESF_SV_SG_SH_SI_EUlSV_E_NS1_11comp_targetILNS1_3genE10ELNS1_11target_archE1201ELNS1_3gpuE5ELNS1_3repE0EEENS1_48merge_mergepath_partition_config_static_selectorELNS0_4arch9wavefront6targetE1EEEvSH_,"axG",@progbits,_ZN7rocprim17ROCPRIM_400000_NS6detail17trampoline_kernelINS0_14default_configENS1_38merge_sort_block_merge_config_selectorIdlEEZZNS1_27merge_sort_block_merge_implIS3_PdN6thrust23THRUST_200600_302600_NS10device_ptrIlEEjNS1_19radix_merge_compareILb0ELb0EdNS0_19identity_decomposerEEEEE10hipError_tT0_T1_T2_jT3_P12ihipStream_tbPNSt15iterator_traitsISG_E10value_typeEPNSM_ISH_E10value_typeEPSI_NS1_7vsmem_tEENKUlT_SG_SH_SI_E_clIS7_S7_PlSB_EESF_SV_SG_SH_SI_EUlSV_E_NS1_11comp_targetILNS1_3genE10ELNS1_11target_archE1201ELNS1_3gpuE5ELNS1_3repE0EEENS1_48merge_mergepath_partition_config_static_selectorELNS0_4arch9wavefront6targetE1EEEvSH_,comdat
.Lfunc_end1543:
	.size	_ZN7rocprim17ROCPRIM_400000_NS6detail17trampoline_kernelINS0_14default_configENS1_38merge_sort_block_merge_config_selectorIdlEEZZNS1_27merge_sort_block_merge_implIS3_PdN6thrust23THRUST_200600_302600_NS10device_ptrIlEEjNS1_19radix_merge_compareILb0ELb0EdNS0_19identity_decomposerEEEEE10hipError_tT0_T1_T2_jT3_P12ihipStream_tbPNSt15iterator_traitsISG_E10value_typeEPNSM_ISH_E10value_typeEPSI_NS1_7vsmem_tEENKUlT_SG_SH_SI_E_clIS7_S7_PlSB_EESF_SV_SG_SH_SI_EUlSV_E_NS1_11comp_targetILNS1_3genE10ELNS1_11target_archE1201ELNS1_3gpuE5ELNS1_3repE0EEENS1_48merge_mergepath_partition_config_static_selectorELNS0_4arch9wavefront6targetE1EEEvSH_, .Lfunc_end1543-_ZN7rocprim17ROCPRIM_400000_NS6detail17trampoline_kernelINS0_14default_configENS1_38merge_sort_block_merge_config_selectorIdlEEZZNS1_27merge_sort_block_merge_implIS3_PdN6thrust23THRUST_200600_302600_NS10device_ptrIlEEjNS1_19radix_merge_compareILb0ELb0EdNS0_19identity_decomposerEEEEE10hipError_tT0_T1_T2_jT3_P12ihipStream_tbPNSt15iterator_traitsISG_E10value_typeEPNSM_ISH_E10value_typeEPSI_NS1_7vsmem_tEENKUlT_SG_SH_SI_E_clIS7_S7_PlSB_EESF_SV_SG_SH_SI_EUlSV_E_NS1_11comp_targetILNS1_3genE10ELNS1_11target_archE1201ELNS1_3gpuE5ELNS1_3repE0EEENS1_48merge_mergepath_partition_config_static_selectorELNS0_4arch9wavefront6targetE1EEEvSH_
                                        ; -- End function
	.section	.AMDGPU.csdata,"",@progbits
; Kernel info:
; codeLenInByte = 0
; NumSgprs: 4
; NumVgprs: 0
; NumAgprs: 0
; TotalNumVgprs: 0
; ScratchSize: 0
; MemoryBound: 0
; FloatMode: 240
; IeeeMode: 1
; LDSByteSize: 0 bytes/workgroup (compile time only)
; SGPRBlocks: 0
; VGPRBlocks: 0
; NumSGPRsForWavesPerEU: 4
; NumVGPRsForWavesPerEU: 1
; AccumOffset: 4
; Occupancy: 8
; WaveLimiterHint : 0
; COMPUTE_PGM_RSRC2:SCRATCH_EN: 0
; COMPUTE_PGM_RSRC2:USER_SGPR: 6
; COMPUTE_PGM_RSRC2:TRAP_HANDLER: 0
; COMPUTE_PGM_RSRC2:TGID_X_EN: 1
; COMPUTE_PGM_RSRC2:TGID_Y_EN: 0
; COMPUTE_PGM_RSRC2:TGID_Z_EN: 0
; COMPUTE_PGM_RSRC2:TIDIG_COMP_CNT: 0
; COMPUTE_PGM_RSRC3_GFX90A:ACCUM_OFFSET: 0
; COMPUTE_PGM_RSRC3_GFX90A:TG_SPLIT: 0
	.section	.text._ZN7rocprim17ROCPRIM_400000_NS6detail17trampoline_kernelINS0_14default_configENS1_38merge_sort_block_merge_config_selectorIdlEEZZNS1_27merge_sort_block_merge_implIS3_PdN6thrust23THRUST_200600_302600_NS10device_ptrIlEEjNS1_19radix_merge_compareILb0ELb0EdNS0_19identity_decomposerEEEEE10hipError_tT0_T1_T2_jT3_P12ihipStream_tbPNSt15iterator_traitsISG_E10value_typeEPNSM_ISH_E10value_typeEPSI_NS1_7vsmem_tEENKUlT_SG_SH_SI_E_clIS7_S7_PlSB_EESF_SV_SG_SH_SI_EUlSV_E_NS1_11comp_targetILNS1_3genE5ELNS1_11target_archE942ELNS1_3gpuE9ELNS1_3repE0EEENS1_48merge_mergepath_partition_config_static_selectorELNS0_4arch9wavefront6targetE1EEEvSH_,"axG",@progbits,_ZN7rocprim17ROCPRIM_400000_NS6detail17trampoline_kernelINS0_14default_configENS1_38merge_sort_block_merge_config_selectorIdlEEZZNS1_27merge_sort_block_merge_implIS3_PdN6thrust23THRUST_200600_302600_NS10device_ptrIlEEjNS1_19radix_merge_compareILb0ELb0EdNS0_19identity_decomposerEEEEE10hipError_tT0_T1_T2_jT3_P12ihipStream_tbPNSt15iterator_traitsISG_E10value_typeEPNSM_ISH_E10value_typeEPSI_NS1_7vsmem_tEENKUlT_SG_SH_SI_E_clIS7_S7_PlSB_EESF_SV_SG_SH_SI_EUlSV_E_NS1_11comp_targetILNS1_3genE5ELNS1_11target_archE942ELNS1_3gpuE9ELNS1_3repE0EEENS1_48merge_mergepath_partition_config_static_selectorELNS0_4arch9wavefront6targetE1EEEvSH_,comdat
	.protected	_ZN7rocprim17ROCPRIM_400000_NS6detail17trampoline_kernelINS0_14default_configENS1_38merge_sort_block_merge_config_selectorIdlEEZZNS1_27merge_sort_block_merge_implIS3_PdN6thrust23THRUST_200600_302600_NS10device_ptrIlEEjNS1_19radix_merge_compareILb0ELb0EdNS0_19identity_decomposerEEEEE10hipError_tT0_T1_T2_jT3_P12ihipStream_tbPNSt15iterator_traitsISG_E10value_typeEPNSM_ISH_E10value_typeEPSI_NS1_7vsmem_tEENKUlT_SG_SH_SI_E_clIS7_S7_PlSB_EESF_SV_SG_SH_SI_EUlSV_E_NS1_11comp_targetILNS1_3genE5ELNS1_11target_archE942ELNS1_3gpuE9ELNS1_3repE0EEENS1_48merge_mergepath_partition_config_static_selectorELNS0_4arch9wavefront6targetE1EEEvSH_ ; -- Begin function _ZN7rocprim17ROCPRIM_400000_NS6detail17trampoline_kernelINS0_14default_configENS1_38merge_sort_block_merge_config_selectorIdlEEZZNS1_27merge_sort_block_merge_implIS3_PdN6thrust23THRUST_200600_302600_NS10device_ptrIlEEjNS1_19radix_merge_compareILb0ELb0EdNS0_19identity_decomposerEEEEE10hipError_tT0_T1_T2_jT3_P12ihipStream_tbPNSt15iterator_traitsISG_E10value_typeEPNSM_ISH_E10value_typeEPSI_NS1_7vsmem_tEENKUlT_SG_SH_SI_E_clIS7_S7_PlSB_EESF_SV_SG_SH_SI_EUlSV_E_NS1_11comp_targetILNS1_3genE5ELNS1_11target_archE942ELNS1_3gpuE9ELNS1_3repE0EEENS1_48merge_mergepath_partition_config_static_selectorELNS0_4arch9wavefront6targetE1EEEvSH_
	.globl	_ZN7rocprim17ROCPRIM_400000_NS6detail17trampoline_kernelINS0_14default_configENS1_38merge_sort_block_merge_config_selectorIdlEEZZNS1_27merge_sort_block_merge_implIS3_PdN6thrust23THRUST_200600_302600_NS10device_ptrIlEEjNS1_19radix_merge_compareILb0ELb0EdNS0_19identity_decomposerEEEEE10hipError_tT0_T1_T2_jT3_P12ihipStream_tbPNSt15iterator_traitsISG_E10value_typeEPNSM_ISH_E10value_typeEPSI_NS1_7vsmem_tEENKUlT_SG_SH_SI_E_clIS7_S7_PlSB_EESF_SV_SG_SH_SI_EUlSV_E_NS1_11comp_targetILNS1_3genE5ELNS1_11target_archE942ELNS1_3gpuE9ELNS1_3repE0EEENS1_48merge_mergepath_partition_config_static_selectorELNS0_4arch9wavefront6targetE1EEEvSH_
	.p2align	8
	.type	_ZN7rocprim17ROCPRIM_400000_NS6detail17trampoline_kernelINS0_14default_configENS1_38merge_sort_block_merge_config_selectorIdlEEZZNS1_27merge_sort_block_merge_implIS3_PdN6thrust23THRUST_200600_302600_NS10device_ptrIlEEjNS1_19radix_merge_compareILb0ELb0EdNS0_19identity_decomposerEEEEE10hipError_tT0_T1_T2_jT3_P12ihipStream_tbPNSt15iterator_traitsISG_E10value_typeEPNSM_ISH_E10value_typeEPSI_NS1_7vsmem_tEENKUlT_SG_SH_SI_E_clIS7_S7_PlSB_EESF_SV_SG_SH_SI_EUlSV_E_NS1_11comp_targetILNS1_3genE5ELNS1_11target_archE942ELNS1_3gpuE9ELNS1_3repE0EEENS1_48merge_mergepath_partition_config_static_selectorELNS0_4arch9wavefront6targetE1EEEvSH_,@function
_ZN7rocprim17ROCPRIM_400000_NS6detail17trampoline_kernelINS0_14default_configENS1_38merge_sort_block_merge_config_selectorIdlEEZZNS1_27merge_sort_block_merge_implIS3_PdN6thrust23THRUST_200600_302600_NS10device_ptrIlEEjNS1_19radix_merge_compareILb0ELb0EdNS0_19identity_decomposerEEEEE10hipError_tT0_T1_T2_jT3_P12ihipStream_tbPNSt15iterator_traitsISG_E10value_typeEPNSM_ISH_E10value_typeEPSI_NS1_7vsmem_tEENKUlT_SG_SH_SI_E_clIS7_S7_PlSB_EESF_SV_SG_SH_SI_EUlSV_E_NS1_11comp_targetILNS1_3genE5ELNS1_11target_archE942ELNS1_3gpuE9ELNS1_3repE0EEENS1_48merge_mergepath_partition_config_static_selectorELNS0_4arch9wavefront6targetE1EEEvSH_: ; @_ZN7rocprim17ROCPRIM_400000_NS6detail17trampoline_kernelINS0_14default_configENS1_38merge_sort_block_merge_config_selectorIdlEEZZNS1_27merge_sort_block_merge_implIS3_PdN6thrust23THRUST_200600_302600_NS10device_ptrIlEEjNS1_19radix_merge_compareILb0ELb0EdNS0_19identity_decomposerEEEEE10hipError_tT0_T1_T2_jT3_P12ihipStream_tbPNSt15iterator_traitsISG_E10value_typeEPNSM_ISH_E10value_typeEPSI_NS1_7vsmem_tEENKUlT_SG_SH_SI_E_clIS7_S7_PlSB_EESF_SV_SG_SH_SI_EUlSV_E_NS1_11comp_targetILNS1_3genE5ELNS1_11target_archE942ELNS1_3gpuE9ELNS1_3repE0EEENS1_48merge_mergepath_partition_config_static_selectorELNS0_4arch9wavefront6targetE1EEEvSH_
; %bb.0:
	.section	.rodata,"a",@progbits
	.p2align	6, 0x0
	.amdhsa_kernel _ZN7rocprim17ROCPRIM_400000_NS6detail17trampoline_kernelINS0_14default_configENS1_38merge_sort_block_merge_config_selectorIdlEEZZNS1_27merge_sort_block_merge_implIS3_PdN6thrust23THRUST_200600_302600_NS10device_ptrIlEEjNS1_19radix_merge_compareILb0ELb0EdNS0_19identity_decomposerEEEEE10hipError_tT0_T1_T2_jT3_P12ihipStream_tbPNSt15iterator_traitsISG_E10value_typeEPNSM_ISH_E10value_typeEPSI_NS1_7vsmem_tEENKUlT_SG_SH_SI_E_clIS7_S7_PlSB_EESF_SV_SG_SH_SI_EUlSV_E_NS1_11comp_targetILNS1_3genE5ELNS1_11target_archE942ELNS1_3gpuE9ELNS1_3repE0EEENS1_48merge_mergepath_partition_config_static_selectorELNS0_4arch9wavefront6targetE1EEEvSH_
		.amdhsa_group_segment_fixed_size 0
		.amdhsa_private_segment_fixed_size 0
		.amdhsa_kernarg_size 40
		.amdhsa_user_sgpr_count 6
		.amdhsa_user_sgpr_private_segment_buffer 1
		.amdhsa_user_sgpr_dispatch_ptr 0
		.amdhsa_user_sgpr_queue_ptr 0
		.amdhsa_user_sgpr_kernarg_segment_ptr 1
		.amdhsa_user_sgpr_dispatch_id 0
		.amdhsa_user_sgpr_flat_scratch_init 0
		.amdhsa_user_sgpr_kernarg_preload_length 0
		.amdhsa_user_sgpr_kernarg_preload_offset 0
		.amdhsa_user_sgpr_private_segment_size 0
		.amdhsa_uses_dynamic_stack 0
		.amdhsa_system_sgpr_private_segment_wavefront_offset 0
		.amdhsa_system_sgpr_workgroup_id_x 1
		.amdhsa_system_sgpr_workgroup_id_y 0
		.amdhsa_system_sgpr_workgroup_id_z 0
		.amdhsa_system_sgpr_workgroup_info 0
		.amdhsa_system_vgpr_workitem_id 0
		.amdhsa_next_free_vgpr 1
		.amdhsa_next_free_sgpr 0
		.amdhsa_accum_offset 4
		.amdhsa_reserve_vcc 0
		.amdhsa_reserve_flat_scratch 0
		.amdhsa_float_round_mode_32 0
		.amdhsa_float_round_mode_16_64 0
		.amdhsa_float_denorm_mode_32 3
		.amdhsa_float_denorm_mode_16_64 3
		.amdhsa_dx10_clamp 1
		.amdhsa_ieee_mode 1
		.amdhsa_fp16_overflow 0
		.amdhsa_tg_split 0
		.amdhsa_exception_fp_ieee_invalid_op 0
		.amdhsa_exception_fp_denorm_src 0
		.amdhsa_exception_fp_ieee_div_zero 0
		.amdhsa_exception_fp_ieee_overflow 0
		.amdhsa_exception_fp_ieee_underflow 0
		.amdhsa_exception_fp_ieee_inexact 0
		.amdhsa_exception_int_div_zero 0
	.end_amdhsa_kernel
	.section	.text._ZN7rocprim17ROCPRIM_400000_NS6detail17trampoline_kernelINS0_14default_configENS1_38merge_sort_block_merge_config_selectorIdlEEZZNS1_27merge_sort_block_merge_implIS3_PdN6thrust23THRUST_200600_302600_NS10device_ptrIlEEjNS1_19radix_merge_compareILb0ELb0EdNS0_19identity_decomposerEEEEE10hipError_tT0_T1_T2_jT3_P12ihipStream_tbPNSt15iterator_traitsISG_E10value_typeEPNSM_ISH_E10value_typeEPSI_NS1_7vsmem_tEENKUlT_SG_SH_SI_E_clIS7_S7_PlSB_EESF_SV_SG_SH_SI_EUlSV_E_NS1_11comp_targetILNS1_3genE5ELNS1_11target_archE942ELNS1_3gpuE9ELNS1_3repE0EEENS1_48merge_mergepath_partition_config_static_selectorELNS0_4arch9wavefront6targetE1EEEvSH_,"axG",@progbits,_ZN7rocprim17ROCPRIM_400000_NS6detail17trampoline_kernelINS0_14default_configENS1_38merge_sort_block_merge_config_selectorIdlEEZZNS1_27merge_sort_block_merge_implIS3_PdN6thrust23THRUST_200600_302600_NS10device_ptrIlEEjNS1_19radix_merge_compareILb0ELb0EdNS0_19identity_decomposerEEEEE10hipError_tT0_T1_T2_jT3_P12ihipStream_tbPNSt15iterator_traitsISG_E10value_typeEPNSM_ISH_E10value_typeEPSI_NS1_7vsmem_tEENKUlT_SG_SH_SI_E_clIS7_S7_PlSB_EESF_SV_SG_SH_SI_EUlSV_E_NS1_11comp_targetILNS1_3genE5ELNS1_11target_archE942ELNS1_3gpuE9ELNS1_3repE0EEENS1_48merge_mergepath_partition_config_static_selectorELNS0_4arch9wavefront6targetE1EEEvSH_,comdat
.Lfunc_end1544:
	.size	_ZN7rocprim17ROCPRIM_400000_NS6detail17trampoline_kernelINS0_14default_configENS1_38merge_sort_block_merge_config_selectorIdlEEZZNS1_27merge_sort_block_merge_implIS3_PdN6thrust23THRUST_200600_302600_NS10device_ptrIlEEjNS1_19radix_merge_compareILb0ELb0EdNS0_19identity_decomposerEEEEE10hipError_tT0_T1_T2_jT3_P12ihipStream_tbPNSt15iterator_traitsISG_E10value_typeEPNSM_ISH_E10value_typeEPSI_NS1_7vsmem_tEENKUlT_SG_SH_SI_E_clIS7_S7_PlSB_EESF_SV_SG_SH_SI_EUlSV_E_NS1_11comp_targetILNS1_3genE5ELNS1_11target_archE942ELNS1_3gpuE9ELNS1_3repE0EEENS1_48merge_mergepath_partition_config_static_selectorELNS0_4arch9wavefront6targetE1EEEvSH_, .Lfunc_end1544-_ZN7rocprim17ROCPRIM_400000_NS6detail17trampoline_kernelINS0_14default_configENS1_38merge_sort_block_merge_config_selectorIdlEEZZNS1_27merge_sort_block_merge_implIS3_PdN6thrust23THRUST_200600_302600_NS10device_ptrIlEEjNS1_19radix_merge_compareILb0ELb0EdNS0_19identity_decomposerEEEEE10hipError_tT0_T1_T2_jT3_P12ihipStream_tbPNSt15iterator_traitsISG_E10value_typeEPNSM_ISH_E10value_typeEPSI_NS1_7vsmem_tEENKUlT_SG_SH_SI_E_clIS7_S7_PlSB_EESF_SV_SG_SH_SI_EUlSV_E_NS1_11comp_targetILNS1_3genE5ELNS1_11target_archE942ELNS1_3gpuE9ELNS1_3repE0EEENS1_48merge_mergepath_partition_config_static_selectorELNS0_4arch9wavefront6targetE1EEEvSH_
                                        ; -- End function
	.section	.AMDGPU.csdata,"",@progbits
; Kernel info:
; codeLenInByte = 0
; NumSgprs: 4
; NumVgprs: 0
; NumAgprs: 0
; TotalNumVgprs: 0
; ScratchSize: 0
; MemoryBound: 0
; FloatMode: 240
; IeeeMode: 1
; LDSByteSize: 0 bytes/workgroup (compile time only)
; SGPRBlocks: 0
; VGPRBlocks: 0
; NumSGPRsForWavesPerEU: 4
; NumVGPRsForWavesPerEU: 1
; AccumOffset: 4
; Occupancy: 8
; WaveLimiterHint : 0
; COMPUTE_PGM_RSRC2:SCRATCH_EN: 0
; COMPUTE_PGM_RSRC2:USER_SGPR: 6
; COMPUTE_PGM_RSRC2:TRAP_HANDLER: 0
; COMPUTE_PGM_RSRC2:TGID_X_EN: 1
; COMPUTE_PGM_RSRC2:TGID_Y_EN: 0
; COMPUTE_PGM_RSRC2:TGID_Z_EN: 0
; COMPUTE_PGM_RSRC2:TIDIG_COMP_CNT: 0
; COMPUTE_PGM_RSRC3_GFX90A:ACCUM_OFFSET: 0
; COMPUTE_PGM_RSRC3_GFX90A:TG_SPLIT: 0
	.section	.text._ZN7rocprim17ROCPRIM_400000_NS6detail17trampoline_kernelINS0_14default_configENS1_38merge_sort_block_merge_config_selectorIdlEEZZNS1_27merge_sort_block_merge_implIS3_PdN6thrust23THRUST_200600_302600_NS10device_ptrIlEEjNS1_19radix_merge_compareILb0ELb0EdNS0_19identity_decomposerEEEEE10hipError_tT0_T1_T2_jT3_P12ihipStream_tbPNSt15iterator_traitsISG_E10value_typeEPNSM_ISH_E10value_typeEPSI_NS1_7vsmem_tEENKUlT_SG_SH_SI_E_clIS7_S7_PlSB_EESF_SV_SG_SH_SI_EUlSV_E_NS1_11comp_targetILNS1_3genE4ELNS1_11target_archE910ELNS1_3gpuE8ELNS1_3repE0EEENS1_48merge_mergepath_partition_config_static_selectorELNS0_4arch9wavefront6targetE1EEEvSH_,"axG",@progbits,_ZN7rocprim17ROCPRIM_400000_NS6detail17trampoline_kernelINS0_14default_configENS1_38merge_sort_block_merge_config_selectorIdlEEZZNS1_27merge_sort_block_merge_implIS3_PdN6thrust23THRUST_200600_302600_NS10device_ptrIlEEjNS1_19radix_merge_compareILb0ELb0EdNS0_19identity_decomposerEEEEE10hipError_tT0_T1_T2_jT3_P12ihipStream_tbPNSt15iterator_traitsISG_E10value_typeEPNSM_ISH_E10value_typeEPSI_NS1_7vsmem_tEENKUlT_SG_SH_SI_E_clIS7_S7_PlSB_EESF_SV_SG_SH_SI_EUlSV_E_NS1_11comp_targetILNS1_3genE4ELNS1_11target_archE910ELNS1_3gpuE8ELNS1_3repE0EEENS1_48merge_mergepath_partition_config_static_selectorELNS0_4arch9wavefront6targetE1EEEvSH_,comdat
	.protected	_ZN7rocprim17ROCPRIM_400000_NS6detail17trampoline_kernelINS0_14default_configENS1_38merge_sort_block_merge_config_selectorIdlEEZZNS1_27merge_sort_block_merge_implIS3_PdN6thrust23THRUST_200600_302600_NS10device_ptrIlEEjNS1_19radix_merge_compareILb0ELb0EdNS0_19identity_decomposerEEEEE10hipError_tT0_T1_T2_jT3_P12ihipStream_tbPNSt15iterator_traitsISG_E10value_typeEPNSM_ISH_E10value_typeEPSI_NS1_7vsmem_tEENKUlT_SG_SH_SI_E_clIS7_S7_PlSB_EESF_SV_SG_SH_SI_EUlSV_E_NS1_11comp_targetILNS1_3genE4ELNS1_11target_archE910ELNS1_3gpuE8ELNS1_3repE0EEENS1_48merge_mergepath_partition_config_static_selectorELNS0_4arch9wavefront6targetE1EEEvSH_ ; -- Begin function _ZN7rocprim17ROCPRIM_400000_NS6detail17trampoline_kernelINS0_14default_configENS1_38merge_sort_block_merge_config_selectorIdlEEZZNS1_27merge_sort_block_merge_implIS3_PdN6thrust23THRUST_200600_302600_NS10device_ptrIlEEjNS1_19radix_merge_compareILb0ELb0EdNS0_19identity_decomposerEEEEE10hipError_tT0_T1_T2_jT3_P12ihipStream_tbPNSt15iterator_traitsISG_E10value_typeEPNSM_ISH_E10value_typeEPSI_NS1_7vsmem_tEENKUlT_SG_SH_SI_E_clIS7_S7_PlSB_EESF_SV_SG_SH_SI_EUlSV_E_NS1_11comp_targetILNS1_3genE4ELNS1_11target_archE910ELNS1_3gpuE8ELNS1_3repE0EEENS1_48merge_mergepath_partition_config_static_selectorELNS0_4arch9wavefront6targetE1EEEvSH_
	.globl	_ZN7rocprim17ROCPRIM_400000_NS6detail17trampoline_kernelINS0_14default_configENS1_38merge_sort_block_merge_config_selectorIdlEEZZNS1_27merge_sort_block_merge_implIS3_PdN6thrust23THRUST_200600_302600_NS10device_ptrIlEEjNS1_19radix_merge_compareILb0ELb0EdNS0_19identity_decomposerEEEEE10hipError_tT0_T1_T2_jT3_P12ihipStream_tbPNSt15iterator_traitsISG_E10value_typeEPNSM_ISH_E10value_typeEPSI_NS1_7vsmem_tEENKUlT_SG_SH_SI_E_clIS7_S7_PlSB_EESF_SV_SG_SH_SI_EUlSV_E_NS1_11comp_targetILNS1_3genE4ELNS1_11target_archE910ELNS1_3gpuE8ELNS1_3repE0EEENS1_48merge_mergepath_partition_config_static_selectorELNS0_4arch9wavefront6targetE1EEEvSH_
	.p2align	8
	.type	_ZN7rocprim17ROCPRIM_400000_NS6detail17trampoline_kernelINS0_14default_configENS1_38merge_sort_block_merge_config_selectorIdlEEZZNS1_27merge_sort_block_merge_implIS3_PdN6thrust23THRUST_200600_302600_NS10device_ptrIlEEjNS1_19radix_merge_compareILb0ELb0EdNS0_19identity_decomposerEEEEE10hipError_tT0_T1_T2_jT3_P12ihipStream_tbPNSt15iterator_traitsISG_E10value_typeEPNSM_ISH_E10value_typeEPSI_NS1_7vsmem_tEENKUlT_SG_SH_SI_E_clIS7_S7_PlSB_EESF_SV_SG_SH_SI_EUlSV_E_NS1_11comp_targetILNS1_3genE4ELNS1_11target_archE910ELNS1_3gpuE8ELNS1_3repE0EEENS1_48merge_mergepath_partition_config_static_selectorELNS0_4arch9wavefront6targetE1EEEvSH_,@function
_ZN7rocprim17ROCPRIM_400000_NS6detail17trampoline_kernelINS0_14default_configENS1_38merge_sort_block_merge_config_selectorIdlEEZZNS1_27merge_sort_block_merge_implIS3_PdN6thrust23THRUST_200600_302600_NS10device_ptrIlEEjNS1_19radix_merge_compareILb0ELb0EdNS0_19identity_decomposerEEEEE10hipError_tT0_T1_T2_jT3_P12ihipStream_tbPNSt15iterator_traitsISG_E10value_typeEPNSM_ISH_E10value_typeEPSI_NS1_7vsmem_tEENKUlT_SG_SH_SI_E_clIS7_S7_PlSB_EESF_SV_SG_SH_SI_EUlSV_E_NS1_11comp_targetILNS1_3genE4ELNS1_11target_archE910ELNS1_3gpuE8ELNS1_3repE0EEENS1_48merge_mergepath_partition_config_static_selectorELNS0_4arch9wavefront6targetE1EEEvSH_: ; @_ZN7rocprim17ROCPRIM_400000_NS6detail17trampoline_kernelINS0_14default_configENS1_38merge_sort_block_merge_config_selectorIdlEEZZNS1_27merge_sort_block_merge_implIS3_PdN6thrust23THRUST_200600_302600_NS10device_ptrIlEEjNS1_19radix_merge_compareILb0ELb0EdNS0_19identity_decomposerEEEEE10hipError_tT0_T1_T2_jT3_P12ihipStream_tbPNSt15iterator_traitsISG_E10value_typeEPNSM_ISH_E10value_typeEPSI_NS1_7vsmem_tEENKUlT_SG_SH_SI_E_clIS7_S7_PlSB_EESF_SV_SG_SH_SI_EUlSV_E_NS1_11comp_targetILNS1_3genE4ELNS1_11target_archE910ELNS1_3gpuE8ELNS1_3repE0EEENS1_48merge_mergepath_partition_config_static_selectorELNS0_4arch9wavefront6targetE1EEEvSH_
; %bb.0:
	s_load_dword s0, s[4:5], 0x0
	v_lshl_or_b32 v0, s6, 7, v0
	s_waitcnt lgkmcnt(0)
	v_cmp_gt_u32_e32 vcc, s0, v0
	s_and_saveexec_b64 s[0:1], vcc
	s_cbranch_execz .LBB1545_6
; %bb.1:
	s_load_dwordx2 s[2:3], s[4:5], 0x4
	s_load_dwordx2 s[0:1], s[4:5], 0x20
	s_waitcnt lgkmcnt(0)
	s_lshr_b32 s6, s2, 9
	s_and_b32 s6, s6, 0x7ffffe
	s_add_i32 s7, s6, -1
	s_sub_i32 s6, 0, s6
	v_and_b32_e32 v1, s6, v0
	v_lshlrev_b32_e32 v1, 10, v1
	v_min_u32_e32 v2, s3, v1
	v_add_u32_e32 v1, s2, v1
	v_min_u32_e32 v4, s3, v1
	v_add_u32_e32 v1, s2, v4
	v_and_b32_e32 v3, s7, v0
	v_min_u32_e32 v1, s3, v1
	v_sub_u32_e32 v5, v1, v2
	v_lshlrev_b32_e32 v3, 10, v3
	v_min_u32_e32 v6, v5, v3
	v_sub_u32_e32 v3, v4, v2
	v_sub_u32_e32 v1, v1, v4
	v_sub_u32_e64 v1, v6, v1 clamp
	v_min_u32_e32 v7, v6, v3
	v_cmp_lt_u32_e32 vcc, v1, v7
	s_and_saveexec_b64 s[2:3], vcc
	s_cbranch_execz .LBB1545_5
; %bb.2:
	s_load_dwordx2 s[4:5], s[4:5], 0x10
	v_mov_b32_e32 v5, 0
	v_mov_b32_e32 v3, v5
	v_lshlrev_b64 v[8:9], 3, v[2:3]
	v_lshlrev_b64 v[10:11], 3, v[4:5]
	s_waitcnt lgkmcnt(0)
	v_mov_b32_e32 v12, s5
	v_add_co_u32_e32 v3, vcc, s4, v8
	v_addc_co_u32_e32 v8, vcc, v12, v9, vcc
	v_add_co_u32_e32 v9, vcc, s4, v10
	v_addc_co_u32_e32 v10, vcc, v12, v11, vcc
	s_mov_b64 s[4:5], 0
.LBB1545_3:                             ; =>This Inner Loop Header: Depth=1
	v_add_u32_e32 v4, v7, v1
	v_lshrrev_b32_e32 v4, 1, v4
	v_lshlrev_b64 v[14:15], 3, v[4:5]
	v_mov_b32_e32 v13, v5
	v_xad_u32 v12, v4, -1, v6
	v_add_co_u32_e32 v14, vcc, v3, v14
	v_addc_co_u32_e32 v15, vcc, v8, v15, vcc
	v_lshlrev_b64 v[12:13], 3, v[12:13]
	v_add_co_u32_e32 v12, vcc, v9, v12
	v_addc_co_u32_e32 v13, vcc, v10, v13, vcc
	global_load_dwordx2 v[16:17], v[14:15], off
	global_load_dwordx2 v[18:19], v[12:13], off
	v_add_u32_e32 v11, 1, v4
	s_waitcnt vmcnt(1)
	v_add_f64 v[12:13], v[16:17], 0
	s_waitcnt vmcnt(0)
	v_add_f64 v[14:15], v[18:19], 0
	v_ashrrev_i32_e32 v16, 31, v13
	v_or_b32_e32 v17, 0x80000000, v16
	v_xor_b32_e32 v12, v16, v12
	v_ashrrev_i32_e32 v16, 31, v15
	v_xor_b32_e32 v13, v17, v13
	v_or_b32_e32 v17, 0x80000000, v16
	v_xor_b32_e32 v14, v16, v14
	v_xor_b32_e32 v15, v17, v15
	v_cmp_gt_u64_e32 vcc, v[12:13], v[14:15]
	v_cndmask_b32_e32 v7, v7, v4, vcc
	v_cndmask_b32_e32 v1, v11, v1, vcc
	v_cmp_ge_u32_e32 vcc, v1, v7
	s_or_b64 s[4:5], vcc, s[4:5]
	s_andn2_b64 exec, exec, s[4:5]
	s_cbranch_execnz .LBB1545_3
; %bb.4:
	s_or_b64 exec, exec, s[4:5]
.LBB1545_5:
	s_or_b64 exec, exec, s[2:3]
	v_add_u32_e32 v2, v1, v2
	v_mov_b32_e32 v1, 0
	v_lshlrev_b64 v[0:1], 2, v[0:1]
	v_mov_b32_e32 v3, s1
	v_add_co_u32_e32 v0, vcc, s0, v0
	v_addc_co_u32_e32 v1, vcc, v3, v1, vcc
	global_store_dword v[0:1], v2, off
.LBB1545_6:
	s_endpgm
	.section	.rodata,"a",@progbits
	.p2align	6, 0x0
	.amdhsa_kernel _ZN7rocprim17ROCPRIM_400000_NS6detail17trampoline_kernelINS0_14default_configENS1_38merge_sort_block_merge_config_selectorIdlEEZZNS1_27merge_sort_block_merge_implIS3_PdN6thrust23THRUST_200600_302600_NS10device_ptrIlEEjNS1_19radix_merge_compareILb0ELb0EdNS0_19identity_decomposerEEEEE10hipError_tT0_T1_T2_jT3_P12ihipStream_tbPNSt15iterator_traitsISG_E10value_typeEPNSM_ISH_E10value_typeEPSI_NS1_7vsmem_tEENKUlT_SG_SH_SI_E_clIS7_S7_PlSB_EESF_SV_SG_SH_SI_EUlSV_E_NS1_11comp_targetILNS1_3genE4ELNS1_11target_archE910ELNS1_3gpuE8ELNS1_3repE0EEENS1_48merge_mergepath_partition_config_static_selectorELNS0_4arch9wavefront6targetE1EEEvSH_
		.amdhsa_group_segment_fixed_size 0
		.amdhsa_private_segment_fixed_size 0
		.amdhsa_kernarg_size 40
		.amdhsa_user_sgpr_count 6
		.amdhsa_user_sgpr_private_segment_buffer 1
		.amdhsa_user_sgpr_dispatch_ptr 0
		.amdhsa_user_sgpr_queue_ptr 0
		.amdhsa_user_sgpr_kernarg_segment_ptr 1
		.amdhsa_user_sgpr_dispatch_id 0
		.amdhsa_user_sgpr_flat_scratch_init 0
		.amdhsa_user_sgpr_kernarg_preload_length 0
		.amdhsa_user_sgpr_kernarg_preload_offset 0
		.amdhsa_user_sgpr_private_segment_size 0
		.amdhsa_uses_dynamic_stack 0
		.amdhsa_system_sgpr_private_segment_wavefront_offset 0
		.amdhsa_system_sgpr_workgroup_id_x 1
		.amdhsa_system_sgpr_workgroup_id_y 0
		.amdhsa_system_sgpr_workgroup_id_z 0
		.amdhsa_system_sgpr_workgroup_info 0
		.amdhsa_system_vgpr_workitem_id 0
		.amdhsa_next_free_vgpr 20
		.amdhsa_next_free_sgpr 8
		.amdhsa_accum_offset 20
		.amdhsa_reserve_vcc 1
		.amdhsa_reserve_flat_scratch 0
		.amdhsa_float_round_mode_32 0
		.amdhsa_float_round_mode_16_64 0
		.amdhsa_float_denorm_mode_32 3
		.amdhsa_float_denorm_mode_16_64 3
		.amdhsa_dx10_clamp 1
		.amdhsa_ieee_mode 1
		.amdhsa_fp16_overflow 0
		.amdhsa_tg_split 0
		.amdhsa_exception_fp_ieee_invalid_op 0
		.amdhsa_exception_fp_denorm_src 0
		.amdhsa_exception_fp_ieee_div_zero 0
		.amdhsa_exception_fp_ieee_overflow 0
		.amdhsa_exception_fp_ieee_underflow 0
		.amdhsa_exception_fp_ieee_inexact 0
		.amdhsa_exception_int_div_zero 0
	.end_amdhsa_kernel
	.section	.text._ZN7rocprim17ROCPRIM_400000_NS6detail17trampoline_kernelINS0_14default_configENS1_38merge_sort_block_merge_config_selectorIdlEEZZNS1_27merge_sort_block_merge_implIS3_PdN6thrust23THRUST_200600_302600_NS10device_ptrIlEEjNS1_19radix_merge_compareILb0ELb0EdNS0_19identity_decomposerEEEEE10hipError_tT0_T1_T2_jT3_P12ihipStream_tbPNSt15iterator_traitsISG_E10value_typeEPNSM_ISH_E10value_typeEPSI_NS1_7vsmem_tEENKUlT_SG_SH_SI_E_clIS7_S7_PlSB_EESF_SV_SG_SH_SI_EUlSV_E_NS1_11comp_targetILNS1_3genE4ELNS1_11target_archE910ELNS1_3gpuE8ELNS1_3repE0EEENS1_48merge_mergepath_partition_config_static_selectorELNS0_4arch9wavefront6targetE1EEEvSH_,"axG",@progbits,_ZN7rocprim17ROCPRIM_400000_NS6detail17trampoline_kernelINS0_14default_configENS1_38merge_sort_block_merge_config_selectorIdlEEZZNS1_27merge_sort_block_merge_implIS3_PdN6thrust23THRUST_200600_302600_NS10device_ptrIlEEjNS1_19radix_merge_compareILb0ELb0EdNS0_19identity_decomposerEEEEE10hipError_tT0_T1_T2_jT3_P12ihipStream_tbPNSt15iterator_traitsISG_E10value_typeEPNSM_ISH_E10value_typeEPSI_NS1_7vsmem_tEENKUlT_SG_SH_SI_E_clIS7_S7_PlSB_EESF_SV_SG_SH_SI_EUlSV_E_NS1_11comp_targetILNS1_3genE4ELNS1_11target_archE910ELNS1_3gpuE8ELNS1_3repE0EEENS1_48merge_mergepath_partition_config_static_selectorELNS0_4arch9wavefront6targetE1EEEvSH_,comdat
.Lfunc_end1545:
	.size	_ZN7rocprim17ROCPRIM_400000_NS6detail17trampoline_kernelINS0_14default_configENS1_38merge_sort_block_merge_config_selectorIdlEEZZNS1_27merge_sort_block_merge_implIS3_PdN6thrust23THRUST_200600_302600_NS10device_ptrIlEEjNS1_19radix_merge_compareILb0ELb0EdNS0_19identity_decomposerEEEEE10hipError_tT0_T1_T2_jT3_P12ihipStream_tbPNSt15iterator_traitsISG_E10value_typeEPNSM_ISH_E10value_typeEPSI_NS1_7vsmem_tEENKUlT_SG_SH_SI_E_clIS7_S7_PlSB_EESF_SV_SG_SH_SI_EUlSV_E_NS1_11comp_targetILNS1_3genE4ELNS1_11target_archE910ELNS1_3gpuE8ELNS1_3repE0EEENS1_48merge_mergepath_partition_config_static_selectorELNS0_4arch9wavefront6targetE1EEEvSH_, .Lfunc_end1545-_ZN7rocprim17ROCPRIM_400000_NS6detail17trampoline_kernelINS0_14default_configENS1_38merge_sort_block_merge_config_selectorIdlEEZZNS1_27merge_sort_block_merge_implIS3_PdN6thrust23THRUST_200600_302600_NS10device_ptrIlEEjNS1_19radix_merge_compareILb0ELb0EdNS0_19identity_decomposerEEEEE10hipError_tT0_T1_T2_jT3_P12ihipStream_tbPNSt15iterator_traitsISG_E10value_typeEPNSM_ISH_E10value_typeEPSI_NS1_7vsmem_tEENKUlT_SG_SH_SI_E_clIS7_S7_PlSB_EESF_SV_SG_SH_SI_EUlSV_E_NS1_11comp_targetILNS1_3genE4ELNS1_11target_archE910ELNS1_3gpuE8ELNS1_3repE0EEENS1_48merge_mergepath_partition_config_static_selectorELNS0_4arch9wavefront6targetE1EEEvSH_
                                        ; -- End function
	.section	.AMDGPU.csdata,"",@progbits
; Kernel info:
; codeLenInByte = 420
; NumSgprs: 12
; NumVgprs: 20
; NumAgprs: 0
; TotalNumVgprs: 20
; ScratchSize: 0
; MemoryBound: 0
; FloatMode: 240
; IeeeMode: 1
; LDSByteSize: 0 bytes/workgroup (compile time only)
; SGPRBlocks: 1
; VGPRBlocks: 2
; NumSGPRsForWavesPerEU: 12
; NumVGPRsForWavesPerEU: 20
; AccumOffset: 20
; Occupancy: 8
; WaveLimiterHint : 0
; COMPUTE_PGM_RSRC2:SCRATCH_EN: 0
; COMPUTE_PGM_RSRC2:USER_SGPR: 6
; COMPUTE_PGM_RSRC2:TRAP_HANDLER: 0
; COMPUTE_PGM_RSRC2:TGID_X_EN: 1
; COMPUTE_PGM_RSRC2:TGID_Y_EN: 0
; COMPUTE_PGM_RSRC2:TGID_Z_EN: 0
; COMPUTE_PGM_RSRC2:TIDIG_COMP_CNT: 0
; COMPUTE_PGM_RSRC3_GFX90A:ACCUM_OFFSET: 4
; COMPUTE_PGM_RSRC3_GFX90A:TG_SPLIT: 0
	.section	.text._ZN7rocprim17ROCPRIM_400000_NS6detail17trampoline_kernelINS0_14default_configENS1_38merge_sort_block_merge_config_selectorIdlEEZZNS1_27merge_sort_block_merge_implIS3_PdN6thrust23THRUST_200600_302600_NS10device_ptrIlEEjNS1_19radix_merge_compareILb0ELb0EdNS0_19identity_decomposerEEEEE10hipError_tT0_T1_T2_jT3_P12ihipStream_tbPNSt15iterator_traitsISG_E10value_typeEPNSM_ISH_E10value_typeEPSI_NS1_7vsmem_tEENKUlT_SG_SH_SI_E_clIS7_S7_PlSB_EESF_SV_SG_SH_SI_EUlSV_E_NS1_11comp_targetILNS1_3genE3ELNS1_11target_archE908ELNS1_3gpuE7ELNS1_3repE0EEENS1_48merge_mergepath_partition_config_static_selectorELNS0_4arch9wavefront6targetE1EEEvSH_,"axG",@progbits,_ZN7rocprim17ROCPRIM_400000_NS6detail17trampoline_kernelINS0_14default_configENS1_38merge_sort_block_merge_config_selectorIdlEEZZNS1_27merge_sort_block_merge_implIS3_PdN6thrust23THRUST_200600_302600_NS10device_ptrIlEEjNS1_19radix_merge_compareILb0ELb0EdNS0_19identity_decomposerEEEEE10hipError_tT0_T1_T2_jT3_P12ihipStream_tbPNSt15iterator_traitsISG_E10value_typeEPNSM_ISH_E10value_typeEPSI_NS1_7vsmem_tEENKUlT_SG_SH_SI_E_clIS7_S7_PlSB_EESF_SV_SG_SH_SI_EUlSV_E_NS1_11comp_targetILNS1_3genE3ELNS1_11target_archE908ELNS1_3gpuE7ELNS1_3repE0EEENS1_48merge_mergepath_partition_config_static_selectorELNS0_4arch9wavefront6targetE1EEEvSH_,comdat
	.protected	_ZN7rocprim17ROCPRIM_400000_NS6detail17trampoline_kernelINS0_14default_configENS1_38merge_sort_block_merge_config_selectorIdlEEZZNS1_27merge_sort_block_merge_implIS3_PdN6thrust23THRUST_200600_302600_NS10device_ptrIlEEjNS1_19radix_merge_compareILb0ELb0EdNS0_19identity_decomposerEEEEE10hipError_tT0_T1_T2_jT3_P12ihipStream_tbPNSt15iterator_traitsISG_E10value_typeEPNSM_ISH_E10value_typeEPSI_NS1_7vsmem_tEENKUlT_SG_SH_SI_E_clIS7_S7_PlSB_EESF_SV_SG_SH_SI_EUlSV_E_NS1_11comp_targetILNS1_3genE3ELNS1_11target_archE908ELNS1_3gpuE7ELNS1_3repE0EEENS1_48merge_mergepath_partition_config_static_selectorELNS0_4arch9wavefront6targetE1EEEvSH_ ; -- Begin function _ZN7rocprim17ROCPRIM_400000_NS6detail17trampoline_kernelINS0_14default_configENS1_38merge_sort_block_merge_config_selectorIdlEEZZNS1_27merge_sort_block_merge_implIS3_PdN6thrust23THRUST_200600_302600_NS10device_ptrIlEEjNS1_19radix_merge_compareILb0ELb0EdNS0_19identity_decomposerEEEEE10hipError_tT0_T1_T2_jT3_P12ihipStream_tbPNSt15iterator_traitsISG_E10value_typeEPNSM_ISH_E10value_typeEPSI_NS1_7vsmem_tEENKUlT_SG_SH_SI_E_clIS7_S7_PlSB_EESF_SV_SG_SH_SI_EUlSV_E_NS1_11comp_targetILNS1_3genE3ELNS1_11target_archE908ELNS1_3gpuE7ELNS1_3repE0EEENS1_48merge_mergepath_partition_config_static_selectorELNS0_4arch9wavefront6targetE1EEEvSH_
	.globl	_ZN7rocprim17ROCPRIM_400000_NS6detail17trampoline_kernelINS0_14default_configENS1_38merge_sort_block_merge_config_selectorIdlEEZZNS1_27merge_sort_block_merge_implIS3_PdN6thrust23THRUST_200600_302600_NS10device_ptrIlEEjNS1_19radix_merge_compareILb0ELb0EdNS0_19identity_decomposerEEEEE10hipError_tT0_T1_T2_jT3_P12ihipStream_tbPNSt15iterator_traitsISG_E10value_typeEPNSM_ISH_E10value_typeEPSI_NS1_7vsmem_tEENKUlT_SG_SH_SI_E_clIS7_S7_PlSB_EESF_SV_SG_SH_SI_EUlSV_E_NS1_11comp_targetILNS1_3genE3ELNS1_11target_archE908ELNS1_3gpuE7ELNS1_3repE0EEENS1_48merge_mergepath_partition_config_static_selectorELNS0_4arch9wavefront6targetE1EEEvSH_
	.p2align	8
	.type	_ZN7rocprim17ROCPRIM_400000_NS6detail17trampoline_kernelINS0_14default_configENS1_38merge_sort_block_merge_config_selectorIdlEEZZNS1_27merge_sort_block_merge_implIS3_PdN6thrust23THRUST_200600_302600_NS10device_ptrIlEEjNS1_19radix_merge_compareILb0ELb0EdNS0_19identity_decomposerEEEEE10hipError_tT0_T1_T2_jT3_P12ihipStream_tbPNSt15iterator_traitsISG_E10value_typeEPNSM_ISH_E10value_typeEPSI_NS1_7vsmem_tEENKUlT_SG_SH_SI_E_clIS7_S7_PlSB_EESF_SV_SG_SH_SI_EUlSV_E_NS1_11comp_targetILNS1_3genE3ELNS1_11target_archE908ELNS1_3gpuE7ELNS1_3repE0EEENS1_48merge_mergepath_partition_config_static_selectorELNS0_4arch9wavefront6targetE1EEEvSH_,@function
_ZN7rocprim17ROCPRIM_400000_NS6detail17trampoline_kernelINS0_14default_configENS1_38merge_sort_block_merge_config_selectorIdlEEZZNS1_27merge_sort_block_merge_implIS3_PdN6thrust23THRUST_200600_302600_NS10device_ptrIlEEjNS1_19radix_merge_compareILb0ELb0EdNS0_19identity_decomposerEEEEE10hipError_tT0_T1_T2_jT3_P12ihipStream_tbPNSt15iterator_traitsISG_E10value_typeEPNSM_ISH_E10value_typeEPSI_NS1_7vsmem_tEENKUlT_SG_SH_SI_E_clIS7_S7_PlSB_EESF_SV_SG_SH_SI_EUlSV_E_NS1_11comp_targetILNS1_3genE3ELNS1_11target_archE908ELNS1_3gpuE7ELNS1_3repE0EEENS1_48merge_mergepath_partition_config_static_selectorELNS0_4arch9wavefront6targetE1EEEvSH_: ; @_ZN7rocprim17ROCPRIM_400000_NS6detail17trampoline_kernelINS0_14default_configENS1_38merge_sort_block_merge_config_selectorIdlEEZZNS1_27merge_sort_block_merge_implIS3_PdN6thrust23THRUST_200600_302600_NS10device_ptrIlEEjNS1_19radix_merge_compareILb0ELb0EdNS0_19identity_decomposerEEEEE10hipError_tT0_T1_T2_jT3_P12ihipStream_tbPNSt15iterator_traitsISG_E10value_typeEPNSM_ISH_E10value_typeEPSI_NS1_7vsmem_tEENKUlT_SG_SH_SI_E_clIS7_S7_PlSB_EESF_SV_SG_SH_SI_EUlSV_E_NS1_11comp_targetILNS1_3genE3ELNS1_11target_archE908ELNS1_3gpuE7ELNS1_3repE0EEENS1_48merge_mergepath_partition_config_static_selectorELNS0_4arch9wavefront6targetE1EEEvSH_
; %bb.0:
	.section	.rodata,"a",@progbits
	.p2align	6, 0x0
	.amdhsa_kernel _ZN7rocprim17ROCPRIM_400000_NS6detail17trampoline_kernelINS0_14default_configENS1_38merge_sort_block_merge_config_selectorIdlEEZZNS1_27merge_sort_block_merge_implIS3_PdN6thrust23THRUST_200600_302600_NS10device_ptrIlEEjNS1_19radix_merge_compareILb0ELb0EdNS0_19identity_decomposerEEEEE10hipError_tT0_T1_T2_jT3_P12ihipStream_tbPNSt15iterator_traitsISG_E10value_typeEPNSM_ISH_E10value_typeEPSI_NS1_7vsmem_tEENKUlT_SG_SH_SI_E_clIS7_S7_PlSB_EESF_SV_SG_SH_SI_EUlSV_E_NS1_11comp_targetILNS1_3genE3ELNS1_11target_archE908ELNS1_3gpuE7ELNS1_3repE0EEENS1_48merge_mergepath_partition_config_static_selectorELNS0_4arch9wavefront6targetE1EEEvSH_
		.amdhsa_group_segment_fixed_size 0
		.amdhsa_private_segment_fixed_size 0
		.amdhsa_kernarg_size 40
		.amdhsa_user_sgpr_count 6
		.amdhsa_user_sgpr_private_segment_buffer 1
		.amdhsa_user_sgpr_dispatch_ptr 0
		.amdhsa_user_sgpr_queue_ptr 0
		.amdhsa_user_sgpr_kernarg_segment_ptr 1
		.amdhsa_user_sgpr_dispatch_id 0
		.amdhsa_user_sgpr_flat_scratch_init 0
		.amdhsa_user_sgpr_kernarg_preload_length 0
		.amdhsa_user_sgpr_kernarg_preload_offset 0
		.amdhsa_user_sgpr_private_segment_size 0
		.amdhsa_uses_dynamic_stack 0
		.amdhsa_system_sgpr_private_segment_wavefront_offset 0
		.amdhsa_system_sgpr_workgroup_id_x 1
		.amdhsa_system_sgpr_workgroup_id_y 0
		.amdhsa_system_sgpr_workgroup_id_z 0
		.amdhsa_system_sgpr_workgroup_info 0
		.amdhsa_system_vgpr_workitem_id 0
		.amdhsa_next_free_vgpr 1
		.amdhsa_next_free_sgpr 0
		.amdhsa_accum_offset 4
		.amdhsa_reserve_vcc 0
		.amdhsa_reserve_flat_scratch 0
		.amdhsa_float_round_mode_32 0
		.amdhsa_float_round_mode_16_64 0
		.amdhsa_float_denorm_mode_32 3
		.amdhsa_float_denorm_mode_16_64 3
		.amdhsa_dx10_clamp 1
		.amdhsa_ieee_mode 1
		.amdhsa_fp16_overflow 0
		.amdhsa_tg_split 0
		.amdhsa_exception_fp_ieee_invalid_op 0
		.amdhsa_exception_fp_denorm_src 0
		.amdhsa_exception_fp_ieee_div_zero 0
		.amdhsa_exception_fp_ieee_overflow 0
		.amdhsa_exception_fp_ieee_underflow 0
		.amdhsa_exception_fp_ieee_inexact 0
		.amdhsa_exception_int_div_zero 0
	.end_amdhsa_kernel
	.section	.text._ZN7rocprim17ROCPRIM_400000_NS6detail17trampoline_kernelINS0_14default_configENS1_38merge_sort_block_merge_config_selectorIdlEEZZNS1_27merge_sort_block_merge_implIS3_PdN6thrust23THRUST_200600_302600_NS10device_ptrIlEEjNS1_19radix_merge_compareILb0ELb0EdNS0_19identity_decomposerEEEEE10hipError_tT0_T1_T2_jT3_P12ihipStream_tbPNSt15iterator_traitsISG_E10value_typeEPNSM_ISH_E10value_typeEPSI_NS1_7vsmem_tEENKUlT_SG_SH_SI_E_clIS7_S7_PlSB_EESF_SV_SG_SH_SI_EUlSV_E_NS1_11comp_targetILNS1_3genE3ELNS1_11target_archE908ELNS1_3gpuE7ELNS1_3repE0EEENS1_48merge_mergepath_partition_config_static_selectorELNS0_4arch9wavefront6targetE1EEEvSH_,"axG",@progbits,_ZN7rocprim17ROCPRIM_400000_NS6detail17trampoline_kernelINS0_14default_configENS1_38merge_sort_block_merge_config_selectorIdlEEZZNS1_27merge_sort_block_merge_implIS3_PdN6thrust23THRUST_200600_302600_NS10device_ptrIlEEjNS1_19radix_merge_compareILb0ELb0EdNS0_19identity_decomposerEEEEE10hipError_tT0_T1_T2_jT3_P12ihipStream_tbPNSt15iterator_traitsISG_E10value_typeEPNSM_ISH_E10value_typeEPSI_NS1_7vsmem_tEENKUlT_SG_SH_SI_E_clIS7_S7_PlSB_EESF_SV_SG_SH_SI_EUlSV_E_NS1_11comp_targetILNS1_3genE3ELNS1_11target_archE908ELNS1_3gpuE7ELNS1_3repE0EEENS1_48merge_mergepath_partition_config_static_selectorELNS0_4arch9wavefront6targetE1EEEvSH_,comdat
.Lfunc_end1546:
	.size	_ZN7rocprim17ROCPRIM_400000_NS6detail17trampoline_kernelINS0_14default_configENS1_38merge_sort_block_merge_config_selectorIdlEEZZNS1_27merge_sort_block_merge_implIS3_PdN6thrust23THRUST_200600_302600_NS10device_ptrIlEEjNS1_19radix_merge_compareILb0ELb0EdNS0_19identity_decomposerEEEEE10hipError_tT0_T1_T2_jT3_P12ihipStream_tbPNSt15iterator_traitsISG_E10value_typeEPNSM_ISH_E10value_typeEPSI_NS1_7vsmem_tEENKUlT_SG_SH_SI_E_clIS7_S7_PlSB_EESF_SV_SG_SH_SI_EUlSV_E_NS1_11comp_targetILNS1_3genE3ELNS1_11target_archE908ELNS1_3gpuE7ELNS1_3repE0EEENS1_48merge_mergepath_partition_config_static_selectorELNS0_4arch9wavefront6targetE1EEEvSH_, .Lfunc_end1546-_ZN7rocprim17ROCPRIM_400000_NS6detail17trampoline_kernelINS0_14default_configENS1_38merge_sort_block_merge_config_selectorIdlEEZZNS1_27merge_sort_block_merge_implIS3_PdN6thrust23THRUST_200600_302600_NS10device_ptrIlEEjNS1_19radix_merge_compareILb0ELb0EdNS0_19identity_decomposerEEEEE10hipError_tT0_T1_T2_jT3_P12ihipStream_tbPNSt15iterator_traitsISG_E10value_typeEPNSM_ISH_E10value_typeEPSI_NS1_7vsmem_tEENKUlT_SG_SH_SI_E_clIS7_S7_PlSB_EESF_SV_SG_SH_SI_EUlSV_E_NS1_11comp_targetILNS1_3genE3ELNS1_11target_archE908ELNS1_3gpuE7ELNS1_3repE0EEENS1_48merge_mergepath_partition_config_static_selectorELNS0_4arch9wavefront6targetE1EEEvSH_
                                        ; -- End function
	.section	.AMDGPU.csdata,"",@progbits
; Kernel info:
; codeLenInByte = 0
; NumSgprs: 4
; NumVgprs: 0
; NumAgprs: 0
; TotalNumVgprs: 0
; ScratchSize: 0
; MemoryBound: 0
; FloatMode: 240
; IeeeMode: 1
; LDSByteSize: 0 bytes/workgroup (compile time only)
; SGPRBlocks: 0
; VGPRBlocks: 0
; NumSGPRsForWavesPerEU: 4
; NumVGPRsForWavesPerEU: 1
; AccumOffset: 4
; Occupancy: 8
; WaveLimiterHint : 0
; COMPUTE_PGM_RSRC2:SCRATCH_EN: 0
; COMPUTE_PGM_RSRC2:USER_SGPR: 6
; COMPUTE_PGM_RSRC2:TRAP_HANDLER: 0
; COMPUTE_PGM_RSRC2:TGID_X_EN: 1
; COMPUTE_PGM_RSRC2:TGID_Y_EN: 0
; COMPUTE_PGM_RSRC2:TGID_Z_EN: 0
; COMPUTE_PGM_RSRC2:TIDIG_COMP_CNT: 0
; COMPUTE_PGM_RSRC3_GFX90A:ACCUM_OFFSET: 0
; COMPUTE_PGM_RSRC3_GFX90A:TG_SPLIT: 0
	.section	.text._ZN7rocprim17ROCPRIM_400000_NS6detail17trampoline_kernelINS0_14default_configENS1_38merge_sort_block_merge_config_selectorIdlEEZZNS1_27merge_sort_block_merge_implIS3_PdN6thrust23THRUST_200600_302600_NS10device_ptrIlEEjNS1_19radix_merge_compareILb0ELb0EdNS0_19identity_decomposerEEEEE10hipError_tT0_T1_T2_jT3_P12ihipStream_tbPNSt15iterator_traitsISG_E10value_typeEPNSM_ISH_E10value_typeEPSI_NS1_7vsmem_tEENKUlT_SG_SH_SI_E_clIS7_S7_PlSB_EESF_SV_SG_SH_SI_EUlSV_E_NS1_11comp_targetILNS1_3genE2ELNS1_11target_archE906ELNS1_3gpuE6ELNS1_3repE0EEENS1_48merge_mergepath_partition_config_static_selectorELNS0_4arch9wavefront6targetE1EEEvSH_,"axG",@progbits,_ZN7rocprim17ROCPRIM_400000_NS6detail17trampoline_kernelINS0_14default_configENS1_38merge_sort_block_merge_config_selectorIdlEEZZNS1_27merge_sort_block_merge_implIS3_PdN6thrust23THRUST_200600_302600_NS10device_ptrIlEEjNS1_19radix_merge_compareILb0ELb0EdNS0_19identity_decomposerEEEEE10hipError_tT0_T1_T2_jT3_P12ihipStream_tbPNSt15iterator_traitsISG_E10value_typeEPNSM_ISH_E10value_typeEPSI_NS1_7vsmem_tEENKUlT_SG_SH_SI_E_clIS7_S7_PlSB_EESF_SV_SG_SH_SI_EUlSV_E_NS1_11comp_targetILNS1_3genE2ELNS1_11target_archE906ELNS1_3gpuE6ELNS1_3repE0EEENS1_48merge_mergepath_partition_config_static_selectorELNS0_4arch9wavefront6targetE1EEEvSH_,comdat
	.protected	_ZN7rocprim17ROCPRIM_400000_NS6detail17trampoline_kernelINS0_14default_configENS1_38merge_sort_block_merge_config_selectorIdlEEZZNS1_27merge_sort_block_merge_implIS3_PdN6thrust23THRUST_200600_302600_NS10device_ptrIlEEjNS1_19radix_merge_compareILb0ELb0EdNS0_19identity_decomposerEEEEE10hipError_tT0_T1_T2_jT3_P12ihipStream_tbPNSt15iterator_traitsISG_E10value_typeEPNSM_ISH_E10value_typeEPSI_NS1_7vsmem_tEENKUlT_SG_SH_SI_E_clIS7_S7_PlSB_EESF_SV_SG_SH_SI_EUlSV_E_NS1_11comp_targetILNS1_3genE2ELNS1_11target_archE906ELNS1_3gpuE6ELNS1_3repE0EEENS1_48merge_mergepath_partition_config_static_selectorELNS0_4arch9wavefront6targetE1EEEvSH_ ; -- Begin function _ZN7rocprim17ROCPRIM_400000_NS6detail17trampoline_kernelINS0_14default_configENS1_38merge_sort_block_merge_config_selectorIdlEEZZNS1_27merge_sort_block_merge_implIS3_PdN6thrust23THRUST_200600_302600_NS10device_ptrIlEEjNS1_19radix_merge_compareILb0ELb0EdNS0_19identity_decomposerEEEEE10hipError_tT0_T1_T2_jT3_P12ihipStream_tbPNSt15iterator_traitsISG_E10value_typeEPNSM_ISH_E10value_typeEPSI_NS1_7vsmem_tEENKUlT_SG_SH_SI_E_clIS7_S7_PlSB_EESF_SV_SG_SH_SI_EUlSV_E_NS1_11comp_targetILNS1_3genE2ELNS1_11target_archE906ELNS1_3gpuE6ELNS1_3repE0EEENS1_48merge_mergepath_partition_config_static_selectorELNS0_4arch9wavefront6targetE1EEEvSH_
	.globl	_ZN7rocprim17ROCPRIM_400000_NS6detail17trampoline_kernelINS0_14default_configENS1_38merge_sort_block_merge_config_selectorIdlEEZZNS1_27merge_sort_block_merge_implIS3_PdN6thrust23THRUST_200600_302600_NS10device_ptrIlEEjNS1_19radix_merge_compareILb0ELb0EdNS0_19identity_decomposerEEEEE10hipError_tT0_T1_T2_jT3_P12ihipStream_tbPNSt15iterator_traitsISG_E10value_typeEPNSM_ISH_E10value_typeEPSI_NS1_7vsmem_tEENKUlT_SG_SH_SI_E_clIS7_S7_PlSB_EESF_SV_SG_SH_SI_EUlSV_E_NS1_11comp_targetILNS1_3genE2ELNS1_11target_archE906ELNS1_3gpuE6ELNS1_3repE0EEENS1_48merge_mergepath_partition_config_static_selectorELNS0_4arch9wavefront6targetE1EEEvSH_
	.p2align	8
	.type	_ZN7rocprim17ROCPRIM_400000_NS6detail17trampoline_kernelINS0_14default_configENS1_38merge_sort_block_merge_config_selectorIdlEEZZNS1_27merge_sort_block_merge_implIS3_PdN6thrust23THRUST_200600_302600_NS10device_ptrIlEEjNS1_19radix_merge_compareILb0ELb0EdNS0_19identity_decomposerEEEEE10hipError_tT0_T1_T2_jT3_P12ihipStream_tbPNSt15iterator_traitsISG_E10value_typeEPNSM_ISH_E10value_typeEPSI_NS1_7vsmem_tEENKUlT_SG_SH_SI_E_clIS7_S7_PlSB_EESF_SV_SG_SH_SI_EUlSV_E_NS1_11comp_targetILNS1_3genE2ELNS1_11target_archE906ELNS1_3gpuE6ELNS1_3repE0EEENS1_48merge_mergepath_partition_config_static_selectorELNS0_4arch9wavefront6targetE1EEEvSH_,@function
_ZN7rocprim17ROCPRIM_400000_NS6detail17trampoline_kernelINS0_14default_configENS1_38merge_sort_block_merge_config_selectorIdlEEZZNS1_27merge_sort_block_merge_implIS3_PdN6thrust23THRUST_200600_302600_NS10device_ptrIlEEjNS1_19radix_merge_compareILb0ELb0EdNS0_19identity_decomposerEEEEE10hipError_tT0_T1_T2_jT3_P12ihipStream_tbPNSt15iterator_traitsISG_E10value_typeEPNSM_ISH_E10value_typeEPSI_NS1_7vsmem_tEENKUlT_SG_SH_SI_E_clIS7_S7_PlSB_EESF_SV_SG_SH_SI_EUlSV_E_NS1_11comp_targetILNS1_3genE2ELNS1_11target_archE906ELNS1_3gpuE6ELNS1_3repE0EEENS1_48merge_mergepath_partition_config_static_selectorELNS0_4arch9wavefront6targetE1EEEvSH_: ; @_ZN7rocprim17ROCPRIM_400000_NS6detail17trampoline_kernelINS0_14default_configENS1_38merge_sort_block_merge_config_selectorIdlEEZZNS1_27merge_sort_block_merge_implIS3_PdN6thrust23THRUST_200600_302600_NS10device_ptrIlEEjNS1_19radix_merge_compareILb0ELb0EdNS0_19identity_decomposerEEEEE10hipError_tT0_T1_T2_jT3_P12ihipStream_tbPNSt15iterator_traitsISG_E10value_typeEPNSM_ISH_E10value_typeEPSI_NS1_7vsmem_tEENKUlT_SG_SH_SI_E_clIS7_S7_PlSB_EESF_SV_SG_SH_SI_EUlSV_E_NS1_11comp_targetILNS1_3genE2ELNS1_11target_archE906ELNS1_3gpuE6ELNS1_3repE0EEENS1_48merge_mergepath_partition_config_static_selectorELNS0_4arch9wavefront6targetE1EEEvSH_
; %bb.0:
	.section	.rodata,"a",@progbits
	.p2align	6, 0x0
	.amdhsa_kernel _ZN7rocprim17ROCPRIM_400000_NS6detail17trampoline_kernelINS0_14default_configENS1_38merge_sort_block_merge_config_selectorIdlEEZZNS1_27merge_sort_block_merge_implIS3_PdN6thrust23THRUST_200600_302600_NS10device_ptrIlEEjNS1_19radix_merge_compareILb0ELb0EdNS0_19identity_decomposerEEEEE10hipError_tT0_T1_T2_jT3_P12ihipStream_tbPNSt15iterator_traitsISG_E10value_typeEPNSM_ISH_E10value_typeEPSI_NS1_7vsmem_tEENKUlT_SG_SH_SI_E_clIS7_S7_PlSB_EESF_SV_SG_SH_SI_EUlSV_E_NS1_11comp_targetILNS1_3genE2ELNS1_11target_archE906ELNS1_3gpuE6ELNS1_3repE0EEENS1_48merge_mergepath_partition_config_static_selectorELNS0_4arch9wavefront6targetE1EEEvSH_
		.amdhsa_group_segment_fixed_size 0
		.amdhsa_private_segment_fixed_size 0
		.amdhsa_kernarg_size 40
		.amdhsa_user_sgpr_count 6
		.amdhsa_user_sgpr_private_segment_buffer 1
		.amdhsa_user_sgpr_dispatch_ptr 0
		.amdhsa_user_sgpr_queue_ptr 0
		.amdhsa_user_sgpr_kernarg_segment_ptr 1
		.amdhsa_user_sgpr_dispatch_id 0
		.amdhsa_user_sgpr_flat_scratch_init 0
		.amdhsa_user_sgpr_kernarg_preload_length 0
		.amdhsa_user_sgpr_kernarg_preload_offset 0
		.amdhsa_user_sgpr_private_segment_size 0
		.amdhsa_uses_dynamic_stack 0
		.amdhsa_system_sgpr_private_segment_wavefront_offset 0
		.amdhsa_system_sgpr_workgroup_id_x 1
		.amdhsa_system_sgpr_workgroup_id_y 0
		.amdhsa_system_sgpr_workgroup_id_z 0
		.amdhsa_system_sgpr_workgroup_info 0
		.amdhsa_system_vgpr_workitem_id 0
		.amdhsa_next_free_vgpr 1
		.amdhsa_next_free_sgpr 0
		.amdhsa_accum_offset 4
		.amdhsa_reserve_vcc 0
		.amdhsa_reserve_flat_scratch 0
		.amdhsa_float_round_mode_32 0
		.amdhsa_float_round_mode_16_64 0
		.amdhsa_float_denorm_mode_32 3
		.amdhsa_float_denorm_mode_16_64 3
		.amdhsa_dx10_clamp 1
		.amdhsa_ieee_mode 1
		.amdhsa_fp16_overflow 0
		.amdhsa_tg_split 0
		.amdhsa_exception_fp_ieee_invalid_op 0
		.amdhsa_exception_fp_denorm_src 0
		.amdhsa_exception_fp_ieee_div_zero 0
		.amdhsa_exception_fp_ieee_overflow 0
		.amdhsa_exception_fp_ieee_underflow 0
		.amdhsa_exception_fp_ieee_inexact 0
		.amdhsa_exception_int_div_zero 0
	.end_amdhsa_kernel
	.section	.text._ZN7rocprim17ROCPRIM_400000_NS6detail17trampoline_kernelINS0_14default_configENS1_38merge_sort_block_merge_config_selectorIdlEEZZNS1_27merge_sort_block_merge_implIS3_PdN6thrust23THRUST_200600_302600_NS10device_ptrIlEEjNS1_19radix_merge_compareILb0ELb0EdNS0_19identity_decomposerEEEEE10hipError_tT0_T1_T2_jT3_P12ihipStream_tbPNSt15iterator_traitsISG_E10value_typeEPNSM_ISH_E10value_typeEPSI_NS1_7vsmem_tEENKUlT_SG_SH_SI_E_clIS7_S7_PlSB_EESF_SV_SG_SH_SI_EUlSV_E_NS1_11comp_targetILNS1_3genE2ELNS1_11target_archE906ELNS1_3gpuE6ELNS1_3repE0EEENS1_48merge_mergepath_partition_config_static_selectorELNS0_4arch9wavefront6targetE1EEEvSH_,"axG",@progbits,_ZN7rocprim17ROCPRIM_400000_NS6detail17trampoline_kernelINS0_14default_configENS1_38merge_sort_block_merge_config_selectorIdlEEZZNS1_27merge_sort_block_merge_implIS3_PdN6thrust23THRUST_200600_302600_NS10device_ptrIlEEjNS1_19radix_merge_compareILb0ELb0EdNS0_19identity_decomposerEEEEE10hipError_tT0_T1_T2_jT3_P12ihipStream_tbPNSt15iterator_traitsISG_E10value_typeEPNSM_ISH_E10value_typeEPSI_NS1_7vsmem_tEENKUlT_SG_SH_SI_E_clIS7_S7_PlSB_EESF_SV_SG_SH_SI_EUlSV_E_NS1_11comp_targetILNS1_3genE2ELNS1_11target_archE906ELNS1_3gpuE6ELNS1_3repE0EEENS1_48merge_mergepath_partition_config_static_selectorELNS0_4arch9wavefront6targetE1EEEvSH_,comdat
.Lfunc_end1547:
	.size	_ZN7rocprim17ROCPRIM_400000_NS6detail17trampoline_kernelINS0_14default_configENS1_38merge_sort_block_merge_config_selectorIdlEEZZNS1_27merge_sort_block_merge_implIS3_PdN6thrust23THRUST_200600_302600_NS10device_ptrIlEEjNS1_19radix_merge_compareILb0ELb0EdNS0_19identity_decomposerEEEEE10hipError_tT0_T1_T2_jT3_P12ihipStream_tbPNSt15iterator_traitsISG_E10value_typeEPNSM_ISH_E10value_typeEPSI_NS1_7vsmem_tEENKUlT_SG_SH_SI_E_clIS7_S7_PlSB_EESF_SV_SG_SH_SI_EUlSV_E_NS1_11comp_targetILNS1_3genE2ELNS1_11target_archE906ELNS1_3gpuE6ELNS1_3repE0EEENS1_48merge_mergepath_partition_config_static_selectorELNS0_4arch9wavefront6targetE1EEEvSH_, .Lfunc_end1547-_ZN7rocprim17ROCPRIM_400000_NS6detail17trampoline_kernelINS0_14default_configENS1_38merge_sort_block_merge_config_selectorIdlEEZZNS1_27merge_sort_block_merge_implIS3_PdN6thrust23THRUST_200600_302600_NS10device_ptrIlEEjNS1_19radix_merge_compareILb0ELb0EdNS0_19identity_decomposerEEEEE10hipError_tT0_T1_T2_jT3_P12ihipStream_tbPNSt15iterator_traitsISG_E10value_typeEPNSM_ISH_E10value_typeEPSI_NS1_7vsmem_tEENKUlT_SG_SH_SI_E_clIS7_S7_PlSB_EESF_SV_SG_SH_SI_EUlSV_E_NS1_11comp_targetILNS1_3genE2ELNS1_11target_archE906ELNS1_3gpuE6ELNS1_3repE0EEENS1_48merge_mergepath_partition_config_static_selectorELNS0_4arch9wavefront6targetE1EEEvSH_
                                        ; -- End function
	.section	.AMDGPU.csdata,"",@progbits
; Kernel info:
; codeLenInByte = 0
; NumSgprs: 4
; NumVgprs: 0
; NumAgprs: 0
; TotalNumVgprs: 0
; ScratchSize: 0
; MemoryBound: 0
; FloatMode: 240
; IeeeMode: 1
; LDSByteSize: 0 bytes/workgroup (compile time only)
; SGPRBlocks: 0
; VGPRBlocks: 0
; NumSGPRsForWavesPerEU: 4
; NumVGPRsForWavesPerEU: 1
; AccumOffset: 4
; Occupancy: 8
; WaveLimiterHint : 0
; COMPUTE_PGM_RSRC2:SCRATCH_EN: 0
; COMPUTE_PGM_RSRC2:USER_SGPR: 6
; COMPUTE_PGM_RSRC2:TRAP_HANDLER: 0
; COMPUTE_PGM_RSRC2:TGID_X_EN: 1
; COMPUTE_PGM_RSRC2:TGID_Y_EN: 0
; COMPUTE_PGM_RSRC2:TGID_Z_EN: 0
; COMPUTE_PGM_RSRC2:TIDIG_COMP_CNT: 0
; COMPUTE_PGM_RSRC3_GFX90A:ACCUM_OFFSET: 0
; COMPUTE_PGM_RSRC3_GFX90A:TG_SPLIT: 0
	.section	.text._ZN7rocprim17ROCPRIM_400000_NS6detail17trampoline_kernelINS0_14default_configENS1_38merge_sort_block_merge_config_selectorIdlEEZZNS1_27merge_sort_block_merge_implIS3_PdN6thrust23THRUST_200600_302600_NS10device_ptrIlEEjNS1_19radix_merge_compareILb0ELb0EdNS0_19identity_decomposerEEEEE10hipError_tT0_T1_T2_jT3_P12ihipStream_tbPNSt15iterator_traitsISG_E10value_typeEPNSM_ISH_E10value_typeEPSI_NS1_7vsmem_tEENKUlT_SG_SH_SI_E_clIS7_S7_PlSB_EESF_SV_SG_SH_SI_EUlSV_E_NS1_11comp_targetILNS1_3genE9ELNS1_11target_archE1100ELNS1_3gpuE3ELNS1_3repE0EEENS1_48merge_mergepath_partition_config_static_selectorELNS0_4arch9wavefront6targetE1EEEvSH_,"axG",@progbits,_ZN7rocprim17ROCPRIM_400000_NS6detail17trampoline_kernelINS0_14default_configENS1_38merge_sort_block_merge_config_selectorIdlEEZZNS1_27merge_sort_block_merge_implIS3_PdN6thrust23THRUST_200600_302600_NS10device_ptrIlEEjNS1_19radix_merge_compareILb0ELb0EdNS0_19identity_decomposerEEEEE10hipError_tT0_T1_T2_jT3_P12ihipStream_tbPNSt15iterator_traitsISG_E10value_typeEPNSM_ISH_E10value_typeEPSI_NS1_7vsmem_tEENKUlT_SG_SH_SI_E_clIS7_S7_PlSB_EESF_SV_SG_SH_SI_EUlSV_E_NS1_11comp_targetILNS1_3genE9ELNS1_11target_archE1100ELNS1_3gpuE3ELNS1_3repE0EEENS1_48merge_mergepath_partition_config_static_selectorELNS0_4arch9wavefront6targetE1EEEvSH_,comdat
	.protected	_ZN7rocprim17ROCPRIM_400000_NS6detail17trampoline_kernelINS0_14default_configENS1_38merge_sort_block_merge_config_selectorIdlEEZZNS1_27merge_sort_block_merge_implIS3_PdN6thrust23THRUST_200600_302600_NS10device_ptrIlEEjNS1_19radix_merge_compareILb0ELb0EdNS0_19identity_decomposerEEEEE10hipError_tT0_T1_T2_jT3_P12ihipStream_tbPNSt15iterator_traitsISG_E10value_typeEPNSM_ISH_E10value_typeEPSI_NS1_7vsmem_tEENKUlT_SG_SH_SI_E_clIS7_S7_PlSB_EESF_SV_SG_SH_SI_EUlSV_E_NS1_11comp_targetILNS1_3genE9ELNS1_11target_archE1100ELNS1_3gpuE3ELNS1_3repE0EEENS1_48merge_mergepath_partition_config_static_selectorELNS0_4arch9wavefront6targetE1EEEvSH_ ; -- Begin function _ZN7rocprim17ROCPRIM_400000_NS6detail17trampoline_kernelINS0_14default_configENS1_38merge_sort_block_merge_config_selectorIdlEEZZNS1_27merge_sort_block_merge_implIS3_PdN6thrust23THRUST_200600_302600_NS10device_ptrIlEEjNS1_19radix_merge_compareILb0ELb0EdNS0_19identity_decomposerEEEEE10hipError_tT0_T1_T2_jT3_P12ihipStream_tbPNSt15iterator_traitsISG_E10value_typeEPNSM_ISH_E10value_typeEPSI_NS1_7vsmem_tEENKUlT_SG_SH_SI_E_clIS7_S7_PlSB_EESF_SV_SG_SH_SI_EUlSV_E_NS1_11comp_targetILNS1_3genE9ELNS1_11target_archE1100ELNS1_3gpuE3ELNS1_3repE0EEENS1_48merge_mergepath_partition_config_static_selectorELNS0_4arch9wavefront6targetE1EEEvSH_
	.globl	_ZN7rocprim17ROCPRIM_400000_NS6detail17trampoline_kernelINS0_14default_configENS1_38merge_sort_block_merge_config_selectorIdlEEZZNS1_27merge_sort_block_merge_implIS3_PdN6thrust23THRUST_200600_302600_NS10device_ptrIlEEjNS1_19radix_merge_compareILb0ELb0EdNS0_19identity_decomposerEEEEE10hipError_tT0_T1_T2_jT3_P12ihipStream_tbPNSt15iterator_traitsISG_E10value_typeEPNSM_ISH_E10value_typeEPSI_NS1_7vsmem_tEENKUlT_SG_SH_SI_E_clIS7_S7_PlSB_EESF_SV_SG_SH_SI_EUlSV_E_NS1_11comp_targetILNS1_3genE9ELNS1_11target_archE1100ELNS1_3gpuE3ELNS1_3repE0EEENS1_48merge_mergepath_partition_config_static_selectorELNS0_4arch9wavefront6targetE1EEEvSH_
	.p2align	8
	.type	_ZN7rocprim17ROCPRIM_400000_NS6detail17trampoline_kernelINS0_14default_configENS1_38merge_sort_block_merge_config_selectorIdlEEZZNS1_27merge_sort_block_merge_implIS3_PdN6thrust23THRUST_200600_302600_NS10device_ptrIlEEjNS1_19radix_merge_compareILb0ELb0EdNS0_19identity_decomposerEEEEE10hipError_tT0_T1_T2_jT3_P12ihipStream_tbPNSt15iterator_traitsISG_E10value_typeEPNSM_ISH_E10value_typeEPSI_NS1_7vsmem_tEENKUlT_SG_SH_SI_E_clIS7_S7_PlSB_EESF_SV_SG_SH_SI_EUlSV_E_NS1_11comp_targetILNS1_3genE9ELNS1_11target_archE1100ELNS1_3gpuE3ELNS1_3repE0EEENS1_48merge_mergepath_partition_config_static_selectorELNS0_4arch9wavefront6targetE1EEEvSH_,@function
_ZN7rocprim17ROCPRIM_400000_NS6detail17trampoline_kernelINS0_14default_configENS1_38merge_sort_block_merge_config_selectorIdlEEZZNS1_27merge_sort_block_merge_implIS3_PdN6thrust23THRUST_200600_302600_NS10device_ptrIlEEjNS1_19radix_merge_compareILb0ELb0EdNS0_19identity_decomposerEEEEE10hipError_tT0_T1_T2_jT3_P12ihipStream_tbPNSt15iterator_traitsISG_E10value_typeEPNSM_ISH_E10value_typeEPSI_NS1_7vsmem_tEENKUlT_SG_SH_SI_E_clIS7_S7_PlSB_EESF_SV_SG_SH_SI_EUlSV_E_NS1_11comp_targetILNS1_3genE9ELNS1_11target_archE1100ELNS1_3gpuE3ELNS1_3repE0EEENS1_48merge_mergepath_partition_config_static_selectorELNS0_4arch9wavefront6targetE1EEEvSH_: ; @_ZN7rocprim17ROCPRIM_400000_NS6detail17trampoline_kernelINS0_14default_configENS1_38merge_sort_block_merge_config_selectorIdlEEZZNS1_27merge_sort_block_merge_implIS3_PdN6thrust23THRUST_200600_302600_NS10device_ptrIlEEjNS1_19radix_merge_compareILb0ELb0EdNS0_19identity_decomposerEEEEE10hipError_tT0_T1_T2_jT3_P12ihipStream_tbPNSt15iterator_traitsISG_E10value_typeEPNSM_ISH_E10value_typeEPSI_NS1_7vsmem_tEENKUlT_SG_SH_SI_E_clIS7_S7_PlSB_EESF_SV_SG_SH_SI_EUlSV_E_NS1_11comp_targetILNS1_3genE9ELNS1_11target_archE1100ELNS1_3gpuE3ELNS1_3repE0EEENS1_48merge_mergepath_partition_config_static_selectorELNS0_4arch9wavefront6targetE1EEEvSH_
; %bb.0:
	.section	.rodata,"a",@progbits
	.p2align	6, 0x0
	.amdhsa_kernel _ZN7rocprim17ROCPRIM_400000_NS6detail17trampoline_kernelINS0_14default_configENS1_38merge_sort_block_merge_config_selectorIdlEEZZNS1_27merge_sort_block_merge_implIS3_PdN6thrust23THRUST_200600_302600_NS10device_ptrIlEEjNS1_19radix_merge_compareILb0ELb0EdNS0_19identity_decomposerEEEEE10hipError_tT0_T1_T2_jT3_P12ihipStream_tbPNSt15iterator_traitsISG_E10value_typeEPNSM_ISH_E10value_typeEPSI_NS1_7vsmem_tEENKUlT_SG_SH_SI_E_clIS7_S7_PlSB_EESF_SV_SG_SH_SI_EUlSV_E_NS1_11comp_targetILNS1_3genE9ELNS1_11target_archE1100ELNS1_3gpuE3ELNS1_3repE0EEENS1_48merge_mergepath_partition_config_static_selectorELNS0_4arch9wavefront6targetE1EEEvSH_
		.amdhsa_group_segment_fixed_size 0
		.amdhsa_private_segment_fixed_size 0
		.amdhsa_kernarg_size 40
		.amdhsa_user_sgpr_count 6
		.amdhsa_user_sgpr_private_segment_buffer 1
		.amdhsa_user_sgpr_dispatch_ptr 0
		.amdhsa_user_sgpr_queue_ptr 0
		.amdhsa_user_sgpr_kernarg_segment_ptr 1
		.amdhsa_user_sgpr_dispatch_id 0
		.amdhsa_user_sgpr_flat_scratch_init 0
		.amdhsa_user_sgpr_kernarg_preload_length 0
		.amdhsa_user_sgpr_kernarg_preload_offset 0
		.amdhsa_user_sgpr_private_segment_size 0
		.amdhsa_uses_dynamic_stack 0
		.amdhsa_system_sgpr_private_segment_wavefront_offset 0
		.amdhsa_system_sgpr_workgroup_id_x 1
		.amdhsa_system_sgpr_workgroup_id_y 0
		.amdhsa_system_sgpr_workgroup_id_z 0
		.amdhsa_system_sgpr_workgroup_info 0
		.amdhsa_system_vgpr_workitem_id 0
		.amdhsa_next_free_vgpr 1
		.amdhsa_next_free_sgpr 0
		.amdhsa_accum_offset 4
		.amdhsa_reserve_vcc 0
		.amdhsa_reserve_flat_scratch 0
		.amdhsa_float_round_mode_32 0
		.amdhsa_float_round_mode_16_64 0
		.amdhsa_float_denorm_mode_32 3
		.amdhsa_float_denorm_mode_16_64 3
		.amdhsa_dx10_clamp 1
		.amdhsa_ieee_mode 1
		.amdhsa_fp16_overflow 0
		.amdhsa_tg_split 0
		.amdhsa_exception_fp_ieee_invalid_op 0
		.amdhsa_exception_fp_denorm_src 0
		.amdhsa_exception_fp_ieee_div_zero 0
		.amdhsa_exception_fp_ieee_overflow 0
		.amdhsa_exception_fp_ieee_underflow 0
		.amdhsa_exception_fp_ieee_inexact 0
		.amdhsa_exception_int_div_zero 0
	.end_amdhsa_kernel
	.section	.text._ZN7rocprim17ROCPRIM_400000_NS6detail17trampoline_kernelINS0_14default_configENS1_38merge_sort_block_merge_config_selectorIdlEEZZNS1_27merge_sort_block_merge_implIS3_PdN6thrust23THRUST_200600_302600_NS10device_ptrIlEEjNS1_19radix_merge_compareILb0ELb0EdNS0_19identity_decomposerEEEEE10hipError_tT0_T1_T2_jT3_P12ihipStream_tbPNSt15iterator_traitsISG_E10value_typeEPNSM_ISH_E10value_typeEPSI_NS1_7vsmem_tEENKUlT_SG_SH_SI_E_clIS7_S7_PlSB_EESF_SV_SG_SH_SI_EUlSV_E_NS1_11comp_targetILNS1_3genE9ELNS1_11target_archE1100ELNS1_3gpuE3ELNS1_3repE0EEENS1_48merge_mergepath_partition_config_static_selectorELNS0_4arch9wavefront6targetE1EEEvSH_,"axG",@progbits,_ZN7rocprim17ROCPRIM_400000_NS6detail17trampoline_kernelINS0_14default_configENS1_38merge_sort_block_merge_config_selectorIdlEEZZNS1_27merge_sort_block_merge_implIS3_PdN6thrust23THRUST_200600_302600_NS10device_ptrIlEEjNS1_19radix_merge_compareILb0ELb0EdNS0_19identity_decomposerEEEEE10hipError_tT0_T1_T2_jT3_P12ihipStream_tbPNSt15iterator_traitsISG_E10value_typeEPNSM_ISH_E10value_typeEPSI_NS1_7vsmem_tEENKUlT_SG_SH_SI_E_clIS7_S7_PlSB_EESF_SV_SG_SH_SI_EUlSV_E_NS1_11comp_targetILNS1_3genE9ELNS1_11target_archE1100ELNS1_3gpuE3ELNS1_3repE0EEENS1_48merge_mergepath_partition_config_static_selectorELNS0_4arch9wavefront6targetE1EEEvSH_,comdat
.Lfunc_end1548:
	.size	_ZN7rocprim17ROCPRIM_400000_NS6detail17trampoline_kernelINS0_14default_configENS1_38merge_sort_block_merge_config_selectorIdlEEZZNS1_27merge_sort_block_merge_implIS3_PdN6thrust23THRUST_200600_302600_NS10device_ptrIlEEjNS1_19radix_merge_compareILb0ELb0EdNS0_19identity_decomposerEEEEE10hipError_tT0_T1_T2_jT3_P12ihipStream_tbPNSt15iterator_traitsISG_E10value_typeEPNSM_ISH_E10value_typeEPSI_NS1_7vsmem_tEENKUlT_SG_SH_SI_E_clIS7_S7_PlSB_EESF_SV_SG_SH_SI_EUlSV_E_NS1_11comp_targetILNS1_3genE9ELNS1_11target_archE1100ELNS1_3gpuE3ELNS1_3repE0EEENS1_48merge_mergepath_partition_config_static_selectorELNS0_4arch9wavefront6targetE1EEEvSH_, .Lfunc_end1548-_ZN7rocprim17ROCPRIM_400000_NS6detail17trampoline_kernelINS0_14default_configENS1_38merge_sort_block_merge_config_selectorIdlEEZZNS1_27merge_sort_block_merge_implIS3_PdN6thrust23THRUST_200600_302600_NS10device_ptrIlEEjNS1_19radix_merge_compareILb0ELb0EdNS0_19identity_decomposerEEEEE10hipError_tT0_T1_T2_jT3_P12ihipStream_tbPNSt15iterator_traitsISG_E10value_typeEPNSM_ISH_E10value_typeEPSI_NS1_7vsmem_tEENKUlT_SG_SH_SI_E_clIS7_S7_PlSB_EESF_SV_SG_SH_SI_EUlSV_E_NS1_11comp_targetILNS1_3genE9ELNS1_11target_archE1100ELNS1_3gpuE3ELNS1_3repE0EEENS1_48merge_mergepath_partition_config_static_selectorELNS0_4arch9wavefront6targetE1EEEvSH_
                                        ; -- End function
	.section	.AMDGPU.csdata,"",@progbits
; Kernel info:
; codeLenInByte = 0
; NumSgprs: 4
; NumVgprs: 0
; NumAgprs: 0
; TotalNumVgprs: 0
; ScratchSize: 0
; MemoryBound: 0
; FloatMode: 240
; IeeeMode: 1
; LDSByteSize: 0 bytes/workgroup (compile time only)
; SGPRBlocks: 0
; VGPRBlocks: 0
; NumSGPRsForWavesPerEU: 4
; NumVGPRsForWavesPerEU: 1
; AccumOffset: 4
; Occupancy: 8
; WaveLimiterHint : 0
; COMPUTE_PGM_RSRC2:SCRATCH_EN: 0
; COMPUTE_PGM_RSRC2:USER_SGPR: 6
; COMPUTE_PGM_RSRC2:TRAP_HANDLER: 0
; COMPUTE_PGM_RSRC2:TGID_X_EN: 1
; COMPUTE_PGM_RSRC2:TGID_Y_EN: 0
; COMPUTE_PGM_RSRC2:TGID_Z_EN: 0
; COMPUTE_PGM_RSRC2:TIDIG_COMP_CNT: 0
; COMPUTE_PGM_RSRC3_GFX90A:ACCUM_OFFSET: 0
; COMPUTE_PGM_RSRC3_GFX90A:TG_SPLIT: 0
	.section	.text._ZN7rocprim17ROCPRIM_400000_NS6detail17trampoline_kernelINS0_14default_configENS1_38merge_sort_block_merge_config_selectorIdlEEZZNS1_27merge_sort_block_merge_implIS3_PdN6thrust23THRUST_200600_302600_NS10device_ptrIlEEjNS1_19radix_merge_compareILb0ELb0EdNS0_19identity_decomposerEEEEE10hipError_tT0_T1_T2_jT3_P12ihipStream_tbPNSt15iterator_traitsISG_E10value_typeEPNSM_ISH_E10value_typeEPSI_NS1_7vsmem_tEENKUlT_SG_SH_SI_E_clIS7_S7_PlSB_EESF_SV_SG_SH_SI_EUlSV_E_NS1_11comp_targetILNS1_3genE8ELNS1_11target_archE1030ELNS1_3gpuE2ELNS1_3repE0EEENS1_48merge_mergepath_partition_config_static_selectorELNS0_4arch9wavefront6targetE1EEEvSH_,"axG",@progbits,_ZN7rocprim17ROCPRIM_400000_NS6detail17trampoline_kernelINS0_14default_configENS1_38merge_sort_block_merge_config_selectorIdlEEZZNS1_27merge_sort_block_merge_implIS3_PdN6thrust23THRUST_200600_302600_NS10device_ptrIlEEjNS1_19radix_merge_compareILb0ELb0EdNS0_19identity_decomposerEEEEE10hipError_tT0_T1_T2_jT3_P12ihipStream_tbPNSt15iterator_traitsISG_E10value_typeEPNSM_ISH_E10value_typeEPSI_NS1_7vsmem_tEENKUlT_SG_SH_SI_E_clIS7_S7_PlSB_EESF_SV_SG_SH_SI_EUlSV_E_NS1_11comp_targetILNS1_3genE8ELNS1_11target_archE1030ELNS1_3gpuE2ELNS1_3repE0EEENS1_48merge_mergepath_partition_config_static_selectorELNS0_4arch9wavefront6targetE1EEEvSH_,comdat
	.protected	_ZN7rocprim17ROCPRIM_400000_NS6detail17trampoline_kernelINS0_14default_configENS1_38merge_sort_block_merge_config_selectorIdlEEZZNS1_27merge_sort_block_merge_implIS3_PdN6thrust23THRUST_200600_302600_NS10device_ptrIlEEjNS1_19radix_merge_compareILb0ELb0EdNS0_19identity_decomposerEEEEE10hipError_tT0_T1_T2_jT3_P12ihipStream_tbPNSt15iterator_traitsISG_E10value_typeEPNSM_ISH_E10value_typeEPSI_NS1_7vsmem_tEENKUlT_SG_SH_SI_E_clIS7_S7_PlSB_EESF_SV_SG_SH_SI_EUlSV_E_NS1_11comp_targetILNS1_3genE8ELNS1_11target_archE1030ELNS1_3gpuE2ELNS1_3repE0EEENS1_48merge_mergepath_partition_config_static_selectorELNS0_4arch9wavefront6targetE1EEEvSH_ ; -- Begin function _ZN7rocprim17ROCPRIM_400000_NS6detail17trampoline_kernelINS0_14default_configENS1_38merge_sort_block_merge_config_selectorIdlEEZZNS1_27merge_sort_block_merge_implIS3_PdN6thrust23THRUST_200600_302600_NS10device_ptrIlEEjNS1_19radix_merge_compareILb0ELb0EdNS0_19identity_decomposerEEEEE10hipError_tT0_T1_T2_jT3_P12ihipStream_tbPNSt15iterator_traitsISG_E10value_typeEPNSM_ISH_E10value_typeEPSI_NS1_7vsmem_tEENKUlT_SG_SH_SI_E_clIS7_S7_PlSB_EESF_SV_SG_SH_SI_EUlSV_E_NS1_11comp_targetILNS1_3genE8ELNS1_11target_archE1030ELNS1_3gpuE2ELNS1_3repE0EEENS1_48merge_mergepath_partition_config_static_selectorELNS0_4arch9wavefront6targetE1EEEvSH_
	.globl	_ZN7rocprim17ROCPRIM_400000_NS6detail17trampoline_kernelINS0_14default_configENS1_38merge_sort_block_merge_config_selectorIdlEEZZNS1_27merge_sort_block_merge_implIS3_PdN6thrust23THRUST_200600_302600_NS10device_ptrIlEEjNS1_19radix_merge_compareILb0ELb0EdNS0_19identity_decomposerEEEEE10hipError_tT0_T1_T2_jT3_P12ihipStream_tbPNSt15iterator_traitsISG_E10value_typeEPNSM_ISH_E10value_typeEPSI_NS1_7vsmem_tEENKUlT_SG_SH_SI_E_clIS7_S7_PlSB_EESF_SV_SG_SH_SI_EUlSV_E_NS1_11comp_targetILNS1_3genE8ELNS1_11target_archE1030ELNS1_3gpuE2ELNS1_3repE0EEENS1_48merge_mergepath_partition_config_static_selectorELNS0_4arch9wavefront6targetE1EEEvSH_
	.p2align	8
	.type	_ZN7rocprim17ROCPRIM_400000_NS6detail17trampoline_kernelINS0_14default_configENS1_38merge_sort_block_merge_config_selectorIdlEEZZNS1_27merge_sort_block_merge_implIS3_PdN6thrust23THRUST_200600_302600_NS10device_ptrIlEEjNS1_19radix_merge_compareILb0ELb0EdNS0_19identity_decomposerEEEEE10hipError_tT0_T1_T2_jT3_P12ihipStream_tbPNSt15iterator_traitsISG_E10value_typeEPNSM_ISH_E10value_typeEPSI_NS1_7vsmem_tEENKUlT_SG_SH_SI_E_clIS7_S7_PlSB_EESF_SV_SG_SH_SI_EUlSV_E_NS1_11comp_targetILNS1_3genE8ELNS1_11target_archE1030ELNS1_3gpuE2ELNS1_3repE0EEENS1_48merge_mergepath_partition_config_static_selectorELNS0_4arch9wavefront6targetE1EEEvSH_,@function
_ZN7rocprim17ROCPRIM_400000_NS6detail17trampoline_kernelINS0_14default_configENS1_38merge_sort_block_merge_config_selectorIdlEEZZNS1_27merge_sort_block_merge_implIS3_PdN6thrust23THRUST_200600_302600_NS10device_ptrIlEEjNS1_19radix_merge_compareILb0ELb0EdNS0_19identity_decomposerEEEEE10hipError_tT0_T1_T2_jT3_P12ihipStream_tbPNSt15iterator_traitsISG_E10value_typeEPNSM_ISH_E10value_typeEPSI_NS1_7vsmem_tEENKUlT_SG_SH_SI_E_clIS7_S7_PlSB_EESF_SV_SG_SH_SI_EUlSV_E_NS1_11comp_targetILNS1_3genE8ELNS1_11target_archE1030ELNS1_3gpuE2ELNS1_3repE0EEENS1_48merge_mergepath_partition_config_static_selectorELNS0_4arch9wavefront6targetE1EEEvSH_: ; @_ZN7rocprim17ROCPRIM_400000_NS6detail17trampoline_kernelINS0_14default_configENS1_38merge_sort_block_merge_config_selectorIdlEEZZNS1_27merge_sort_block_merge_implIS3_PdN6thrust23THRUST_200600_302600_NS10device_ptrIlEEjNS1_19radix_merge_compareILb0ELb0EdNS0_19identity_decomposerEEEEE10hipError_tT0_T1_T2_jT3_P12ihipStream_tbPNSt15iterator_traitsISG_E10value_typeEPNSM_ISH_E10value_typeEPSI_NS1_7vsmem_tEENKUlT_SG_SH_SI_E_clIS7_S7_PlSB_EESF_SV_SG_SH_SI_EUlSV_E_NS1_11comp_targetILNS1_3genE8ELNS1_11target_archE1030ELNS1_3gpuE2ELNS1_3repE0EEENS1_48merge_mergepath_partition_config_static_selectorELNS0_4arch9wavefront6targetE1EEEvSH_
; %bb.0:
	.section	.rodata,"a",@progbits
	.p2align	6, 0x0
	.amdhsa_kernel _ZN7rocprim17ROCPRIM_400000_NS6detail17trampoline_kernelINS0_14default_configENS1_38merge_sort_block_merge_config_selectorIdlEEZZNS1_27merge_sort_block_merge_implIS3_PdN6thrust23THRUST_200600_302600_NS10device_ptrIlEEjNS1_19radix_merge_compareILb0ELb0EdNS0_19identity_decomposerEEEEE10hipError_tT0_T1_T2_jT3_P12ihipStream_tbPNSt15iterator_traitsISG_E10value_typeEPNSM_ISH_E10value_typeEPSI_NS1_7vsmem_tEENKUlT_SG_SH_SI_E_clIS7_S7_PlSB_EESF_SV_SG_SH_SI_EUlSV_E_NS1_11comp_targetILNS1_3genE8ELNS1_11target_archE1030ELNS1_3gpuE2ELNS1_3repE0EEENS1_48merge_mergepath_partition_config_static_selectorELNS0_4arch9wavefront6targetE1EEEvSH_
		.amdhsa_group_segment_fixed_size 0
		.amdhsa_private_segment_fixed_size 0
		.amdhsa_kernarg_size 40
		.amdhsa_user_sgpr_count 6
		.amdhsa_user_sgpr_private_segment_buffer 1
		.amdhsa_user_sgpr_dispatch_ptr 0
		.amdhsa_user_sgpr_queue_ptr 0
		.amdhsa_user_sgpr_kernarg_segment_ptr 1
		.amdhsa_user_sgpr_dispatch_id 0
		.amdhsa_user_sgpr_flat_scratch_init 0
		.amdhsa_user_sgpr_kernarg_preload_length 0
		.amdhsa_user_sgpr_kernarg_preload_offset 0
		.amdhsa_user_sgpr_private_segment_size 0
		.amdhsa_uses_dynamic_stack 0
		.amdhsa_system_sgpr_private_segment_wavefront_offset 0
		.amdhsa_system_sgpr_workgroup_id_x 1
		.amdhsa_system_sgpr_workgroup_id_y 0
		.amdhsa_system_sgpr_workgroup_id_z 0
		.amdhsa_system_sgpr_workgroup_info 0
		.amdhsa_system_vgpr_workitem_id 0
		.amdhsa_next_free_vgpr 1
		.amdhsa_next_free_sgpr 0
		.amdhsa_accum_offset 4
		.amdhsa_reserve_vcc 0
		.amdhsa_reserve_flat_scratch 0
		.amdhsa_float_round_mode_32 0
		.amdhsa_float_round_mode_16_64 0
		.amdhsa_float_denorm_mode_32 3
		.amdhsa_float_denorm_mode_16_64 3
		.amdhsa_dx10_clamp 1
		.amdhsa_ieee_mode 1
		.amdhsa_fp16_overflow 0
		.amdhsa_tg_split 0
		.amdhsa_exception_fp_ieee_invalid_op 0
		.amdhsa_exception_fp_denorm_src 0
		.amdhsa_exception_fp_ieee_div_zero 0
		.amdhsa_exception_fp_ieee_overflow 0
		.amdhsa_exception_fp_ieee_underflow 0
		.amdhsa_exception_fp_ieee_inexact 0
		.amdhsa_exception_int_div_zero 0
	.end_amdhsa_kernel
	.section	.text._ZN7rocprim17ROCPRIM_400000_NS6detail17trampoline_kernelINS0_14default_configENS1_38merge_sort_block_merge_config_selectorIdlEEZZNS1_27merge_sort_block_merge_implIS3_PdN6thrust23THRUST_200600_302600_NS10device_ptrIlEEjNS1_19radix_merge_compareILb0ELb0EdNS0_19identity_decomposerEEEEE10hipError_tT0_T1_T2_jT3_P12ihipStream_tbPNSt15iterator_traitsISG_E10value_typeEPNSM_ISH_E10value_typeEPSI_NS1_7vsmem_tEENKUlT_SG_SH_SI_E_clIS7_S7_PlSB_EESF_SV_SG_SH_SI_EUlSV_E_NS1_11comp_targetILNS1_3genE8ELNS1_11target_archE1030ELNS1_3gpuE2ELNS1_3repE0EEENS1_48merge_mergepath_partition_config_static_selectorELNS0_4arch9wavefront6targetE1EEEvSH_,"axG",@progbits,_ZN7rocprim17ROCPRIM_400000_NS6detail17trampoline_kernelINS0_14default_configENS1_38merge_sort_block_merge_config_selectorIdlEEZZNS1_27merge_sort_block_merge_implIS3_PdN6thrust23THRUST_200600_302600_NS10device_ptrIlEEjNS1_19radix_merge_compareILb0ELb0EdNS0_19identity_decomposerEEEEE10hipError_tT0_T1_T2_jT3_P12ihipStream_tbPNSt15iterator_traitsISG_E10value_typeEPNSM_ISH_E10value_typeEPSI_NS1_7vsmem_tEENKUlT_SG_SH_SI_E_clIS7_S7_PlSB_EESF_SV_SG_SH_SI_EUlSV_E_NS1_11comp_targetILNS1_3genE8ELNS1_11target_archE1030ELNS1_3gpuE2ELNS1_3repE0EEENS1_48merge_mergepath_partition_config_static_selectorELNS0_4arch9wavefront6targetE1EEEvSH_,comdat
.Lfunc_end1549:
	.size	_ZN7rocprim17ROCPRIM_400000_NS6detail17trampoline_kernelINS0_14default_configENS1_38merge_sort_block_merge_config_selectorIdlEEZZNS1_27merge_sort_block_merge_implIS3_PdN6thrust23THRUST_200600_302600_NS10device_ptrIlEEjNS1_19radix_merge_compareILb0ELb0EdNS0_19identity_decomposerEEEEE10hipError_tT0_T1_T2_jT3_P12ihipStream_tbPNSt15iterator_traitsISG_E10value_typeEPNSM_ISH_E10value_typeEPSI_NS1_7vsmem_tEENKUlT_SG_SH_SI_E_clIS7_S7_PlSB_EESF_SV_SG_SH_SI_EUlSV_E_NS1_11comp_targetILNS1_3genE8ELNS1_11target_archE1030ELNS1_3gpuE2ELNS1_3repE0EEENS1_48merge_mergepath_partition_config_static_selectorELNS0_4arch9wavefront6targetE1EEEvSH_, .Lfunc_end1549-_ZN7rocprim17ROCPRIM_400000_NS6detail17trampoline_kernelINS0_14default_configENS1_38merge_sort_block_merge_config_selectorIdlEEZZNS1_27merge_sort_block_merge_implIS3_PdN6thrust23THRUST_200600_302600_NS10device_ptrIlEEjNS1_19radix_merge_compareILb0ELb0EdNS0_19identity_decomposerEEEEE10hipError_tT0_T1_T2_jT3_P12ihipStream_tbPNSt15iterator_traitsISG_E10value_typeEPNSM_ISH_E10value_typeEPSI_NS1_7vsmem_tEENKUlT_SG_SH_SI_E_clIS7_S7_PlSB_EESF_SV_SG_SH_SI_EUlSV_E_NS1_11comp_targetILNS1_3genE8ELNS1_11target_archE1030ELNS1_3gpuE2ELNS1_3repE0EEENS1_48merge_mergepath_partition_config_static_selectorELNS0_4arch9wavefront6targetE1EEEvSH_
                                        ; -- End function
	.section	.AMDGPU.csdata,"",@progbits
; Kernel info:
; codeLenInByte = 0
; NumSgprs: 4
; NumVgprs: 0
; NumAgprs: 0
; TotalNumVgprs: 0
; ScratchSize: 0
; MemoryBound: 0
; FloatMode: 240
; IeeeMode: 1
; LDSByteSize: 0 bytes/workgroup (compile time only)
; SGPRBlocks: 0
; VGPRBlocks: 0
; NumSGPRsForWavesPerEU: 4
; NumVGPRsForWavesPerEU: 1
; AccumOffset: 4
; Occupancy: 8
; WaveLimiterHint : 0
; COMPUTE_PGM_RSRC2:SCRATCH_EN: 0
; COMPUTE_PGM_RSRC2:USER_SGPR: 6
; COMPUTE_PGM_RSRC2:TRAP_HANDLER: 0
; COMPUTE_PGM_RSRC2:TGID_X_EN: 1
; COMPUTE_PGM_RSRC2:TGID_Y_EN: 0
; COMPUTE_PGM_RSRC2:TGID_Z_EN: 0
; COMPUTE_PGM_RSRC2:TIDIG_COMP_CNT: 0
; COMPUTE_PGM_RSRC3_GFX90A:ACCUM_OFFSET: 0
; COMPUTE_PGM_RSRC3_GFX90A:TG_SPLIT: 0
	.section	.text._ZN7rocprim17ROCPRIM_400000_NS6detail17trampoline_kernelINS0_14default_configENS1_38merge_sort_block_merge_config_selectorIdlEEZZNS1_27merge_sort_block_merge_implIS3_PdN6thrust23THRUST_200600_302600_NS10device_ptrIlEEjNS1_19radix_merge_compareILb0ELb0EdNS0_19identity_decomposerEEEEE10hipError_tT0_T1_T2_jT3_P12ihipStream_tbPNSt15iterator_traitsISG_E10value_typeEPNSM_ISH_E10value_typeEPSI_NS1_7vsmem_tEENKUlT_SG_SH_SI_E_clIS7_S7_PlSB_EESF_SV_SG_SH_SI_EUlSV_E0_NS1_11comp_targetILNS1_3genE0ELNS1_11target_archE4294967295ELNS1_3gpuE0ELNS1_3repE0EEENS1_38merge_mergepath_config_static_selectorELNS0_4arch9wavefront6targetE1EEEvSH_,"axG",@progbits,_ZN7rocprim17ROCPRIM_400000_NS6detail17trampoline_kernelINS0_14default_configENS1_38merge_sort_block_merge_config_selectorIdlEEZZNS1_27merge_sort_block_merge_implIS3_PdN6thrust23THRUST_200600_302600_NS10device_ptrIlEEjNS1_19radix_merge_compareILb0ELb0EdNS0_19identity_decomposerEEEEE10hipError_tT0_T1_T2_jT3_P12ihipStream_tbPNSt15iterator_traitsISG_E10value_typeEPNSM_ISH_E10value_typeEPSI_NS1_7vsmem_tEENKUlT_SG_SH_SI_E_clIS7_S7_PlSB_EESF_SV_SG_SH_SI_EUlSV_E0_NS1_11comp_targetILNS1_3genE0ELNS1_11target_archE4294967295ELNS1_3gpuE0ELNS1_3repE0EEENS1_38merge_mergepath_config_static_selectorELNS0_4arch9wavefront6targetE1EEEvSH_,comdat
	.protected	_ZN7rocprim17ROCPRIM_400000_NS6detail17trampoline_kernelINS0_14default_configENS1_38merge_sort_block_merge_config_selectorIdlEEZZNS1_27merge_sort_block_merge_implIS3_PdN6thrust23THRUST_200600_302600_NS10device_ptrIlEEjNS1_19radix_merge_compareILb0ELb0EdNS0_19identity_decomposerEEEEE10hipError_tT0_T1_T2_jT3_P12ihipStream_tbPNSt15iterator_traitsISG_E10value_typeEPNSM_ISH_E10value_typeEPSI_NS1_7vsmem_tEENKUlT_SG_SH_SI_E_clIS7_S7_PlSB_EESF_SV_SG_SH_SI_EUlSV_E0_NS1_11comp_targetILNS1_3genE0ELNS1_11target_archE4294967295ELNS1_3gpuE0ELNS1_3repE0EEENS1_38merge_mergepath_config_static_selectorELNS0_4arch9wavefront6targetE1EEEvSH_ ; -- Begin function _ZN7rocprim17ROCPRIM_400000_NS6detail17trampoline_kernelINS0_14default_configENS1_38merge_sort_block_merge_config_selectorIdlEEZZNS1_27merge_sort_block_merge_implIS3_PdN6thrust23THRUST_200600_302600_NS10device_ptrIlEEjNS1_19radix_merge_compareILb0ELb0EdNS0_19identity_decomposerEEEEE10hipError_tT0_T1_T2_jT3_P12ihipStream_tbPNSt15iterator_traitsISG_E10value_typeEPNSM_ISH_E10value_typeEPSI_NS1_7vsmem_tEENKUlT_SG_SH_SI_E_clIS7_S7_PlSB_EESF_SV_SG_SH_SI_EUlSV_E0_NS1_11comp_targetILNS1_3genE0ELNS1_11target_archE4294967295ELNS1_3gpuE0ELNS1_3repE0EEENS1_38merge_mergepath_config_static_selectorELNS0_4arch9wavefront6targetE1EEEvSH_
	.globl	_ZN7rocprim17ROCPRIM_400000_NS6detail17trampoline_kernelINS0_14default_configENS1_38merge_sort_block_merge_config_selectorIdlEEZZNS1_27merge_sort_block_merge_implIS3_PdN6thrust23THRUST_200600_302600_NS10device_ptrIlEEjNS1_19radix_merge_compareILb0ELb0EdNS0_19identity_decomposerEEEEE10hipError_tT0_T1_T2_jT3_P12ihipStream_tbPNSt15iterator_traitsISG_E10value_typeEPNSM_ISH_E10value_typeEPSI_NS1_7vsmem_tEENKUlT_SG_SH_SI_E_clIS7_S7_PlSB_EESF_SV_SG_SH_SI_EUlSV_E0_NS1_11comp_targetILNS1_3genE0ELNS1_11target_archE4294967295ELNS1_3gpuE0ELNS1_3repE0EEENS1_38merge_mergepath_config_static_selectorELNS0_4arch9wavefront6targetE1EEEvSH_
	.p2align	8
	.type	_ZN7rocprim17ROCPRIM_400000_NS6detail17trampoline_kernelINS0_14default_configENS1_38merge_sort_block_merge_config_selectorIdlEEZZNS1_27merge_sort_block_merge_implIS3_PdN6thrust23THRUST_200600_302600_NS10device_ptrIlEEjNS1_19radix_merge_compareILb0ELb0EdNS0_19identity_decomposerEEEEE10hipError_tT0_T1_T2_jT3_P12ihipStream_tbPNSt15iterator_traitsISG_E10value_typeEPNSM_ISH_E10value_typeEPSI_NS1_7vsmem_tEENKUlT_SG_SH_SI_E_clIS7_S7_PlSB_EESF_SV_SG_SH_SI_EUlSV_E0_NS1_11comp_targetILNS1_3genE0ELNS1_11target_archE4294967295ELNS1_3gpuE0ELNS1_3repE0EEENS1_38merge_mergepath_config_static_selectorELNS0_4arch9wavefront6targetE1EEEvSH_,@function
_ZN7rocprim17ROCPRIM_400000_NS6detail17trampoline_kernelINS0_14default_configENS1_38merge_sort_block_merge_config_selectorIdlEEZZNS1_27merge_sort_block_merge_implIS3_PdN6thrust23THRUST_200600_302600_NS10device_ptrIlEEjNS1_19radix_merge_compareILb0ELb0EdNS0_19identity_decomposerEEEEE10hipError_tT0_T1_T2_jT3_P12ihipStream_tbPNSt15iterator_traitsISG_E10value_typeEPNSM_ISH_E10value_typeEPSI_NS1_7vsmem_tEENKUlT_SG_SH_SI_E_clIS7_S7_PlSB_EESF_SV_SG_SH_SI_EUlSV_E0_NS1_11comp_targetILNS1_3genE0ELNS1_11target_archE4294967295ELNS1_3gpuE0ELNS1_3repE0EEENS1_38merge_mergepath_config_static_selectorELNS0_4arch9wavefront6targetE1EEEvSH_: ; @_ZN7rocprim17ROCPRIM_400000_NS6detail17trampoline_kernelINS0_14default_configENS1_38merge_sort_block_merge_config_selectorIdlEEZZNS1_27merge_sort_block_merge_implIS3_PdN6thrust23THRUST_200600_302600_NS10device_ptrIlEEjNS1_19radix_merge_compareILb0ELb0EdNS0_19identity_decomposerEEEEE10hipError_tT0_T1_T2_jT3_P12ihipStream_tbPNSt15iterator_traitsISG_E10value_typeEPNSM_ISH_E10value_typeEPSI_NS1_7vsmem_tEENKUlT_SG_SH_SI_E_clIS7_S7_PlSB_EESF_SV_SG_SH_SI_EUlSV_E0_NS1_11comp_targetILNS1_3genE0ELNS1_11target_archE4294967295ELNS1_3gpuE0ELNS1_3repE0EEENS1_38merge_mergepath_config_static_selectorELNS0_4arch9wavefront6targetE1EEEvSH_
; %bb.0:
	.section	.rodata,"a",@progbits
	.p2align	6, 0x0
	.amdhsa_kernel _ZN7rocprim17ROCPRIM_400000_NS6detail17trampoline_kernelINS0_14default_configENS1_38merge_sort_block_merge_config_selectorIdlEEZZNS1_27merge_sort_block_merge_implIS3_PdN6thrust23THRUST_200600_302600_NS10device_ptrIlEEjNS1_19radix_merge_compareILb0ELb0EdNS0_19identity_decomposerEEEEE10hipError_tT0_T1_T2_jT3_P12ihipStream_tbPNSt15iterator_traitsISG_E10value_typeEPNSM_ISH_E10value_typeEPSI_NS1_7vsmem_tEENKUlT_SG_SH_SI_E_clIS7_S7_PlSB_EESF_SV_SG_SH_SI_EUlSV_E0_NS1_11comp_targetILNS1_3genE0ELNS1_11target_archE4294967295ELNS1_3gpuE0ELNS1_3repE0EEENS1_38merge_mergepath_config_static_selectorELNS0_4arch9wavefront6targetE1EEEvSH_
		.amdhsa_group_segment_fixed_size 0
		.amdhsa_private_segment_fixed_size 0
		.amdhsa_kernarg_size 64
		.amdhsa_user_sgpr_count 6
		.amdhsa_user_sgpr_private_segment_buffer 1
		.amdhsa_user_sgpr_dispatch_ptr 0
		.amdhsa_user_sgpr_queue_ptr 0
		.amdhsa_user_sgpr_kernarg_segment_ptr 1
		.amdhsa_user_sgpr_dispatch_id 0
		.amdhsa_user_sgpr_flat_scratch_init 0
		.amdhsa_user_sgpr_kernarg_preload_length 0
		.amdhsa_user_sgpr_kernarg_preload_offset 0
		.amdhsa_user_sgpr_private_segment_size 0
		.amdhsa_uses_dynamic_stack 0
		.amdhsa_system_sgpr_private_segment_wavefront_offset 0
		.amdhsa_system_sgpr_workgroup_id_x 1
		.amdhsa_system_sgpr_workgroup_id_y 0
		.amdhsa_system_sgpr_workgroup_id_z 0
		.amdhsa_system_sgpr_workgroup_info 0
		.amdhsa_system_vgpr_workitem_id 0
		.amdhsa_next_free_vgpr 1
		.amdhsa_next_free_sgpr 0
		.amdhsa_accum_offset 4
		.amdhsa_reserve_vcc 0
		.amdhsa_reserve_flat_scratch 0
		.amdhsa_float_round_mode_32 0
		.amdhsa_float_round_mode_16_64 0
		.amdhsa_float_denorm_mode_32 3
		.amdhsa_float_denorm_mode_16_64 3
		.amdhsa_dx10_clamp 1
		.amdhsa_ieee_mode 1
		.amdhsa_fp16_overflow 0
		.amdhsa_tg_split 0
		.amdhsa_exception_fp_ieee_invalid_op 0
		.amdhsa_exception_fp_denorm_src 0
		.amdhsa_exception_fp_ieee_div_zero 0
		.amdhsa_exception_fp_ieee_overflow 0
		.amdhsa_exception_fp_ieee_underflow 0
		.amdhsa_exception_fp_ieee_inexact 0
		.amdhsa_exception_int_div_zero 0
	.end_amdhsa_kernel
	.section	.text._ZN7rocprim17ROCPRIM_400000_NS6detail17trampoline_kernelINS0_14default_configENS1_38merge_sort_block_merge_config_selectorIdlEEZZNS1_27merge_sort_block_merge_implIS3_PdN6thrust23THRUST_200600_302600_NS10device_ptrIlEEjNS1_19radix_merge_compareILb0ELb0EdNS0_19identity_decomposerEEEEE10hipError_tT0_T1_T2_jT3_P12ihipStream_tbPNSt15iterator_traitsISG_E10value_typeEPNSM_ISH_E10value_typeEPSI_NS1_7vsmem_tEENKUlT_SG_SH_SI_E_clIS7_S7_PlSB_EESF_SV_SG_SH_SI_EUlSV_E0_NS1_11comp_targetILNS1_3genE0ELNS1_11target_archE4294967295ELNS1_3gpuE0ELNS1_3repE0EEENS1_38merge_mergepath_config_static_selectorELNS0_4arch9wavefront6targetE1EEEvSH_,"axG",@progbits,_ZN7rocprim17ROCPRIM_400000_NS6detail17trampoline_kernelINS0_14default_configENS1_38merge_sort_block_merge_config_selectorIdlEEZZNS1_27merge_sort_block_merge_implIS3_PdN6thrust23THRUST_200600_302600_NS10device_ptrIlEEjNS1_19radix_merge_compareILb0ELb0EdNS0_19identity_decomposerEEEEE10hipError_tT0_T1_T2_jT3_P12ihipStream_tbPNSt15iterator_traitsISG_E10value_typeEPNSM_ISH_E10value_typeEPSI_NS1_7vsmem_tEENKUlT_SG_SH_SI_E_clIS7_S7_PlSB_EESF_SV_SG_SH_SI_EUlSV_E0_NS1_11comp_targetILNS1_3genE0ELNS1_11target_archE4294967295ELNS1_3gpuE0ELNS1_3repE0EEENS1_38merge_mergepath_config_static_selectorELNS0_4arch9wavefront6targetE1EEEvSH_,comdat
.Lfunc_end1550:
	.size	_ZN7rocprim17ROCPRIM_400000_NS6detail17trampoline_kernelINS0_14default_configENS1_38merge_sort_block_merge_config_selectorIdlEEZZNS1_27merge_sort_block_merge_implIS3_PdN6thrust23THRUST_200600_302600_NS10device_ptrIlEEjNS1_19radix_merge_compareILb0ELb0EdNS0_19identity_decomposerEEEEE10hipError_tT0_T1_T2_jT3_P12ihipStream_tbPNSt15iterator_traitsISG_E10value_typeEPNSM_ISH_E10value_typeEPSI_NS1_7vsmem_tEENKUlT_SG_SH_SI_E_clIS7_S7_PlSB_EESF_SV_SG_SH_SI_EUlSV_E0_NS1_11comp_targetILNS1_3genE0ELNS1_11target_archE4294967295ELNS1_3gpuE0ELNS1_3repE0EEENS1_38merge_mergepath_config_static_selectorELNS0_4arch9wavefront6targetE1EEEvSH_, .Lfunc_end1550-_ZN7rocprim17ROCPRIM_400000_NS6detail17trampoline_kernelINS0_14default_configENS1_38merge_sort_block_merge_config_selectorIdlEEZZNS1_27merge_sort_block_merge_implIS3_PdN6thrust23THRUST_200600_302600_NS10device_ptrIlEEjNS1_19radix_merge_compareILb0ELb0EdNS0_19identity_decomposerEEEEE10hipError_tT0_T1_T2_jT3_P12ihipStream_tbPNSt15iterator_traitsISG_E10value_typeEPNSM_ISH_E10value_typeEPSI_NS1_7vsmem_tEENKUlT_SG_SH_SI_E_clIS7_S7_PlSB_EESF_SV_SG_SH_SI_EUlSV_E0_NS1_11comp_targetILNS1_3genE0ELNS1_11target_archE4294967295ELNS1_3gpuE0ELNS1_3repE0EEENS1_38merge_mergepath_config_static_selectorELNS0_4arch9wavefront6targetE1EEEvSH_
                                        ; -- End function
	.section	.AMDGPU.csdata,"",@progbits
; Kernel info:
; codeLenInByte = 0
; NumSgprs: 4
; NumVgprs: 0
; NumAgprs: 0
; TotalNumVgprs: 0
; ScratchSize: 0
; MemoryBound: 0
; FloatMode: 240
; IeeeMode: 1
; LDSByteSize: 0 bytes/workgroup (compile time only)
; SGPRBlocks: 0
; VGPRBlocks: 0
; NumSGPRsForWavesPerEU: 4
; NumVGPRsForWavesPerEU: 1
; AccumOffset: 4
; Occupancy: 8
; WaveLimiterHint : 0
; COMPUTE_PGM_RSRC2:SCRATCH_EN: 0
; COMPUTE_PGM_RSRC2:USER_SGPR: 6
; COMPUTE_PGM_RSRC2:TRAP_HANDLER: 0
; COMPUTE_PGM_RSRC2:TGID_X_EN: 1
; COMPUTE_PGM_RSRC2:TGID_Y_EN: 0
; COMPUTE_PGM_RSRC2:TGID_Z_EN: 0
; COMPUTE_PGM_RSRC2:TIDIG_COMP_CNT: 0
; COMPUTE_PGM_RSRC3_GFX90A:ACCUM_OFFSET: 0
; COMPUTE_PGM_RSRC3_GFX90A:TG_SPLIT: 0
	.section	.text._ZN7rocprim17ROCPRIM_400000_NS6detail17trampoline_kernelINS0_14default_configENS1_38merge_sort_block_merge_config_selectorIdlEEZZNS1_27merge_sort_block_merge_implIS3_PdN6thrust23THRUST_200600_302600_NS10device_ptrIlEEjNS1_19radix_merge_compareILb0ELb0EdNS0_19identity_decomposerEEEEE10hipError_tT0_T1_T2_jT3_P12ihipStream_tbPNSt15iterator_traitsISG_E10value_typeEPNSM_ISH_E10value_typeEPSI_NS1_7vsmem_tEENKUlT_SG_SH_SI_E_clIS7_S7_PlSB_EESF_SV_SG_SH_SI_EUlSV_E0_NS1_11comp_targetILNS1_3genE10ELNS1_11target_archE1201ELNS1_3gpuE5ELNS1_3repE0EEENS1_38merge_mergepath_config_static_selectorELNS0_4arch9wavefront6targetE1EEEvSH_,"axG",@progbits,_ZN7rocprim17ROCPRIM_400000_NS6detail17trampoline_kernelINS0_14default_configENS1_38merge_sort_block_merge_config_selectorIdlEEZZNS1_27merge_sort_block_merge_implIS3_PdN6thrust23THRUST_200600_302600_NS10device_ptrIlEEjNS1_19radix_merge_compareILb0ELb0EdNS0_19identity_decomposerEEEEE10hipError_tT0_T1_T2_jT3_P12ihipStream_tbPNSt15iterator_traitsISG_E10value_typeEPNSM_ISH_E10value_typeEPSI_NS1_7vsmem_tEENKUlT_SG_SH_SI_E_clIS7_S7_PlSB_EESF_SV_SG_SH_SI_EUlSV_E0_NS1_11comp_targetILNS1_3genE10ELNS1_11target_archE1201ELNS1_3gpuE5ELNS1_3repE0EEENS1_38merge_mergepath_config_static_selectorELNS0_4arch9wavefront6targetE1EEEvSH_,comdat
	.protected	_ZN7rocprim17ROCPRIM_400000_NS6detail17trampoline_kernelINS0_14default_configENS1_38merge_sort_block_merge_config_selectorIdlEEZZNS1_27merge_sort_block_merge_implIS3_PdN6thrust23THRUST_200600_302600_NS10device_ptrIlEEjNS1_19radix_merge_compareILb0ELb0EdNS0_19identity_decomposerEEEEE10hipError_tT0_T1_T2_jT3_P12ihipStream_tbPNSt15iterator_traitsISG_E10value_typeEPNSM_ISH_E10value_typeEPSI_NS1_7vsmem_tEENKUlT_SG_SH_SI_E_clIS7_S7_PlSB_EESF_SV_SG_SH_SI_EUlSV_E0_NS1_11comp_targetILNS1_3genE10ELNS1_11target_archE1201ELNS1_3gpuE5ELNS1_3repE0EEENS1_38merge_mergepath_config_static_selectorELNS0_4arch9wavefront6targetE1EEEvSH_ ; -- Begin function _ZN7rocprim17ROCPRIM_400000_NS6detail17trampoline_kernelINS0_14default_configENS1_38merge_sort_block_merge_config_selectorIdlEEZZNS1_27merge_sort_block_merge_implIS3_PdN6thrust23THRUST_200600_302600_NS10device_ptrIlEEjNS1_19radix_merge_compareILb0ELb0EdNS0_19identity_decomposerEEEEE10hipError_tT0_T1_T2_jT3_P12ihipStream_tbPNSt15iterator_traitsISG_E10value_typeEPNSM_ISH_E10value_typeEPSI_NS1_7vsmem_tEENKUlT_SG_SH_SI_E_clIS7_S7_PlSB_EESF_SV_SG_SH_SI_EUlSV_E0_NS1_11comp_targetILNS1_3genE10ELNS1_11target_archE1201ELNS1_3gpuE5ELNS1_3repE0EEENS1_38merge_mergepath_config_static_selectorELNS0_4arch9wavefront6targetE1EEEvSH_
	.globl	_ZN7rocprim17ROCPRIM_400000_NS6detail17trampoline_kernelINS0_14default_configENS1_38merge_sort_block_merge_config_selectorIdlEEZZNS1_27merge_sort_block_merge_implIS3_PdN6thrust23THRUST_200600_302600_NS10device_ptrIlEEjNS1_19radix_merge_compareILb0ELb0EdNS0_19identity_decomposerEEEEE10hipError_tT0_T1_T2_jT3_P12ihipStream_tbPNSt15iterator_traitsISG_E10value_typeEPNSM_ISH_E10value_typeEPSI_NS1_7vsmem_tEENKUlT_SG_SH_SI_E_clIS7_S7_PlSB_EESF_SV_SG_SH_SI_EUlSV_E0_NS1_11comp_targetILNS1_3genE10ELNS1_11target_archE1201ELNS1_3gpuE5ELNS1_3repE0EEENS1_38merge_mergepath_config_static_selectorELNS0_4arch9wavefront6targetE1EEEvSH_
	.p2align	8
	.type	_ZN7rocprim17ROCPRIM_400000_NS6detail17trampoline_kernelINS0_14default_configENS1_38merge_sort_block_merge_config_selectorIdlEEZZNS1_27merge_sort_block_merge_implIS3_PdN6thrust23THRUST_200600_302600_NS10device_ptrIlEEjNS1_19radix_merge_compareILb0ELb0EdNS0_19identity_decomposerEEEEE10hipError_tT0_T1_T2_jT3_P12ihipStream_tbPNSt15iterator_traitsISG_E10value_typeEPNSM_ISH_E10value_typeEPSI_NS1_7vsmem_tEENKUlT_SG_SH_SI_E_clIS7_S7_PlSB_EESF_SV_SG_SH_SI_EUlSV_E0_NS1_11comp_targetILNS1_3genE10ELNS1_11target_archE1201ELNS1_3gpuE5ELNS1_3repE0EEENS1_38merge_mergepath_config_static_selectorELNS0_4arch9wavefront6targetE1EEEvSH_,@function
_ZN7rocprim17ROCPRIM_400000_NS6detail17trampoline_kernelINS0_14default_configENS1_38merge_sort_block_merge_config_selectorIdlEEZZNS1_27merge_sort_block_merge_implIS3_PdN6thrust23THRUST_200600_302600_NS10device_ptrIlEEjNS1_19radix_merge_compareILb0ELb0EdNS0_19identity_decomposerEEEEE10hipError_tT0_T1_T2_jT3_P12ihipStream_tbPNSt15iterator_traitsISG_E10value_typeEPNSM_ISH_E10value_typeEPSI_NS1_7vsmem_tEENKUlT_SG_SH_SI_E_clIS7_S7_PlSB_EESF_SV_SG_SH_SI_EUlSV_E0_NS1_11comp_targetILNS1_3genE10ELNS1_11target_archE1201ELNS1_3gpuE5ELNS1_3repE0EEENS1_38merge_mergepath_config_static_selectorELNS0_4arch9wavefront6targetE1EEEvSH_: ; @_ZN7rocprim17ROCPRIM_400000_NS6detail17trampoline_kernelINS0_14default_configENS1_38merge_sort_block_merge_config_selectorIdlEEZZNS1_27merge_sort_block_merge_implIS3_PdN6thrust23THRUST_200600_302600_NS10device_ptrIlEEjNS1_19radix_merge_compareILb0ELb0EdNS0_19identity_decomposerEEEEE10hipError_tT0_T1_T2_jT3_P12ihipStream_tbPNSt15iterator_traitsISG_E10value_typeEPNSM_ISH_E10value_typeEPSI_NS1_7vsmem_tEENKUlT_SG_SH_SI_E_clIS7_S7_PlSB_EESF_SV_SG_SH_SI_EUlSV_E0_NS1_11comp_targetILNS1_3genE10ELNS1_11target_archE1201ELNS1_3gpuE5ELNS1_3repE0EEENS1_38merge_mergepath_config_static_selectorELNS0_4arch9wavefront6targetE1EEEvSH_
; %bb.0:
	.section	.rodata,"a",@progbits
	.p2align	6, 0x0
	.amdhsa_kernel _ZN7rocprim17ROCPRIM_400000_NS6detail17trampoline_kernelINS0_14default_configENS1_38merge_sort_block_merge_config_selectorIdlEEZZNS1_27merge_sort_block_merge_implIS3_PdN6thrust23THRUST_200600_302600_NS10device_ptrIlEEjNS1_19radix_merge_compareILb0ELb0EdNS0_19identity_decomposerEEEEE10hipError_tT0_T1_T2_jT3_P12ihipStream_tbPNSt15iterator_traitsISG_E10value_typeEPNSM_ISH_E10value_typeEPSI_NS1_7vsmem_tEENKUlT_SG_SH_SI_E_clIS7_S7_PlSB_EESF_SV_SG_SH_SI_EUlSV_E0_NS1_11comp_targetILNS1_3genE10ELNS1_11target_archE1201ELNS1_3gpuE5ELNS1_3repE0EEENS1_38merge_mergepath_config_static_selectorELNS0_4arch9wavefront6targetE1EEEvSH_
		.amdhsa_group_segment_fixed_size 0
		.amdhsa_private_segment_fixed_size 0
		.amdhsa_kernarg_size 64
		.amdhsa_user_sgpr_count 6
		.amdhsa_user_sgpr_private_segment_buffer 1
		.amdhsa_user_sgpr_dispatch_ptr 0
		.amdhsa_user_sgpr_queue_ptr 0
		.amdhsa_user_sgpr_kernarg_segment_ptr 1
		.amdhsa_user_sgpr_dispatch_id 0
		.amdhsa_user_sgpr_flat_scratch_init 0
		.amdhsa_user_sgpr_kernarg_preload_length 0
		.amdhsa_user_sgpr_kernarg_preload_offset 0
		.amdhsa_user_sgpr_private_segment_size 0
		.amdhsa_uses_dynamic_stack 0
		.amdhsa_system_sgpr_private_segment_wavefront_offset 0
		.amdhsa_system_sgpr_workgroup_id_x 1
		.amdhsa_system_sgpr_workgroup_id_y 0
		.amdhsa_system_sgpr_workgroup_id_z 0
		.amdhsa_system_sgpr_workgroup_info 0
		.amdhsa_system_vgpr_workitem_id 0
		.amdhsa_next_free_vgpr 1
		.amdhsa_next_free_sgpr 0
		.amdhsa_accum_offset 4
		.amdhsa_reserve_vcc 0
		.amdhsa_reserve_flat_scratch 0
		.amdhsa_float_round_mode_32 0
		.amdhsa_float_round_mode_16_64 0
		.amdhsa_float_denorm_mode_32 3
		.amdhsa_float_denorm_mode_16_64 3
		.amdhsa_dx10_clamp 1
		.amdhsa_ieee_mode 1
		.amdhsa_fp16_overflow 0
		.amdhsa_tg_split 0
		.amdhsa_exception_fp_ieee_invalid_op 0
		.amdhsa_exception_fp_denorm_src 0
		.amdhsa_exception_fp_ieee_div_zero 0
		.amdhsa_exception_fp_ieee_overflow 0
		.amdhsa_exception_fp_ieee_underflow 0
		.amdhsa_exception_fp_ieee_inexact 0
		.amdhsa_exception_int_div_zero 0
	.end_amdhsa_kernel
	.section	.text._ZN7rocprim17ROCPRIM_400000_NS6detail17trampoline_kernelINS0_14default_configENS1_38merge_sort_block_merge_config_selectorIdlEEZZNS1_27merge_sort_block_merge_implIS3_PdN6thrust23THRUST_200600_302600_NS10device_ptrIlEEjNS1_19radix_merge_compareILb0ELb0EdNS0_19identity_decomposerEEEEE10hipError_tT0_T1_T2_jT3_P12ihipStream_tbPNSt15iterator_traitsISG_E10value_typeEPNSM_ISH_E10value_typeEPSI_NS1_7vsmem_tEENKUlT_SG_SH_SI_E_clIS7_S7_PlSB_EESF_SV_SG_SH_SI_EUlSV_E0_NS1_11comp_targetILNS1_3genE10ELNS1_11target_archE1201ELNS1_3gpuE5ELNS1_3repE0EEENS1_38merge_mergepath_config_static_selectorELNS0_4arch9wavefront6targetE1EEEvSH_,"axG",@progbits,_ZN7rocprim17ROCPRIM_400000_NS6detail17trampoline_kernelINS0_14default_configENS1_38merge_sort_block_merge_config_selectorIdlEEZZNS1_27merge_sort_block_merge_implIS3_PdN6thrust23THRUST_200600_302600_NS10device_ptrIlEEjNS1_19radix_merge_compareILb0ELb0EdNS0_19identity_decomposerEEEEE10hipError_tT0_T1_T2_jT3_P12ihipStream_tbPNSt15iterator_traitsISG_E10value_typeEPNSM_ISH_E10value_typeEPSI_NS1_7vsmem_tEENKUlT_SG_SH_SI_E_clIS7_S7_PlSB_EESF_SV_SG_SH_SI_EUlSV_E0_NS1_11comp_targetILNS1_3genE10ELNS1_11target_archE1201ELNS1_3gpuE5ELNS1_3repE0EEENS1_38merge_mergepath_config_static_selectorELNS0_4arch9wavefront6targetE1EEEvSH_,comdat
.Lfunc_end1551:
	.size	_ZN7rocprim17ROCPRIM_400000_NS6detail17trampoline_kernelINS0_14default_configENS1_38merge_sort_block_merge_config_selectorIdlEEZZNS1_27merge_sort_block_merge_implIS3_PdN6thrust23THRUST_200600_302600_NS10device_ptrIlEEjNS1_19radix_merge_compareILb0ELb0EdNS0_19identity_decomposerEEEEE10hipError_tT0_T1_T2_jT3_P12ihipStream_tbPNSt15iterator_traitsISG_E10value_typeEPNSM_ISH_E10value_typeEPSI_NS1_7vsmem_tEENKUlT_SG_SH_SI_E_clIS7_S7_PlSB_EESF_SV_SG_SH_SI_EUlSV_E0_NS1_11comp_targetILNS1_3genE10ELNS1_11target_archE1201ELNS1_3gpuE5ELNS1_3repE0EEENS1_38merge_mergepath_config_static_selectorELNS0_4arch9wavefront6targetE1EEEvSH_, .Lfunc_end1551-_ZN7rocprim17ROCPRIM_400000_NS6detail17trampoline_kernelINS0_14default_configENS1_38merge_sort_block_merge_config_selectorIdlEEZZNS1_27merge_sort_block_merge_implIS3_PdN6thrust23THRUST_200600_302600_NS10device_ptrIlEEjNS1_19radix_merge_compareILb0ELb0EdNS0_19identity_decomposerEEEEE10hipError_tT0_T1_T2_jT3_P12ihipStream_tbPNSt15iterator_traitsISG_E10value_typeEPNSM_ISH_E10value_typeEPSI_NS1_7vsmem_tEENKUlT_SG_SH_SI_E_clIS7_S7_PlSB_EESF_SV_SG_SH_SI_EUlSV_E0_NS1_11comp_targetILNS1_3genE10ELNS1_11target_archE1201ELNS1_3gpuE5ELNS1_3repE0EEENS1_38merge_mergepath_config_static_selectorELNS0_4arch9wavefront6targetE1EEEvSH_
                                        ; -- End function
	.section	.AMDGPU.csdata,"",@progbits
; Kernel info:
; codeLenInByte = 0
; NumSgprs: 4
; NumVgprs: 0
; NumAgprs: 0
; TotalNumVgprs: 0
; ScratchSize: 0
; MemoryBound: 0
; FloatMode: 240
; IeeeMode: 1
; LDSByteSize: 0 bytes/workgroup (compile time only)
; SGPRBlocks: 0
; VGPRBlocks: 0
; NumSGPRsForWavesPerEU: 4
; NumVGPRsForWavesPerEU: 1
; AccumOffset: 4
; Occupancy: 8
; WaveLimiterHint : 0
; COMPUTE_PGM_RSRC2:SCRATCH_EN: 0
; COMPUTE_PGM_RSRC2:USER_SGPR: 6
; COMPUTE_PGM_RSRC2:TRAP_HANDLER: 0
; COMPUTE_PGM_RSRC2:TGID_X_EN: 1
; COMPUTE_PGM_RSRC2:TGID_Y_EN: 0
; COMPUTE_PGM_RSRC2:TGID_Z_EN: 0
; COMPUTE_PGM_RSRC2:TIDIG_COMP_CNT: 0
; COMPUTE_PGM_RSRC3_GFX90A:ACCUM_OFFSET: 0
; COMPUTE_PGM_RSRC3_GFX90A:TG_SPLIT: 0
	.section	.text._ZN7rocprim17ROCPRIM_400000_NS6detail17trampoline_kernelINS0_14default_configENS1_38merge_sort_block_merge_config_selectorIdlEEZZNS1_27merge_sort_block_merge_implIS3_PdN6thrust23THRUST_200600_302600_NS10device_ptrIlEEjNS1_19radix_merge_compareILb0ELb0EdNS0_19identity_decomposerEEEEE10hipError_tT0_T1_T2_jT3_P12ihipStream_tbPNSt15iterator_traitsISG_E10value_typeEPNSM_ISH_E10value_typeEPSI_NS1_7vsmem_tEENKUlT_SG_SH_SI_E_clIS7_S7_PlSB_EESF_SV_SG_SH_SI_EUlSV_E0_NS1_11comp_targetILNS1_3genE5ELNS1_11target_archE942ELNS1_3gpuE9ELNS1_3repE0EEENS1_38merge_mergepath_config_static_selectorELNS0_4arch9wavefront6targetE1EEEvSH_,"axG",@progbits,_ZN7rocprim17ROCPRIM_400000_NS6detail17trampoline_kernelINS0_14default_configENS1_38merge_sort_block_merge_config_selectorIdlEEZZNS1_27merge_sort_block_merge_implIS3_PdN6thrust23THRUST_200600_302600_NS10device_ptrIlEEjNS1_19radix_merge_compareILb0ELb0EdNS0_19identity_decomposerEEEEE10hipError_tT0_T1_T2_jT3_P12ihipStream_tbPNSt15iterator_traitsISG_E10value_typeEPNSM_ISH_E10value_typeEPSI_NS1_7vsmem_tEENKUlT_SG_SH_SI_E_clIS7_S7_PlSB_EESF_SV_SG_SH_SI_EUlSV_E0_NS1_11comp_targetILNS1_3genE5ELNS1_11target_archE942ELNS1_3gpuE9ELNS1_3repE0EEENS1_38merge_mergepath_config_static_selectorELNS0_4arch9wavefront6targetE1EEEvSH_,comdat
	.protected	_ZN7rocprim17ROCPRIM_400000_NS6detail17trampoline_kernelINS0_14default_configENS1_38merge_sort_block_merge_config_selectorIdlEEZZNS1_27merge_sort_block_merge_implIS3_PdN6thrust23THRUST_200600_302600_NS10device_ptrIlEEjNS1_19radix_merge_compareILb0ELb0EdNS0_19identity_decomposerEEEEE10hipError_tT0_T1_T2_jT3_P12ihipStream_tbPNSt15iterator_traitsISG_E10value_typeEPNSM_ISH_E10value_typeEPSI_NS1_7vsmem_tEENKUlT_SG_SH_SI_E_clIS7_S7_PlSB_EESF_SV_SG_SH_SI_EUlSV_E0_NS1_11comp_targetILNS1_3genE5ELNS1_11target_archE942ELNS1_3gpuE9ELNS1_3repE0EEENS1_38merge_mergepath_config_static_selectorELNS0_4arch9wavefront6targetE1EEEvSH_ ; -- Begin function _ZN7rocprim17ROCPRIM_400000_NS6detail17trampoline_kernelINS0_14default_configENS1_38merge_sort_block_merge_config_selectorIdlEEZZNS1_27merge_sort_block_merge_implIS3_PdN6thrust23THRUST_200600_302600_NS10device_ptrIlEEjNS1_19radix_merge_compareILb0ELb0EdNS0_19identity_decomposerEEEEE10hipError_tT0_T1_T2_jT3_P12ihipStream_tbPNSt15iterator_traitsISG_E10value_typeEPNSM_ISH_E10value_typeEPSI_NS1_7vsmem_tEENKUlT_SG_SH_SI_E_clIS7_S7_PlSB_EESF_SV_SG_SH_SI_EUlSV_E0_NS1_11comp_targetILNS1_3genE5ELNS1_11target_archE942ELNS1_3gpuE9ELNS1_3repE0EEENS1_38merge_mergepath_config_static_selectorELNS0_4arch9wavefront6targetE1EEEvSH_
	.globl	_ZN7rocprim17ROCPRIM_400000_NS6detail17trampoline_kernelINS0_14default_configENS1_38merge_sort_block_merge_config_selectorIdlEEZZNS1_27merge_sort_block_merge_implIS3_PdN6thrust23THRUST_200600_302600_NS10device_ptrIlEEjNS1_19radix_merge_compareILb0ELb0EdNS0_19identity_decomposerEEEEE10hipError_tT0_T1_T2_jT3_P12ihipStream_tbPNSt15iterator_traitsISG_E10value_typeEPNSM_ISH_E10value_typeEPSI_NS1_7vsmem_tEENKUlT_SG_SH_SI_E_clIS7_S7_PlSB_EESF_SV_SG_SH_SI_EUlSV_E0_NS1_11comp_targetILNS1_3genE5ELNS1_11target_archE942ELNS1_3gpuE9ELNS1_3repE0EEENS1_38merge_mergepath_config_static_selectorELNS0_4arch9wavefront6targetE1EEEvSH_
	.p2align	8
	.type	_ZN7rocprim17ROCPRIM_400000_NS6detail17trampoline_kernelINS0_14default_configENS1_38merge_sort_block_merge_config_selectorIdlEEZZNS1_27merge_sort_block_merge_implIS3_PdN6thrust23THRUST_200600_302600_NS10device_ptrIlEEjNS1_19radix_merge_compareILb0ELb0EdNS0_19identity_decomposerEEEEE10hipError_tT0_T1_T2_jT3_P12ihipStream_tbPNSt15iterator_traitsISG_E10value_typeEPNSM_ISH_E10value_typeEPSI_NS1_7vsmem_tEENKUlT_SG_SH_SI_E_clIS7_S7_PlSB_EESF_SV_SG_SH_SI_EUlSV_E0_NS1_11comp_targetILNS1_3genE5ELNS1_11target_archE942ELNS1_3gpuE9ELNS1_3repE0EEENS1_38merge_mergepath_config_static_selectorELNS0_4arch9wavefront6targetE1EEEvSH_,@function
_ZN7rocprim17ROCPRIM_400000_NS6detail17trampoline_kernelINS0_14default_configENS1_38merge_sort_block_merge_config_selectorIdlEEZZNS1_27merge_sort_block_merge_implIS3_PdN6thrust23THRUST_200600_302600_NS10device_ptrIlEEjNS1_19radix_merge_compareILb0ELb0EdNS0_19identity_decomposerEEEEE10hipError_tT0_T1_T2_jT3_P12ihipStream_tbPNSt15iterator_traitsISG_E10value_typeEPNSM_ISH_E10value_typeEPSI_NS1_7vsmem_tEENKUlT_SG_SH_SI_E_clIS7_S7_PlSB_EESF_SV_SG_SH_SI_EUlSV_E0_NS1_11comp_targetILNS1_3genE5ELNS1_11target_archE942ELNS1_3gpuE9ELNS1_3repE0EEENS1_38merge_mergepath_config_static_selectorELNS0_4arch9wavefront6targetE1EEEvSH_: ; @_ZN7rocprim17ROCPRIM_400000_NS6detail17trampoline_kernelINS0_14default_configENS1_38merge_sort_block_merge_config_selectorIdlEEZZNS1_27merge_sort_block_merge_implIS3_PdN6thrust23THRUST_200600_302600_NS10device_ptrIlEEjNS1_19radix_merge_compareILb0ELb0EdNS0_19identity_decomposerEEEEE10hipError_tT0_T1_T2_jT3_P12ihipStream_tbPNSt15iterator_traitsISG_E10value_typeEPNSM_ISH_E10value_typeEPSI_NS1_7vsmem_tEENKUlT_SG_SH_SI_E_clIS7_S7_PlSB_EESF_SV_SG_SH_SI_EUlSV_E0_NS1_11comp_targetILNS1_3genE5ELNS1_11target_archE942ELNS1_3gpuE9ELNS1_3repE0EEENS1_38merge_mergepath_config_static_selectorELNS0_4arch9wavefront6targetE1EEEvSH_
; %bb.0:
	.section	.rodata,"a",@progbits
	.p2align	6, 0x0
	.amdhsa_kernel _ZN7rocprim17ROCPRIM_400000_NS6detail17trampoline_kernelINS0_14default_configENS1_38merge_sort_block_merge_config_selectorIdlEEZZNS1_27merge_sort_block_merge_implIS3_PdN6thrust23THRUST_200600_302600_NS10device_ptrIlEEjNS1_19radix_merge_compareILb0ELb0EdNS0_19identity_decomposerEEEEE10hipError_tT0_T1_T2_jT3_P12ihipStream_tbPNSt15iterator_traitsISG_E10value_typeEPNSM_ISH_E10value_typeEPSI_NS1_7vsmem_tEENKUlT_SG_SH_SI_E_clIS7_S7_PlSB_EESF_SV_SG_SH_SI_EUlSV_E0_NS1_11comp_targetILNS1_3genE5ELNS1_11target_archE942ELNS1_3gpuE9ELNS1_3repE0EEENS1_38merge_mergepath_config_static_selectorELNS0_4arch9wavefront6targetE1EEEvSH_
		.amdhsa_group_segment_fixed_size 0
		.amdhsa_private_segment_fixed_size 0
		.amdhsa_kernarg_size 64
		.amdhsa_user_sgpr_count 6
		.amdhsa_user_sgpr_private_segment_buffer 1
		.amdhsa_user_sgpr_dispatch_ptr 0
		.amdhsa_user_sgpr_queue_ptr 0
		.amdhsa_user_sgpr_kernarg_segment_ptr 1
		.amdhsa_user_sgpr_dispatch_id 0
		.amdhsa_user_sgpr_flat_scratch_init 0
		.amdhsa_user_sgpr_kernarg_preload_length 0
		.amdhsa_user_sgpr_kernarg_preload_offset 0
		.amdhsa_user_sgpr_private_segment_size 0
		.amdhsa_uses_dynamic_stack 0
		.amdhsa_system_sgpr_private_segment_wavefront_offset 0
		.amdhsa_system_sgpr_workgroup_id_x 1
		.amdhsa_system_sgpr_workgroup_id_y 0
		.amdhsa_system_sgpr_workgroup_id_z 0
		.amdhsa_system_sgpr_workgroup_info 0
		.amdhsa_system_vgpr_workitem_id 0
		.amdhsa_next_free_vgpr 1
		.amdhsa_next_free_sgpr 0
		.amdhsa_accum_offset 4
		.amdhsa_reserve_vcc 0
		.amdhsa_reserve_flat_scratch 0
		.amdhsa_float_round_mode_32 0
		.amdhsa_float_round_mode_16_64 0
		.amdhsa_float_denorm_mode_32 3
		.amdhsa_float_denorm_mode_16_64 3
		.amdhsa_dx10_clamp 1
		.amdhsa_ieee_mode 1
		.amdhsa_fp16_overflow 0
		.amdhsa_tg_split 0
		.amdhsa_exception_fp_ieee_invalid_op 0
		.amdhsa_exception_fp_denorm_src 0
		.amdhsa_exception_fp_ieee_div_zero 0
		.amdhsa_exception_fp_ieee_overflow 0
		.amdhsa_exception_fp_ieee_underflow 0
		.amdhsa_exception_fp_ieee_inexact 0
		.amdhsa_exception_int_div_zero 0
	.end_amdhsa_kernel
	.section	.text._ZN7rocprim17ROCPRIM_400000_NS6detail17trampoline_kernelINS0_14default_configENS1_38merge_sort_block_merge_config_selectorIdlEEZZNS1_27merge_sort_block_merge_implIS3_PdN6thrust23THRUST_200600_302600_NS10device_ptrIlEEjNS1_19radix_merge_compareILb0ELb0EdNS0_19identity_decomposerEEEEE10hipError_tT0_T1_T2_jT3_P12ihipStream_tbPNSt15iterator_traitsISG_E10value_typeEPNSM_ISH_E10value_typeEPSI_NS1_7vsmem_tEENKUlT_SG_SH_SI_E_clIS7_S7_PlSB_EESF_SV_SG_SH_SI_EUlSV_E0_NS1_11comp_targetILNS1_3genE5ELNS1_11target_archE942ELNS1_3gpuE9ELNS1_3repE0EEENS1_38merge_mergepath_config_static_selectorELNS0_4arch9wavefront6targetE1EEEvSH_,"axG",@progbits,_ZN7rocprim17ROCPRIM_400000_NS6detail17trampoline_kernelINS0_14default_configENS1_38merge_sort_block_merge_config_selectorIdlEEZZNS1_27merge_sort_block_merge_implIS3_PdN6thrust23THRUST_200600_302600_NS10device_ptrIlEEjNS1_19radix_merge_compareILb0ELb0EdNS0_19identity_decomposerEEEEE10hipError_tT0_T1_T2_jT3_P12ihipStream_tbPNSt15iterator_traitsISG_E10value_typeEPNSM_ISH_E10value_typeEPSI_NS1_7vsmem_tEENKUlT_SG_SH_SI_E_clIS7_S7_PlSB_EESF_SV_SG_SH_SI_EUlSV_E0_NS1_11comp_targetILNS1_3genE5ELNS1_11target_archE942ELNS1_3gpuE9ELNS1_3repE0EEENS1_38merge_mergepath_config_static_selectorELNS0_4arch9wavefront6targetE1EEEvSH_,comdat
.Lfunc_end1552:
	.size	_ZN7rocprim17ROCPRIM_400000_NS6detail17trampoline_kernelINS0_14default_configENS1_38merge_sort_block_merge_config_selectorIdlEEZZNS1_27merge_sort_block_merge_implIS3_PdN6thrust23THRUST_200600_302600_NS10device_ptrIlEEjNS1_19radix_merge_compareILb0ELb0EdNS0_19identity_decomposerEEEEE10hipError_tT0_T1_T2_jT3_P12ihipStream_tbPNSt15iterator_traitsISG_E10value_typeEPNSM_ISH_E10value_typeEPSI_NS1_7vsmem_tEENKUlT_SG_SH_SI_E_clIS7_S7_PlSB_EESF_SV_SG_SH_SI_EUlSV_E0_NS1_11comp_targetILNS1_3genE5ELNS1_11target_archE942ELNS1_3gpuE9ELNS1_3repE0EEENS1_38merge_mergepath_config_static_selectorELNS0_4arch9wavefront6targetE1EEEvSH_, .Lfunc_end1552-_ZN7rocprim17ROCPRIM_400000_NS6detail17trampoline_kernelINS0_14default_configENS1_38merge_sort_block_merge_config_selectorIdlEEZZNS1_27merge_sort_block_merge_implIS3_PdN6thrust23THRUST_200600_302600_NS10device_ptrIlEEjNS1_19radix_merge_compareILb0ELb0EdNS0_19identity_decomposerEEEEE10hipError_tT0_T1_T2_jT3_P12ihipStream_tbPNSt15iterator_traitsISG_E10value_typeEPNSM_ISH_E10value_typeEPSI_NS1_7vsmem_tEENKUlT_SG_SH_SI_E_clIS7_S7_PlSB_EESF_SV_SG_SH_SI_EUlSV_E0_NS1_11comp_targetILNS1_3genE5ELNS1_11target_archE942ELNS1_3gpuE9ELNS1_3repE0EEENS1_38merge_mergepath_config_static_selectorELNS0_4arch9wavefront6targetE1EEEvSH_
                                        ; -- End function
	.section	.AMDGPU.csdata,"",@progbits
; Kernel info:
; codeLenInByte = 0
; NumSgprs: 4
; NumVgprs: 0
; NumAgprs: 0
; TotalNumVgprs: 0
; ScratchSize: 0
; MemoryBound: 0
; FloatMode: 240
; IeeeMode: 1
; LDSByteSize: 0 bytes/workgroup (compile time only)
; SGPRBlocks: 0
; VGPRBlocks: 0
; NumSGPRsForWavesPerEU: 4
; NumVGPRsForWavesPerEU: 1
; AccumOffset: 4
; Occupancy: 8
; WaveLimiterHint : 0
; COMPUTE_PGM_RSRC2:SCRATCH_EN: 0
; COMPUTE_PGM_RSRC2:USER_SGPR: 6
; COMPUTE_PGM_RSRC2:TRAP_HANDLER: 0
; COMPUTE_PGM_RSRC2:TGID_X_EN: 1
; COMPUTE_PGM_RSRC2:TGID_Y_EN: 0
; COMPUTE_PGM_RSRC2:TGID_Z_EN: 0
; COMPUTE_PGM_RSRC2:TIDIG_COMP_CNT: 0
; COMPUTE_PGM_RSRC3_GFX90A:ACCUM_OFFSET: 0
; COMPUTE_PGM_RSRC3_GFX90A:TG_SPLIT: 0
	.section	.text._ZN7rocprim17ROCPRIM_400000_NS6detail17trampoline_kernelINS0_14default_configENS1_38merge_sort_block_merge_config_selectorIdlEEZZNS1_27merge_sort_block_merge_implIS3_PdN6thrust23THRUST_200600_302600_NS10device_ptrIlEEjNS1_19radix_merge_compareILb0ELb0EdNS0_19identity_decomposerEEEEE10hipError_tT0_T1_T2_jT3_P12ihipStream_tbPNSt15iterator_traitsISG_E10value_typeEPNSM_ISH_E10value_typeEPSI_NS1_7vsmem_tEENKUlT_SG_SH_SI_E_clIS7_S7_PlSB_EESF_SV_SG_SH_SI_EUlSV_E0_NS1_11comp_targetILNS1_3genE4ELNS1_11target_archE910ELNS1_3gpuE8ELNS1_3repE0EEENS1_38merge_mergepath_config_static_selectorELNS0_4arch9wavefront6targetE1EEEvSH_,"axG",@progbits,_ZN7rocprim17ROCPRIM_400000_NS6detail17trampoline_kernelINS0_14default_configENS1_38merge_sort_block_merge_config_selectorIdlEEZZNS1_27merge_sort_block_merge_implIS3_PdN6thrust23THRUST_200600_302600_NS10device_ptrIlEEjNS1_19radix_merge_compareILb0ELb0EdNS0_19identity_decomposerEEEEE10hipError_tT0_T1_T2_jT3_P12ihipStream_tbPNSt15iterator_traitsISG_E10value_typeEPNSM_ISH_E10value_typeEPSI_NS1_7vsmem_tEENKUlT_SG_SH_SI_E_clIS7_S7_PlSB_EESF_SV_SG_SH_SI_EUlSV_E0_NS1_11comp_targetILNS1_3genE4ELNS1_11target_archE910ELNS1_3gpuE8ELNS1_3repE0EEENS1_38merge_mergepath_config_static_selectorELNS0_4arch9wavefront6targetE1EEEvSH_,comdat
	.protected	_ZN7rocprim17ROCPRIM_400000_NS6detail17trampoline_kernelINS0_14default_configENS1_38merge_sort_block_merge_config_selectorIdlEEZZNS1_27merge_sort_block_merge_implIS3_PdN6thrust23THRUST_200600_302600_NS10device_ptrIlEEjNS1_19radix_merge_compareILb0ELb0EdNS0_19identity_decomposerEEEEE10hipError_tT0_T1_T2_jT3_P12ihipStream_tbPNSt15iterator_traitsISG_E10value_typeEPNSM_ISH_E10value_typeEPSI_NS1_7vsmem_tEENKUlT_SG_SH_SI_E_clIS7_S7_PlSB_EESF_SV_SG_SH_SI_EUlSV_E0_NS1_11comp_targetILNS1_3genE4ELNS1_11target_archE910ELNS1_3gpuE8ELNS1_3repE0EEENS1_38merge_mergepath_config_static_selectorELNS0_4arch9wavefront6targetE1EEEvSH_ ; -- Begin function _ZN7rocprim17ROCPRIM_400000_NS6detail17trampoline_kernelINS0_14default_configENS1_38merge_sort_block_merge_config_selectorIdlEEZZNS1_27merge_sort_block_merge_implIS3_PdN6thrust23THRUST_200600_302600_NS10device_ptrIlEEjNS1_19radix_merge_compareILb0ELb0EdNS0_19identity_decomposerEEEEE10hipError_tT0_T1_T2_jT3_P12ihipStream_tbPNSt15iterator_traitsISG_E10value_typeEPNSM_ISH_E10value_typeEPSI_NS1_7vsmem_tEENKUlT_SG_SH_SI_E_clIS7_S7_PlSB_EESF_SV_SG_SH_SI_EUlSV_E0_NS1_11comp_targetILNS1_3genE4ELNS1_11target_archE910ELNS1_3gpuE8ELNS1_3repE0EEENS1_38merge_mergepath_config_static_selectorELNS0_4arch9wavefront6targetE1EEEvSH_
	.globl	_ZN7rocprim17ROCPRIM_400000_NS6detail17trampoline_kernelINS0_14default_configENS1_38merge_sort_block_merge_config_selectorIdlEEZZNS1_27merge_sort_block_merge_implIS3_PdN6thrust23THRUST_200600_302600_NS10device_ptrIlEEjNS1_19radix_merge_compareILb0ELb0EdNS0_19identity_decomposerEEEEE10hipError_tT0_T1_T2_jT3_P12ihipStream_tbPNSt15iterator_traitsISG_E10value_typeEPNSM_ISH_E10value_typeEPSI_NS1_7vsmem_tEENKUlT_SG_SH_SI_E_clIS7_S7_PlSB_EESF_SV_SG_SH_SI_EUlSV_E0_NS1_11comp_targetILNS1_3genE4ELNS1_11target_archE910ELNS1_3gpuE8ELNS1_3repE0EEENS1_38merge_mergepath_config_static_selectorELNS0_4arch9wavefront6targetE1EEEvSH_
	.p2align	8
	.type	_ZN7rocprim17ROCPRIM_400000_NS6detail17trampoline_kernelINS0_14default_configENS1_38merge_sort_block_merge_config_selectorIdlEEZZNS1_27merge_sort_block_merge_implIS3_PdN6thrust23THRUST_200600_302600_NS10device_ptrIlEEjNS1_19radix_merge_compareILb0ELb0EdNS0_19identity_decomposerEEEEE10hipError_tT0_T1_T2_jT3_P12ihipStream_tbPNSt15iterator_traitsISG_E10value_typeEPNSM_ISH_E10value_typeEPSI_NS1_7vsmem_tEENKUlT_SG_SH_SI_E_clIS7_S7_PlSB_EESF_SV_SG_SH_SI_EUlSV_E0_NS1_11comp_targetILNS1_3genE4ELNS1_11target_archE910ELNS1_3gpuE8ELNS1_3repE0EEENS1_38merge_mergepath_config_static_selectorELNS0_4arch9wavefront6targetE1EEEvSH_,@function
_ZN7rocprim17ROCPRIM_400000_NS6detail17trampoline_kernelINS0_14default_configENS1_38merge_sort_block_merge_config_selectorIdlEEZZNS1_27merge_sort_block_merge_implIS3_PdN6thrust23THRUST_200600_302600_NS10device_ptrIlEEjNS1_19radix_merge_compareILb0ELb0EdNS0_19identity_decomposerEEEEE10hipError_tT0_T1_T2_jT3_P12ihipStream_tbPNSt15iterator_traitsISG_E10value_typeEPNSM_ISH_E10value_typeEPSI_NS1_7vsmem_tEENKUlT_SG_SH_SI_E_clIS7_S7_PlSB_EESF_SV_SG_SH_SI_EUlSV_E0_NS1_11comp_targetILNS1_3genE4ELNS1_11target_archE910ELNS1_3gpuE8ELNS1_3repE0EEENS1_38merge_mergepath_config_static_selectorELNS0_4arch9wavefront6targetE1EEEvSH_: ; @_ZN7rocprim17ROCPRIM_400000_NS6detail17trampoline_kernelINS0_14default_configENS1_38merge_sort_block_merge_config_selectorIdlEEZZNS1_27merge_sort_block_merge_implIS3_PdN6thrust23THRUST_200600_302600_NS10device_ptrIlEEjNS1_19radix_merge_compareILb0ELb0EdNS0_19identity_decomposerEEEEE10hipError_tT0_T1_T2_jT3_P12ihipStream_tbPNSt15iterator_traitsISG_E10value_typeEPNSM_ISH_E10value_typeEPSI_NS1_7vsmem_tEENKUlT_SG_SH_SI_E_clIS7_S7_PlSB_EESF_SV_SG_SH_SI_EUlSV_E0_NS1_11comp_targetILNS1_3genE4ELNS1_11target_archE910ELNS1_3gpuE8ELNS1_3repE0EEENS1_38merge_mergepath_config_static_selectorELNS0_4arch9wavefront6targetE1EEEvSH_
; %bb.0:
	s_load_dwordx2 s[24:25], s[4:5], 0x40
	s_load_dword s0, s[4:5], 0x30
	s_add_u32 s20, s4, 64
	s_addc_u32 s21, s5, 0
	s_waitcnt lgkmcnt(0)
	s_mul_i32 s1, s25, s8
	s_add_i32 s1, s1, s7
	s_mul_i32 s1, s1, s24
	s_add_i32 s22, s1, s6
	s_cmp_ge_u32 s22, s0
	s_cbranch_scc1 .LBB1553_45
; %bb.1:
	s_load_dwordx8 s[8:15], s[4:5], 0x10
	s_load_dwordx2 s[28:29], s[4:5], 0x8
	s_load_dwordx2 s[0:1], s[4:5], 0x38
	s_mov_b32 s23, 0
	v_mov_b32_e32 v3, 0
	s_waitcnt lgkmcnt(0)
	s_lshr_b32 s30, s14, 10
	s_cmp_lg_u32 s22, s30
	s_cselect_b64 s[4:5], -1, 0
	s_lshl_b64 s[2:3], s[22:23], 2
	s_add_u32 s0, s0, s2
	s_addc_u32 s1, s1, s3
	s_load_dwordx2 s[16:17], s[0:1], 0x0
	s_lshr_b32 s0, s15, 9
	s_and_b32 s0, s0, 0x7ffffe
	s_sub_i32 s1, 0, s0
	s_and_b32 s0, s22, s1
	s_lshl_b32 s3, s0, 10
	s_lshl_b32 s2, s22, 10
	;; [unrolled: 1-line block ×3, first 2 shown]
	s_sub_i32 s7, s2, s3
	s_add_i32 s18, s0, s15
	s_add_i32 s7, s18, s7
	s_waitcnt lgkmcnt(0)
	s_sub_i32 s0, s7, s16
	s_sub_i32 s7, s7, s17
	;; [unrolled: 1-line block ×3, first 2 shown]
	s_min_u32 s0, s14, s0
	s_addk_i32 s7, 0x400
	s_or_b32 s1, s22, s1
	s_min_u32 s18, s14, s3
	s_add_i32 s3, s3, s15
	s_cmp_eq_u32 s1, -1
	s_cselect_b32 s1, s3, s7
	s_cselect_b32 s3, s18, s17
	s_mov_b32 s17, s23
	s_min_u32 s27, s1, s14
	s_sub_i32 s3, s3, s16
	s_lshl_b64 s[16:17], s[16:17], 3
	s_add_u32 s25, s28, s16
	s_mov_b32 s1, s23
	s_addc_u32 s26, s29, s17
	s_lshl_b64 s[18:19], s[0:1], 3
	s_add_u32 s15, s28, s18
	s_addc_u32 s23, s29, s19
	s_cmp_lt_u32 s6, s24
	s_cselect_b32 s1, 12, 18
	global_load_dword v1, v3, s[20:21] offset:14
	s_add_u32 s6, s20, s1
	s_addc_u32 s7, s21, 0
	global_load_ushort v2, v3, s[6:7]
	s_cmp_eq_u32 s22, s30
	s_waitcnt vmcnt(1)
	v_lshrrev_b32_e32 v4, 16, v1
	v_and_b32_e32 v1, 0xffff, v1
	v_mul_lo_u32 v1, v1, v4
	s_waitcnt vmcnt(0)
	v_mul_lo_u32 v4, v1, v2
	v_lshlrev_b32_e32 v1, 3, v0
	v_add_u32_e32 v10, v4, v0
	s_cbranch_scc1 .LBB1553_3
; %bb.2:
	v_mov_b32_e32 v2, s26
	v_add_co_u32_e32 v5, vcc, s25, v1
	v_addc_co_u32_e32 v6, vcc, 0, v2, vcc
	v_subrev_u32_e32 v2, s3, v0
	v_lshlrev_b64 v[2:3], 3, v[2:3]
	v_mov_b32_e32 v7, s23
	v_add_co_u32_e32 v2, vcc, s15, v2
	v_addc_co_u32_e32 v3, vcc, v7, v3, vcc
	v_cmp_gt_u32_e32 vcc, s3, v0
	v_cndmask_b32_e32 v3, v3, v6, vcc
	v_cndmask_b32_e32 v2, v2, v5, vcc
	global_load_dwordx2 v[6:7], v[2:3], off
	v_add_u32_e32 v8, v4, v0
	s_mov_b64 s[6:7], -1
	s_sub_i32 s22, s27, s0
	s_cbranch_execz .LBB1553_4
	s_branch .LBB1553_7
.LBB1553_3:
	s_mov_b64 s[6:7], 0
                                        ; implicit-def: $vgpr6_vgpr7
                                        ; implicit-def: $vgpr8
	s_sub_i32 s22, s27, s0
.LBB1553_4:
	s_add_i32 s6, s22, s3
	v_cmp_gt_u32_e32 vcc, s6, v0
                                        ; implicit-def: $vgpr6_vgpr7
	s_and_saveexec_b64 s[0:1], vcc
	s_cbranch_execz .LBB1553_6
; %bb.5:
	v_mov_b32_e32 v2, s26
	v_add_co_u32_e32 v4, vcc, s25, v1
	v_mov_b32_e32 v3, 0
	v_addc_co_u32_e32 v5, vcc, 0, v2, vcc
	v_subrev_u32_e32 v2, s3, v0
	v_lshlrev_b64 v[2:3], 3, v[2:3]
	s_waitcnt vmcnt(0)
	v_mov_b32_e32 v6, s23
	v_add_co_u32_e32 v2, vcc, s15, v2
	v_addc_co_u32_e32 v3, vcc, v6, v3, vcc
	v_cmp_gt_u32_e32 vcc, s3, v0
	v_cndmask_b32_e32 v3, v3, v5, vcc
	v_cndmask_b32_e32 v2, v2, v4, vcc
	global_load_dwordx2 v[6:7], v[2:3], off
.LBB1553_6:
	s_or_b64 exec, exec, s[0:1]
	v_cmp_gt_u32_e64 s[6:7], s6, v10
	v_mov_b32_e32 v8, v10
.LBB1553_7:
	s_and_saveexec_b64 s[20:21], s[6:7]
                                        ; implicit-def: $vgpr2_vgpr3_vgpr4_vgpr5
	s_cbranch_execz .LBB1553_9
; %bb.8:
	v_mov_b32_e32 v9, 0
	v_lshlrev_b64 v[2:3], 3, v[8:9]
	v_mov_b32_e32 v4, s26
	v_add_co_u32_e32 v5, vcc, s25, v2
	v_addc_co_u32_e32 v4, vcc, v4, v3, vcc
	v_cmp_gt_u32_e32 vcc, s3, v8
	v_subrev_u32_e32 v8, s3, v8
	v_lshlrev_b64 v[2:3], 3, v[8:9]
	v_mov_b32_e32 v8, s23
	v_add_co_u32_e64 v2, s[0:1], s15, v2
	v_addc_co_u32_e64 v3, s[0:1], v8, v3, s[0:1]
	v_cndmask_b32_e32 v3, v3, v4, vcc
	v_cndmask_b32_e32 v2, v2, v5, vcc
	global_load_dwordx2 v[4:5], v[2:3], off
.LBB1553_9:
	s_or_b64 exec, exec, s[20:21]
	s_add_u32 s16, s10, s16
	s_addc_u32 s17, s11, s17
	s_add_u32 s10, s10, s18
	s_addc_u32 s11, s11, s19
	s_andn2_b64 vcc, exec, s[4:5]
	s_waitcnt vmcnt(0)
	ds_write2st64_b64 v1, v[6:7], v[4:5] offset1:8
	s_cbranch_vccnz .LBB1553_11
; %bb.10:
	v_mov_b32_e32 v9, 0
	v_mov_b32_e32 v2, s17
	v_add_co_u32_e32 v11, vcc, s16, v1
	v_subrev_u32_e32 v8, s3, v0
	v_addc_co_u32_e32 v12, vcc, 0, v2, vcc
	v_lshlrev_b64 v[2:3], 3, v[8:9]
	v_mov_b32_e32 v8, s11
	v_add_co_u32_e32 v2, vcc, s10, v2
	v_addc_co_u32_e32 v3, vcc, v8, v3, vcc
	v_cmp_gt_u32_e32 vcc, s3, v0
	v_cndmask_b32_e32 v2, v2, v11, vcc
	v_mov_b32_e32 v11, v9
	v_cndmask_b32_e32 v3, v3, v12, vcc
	v_lshlrev_b64 v[12:13], 3, v[10:11]
	v_mov_b32_e32 v8, s17
	v_add_co_u32_e32 v11, vcc, s16, v12
	v_addc_co_u32_e32 v12, vcc, v8, v13, vcc
	v_subrev_u32_e32 v8, s3, v10
	v_lshlrev_b64 v[8:9], 3, v[8:9]
	v_mov_b32_e32 v13, s11
	v_add_co_u32_e32 v8, vcc, s10, v8
	v_addc_co_u32_e32 v9, vcc, v13, v9, vcc
	v_cmp_gt_u32_e32 vcc, s3, v10
	v_cndmask_b32_e32 v9, v9, v12, vcc
	v_cndmask_b32_e32 v8, v8, v11, vcc
	global_load_dwordx2 v[2:3], v[2:3], off
	s_add_i32 s15, s22, s3
	global_load_dwordx2 v[8:9], v[8:9], off
	s_cbranch_execz .LBB1553_12
	s_branch .LBB1553_17
.LBB1553_11:
                                        ; implicit-def: $vgpr2_vgpr3
                                        ; implicit-def: $vgpr8_vgpr9
                                        ; implicit-def: $sgpr15
.LBB1553_12:
	s_add_i32 s15, s22, s3
	v_cmp_gt_u32_e32 vcc, s15, v0
                                        ; implicit-def: $vgpr2_vgpr3
	s_and_saveexec_b64 s[0:1], vcc
	s_cbranch_execz .LBB1553_14
; %bb.13:
	s_waitcnt vmcnt(1)
	v_mov_b32_e32 v2, s17
	s_waitcnt vmcnt(0)
	v_add_co_u32_e32 v8, vcc, s16, v1
	v_mov_b32_e32 v3, 0
	v_addc_co_u32_e32 v9, vcc, 0, v2, vcc
	v_subrev_u32_e32 v2, s3, v0
	v_lshlrev_b64 v[2:3], 3, v[2:3]
	v_mov_b32_e32 v11, s11
	v_add_co_u32_e32 v2, vcc, s10, v2
	v_addc_co_u32_e32 v3, vcc, v11, v3, vcc
	v_cmp_gt_u32_e32 vcc, s3, v0
	v_cndmask_b32_e32 v3, v3, v9, vcc
	v_cndmask_b32_e32 v2, v2, v8, vcc
	global_load_dwordx2 v[2:3], v[2:3], off
.LBB1553_14:
	s_or_b64 exec, exec, s[0:1]
	v_cmp_gt_u32_e32 vcc, s15, v10
                                        ; implicit-def: $vgpr8_vgpr9
	s_and_saveexec_b64 s[6:7], vcc
	s_cbranch_execz .LBB1553_16
; %bb.15:
	v_mov_b32_e32 v11, 0
	s_waitcnt vmcnt(0)
	v_lshlrev_b64 v[8:9], 3, v[10:11]
	v_mov_b32_e32 v12, s17
	v_add_co_u32_e32 v13, vcc, s16, v8
	v_addc_co_u32_e32 v12, vcc, v12, v9, vcc
	v_cmp_gt_u32_e32 vcc, s3, v10
	v_subrev_u32_e32 v10, s3, v10
	v_lshlrev_b64 v[8:9], 3, v[10:11]
	v_mov_b32_e32 v10, s11
	v_add_co_u32_e64 v8, s[0:1], s10, v8
	v_addc_co_u32_e64 v9, s[0:1], v10, v9, s[0:1]
	v_cndmask_b32_e32 v9, v9, v12, vcc
	v_cndmask_b32_e32 v8, v8, v13, vcc
	global_load_dwordx2 v[8:9], v[8:9], off
.LBB1553_16:
	s_or_b64 exec, exec, s[6:7]
.LBB1553_17:
	v_lshlrev_b32_e32 v14, 1, v0
	v_min_u32_e32 v10, s15, v14
	v_sub_u32_e64 v15, v10, s22 clamp
	v_min_u32_e32 v11, s3, v10
	v_cmp_lt_u32_e32 vcc, v15, v11
	s_waitcnt lgkmcnt(0)
	s_barrier
	s_and_saveexec_b64 s[0:1], vcc
	s_cbranch_execz .LBB1553_21
; %bb.18:
	v_lshlrev_b32_e32 v12, 3, v10
	v_lshl_add_u32 v12, s3, 3, v12
	s_mov_b64 s[6:7], 0
.LBB1553_19:                            ; =>This Inner Loop Header: Depth=1
	v_add_u32_e32 v13, v11, v15
	v_lshrrev_b32_e32 v13, 1, v13
	v_not_b32_e32 v16, v13
	v_lshlrev_b32_e32 v17, 3, v13
	v_lshl_add_u32 v18, v16, 3, v12
	ds_read_b64 v[16:17], v17
	ds_read_b64 v[18:19], v18
	v_add_u32_e32 v20, 1, v13
	s_waitcnt lgkmcnt(1)
	v_add_f64 v[16:17], v[16:17], 0
	s_waitcnt lgkmcnt(0)
	v_add_f64 v[18:19], v[18:19], 0
	v_ashrrev_i32_e32 v21, 31, v17
	v_or_b32_e32 v22, 0x80000000, v21
	v_xor_b32_e32 v16, v21, v16
	v_ashrrev_i32_e32 v21, 31, v19
	v_xor_b32_e32 v17, v22, v17
	v_or_b32_e32 v22, 0x80000000, v21
	v_xor_b32_e32 v18, v21, v18
	v_xor_b32_e32 v19, v22, v19
	v_cmp_gt_u64_e32 vcc, v[16:17], v[18:19]
	v_cndmask_b32_e32 v11, v11, v13, vcc
	v_cndmask_b32_e32 v15, v20, v15, vcc
	v_cmp_ge_u32_e32 vcc, v15, v11
	s_or_b64 s[6:7], vcc, s[6:7]
	s_andn2_b64 exec, exec, s[6:7]
	s_cbranch_execnz .LBB1553_19
; %bb.20:
	s_or_b64 exec, exec, s[6:7]
.LBB1553_21:
	s_or_b64 exec, exec, s[0:1]
	v_sub_u32_e32 v10, v10, v15
	v_add_u32_e32 v17, s3, v10
	v_cmp_ge_u32_e32 vcc, s3, v15
	v_cmp_ge_u32_e64 s[0:1], s15, v17
	s_or_b64 s[0:1], vcc, s[0:1]
                                        ; implicit-def: $vgpr18
                                        ; implicit-def: $vgpr16
	s_and_saveexec_b64 s[6:7], s[0:1]
	s_cbranch_execz .LBB1553_33
; %bb.22:
	v_cmp_le_u32_e32 vcc, s3, v15
	v_cmp_gt_u32_e64 s[0:1], s3, v15
                                        ; implicit-def: $vgpr4_vgpr5
	s_and_saveexec_b64 s[10:11], s[0:1]
	s_cbranch_execz .LBB1553_24
; %bb.23:
	v_lshlrev_b32_e32 v4, 3, v15
	ds_read_b64 v[4:5], v4
.LBB1553_24:
	s_or_b64 exec, exec, s[10:11]
	v_cmp_le_u32_e64 s[10:11], s15, v17
	v_cmp_gt_u32_e64 s[0:1], s15, v17
                                        ; implicit-def: $vgpr6_vgpr7
	s_and_saveexec_b64 s[16:17], s[0:1]
	s_cbranch_execz .LBB1553_26
; %bb.25:
	v_lshlrev_b32_e32 v6, 3, v17
	ds_read_b64 v[6:7], v6
.LBB1553_26:
	s_or_b64 exec, exec, s[16:17]
	s_or_b64 s[16:17], vcc, s[10:11]
	s_mov_b64 s[0:1], -1
	s_xor_b64 s[18:19], s[16:17], -1
	s_and_saveexec_b64 s[16:17], s[18:19]
	s_cbranch_execz .LBB1553_28
; %bb.27:
	s_waitcnt lgkmcnt(0)
	v_add_f64 v[10:11], v[4:5], 0
	v_add_f64 v[12:13], v[6:7], 0
	v_ashrrev_i32_e32 v16, 31, v11
	v_or_b32_e32 v18, 0x80000000, v16
	v_xor_b32_e32 v10, v16, v10
	v_ashrrev_i32_e32 v16, 31, v13
	v_xor_b32_e32 v11, v18, v11
	v_or_b32_e32 v18, 0x80000000, v16
	v_xor_b32_e32 v13, v18, v13
	v_xor_b32_e32 v12, v16, v12
	v_cmp_le_u64_e32 vcc, v[10:11], v[12:13]
	s_andn2_b64 s[10:11], s[10:11], exec
	s_and_b64 s[18:19], vcc, exec
	s_or_b64 s[10:11], s[10:11], s[18:19]
.LBB1553_28:
	s_or_b64 exec, exec, s[16:17]
	v_mov_b32_e32 v10, s15
	v_mov_b32_e32 v11, s3
	v_cndmask_b32_e64 v16, v17, v15, s[10:11]
	v_cndmask_b32_e64 v10, v10, v11, s[10:11]
	v_add_u32_e32 v18, 1, v16
	v_add_u32_e32 v10, -1, v10
	v_min_u32_e32 v10, v18, v10
	v_lshlrev_b32_e32 v10, 3, v10
	ds_read_b64 v[12:13], v10
	v_cndmask_b32_e64 v17, v18, v17, s[10:11]
	v_cndmask_b32_e64 v15, v15, v18, s[10:11]
	v_cmp_gt_u32_e32 vcc, s15, v17
	s_waitcnt lgkmcnt(0)
	v_cndmask_b32_e64 v11, v13, v7, s[10:11]
	v_cndmask_b32_e64 v10, v12, v6, s[10:11]
	v_cndmask_b32_e64 v13, v5, v13, s[10:11]
	v_cndmask_b32_e64 v12, v4, v12, s[10:11]
	s_and_saveexec_b64 s[16:17], vcc
	s_cbranch_execz .LBB1553_32
; %bb.29:
	v_cmp_gt_u32_e32 vcc, s3, v15
	s_mov_b64 s[18:19], 0
	s_and_saveexec_b64 s[0:1], vcc
	s_cbranch_execz .LBB1553_31
; %bb.30:
	v_add_f64 v[18:19], v[12:13], 0
	v_add_f64 v[20:21], v[10:11], 0
	v_ashrrev_i32_e32 v22, 31, v19
	v_or_b32_e32 v23, 0x80000000, v22
	v_xor_b32_e32 v18, v22, v18
	v_ashrrev_i32_e32 v22, 31, v21
	v_xor_b32_e32 v19, v23, v19
	v_or_b32_e32 v23, 0x80000000, v22
	v_xor_b32_e32 v21, v23, v21
	v_xor_b32_e32 v20, v22, v20
	v_cmp_le_u64_e32 vcc, v[18:19], v[20:21]
	s_and_b64 s[18:19], vcc, exec
.LBB1553_31:
	s_or_b64 exec, exec, s[0:1]
	s_orn2_b64 s[0:1], s[18:19], exec
.LBB1553_32:
	s_or_b64 exec, exec, s[16:17]
	v_cndmask_b32_e64 v7, v7, v5, s[10:11]
	v_cndmask_b32_e64 v6, v6, v4, s[10:11]
	;; [unrolled: 1-line block ×5, first 2 shown]
.LBB1553_33:
	s_or_b64 exec, exec, s[6:7]
	v_lshrrev_b32_e32 v10, 1, v0
	v_and_b32_e32 v10, 0xf8, v10
	s_barrier
	s_waitcnt vmcnt(0)
	ds_write2st64_b64 v1, v[2:3], v[8:9] offset1:8
	v_lshlrev_b32_e32 v2, 3, v16
	v_lshlrev_b32_e32 v8, 3, v18
	v_lshl_add_u32 v11, v14, 3, v10
	s_waitcnt lgkmcnt(0)
	s_barrier
	ds_read_b64 v[2:3], v2
	ds_read_b64 v[8:9], v8
	s_waitcnt lgkmcnt(0)
	s_barrier
	s_barrier
	s_mov_b32 s3, 0
	ds_write2_b64 v11, v[6:7], v[4:5] offset1:1
	v_lshrrev_b32_e32 v4, 2, v0
	s_lshl_b64 s[6:7], s[2:3], 3
	v_and_b32_e32 v4, 0x78, v4
	v_or_b32_e32 v13, 0x200, v0
	s_add_u32 s0, s8, s6
	v_add_u32_e32 v10, v1, v4
	v_lshrrev_b32_e32 v4, 2, v13
	s_addc_u32 s1, s9, s7
	v_and_b32_e32 v4, 0xf8, v4
	v_add_u32_e32 v12, v1, v4
	v_mov_b32_e32 v5, s1
	v_add_co_u32_e32 v4, vcc, s0, v1
	v_addc_co_u32_e32 v5, vcc, 0, v5, vcc
	s_and_b64 vcc, exec, s[4:5]
	s_waitcnt lgkmcnt(0)
	s_cbranch_vccz .LBB1553_35
; %bb.34:
	s_barrier
	ds_read_b64 v[6:7], v10
	ds_read_b64 v[14:15], v12 offset:4096
	s_add_u32 s0, s12, s6
	s_addc_u32 s1, s13, s7
	s_mov_b64 s[4:5], -1
	s_waitcnt lgkmcnt(1)
	global_store_dwordx2 v[4:5], v[6:7], off
	v_add_co_u32_e32 v6, vcc, 0x1000, v4
	v_addc_co_u32_e32 v7, vcc, 0, v5, vcc
	s_waitcnt lgkmcnt(0)
	global_store_dwordx2 v[6:7], v[14:15], off
	s_barrier
	ds_write2_b64 v11, v[2:3], v[8:9] offset1:1
	s_waitcnt lgkmcnt(0)
	s_barrier
	ds_read_b64 v[14:15], v10
	ds_read_b64 v[6:7], v12 offset:4096
	s_waitcnt lgkmcnt(1)
	global_store_dwordx2 v1, v[14:15], s[0:1]
	s_cbranch_execz .LBB1553_36
	s_branch .LBB1553_43
.LBB1553_35:
	s_mov_b64 s[4:5], 0
                                        ; implicit-def: $vgpr6_vgpr7
.LBB1553_36:
	s_barrier
	s_waitcnt lgkmcnt(0)
	ds_read_b64 v[6:7], v12 offset:4096
	s_sub_i32 s4, s14, s2
	v_cmp_gt_u32_e64 s[0:1], s4, v0
	s_and_saveexec_b64 s[2:3], s[0:1]
	s_cbranch_execz .LBB1553_38
; %bb.37:
	ds_read_b64 v[14:15], v10
	s_waitcnt lgkmcnt(0)
	global_store_dwordx2 v[4:5], v[14:15], off
.LBB1553_38:
	s_or_b64 exec, exec, s[2:3]
	v_cmp_gt_u32_e64 s[4:5], s4, v13
	s_and_saveexec_b64 s[2:3], s[4:5]
	s_cbranch_execz .LBB1553_40
; %bb.39:
	v_add_co_u32_e32 v4, vcc, 0x1000, v4
	v_addc_co_u32_e32 v5, vcc, 0, v5, vcc
	s_waitcnt lgkmcnt(0)
	global_store_dwordx2 v[4:5], v[6:7], off
.LBB1553_40:
	s_or_b64 exec, exec, s[2:3]
	s_waitcnt lgkmcnt(0)
	s_barrier
	ds_write2_b64 v11, v[2:3], v[8:9] offset1:1
	s_waitcnt lgkmcnt(0)
	s_barrier
	ds_read_b64 v[6:7], v12 offset:4096
	s_and_saveexec_b64 s[2:3], s[0:1]
	s_cbranch_execz .LBB1553_42
; %bb.41:
	ds_read_b64 v[2:3], v10
	s_add_u32 s0, s12, s6
	s_addc_u32 s1, s13, s7
	s_waitcnt lgkmcnt(0)
	global_store_dwordx2 v1, v[2:3], s[0:1]
.LBB1553_42:
	s_or_b64 exec, exec, s[2:3]
.LBB1553_43:
	s_and_saveexec_b64 s[0:1], s[4:5]
	s_cbranch_execz .LBB1553_45
; %bb.44:
	s_add_u32 s0, s12, s6
	s_addc_u32 s1, s13, s7
	v_mov_b32_e32 v0, s1
	v_add_co_u32_e32 v1, vcc, s0, v1
	v_addc_co_u32_e32 v2, vcc, 0, v0, vcc
	v_add_co_u32_e32 v0, vcc, 0x1000, v1
	v_addc_co_u32_e32 v1, vcc, 0, v2, vcc
	s_waitcnt lgkmcnt(0)
	global_store_dwordx2 v[0:1], v[6:7], off
.LBB1553_45:
	s_endpgm
	.section	.rodata,"a",@progbits
	.p2align	6, 0x0
	.amdhsa_kernel _ZN7rocprim17ROCPRIM_400000_NS6detail17trampoline_kernelINS0_14default_configENS1_38merge_sort_block_merge_config_selectorIdlEEZZNS1_27merge_sort_block_merge_implIS3_PdN6thrust23THRUST_200600_302600_NS10device_ptrIlEEjNS1_19radix_merge_compareILb0ELb0EdNS0_19identity_decomposerEEEEE10hipError_tT0_T1_T2_jT3_P12ihipStream_tbPNSt15iterator_traitsISG_E10value_typeEPNSM_ISH_E10value_typeEPSI_NS1_7vsmem_tEENKUlT_SG_SH_SI_E_clIS7_S7_PlSB_EESF_SV_SG_SH_SI_EUlSV_E0_NS1_11comp_targetILNS1_3genE4ELNS1_11target_archE910ELNS1_3gpuE8ELNS1_3repE0EEENS1_38merge_mergepath_config_static_selectorELNS0_4arch9wavefront6targetE1EEEvSH_
		.amdhsa_group_segment_fixed_size 8448
		.amdhsa_private_segment_fixed_size 0
		.amdhsa_kernarg_size 320
		.amdhsa_user_sgpr_count 6
		.amdhsa_user_sgpr_private_segment_buffer 1
		.amdhsa_user_sgpr_dispatch_ptr 0
		.amdhsa_user_sgpr_queue_ptr 0
		.amdhsa_user_sgpr_kernarg_segment_ptr 1
		.amdhsa_user_sgpr_dispatch_id 0
		.amdhsa_user_sgpr_flat_scratch_init 0
		.amdhsa_user_sgpr_kernarg_preload_length 0
		.amdhsa_user_sgpr_kernarg_preload_offset 0
		.amdhsa_user_sgpr_private_segment_size 0
		.amdhsa_uses_dynamic_stack 0
		.amdhsa_system_sgpr_private_segment_wavefront_offset 0
		.amdhsa_system_sgpr_workgroup_id_x 1
		.amdhsa_system_sgpr_workgroup_id_y 1
		.amdhsa_system_sgpr_workgroup_id_z 1
		.amdhsa_system_sgpr_workgroup_info 0
		.amdhsa_system_vgpr_workitem_id 0
		.amdhsa_next_free_vgpr 24
		.amdhsa_next_free_sgpr 31
		.amdhsa_accum_offset 24
		.amdhsa_reserve_vcc 1
		.amdhsa_reserve_flat_scratch 0
		.amdhsa_float_round_mode_32 0
		.amdhsa_float_round_mode_16_64 0
		.amdhsa_float_denorm_mode_32 3
		.amdhsa_float_denorm_mode_16_64 3
		.amdhsa_dx10_clamp 1
		.amdhsa_ieee_mode 1
		.amdhsa_fp16_overflow 0
		.amdhsa_tg_split 0
		.amdhsa_exception_fp_ieee_invalid_op 0
		.amdhsa_exception_fp_denorm_src 0
		.amdhsa_exception_fp_ieee_div_zero 0
		.amdhsa_exception_fp_ieee_overflow 0
		.amdhsa_exception_fp_ieee_underflow 0
		.amdhsa_exception_fp_ieee_inexact 0
		.amdhsa_exception_int_div_zero 0
	.end_amdhsa_kernel
	.section	.text._ZN7rocprim17ROCPRIM_400000_NS6detail17trampoline_kernelINS0_14default_configENS1_38merge_sort_block_merge_config_selectorIdlEEZZNS1_27merge_sort_block_merge_implIS3_PdN6thrust23THRUST_200600_302600_NS10device_ptrIlEEjNS1_19radix_merge_compareILb0ELb0EdNS0_19identity_decomposerEEEEE10hipError_tT0_T1_T2_jT3_P12ihipStream_tbPNSt15iterator_traitsISG_E10value_typeEPNSM_ISH_E10value_typeEPSI_NS1_7vsmem_tEENKUlT_SG_SH_SI_E_clIS7_S7_PlSB_EESF_SV_SG_SH_SI_EUlSV_E0_NS1_11comp_targetILNS1_3genE4ELNS1_11target_archE910ELNS1_3gpuE8ELNS1_3repE0EEENS1_38merge_mergepath_config_static_selectorELNS0_4arch9wavefront6targetE1EEEvSH_,"axG",@progbits,_ZN7rocprim17ROCPRIM_400000_NS6detail17trampoline_kernelINS0_14default_configENS1_38merge_sort_block_merge_config_selectorIdlEEZZNS1_27merge_sort_block_merge_implIS3_PdN6thrust23THRUST_200600_302600_NS10device_ptrIlEEjNS1_19radix_merge_compareILb0ELb0EdNS0_19identity_decomposerEEEEE10hipError_tT0_T1_T2_jT3_P12ihipStream_tbPNSt15iterator_traitsISG_E10value_typeEPNSM_ISH_E10value_typeEPSI_NS1_7vsmem_tEENKUlT_SG_SH_SI_E_clIS7_S7_PlSB_EESF_SV_SG_SH_SI_EUlSV_E0_NS1_11comp_targetILNS1_3genE4ELNS1_11target_archE910ELNS1_3gpuE8ELNS1_3repE0EEENS1_38merge_mergepath_config_static_selectorELNS0_4arch9wavefront6targetE1EEEvSH_,comdat
.Lfunc_end1553:
	.size	_ZN7rocprim17ROCPRIM_400000_NS6detail17trampoline_kernelINS0_14default_configENS1_38merge_sort_block_merge_config_selectorIdlEEZZNS1_27merge_sort_block_merge_implIS3_PdN6thrust23THRUST_200600_302600_NS10device_ptrIlEEjNS1_19radix_merge_compareILb0ELb0EdNS0_19identity_decomposerEEEEE10hipError_tT0_T1_T2_jT3_P12ihipStream_tbPNSt15iterator_traitsISG_E10value_typeEPNSM_ISH_E10value_typeEPSI_NS1_7vsmem_tEENKUlT_SG_SH_SI_E_clIS7_S7_PlSB_EESF_SV_SG_SH_SI_EUlSV_E0_NS1_11comp_targetILNS1_3genE4ELNS1_11target_archE910ELNS1_3gpuE8ELNS1_3repE0EEENS1_38merge_mergepath_config_static_selectorELNS0_4arch9wavefront6targetE1EEEvSH_, .Lfunc_end1553-_ZN7rocprim17ROCPRIM_400000_NS6detail17trampoline_kernelINS0_14default_configENS1_38merge_sort_block_merge_config_selectorIdlEEZZNS1_27merge_sort_block_merge_implIS3_PdN6thrust23THRUST_200600_302600_NS10device_ptrIlEEjNS1_19radix_merge_compareILb0ELb0EdNS0_19identity_decomposerEEEEE10hipError_tT0_T1_T2_jT3_P12ihipStream_tbPNSt15iterator_traitsISG_E10value_typeEPNSM_ISH_E10value_typeEPSI_NS1_7vsmem_tEENKUlT_SG_SH_SI_E_clIS7_S7_PlSB_EESF_SV_SG_SH_SI_EUlSV_E0_NS1_11comp_targetILNS1_3genE4ELNS1_11target_archE910ELNS1_3gpuE8ELNS1_3repE0EEENS1_38merge_mergepath_config_static_selectorELNS0_4arch9wavefront6targetE1EEEvSH_
                                        ; -- End function
	.section	.AMDGPU.csdata,"",@progbits
; Kernel info:
; codeLenInByte = 2148
; NumSgprs: 35
; NumVgprs: 24
; NumAgprs: 0
; TotalNumVgprs: 24
; ScratchSize: 0
; MemoryBound: 0
; FloatMode: 240
; IeeeMode: 1
; LDSByteSize: 8448 bytes/workgroup (compile time only)
; SGPRBlocks: 4
; VGPRBlocks: 2
; NumSGPRsForWavesPerEU: 35
; NumVGPRsForWavesPerEU: 24
; AccumOffset: 24
; Occupancy: 8
; WaveLimiterHint : 1
; COMPUTE_PGM_RSRC2:SCRATCH_EN: 0
; COMPUTE_PGM_RSRC2:USER_SGPR: 6
; COMPUTE_PGM_RSRC2:TRAP_HANDLER: 0
; COMPUTE_PGM_RSRC2:TGID_X_EN: 1
; COMPUTE_PGM_RSRC2:TGID_Y_EN: 1
; COMPUTE_PGM_RSRC2:TGID_Z_EN: 1
; COMPUTE_PGM_RSRC2:TIDIG_COMP_CNT: 0
; COMPUTE_PGM_RSRC3_GFX90A:ACCUM_OFFSET: 5
; COMPUTE_PGM_RSRC3_GFX90A:TG_SPLIT: 0
	.section	.text._ZN7rocprim17ROCPRIM_400000_NS6detail17trampoline_kernelINS0_14default_configENS1_38merge_sort_block_merge_config_selectorIdlEEZZNS1_27merge_sort_block_merge_implIS3_PdN6thrust23THRUST_200600_302600_NS10device_ptrIlEEjNS1_19radix_merge_compareILb0ELb0EdNS0_19identity_decomposerEEEEE10hipError_tT0_T1_T2_jT3_P12ihipStream_tbPNSt15iterator_traitsISG_E10value_typeEPNSM_ISH_E10value_typeEPSI_NS1_7vsmem_tEENKUlT_SG_SH_SI_E_clIS7_S7_PlSB_EESF_SV_SG_SH_SI_EUlSV_E0_NS1_11comp_targetILNS1_3genE3ELNS1_11target_archE908ELNS1_3gpuE7ELNS1_3repE0EEENS1_38merge_mergepath_config_static_selectorELNS0_4arch9wavefront6targetE1EEEvSH_,"axG",@progbits,_ZN7rocprim17ROCPRIM_400000_NS6detail17trampoline_kernelINS0_14default_configENS1_38merge_sort_block_merge_config_selectorIdlEEZZNS1_27merge_sort_block_merge_implIS3_PdN6thrust23THRUST_200600_302600_NS10device_ptrIlEEjNS1_19radix_merge_compareILb0ELb0EdNS0_19identity_decomposerEEEEE10hipError_tT0_T1_T2_jT3_P12ihipStream_tbPNSt15iterator_traitsISG_E10value_typeEPNSM_ISH_E10value_typeEPSI_NS1_7vsmem_tEENKUlT_SG_SH_SI_E_clIS7_S7_PlSB_EESF_SV_SG_SH_SI_EUlSV_E0_NS1_11comp_targetILNS1_3genE3ELNS1_11target_archE908ELNS1_3gpuE7ELNS1_3repE0EEENS1_38merge_mergepath_config_static_selectorELNS0_4arch9wavefront6targetE1EEEvSH_,comdat
	.protected	_ZN7rocprim17ROCPRIM_400000_NS6detail17trampoline_kernelINS0_14default_configENS1_38merge_sort_block_merge_config_selectorIdlEEZZNS1_27merge_sort_block_merge_implIS3_PdN6thrust23THRUST_200600_302600_NS10device_ptrIlEEjNS1_19radix_merge_compareILb0ELb0EdNS0_19identity_decomposerEEEEE10hipError_tT0_T1_T2_jT3_P12ihipStream_tbPNSt15iterator_traitsISG_E10value_typeEPNSM_ISH_E10value_typeEPSI_NS1_7vsmem_tEENKUlT_SG_SH_SI_E_clIS7_S7_PlSB_EESF_SV_SG_SH_SI_EUlSV_E0_NS1_11comp_targetILNS1_3genE3ELNS1_11target_archE908ELNS1_3gpuE7ELNS1_3repE0EEENS1_38merge_mergepath_config_static_selectorELNS0_4arch9wavefront6targetE1EEEvSH_ ; -- Begin function _ZN7rocprim17ROCPRIM_400000_NS6detail17trampoline_kernelINS0_14default_configENS1_38merge_sort_block_merge_config_selectorIdlEEZZNS1_27merge_sort_block_merge_implIS3_PdN6thrust23THRUST_200600_302600_NS10device_ptrIlEEjNS1_19radix_merge_compareILb0ELb0EdNS0_19identity_decomposerEEEEE10hipError_tT0_T1_T2_jT3_P12ihipStream_tbPNSt15iterator_traitsISG_E10value_typeEPNSM_ISH_E10value_typeEPSI_NS1_7vsmem_tEENKUlT_SG_SH_SI_E_clIS7_S7_PlSB_EESF_SV_SG_SH_SI_EUlSV_E0_NS1_11comp_targetILNS1_3genE3ELNS1_11target_archE908ELNS1_3gpuE7ELNS1_3repE0EEENS1_38merge_mergepath_config_static_selectorELNS0_4arch9wavefront6targetE1EEEvSH_
	.globl	_ZN7rocprim17ROCPRIM_400000_NS6detail17trampoline_kernelINS0_14default_configENS1_38merge_sort_block_merge_config_selectorIdlEEZZNS1_27merge_sort_block_merge_implIS3_PdN6thrust23THRUST_200600_302600_NS10device_ptrIlEEjNS1_19radix_merge_compareILb0ELb0EdNS0_19identity_decomposerEEEEE10hipError_tT0_T1_T2_jT3_P12ihipStream_tbPNSt15iterator_traitsISG_E10value_typeEPNSM_ISH_E10value_typeEPSI_NS1_7vsmem_tEENKUlT_SG_SH_SI_E_clIS7_S7_PlSB_EESF_SV_SG_SH_SI_EUlSV_E0_NS1_11comp_targetILNS1_3genE3ELNS1_11target_archE908ELNS1_3gpuE7ELNS1_3repE0EEENS1_38merge_mergepath_config_static_selectorELNS0_4arch9wavefront6targetE1EEEvSH_
	.p2align	8
	.type	_ZN7rocprim17ROCPRIM_400000_NS6detail17trampoline_kernelINS0_14default_configENS1_38merge_sort_block_merge_config_selectorIdlEEZZNS1_27merge_sort_block_merge_implIS3_PdN6thrust23THRUST_200600_302600_NS10device_ptrIlEEjNS1_19radix_merge_compareILb0ELb0EdNS0_19identity_decomposerEEEEE10hipError_tT0_T1_T2_jT3_P12ihipStream_tbPNSt15iterator_traitsISG_E10value_typeEPNSM_ISH_E10value_typeEPSI_NS1_7vsmem_tEENKUlT_SG_SH_SI_E_clIS7_S7_PlSB_EESF_SV_SG_SH_SI_EUlSV_E0_NS1_11comp_targetILNS1_3genE3ELNS1_11target_archE908ELNS1_3gpuE7ELNS1_3repE0EEENS1_38merge_mergepath_config_static_selectorELNS0_4arch9wavefront6targetE1EEEvSH_,@function
_ZN7rocprim17ROCPRIM_400000_NS6detail17trampoline_kernelINS0_14default_configENS1_38merge_sort_block_merge_config_selectorIdlEEZZNS1_27merge_sort_block_merge_implIS3_PdN6thrust23THRUST_200600_302600_NS10device_ptrIlEEjNS1_19radix_merge_compareILb0ELb0EdNS0_19identity_decomposerEEEEE10hipError_tT0_T1_T2_jT3_P12ihipStream_tbPNSt15iterator_traitsISG_E10value_typeEPNSM_ISH_E10value_typeEPSI_NS1_7vsmem_tEENKUlT_SG_SH_SI_E_clIS7_S7_PlSB_EESF_SV_SG_SH_SI_EUlSV_E0_NS1_11comp_targetILNS1_3genE3ELNS1_11target_archE908ELNS1_3gpuE7ELNS1_3repE0EEENS1_38merge_mergepath_config_static_selectorELNS0_4arch9wavefront6targetE1EEEvSH_: ; @_ZN7rocprim17ROCPRIM_400000_NS6detail17trampoline_kernelINS0_14default_configENS1_38merge_sort_block_merge_config_selectorIdlEEZZNS1_27merge_sort_block_merge_implIS3_PdN6thrust23THRUST_200600_302600_NS10device_ptrIlEEjNS1_19radix_merge_compareILb0ELb0EdNS0_19identity_decomposerEEEEE10hipError_tT0_T1_T2_jT3_P12ihipStream_tbPNSt15iterator_traitsISG_E10value_typeEPNSM_ISH_E10value_typeEPSI_NS1_7vsmem_tEENKUlT_SG_SH_SI_E_clIS7_S7_PlSB_EESF_SV_SG_SH_SI_EUlSV_E0_NS1_11comp_targetILNS1_3genE3ELNS1_11target_archE908ELNS1_3gpuE7ELNS1_3repE0EEENS1_38merge_mergepath_config_static_selectorELNS0_4arch9wavefront6targetE1EEEvSH_
; %bb.0:
	.section	.rodata,"a",@progbits
	.p2align	6, 0x0
	.amdhsa_kernel _ZN7rocprim17ROCPRIM_400000_NS6detail17trampoline_kernelINS0_14default_configENS1_38merge_sort_block_merge_config_selectorIdlEEZZNS1_27merge_sort_block_merge_implIS3_PdN6thrust23THRUST_200600_302600_NS10device_ptrIlEEjNS1_19radix_merge_compareILb0ELb0EdNS0_19identity_decomposerEEEEE10hipError_tT0_T1_T2_jT3_P12ihipStream_tbPNSt15iterator_traitsISG_E10value_typeEPNSM_ISH_E10value_typeEPSI_NS1_7vsmem_tEENKUlT_SG_SH_SI_E_clIS7_S7_PlSB_EESF_SV_SG_SH_SI_EUlSV_E0_NS1_11comp_targetILNS1_3genE3ELNS1_11target_archE908ELNS1_3gpuE7ELNS1_3repE0EEENS1_38merge_mergepath_config_static_selectorELNS0_4arch9wavefront6targetE1EEEvSH_
		.amdhsa_group_segment_fixed_size 0
		.amdhsa_private_segment_fixed_size 0
		.amdhsa_kernarg_size 64
		.amdhsa_user_sgpr_count 6
		.amdhsa_user_sgpr_private_segment_buffer 1
		.amdhsa_user_sgpr_dispatch_ptr 0
		.amdhsa_user_sgpr_queue_ptr 0
		.amdhsa_user_sgpr_kernarg_segment_ptr 1
		.amdhsa_user_sgpr_dispatch_id 0
		.amdhsa_user_sgpr_flat_scratch_init 0
		.amdhsa_user_sgpr_kernarg_preload_length 0
		.amdhsa_user_sgpr_kernarg_preload_offset 0
		.amdhsa_user_sgpr_private_segment_size 0
		.amdhsa_uses_dynamic_stack 0
		.amdhsa_system_sgpr_private_segment_wavefront_offset 0
		.amdhsa_system_sgpr_workgroup_id_x 1
		.amdhsa_system_sgpr_workgroup_id_y 0
		.amdhsa_system_sgpr_workgroup_id_z 0
		.amdhsa_system_sgpr_workgroup_info 0
		.amdhsa_system_vgpr_workitem_id 0
		.amdhsa_next_free_vgpr 1
		.amdhsa_next_free_sgpr 0
		.amdhsa_accum_offset 4
		.amdhsa_reserve_vcc 0
		.amdhsa_reserve_flat_scratch 0
		.amdhsa_float_round_mode_32 0
		.amdhsa_float_round_mode_16_64 0
		.amdhsa_float_denorm_mode_32 3
		.amdhsa_float_denorm_mode_16_64 3
		.amdhsa_dx10_clamp 1
		.amdhsa_ieee_mode 1
		.amdhsa_fp16_overflow 0
		.amdhsa_tg_split 0
		.amdhsa_exception_fp_ieee_invalid_op 0
		.amdhsa_exception_fp_denorm_src 0
		.amdhsa_exception_fp_ieee_div_zero 0
		.amdhsa_exception_fp_ieee_overflow 0
		.amdhsa_exception_fp_ieee_underflow 0
		.amdhsa_exception_fp_ieee_inexact 0
		.amdhsa_exception_int_div_zero 0
	.end_amdhsa_kernel
	.section	.text._ZN7rocprim17ROCPRIM_400000_NS6detail17trampoline_kernelINS0_14default_configENS1_38merge_sort_block_merge_config_selectorIdlEEZZNS1_27merge_sort_block_merge_implIS3_PdN6thrust23THRUST_200600_302600_NS10device_ptrIlEEjNS1_19radix_merge_compareILb0ELb0EdNS0_19identity_decomposerEEEEE10hipError_tT0_T1_T2_jT3_P12ihipStream_tbPNSt15iterator_traitsISG_E10value_typeEPNSM_ISH_E10value_typeEPSI_NS1_7vsmem_tEENKUlT_SG_SH_SI_E_clIS7_S7_PlSB_EESF_SV_SG_SH_SI_EUlSV_E0_NS1_11comp_targetILNS1_3genE3ELNS1_11target_archE908ELNS1_3gpuE7ELNS1_3repE0EEENS1_38merge_mergepath_config_static_selectorELNS0_4arch9wavefront6targetE1EEEvSH_,"axG",@progbits,_ZN7rocprim17ROCPRIM_400000_NS6detail17trampoline_kernelINS0_14default_configENS1_38merge_sort_block_merge_config_selectorIdlEEZZNS1_27merge_sort_block_merge_implIS3_PdN6thrust23THRUST_200600_302600_NS10device_ptrIlEEjNS1_19radix_merge_compareILb0ELb0EdNS0_19identity_decomposerEEEEE10hipError_tT0_T1_T2_jT3_P12ihipStream_tbPNSt15iterator_traitsISG_E10value_typeEPNSM_ISH_E10value_typeEPSI_NS1_7vsmem_tEENKUlT_SG_SH_SI_E_clIS7_S7_PlSB_EESF_SV_SG_SH_SI_EUlSV_E0_NS1_11comp_targetILNS1_3genE3ELNS1_11target_archE908ELNS1_3gpuE7ELNS1_3repE0EEENS1_38merge_mergepath_config_static_selectorELNS0_4arch9wavefront6targetE1EEEvSH_,comdat
.Lfunc_end1554:
	.size	_ZN7rocprim17ROCPRIM_400000_NS6detail17trampoline_kernelINS0_14default_configENS1_38merge_sort_block_merge_config_selectorIdlEEZZNS1_27merge_sort_block_merge_implIS3_PdN6thrust23THRUST_200600_302600_NS10device_ptrIlEEjNS1_19radix_merge_compareILb0ELb0EdNS0_19identity_decomposerEEEEE10hipError_tT0_T1_T2_jT3_P12ihipStream_tbPNSt15iterator_traitsISG_E10value_typeEPNSM_ISH_E10value_typeEPSI_NS1_7vsmem_tEENKUlT_SG_SH_SI_E_clIS7_S7_PlSB_EESF_SV_SG_SH_SI_EUlSV_E0_NS1_11comp_targetILNS1_3genE3ELNS1_11target_archE908ELNS1_3gpuE7ELNS1_3repE0EEENS1_38merge_mergepath_config_static_selectorELNS0_4arch9wavefront6targetE1EEEvSH_, .Lfunc_end1554-_ZN7rocprim17ROCPRIM_400000_NS6detail17trampoline_kernelINS0_14default_configENS1_38merge_sort_block_merge_config_selectorIdlEEZZNS1_27merge_sort_block_merge_implIS3_PdN6thrust23THRUST_200600_302600_NS10device_ptrIlEEjNS1_19radix_merge_compareILb0ELb0EdNS0_19identity_decomposerEEEEE10hipError_tT0_T1_T2_jT3_P12ihipStream_tbPNSt15iterator_traitsISG_E10value_typeEPNSM_ISH_E10value_typeEPSI_NS1_7vsmem_tEENKUlT_SG_SH_SI_E_clIS7_S7_PlSB_EESF_SV_SG_SH_SI_EUlSV_E0_NS1_11comp_targetILNS1_3genE3ELNS1_11target_archE908ELNS1_3gpuE7ELNS1_3repE0EEENS1_38merge_mergepath_config_static_selectorELNS0_4arch9wavefront6targetE1EEEvSH_
                                        ; -- End function
	.section	.AMDGPU.csdata,"",@progbits
; Kernel info:
; codeLenInByte = 0
; NumSgprs: 4
; NumVgprs: 0
; NumAgprs: 0
; TotalNumVgprs: 0
; ScratchSize: 0
; MemoryBound: 0
; FloatMode: 240
; IeeeMode: 1
; LDSByteSize: 0 bytes/workgroup (compile time only)
; SGPRBlocks: 0
; VGPRBlocks: 0
; NumSGPRsForWavesPerEU: 4
; NumVGPRsForWavesPerEU: 1
; AccumOffset: 4
; Occupancy: 8
; WaveLimiterHint : 0
; COMPUTE_PGM_RSRC2:SCRATCH_EN: 0
; COMPUTE_PGM_RSRC2:USER_SGPR: 6
; COMPUTE_PGM_RSRC2:TRAP_HANDLER: 0
; COMPUTE_PGM_RSRC2:TGID_X_EN: 1
; COMPUTE_PGM_RSRC2:TGID_Y_EN: 0
; COMPUTE_PGM_RSRC2:TGID_Z_EN: 0
; COMPUTE_PGM_RSRC2:TIDIG_COMP_CNT: 0
; COMPUTE_PGM_RSRC3_GFX90A:ACCUM_OFFSET: 0
; COMPUTE_PGM_RSRC3_GFX90A:TG_SPLIT: 0
	.section	.text._ZN7rocprim17ROCPRIM_400000_NS6detail17trampoline_kernelINS0_14default_configENS1_38merge_sort_block_merge_config_selectorIdlEEZZNS1_27merge_sort_block_merge_implIS3_PdN6thrust23THRUST_200600_302600_NS10device_ptrIlEEjNS1_19radix_merge_compareILb0ELb0EdNS0_19identity_decomposerEEEEE10hipError_tT0_T1_T2_jT3_P12ihipStream_tbPNSt15iterator_traitsISG_E10value_typeEPNSM_ISH_E10value_typeEPSI_NS1_7vsmem_tEENKUlT_SG_SH_SI_E_clIS7_S7_PlSB_EESF_SV_SG_SH_SI_EUlSV_E0_NS1_11comp_targetILNS1_3genE2ELNS1_11target_archE906ELNS1_3gpuE6ELNS1_3repE0EEENS1_38merge_mergepath_config_static_selectorELNS0_4arch9wavefront6targetE1EEEvSH_,"axG",@progbits,_ZN7rocprim17ROCPRIM_400000_NS6detail17trampoline_kernelINS0_14default_configENS1_38merge_sort_block_merge_config_selectorIdlEEZZNS1_27merge_sort_block_merge_implIS3_PdN6thrust23THRUST_200600_302600_NS10device_ptrIlEEjNS1_19radix_merge_compareILb0ELb0EdNS0_19identity_decomposerEEEEE10hipError_tT0_T1_T2_jT3_P12ihipStream_tbPNSt15iterator_traitsISG_E10value_typeEPNSM_ISH_E10value_typeEPSI_NS1_7vsmem_tEENKUlT_SG_SH_SI_E_clIS7_S7_PlSB_EESF_SV_SG_SH_SI_EUlSV_E0_NS1_11comp_targetILNS1_3genE2ELNS1_11target_archE906ELNS1_3gpuE6ELNS1_3repE0EEENS1_38merge_mergepath_config_static_selectorELNS0_4arch9wavefront6targetE1EEEvSH_,comdat
	.protected	_ZN7rocprim17ROCPRIM_400000_NS6detail17trampoline_kernelINS0_14default_configENS1_38merge_sort_block_merge_config_selectorIdlEEZZNS1_27merge_sort_block_merge_implIS3_PdN6thrust23THRUST_200600_302600_NS10device_ptrIlEEjNS1_19radix_merge_compareILb0ELb0EdNS0_19identity_decomposerEEEEE10hipError_tT0_T1_T2_jT3_P12ihipStream_tbPNSt15iterator_traitsISG_E10value_typeEPNSM_ISH_E10value_typeEPSI_NS1_7vsmem_tEENKUlT_SG_SH_SI_E_clIS7_S7_PlSB_EESF_SV_SG_SH_SI_EUlSV_E0_NS1_11comp_targetILNS1_3genE2ELNS1_11target_archE906ELNS1_3gpuE6ELNS1_3repE0EEENS1_38merge_mergepath_config_static_selectorELNS0_4arch9wavefront6targetE1EEEvSH_ ; -- Begin function _ZN7rocprim17ROCPRIM_400000_NS6detail17trampoline_kernelINS0_14default_configENS1_38merge_sort_block_merge_config_selectorIdlEEZZNS1_27merge_sort_block_merge_implIS3_PdN6thrust23THRUST_200600_302600_NS10device_ptrIlEEjNS1_19radix_merge_compareILb0ELb0EdNS0_19identity_decomposerEEEEE10hipError_tT0_T1_T2_jT3_P12ihipStream_tbPNSt15iterator_traitsISG_E10value_typeEPNSM_ISH_E10value_typeEPSI_NS1_7vsmem_tEENKUlT_SG_SH_SI_E_clIS7_S7_PlSB_EESF_SV_SG_SH_SI_EUlSV_E0_NS1_11comp_targetILNS1_3genE2ELNS1_11target_archE906ELNS1_3gpuE6ELNS1_3repE0EEENS1_38merge_mergepath_config_static_selectorELNS0_4arch9wavefront6targetE1EEEvSH_
	.globl	_ZN7rocprim17ROCPRIM_400000_NS6detail17trampoline_kernelINS0_14default_configENS1_38merge_sort_block_merge_config_selectorIdlEEZZNS1_27merge_sort_block_merge_implIS3_PdN6thrust23THRUST_200600_302600_NS10device_ptrIlEEjNS1_19radix_merge_compareILb0ELb0EdNS0_19identity_decomposerEEEEE10hipError_tT0_T1_T2_jT3_P12ihipStream_tbPNSt15iterator_traitsISG_E10value_typeEPNSM_ISH_E10value_typeEPSI_NS1_7vsmem_tEENKUlT_SG_SH_SI_E_clIS7_S7_PlSB_EESF_SV_SG_SH_SI_EUlSV_E0_NS1_11comp_targetILNS1_3genE2ELNS1_11target_archE906ELNS1_3gpuE6ELNS1_3repE0EEENS1_38merge_mergepath_config_static_selectorELNS0_4arch9wavefront6targetE1EEEvSH_
	.p2align	8
	.type	_ZN7rocprim17ROCPRIM_400000_NS6detail17trampoline_kernelINS0_14default_configENS1_38merge_sort_block_merge_config_selectorIdlEEZZNS1_27merge_sort_block_merge_implIS3_PdN6thrust23THRUST_200600_302600_NS10device_ptrIlEEjNS1_19radix_merge_compareILb0ELb0EdNS0_19identity_decomposerEEEEE10hipError_tT0_T1_T2_jT3_P12ihipStream_tbPNSt15iterator_traitsISG_E10value_typeEPNSM_ISH_E10value_typeEPSI_NS1_7vsmem_tEENKUlT_SG_SH_SI_E_clIS7_S7_PlSB_EESF_SV_SG_SH_SI_EUlSV_E0_NS1_11comp_targetILNS1_3genE2ELNS1_11target_archE906ELNS1_3gpuE6ELNS1_3repE0EEENS1_38merge_mergepath_config_static_selectorELNS0_4arch9wavefront6targetE1EEEvSH_,@function
_ZN7rocprim17ROCPRIM_400000_NS6detail17trampoline_kernelINS0_14default_configENS1_38merge_sort_block_merge_config_selectorIdlEEZZNS1_27merge_sort_block_merge_implIS3_PdN6thrust23THRUST_200600_302600_NS10device_ptrIlEEjNS1_19radix_merge_compareILb0ELb0EdNS0_19identity_decomposerEEEEE10hipError_tT0_T1_T2_jT3_P12ihipStream_tbPNSt15iterator_traitsISG_E10value_typeEPNSM_ISH_E10value_typeEPSI_NS1_7vsmem_tEENKUlT_SG_SH_SI_E_clIS7_S7_PlSB_EESF_SV_SG_SH_SI_EUlSV_E0_NS1_11comp_targetILNS1_3genE2ELNS1_11target_archE906ELNS1_3gpuE6ELNS1_3repE0EEENS1_38merge_mergepath_config_static_selectorELNS0_4arch9wavefront6targetE1EEEvSH_: ; @_ZN7rocprim17ROCPRIM_400000_NS6detail17trampoline_kernelINS0_14default_configENS1_38merge_sort_block_merge_config_selectorIdlEEZZNS1_27merge_sort_block_merge_implIS3_PdN6thrust23THRUST_200600_302600_NS10device_ptrIlEEjNS1_19radix_merge_compareILb0ELb0EdNS0_19identity_decomposerEEEEE10hipError_tT0_T1_T2_jT3_P12ihipStream_tbPNSt15iterator_traitsISG_E10value_typeEPNSM_ISH_E10value_typeEPSI_NS1_7vsmem_tEENKUlT_SG_SH_SI_E_clIS7_S7_PlSB_EESF_SV_SG_SH_SI_EUlSV_E0_NS1_11comp_targetILNS1_3genE2ELNS1_11target_archE906ELNS1_3gpuE6ELNS1_3repE0EEENS1_38merge_mergepath_config_static_selectorELNS0_4arch9wavefront6targetE1EEEvSH_
; %bb.0:
	.section	.rodata,"a",@progbits
	.p2align	6, 0x0
	.amdhsa_kernel _ZN7rocprim17ROCPRIM_400000_NS6detail17trampoline_kernelINS0_14default_configENS1_38merge_sort_block_merge_config_selectorIdlEEZZNS1_27merge_sort_block_merge_implIS3_PdN6thrust23THRUST_200600_302600_NS10device_ptrIlEEjNS1_19radix_merge_compareILb0ELb0EdNS0_19identity_decomposerEEEEE10hipError_tT0_T1_T2_jT3_P12ihipStream_tbPNSt15iterator_traitsISG_E10value_typeEPNSM_ISH_E10value_typeEPSI_NS1_7vsmem_tEENKUlT_SG_SH_SI_E_clIS7_S7_PlSB_EESF_SV_SG_SH_SI_EUlSV_E0_NS1_11comp_targetILNS1_3genE2ELNS1_11target_archE906ELNS1_3gpuE6ELNS1_3repE0EEENS1_38merge_mergepath_config_static_selectorELNS0_4arch9wavefront6targetE1EEEvSH_
		.amdhsa_group_segment_fixed_size 0
		.amdhsa_private_segment_fixed_size 0
		.amdhsa_kernarg_size 64
		.amdhsa_user_sgpr_count 6
		.amdhsa_user_sgpr_private_segment_buffer 1
		.amdhsa_user_sgpr_dispatch_ptr 0
		.amdhsa_user_sgpr_queue_ptr 0
		.amdhsa_user_sgpr_kernarg_segment_ptr 1
		.amdhsa_user_sgpr_dispatch_id 0
		.amdhsa_user_sgpr_flat_scratch_init 0
		.amdhsa_user_sgpr_kernarg_preload_length 0
		.amdhsa_user_sgpr_kernarg_preload_offset 0
		.amdhsa_user_sgpr_private_segment_size 0
		.amdhsa_uses_dynamic_stack 0
		.amdhsa_system_sgpr_private_segment_wavefront_offset 0
		.amdhsa_system_sgpr_workgroup_id_x 1
		.amdhsa_system_sgpr_workgroup_id_y 0
		.amdhsa_system_sgpr_workgroup_id_z 0
		.amdhsa_system_sgpr_workgroup_info 0
		.amdhsa_system_vgpr_workitem_id 0
		.amdhsa_next_free_vgpr 1
		.amdhsa_next_free_sgpr 0
		.amdhsa_accum_offset 4
		.amdhsa_reserve_vcc 0
		.amdhsa_reserve_flat_scratch 0
		.amdhsa_float_round_mode_32 0
		.amdhsa_float_round_mode_16_64 0
		.amdhsa_float_denorm_mode_32 3
		.amdhsa_float_denorm_mode_16_64 3
		.amdhsa_dx10_clamp 1
		.amdhsa_ieee_mode 1
		.amdhsa_fp16_overflow 0
		.amdhsa_tg_split 0
		.amdhsa_exception_fp_ieee_invalid_op 0
		.amdhsa_exception_fp_denorm_src 0
		.amdhsa_exception_fp_ieee_div_zero 0
		.amdhsa_exception_fp_ieee_overflow 0
		.amdhsa_exception_fp_ieee_underflow 0
		.amdhsa_exception_fp_ieee_inexact 0
		.amdhsa_exception_int_div_zero 0
	.end_amdhsa_kernel
	.section	.text._ZN7rocprim17ROCPRIM_400000_NS6detail17trampoline_kernelINS0_14default_configENS1_38merge_sort_block_merge_config_selectorIdlEEZZNS1_27merge_sort_block_merge_implIS3_PdN6thrust23THRUST_200600_302600_NS10device_ptrIlEEjNS1_19radix_merge_compareILb0ELb0EdNS0_19identity_decomposerEEEEE10hipError_tT0_T1_T2_jT3_P12ihipStream_tbPNSt15iterator_traitsISG_E10value_typeEPNSM_ISH_E10value_typeEPSI_NS1_7vsmem_tEENKUlT_SG_SH_SI_E_clIS7_S7_PlSB_EESF_SV_SG_SH_SI_EUlSV_E0_NS1_11comp_targetILNS1_3genE2ELNS1_11target_archE906ELNS1_3gpuE6ELNS1_3repE0EEENS1_38merge_mergepath_config_static_selectorELNS0_4arch9wavefront6targetE1EEEvSH_,"axG",@progbits,_ZN7rocprim17ROCPRIM_400000_NS6detail17trampoline_kernelINS0_14default_configENS1_38merge_sort_block_merge_config_selectorIdlEEZZNS1_27merge_sort_block_merge_implIS3_PdN6thrust23THRUST_200600_302600_NS10device_ptrIlEEjNS1_19radix_merge_compareILb0ELb0EdNS0_19identity_decomposerEEEEE10hipError_tT0_T1_T2_jT3_P12ihipStream_tbPNSt15iterator_traitsISG_E10value_typeEPNSM_ISH_E10value_typeEPSI_NS1_7vsmem_tEENKUlT_SG_SH_SI_E_clIS7_S7_PlSB_EESF_SV_SG_SH_SI_EUlSV_E0_NS1_11comp_targetILNS1_3genE2ELNS1_11target_archE906ELNS1_3gpuE6ELNS1_3repE0EEENS1_38merge_mergepath_config_static_selectorELNS0_4arch9wavefront6targetE1EEEvSH_,comdat
.Lfunc_end1555:
	.size	_ZN7rocprim17ROCPRIM_400000_NS6detail17trampoline_kernelINS0_14default_configENS1_38merge_sort_block_merge_config_selectorIdlEEZZNS1_27merge_sort_block_merge_implIS3_PdN6thrust23THRUST_200600_302600_NS10device_ptrIlEEjNS1_19radix_merge_compareILb0ELb0EdNS0_19identity_decomposerEEEEE10hipError_tT0_T1_T2_jT3_P12ihipStream_tbPNSt15iterator_traitsISG_E10value_typeEPNSM_ISH_E10value_typeEPSI_NS1_7vsmem_tEENKUlT_SG_SH_SI_E_clIS7_S7_PlSB_EESF_SV_SG_SH_SI_EUlSV_E0_NS1_11comp_targetILNS1_3genE2ELNS1_11target_archE906ELNS1_3gpuE6ELNS1_3repE0EEENS1_38merge_mergepath_config_static_selectorELNS0_4arch9wavefront6targetE1EEEvSH_, .Lfunc_end1555-_ZN7rocprim17ROCPRIM_400000_NS6detail17trampoline_kernelINS0_14default_configENS1_38merge_sort_block_merge_config_selectorIdlEEZZNS1_27merge_sort_block_merge_implIS3_PdN6thrust23THRUST_200600_302600_NS10device_ptrIlEEjNS1_19radix_merge_compareILb0ELb0EdNS0_19identity_decomposerEEEEE10hipError_tT0_T1_T2_jT3_P12ihipStream_tbPNSt15iterator_traitsISG_E10value_typeEPNSM_ISH_E10value_typeEPSI_NS1_7vsmem_tEENKUlT_SG_SH_SI_E_clIS7_S7_PlSB_EESF_SV_SG_SH_SI_EUlSV_E0_NS1_11comp_targetILNS1_3genE2ELNS1_11target_archE906ELNS1_3gpuE6ELNS1_3repE0EEENS1_38merge_mergepath_config_static_selectorELNS0_4arch9wavefront6targetE1EEEvSH_
                                        ; -- End function
	.section	.AMDGPU.csdata,"",@progbits
; Kernel info:
; codeLenInByte = 0
; NumSgprs: 4
; NumVgprs: 0
; NumAgprs: 0
; TotalNumVgprs: 0
; ScratchSize: 0
; MemoryBound: 0
; FloatMode: 240
; IeeeMode: 1
; LDSByteSize: 0 bytes/workgroup (compile time only)
; SGPRBlocks: 0
; VGPRBlocks: 0
; NumSGPRsForWavesPerEU: 4
; NumVGPRsForWavesPerEU: 1
; AccumOffset: 4
; Occupancy: 8
; WaveLimiterHint : 0
; COMPUTE_PGM_RSRC2:SCRATCH_EN: 0
; COMPUTE_PGM_RSRC2:USER_SGPR: 6
; COMPUTE_PGM_RSRC2:TRAP_HANDLER: 0
; COMPUTE_PGM_RSRC2:TGID_X_EN: 1
; COMPUTE_PGM_RSRC2:TGID_Y_EN: 0
; COMPUTE_PGM_RSRC2:TGID_Z_EN: 0
; COMPUTE_PGM_RSRC2:TIDIG_COMP_CNT: 0
; COMPUTE_PGM_RSRC3_GFX90A:ACCUM_OFFSET: 0
; COMPUTE_PGM_RSRC3_GFX90A:TG_SPLIT: 0
	.section	.text._ZN7rocprim17ROCPRIM_400000_NS6detail17trampoline_kernelINS0_14default_configENS1_38merge_sort_block_merge_config_selectorIdlEEZZNS1_27merge_sort_block_merge_implIS3_PdN6thrust23THRUST_200600_302600_NS10device_ptrIlEEjNS1_19radix_merge_compareILb0ELb0EdNS0_19identity_decomposerEEEEE10hipError_tT0_T1_T2_jT3_P12ihipStream_tbPNSt15iterator_traitsISG_E10value_typeEPNSM_ISH_E10value_typeEPSI_NS1_7vsmem_tEENKUlT_SG_SH_SI_E_clIS7_S7_PlSB_EESF_SV_SG_SH_SI_EUlSV_E0_NS1_11comp_targetILNS1_3genE9ELNS1_11target_archE1100ELNS1_3gpuE3ELNS1_3repE0EEENS1_38merge_mergepath_config_static_selectorELNS0_4arch9wavefront6targetE1EEEvSH_,"axG",@progbits,_ZN7rocprim17ROCPRIM_400000_NS6detail17trampoline_kernelINS0_14default_configENS1_38merge_sort_block_merge_config_selectorIdlEEZZNS1_27merge_sort_block_merge_implIS3_PdN6thrust23THRUST_200600_302600_NS10device_ptrIlEEjNS1_19radix_merge_compareILb0ELb0EdNS0_19identity_decomposerEEEEE10hipError_tT0_T1_T2_jT3_P12ihipStream_tbPNSt15iterator_traitsISG_E10value_typeEPNSM_ISH_E10value_typeEPSI_NS1_7vsmem_tEENKUlT_SG_SH_SI_E_clIS7_S7_PlSB_EESF_SV_SG_SH_SI_EUlSV_E0_NS1_11comp_targetILNS1_3genE9ELNS1_11target_archE1100ELNS1_3gpuE3ELNS1_3repE0EEENS1_38merge_mergepath_config_static_selectorELNS0_4arch9wavefront6targetE1EEEvSH_,comdat
	.protected	_ZN7rocprim17ROCPRIM_400000_NS6detail17trampoline_kernelINS0_14default_configENS1_38merge_sort_block_merge_config_selectorIdlEEZZNS1_27merge_sort_block_merge_implIS3_PdN6thrust23THRUST_200600_302600_NS10device_ptrIlEEjNS1_19radix_merge_compareILb0ELb0EdNS0_19identity_decomposerEEEEE10hipError_tT0_T1_T2_jT3_P12ihipStream_tbPNSt15iterator_traitsISG_E10value_typeEPNSM_ISH_E10value_typeEPSI_NS1_7vsmem_tEENKUlT_SG_SH_SI_E_clIS7_S7_PlSB_EESF_SV_SG_SH_SI_EUlSV_E0_NS1_11comp_targetILNS1_3genE9ELNS1_11target_archE1100ELNS1_3gpuE3ELNS1_3repE0EEENS1_38merge_mergepath_config_static_selectorELNS0_4arch9wavefront6targetE1EEEvSH_ ; -- Begin function _ZN7rocprim17ROCPRIM_400000_NS6detail17trampoline_kernelINS0_14default_configENS1_38merge_sort_block_merge_config_selectorIdlEEZZNS1_27merge_sort_block_merge_implIS3_PdN6thrust23THRUST_200600_302600_NS10device_ptrIlEEjNS1_19radix_merge_compareILb0ELb0EdNS0_19identity_decomposerEEEEE10hipError_tT0_T1_T2_jT3_P12ihipStream_tbPNSt15iterator_traitsISG_E10value_typeEPNSM_ISH_E10value_typeEPSI_NS1_7vsmem_tEENKUlT_SG_SH_SI_E_clIS7_S7_PlSB_EESF_SV_SG_SH_SI_EUlSV_E0_NS1_11comp_targetILNS1_3genE9ELNS1_11target_archE1100ELNS1_3gpuE3ELNS1_3repE0EEENS1_38merge_mergepath_config_static_selectorELNS0_4arch9wavefront6targetE1EEEvSH_
	.globl	_ZN7rocprim17ROCPRIM_400000_NS6detail17trampoline_kernelINS0_14default_configENS1_38merge_sort_block_merge_config_selectorIdlEEZZNS1_27merge_sort_block_merge_implIS3_PdN6thrust23THRUST_200600_302600_NS10device_ptrIlEEjNS1_19radix_merge_compareILb0ELb0EdNS0_19identity_decomposerEEEEE10hipError_tT0_T1_T2_jT3_P12ihipStream_tbPNSt15iterator_traitsISG_E10value_typeEPNSM_ISH_E10value_typeEPSI_NS1_7vsmem_tEENKUlT_SG_SH_SI_E_clIS7_S7_PlSB_EESF_SV_SG_SH_SI_EUlSV_E0_NS1_11comp_targetILNS1_3genE9ELNS1_11target_archE1100ELNS1_3gpuE3ELNS1_3repE0EEENS1_38merge_mergepath_config_static_selectorELNS0_4arch9wavefront6targetE1EEEvSH_
	.p2align	8
	.type	_ZN7rocprim17ROCPRIM_400000_NS6detail17trampoline_kernelINS0_14default_configENS1_38merge_sort_block_merge_config_selectorIdlEEZZNS1_27merge_sort_block_merge_implIS3_PdN6thrust23THRUST_200600_302600_NS10device_ptrIlEEjNS1_19radix_merge_compareILb0ELb0EdNS0_19identity_decomposerEEEEE10hipError_tT0_T1_T2_jT3_P12ihipStream_tbPNSt15iterator_traitsISG_E10value_typeEPNSM_ISH_E10value_typeEPSI_NS1_7vsmem_tEENKUlT_SG_SH_SI_E_clIS7_S7_PlSB_EESF_SV_SG_SH_SI_EUlSV_E0_NS1_11comp_targetILNS1_3genE9ELNS1_11target_archE1100ELNS1_3gpuE3ELNS1_3repE0EEENS1_38merge_mergepath_config_static_selectorELNS0_4arch9wavefront6targetE1EEEvSH_,@function
_ZN7rocprim17ROCPRIM_400000_NS6detail17trampoline_kernelINS0_14default_configENS1_38merge_sort_block_merge_config_selectorIdlEEZZNS1_27merge_sort_block_merge_implIS3_PdN6thrust23THRUST_200600_302600_NS10device_ptrIlEEjNS1_19radix_merge_compareILb0ELb0EdNS0_19identity_decomposerEEEEE10hipError_tT0_T1_T2_jT3_P12ihipStream_tbPNSt15iterator_traitsISG_E10value_typeEPNSM_ISH_E10value_typeEPSI_NS1_7vsmem_tEENKUlT_SG_SH_SI_E_clIS7_S7_PlSB_EESF_SV_SG_SH_SI_EUlSV_E0_NS1_11comp_targetILNS1_3genE9ELNS1_11target_archE1100ELNS1_3gpuE3ELNS1_3repE0EEENS1_38merge_mergepath_config_static_selectorELNS0_4arch9wavefront6targetE1EEEvSH_: ; @_ZN7rocprim17ROCPRIM_400000_NS6detail17trampoline_kernelINS0_14default_configENS1_38merge_sort_block_merge_config_selectorIdlEEZZNS1_27merge_sort_block_merge_implIS3_PdN6thrust23THRUST_200600_302600_NS10device_ptrIlEEjNS1_19radix_merge_compareILb0ELb0EdNS0_19identity_decomposerEEEEE10hipError_tT0_T1_T2_jT3_P12ihipStream_tbPNSt15iterator_traitsISG_E10value_typeEPNSM_ISH_E10value_typeEPSI_NS1_7vsmem_tEENKUlT_SG_SH_SI_E_clIS7_S7_PlSB_EESF_SV_SG_SH_SI_EUlSV_E0_NS1_11comp_targetILNS1_3genE9ELNS1_11target_archE1100ELNS1_3gpuE3ELNS1_3repE0EEENS1_38merge_mergepath_config_static_selectorELNS0_4arch9wavefront6targetE1EEEvSH_
; %bb.0:
	.section	.rodata,"a",@progbits
	.p2align	6, 0x0
	.amdhsa_kernel _ZN7rocprim17ROCPRIM_400000_NS6detail17trampoline_kernelINS0_14default_configENS1_38merge_sort_block_merge_config_selectorIdlEEZZNS1_27merge_sort_block_merge_implIS3_PdN6thrust23THRUST_200600_302600_NS10device_ptrIlEEjNS1_19radix_merge_compareILb0ELb0EdNS0_19identity_decomposerEEEEE10hipError_tT0_T1_T2_jT3_P12ihipStream_tbPNSt15iterator_traitsISG_E10value_typeEPNSM_ISH_E10value_typeEPSI_NS1_7vsmem_tEENKUlT_SG_SH_SI_E_clIS7_S7_PlSB_EESF_SV_SG_SH_SI_EUlSV_E0_NS1_11comp_targetILNS1_3genE9ELNS1_11target_archE1100ELNS1_3gpuE3ELNS1_3repE0EEENS1_38merge_mergepath_config_static_selectorELNS0_4arch9wavefront6targetE1EEEvSH_
		.amdhsa_group_segment_fixed_size 0
		.amdhsa_private_segment_fixed_size 0
		.amdhsa_kernarg_size 64
		.amdhsa_user_sgpr_count 6
		.amdhsa_user_sgpr_private_segment_buffer 1
		.amdhsa_user_sgpr_dispatch_ptr 0
		.amdhsa_user_sgpr_queue_ptr 0
		.amdhsa_user_sgpr_kernarg_segment_ptr 1
		.amdhsa_user_sgpr_dispatch_id 0
		.amdhsa_user_sgpr_flat_scratch_init 0
		.amdhsa_user_sgpr_kernarg_preload_length 0
		.amdhsa_user_sgpr_kernarg_preload_offset 0
		.amdhsa_user_sgpr_private_segment_size 0
		.amdhsa_uses_dynamic_stack 0
		.amdhsa_system_sgpr_private_segment_wavefront_offset 0
		.amdhsa_system_sgpr_workgroup_id_x 1
		.amdhsa_system_sgpr_workgroup_id_y 0
		.amdhsa_system_sgpr_workgroup_id_z 0
		.amdhsa_system_sgpr_workgroup_info 0
		.amdhsa_system_vgpr_workitem_id 0
		.amdhsa_next_free_vgpr 1
		.amdhsa_next_free_sgpr 0
		.amdhsa_accum_offset 4
		.amdhsa_reserve_vcc 0
		.amdhsa_reserve_flat_scratch 0
		.amdhsa_float_round_mode_32 0
		.amdhsa_float_round_mode_16_64 0
		.amdhsa_float_denorm_mode_32 3
		.amdhsa_float_denorm_mode_16_64 3
		.amdhsa_dx10_clamp 1
		.amdhsa_ieee_mode 1
		.amdhsa_fp16_overflow 0
		.amdhsa_tg_split 0
		.amdhsa_exception_fp_ieee_invalid_op 0
		.amdhsa_exception_fp_denorm_src 0
		.amdhsa_exception_fp_ieee_div_zero 0
		.amdhsa_exception_fp_ieee_overflow 0
		.amdhsa_exception_fp_ieee_underflow 0
		.amdhsa_exception_fp_ieee_inexact 0
		.amdhsa_exception_int_div_zero 0
	.end_amdhsa_kernel
	.section	.text._ZN7rocprim17ROCPRIM_400000_NS6detail17trampoline_kernelINS0_14default_configENS1_38merge_sort_block_merge_config_selectorIdlEEZZNS1_27merge_sort_block_merge_implIS3_PdN6thrust23THRUST_200600_302600_NS10device_ptrIlEEjNS1_19radix_merge_compareILb0ELb0EdNS0_19identity_decomposerEEEEE10hipError_tT0_T1_T2_jT3_P12ihipStream_tbPNSt15iterator_traitsISG_E10value_typeEPNSM_ISH_E10value_typeEPSI_NS1_7vsmem_tEENKUlT_SG_SH_SI_E_clIS7_S7_PlSB_EESF_SV_SG_SH_SI_EUlSV_E0_NS1_11comp_targetILNS1_3genE9ELNS1_11target_archE1100ELNS1_3gpuE3ELNS1_3repE0EEENS1_38merge_mergepath_config_static_selectorELNS0_4arch9wavefront6targetE1EEEvSH_,"axG",@progbits,_ZN7rocprim17ROCPRIM_400000_NS6detail17trampoline_kernelINS0_14default_configENS1_38merge_sort_block_merge_config_selectorIdlEEZZNS1_27merge_sort_block_merge_implIS3_PdN6thrust23THRUST_200600_302600_NS10device_ptrIlEEjNS1_19radix_merge_compareILb0ELb0EdNS0_19identity_decomposerEEEEE10hipError_tT0_T1_T2_jT3_P12ihipStream_tbPNSt15iterator_traitsISG_E10value_typeEPNSM_ISH_E10value_typeEPSI_NS1_7vsmem_tEENKUlT_SG_SH_SI_E_clIS7_S7_PlSB_EESF_SV_SG_SH_SI_EUlSV_E0_NS1_11comp_targetILNS1_3genE9ELNS1_11target_archE1100ELNS1_3gpuE3ELNS1_3repE0EEENS1_38merge_mergepath_config_static_selectorELNS0_4arch9wavefront6targetE1EEEvSH_,comdat
.Lfunc_end1556:
	.size	_ZN7rocprim17ROCPRIM_400000_NS6detail17trampoline_kernelINS0_14default_configENS1_38merge_sort_block_merge_config_selectorIdlEEZZNS1_27merge_sort_block_merge_implIS3_PdN6thrust23THRUST_200600_302600_NS10device_ptrIlEEjNS1_19radix_merge_compareILb0ELb0EdNS0_19identity_decomposerEEEEE10hipError_tT0_T1_T2_jT3_P12ihipStream_tbPNSt15iterator_traitsISG_E10value_typeEPNSM_ISH_E10value_typeEPSI_NS1_7vsmem_tEENKUlT_SG_SH_SI_E_clIS7_S7_PlSB_EESF_SV_SG_SH_SI_EUlSV_E0_NS1_11comp_targetILNS1_3genE9ELNS1_11target_archE1100ELNS1_3gpuE3ELNS1_3repE0EEENS1_38merge_mergepath_config_static_selectorELNS0_4arch9wavefront6targetE1EEEvSH_, .Lfunc_end1556-_ZN7rocprim17ROCPRIM_400000_NS6detail17trampoline_kernelINS0_14default_configENS1_38merge_sort_block_merge_config_selectorIdlEEZZNS1_27merge_sort_block_merge_implIS3_PdN6thrust23THRUST_200600_302600_NS10device_ptrIlEEjNS1_19radix_merge_compareILb0ELb0EdNS0_19identity_decomposerEEEEE10hipError_tT0_T1_T2_jT3_P12ihipStream_tbPNSt15iterator_traitsISG_E10value_typeEPNSM_ISH_E10value_typeEPSI_NS1_7vsmem_tEENKUlT_SG_SH_SI_E_clIS7_S7_PlSB_EESF_SV_SG_SH_SI_EUlSV_E0_NS1_11comp_targetILNS1_3genE9ELNS1_11target_archE1100ELNS1_3gpuE3ELNS1_3repE0EEENS1_38merge_mergepath_config_static_selectorELNS0_4arch9wavefront6targetE1EEEvSH_
                                        ; -- End function
	.section	.AMDGPU.csdata,"",@progbits
; Kernel info:
; codeLenInByte = 0
; NumSgprs: 4
; NumVgprs: 0
; NumAgprs: 0
; TotalNumVgprs: 0
; ScratchSize: 0
; MemoryBound: 0
; FloatMode: 240
; IeeeMode: 1
; LDSByteSize: 0 bytes/workgroup (compile time only)
; SGPRBlocks: 0
; VGPRBlocks: 0
; NumSGPRsForWavesPerEU: 4
; NumVGPRsForWavesPerEU: 1
; AccumOffset: 4
; Occupancy: 8
; WaveLimiterHint : 0
; COMPUTE_PGM_RSRC2:SCRATCH_EN: 0
; COMPUTE_PGM_RSRC2:USER_SGPR: 6
; COMPUTE_PGM_RSRC2:TRAP_HANDLER: 0
; COMPUTE_PGM_RSRC2:TGID_X_EN: 1
; COMPUTE_PGM_RSRC2:TGID_Y_EN: 0
; COMPUTE_PGM_RSRC2:TGID_Z_EN: 0
; COMPUTE_PGM_RSRC2:TIDIG_COMP_CNT: 0
; COMPUTE_PGM_RSRC3_GFX90A:ACCUM_OFFSET: 0
; COMPUTE_PGM_RSRC3_GFX90A:TG_SPLIT: 0
	.section	.text._ZN7rocprim17ROCPRIM_400000_NS6detail17trampoline_kernelINS0_14default_configENS1_38merge_sort_block_merge_config_selectorIdlEEZZNS1_27merge_sort_block_merge_implIS3_PdN6thrust23THRUST_200600_302600_NS10device_ptrIlEEjNS1_19radix_merge_compareILb0ELb0EdNS0_19identity_decomposerEEEEE10hipError_tT0_T1_T2_jT3_P12ihipStream_tbPNSt15iterator_traitsISG_E10value_typeEPNSM_ISH_E10value_typeEPSI_NS1_7vsmem_tEENKUlT_SG_SH_SI_E_clIS7_S7_PlSB_EESF_SV_SG_SH_SI_EUlSV_E0_NS1_11comp_targetILNS1_3genE8ELNS1_11target_archE1030ELNS1_3gpuE2ELNS1_3repE0EEENS1_38merge_mergepath_config_static_selectorELNS0_4arch9wavefront6targetE1EEEvSH_,"axG",@progbits,_ZN7rocprim17ROCPRIM_400000_NS6detail17trampoline_kernelINS0_14default_configENS1_38merge_sort_block_merge_config_selectorIdlEEZZNS1_27merge_sort_block_merge_implIS3_PdN6thrust23THRUST_200600_302600_NS10device_ptrIlEEjNS1_19radix_merge_compareILb0ELb0EdNS0_19identity_decomposerEEEEE10hipError_tT0_T1_T2_jT3_P12ihipStream_tbPNSt15iterator_traitsISG_E10value_typeEPNSM_ISH_E10value_typeEPSI_NS1_7vsmem_tEENKUlT_SG_SH_SI_E_clIS7_S7_PlSB_EESF_SV_SG_SH_SI_EUlSV_E0_NS1_11comp_targetILNS1_3genE8ELNS1_11target_archE1030ELNS1_3gpuE2ELNS1_3repE0EEENS1_38merge_mergepath_config_static_selectorELNS0_4arch9wavefront6targetE1EEEvSH_,comdat
	.protected	_ZN7rocprim17ROCPRIM_400000_NS6detail17trampoline_kernelINS0_14default_configENS1_38merge_sort_block_merge_config_selectorIdlEEZZNS1_27merge_sort_block_merge_implIS3_PdN6thrust23THRUST_200600_302600_NS10device_ptrIlEEjNS1_19radix_merge_compareILb0ELb0EdNS0_19identity_decomposerEEEEE10hipError_tT0_T1_T2_jT3_P12ihipStream_tbPNSt15iterator_traitsISG_E10value_typeEPNSM_ISH_E10value_typeEPSI_NS1_7vsmem_tEENKUlT_SG_SH_SI_E_clIS7_S7_PlSB_EESF_SV_SG_SH_SI_EUlSV_E0_NS1_11comp_targetILNS1_3genE8ELNS1_11target_archE1030ELNS1_3gpuE2ELNS1_3repE0EEENS1_38merge_mergepath_config_static_selectorELNS0_4arch9wavefront6targetE1EEEvSH_ ; -- Begin function _ZN7rocprim17ROCPRIM_400000_NS6detail17trampoline_kernelINS0_14default_configENS1_38merge_sort_block_merge_config_selectorIdlEEZZNS1_27merge_sort_block_merge_implIS3_PdN6thrust23THRUST_200600_302600_NS10device_ptrIlEEjNS1_19radix_merge_compareILb0ELb0EdNS0_19identity_decomposerEEEEE10hipError_tT0_T1_T2_jT3_P12ihipStream_tbPNSt15iterator_traitsISG_E10value_typeEPNSM_ISH_E10value_typeEPSI_NS1_7vsmem_tEENKUlT_SG_SH_SI_E_clIS7_S7_PlSB_EESF_SV_SG_SH_SI_EUlSV_E0_NS1_11comp_targetILNS1_3genE8ELNS1_11target_archE1030ELNS1_3gpuE2ELNS1_3repE0EEENS1_38merge_mergepath_config_static_selectorELNS0_4arch9wavefront6targetE1EEEvSH_
	.globl	_ZN7rocprim17ROCPRIM_400000_NS6detail17trampoline_kernelINS0_14default_configENS1_38merge_sort_block_merge_config_selectorIdlEEZZNS1_27merge_sort_block_merge_implIS3_PdN6thrust23THRUST_200600_302600_NS10device_ptrIlEEjNS1_19radix_merge_compareILb0ELb0EdNS0_19identity_decomposerEEEEE10hipError_tT0_T1_T2_jT3_P12ihipStream_tbPNSt15iterator_traitsISG_E10value_typeEPNSM_ISH_E10value_typeEPSI_NS1_7vsmem_tEENKUlT_SG_SH_SI_E_clIS7_S7_PlSB_EESF_SV_SG_SH_SI_EUlSV_E0_NS1_11comp_targetILNS1_3genE8ELNS1_11target_archE1030ELNS1_3gpuE2ELNS1_3repE0EEENS1_38merge_mergepath_config_static_selectorELNS0_4arch9wavefront6targetE1EEEvSH_
	.p2align	8
	.type	_ZN7rocprim17ROCPRIM_400000_NS6detail17trampoline_kernelINS0_14default_configENS1_38merge_sort_block_merge_config_selectorIdlEEZZNS1_27merge_sort_block_merge_implIS3_PdN6thrust23THRUST_200600_302600_NS10device_ptrIlEEjNS1_19radix_merge_compareILb0ELb0EdNS0_19identity_decomposerEEEEE10hipError_tT0_T1_T2_jT3_P12ihipStream_tbPNSt15iterator_traitsISG_E10value_typeEPNSM_ISH_E10value_typeEPSI_NS1_7vsmem_tEENKUlT_SG_SH_SI_E_clIS7_S7_PlSB_EESF_SV_SG_SH_SI_EUlSV_E0_NS1_11comp_targetILNS1_3genE8ELNS1_11target_archE1030ELNS1_3gpuE2ELNS1_3repE0EEENS1_38merge_mergepath_config_static_selectorELNS0_4arch9wavefront6targetE1EEEvSH_,@function
_ZN7rocprim17ROCPRIM_400000_NS6detail17trampoline_kernelINS0_14default_configENS1_38merge_sort_block_merge_config_selectorIdlEEZZNS1_27merge_sort_block_merge_implIS3_PdN6thrust23THRUST_200600_302600_NS10device_ptrIlEEjNS1_19radix_merge_compareILb0ELb0EdNS0_19identity_decomposerEEEEE10hipError_tT0_T1_T2_jT3_P12ihipStream_tbPNSt15iterator_traitsISG_E10value_typeEPNSM_ISH_E10value_typeEPSI_NS1_7vsmem_tEENKUlT_SG_SH_SI_E_clIS7_S7_PlSB_EESF_SV_SG_SH_SI_EUlSV_E0_NS1_11comp_targetILNS1_3genE8ELNS1_11target_archE1030ELNS1_3gpuE2ELNS1_3repE0EEENS1_38merge_mergepath_config_static_selectorELNS0_4arch9wavefront6targetE1EEEvSH_: ; @_ZN7rocprim17ROCPRIM_400000_NS6detail17trampoline_kernelINS0_14default_configENS1_38merge_sort_block_merge_config_selectorIdlEEZZNS1_27merge_sort_block_merge_implIS3_PdN6thrust23THRUST_200600_302600_NS10device_ptrIlEEjNS1_19radix_merge_compareILb0ELb0EdNS0_19identity_decomposerEEEEE10hipError_tT0_T1_T2_jT3_P12ihipStream_tbPNSt15iterator_traitsISG_E10value_typeEPNSM_ISH_E10value_typeEPSI_NS1_7vsmem_tEENKUlT_SG_SH_SI_E_clIS7_S7_PlSB_EESF_SV_SG_SH_SI_EUlSV_E0_NS1_11comp_targetILNS1_3genE8ELNS1_11target_archE1030ELNS1_3gpuE2ELNS1_3repE0EEENS1_38merge_mergepath_config_static_selectorELNS0_4arch9wavefront6targetE1EEEvSH_
; %bb.0:
	.section	.rodata,"a",@progbits
	.p2align	6, 0x0
	.amdhsa_kernel _ZN7rocprim17ROCPRIM_400000_NS6detail17trampoline_kernelINS0_14default_configENS1_38merge_sort_block_merge_config_selectorIdlEEZZNS1_27merge_sort_block_merge_implIS3_PdN6thrust23THRUST_200600_302600_NS10device_ptrIlEEjNS1_19radix_merge_compareILb0ELb0EdNS0_19identity_decomposerEEEEE10hipError_tT0_T1_T2_jT3_P12ihipStream_tbPNSt15iterator_traitsISG_E10value_typeEPNSM_ISH_E10value_typeEPSI_NS1_7vsmem_tEENKUlT_SG_SH_SI_E_clIS7_S7_PlSB_EESF_SV_SG_SH_SI_EUlSV_E0_NS1_11comp_targetILNS1_3genE8ELNS1_11target_archE1030ELNS1_3gpuE2ELNS1_3repE0EEENS1_38merge_mergepath_config_static_selectorELNS0_4arch9wavefront6targetE1EEEvSH_
		.amdhsa_group_segment_fixed_size 0
		.amdhsa_private_segment_fixed_size 0
		.amdhsa_kernarg_size 64
		.amdhsa_user_sgpr_count 6
		.amdhsa_user_sgpr_private_segment_buffer 1
		.amdhsa_user_sgpr_dispatch_ptr 0
		.amdhsa_user_sgpr_queue_ptr 0
		.amdhsa_user_sgpr_kernarg_segment_ptr 1
		.amdhsa_user_sgpr_dispatch_id 0
		.amdhsa_user_sgpr_flat_scratch_init 0
		.amdhsa_user_sgpr_kernarg_preload_length 0
		.amdhsa_user_sgpr_kernarg_preload_offset 0
		.amdhsa_user_sgpr_private_segment_size 0
		.amdhsa_uses_dynamic_stack 0
		.amdhsa_system_sgpr_private_segment_wavefront_offset 0
		.amdhsa_system_sgpr_workgroup_id_x 1
		.amdhsa_system_sgpr_workgroup_id_y 0
		.amdhsa_system_sgpr_workgroup_id_z 0
		.amdhsa_system_sgpr_workgroup_info 0
		.amdhsa_system_vgpr_workitem_id 0
		.amdhsa_next_free_vgpr 1
		.amdhsa_next_free_sgpr 0
		.amdhsa_accum_offset 4
		.amdhsa_reserve_vcc 0
		.amdhsa_reserve_flat_scratch 0
		.amdhsa_float_round_mode_32 0
		.amdhsa_float_round_mode_16_64 0
		.amdhsa_float_denorm_mode_32 3
		.amdhsa_float_denorm_mode_16_64 3
		.amdhsa_dx10_clamp 1
		.amdhsa_ieee_mode 1
		.amdhsa_fp16_overflow 0
		.amdhsa_tg_split 0
		.amdhsa_exception_fp_ieee_invalid_op 0
		.amdhsa_exception_fp_denorm_src 0
		.amdhsa_exception_fp_ieee_div_zero 0
		.amdhsa_exception_fp_ieee_overflow 0
		.amdhsa_exception_fp_ieee_underflow 0
		.amdhsa_exception_fp_ieee_inexact 0
		.amdhsa_exception_int_div_zero 0
	.end_amdhsa_kernel
	.section	.text._ZN7rocprim17ROCPRIM_400000_NS6detail17trampoline_kernelINS0_14default_configENS1_38merge_sort_block_merge_config_selectorIdlEEZZNS1_27merge_sort_block_merge_implIS3_PdN6thrust23THRUST_200600_302600_NS10device_ptrIlEEjNS1_19radix_merge_compareILb0ELb0EdNS0_19identity_decomposerEEEEE10hipError_tT0_T1_T2_jT3_P12ihipStream_tbPNSt15iterator_traitsISG_E10value_typeEPNSM_ISH_E10value_typeEPSI_NS1_7vsmem_tEENKUlT_SG_SH_SI_E_clIS7_S7_PlSB_EESF_SV_SG_SH_SI_EUlSV_E0_NS1_11comp_targetILNS1_3genE8ELNS1_11target_archE1030ELNS1_3gpuE2ELNS1_3repE0EEENS1_38merge_mergepath_config_static_selectorELNS0_4arch9wavefront6targetE1EEEvSH_,"axG",@progbits,_ZN7rocprim17ROCPRIM_400000_NS6detail17trampoline_kernelINS0_14default_configENS1_38merge_sort_block_merge_config_selectorIdlEEZZNS1_27merge_sort_block_merge_implIS3_PdN6thrust23THRUST_200600_302600_NS10device_ptrIlEEjNS1_19radix_merge_compareILb0ELb0EdNS0_19identity_decomposerEEEEE10hipError_tT0_T1_T2_jT3_P12ihipStream_tbPNSt15iterator_traitsISG_E10value_typeEPNSM_ISH_E10value_typeEPSI_NS1_7vsmem_tEENKUlT_SG_SH_SI_E_clIS7_S7_PlSB_EESF_SV_SG_SH_SI_EUlSV_E0_NS1_11comp_targetILNS1_3genE8ELNS1_11target_archE1030ELNS1_3gpuE2ELNS1_3repE0EEENS1_38merge_mergepath_config_static_selectorELNS0_4arch9wavefront6targetE1EEEvSH_,comdat
.Lfunc_end1557:
	.size	_ZN7rocprim17ROCPRIM_400000_NS6detail17trampoline_kernelINS0_14default_configENS1_38merge_sort_block_merge_config_selectorIdlEEZZNS1_27merge_sort_block_merge_implIS3_PdN6thrust23THRUST_200600_302600_NS10device_ptrIlEEjNS1_19radix_merge_compareILb0ELb0EdNS0_19identity_decomposerEEEEE10hipError_tT0_T1_T2_jT3_P12ihipStream_tbPNSt15iterator_traitsISG_E10value_typeEPNSM_ISH_E10value_typeEPSI_NS1_7vsmem_tEENKUlT_SG_SH_SI_E_clIS7_S7_PlSB_EESF_SV_SG_SH_SI_EUlSV_E0_NS1_11comp_targetILNS1_3genE8ELNS1_11target_archE1030ELNS1_3gpuE2ELNS1_3repE0EEENS1_38merge_mergepath_config_static_selectorELNS0_4arch9wavefront6targetE1EEEvSH_, .Lfunc_end1557-_ZN7rocprim17ROCPRIM_400000_NS6detail17trampoline_kernelINS0_14default_configENS1_38merge_sort_block_merge_config_selectorIdlEEZZNS1_27merge_sort_block_merge_implIS3_PdN6thrust23THRUST_200600_302600_NS10device_ptrIlEEjNS1_19radix_merge_compareILb0ELb0EdNS0_19identity_decomposerEEEEE10hipError_tT0_T1_T2_jT3_P12ihipStream_tbPNSt15iterator_traitsISG_E10value_typeEPNSM_ISH_E10value_typeEPSI_NS1_7vsmem_tEENKUlT_SG_SH_SI_E_clIS7_S7_PlSB_EESF_SV_SG_SH_SI_EUlSV_E0_NS1_11comp_targetILNS1_3genE8ELNS1_11target_archE1030ELNS1_3gpuE2ELNS1_3repE0EEENS1_38merge_mergepath_config_static_selectorELNS0_4arch9wavefront6targetE1EEEvSH_
                                        ; -- End function
	.section	.AMDGPU.csdata,"",@progbits
; Kernel info:
; codeLenInByte = 0
; NumSgprs: 4
; NumVgprs: 0
; NumAgprs: 0
; TotalNumVgprs: 0
; ScratchSize: 0
; MemoryBound: 0
; FloatMode: 240
; IeeeMode: 1
; LDSByteSize: 0 bytes/workgroup (compile time only)
; SGPRBlocks: 0
; VGPRBlocks: 0
; NumSGPRsForWavesPerEU: 4
; NumVGPRsForWavesPerEU: 1
; AccumOffset: 4
; Occupancy: 8
; WaveLimiterHint : 0
; COMPUTE_PGM_RSRC2:SCRATCH_EN: 0
; COMPUTE_PGM_RSRC2:USER_SGPR: 6
; COMPUTE_PGM_RSRC2:TRAP_HANDLER: 0
; COMPUTE_PGM_RSRC2:TGID_X_EN: 1
; COMPUTE_PGM_RSRC2:TGID_Y_EN: 0
; COMPUTE_PGM_RSRC2:TGID_Z_EN: 0
; COMPUTE_PGM_RSRC2:TIDIG_COMP_CNT: 0
; COMPUTE_PGM_RSRC3_GFX90A:ACCUM_OFFSET: 0
; COMPUTE_PGM_RSRC3_GFX90A:TG_SPLIT: 0
	.section	.text._ZN7rocprim17ROCPRIM_400000_NS6detail17trampoline_kernelINS0_14default_configENS1_38merge_sort_block_merge_config_selectorIdlEEZZNS1_27merge_sort_block_merge_implIS3_PdN6thrust23THRUST_200600_302600_NS10device_ptrIlEEjNS1_19radix_merge_compareILb0ELb0EdNS0_19identity_decomposerEEEEE10hipError_tT0_T1_T2_jT3_P12ihipStream_tbPNSt15iterator_traitsISG_E10value_typeEPNSM_ISH_E10value_typeEPSI_NS1_7vsmem_tEENKUlT_SG_SH_SI_E_clIS7_S7_PlSB_EESF_SV_SG_SH_SI_EUlSV_E1_NS1_11comp_targetILNS1_3genE0ELNS1_11target_archE4294967295ELNS1_3gpuE0ELNS1_3repE0EEENS1_36merge_oddeven_config_static_selectorELNS0_4arch9wavefront6targetE1EEEvSH_,"axG",@progbits,_ZN7rocprim17ROCPRIM_400000_NS6detail17trampoline_kernelINS0_14default_configENS1_38merge_sort_block_merge_config_selectorIdlEEZZNS1_27merge_sort_block_merge_implIS3_PdN6thrust23THRUST_200600_302600_NS10device_ptrIlEEjNS1_19radix_merge_compareILb0ELb0EdNS0_19identity_decomposerEEEEE10hipError_tT0_T1_T2_jT3_P12ihipStream_tbPNSt15iterator_traitsISG_E10value_typeEPNSM_ISH_E10value_typeEPSI_NS1_7vsmem_tEENKUlT_SG_SH_SI_E_clIS7_S7_PlSB_EESF_SV_SG_SH_SI_EUlSV_E1_NS1_11comp_targetILNS1_3genE0ELNS1_11target_archE4294967295ELNS1_3gpuE0ELNS1_3repE0EEENS1_36merge_oddeven_config_static_selectorELNS0_4arch9wavefront6targetE1EEEvSH_,comdat
	.protected	_ZN7rocprim17ROCPRIM_400000_NS6detail17trampoline_kernelINS0_14default_configENS1_38merge_sort_block_merge_config_selectorIdlEEZZNS1_27merge_sort_block_merge_implIS3_PdN6thrust23THRUST_200600_302600_NS10device_ptrIlEEjNS1_19radix_merge_compareILb0ELb0EdNS0_19identity_decomposerEEEEE10hipError_tT0_T1_T2_jT3_P12ihipStream_tbPNSt15iterator_traitsISG_E10value_typeEPNSM_ISH_E10value_typeEPSI_NS1_7vsmem_tEENKUlT_SG_SH_SI_E_clIS7_S7_PlSB_EESF_SV_SG_SH_SI_EUlSV_E1_NS1_11comp_targetILNS1_3genE0ELNS1_11target_archE4294967295ELNS1_3gpuE0ELNS1_3repE0EEENS1_36merge_oddeven_config_static_selectorELNS0_4arch9wavefront6targetE1EEEvSH_ ; -- Begin function _ZN7rocprim17ROCPRIM_400000_NS6detail17trampoline_kernelINS0_14default_configENS1_38merge_sort_block_merge_config_selectorIdlEEZZNS1_27merge_sort_block_merge_implIS3_PdN6thrust23THRUST_200600_302600_NS10device_ptrIlEEjNS1_19radix_merge_compareILb0ELb0EdNS0_19identity_decomposerEEEEE10hipError_tT0_T1_T2_jT3_P12ihipStream_tbPNSt15iterator_traitsISG_E10value_typeEPNSM_ISH_E10value_typeEPSI_NS1_7vsmem_tEENKUlT_SG_SH_SI_E_clIS7_S7_PlSB_EESF_SV_SG_SH_SI_EUlSV_E1_NS1_11comp_targetILNS1_3genE0ELNS1_11target_archE4294967295ELNS1_3gpuE0ELNS1_3repE0EEENS1_36merge_oddeven_config_static_selectorELNS0_4arch9wavefront6targetE1EEEvSH_
	.globl	_ZN7rocprim17ROCPRIM_400000_NS6detail17trampoline_kernelINS0_14default_configENS1_38merge_sort_block_merge_config_selectorIdlEEZZNS1_27merge_sort_block_merge_implIS3_PdN6thrust23THRUST_200600_302600_NS10device_ptrIlEEjNS1_19radix_merge_compareILb0ELb0EdNS0_19identity_decomposerEEEEE10hipError_tT0_T1_T2_jT3_P12ihipStream_tbPNSt15iterator_traitsISG_E10value_typeEPNSM_ISH_E10value_typeEPSI_NS1_7vsmem_tEENKUlT_SG_SH_SI_E_clIS7_S7_PlSB_EESF_SV_SG_SH_SI_EUlSV_E1_NS1_11comp_targetILNS1_3genE0ELNS1_11target_archE4294967295ELNS1_3gpuE0ELNS1_3repE0EEENS1_36merge_oddeven_config_static_selectorELNS0_4arch9wavefront6targetE1EEEvSH_
	.p2align	8
	.type	_ZN7rocprim17ROCPRIM_400000_NS6detail17trampoline_kernelINS0_14default_configENS1_38merge_sort_block_merge_config_selectorIdlEEZZNS1_27merge_sort_block_merge_implIS3_PdN6thrust23THRUST_200600_302600_NS10device_ptrIlEEjNS1_19radix_merge_compareILb0ELb0EdNS0_19identity_decomposerEEEEE10hipError_tT0_T1_T2_jT3_P12ihipStream_tbPNSt15iterator_traitsISG_E10value_typeEPNSM_ISH_E10value_typeEPSI_NS1_7vsmem_tEENKUlT_SG_SH_SI_E_clIS7_S7_PlSB_EESF_SV_SG_SH_SI_EUlSV_E1_NS1_11comp_targetILNS1_3genE0ELNS1_11target_archE4294967295ELNS1_3gpuE0ELNS1_3repE0EEENS1_36merge_oddeven_config_static_selectorELNS0_4arch9wavefront6targetE1EEEvSH_,@function
_ZN7rocprim17ROCPRIM_400000_NS6detail17trampoline_kernelINS0_14default_configENS1_38merge_sort_block_merge_config_selectorIdlEEZZNS1_27merge_sort_block_merge_implIS3_PdN6thrust23THRUST_200600_302600_NS10device_ptrIlEEjNS1_19radix_merge_compareILb0ELb0EdNS0_19identity_decomposerEEEEE10hipError_tT0_T1_T2_jT3_P12ihipStream_tbPNSt15iterator_traitsISG_E10value_typeEPNSM_ISH_E10value_typeEPSI_NS1_7vsmem_tEENKUlT_SG_SH_SI_E_clIS7_S7_PlSB_EESF_SV_SG_SH_SI_EUlSV_E1_NS1_11comp_targetILNS1_3genE0ELNS1_11target_archE4294967295ELNS1_3gpuE0ELNS1_3repE0EEENS1_36merge_oddeven_config_static_selectorELNS0_4arch9wavefront6targetE1EEEvSH_: ; @_ZN7rocprim17ROCPRIM_400000_NS6detail17trampoline_kernelINS0_14default_configENS1_38merge_sort_block_merge_config_selectorIdlEEZZNS1_27merge_sort_block_merge_implIS3_PdN6thrust23THRUST_200600_302600_NS10device_ptrIlEEjNS1_19radix_merge_compareILb0ELb0EdNS0_19identity_decomposerEEEEE10hipError_tT0_T1_T2_jT3_P12ihipStream_tbPNSt15iterator_traitsISG_E10value_typeEPNSM_ISH_E10value_typeEPSI_NS1_7vsmem_tEENKUlT_SG_SH_SI_E_clIS7_S7_PlSB_EESF_SV_SG_SH_SI_EUlSV_E1_NS1_11comp_targetILNS1_3genE0ELNS1_11target_archE4294967295ELNS1_3gpuE0ELNS1_3repE0EEENS1_36merge_oddeven_config_static_selectorELNS0_4arch9wavefront6targetE1EEEvSH_
; %bb.0:
	.section	.rodata,"a",@progbits
	.p2align	6, 0x0
	.amdhsa_kernel _ZN7rocprim17ROCPRIM_400000_NS6detail17trampoline_kernelINS0_14default_configENS1_38merge_sort_block_merge_config_selectorIdlEEZZNS1_27merge_sort_block_merge_implIS3_PdN6thrust23THRUST_200600_302600_NS10device_ptrIlEEjNS1_19radix_merge_compareILb0ELb0EdNS0_19identity_decomposerEEEEE10hipError_tT0_T1_T2_jT3_P12ihipStream_tbPNSt15iterator_traitsISG_E10value_typeEPNSM_ISH_E10value_typeEPSI_NS1_7vsmem_tEENKUlT_SG_SH_SI_E_clIS7_S7_PlSB_EESF_SV_SG_SH_SI_EUlSV_E1_NS1_11comp_targetILNS1_3genE0ELNS1_11target_archE4294967295ELNS1_3gpuE0ELNS1_3repE0EEENS1_36merge_oddeven_config_static_selectorELNS0_4arch9wavefront6targetE1EEEvSH_
		.amdhsa_group_segment_fixed_size 0
		.amdhsa_private_segment_fixed_size 0
		.amdhsa_kernarg_size 48
		.amdhsa_user_sgpr_count 6
		.amdhsa_user_sgpr_private_segment_buffer 1
		.amdhsa_user_sgpr_dispatch_ptr 0
		.amdhsa_user_sgpr_queue_ptr 0
		.amdhsa_user_sgpr_kernarg_segment_ptr 1
		.amdhsa_user_sgpr_dispatch_id 0
		.amdhsa_user_sgpr_flat_scratch_init 0
		.amdhsa_user_sgpr_kernarg_preload_length 0
		.amdhsa_user_sgpr_kernarg_preload_offset 0
		.amdhsa_user_sgpr_private_segment_size 0
		.amdhsa_uses_dynamic_stack 0
		.amdhsa_system_sgpr_private_segment_wavefront_offset 0
		.amdhsa_system_sgpr_workgroup_id_x 1
		.amdhsa_system_sgpr_workgroup_id_y 0
		.amdhsa_system_sgpr_workgroup_id_z 0
		.amdhsa_system_sgpr_workgroup_info 0
		.amdhsa_system_vgpr_workitem_id 0
		.amdhsa_next_free_vgpr 1
		.amdhsa_next_free_sgpr 0
		.amdhsa_accum_offset 4
		.amdhsa_reserve_vcc 0
		.amdhsa_reserve_flat_scratch 0
		.amdhsa_float_round_mode_32 0
		.amdhsa_float_round_mode_16_64 0
		.amdhsa_float_denorm_mode_32 3
		.amdhsa_float_denorm_mode_16_64 3
		.amdhsa_dx10_clamp 1
		.amdhsa_ieee_mode 1
		.amdhsa_fp16_overflow 0
		.amdhsa_tg_split 0
		.amdhsa_exception_fp_ieee_invalid_op 0
		.amdhsa_exception_fp_denorm_src 0
		.amdhsa_exception_fp_ieee_div_zero 0
		.amdhsa_exception_fp_ieee_overflow 0
		.amdhsa_exception_fp_ieee_underflow 0
		.amdhsa_exception_fp_ieee_inexact 0
		.amdhsa_exception_int_div_zero 0
	.end_amdhsa_kernel
	.section	.text._ZN7rocprim17ROCPRIM_400000_NS6detail17trampoline_kernelINS0_14default_configENS1_38merge_sort_block_merge_config_selectorIdlEEZZNS1_27merge_sort_block_merge_implIS3_PdN6thrust23THRUST_200600_302600_NS10device_ptrIlEEjNS1_19radix_merge_compareILb0ELb0EdNS0_19identity_decomposerEEEEE10hipError_tT0_T1_T2_jT3_P12ihipStream_tbPNSt15iterator_traitsISG_E10value_typeEPNSM_ISH_E10value_typeEPSI_NS1_7vsmem_tEENKUlT_SG_SH_SI_E_clIS7_S7_PlSB_EESF_SV_SG_SH_SI_EUlSV_E1_NS1_11comp_targetILNS1_3genE0ELNS1_11target_archE4294967295ELNS1_3gpuE0ELNS1_3repE0EEENS1_36merge_oddeven_config_static_selectorELNS0_4arch9wavefront6targetE1EEEvSH_,"axG",@progbits,_ZN7rocprim17ROCPRIM_400000_NS6detail17trampoline_kernelINS0_14default_configENS1_38merge_sort_block_merge_config_selectorIdlEEZZNS1_27merge_sort_block_merge_implIS3_PdN6thrust23THRUST_200600_302600_NS10device_ptrIlEEjNS1_19radix_merge_compareILb0ELb0EdNS0_19identity_decomposerEEEEE10hipError_tT0_T1_T2_jT3_P12ihipStream_tbPNSt15iterator_traitsISG_E10value_typeEPNSM_ISH_E10value_typeEPSI_NS1_7vsmem_tEENKUlT_SG_SH_SI_E_clIS7_S7_PlSB_EESF_SV_SG_SH_SI_EUlSV_E1_NS1_11comp_targetILNS1_3genE0ELNS1_11target_archE4294967295ELNS1_3gpuE0ELNS1_3repE0EEENS1_36merge_oddeven_config_static_selectorELNS0_4arch9wavefront6targetE1EEEvSH_,comdat
.Lfunc_end1558:
	.size	_ZN7rocprim17ROCPRIM_400000_NS6detail17trampoline_kernelINS0_14default_configENS1_38merge_sort_block_merge_config_selectorIdlEEZZNS1_27merge_sort_block_merge_implIS3_PdN6thrust23THRUST_200600_302600_NS10device_ptrIlEEjNS1_19radix_merge_compareILb0ELb0EdNS0_19identity_decomposerEEEEE10hipError_tT0_T1_T2_jT3_P12ihipStream_tbPNSt15iterator_traitsISG_E10value_typeEPNSM_ISH_E10value_typeEPSI_NS1_7vsmem_tEENKUlT_SG_SH_SI_E_clIS7_S7_PlSB_EESF_SV_SG_SH_SI_EUlSV_E1_NS1_11comp_targetILNS1_3genE0ELNS1_11target_archE4294967295ELNS1_3gpuE0ELNS1_3repE0EEENS1_36merge_oddeven_config_static_selectorELNS0_4arch9wavefront6targetE1EEEvSH_, .Lfunc_end1558-_ZN7rocprim17ROCPRIM_400000_NS6detail17trampoline_kernelINS0_14default_configENS1_38merge_sort_block_merge_config_selectorIdlEEZZNS1_27merge_sort_block_merge_implIS3_PdN6thrust23THRUST_200600_302600_NS10device_ptrIlEEjNS1_19radix_merge_compareILb0ELb0EdNS0_19identity_decomposerEEEEE10hipError_tT0_T1_T2_jT3_P12ihipStream_tbPNSt15iterator_traitsISG_E10value_typeEPNSM_ISH_E10value_typeEPSI_NS1_7vsmem_tEENKUlT_SG_SH_SI_E_clIS7_S7_PlSB_EESF_SV_SG_SH_SI_EUlSV_E1_NS1_11comp_targetILNS1_3genE0ELNS1_11target_archE4294967295ELNS1_3gpuE0ELNS1_3repE0EEENS1_36merge_oddeven_config_static_selectorELNS0_4arch9wavefront6targetE1EEEvSH_
                                        ; -- End function
	.section	.AMDGPU.csdata,"",@progbits
; Kernel info:
; codeLenInByte = 0
; NumSgprs: 4
; NumVgprs: 0
; NumAgprs: 0
; TotalNumVgprs: 0
; ScratchSize: 0
; MemoryBound: 0
; FloatMode: 240
; IeeeMode: 1
; LDSByteSize: 0 bytes/workgroup (compile time only)
; SGPRBlocks: 0
; VGPRBlocks: 0
; NumSGPRsForWavesPerEU: 4
; NumVGPRsForWavesPerEU: 1
; AccumOffset: 4
; Occupancy: 8
; WaveLimiterHint : 0
; COMPUTE_PGM_RSRC2:SCRATCH_EN: 0
; COMPUTE_PGM_RSRC2:USER_SGPR: 6
; COMPUTE_PGM_RSRC2:TRAP_HANDLER: 0
; COMPUTE_PGM_RSRC2:TGID_X_EN: 1
; COMPUTE_PGM_RSRC2:TGID_Y_EN: 0
; COMPUTE_PGM_RSRC2:TGID_Z_EN: 0
; COMPUTE_PGM_RSRC2:TIDIG_COMP_CNT: 0
; COMPUTE_PGM_RSRC3_GFX90A:ACCUM_OFFSET: 0
; COMPUTE_PGM_RSRC3_GFX90A:TG_SPLIT: 0
	.section	.text._ZN7rocprim17ROCPRIM_400000_NS6detail17trampoline_kernelINS0_14default_configENS1_38merge_sort_block_merge_config_selectorIdlEEZZNS1_27merge_sort_block_merge_implIS3_PdN6thrust23THRUST_200600_302600_NS10device_ptrIlEEjNS1_19radix_merge_compareILb0ELb0EdNS0_19identity_decomposerEEEEE10hipError_tT0_T1_T2_jT3_P12ihipStream_tbPNSt15iterator_traitsISG_E10value_typeEPNSM_ISH_E10value_typeEPSI_NS1_7vsmem_tEENKUlT_SG_SH_SI_E_clIS7_S7_PlSB_EESF_SV_SG_SH_SI_EUlSV_E1_NS1_11comp_targetILNS1_3genE10ELNS1_11target_archE1201ELNS1_3gpuE5ELNS1_3repE0EEENS1_36merge_oddeven_config_static_selectorELNS0_4arch9wavefront6targetE1EEEvSH_,"axG",@progbits,_ZN7rocprim17ROCPRIM_400000_NS6detail17trampoline_kernelINS0_14default_configENS1_38merge_sort_block_merge_config_selectorIdlEEZZNS1_27merge_sort_block_merge_implIS3_PdN6thrust23THRUST_200600_302600_NS10device_ptrIlEEjNS1_19radix_merge_compareILb0ELb0EdNS0_19identity_decomposerEEEEE10hipError_tT0_T1_T2_jT3_P12ihipStream_tbPNSt15iterator_traitsISG_E10value_typeEPNSM_ISH_E10value_typeEPSI_NS1_7vsmem_tEENKUlT_SG_SH_SI_E_clIS7_S7_PlSB_EESF_SV_SG_SH_SI_EUlSV_E1_NS1_11comp_targetILNS1_3genE10ELNS1_11target_archE1201ELNS1_3gpuE5ELNS1_3repE0EEENS1_36merge_oddeven_config_static_selectorELNS0_4arch9wavefront6targetE1EEEvSH_,comdat
	.protected	_ZN7rocprim17ROCPRIM_400000_NS6detail17trampoline_kernelINS0_14default_configENS1_38merge_sort_block_merge_config_selectorIdlEEZZNS1_27merge_sort_block_merge_implIS3_PdN6thrust23THRUST_200600_302600_NS10device_ptrIlEEjNS1_19radix_merge_compareILb0ELb0EdNS0_19identity_decomposerEEEEE10hipError_tT0_T1_T2_jT3_P12ihipStream_tbPNSt15iterator_traitsISG_E10value_typeEPNSM_ISH_E10value_typeEPSI_NS1_7vsmem_tEENKUlT_SG_SH_SI_E_clIS7_S7_PlSB_EESF_SV_SG_SH_SI_EUlSV_E1_NS1_11comp_targetILNS1_3genE10ELNS1_11target_archE1201ELNS1_3gpuE5ELNS1_3repE0EEENS1_36merge_oddeven_config_static_selectorELNS0_4arch9wavefront6targetE1EEEvSH_ ; -- Begin function _ZN7rocprim17ROCPRIM_400000_NS6detail17trampoline_kernelINS0_14default_configENS1_38merge_sort_block_merge_config_selectorIdlEEZZNS1_27merge_sort_block_merge_implIS3_PdN6thrust23THRUST_200600_302600_NS10device_ptrIlEEjNS1_19radix_merge_compareILb0ELb0EdNS0_19identity_decomposerEEEEE10hipError_tT0_T1_T2_jT3_P12ihipStream_tbPNSt15iterator_traitsISG_E10value_typeEPNSM_ISH_E10value_typeEPSI_NS1_7vsmem_tEENKUlT_SG_SH_SI_E_clIS7_S7_PlSB_EESF_SV_SG_SH_SI_EUlSV_E1_NS1_11comp_targetILNS1_3genE10ELNS1_11target_archE1201ELNS1_3gpuE5ELNS1_3repE0EEENS1_36merge_oddeven_config_static_selectorELNS0_4arch9wavefront6targetE1EEEvSH_
	.globl	_ZN7rocprim17ROCPRIM_400000_NS6detail17trampoline_kernelINS0_14default_configENS1_38merge_sort_block_merge_config_selectorIdlEEZZNS1_27merge_sort_block_merge_implIS3_PdN6thrust23THRUST_200600_302600_NS10device_ptrIlEEjNS1_19radix_merge_compareILb0ELb0EdNS0_19identity_decomposerEEEEE10hipError_tT0_T1_T2_jT3_P12ihipStream_tbPNSt15iterator_traitsISG_E10value_typeEPNSM_ISH_E10value_typeEPSI_NS1_7vsmem_tEENKUlT_SG_SH_SI_E_clIS7_S7_PlSB_EESF_SV_SG_SH_SI_EUlSV_E1_NS1_11comp_targetILNS1_3genE10ELNS1_11target_archE1201ELNS1_3gpuE5ELNS1_3repE0EEENS1_36merge_oddeven_config_static_selectorELNS0_4arch9wavefront6targetE1EEEvSH_
	.p2align	8
	.type	_ZN7rocprim17ROCPRIM_400000_NS6detail17trampoline_kernelINS0_14default_configENS1_38merge_sort_block_merge_config_selectorIdlEEZZNS1_27merge_sort_block_merge_implIS3_PdN6thrust23THRUST_200600_302600_NS10device_ptrIlEEjNS1_19radix_merge_compareILb0ELb0EdNS0_19identity_decomposerEEEEE10hipError_tT0_T1_T2_jT3_P12ihipStream_tbPNSt15iterator_traitsISG_E10value_typeEPNSM_ISH_E10value_typeEPSI_NS1_7vsmem_tEENKUlT_SG_SH_SI_E_clIS7_S7_PlSB_EESF_SV_SG_SH_SI_EUlSV_E1_NS1_11comp_targetILNS1_3genE10ELNS1_11target_archE1201ELNS1_3gpuE5ELNS1_3repE0EEENS1_36merge_oddeven_config_static_selectorELNS0_4arch9wavefront6targetE1EEEvSH_,@function
_ZN7rocprim17ROCPRIM_400000_NS6detail17trampoline_kernelINS0_14default_configENS1_38merge_sort_block_merge_config_selectorIdlEEZZNS1_27merge_sort_block_merge_implIS3_PdN6thrust23THRUST_200600_302600_NS10device_ptrIlEEjNS1_19radix_merge_compareILb0ELb0EdNS0_19identity_decomposerEEEEE10hipError_tT0_T1_T2_jT3_P12ihipStream_tbPNSt15iterator_traitsISG_E10value_typeEPNSM_ISH_E10value_typeEPSI_NS1_7vsmem_tEENKUlT_SG_SH_SI_E_clIS7_S7_PlSB_EESF_SV_SG_SH_SI_EUlSV_E1_NS1_11comp_targetILNS1_3genE10ELNS1_11target_archE1201ELNS1_3gpuE5ELNS1_3repE0EEENS1_36merge_oddeven_config_static_selectorELNS0_4arch9wavefront6targetE1EEEvSH_: ; @_ZN7rocprim17ROCPRIM_400000_NS6detail17trampoline_kernelINS0_14default_configENS1_38merge_sort_block_merge_config_selectorIdlEEZZNS1_27merge_sort_block_merge_implIS3_PdN6thrust23THRUST_200600_302600_NS10device_ptrIlEEjNS1_19radix_merge_compareILb0ELb0EdNS0_19identity_decomposerEEEEE10hipError_tT0_T1_T2_jT3_P12ihipStream_tbPNSt15iterator_traitsISG_E10value_typeEPNSM_ISH_E10value_typeEPSI_NS1_7vsmem_tEENKUlT_SG_SH_SI_E_clIS7_S7_PlSB_EESF_SV_SG_SH_SI_EUlSV_E1_NS1_11comp_targetILNS1_3genE10ELNS1_11target_archE1201ELNS1_3gpuE5ELNS1_3repE0EEENS1_36merge_oddeven_config_static_selectorELNS0_4arch9wavefront6targetE1EEEvSH_
; %bb.0:
	.section	.rodata,"a",@progbits
	.p2align	6, 0x0
	.amdhsa_kernel _ZN7rocprim17ROCPRIM_400000_NS6detail17trampoline_kernelINS0_14default_configENS1_38merge_sort_block_merge_config_selectorIdlEEZZNS1_27merge_sort_block_merge_implIS3_PdN6thrust23THRUST_200600_302600_NS10device_ptrIlEEjNS1_19radix_merge_compareILb0ELb0EdNS0_19identity_decomposerEEEEE10hipError_tT0_T1_T2_jT3_P12ihipStream_tbPNSt15iterator_traitsISG_E10value_typeEPNSM_ISH_E10value_typeEPSI_NS1_7vsmem_tEENKUlT_SG_SH_SI_E_clIS7_S7_PlSB_EESF_SV_SG_SH_SI_EUlSV_E1_NS1_11comp_targetILNS1_3genE10ELNS1_11target_archE1201ELNS1_3gpuE5ELNS1_3repE0EEENS1_36merge_oddeven_config_static_selectorELNS0_4arch9wavefront6targetE1EEEvSH_
		.amdhsa_group_segment_fixed_size 0
		.amdhsa_private_segment_fixed_size 0
		.amdhsa_kernarg_size 48
		.amdhsa_user_sgpr_count 6
		.amdhsa_user_sgpr_private_segment_buffer 1
		.amdhsa_user_sgpr_dispatch_ptr 0
		.amdhsa_user_sgpr_queue_ptr 0
		.amdhsa_user_sgpr_kernarg_segment_ptr 1
		.amdhsa_user_sgpr_dispatch_id 0
		.amdhsa_user_sgpr_flat_scratch_init 0
		.amdhsa_user_sgpr_kernarg_preload_length 0
		.amdhsa_user_sgpr_kernarg_preload_offset 0
		.amdhsa_user_sgpr_private_segment_size 0
		.amdhsa_uses_dynamic_stack 0
		.amdhsa_system_sgpr_private_segment_wavefront_offset 0
		.amdhsa_system_sgpr_workgroup_id_x 1
		.amdhsa_system_sgpr_workgroup_id_y 0
		.amdhsa_system_sgpr_workgroup_id_z 0
		.amdhsa_system_sgpr_workgroup_info 0
		.amdhsa_system_vgpr_workitem_id 0
		.amdhsa_next_free_vgpr 1
		.amdhsa_next_free_sgpr 0
		.amdhsa_accum_offset 4
		.amdhsa_reserve_vcc 0
		.amdhsa_reserve_flat_scratch 0
		.amdhsa_float_round_mode_32 0
		.amdhsa_float_round_mode_16_64 0
		.amdhsa_float_denorm_mode_32 3
		.amdhsa_float_denorm_mode_16_64 3
		.amdhsa_dx10_clamp 1
		.amdhsa_ieee_mode 1
		.amdhsa_fp16_overflow 0
		.amdhsa_tg_split 0
		.amdhsa_exception_fp_ieee_invalid_op 0
		.amdhsa_exception_fp_denorm_src 0
		.amdhsa_exception_fp_ieee_div_zero 0
		.amdhsa_exception_fp_ieee_overflow 0
		.amdhsa_exception_fp_ieee_underflow 0
		.amdhsa_exception_fp_ieee_inexact 0
		.amdhsa_exception_int_div_zero 0
	.end_amdhsa_kernel
	.section	.text._ZN7rocprim17ROCPRIM_400000_NS6detail17trampoline_kernelINS0_14default_configENS1_38merge_sort_block_merge_config_selectorIdlEEZZNS1_27merge_sort_block_merge_implIS3_PdN6thrust23THRUST_200600_302600_NS10device_ptrIlEEjNS1_19radix_merge_compareILb0ELb0EdNS0_19identity_decomposerEEEEE10hipError_tT0_T1_T2_jT3_P12ihipStream_tbPNSt15iterator_traitsISG_E10value_typeEPNSM_ISH_E10value_typeEPSI_NS1_7vsmem_tEENKUlT_SG_SH_SI_E_clIS7_S7_PlSB_EESF_SV_SG_SH_SI_EUlSV_E1_NS1_11comp_targetILNS1_3genE10ELNS1_11target_archE1201ELNS1_3gpuE5ELNS1_3repE0EEENS1_36merge_oddeven_config_static_selectorELNS0_4arch9wavefront6targetE1EEEvSH_,"axG",@progbits,_ZN7rocprim17ROCPRIM_400000_NS6detail17trampoline_kernelINS0_14default_configENS1_38merge_sort_block_merge_config_selectorIdlEEZZNS1_27merge_sort_block_merge_implIS3_PdN6thrust23THRUST_200600_302600_NS10device_ptrIlEEjNS1_19radix_merge_compareILb0ELb0EdNS0_19identity_decomposerEEEEE10hipError_tT0_T1_T2_jT3_P12ihipStream_tbPNSt15iterator_traitsISG_E10value_typeEPNSM_ISH_E10value_typeEPSI_NS1_7vsmem_tEENKUlT_SG_SH_SI_E_clIS7_S7_PlSB_EESF_SV_SG_SH_SI_EUlSV_E1_NS1_11comp_targetILNS1_3genE10ELNS1_11target_archE1201ELNS1_3gpuE5ELNS1_3repE0EEENS1_36merge_oddeven_config_static_selectorELNS0_4arch9wavefront6targetE1EEEvSH_,comdat
.Lfunc_end1559:
	.size	_ZN7rocprim17ROCPRIM_400000_NS6detail17trampoline_kernelINS0_14default_configENS1_38merge_sort_block_merge_config_selectorIdlEEZZNS1_27merge_sort_block_merge_implIS3_PdN6thrust23THRUST_200600_302600_NS10device_ptrIlEEjNS1_19radix_merge_compareILb0ELb0EdNS0_19identity_decomposerEEEEE10hipError_tT0_T1_T2_jT3_P12ihipStream_tbPNSt15iterator_traitsISG_E10value_typeEPNSM_ISH_E10value_typeEPSI_NS1_7vsmem_tEENKUlT_SG_SH_SI_E_clIS7_S7_PlSB_EESF_SV_SG_SH_SI_EUlSV_E1_NS1_11comp_targetILNS1_3genE10ELNS1_11target_archE1201ELNS1_3gpuE5ELNS1_3repE0EEENS1_36merge_oddeven_config_static_selectorELNS0_4arch9wavefront6targetE1EEEvSH_, .Lfunc_end1559-_ZN7rocprim17ROCPRIM_400000_NS6detail17trampoline_kernelINS0_14default_configENS1_38merge_sort_block_merge_config_selectorIdlEEZZNS1_27merge_sort_block_merge_implIS3_PdN6thrust23THRUST_200600_302600_NS10device_ptrIlEEjNS1_19radix_merge_compareILb0ELb0EdNS0_19identity_decomposerEEEEE10hipError_tT0_T1_T2_jT3_P12ihipStream_tbPNSt15iterator_traitsISG_E10value_typeEPNSM_ISH_E10value_typeEPSI_NS1_7vsmem_tEENKUlT_SG_SH_SI_E_clIS7_S7_PlSB_EESF_SV_SG_SH_SI_EUlSV_E1_NS1_11comp_targetILNS1_3genE10ELNS1_11target_archE1201ELNS1_3gpuE5ELNS1_3repE0EEENS1_36merge_oddeven_config_static_selectorELNS0_4arch9wavefront6targetE1EEEvSH_
                                        ; -- End function
	.section	.AMDGPU.csdata,"",@progbits
; Kernel info:
; codeLenInByte = 0
; NumSgprs: 4
; NumVgprs: 0
; NumAgprs: 0
; TotalNumVgprs: 0
; ScratchSize: 0
; MemoryBound: 0
; FloatMode: 240
; IeeeMode: 1
; LDSByteSize: 0 bytes/workgroup (compile time only)
; SGPRBlocks: 0
; VGPRBlocks: 0
; NumSGPRsForWavesPerEU: 4
; NumVGPRsForWavesPerEU: 1
; AccumOffset: 4
; Occupancy: 8
; WaveLimiterHint : 0
; COMPUTE_PGM_RSRC2:SCRATCH_EN: 0
; COMPUTE_PGM_RSRC2:USER_SGPR: 6
; COMPUTE_PGM_RSRC2:TRAP_HANDLER: 0
; COMPUTE_PGM_RSRC2:TGID_X_EN: 1
; COMPUTE_PGM_RSRC2:TGID_Y_EN: 0
; COMPUTE_PGM_RSRC2:TGID_Z_EN: 0
; COMPUTE_PGM_RSRC2:TIDIG_COMP_CNT: 0
; COMPUTE_PGM_RSRC3_GFX90A:ACCUM_OFFSET: 0
; COMPUTE_PGM_RSRC3_GFX90A:TG_SPLIT: 0
	.section	.text._ZN7rocprim17ROCPRIM_400000_NS6detail17trampoline_kernelINS0_14default_configENS1_38merge_sort_block_merge_config_selectorIdlEEZZNS1_27merge_sort_block_merge_implIS3_PdN6thrust23THRUST_200600_302600_NS10device_ptrIlEEjNS1_19radix_merge_compareILb0ELb0EdNS0_19identity_decomposerEEEEE10hipError_tT0_T1_T2_jT3_P12ihipStream_tbPNSt15iterator_traitsISG_E10value_typeEPNSM_ISH_E10value_typeEPSI_NS1_7vsmem_tEENKUlT_SG_SH_SI_E_clIS7_S7_PlSB_EESF_SV_SG_SH_SI_EUlSV_E1_NS1_11comp_targetILNS1_3genE5ELNS1_11target_archE942ELNS1_3gpuE9ELNS1_3repE0EEENS1_36merge_oddeven_config_static_selectorELNS0_4arch9wavefront6targetE1EEEvSH_,"axG",@progbits,_ZN7rocprim17ROCPRIM_400000_NS6detail17trampoline_kernelINS0_14default_configENS1_38merge_sort_block_merge_config_selectorIdlEEZZNS1_27merge_sort_block_merge_implIS3_PdN6thrust23THRUST_200600_302600_NS10device_ptrIlEEjNS1_19radix_merge_compareILb0ELb0EdNS0_19identity_decomposerEEEEE10hipError_tT0_T1_T2_jT3_P12ihipStream_tbPNSt15iterator_traitsISG_E10value_typeEPNSM_ISH_E10value_typeEPSI_NS1_7vsmem_tEENKUlT_SG_SH_SI_E_clIS7_S7_PlSB_EESF_SV_SG_SH_SI_EUlSV_E1_NS1_11comp_targetILNS1_3genE5ELNS1_11target_archE942ELNS1_3gpuE9ELNS1_3repE0EEENS1_36merge_oddeven_config_static_selectorELNS0_4arch9wavefront6targetE1EEEvSH_,comdat
	.protected	_ZN7rocprim17ROCPRIM_400000_NS6detail17trampoline_kernelINS0_14default_configENS1_38merge_sort_block_merge_config_selectorIdlEEZZNS1_27merge_sort_block_merge_implIS3_PdN6thrust23THRUST_200600_302600_NS10device_ptrIlEEjNS1_19radix_merge_compareILb0ELb0EdNS0_19identity_decomposerEEEEE10hipError_tT0_T1_T2_jT3_P12ihipStream_tbPNSt15iterator_traitsISG_E10value_typeEPNSM_ISH_E10value_typeEPSI_NS1_7vsmem_tEENKUlT_SG_SH_SI_E_clIS7_S7_PlSB_EESF_SV_SG_SH_SI_EUlSV_E1_NS1_11comp_targetILNS1_3genE5ELNS1_11target_archE942ELNS1_3gpuE9ELNS1_3repE0EEENS1_36merge_oddeven_config_static_selectorELNS0_4arch9wavefront6targetE1EEEvSH_ ; -- Begin function _ZN7rocprim17ROCPRIM_400000_NS6detail17trampoline_kernelINS0_14default_configENS1_38merge_sort_block_merge_config_selectorIdlEEZZNS1_27merge_sort_block_merge_implIS3_PdN6thrust23THRUST_200600_302600_NS10device_ptrIlEEjNS1_19radix_merge_compareILb0ELb0EdNS0_19identity_decomposerEEEEE10hipError_tT0_T1_T2_jT3_P12ihipStream_tbPNSt15iterator_traitsISG_E10value_typeEPNSM_ISH_E10value_typeEPSI_NS1_7vsmem_tEENKUlT_SG_SH_SI_E_clIS7_S7_PlSB_EESF_SV_SG_SH_SI_EUlSV_E1_NS1_11comp_targetILNS1_3genE5ELNS1_11target_archE942ELNS1_3gpuE9ELNS1_3repE0EEENS1_36merge_oddeven_config_static_selectorELNS0_4arch9wavefront6targetE1EEEvSH_
	.globl	_ZN7rocprim17ROCPRIM_400000_NS6detail17trampoline_kernelINS0_14default_configENS1_38merge_sort_block_merge_config_selectorIdlEEZZNS1_27merge_sort_block_merge_implIS3_PdN6thrust23THRUST_200600_302600_NS10device_ptrIlEEjNS1_19radix_merge_compareILb0ELb0EdNS0_19identity_decomposerEEEEE10hipError_tT0_T1_T2_jT3_P12ihipStream_tbPNSt15iterator_traitsISG_E10value_typeEPNSM_ISH_E10value_typeEPSI_NS1_7vsmem_tEENKUlT_SG_SH_SI_E_clIS7_S7_PlSB_EESF_SV_SG_SH_SI_EUlSV_E1_NS1_11comp_targetILNS1_3genE5ELNS1_11target_archE942ELNS1_3gpuE9ELNS1_3repE0EEENS1_36merge_oddeven_config_static_selectorELNS0_4arch9wavefront6targetE1EEEvSH_
	.p2align	8
	.type	_ZN7rocprim17ROCPRIM_400000_NS6detail17trampoline_kernelINS0_14default_configENS1_38merge_sort_block_merge_config_selectorIdlEEZZNS1_27merge_sort_block_merge_implIS3_PdN6thrust23THRUST_200600_302600_NS10device_ptrIlEEjNS1_19radix_merge_compareILb0ELb0EdNS0_19identity_decomposerEEEEE10hipError_tT0_T1_T2_jT3_P12ihipStream_tbPNSt15iterator_traitsISG_E10value_typeEPNSM_ISH_E10value_typeEPSI_NS1_7vsmem_tEENKUlT_SG_SH_SI_E_clIS7_S7_PlSB_EESF_SV_SG_SH_SI_EUlSV_E1_NS1_11comp_targetILNS1_3genE5ELNS1_11target_archE942ELNS1_3gpuE9ELNS1_3repE0EEENS1_36merge_oddeven_config_static_selectorELNS0_4arch9wavefront6targetE1EEEvSH_,@function
_ZN7rocprim17ROCPRIM_400000_NS6detail17trampoline_kernelINS0_14default_configENS1_38merge_sort_block_merge_config_selectorIdlEEZZNS1_27merge_sort_block_merge_implIS3_PdN6thrust23THRUST_200600_302600_NS10device_ptrIlEEjNS1_19radix_merge_compareILb0ELb0EdNS0_19identity_decomposerEEEEE10hipError_tT0_T1_T2_jT3_P12ihipStream_tbPNSt15iterator_traitsISG_E10value_typeEPNSM_ISH_E10value_typeEPSI_NS1_7vsmem_tEENKUlT_SG_SH_SI_E_clIS7_S7_PlSB_EESF_SV_SG_SH_SI_EUlSV_E1_NS1_11comp_targetILNS1_3genE5ELNS1_11target_archE942ELNS1_3gpuE9ELNS1_3repE0EEENS1_36merge_oddeven_config_static_selectorELNS0_4arch9wavefront6targetE1EEEvSH_: ; @_ZN7rocprim17ROCPRIM_400000_NS6detail17trampoline_kernelINS0_14default_configENS1_38merge_sort_block_merge_config_selectorIdlEEZZNS1_27merge_sort_block_merge_implIS3_PdN6thrust23THRUST_200600_302600_NS10device_ptrIlEEjNS1_19radix_merge_compareILb0ELb0EdNS0_19identity_decomposerEEEEE10hipError_tT0_T1_T2_jT3_P12ihipStream_tbPNSt15iterator_traitsISG_E10value_typeEPNSM_ISH_E10value_typeEPSI_NS1_7vsmem_tEENKUlT_SG_SH_SI_E_clIS7_S7_PlSB_EESF_SV_SG_SH_SI_EUlSV_E1_NS1_11comp_targetILNS1_3genE5ELNS1_11target_archE942ELNS1_3gpuE9ELNS1_3repE0EEENS1_36merge_oddeven_config_static_selectorELNS0_4arch9wavefront6targetE1EEEvSH_
; %bb.0:
	.section	.rodata,"a",@progbits
	.p2align	6, 0x0
	.amdhsa_kernel _ZN7rocprim17ROCPRIM_400000_NS6detail17trampoline_kernelINS0_14default_configENS1_38merge_sort_block_merge_config_selectorIdlEEZZNS1_27merge_sort_block_merge_implIS3_PdN6thrust23THRUST_200600_302600_NS10device_ptrIlEEjNS1_19radix_merge_compareILb0ELb0EdNS0_19identity_decomposerEEEEE10hipError_tT0_T1_T2_jT3_P12ihipStream_tbPNSt15iterator_traitsISG_E10value_typeEPNSM_ISH_E10value_typeEPSI_NS1_7vsmem_tEENKUlT_SG_SH_SI_E_clIS7_S7_PlSB_EESF_SV_SG_SH_SI_EUlSV_E1_NS1_11comp_targetILNS1_3genE5ELNS1_11target_archE942ELNS1_3gpuE9ELNS1_3repE0EEENS1_36merge_oddeven_config_static_selectorELNS0_4arch9wavefront6targetE1EEEvSH_
		.amdhsa_group_segment_fixed_size 0
		.amdhsa_private_segment_fixed_size 0
		.amdhsa_kernarg_size 48
		.amdhsa_user_sgpr_count 6
		.amdhsa_user_sgpr_private_segment_buffer 1
		.amdhsa_user_sgpr_dispatch_ptr 0
		.amdhsa_user_sgpr_queue_ptr 0
		.amdhsa_user_sgpr_kernarg_segment_ptr 1
		.amdhsa_user_sgpr_dispatch_id 0
		.amdhsa_user_sgpr_flat_scratch_init 0
		.amdhsa_user_sgpr_kernarg_preload_length 0
		.amdhsa_user_sgpr_kernarg_preload_offset 0
		.amdhsa_user_sgpr_private_segment_size 0
		.amdhsa_uses_dynamic_stack 0
		.amdhsa_system_sgpr_private_segment_wavefront_offset 0
		.amdhsa_system_sgpr_workgroup_id_x 1
		.amdhsa_system_sgpr_workgroup_id_y 0
		.amdhsa_system_sgpr_workgroup_id_z 0
		.amdhsa_system_sgpr_workgroup_info 0
		.amdhsa_system_vgpr_workitem_id 0
		.amdhsa_next_free_vgpr 1
		.amdhsa_next_free_sgpr 0
		.amdhsa_accum_offset 4
		.amdhsa_reserve_vcc 0
		.amdhsa_reserve_flat_scratch 0
		.amdhsa_float_round_mode_32 0
		.amdhsa_float_round_mode_16_64 0
		.amdhsa_float_denorm_mode_32 3
		.amdhsa_float_denorm_mode_16_64 3
		.amdhsa_dx10_clamp 1
		.amdhsa_ieee_mode 1
		.amdhsa_fp16_overflow 0
		.amdhsa_tg_split 0
		.amdhsa_exception_fp_ieee_invalid_op 0
		.amdhsa_exception_fp_denorm_src 0
		.amdhsa_exception_fp_ieee_div_zero 0
		.amdhsa_exception_fp_ieee_overflow 0
		.amdhsa_exception_fp_ieee_underflow 0
		.amdhsa_exception_fp_ieee_inexact 0
		.amdhsa_exception_int_div_zero 0
	.end_amdhsa_kernel
	.section	.text._ZN7rocprim17ROCPRIM_400000_NS6detail17trampoline_kernelINS0_14default_configENS1_38merge_sort_block_merge_config_selectorIdlEEZZNS1_27merge_sort_block_merge_implIS3_PdN6thrust23THRUST_200600_302600_NS10device_ptrIlEEjNS1_19radix_merge_compareILb0ELb0EdNS0_19identity_decomposerEEEEE10hipError_tT0_T1_T2_jT3_P12ihipStream_tbPNSt15iterator_traitsISG_E10value_typeEPNSM_ISH_E10value_typeEPSI_NS1_7vsmem_tEENKUlT_SG_SH_SI_E_clIS7_S7_PlSB_EESF_SV_SG_SH_SI_EUlSV_E1_NS1_11comp_targetILNS1_3genE5ELNS1_11target_archE942ELNS1_3gpuE9ELNS1_3repE0EEENS1_36merge_oddeven_config_static_selectorELNS0_4arch9wavefront6targetE1EEEvSH_,"axG",@progbits,_ZN7rocprim17ROCPRIM_400000_NS6detail17trampoline_kernelINS0_14default_configENS1_38merge_sort_block_merge_config_selectorIdlEEZZNS1_27merge_sort_block_merge_implIS3_PdN6thrust23THRUST_200600_302600_NS10device_ptrIlEEjNS1_19radix_merge_compareILb0ELb0EdNS0_19identity_decomposerEEEEE10hipError_tT0_T1_T2_jT3_P12ihipStream_tbPNSt15iterator_traitsISG_E10value_typeEPNSM_ISH_E10value_typeEPSI_NS1_7vsmem_tEENKUlT_SG_SH_SI_E_clIS7_S7_PlSB_EESF_SV_SG_SH_SI_EUlSV_E1_NS1_11comp_targetILNS1_3genE5ELNS1_11target_archE942ELNS1_3gpuE9ELNS1_3repE0EEENS1_36merge_oddeven_config_static_selectorELNS0_4arch9wavefront6targetE1EEEvSH_,comdat
.Lfunc_end1560:
	.size	_ZN7rocprim17ROCPRIM_400000_NS6detail17trampoline_kernelINS0_14default_configENS1_38merge_sort_block_merge_config_selectorIdlEEZZNS1_27merge_sort_block_merge_implIS3_PdN6thrust23THRUST_200600_302600_NS10device_ptrIlEEjNS1_19radix_merge_compareILb0ELb0EdNS0_19identity_decomposerEEEEE10hipError_tT0_T1_T2_jT3_P12ihipStream_tbPNSt15iterator_traitsISG_E10value_typeEPNSM_ISH_E10value_typeEPSI_NS1_7vsmem_tEENKUlT_SG_SH_SI_E_clIS7_S7_PlSB_EESF_SV_SG_SH_SI_EUlSV_E1_NS1_11comp_targetILNS1_3genE5ELNS1_11target_archE942ELNS1_3gpuE9ELNS1_3repE0EEENS1_36merge_oddeven_config_static_selectorELNS0_4arch9wavefront6targetE1EEEvSH_, .Lfunc_end1560-_ZN7rocprim17ROCPRIM_400000_NS6detail17trampoline_kernelINS0_14default_configENS1_38merge_sort_block_merge_config_selectorIdlEEZZNS1_27merge_sort_block_merge_implIS3_PdN6thrust23THRUST_200600_302600_NS10device_ptrIlEEjNS1_19radix_merge_compareILb0ELb0EdNS0_19identity_decomposerEEEEE10hipError_tT0_T1_T2_jT3_P12ihipStream_tbPNSt15iterator_traitsISG_E10value_typeEPNSM_ISH_E10value_typeEPSI_NS1_7vsmem_tEENKUlT_SG_SH_SI_E_clIS7_S7_PlSB_EESF_SV_SG_SH_SI_EUlSV_E1_NS1_11comp_targetILNS1_3genE5ELNS1_11target_archE942ELNS1_3gpuE9ELNS1_3repE0EEENS1_36merge_oddeven_config_static_selectorELNS0_4arch9wavefront6targetE1EEEvSH_
                                        ; -- End function
	.section	.AMDGPU.csdata,"",@progbits
; Kernel info:
; codeLenInByte = 0
; NumSgprs: 4
; NumVgprs: 0
; NumAgprs: 0
; TotalNumVgprs: 0
; ScratchSize: 0
; MemoryBound: 0
; FloatMode: 240
; IeeeMode: 1
; LDSByteSize: 0 bytes/workgroup (compile time only)
; SGPRBlocks: 0
; VGPRBlocks: 0
; NumSGPRsForWavesPerEU: 4
; NumVGPRsForWavesPerEU: 1
; AccumOffset: 4
; Occupancy: 8
; WaveLimiterHint : 0
; COMPUTE_PGM_RSRC2:SCRATCH_EN: 0
; COMPUTE_PGM_RSRC2:USER_SGPR: 6
; COMPUTE_PGM_RSRC2:TRAP_HANDLER: 0
; COMPUTE_PGM_RSRC2:TGID_X_EN: 1
; COMPUTE_PGM_RSRC2:TGID_Y_EN: 0
; COMPUTE_PGM_RSRC2:TGID_Z_EN: 0
; COMPUTE_PGM_RSRC2:TIDIG_COMP_CNT: 0
; COMPUTE_PGM_RSRC3_GFX90A:ACCUM_OFFSET: 0
; COMPUTE_PGM_RSRC3_GFX90A:TG_SPLIT: 0
	.section	.text._ZN7rocprim17ROCPRIM_400000_NS6detail17trampoline_kernelINS0_14default_configENS1_38merge_sort_block_merge_config_selectorIdlEEZZNS1_27merge_sort_block_merge_implIS3_PdN6thrust23THRUST_200600_302600_NS10device_ptrIlEEjNS1_19radix_merge_compareILb0ELb0EdNS0_19identity_decomposerEEEEE10hipError_tT0_T1_T2_jT3_P12ihipStream_tbPNSt15iterator_traitsISG_E10value_typeEPNSM_ISH_E10value_typeEPSI_NS1_7vsmem_tEENKUlT_SG_SH_SI_E_clIS7_S7_PlSB_EESF_SV_SG_SH_SI_EUlSV_E1_NS1_11comp_targetILNS1_3genE4ELNS1_11target_archE910ELNS1_3gpuE8ELNS1_3repE0EEENS1_36merge_oddeven_config_static_selectorELNS0_4arch9wavefront6targetE1EEEvSH_,"axG",@progbits,_ZN7rocprim17ROCPRIM_400000_NS6detail17trampoline_kernelINS0_14default_configENS1_38merge_sort_block_merge_config_selectorIdlEEZZNS1_27merge_sort_block_merge_implIS3_PdN6thrust23THRUST_200600_302600_NS10device_ptrIlEEjNS1_19radix_merge_compareILb0ELb0EdNS0_19identity_decomposerEEEEE10hipError_tT0_T1_T2_jT3_P12ihipStream_tbPNSt15iterator_traitsISG_E10value_typeEPNSM_ISH_E10value_typeEPSI_NS1_7vsmem_tEENKUlT_SG_SH_SI_E_clIS7_S7_PlSB_EESF_SV_SG_SH_SI_EUlSV_E1_NS1_11comp_targetILNS1_3genE4ELNS1_11target_archE910ELNS1_3gpuE8ELNS1_3repE0EEENS1_36merge_oddeven_config_static_selectorELNS0_4arch9wavefront6targetE1EEEvSH_,comdat
	.protected	_ZN7rocprim17ROCPRIM_400000_NS6detail17trampoline_kernelINS0_14default_configENS1_38merge_sort_block_merge_config_selectorIdlEEZZNS1_27merge_sort_block_merge_implIS3_PdN6thrust23THRUST_200600_302600_NS10device_ptrIlEEjNS1_19radix_merge_compareILb0ELb0EdNS0_19identity_decomposerEEEEE10hipError_tT0_T1_T2_jT3_P12ihipStream_tbPNSt15iterator_traitsISG_E10value_typeEPNSM_ISH_E10value_typeEPSI_NS1_7vsmem_tEENKUlT_SG_SH_SI_E_clIS7_S7_PlSB_EESF_SV_SG_SH_SI_EUlSV_E1_NS1_11comp_targetILNS1_3genE4ELNS1_11target_archE910ELNS1_3gpuE8ELNS1_3repE0EEENS1_36merge_oddeven_config_static_selectorELNS0_4arch9wavefront6targetE1EEEvSH_ ; -- Begin function _ZN7rocprim17ROCPRIM_400000_NS6detail17trampoline_kernelINS0_14default_configENS1_38merge_sort_block_merge_config_selectorIdlEEZZNS1_27merge_sort_block_merge_implIS3_PdN6thrust23THRUST_200600_302600_NS10device_ptrIlEEjNS1_19radix_merge_compareILb0ELb0EdNS0_19identity_decomposerEEEEE10hipError_tT0_T1_T2_jT3_P12ihipStream_tbPNSt15iterator_traitsISG_E10value_typeEPNSM_ISH_E10value_typeEPSI_NS1_7vsmem_tEENKUlT_SG_SH_SI_E_clIS7_S7_PlSB_EESF_SV_SG_SH_SI_EUlSV_E1_NS1_11comp_targetILNS1_3genE4ELNS1_11target_archE910ELNS1_3gpuE8ELNS1_3repE0EEENS1_36merge_oddeven_config_static_selectorELNS0_4arch9wavefront6targetE1EEEvSH_
	.globl	_ZN7rocprim17ROCPRIM_400000_NS6detail17trampoline_kernelINS0_14default_configENS1_38merge_sort_block_merge_config_selectorIdlEEZZNS1_27merge_sort_block_merge_implIS3_PdN6thrust23THRUST_200600_302600_NS10device_ptrIlEEjNS1_19radix_merge_compareILb0ELb0EdNS0_19identity_decomposerEEEEE10hipError_tT0_T1_T2_jT3_P12ihipStream_tbPNSt15iterator_traitsISG_E10value_typeEPNSM_ISH_E10value_typeEPSI_NS1_7vsmem_tEENKUlT_SG_SH_SI_E_clIS7_S7_PlSB_EESF_SV_SG_SH_SI_EUlSV_E1_NS1_11comp_targetILNS1_3genE4ELNS1_11target_archE910ELNS1_3gpuE8ELNS1_3repE0EEENS1_36merge_oddeven_config_static_selectorELNS0_4arch9wavefront6targetE1EEEvSH_
	.p2align	8
	.type	_ZN7rocprim17ROCPRIM_400000_NS6detail17trampoline_kernelINS0_14default_configENS1_38merge_sort_block_merge_config_selectorIdlEEZZNS1_27merge_sort_block_merge_implIS3_PdN6thrust23THRUST_200600_302600_NS10device_ptrIlEEjNS1_19radix_merge_compareILb0ELb0EdNS0_19identity_decomposerEEEEE10hipError_tT0_T1_T2_jT3_P12ihipStream_tbPNSt15iterator_traitsISG_E10value_typeEPNSM_ISH_E10value_typeEPSI_NS1_7vsmem_tEENKUlT_SG_SH_SI_E_clIS7_S7_PlSB_EESF_SV_SG_SH_SI_EUlSV_E1_NS1_11comp_targetILNS1_3genE4ELNS1_11target_archE910ELNS1_3gpuE8ELNS1_3repE0EEENS1_36merge_oddeven_config_static_selectorELNS0_4arch9wavefront6targetE1EEEvSH_,@function
_ZN7rocprim17ROCPRIM_400000_NS6detail17trampoline_kernelINS0_14default_configENS1_38merge_sort_block_merge_config_selectorIdlEEZZNS1_27merge_sort_block_merge_implIS3_PdN6thrust23THRUST_200600_302600_NS10device_ptrIlEEjNS1_19radix_merge_compareILb0ELb0EdNS0_19identity_decomposerEEEEE10hipError_tT0_T1_T2_jT3_P12ihipStream_tbPNSt15iterator_traitsISG_E10value_typeEPNSM_ISH_E10value_typeEPSI_NS1_7vsmem_tEENKUlT_SG_SH_SI_E_clIS7_S7_PlSB_EESF_SV_SG_SH_SI_EUlSV_E1_NS1_11comp_targetILNS1_3genE4ELNS1_11target_archE910ELNS1_3gpuE8ELNS1_3repE0EEENS1_36merge_oddeven_config_static_selectorELNS0_4arch9wavefront6targetE1EEEvSH_: ; @_ZN7rocprim17ROCPRIM_400000_NS6detail17trampoline_kernelINS0_14default_configENS1_38merge_sort_block_merge_config_selectorIdlEEZZNS1_27merge_sort_block_merge_implIS3_PdN6thrust23THRUST_200600_302600_NS10device_ptrIlEEjNS1_19radix_merge_compareILb0ELb0EdNS0_19identity_decomposerEEEEE10hipError_tT0_T1_T2_jT3_P12ihipStream_tbPNSt15iterator_traitsISG_E10value_typeEPNSM_ISH_E10value_typeEPSI_NS1_7vsmem_tEENKUlT_SG_SH_SI_E_clIS7_S7_PlSB_EESF_SV_SG_SH_SI_EUlSV_E1_NS1_11comp_targetILNS1_3genE4ELNS1_11target_archE910ELNS1_3gpuE8ELNS1_3repE0EEENS1_36merge_oddeven_config_static_selectorELNS0_4arch9wavefront6targetE1EEEvSH_
; %bb.0:
	s_load_dword s20, s[4:5], 0x20
	s_waitcnt lgkmcnt(0)
	s_lshr_b32 s2, s20, 8
	s_cmp_lg_u32 s6, s2
	s_cselect_b64 s[0:1], -1, 0
	s_cmp_eq_u32 s6, s2
	s_cselect_b64 s[16:17], -1, 0
	s_lshl_b32 s18, s6, 8
	s_sub_i32 s2, s20, s18
	v_cmp_gt_u32_e64 s[2:3], s2, v0
	s_or_b64 s[0:1], s[0:1], s[2:3]
	s_and_saveexec_b64 s[8:9], s[0:1]
	s_cbranch_execz .LBB1561_26
; %bb.1:
	s_load_dwordx8 s[8:15], s[4:5], 0x0
	s_mov_b32 s19, 0
	s_lshl_b64 s[0:1], s[18:19], 3
	v_lshlrev_b32_e32 v1, 3, v0
	s_load_dword s21, s[4:5], 0x24
	s_waitcnt lgkmcnt(0)
	s_add_u32 s22, s8, s0
	s_addc_u32 s23, s9, s1
	s_add_u32 s0, s12, s0
	s_addc_u32 s1, s13, s1
	global_load_dwordx2 v[2:3], v1, s[0:1]
	global_load_dwordx2 v[4:5], v1, s[22:23]
	s_lshr_b32 s0, s21, 8
	s_sub_i32 s1, 0, s0
	s_and_b32 s1, s6, s1
	s_and_b32 s0, s1, s0
	s_lshl_b32 s22, s1, 8
	s_sub_i32 s6, 0, s21
	s_cmp_eq_u32 s0, 0
	s_cselect_b64 s[0:1], -1, 0
	s_and_b64 s[4:5], s[0:1], exec
	s_cselect_b32 s19, s21, s6
	s_add_i32 s19, s19, s22
	s_cmp_lt_u32 s19, s20
	v_add_u32_e32 v6, s18, v0
	s_cbranch_scc1 .LBB1561_6
; %bb.2:
	s_and_b64 vcc, exec, s[16:17]
	s_cbranch_vccz .LBB1561_7
; %bb.3:
	v_cmp_gt_u32_e32 vcc, s20, v6
	s_mov_b64 s[6:7], 0
	s_mov_b64 s[4:5], 0
                                        ; implicit-def: $vgpr0_vgpr1
	s_and_saveexec_b64 s[12:13], vcc
	s_cbranch_execz .LBB1561_5
; %bb.4:
	v_mov_b32_e32 v7, 0
	v_lshlrev_b64 v[8:9], 3, v[6:7]
	v_mov_b32_e32 v1, s15
	v_add_co_u32_e32 v0, vcc, s14, v8
	v_addc_co_u32_e32 v1, vcc, v1, v9, vcc
	v_mov_b32_e32 v7, s11
	v_add_co_u32_e32 v8, vcc, s10, v8
	s_mov_b64 s[4:5], exec
	v_addc_co_u32_e32 v9, vcc, v7, v9, vcc
	s_waitcnt vmcnt(0)
	global_store_dwordx2 v[8:9], v[4:5], off
.LBB1561_5:
	s_or_b64 exec, exec, s[12:13]
	s_and_b64 vcc, exec, s[6:7]
	s_cbranch_vccnz .LBB1561_8
	s_branch .LBB1561_9
.LBB1561_6:
	s_mov_b64 s[4:5], 0
                                        ; implicit-def: $vgpr0_vgpr1
	s_cbranch_execnz .LBB1561_10
	s_branch .LBB1561_24
.LBB1561_7:
	s_mov_b64 s[4:5], 0
                                        ; implicit-def: $vgpr0_vgpr1
	s_cbranch_execz .LBB1561_9
.LBB1561_8:
	v_mov_b32_e32 v7, 0
	v_lshlrev_b64 v[0:1], 3, v[6:7]
	v_mov_b32_e32 v7, s11
	v_add_co_u32_e32 v8, vcc, s10, v0
	v_addc_co_u32_e32 v9, vcc, v7, v1, vcc
	v_mov_b32_e32 v7, s15
	v_add_co_u32_e32 v0, vcc, s14, v0
	v_addc_co_u32_e32 v1, vcc, v7, v1, vcc
	s_or_b64 s[4:5], s[4:5], exec
	s_waitcnt vmcnt(0)
	global_store_dwordx2 v[8:9], v[4:5], off
.LBB1561_9:
	s_branch .LBB1561_24
.LBB1561_10:
	s_min_u32 s12, s19, s20
	s_add_i32 s6, s12, s21
	s_min_u32 s13, s6, s20
	s_min_u32 s6, s22, s12
	s_add_i32 s22, s22, s12
	v_subrev_u32_e32 v0, s22, v6
	v_add_u32_e32 v8, s6, v0
	s_and_b64 vcc, exec, s[16:17]
	s_cbranch_vccz .LBB1561_18
; %bb.11:
                                        ; implicit-def: $vgpr0_vgpr1
	s_and_saveexec_b64 s[6:7], s[2:3]
	s_cbranch_execz .LBB1561_17
; %bb.12:
	s_cmp_ge_u32 s19, s13
	v_mov_b32_e32 v9, s12
	s_cbranch_scc1 .LBB1561_16
; %bb.13:
	s_waitcnt vmcnt(0)
	v_add_f64 v[0:1], v[4:5], 0
	v_ashrrev_i32_e32 v6, 31, v1
	v_or_b32_e32 v7, 0x80000000, v6
	s_mov_b64 s[2:3], 0
	v_xor_b32_e32 v1, v7, v1
	v_xor_b32_e32 v0, v6, v0
	v_mov_b32_e32 v10, s13
	v_mov_b32_e32 v9, s12
	;; [unrolled: 1-line block ×4, first 2 shown]
.LBB1561_14:                            ; =>This Inner Loop Header: Depth=1
	v_add_u32_e32 v6, v9, v10
	v_lshrrev_b32_e32 v6, 1, v6
	v_lshlrev_b64 v[12:13], 3, v[6:7]
	v_add_co_u32_e32 v12, vcc, s8, v12
	v_addc_co_u32_e32 v13, vcc, v11, v13, vcc
	global_load_dwordx2 v[12:13], v[12:13], off
	v_add_u32_e32 v14, 1, v6
	s_waitcnt vmcnt(0)
	v_add_f64 v[12:13], v[12:13], 0
	v_ashrrev_i32_e32 v15, 31, v13
	v_or_b32_e32 v16, 0x80000000, v15
	v_xor_b32_e32 v12, v15, v12
	v_xor_b32_e32 v13, v16, v13
	v_cmp_gt_u64_e32 vcc, v[0:1], v[12:13]
	v_cndmask_b32_e64 v15, 0, 1, vcc
	v_cmp_le_u64_e32 vcc, v[12:13], v[0:1]
	v_cndmask_b32_e64 v12, 0, 1, vcc
	v_cndmask_b32_e64 v12, v12, v15, s[0:1]
	v_and_b32_e32 v12, 1, v12
	v_cmp_eq_u32_e32 vcc, 1, v12
	v_cndmask_b32_e32 v10, v6, v10, vcc
	v_cndmask_b32_e32 v9, v9, v14, vcc
	v_cmp_ge_u32_e32 vcc, v9, v10
	s_or_b64 s[2:3], vcc, s[2:3]
	s_andn2_b64 exec, exec, s[2:3]
	s_cbranch_execnz .LBB1561_14
; %bb.15:
	s_or_b64 exec, exec, s[2:3]
.LBB1561_16:
	v_add_u32_e32 v0, v9, v8
	v_mov_b32_e32 v1, 0
	v_lshlrev_b64 v[0:1], 3, v[0:1]
	v_mov_b32_e32 v7, s11
	v_add_co_u32_e32 v6, vcc, s10, v0
	v_addc_co_u32_e32 v7, vcc, v7, v1, vcc
	s_waitcnt vmcnt(0)
	global_store_dwordx2 v[6:7], v[4:5], off
	v_mov_b32_e32 v6, s15
	v_add_co_u32_e32 v0, vcc, s14, v0
	v_addc_co_u32_e32 v1, vcc, v6, v1, vcc
	s_or_b64 s[4:5], s[4:5], exec
.LBB1561_17:
	s_or_b64 exec, exec, s[6:7]
	s_branch .LBB1561_24
.LBB1561_18:
                                        ; implicit-def: $vgpr0_vgpr1
	s_cbranch_execz .LBB1561_24
; %bb.19:
	s_cmp_ge_u32 s19, s13
	v_mov_b32_e32 v9, s12
	s_cbranch_scc1 .LBB1561_23
; %bb.20:
	s_waitcnt vmcnt(0)
	v_add_f64 v[0:1], v[4:5], 0
	v_ashrrev_i32_e32 v6, 31, v1
	v_or_b32_e32 v7, 0x80000000, v6
	s_mov_b64 s[2:3], 0
	v_xor_b32_e32 v1, v7, v1
	v_xor_b32_e32 v0, v6, v0
	v_mov_b32_e32 v10, s13
	v_mov_b32_e32 v9, s12
	;; [unrolled: 1-line block ×4, first 2 shown]
.LBB1561_21:                            ; =>This Inner Loop Header: Depth=1
	v_add_u32_e32 v6, v9, v10
	v_lshrrev_b32_e32 v6, 1, v6
	v_lshlrev_b64 v[12:13], 3, v[6:7]
	v_add_co_u32_e32 v12, vcc, s8, v12
	v_addc_co_u32_e32 v13, vcc, v11, v13, vcc
	global_load_dwordx2 v[12:13], v[12:13], off
	v_add_u32_e32 v14, 1, v6
	s_waitcnt vmcnt(0)
	v_add_f64 v[12:13], v[12:13], 0
	v_ashrrev_i32_e32 v15, 31, v13
	v_or_b32_e32 v16, 0x80000000, v15
	v_xor_b32_e32 v12, v15, v12
	v_xor_b32_e32 v13, v16, v13
	v_cmp_gt_u64_e32 vcc, v[0:1], v[12:13]
	v_cndmask_b32_e64 v15, 0, 1, vcc
	v_cmp_le_u64_e32 vcc, v[12:13], v[0:1]
	v_cndmask_b32_e64 v12, 0, 1, vcc
	v_cndmask_b32_e64 v12, v12, v15, s[0:1]
	v_and_b32_e32 v12, 1, v12
	v_cmp_eq_u32_e32 vcc, 1, v12
	v_cndmask_b32_e32 v10, v6, v10, vcc
	v_cndmask_b32_e32 v9, v9, v14, vcc
	v_cmp_ge_u32_e32 vcc, v9, v10
	s_or_b64 s[2:3], vcc, s[2:3]
	s_andn2_b64 exec, exec, s[2:3]
	s_cbranch_execnz .LBB1561_21
; %bb.22:
	s_or_b64 exec, exec, s[2:3]
.LBB1561_23:
	v_add_u32_e32 v0, v9, v8
	v_mov_b32_e32 v1, 0
	v_lshlrev_b64 v[0:1], 3, v[0:1]
	v_mov_b32_e32 v7, s11
	v_add_co_u32_e32 v6, vcc, s10, v0
	v_addc_co_u32_e32 v7, vcc, v7, v1, vcc
	s_waitcnt vmcnt(0)
	global_store_dwordx2 v[6:7], v[4:5], off
	v_mov_b32_e32 v4, s15
	v_add_co_u32_e32 v0, vcc, s14, v0
	v_addc_co_u32_e32 v1, vcc, v4, v1, vcc
	s_mov_b64 s[4:5], -1
.LBB1561_24:
	s_and_b64 exec, exec, s[4:5]
	s_cbranch_execz .LBB1561_26
; %bb.25:
	s_waitcnt vmcnt(1)
	global_store_dwordx2 v[0:1], v[2:3], off
.LBB1561_26:
	s_endpgm
	.section	.rodata,"a",@progbits
	.p2align	6, 0x0
	.amdhsa_kernel _ZN7rocprim17ROCPRIM_400000_NS6detail17trampoline_kernelINS0_14default_configENS1_38merge_sort_block_merge_config_selectorIdlEEZZNS1_27merge_sort_block_merge_implIS3_PdN6thrust23THRUST_200600_302600_NS10device_ptrIlEEjNS1_19radix_merge_compareILb0ELb0EdNS0_19identity_decomposerEEEEE10hipError_tT0_T1_T2_jT3_P12ihipStream_tbPNSt15iterator_traitsISG_E10value_typeEPNSM_ISH_E10value_typeEPSI_NS1_7vsmem_tEENKUlT_SG_SH_SI_E_clIS7_S7_PlSB_EESF_SV_SG_SH_SI_EUlSV_E1_NS1_11comp_targetILNS1_3genE4ELNS1_11target_archE910ELNS1_3gpuE8ELNS1_3repE0EEENS1_36merge_oddeven_config_static_selectorELNS0_4arch9wavefront6targetE1EEEvSH_
		.amdhsa_group_segment_fixed_size 0
		.amdhsa_private_segment_fixed_size 0
		.amdhsa_kernarg_size 48
		.amdhsa_user_sgpr_count 6
		.amdhsa_user_sgpr_private_segment_buffer 1
		.amdhsa_user_sgpr_dispatch_ptr 0
		.amdhsa_user_sgpr_queue_ptr 0
		.amdhsa_user_sgpr_kernarg_segment_ptr 1
		.amdhsa_user_sgpr_dispatch_id 0
		.amdhsa_user_sgpr_flat_scratch_init 0
		.amdhsa_user_sgpr_kernarg_preload_length 0
		.amdhsa_user_sgpr_kernarg_preload_offset 0
		.amdhsa_user_sgpr_private_segment_size 0
		.amdhsa_uses_dynamic_stack 0
		.amdhsa_system_sgpr_private_segment_wavefront_offset 0
		.amdhsa_system_sgpr_workgroup_id_x 1
		.amdhsa_system_sgpr_workgroup_id_y 0
		.amdhsa_system_sgpr_workgroup_id_z 0
		.amdhsa_system_sgpr_workgroup_info 0
		.amdhsa_system_vgpr_workitem_id 0
		.amdhsa_next_free_vgpr 17
		.amdhsa_next_free_sgpr 24
		.amdhsa_accum_offset 20
		.amdhsa_reserve_vcc 1
		.amdhsa_reserve_flat_scratch 0
		.amdhsa_float_round_mode_32 0
		.amdhsa_float_round_mode_16_64 0
		.amdhsa_float_denorm_mode_32 3
		.amdhsa_float_denorm_mode_16_64 3
		.amdhsa_dx10_clamp 1
		.amdhsa_ieee_mode 1
		.amdhsa_fp16_overflow 0
		.amdhsa_tg_split 0
		.amdhsa_exception_fp_ieee_invalid_op 0
		.amdhsa_exception_fp_denorm_src 0
		.amdhsa_exception_fp_ieee_div_zero 0
		.amdhsa_exception_fp_ieee_overflow 0
		.amdhsa_exception_fp_ieee_underflow 0
		.amdhsa_exception_fp_ieee_inexact 0
		.amdhsa_exception_int_div_zero 0
	.end_amdhsa_kernel
	.section	.text._ZN7rocprim17ROCPRIM_400000_NS6detail17trampoline_kernelINS0_14default_configENS1_38merge_sort_block_merge_config_selectorIdlEEZZNS1_27merge_sort_block_merge_implIS3_PdN6thrust23THRUST_200600_302600_NS10device_ptrIlEEjNS1_19radix_merge_compareILb0ELb0EdNS0_19identity_decomposerEEEEE10hipError_tT0_T1_T2_jT3_P12ihipStream_tbPNSt15iterator_traitsISG_E10value_typeEPNSM_ISH_E10value_typeEPSI_NS1_7vsmem_tEENKUlT_SG_SH_SI_E_clIS7_S7_PlSB_EESF_SV_SG_SH_SI_EUlSV_E1_NS1_11comp_targetILNS1_3genE4ELNS1_11target_archE910ELNS1_3gpuE8ELNS1_3repE0EEENS1_36merge_oddeven_config_static_selectorELNS0_4arch9wavefront6targetE1EEEvSH_,"axG",@progbits,_ZN7rocprim17ROCPRIM_400000_NS6detail17trampoline_kernelINS0_14default_configENS1_38merge_sort_block_merge_config_selectorIdlEEZZNS1_27merge_sort_block_merge_implIS3_PdN6thrust23THRUST_200600_302600_NS10device_ptrIlEEjNS1_19radix_merge_compareILb0ELb0EdNS0_19identity_decomposerEEEEE10hipError_tT0_T1_T2_jT3_P12ihipStream_tbPNSt15iterator_traitsISG_E10value_typeEPNSM_ISH_E10value_typeEPSI_NS1_7vsmem_tEENKUlT_SG_SH_SI_E_clIS7_S7_PlSB_EESF_SV_SG_SH_SI_EUlSV_E1_NS1_11comp_targetILNS1_3genE4ELNS1_11target_archE910ELNS1_3gpuE8ELNS1_3repE0EEENS1_36merge_oddeven_config_static_selectorELNS0_4arch9wavefront6targetE1EEEvSH_,comdat
.Lfunc_end1561:
	.size	_ZN7rocprim17ROCPRIM_400000_NS6detail17trampoline_kernelINS0_14default_configENS1_38merge_sort_block_merge_config_selectorIdlEEZZNS1_27merge_sort_block_merge_implIS3_PdN6thrust23THRUST_200600_302600_NS10device_ptrIlEEjNS1_19radix_merge_compareILb0ELb0EdNS0_19identity_decomposerEEEEE10hipError_tT0_T1_T2_jT3_P12ihipStream_tbPNSt15iterator_traitsISG_E10value_typeEPNSM_ISH_E10value_typeEPSI_NS1_7vsmem_tEENKUlT_SG_SH_SI_E_clIS7_S7_PlSB_EESF_SV_SG_SH_SI_EUlSV_E1_NS1_11comp_targetILNS1_3genE4ELNS1_11target_archE910ELNS1_3gpuE8ELNS1_3repE0EEENS1_36merge_oddeven_config_static_selectorELNS0_4arch9wavefront6targetE1EEEvSH_, .Lfunc_end1561-_ZN7rocprim17ROCPRIM_400000_NS6detail17trampoline_kernelINS0_14default_configENS1_38merge_sort_block_merge_config_selectorIdlEEZZNS1_27merge_sort_block_merge_implIS3_PdN6thrust23THRUST_200600_302600_NS10device_ptrIlEEjNS1_19radix_merge_compareILb0ELb0EdNS0_19identity_decomposerEEEEE10hipError_tT0_T1_T2_jT3_P12ihipStream_tbPNSt15iterator_traitsISG_E10value_typeEPNSM_ISH_E10value_typeEPSI_NS1_7vsmem_tEENKUlT_SG_SH_SI_E_clIS7_S7_PlSB_EESF_SV_SG_SH_SI_EUlSV_E1_NS1_11comp_targetILNS1_3genE4ELNS1_11target_archE910ELNS1_3gpuE8ELNS1_3repE0EEENS1_36merge_oddeven_config_static_selectorELNS0_4arch9wavefront6targetE1EEEvSH_
                                        ; -- End function
	.section	.AMDGPU.csdata,"",@progbits
; Kernel info:
; codeLenInByte = 944
; NumSgprs: 28
; NumVgprs: 17
; NumAgprs: 0
; TotalNumVgprs: 17
; ScratchSize: 0
; MemoryBound: 0
; FloatMode: 240
; IeeeMode: 1
; LDSByteSize: 0 bytes/workgroup (compile time only)
; SGPRBlocks: 3
; VGPRBlocks: 2
; NumSGPRsForWavesPerEU: 28
; NumVGPRsForWavesPerEU: 17
; AccumOffset: 20
; Occupancy: 8
; WaveLimiterHint : 0
; COMPUTE_PGM_RSRC2:SCRATCH_EN: 0
; COMPUTE_PGM_RSRC2:USER_SGPR: 6
; COMPUTE_PGM_RSRC2:TRAP_HANDLER: 0
; COMPUTE_PGM_RSRC2:TGID_X_EN: 1
; COMPUTE_PGM_RSRC2:TGID_Y_EN: 0
; COMPUTE_PGM_RSRC2:TGID_Z_EN: 0
; COMPUTE_PGM_RSRC2:TIDIG_COMP_CNT: 0
; COMPUTE_PGM_RSRC3_GFX90A:ACCUM_OFFSET: 4
; COMPUTE_PGM_RSRC3_GFX90A:TG_SPLIT: 0
	.section	.text._ZN7rocprim17ROCPRIM_400000_NS6detail17trampoline_kernelINS0_14default_configENS1_38merge_sort_block_merge_config_selectorIdlEEZZNS1_27merge_sort_block_merge_implIS3_PdN6thrust23THRUST_200600_302600_NS10device_ptrIlEEjNS1_19radix_merge_compareILb0ELb0EdNS0_19identity_decomposerEEEEE10hipError_tT0_T1_T2_jT3_P12ihipStream_tbPNSt15iterator_traitsISG_E10value_typeEPNSM_ISH_E10value_typeEPSI_NS1_7vsmem_tEENKUlT_SG_SH_SI_E_clIS7_S7_PlSB_EESF_SV_SG_SH_SI_EUlSV_E1_NS1_11comp_targetILNS1_3genE3ELNS1_11target_archE908ELNS1_3gpuE7ELNS1_3repE0EEENS1_36merge_oddeven_config_static_selectorELNS0_4arch9wavefront6targetE1EEEvSH_,"axG",@progbits,_ZN7rocprim17ROCPRIM_400000_NS6detail17trampoline_kernelINS0_14default_configENS1_38merge_sort_block_merge_config_selectorIdlEEZZNS1_27merge_sort_block_merge_implIS3_PdN6thrust23THRUST_200600_302600_NS10device_ptrIlEEjNS1_19radix_merge_compareILb0ELb0EdNS0_19identity_decomposerEEEEE10hipError_tT0_T1_T2_jT3_P12ihipStream_tbPNSt15iterator_traitsISG_E10value_typeEPNSM_ISH_E10value_typeEPSI_NS1_7vsmem_tEENKUlT_SG_SH_SI_E_clIS7_S7_PlSB_EESF_SV_SG_SH_SI_EUlSV_E1_NS1_11comp_targetILNS1_3genE3ELNS1_11target_archE908ELNS1_3gpuE7ELNS1_3repE0EEENS1_36merge_oddeven_config_static_selectorELNS0_4arch9wavefront6targetE1EEEvSH_,comdat
	.protected	_ZN7rocprim17ROCPRIM_400000_NS6detail17trampoline_kernelINS0_14default_configENS1_38merge_sort_block_merge_config_selectorIdlEEZZNS1_27merge_sort_block_merge_implIS3_PdN6thrust23THRUST_200600_302600_NS10device_ptrIlEEjNS1_19radix_merge_compareILb0ELb0EdNS0_19identity_decomposerEEEEE10hipError_tT0_T1_T2_jT3_P12ihipStream_tbPNSt15iterator_traitsISG_E10value_typeEPNSM_ISH_E10value_typeEPSI_NS1_7vsmem_tEENKUlT_SG_SH_SI_E_clIS7_S7_PlSB_EESF_SV_SG_SH_SI_EUlSV_E1_NS1_11comp_targetILNS1_3genE3ELNS1_11target_archE908ELNS1_3gpuE7ELNS1_3repE0EEENS1_36merge_oddeven_config_static_selectorELNS0_4arch9wavefront6targetE1EEEvSH_ ; -- Begin function _ZN7rocprim17ROCPRIM_400000_NS6detail17trampoline_kernelINS0_14default_configENS1_38merge_sort_block_merge_config_selectorIdlEEZZNS1_27merge_sort_block_merge_implIS3_PdN6thrust23THRUST_200600_302600_NS10device_ptrIlEEjNS1_19radix_merge_compareILb0ELb0EdNS0_19identity_decomposerEEEEE10hipError_tT0_T1_T2_jT3_P12ihipStream_tbPNSt15iterator_traitsISG_E10value_typeEPNSM_ISH_E10value_typeEPSI_NS1_7vsmem_tEENKUlT_SG_SH_SI_E_clIS7_S7_PlSB_EESF_SV_SG_SH_SI_EUlSV_E1_NS1_11comp_targetILNS1_3genE3ELNS1_11target_archE908ELNS1_3gpuE7ELNS1_3repE0EEENS1_36merge_oddeven_config_static_selectorELNS0_4arch9wavefront6targetE1EEEvSH_
	.globl	_ZN7rocprim17ROCPRIM_400000_NS6detail17trampoline_kernelINS0_14default_configENS1_38merge_sort_block_merge_config_selectorIdlEEZZNS1_27merge_sort_block_merge_implIS3_PdN6thrust23THRUST_200600_302600_NS10device_ptrIlEEjNS1_19radix_merge_compareILb0ELb0EdNS0_19identity_decomposerEEEEE10hipError_tT0_T1_T2_jT3_P12ihipStream_tbPNSt15iterator_traitsISG_E10value_typeEPNSM_ISH_E10value_typeEPSI_NS1_7vsmem_tEENKUlT_SG_SH_SI_E_clIS7_S7_PlSB_EESF_SV_SG_SH_SI_EUlSV_E1_NS1_11comp_targetILNS1_3genE3ELNS1_11target_archE908ELNS1_3gpuE7ELNS1_3repE0EEENS1_36merge_oddeven_config_static_selectorELNS0_4arch9wavefront6targetE1EEEvSH_
	.p2align	8
	.type	_ZN7rocprim17ROCPRIM_400000_NS6detail17trampoline_kernelINS0_14default_configENS1_38merge_sort_block_merge_config_selectorIdlEEZZNS1_27merge_sort_block_merge_implIS3_PdN6thrust23THRUST_200600_302600_NS10device_ptrIlEEjNS1_19radix_merge_compareILb0ELb0EdNS0_19identity_decomposerEEEEE10hipError_tT0_T1_T2_jT3_P12ihipStream_tbPNSt15iterator_traitsISG_E10value_typeEPNSM_ISH_E10value_typeEPSI_NS1_7vsmem_tEENKUlT_SG_SH_SI_E_clIS7_S7_PlSB_EESF_SV_SG_SH_SI_EUlSV_E1_NS1_11comp_targetILNS1_3genE3ELNS1_11target_archE908ELNS1_3gpuE7ELNS1_3repE0EEENS1_36merge_oddeven_config_static_selectorELNS0_4arch9wavefront6targetE1EEEvSH_,@function
_ZN7rocprim17ROCPRIM_400000_NS6detail17trampoline_kernelINS0_14default_configENS1_38merge_sort_block_merge_config_selectorIdlEEZZNS1_27merge_sort_block_merge_implIS3_PdN6thrust23THRUST_200600_302600_NS10device_ptrIlEEjNS1_19radix_merge_compareILb0ELb0EdNS0_19identity_decomposerEEEEE10hipError_tT0_T1_T2_jT3_P12ihipStream_tbPNSt15iterator_traitsISG_E10value_typeEPNSM_ISH_E10value_typeEPSI_NS1_7vsmem_tEENKUlT_SG_SH_SI_E_clIS7_S7_PlSB_EESF_SV_SG_SH_SI_EUlSV_E1_NS1_11comp_targetILNS1_3genE3ELNS1_11target_archE908ELNS1_3gpuE7ELNS1_3repE0EEENS1_36merge_oddeven_config_static_selectorELNS0_4arch9wavefront6targetE1EEEvSH_: ; @_ZN7rocprim17ROCPRIM_400000_NS6detail17trampoline_kernelINS0_14default_configENS1_38merge_sort_block_merge_config_selectorIdlEEZZNS1_27merge_sort_block_merge_implIS3_PdN6thrust23THRUST_200600_302600_NS10device_ptrIlEEjNS1_19radix_merge_compareILb0ELb0EdNS0_19identity_decomposerEEEEE10hipError_tT0_T1_T2_jT3_P12ihipStream_tbPNSt15iterator_traitsISG_E10value_typeEPNSM_ISH_E10value_typeEPSI_NS1_7vsmem_tEENKUlT_SG_SH_SI_E_clIS7_S7_PlSB_EESF_SV_SG_SH_SI_EUlSV_E1_NS1_11comp_targetILNS1_3genE3ELNS1_11target_archE908ELNS1_3gpuE7ELNS1_3repE0EEENS1_36merge_oddeven_config_static_selectorELNS0_4arch9wavefront6targetE1EEEvSH_
; %bb.0:
	.section	.rodata,"a",@progbits
	.p2align	6, 0x0
	.amdhsa_kernel _ZN7rocprim17ROCPRIM_400000_NS6detail17trampoline_kernelINS0_14default_configENS1_38merge_sort_block_merge_config_selectorIdlEEZZNS1_27merge_sort_block_merge_implIS3_PdN6thrust23THRUST_200600_302600_NS10device_ptrIlEEjNS1_19radix_merge_compareILb0ELb0EdNS0_19identity_decomposerEEEEE10hipError_tT0_T1_T2_jT3_P12ihipStream_tbPNSt15iterator_traitsISG_E10value_typeEPNSM_ISH_E10value_typeEPSI_NS1_7vsmem_tEENKUlT_SG_SH_SI_E_clIS7_S7_PlSB_EESF_SV_SG_SH_SI_EUlSV_E1_NS1_11comp_targetILNS1_3genE3ELNS1_11target_archE908ELNS1_3gpuE7ELNS1_3repE0EEENS1_36merge_oddeven_config_static_selectorELNS0_4arch9wavefront6targetE1EEEvSH_
		.amdhsa_group_segment_fixed_size 0
		.amdhsa_private_segment_fixed_size 0
		.amdhsa_kernarg_size 48
		.amdhsa_user_sgpr_count 6
		.amdhsa_user_sgpr_private_segment_buffer 1
		.amdhsa_user_sgpr_dispatch_ptr 0
		.amdhsa_user_sgpr_queue_ptr 0
		.amdhsa_user_sgpr_kernarg_segment_ptr 1
		.amdhsa_user_sgpr_dispatch_id 0
		.amdhsa_user_sgpr_flat_scratch_init 0
		.amdhsa_user_sgpr_kernarg_preload_length 0
		.amdhsa_user_sgpr_kernarg_preload_offset 0
		.amdhsa_user_sgpr_private_segment_size 0
		.amdhsa_uses_dynamic_stack 0
		.amdhsa_system_sgpr_private_segment_wavefront_offset 0
		.amdhsa_system_sgpr_workgroup_id_x 1
		.amdhsa_system_sgpr_workgroup_id_y 0
		.amdhsa_system_sgpr_workgroup_id_z 0
		.amdhsa_system_sgpr_workgroup_info 0
		.amdhsa_system_vgpr_workitem_id 0
		.amdhsa_next_free_vgpr 1
		.amdhsa_next_free_sgpr 0
		.amdhsa_accum_offset 4
		.amdhsa_reserve_vcc 0
		.amdhsa_reserve_flat_scratch 0
		.amdhsa_float_round_mode_32 0
		.amdhsa_float_round_mode_16_64 0
		.amdhsa_float_denorm_mode_32 3
		.amdhsa_float_denorm_mode_16_64 3
		.amdhsa_dx10_clamp 1
		.amdhsa_ieee_mode 1
		.amdhsa_fp16_overflow 0
		.amdhsa_tg_split 0
		.amdhsa_exception_fp_ieee_invalid_op 0
		.amdhsa_exception_fp_denorm_src 0
		.amdhsa_exception_fp_ieee_div_zero 0
		.amdhsa_exception_fp_ieee_overflow 0
		.amdhsa_exception_fp_ieee_underflow 0
		.amdhsa_exception_fp_ieee_inexact 0
		.amdhsa_exception_int_div_zero 0
	.end_amdhsa_kernel
	.section	.text._ZN7rocprim17ROCPRIM_400000_NS6detail17trampoline_kernelINS0_14default_configENS1_38merge_sort_block_merge_config_selectorIdlEEZZNS1_27merge_sort_block_merge_implIS3_PdN6thrust23THRUST_200600_302600_NS10device_ptrIlEEjNS1_19radix_merge_compareILb0ELb0EdNS0_19identity_decomposerEEEEE10hipError_tT0_T1_T2_jT3_P12ihipStream_tbPNSt15iterator_traitsISG_E10value_typeEPNSM_ISH_E10value_typeEPSI_NS1_7vsmem_tEENKUlT_SG_SH_SI_E_clIS7_S7_PlSB_EESF_SV_SG_SH_SI_EUlSV_E1_NS1_11comp_targetILNS1_3genE3ELNS1_11target_archE908ELNS1_3gpuE7ELNS1_3repE0EEENS1_36merge_oddeven_config_static_selectorELNS0_4arch9wavefront6targetE1EEEvSH_,"axG",@progbits,_ZN7rocprim17ROCPRIM_400000_NS6detail17trampoline_kernelINS0_14default_configENS1_38merge_sort_block_merge_config_selectorIdlEEZZNS1_27merge_sort_block_merge_implIS3_PdN6thrust23THRUST_200600_302600_NS10device_ptrIlEEjNS1_19radix_merge_compareILb0ELb0EdNS0_19identity_decomposerEEEEE10hipError_tT0_T1_T2_jT3_P12ihipStream_tbPNSt15iterator_traitsISG_E10value_typeEPNSM_ISH_E10value_typeEPSI_NS1_7vsmem_tEENKUlT_SG_SH_SI_E_clIS7_S7_PlSB_EESF_SV_SG_SH_SI_EUlSV_E1_NS1_11comp_targetILNS1_3genE3ELNS1_11target_archE908ELNS1_3gpuE7ELNS1_3repE0EEENS1_36merge_oddeven_config_static_selectorELNS0_4arch9wavefront6targetE1EEEvSH_,comdat
.Lfunc_end1562:
	.size	_ZN7rocprim17ROCPRIM_400000_NS6detail17trampoline_kernelINS0_14default_configENS1_38merge_sort_block_merge_config_selectorIdlEEZZNS1_27merge_sort_block_merge_implIS3_PdN6thrust23THRUST_200600_302600_NS10device_ptrIlEEjNS1_19radix_merge_compareILb0ELb0EdNS0_19identity_decomposerEEEEE10hipError_tT0_T1_T2_jT3_P12ihipStream_tbPNSt15iterator_traitsISG_E10value_typeEPNSM_ISH_E10value_typeEPSI_NS1_7vsmem_tEENKUlT_SG_SH_SI_E_clIS7_S7_PlSB_EESF_SV_SG_SH_SI_EUlSV_E1_NS1_11comp_targetILNS1_3genE3ELNS1_11target_archE908ELNS1_3gpuE7ELNS1_3repE0EEENS1_36merge_oddeven_config_static_selectorELNS0_4arch9wavefront6targetE1EEEvSH_, .Lfunc_end1562-_ZN7rocprim17ROCPRIM_400000_NS6detail17trampoline_kernelINS0_14default_configENS1_38merge_sort_block_merge_config_selectorIdlEEZZNS1_27merge_sort_block_merge_implIS3_PdN6thrust23THRUST_200600_302600_NS10device_ptrIlEEjNS1_19radix_merge_compareILb0ELb0EdNS0_19identity_decomposerEEEEE10hipError_tT0_T1_T2_jT3_P12ihipStream_tbPNSt15iterator_traitsISG_E10value_typeEPNSM_ISH_E10value_typeEPSI_NS1_7vsmem_tEENKUlT_SG_SH_SI_E_clIS7_S7_PlSB_EESF_SV_SG_SH_SI_EUlSV_E1_NS1_11comp_targetILNS1_3genE3ELNS1_11target_archE908ELNS1_3gpuE7ELNS1_3repE0EEENS1_36merge_oddeven_config_static_selectorELNS0_4arch9wavefront6targetE1EEEvSH_
                                        ; -- End function
	.section	.AMDGPU.csdata,"",@progbits
; Kernel info:
; codeLenInByte = 0
; NumSgprs: 4
; NumVgprs: 0
; NumAgprs: 0
; TotalNumVgprs: 0
; ScratchSize: 0
; MemoryBound: 0
; FloatMode: 240
; IeeeMode: 1
; LDSByteSize: 0 bytes/workgroup (compile time only)
; SGPRBlocks: 0
; VGPRBlocks: 0
; NumSGPRsForWavesPerEU: 4
; NumVGPRsForWavesPerEU: 1
; AccumOffset: 4
; Occupancy: 8
; WaveLimiterHint : 0
; COMPUTE_PGM_RSRC2:SCRATCH_EN: 0
; COMPUTE_PGM_RSRC2:USER_SGPR: 6
; COMPUTE_PGM_RSRC2:TRAP_HANDLER: 0
; COMPUTE_PGM_RSRC2:TGID_X_EN: 1
; COMPUTE_PGM_RSRC2:TGID_Y_EN: 0
; COMPUTE_PGM_RSRC2:TGID_Z_EN: 0
; COMPUTE_PGM_RSRC2:TIDIG_COMP_CNT: 0
; COMPUTE_PGM_RSRC3_GFX90A:ACCUM_OFFSET: 0
; COMPUTE_PGM_RSRC3_GFX90A:TG_SPLIT: 0
	.section	.text._ZN7rocprim17ROCPRIM_400000_NS6detail17trampoline_kernelINS0_14default_configENS1_38merge_sort_block_merge_config_selectorIdlEEZZNS1_27merge_sort_block_merge_implIS3_PdN6thrust23THRUST_200600_302600_NS10device_ptrIlEEjNS1_19radix_merge_compareILb0ELb0EdNS0_19identity_decomposerEEEEE10hipError_tT0_T1_T2_jT3_P12ihipStream_tbPNSt15iterator_traitsISG_E10value_typeEPNSM_ISH_E10value_typeEPSI_NS1_7vsmem_tEENKUlT_SG_SH_SI_E_clIS7_S7_PlSB_EESF_SV_SG_SH_SI_EUlSV_E1_NS1_11comp_targetILNS1_3genE2ELNS1_11target_archE906ELNS1_3gpuE6ELNS1_3repE0EEENS1_36merge_oddeven_config_static_selectorELNS0_4arch9wavefront6targetE1EEEvSH_,"axG",@progbits,_ZN7rocprim17ROCPRIM_400000_NS6detail17trampoline_kernelINS0_14default_configENS1_38merge_sort_block_merge_config_selectorIdlEEZZNS1_27merge_sort_block_merge_implIS3_PdN6thrust23THRUST_200600_302600_NS10device_ptrIlEEjNS1_19radix_merge_compareILb0ELb0EdNS0_19identity_decomposerEEEEE10hipError_tT0_T1_T2_jT3_P12ihipStream_tbPNSt15iterator_traitsISG_E10value_typeEPNSM_ISH_E10value_typeEPSI_NS1_7vsmem_tEENKUlT_SG_SH_SI_E_clIS7_S7_PlSB_EESF_SV_SG_SH_SI_EUlSV_E1_NS1_11comp_targetILNS1_3genE2ELNS1_11target_archE906ELNS1_3gpuE6ELNS1_3repE0EEENS1_36merge_oddeven_config_static_selectorELNS0_4arch9wavefront6targetE1EEEvSH_,comdat
	.protected	_ZN7rocprim17ROCPRIM_400000_NS6detail17trampoline_kernelINS0_14default_configENS1_38merge_sort_block_merge_config_selectorIdlEEZZNS1_27merge_sort_block_merge_implIS3_PdN6thrust23THRUST_200600_302600_NS10device_ptrIlEEjNS1_19radix_merge_compareILb0ELb0EdNS0_19identity_decomposerEEEEE10hipError_tT0_T1_T2_jT3_P12ihipStream_tbPNSt15iterator_traitsISG_E10value_typeEPNSM_ISH_E10value_typeEPSI_NS1_7vsmem_tEENKUlT_SG_SH_SI_E_clIS7_S7_PlSB_EESF_SV_SG_SH_SI_EUlSV_E1_NS1_11comp_targetILNS1_3genE2ELNS1_11target_archE906ELNS1_3gpuE6ELNS1_3repE0EEENS1_36merge_oddeven_config_static_selectorELNS0_4arch9wavefront6targetE1EEEvSH_ ; -- Begin function _ZN7rocprim17ROCPRIM_400000_NS6detail17trampoline_kernelINS0_14default_configENS1_38merge_sort_block_merge_config_selectorIdlEEZZNS1_27merge_sort_block_merge_implIS3_PdN6thrust23THRUST_200600_302600_NS10device_ptrIlEEjNS1_19radix_merge_compareILb0ELb0EdNS0_19identity_decomposerEEEEE10hipError_tT0_T1_T2_jT3_P12ihipStream_tbPNSt15iterator_traitsISG_E10value_typeEPNSM_ISH_E10value_typeEPSI_NS1_7vsmem_tEENKUlT_SG_SH_SI_E_clIS7_S7_PlSB_EESF_SV_SG_SH_SI_EUlSV_E1_NS1_11comp_targetILNS1_3genE2ELNS1_11target_archE906ELNS1_3gpuE6ELNS1_3repE0EEENS1_36merge_oddeven_config_static_selectorELNS0_4arch9wavefront6targetE1EEEvSH_
	.globl	_ZN7rocprim17ROCPRIM_400000_NS6detail17trampoline_kernelINS0_14default_configENS1_38merge_sort_block_merge_config_selectorIdlEEZZNS1_27merge_sort_block_merge_implIS3_PdN6thrust23THRUST_200600_302600_NS10device_ptrIlEEjNS1_19radix_merge_compareILb0ELb0EdNS0_19identity_decomposerEEEEE10hipError_tT0_T1_T2_jT3_P12ihipStream_tbPNSt15iterator_traitsISG_E10value_typeEPNSM_ISH_E10value_typeEPSI_NS1_7vsmem_tEENKUlT_SG_SH_SI_E_clIS7_S7_PlSB_EESF_SV_SG_SH_SI_EUlSV_E1_NS1_11comp_targetILNS1_3genE2ELNS1_11target_archE906ELNS1_3gpuE6ELNS1_3repE0EEENS1_36merge_oddeven_config_static_selectorELNS0_4arch9wavefront6targetE1EEEvSH_
	.p2align	8
	.type	_ZN7rocprim17ROCPRIM_400000_NS6detail17trampoline_kernelINS0_14default_configENS1_38merge_sort_block_merge_config_selectorIdlEEZZNS1_27merge_sort_block_merge_implIS3_PdN6thrust23THRUST_200600_302600_NS10device_ptrIlEEjNS1_19radix_merge_compareILb0ELb0EdNS0_19identity_decomposerEEEEE10hipError_tT0_T1_T2_jT3_P12ihipStream_tbPNSt15iterator_traitsISG_E10value_typeEPNSM_ISH_E10value_typeEPSI_NS1_7vsmem_tEENKUlT_SG_SH_SI_E_clIS7_S7_PlSB_EESF_SV_SG_SH_SI_EUlSV_E1_NS1_11comp_targetILNS1_3genE2ELNS1_11target_archE906ELNS1_3gpuE6ELNS1_3repE0EEENS1_36merge_oddeven_config_static_selectorELNS0_4arch9wavefront6targetE1EEEvSH_,@function
_ZN7rocprim17ROCPRIM_400000_NS6detail17trampoline_kernelINS0_14default_configENS1_38merge_sort_block_merge_config_selectorIdlEEZZNS1_27merge_sort_block_merge_implIS3_PdN6thrust23THRUST_200600_302600_NS10device_ptrIlEEjNS1_19radix_merge_compareILb0ELb0EdNS0_19identity_decomposerEEEEE10hipError_tT0_T1_T2_jT3_P12ihipStream_tbPNSt15iterator_traitsISG_E10value_typeEPNSM_ISH_E10value_typeEPSI_NS1_7vsmem_tEENKUlT_SG_SH_SI_E_clIS7_S7_PlSB_EESF_SV_SG_SH_SI_EUlSV_E1_NS1_11comp_targetILNS1_3genE2ELNS1_11target_archE906ELNS1_3gpuE6ELNS1_3repE0EEENS1_36merge_oddeven_config_static_selectorELNS0_4arch9wavefront6targetE1EEEvSH_: ; @_ZN7rocprim17ROCPRIM_400000_NS6detail17trampoline_kernelINS0_14default_configENS1_38merge_sort_block_merge_config_selectorIdlEEZZNS1_27merge_sort_block_merge_implIS3_PdN6thrust23THRUST_200600_302600_NS10device_ptrIlEEjNS1_19radix_merge_compareILb0ELb0EdNS0_19identity_decomposerEEEEE10hipError_tT0_T1_T2_jT3_P12ihipStream_tbPNSt15iterator_traitsISG_E10value_typeEPNSM_ISH_E10value_typeEPSI_NS1_7vsmem_tEENKUlT_SG_SH_SI_E_clIS7_S7_PlSB_EESF_SV_SG_SH_SI_EUlSV_E1_NS1_11comp_targetILNS1_3genE2ELNS1_11target_archE906ELNS1_3gpuE6ELNS1_3repE0EEENS1_36merge_oddeven_config_static_selectorELNS0_4arch9wavefront6targetE1EEEvSH_
; %bb.0:
	.section	.rodata,"a",@progbits
	.p2align	6, 0x0
	.amdhsa_kernel _ZN7rocprim17ROCPRIM_400000_NS6detail17trampoline_kernelINS0_14default_configENS1_38merge_sort_block_merge_config_selectorIdlEEZZNS1_27merge_sort_block_merge_implIS3_PdN6thrust23THRUST_200600_302600_NS10device_ptrIlEEjNS1_19radix_merge_compareILb0ELb0EdNS0_19identity_decomposerEEEEE10hipError_tT0_T1_T2_jT3_P12ihipStream_tbPNSt15iterator_traitsISG_E10value_typeEPNSM_ISH_E10value_typeEPSI_NS1_7vsmem_tEENKUlT_SG_SH_SI_E_clIS7_S7_PlSB_EESF_SV_SG_SH_SI_EUlSV_E1_NS1_11comp_targetILNS1_3genE2ELNS1_11target_archE906ELNS1_3gpuE6ELNS1_3repE0EEENS1_36merge_oddeven_config_static_selectorELNS0_4arch9wavefront6targetE1EEEvSH_
		.amdhsa_group_segment_fixed_size 0
		.amdhsa_private_segment_fixed_size 0
		.amdhsa_kernarg_size 48
		.amdhsa_user_sgpr_count 6
		.amdhsa_user_sgpr_private_segment_buffer 1
		.amdhsa_user_sgpr_dispatch_ptr 0
		.amdhsa_user_sgpr_queue_ptr 0
		.amdhsa_user_sgpr_kernarg_segment_ptr 1
		.amdhsa_user_sgpr_dispatch_id 0
		.amdhsa_user_sgpr_flat_scratch_init 0
		.amdhsa_user_sgpr_kernarg_preload_length 0
		.amdhsa_user_sgpr_kernarg_preload_offset 0
		.amdhsa_user_sgpr_private_segment_size 0
		.amdhsa_uses_dynamic_stack 0
		.amdhsa_system_sgpr_private_segment_wavefront_offset 0
		.amdhsa_system_sgpr_workgroup_id_x 1
		.amdhsa_system_sgpr_workgroup_id_y 0
		.amdhsa_system_sgpr_workgroup_id_z 0
		.amdhsa_system_sgpr_workgroup_info 0
		.amdhsa_system_vgpr_workitem_id 0
		.amdhsa_next_free_vgpr 1
		.amdhsa_next_free_sgpr 0
		.amdhsa_accum_offset 4
		.amdhsa_reserve_vcc 0
		.amdhsa_reserve_flat_scratch 0
		.amdhsa_float_round_mode_32 0
		.amdhsa_float_round_mode_16_64 0
		.amdhsa_float_denorm_mode_32 3
		.amdhsa_float_denorm_mode_16_64 3
		.amdhsa_dx10_clamp 1
		.amdhsa_ieee_mode 1
		.amdhsa_fp16_overflow 0
		.amdhsa_tg_split 0
		.amdhsa_exception_fp_ieee_invalid_op 0
		.amdhsa_exception_fp_denorm_src 0
		.amdhsa_exception_fp_ieee_div_zero 0
		.amdhsa_exception_fp_ieee_overflow 0
		.amdhsa_exception_fp_ieee_underflow 0
		.amdhsa_exception_fp_ieee_inexact 0
		.amdhsa_exception_int_div_zero 0
	.end_amdhsa_kernel
	.section	.text._ZN7rocprim17ROCPRIM_400000_NS6detail17trampoline_kernelINS0_14default_configENS1_38merge_sort_block_merge_config_selectorIdlEEZZNS1_27merge_sort_block_merge_implIS3_PdN6thrust23THRUST_200600_302600_NS10device_ptrIlEEjNS1_19radix_merge_compareILb0ELb0EdNS0_19identity_decomposerEEEEE10hipError_tT0_T1_T2_jT3_P12ihipStream_tbPNSt15iterator_traitsISG_E10value_typeEPNSM_ISH_E10value_typeEPSI_NS1_7vsmem_tEENKUlT_SG_SH_SI_E_clIS7_S7_PlSB_EESF_SV_SG_SH_SI_EUlSV_E1_NS1_11comp_targetILNS1_3genE2ELNS1_11target_archE906ELNS1_3gpuE6ELNS1_3repE0EEENS1_36merge_oddeven_config_static_selectorELNS0_4arch9wavefront6targetE1EEEvSH_,"axG",@progbits,_ZN7rocprim17ROCPRIM_400000_NS6detail17trampoline_kernelINS0_14default_configENS1_38merge_sort_block_merge_config_selectorIdlEEZZNS1_27merge_sort_block_merge_implIS3_PdN6thrust23THRUST_200600_302600_NS10device_ptrIlEEjNS1_19radix_merge_compareILb0ELb0EdNS0_19identity_decomposerEEEEE10hipError_tT0_T1_T2_jT3_P12ihipStream_tbPNSt15iterator_traitsISG_E10value_typeEPNSM_ISH_E10value_typeEPSI_NS1_7vsmem_tEENKUlT_SG_SH_SI_E_clIS7_S7_PlSB_EESF_SV_SG_SH_SI_EUlSV_E1_NS1_11comp_targetILNS1_3genE2ELNS1_11target_archE906ELNS1_3gpuE6ELNS1_3repE0EEENS1_36merge_oddeven_config_static_selectorELNS0_4arch9wavefront6targetE1EEEvSH_,comdat
.Lfunc_end1563:
	.size	_ZN7rocprim17ROCPRIM_400000_NS6detail17trampoline_kernelINS0_14default_configENS1_38merge_sort_block_merge_config_selectorIdlEEZZNS1_27merge_sort_block_merge_implIS3_PdN6thrust23THRUST_200600_302600_NS10device_ptrIlEEjNS1_19radix_merge_compareILb0ELb0EdNS0_19identity_decomposerEEEEE10hipError_tT0_T1_T2_jT3_P12ihipStream_tbPNSt15iterator_traitsISG_E10value_typeEPNSM_ISH_E10value_typeEPSI_NS1_7vsmem_tEENKUlT_SG_SH_SI_E_clIS7_S7_PlSB_EESF_SV_SG_SH_SI_EUlSV_E1_NS1_11comp_targetILNS1_3genE2ELNS1_11target_archE906ELNS1_3gpuE6ELNS1_3repE0EEENS1_36merge_oddeven_config_static_selectorELNS0_4arch9wavefront6targetE1EEEvSH_, .Lfunc_end1563-_ZN7rocprim17ROCPRIM_400000_NS6detail17trampoline_kernelINS0_14default_configENS1_38merge_sort_block_merge_config_selectorIdlEEZZNS1_27merge_sort_block_merge_implIS3_PdN6thrust23THRUST_200600_302600_NS10device_ptrIlEEjNS1_19radix_merge_compareILb0ELb0EdNS0_19identity_decomposerEEEEE10hipError_tT0_T1_T2_jT3_P12ihipStream_tbPNSt15iterator_traitsISG_E10value_typeEPNSM_ISH_E10value_typeEPSI_NS1_7vsmem_tEENKUlT_SG_SH_SI_E_clIS7_S7_PlSB_EESF_SV_SG_SH_SI_EUlSV_E1_NS1_11comp_targetILNS1_3genE2ELNS1_11target_archE906ELNS1_3gpuE6ELNS1_3repE0EEENS1_36merge_oddeven_config_static_selectorELNS0_4arch9wavefront6targetE1EEEvSH_
                                        ; -- End function
	.section	.AMDGPU.csdata,"",@progbits
; Kernel info:
; codeLenInByte = 0
; NumSgprs: 4
; NumVgprs: 0
; NumAgprs: 0
; TotalNumVgprs: 0
; ScratchSize: 0
; MemoryBound: 0
; FloatMode: 240
; IeeeMode: 1
; LDSByteSize: 0 bytes/workgroup (compile time only)
; SGPRBlocks: 0
; VGPRBlocks: 0
; NumSGPRsForWavesPerEU: 4
; NumVGPRsForWavesPerEU: 1
; AccumOffset: 4
; Occupancy: 8
; WaveLimiterHint : 0
; COMPUTE_PGM_RSRC2:SCRATCH_EN: 0
; COMPUTE_PGM_RSRC2:USER_SGPR: 6
; COMPUTE_PGM_RSRC2:TRAP_HANDLER: 0
; COMPUTE_PGM_RSRC2:TGID_X_EN: 1
; COMPUTE_PGM_RSRC2:TGID_Y_EN: 0
; COMPUTE_PGM_RSRC2:TGID_Z_EN: 0
; COMPUTE_PGM_RSRC2:TIDIG_COMP_CNT: 0
; COMPUTE_PGM_RSRC3_GFX90A:ACCUM_OFFSET: 0
; COMPUTE_PGM_RSRC3_GFX90A:TG_SPLIT: 0
	.section	.text._ZN7rocprim17ROCPRIM_400000_NS6detail17trampoline_kernelINS0_14default_configENS1_38merge_sort_block_merge_config_selectorIdlEEZZNS1_27merge_sort_block_merge_implIS3_PdN6thrust23THRUST_200600_302600_NS10device_ptrIlEEjNS1_19radix_merge_compareILb0ELb0EdNS0_19identity_decomposerEEEEE10hipError_tT0_T1_T2_jT3_P12ihipStream_tbPNSt15iterator_traitsISG_E10value_typeEPNSM_ISH_E10value_typeEPSI_NS1_7vsmem_tEENKUlT_SG_SH_SI_E_clIS7_S7_PlSB_EESF_SV_SG_SH_SI_EUlSV_E1_NS1_11comp_targetILNS1_3genE9ELNS1_11target_archE1100ELNS1_3gpuE3ELNS1_3repE0EEENS1_36merge_oddeven_config_static_selectorELNS0_4arch9wavefront6targetE1EEEvSH_,"axG",@progbits,_ZN7rocprim17ROCPRIM_400000_NS6detail17trampoline_kernelINS0_14default_configENS1_38merge_sort_block_merge_config_selectorIdlEEZZNS1_27merge_sort_block_merge_implIS3_PdN6thrust23THRUST_200600_302600_NS10device_ptrIlEEjNS1_19radix_merge_compareILb0ELb0EdNS0_19identity_decomposerEEEEE10hipError_tT0_T1_T2_jT3_P12ihipStream_tbPNSt15iterator_traitsISG_E10value_typeEPNSM_ISH_E10value_typeEPSI_NS1_7vsmem_tEENKUlT_SG_SH_SI_E_clIS7_S7_PlSB_EESF_SV_SG_SH_SI_EUlSV_E1_NS1_11comp_targetILNS1_3genE9ELNS1_11target_archE1100ELNS1_3gpuE3ELNS1_3repE0EEENS1_36merge_oddeven_config_static_selectorELNS0_4arch9wavefront6targetE1EEEvSH_,comdat
	.protected	_ZN7rocprim17ROCPRIM_400000_NS6detail17trampoline_kernelINS0_14default_configENS1_38merge_sort_block_merge_config_selectorIdlEEZZNS1_27merge_sort_block_merge_implIS3_PdN6thrust23THRUST_200600_302600_NS10device_ptrIlEEjNS1_19radix_merge_compareILb0ELb0EdNS0_19identity_decomposerEEEEE10hipError_tT0_T1_T2_jT3_P12ihipStream_tbPNSt15iterator_traitsISG_E10value_typeEPNSM_ISH_E10value_typeEPSI_NS1_7vsmem_tEENKUlT_SG_SH_SI_E_clIS7_S7_PlSB_EESF_SV_SG_SH_SI_EUlSV_E1_NS1_11comp_targetILNS1_3genE9ELNS1_11target_archE1100ELNS1_3gpuE3ELNS1_3repE0EEENS1_36merge_oddeven_config_static_selectorELNS0_4arch9wavefront6targetE1EEEvSH_ ; -- Begin function _ZN7rocprim17ROCPRIM_400000_NS6detail17trampoline_kernelINS0_14default_configENS1_38merge_sort_block_merge_config_selectorIdlEEZZNS1_27merge_sort_block_merge_implIS3_PdN6thrust23THRUST_200600_302600_NS10device_ptrIlEEjNS1_19radix_merge_compareILb0ELb0EdNS0_19identity_decomposerEEEEE10hipError_tT0_T1_T2_jT3_P12ihipStream_tbPNSt15iterator_traitsISG_E10value_typeEPNSM_ISH_E10value_typeEPSI_NS1_7vsmem_tEENKUlT_SG_SH_SI_E_clIS7_S7_PlSB_EESF_SV_SG_SH_SI_EUlSV_E1_NS1_11comp_targetILNS1_3genE9ELNS1_11target_archE1100ELNS1_3gpuE3ELNS1_3repE0EEENS1_36merge_oddeven_config_static_selectorELNS0_4arch9wavefront6targetE1EEEvSH_
	.globl	_ZN7rocprim17ROCPRIM_400000_NS6detail17trampoline_kernelINS0_14default_configENS1_38merge_sort_block_merge_config_selectorIdlEEZZNS1_27merge_sort_block_merge_implIS3_PdN6thrust23THRUST_200600_302600_NS10device_ptrIlEEjNS1_19radix_merge_compareILb0ELb0EdNS0_19identity_decomposerEEEEE10hipError_tT0_T1_T2_jT3_P12ihipStream_tbPNSt15iterator_traitsISG_E10value_typeEPNSM_ISH_E10value_typeEPSI_NS1_7vsmem_tEENKUlT_SG_SH_SI_E_clIS7_S7_PlSB_EESF_SV_SG_SH_SI_EUlSV_E1_NS1_11comp_targetILNS1_3genE9ELNS1_11target_archE1100ELNS1_3gpuE3ELNS1_3repE0EEENS1_36merge_oddeven_config_static_selectorELNS0_4arch9wavefront6targetE1EEEvSH_
	.p2align	8
	.type	_ZN7rocprim17ROCPRIM_400000_NS6detail17trampoline_kernelINS0_14default_configENS1_38merge_sort_block_merge_config_selectorIdlEEZZNS1_27merge_sort_block_merge_implIS3_PdN6thrust23THRUST_200600_302600_NS10device_ptrIlEEjNS1_19radix_merge_compareILb0ELb0EdNS0_19identity_decomposerEEEEE10hipError_tT0_T1_T2_jT3_P12ihipStream_tbPNSt15iterator_traitsISG_E10value_typeEPNSM_ISH_E10value_typeEPSI_NS1_7vsmem_tEENKUlT_SG_SH_SI_E_clIS7_S7_PlSB_EESF_SV_SG_SH_SI_EUlSV_E1_NS1_11comp_targetILNS1_3genE9ELNS1_11target_archE1100ELNS1_3gpuE3ELNS1_3repE0EEENS1_36merge_oddeven_config_static_selectorELNS0_4arch9wavefront6targetE1EEEvSH_,@function
_ZN7rocprim17ROCPRIM_400000_NS6detail17trampoline_kernelINS0_14default_configENS1_38merge_sort_block_merge_config_selectorIdlEEZZNS1_27merge_sort_block_merge_implIS3_PdN6thrust23THRUST_200600_302600_NS10device_ptrIlEEjNS1_19radix_merge_compareILb0ELb0EdNS0_19identity_decomposerEEEEE10hipError_tT0_T1_T2_jT3_P12ihipStream_tbPNSt15iterator_traitsISG_E10value_typeEPNSM_ISH_E10value_typeEPSI_NS1_7vsmem_tEENKUlT_SG_SH_SI_E_clIS7_S7_PlSB_EESF_SV_SG_SH_SI_EUlSV_E1_NS1_11comp_targetILNS1_3genE9ELNS1_11target_archE1100ELNS1_3gpuE3ELNS1_3repE0EEENS1_36merge_oddeven_config_static_selectorELNS0_4arch9wavefront6targetE1EEEvSH_: ; @_ZN7rocprim17ROCPRIM_400000_NS6detail17trampoline_kernelINS0_14default_configENS1_38merge_sort_block_merge_config_selectorIdlEEZZNS1_27merge_sort_block_merge_implIS3_PdN6thrust23THRUST_200600_302600_NS10device_ptrIlEEjNS1_19radix_merge_compareILb0ELb0EdNS0_19identity_decomposerEEEEE10hipError_tT0_T1_T2_jT3_P12ihipStream_tbPNSt15iterator_traitsISG_E10value_typeEPNSM_ISH_E10value_typeEPSI_NS1_7vsmem_tEENKUlT_SG_SH_SI_E_clIS7_S7_PlSB_EESF_SV_SG_SH_SI_EUlSV_E1_NS1_11comp_targetILNS1_3genE9ELNS1_11target_archE1100ELNS1_3gpuE3ELNS1_3repE0EEENS1_36merge_oddeven_config_static_selectorELNS0_4arch9wavefront6targetE1EEEvSH_
; %bb.0:
	.section	.rodata,"a",@progbits
	.p2align	6, 0x0
	.amdhsa_kernel _ZN7rocprim17ROCPRIM_400000_NS6detail17trampoline_kernelINS0_14default_configENS1_38merge_sort_block_merge_config_selectorIdlEEZZNS1_27merge_sort_block_merge_implIS3_PdN6thrust23THRUST_200600_302600_NS10device_ptrIlEEjNS1_19radix_merge_compareILb0ELb0EdNS0_19identity_decomposerEEEEE10hipError_tT0_T1_T2_jT3_P12ihipStream_tbPNSt15iterator_traitsISG_E10value_typeEPNSM_ISH_E10value_typeEPSI_NS1_7vsmem_tEENKUlT_SG_SH_SI_E_clIS7_S7_PlSB_EESF_SV_SG_SH_SI_EUlSV_E1_NS1_11comp_targetILNS1_3genE9ELNS1_11target_archE1100ELNS1_3gpuE3ELNS1_3repE0EEENS1_36merge_oddeven_config_static_selectorELNS0_4arch9wavefront6targetE1EEEvSH_
		.amdhsa_group_segment_fixed_size 0
		.amdhsa_private_segment_fixed_size 0
		.amdhsa_kernarg_size 48
		.amdhsa_user_sgpr_count 6
		.amdhsa_user_sgpr_private_segment_buffer 1
		.amdhsa_user_sgpr_dispatch_ptr 0
		.amdhsa_user_sgpr_queue_ptr 0
		.amdhsa_user_sgpr_kernarg_segment_ptr 1
		.amdhsa_user_sgpr_dispatch_id 0
		.amdhsa_user_sgpr_flat_scratch_init 0
		.amdhsa_user_sgpr_kernarg_preload_length 0
		.amdhsa_user_sgpr_kernarg_preload_offset 0
		.amdhsa_user_sgpr_private_segment_size 0
		.amdhsa_uses_dynamic_stack 0
		.amdhsa_system_sgpr_private_segment_wavefront_offset 0
		.amdhsa_system_sgpr_workgroup_id_x 1
		.amdhsa_system_sgpr_workgroup_id_y 0
		.amdhsa_system_sgpr_workgroup_id_z 0
		.amdhsa_system_sgpr_workgroup_info 0
		.amdhsa_system_vgpr_workitem_id 0
		.amdhsa_next_free_vgpr 1
		.amdhsa_next_free_sgpr 0
		.amdhsa_accum_offset 4
		.amdhsa_reserve_vcc 0
		.amdhsa_reserve_flat_scratch 0
		.amdhsa_float_round_mode_32 0
		.amdhsa_float_round_mode_16_64 0
		.amdhsa_float_denorm_mode_32 3
		.amdhsa_float_denorm_mode_16_64 3
		.amdhsa_dx10_clamp 1
		.amdhsa_ieee_mode 1
		.amdhsa_fp16_overflow 0
		.amdhsa_tg_split 0
		.amdhsa_exception_fp_ieee_invalid_op 0
		.amdhsa_exception_fp_denorm_src 0
		.amdhsa_exception_fp_ieee_div_zero 0
		.amdhsa_exception_fp_ieee_overflow 0
		.amdhsa_exception_fp_ieee_underflow 0
		.amdhsa_exception_fp_ieee_inexact 0
		.amdhsa_exception_int_div_zero 0
	.end_amdhsa_kernel
	.section	.text._ZN7rocprim17ROCPRIM_400000_NS6detail17trampoline_kernelINS0_14default_configENS1_38merge_sort_block_merge_config_selectorIdlEEZZNS1_27merge_sort_block_merge_implIS3_PdN6thrust23THRUST_200600_302600_NS10device_ptrIlEEjNS1_19radix_merge_compareILb0ELb0EdNS0_19identity_decomposerEEEEE10hipError_tT0_T1_T2_jT3_P12ihipStream_tbPNSt15iterator_traitsISG_E10value_typeEPNSM_ISH_E10value_typeEPSI_NS1_7vsmem_tEENKUlT_SG_SH_SI_E_clIS7_S7_PlSB_EESF_SV_SG_SH_SI_EUlSV_E1_NS1_11comp_targetILNS1_3genE9ELNS1_11target_archE1100ELNS1_3gpuE3ELNS1_3repE0EEENS1_36merge_oddeven_config_static_selectorELNS0_4arch9wavefront6targetE1EEEvSH_,"axG",@progbits,_ZN7rocprim17ROCPRIM_400000_NS6detail17trampoline_kernelINS0_14default_configENS1_38merge_sort_block_merge_config_selectorIdlEEZZNS1_27merge_sort_block_merge_implIS3_PdN6thrust23THRUST_200600_302600_NS10device_ptrIlEEjNS1_19radix_merge_compareILb0ELb0EdNS0_19identity_decomposerEEEEE10hipError_tT0_T1_T2_jT3_P12ihipStream_tbPNSt15iterator_traitsISG_E10value_typeEPNSM_ISH_E10value_typeEPSI_NS1_7vsmem_tEENKUlT_SG_SH_SI_E_clIS7_S7_PlSB_EESF_SV_SG_SH_SI_EUlSV_E1_NS1_11comp_targetILNS1_3genE9ELNS1_11target_archE1100ELNS1_3gpuE3ELNS1_3repE0EEENS1_36merge_oddeven_config_static_selectorELNS0_4arch9wavefront6targetE1EEEvSH_,comdat
.Lfunc_end1564:
	.size	_ZN7rocprim17ROCPRIM_400000_NS6detail17trampoline_kernelINS0_14default_configENS1_38merge_sort_block_merge_config_selectorIdlEEZZNS1_27merge_sort_block_merge_implIS3_PdN6thrust23THRUST_200600_302600_NS10device_ptrIlEEjNS1_19radix_merge_compareILb0ELb0EdNS0_19identity_decomposerEEEEE10hipError_tT0_T1_T2_jT3_P12ihipStream_tbPNSt15iterator_traitsISG_E10value_typeEPNSM_ISH_E10value_typeEPSI_NS1_7vsmem_tEENKUlT_SG_SH_SI_E_clIS7_S7_PlSB_EESF_SV_SG_SH_SI_EUlSV_E1_NS1_11comp_targetILNS1_3genE9ELNS1_11target_archE1100ELNS1_3gpuE3ELNS1_3repE0EEENS1_36merge_oddeven_config_static_selectorELNS0_4arch9wavefront6targetE1EEEvSH_, .Lfunc_end1564-_ZN7rocprim17ROCPRIM_400000_NS6detail17trampoline_kernelINS0_14default_configENS1_38merge_sort_block_merge_config_selectorIdlEEZZNS1_27merge_sort_block_merge_implIS3_PdN6thrust23THRUST_200600_302600_NS10device_ptrIlEEjNS1_19radix_merge_compareILb0ELb0EdNS0_19identity_decomposerEEEEE10hipError_tT0_T1_T2_jT3_P12ihipStream_tbPNSt15iterator_traitsISG_E10value_typeEPNSM_ISH_E10value_typeEPSI_NS1_7vsmem_tEENKUlT_SG_SH_SI_E_clIS7_S7_PlSB_EESF_SV_SG_SH_SI_EUlSV_E1_NS1_11comp_targetILNS1_3genE9ELNS1_11target_archE1100ELNS1_3gpuE3ELNS1_3repE0EEENS1_36merge_oddeven_config_static_selectorELNS0_4arch9wavefront6targetE1EEEvSH_
                                        ; -- End function
	.section	.AMDGPU.csdata,"",@progbits
; Kernel info:
; codeLenInByte = 0
; NumSgprs: 4
; NumVgprs: 0
; NumAgprs: 0
; TotalNumVgprs: 0
; ScratchSize: 0
; MemoryBound: 0
; FloatMode: 240
; IeeeMode: 1
; LDSByteSize: 0 bytes/workgroup (compile time only)
; SGPRBlocks: 0
; VGPRBlocks: 0
; NumSGPRsForWavesPerEU: 4
; NumVGPRsForWavesPerEU: 1
; AccumOffset: 4
; Occupancy: 8
; WaveLimiterHint : 0
; COMPUTE_PGM_RSRC2:SCRATCH_EN: 0
; COMPUTE_PGM_RSRC2:USER_SGPR: 6
; COMPUTE_PGM_RSRC2:TRAP_HANDLER: 0
; COMPUTE_PGM_RSRC2:TGID_X_EN: 1
; COMPUTE_PGM_RSRC2:TGID_Y_EN: 0
; COMPUTE_PGM_RSRC2:TGID_Z_EN: 0
; COMPUTE_PGM_RSRC2:TIDIG_COMP_CNT: 0
; COMPUTE_PGM_RSRC3_GFX90A:ACCUM_OFFSET: 0
; COMPUTE_PGM_RSRC3_GFX90A:TG_SPLIT: 0
	.section	.text._ZN7rocprim17ROCPRIM_400000_NS6detail17trampoline_kernelINS0_14default_configENS1_38merge_sort_block_merge_config_selectorIdlEEZZNS1_27merge_sort_block_merge_implIS3_PdN6thrust23THRUST_200600_302600_NS10device_ptrIlEEjNS1_19radix_merge_compareILb0ELb0EdNS0_19identity_decomposerEEEEE10hipError_tT0_T1_T2_jT3_P12ihipStream_tbPNSt15iterator_traitsISG_E10value_typeEPNSM_ISH_E10value_typeEPSI_NS1_7vsmem_tEENKUlT_SG_SH_SI_E_clIS7_S7_PlSB_EESF_SV_SG_SH_SI_EUlSV_E1_NS1_11comp_targetILNS1_3genE8ELNS1_11target_archE1030ELNS1_3gpuE2ELNS1_3repE0EEENS1_36merge_oddeven_config_static_selectorELNS0_4arch9wavefront6targetE1EEEvSH_,"axG",@progbits,_ZN7rocprim17ROCPRIM_400000_NS6detail17trampoline_kernelINS0_14default_configENS1_38merge_sort_block_merge_config_selectorIdlEEZZNS1_27merge_sort_block_merge_implIS3_PdN6thrust23THRUST_200600_302600_NS10device_ptrIlEEjNS1_19radix_merge_compareILb0ELb0EdNS0_19identity_decomposerEEEEE10hipError_tT0_T1_T2_jT3_P12ihipStream_tbPNSt15iterator_traitsISG_E10value_typeEPNSM_ISH_E10value_typeEPSI_NS1_7vsmem_tEENKUlT_SG_SH_SI_E_clIS7_S7_PlSB_EESF_SV_SG_SH_SI_EUlSV_E1_NS1_11comp_targetILNS1_3genE8ELNS1_11target_archE1030ELNS1_3gpuE2ELNS1_3repE0EEENS1_36merge_oddeven_config_static_selectorELNS0_4arch9wavefront6targetE1EEEvSH_,comdat
	.protected	_ZN7rocprim17ROCPRIM_400000_NS6detail17trampoline_kernelINS0_14default_configENS1_38merge_sort_block_merge_config_selectorIdlEEZZNS1_27merge_sort_block_merge_implIS3_PdN6thrust23THRUST_200600_302600_NS10device_ptrIlEEjNS1_19radix_merge_compareILb0ELb0EdNS0_19identity_decomposerEEEEE10hipError_tT0_T1_T2_jT3_P12ihipStream_tbPNSt15iterator_traitsISG_E10value_typeEPNSM_ISH_E10value_typeEPSI_NS1_7vsmem_tEENKUlT_SG_SH_SI_E_clIS7_S7_PlSB_EESF_SV_SG_SH_SI_EUlSV_E1_NS1_11comp_targetILNS1_3genE8ELNS1_11target_archE1030ELNS1_3gpuE2ELNS1_3repE0EEENS1_36merge_oddeven_config_static_selectorELNS0_4arch9wavefront6targetE1EEEvSH_ ; -- Begin function _ZN7rocprim17ROCPRIM_400000_NS6detail17trampoline_kernelINS0_14default_configENS1_38merge_sort_block_merge_config_selectorIdlEEZZNS1_27merge_sort_block_merge_implIS3_PdN6thrust23THRUST_200600_302600_NS10device_ptrIlEEjNS1_19radix_merge_compareILb0ELb0EdNS0_19identity_decomposerEEEEE10hipError_tT0_T1_T2_jT3_P12ihipStream_tbPNSt15iterator_traitsISG_E10value_typeEPNSM_ISH_E10value_typeEPSI_NS1_7vsmem_tEENKUlT_SG_SH_SI_E_clIS7_S7_PlSB_EESF_SV_SG_SH_SI_EUlSV_E1_NS1_11comp_targetILNS1_3genE8ELNS1_11target_archE1030ELNS1_3gpuE2ELNS1_3repE0EEENS1_36merge_oddeven_config_static_selectorELNS0_4arch9wavefront6targetE1EEEvSH_
	.globl	_ZN7rocprim17ROCPRIM_400000_NS6detail17trampoline_kernelINS0_14default_configENS1_38merge_sort_block_merge_config_selectorIdlEEZZNS1_27merge_sort_block_merge_implIS3_PdN6thrust23THRUST_200600_302600_NS10device_ptrIlEEjNS1_19radix_merge_compareILb0ELb0EdNS0_19identity_decomposerEEEEE10hipError_tT0_T1_T2_jT3_P12ihipStream_tbPNSt15iterator_traitsISG_E10value_typeEPNSM_ISH_E10value_typeEPSI_NS1_7vsmem_tEENKUlT_SG_SH_SI_E_clIS7_S7_PlSB_EESF_SV_SG_SH_SI_EUlSV_E1_NS1_11comp_targetILNS1_3genE8ELNS1_11target_archE1030ELNS1_3gpuE2ELNS1_3repE0EEENS1_36merge_oddeven_config_static_selectorELNS0_4arch9wavefront6targetE1EEEvSH_
	.p2align	8
	.type	_ZN7rocprim17ROCPRIM_400000_NS6detail17trampoline_kernelINS0_14default_configENS1_38merge_sort_block_merge_config_selectorIdlEEZZNS1_27merge_sort_block_merge_implIS3_PdN6thrust23THRUST_200600_302600_NS10device_ptrIlEEjNS1_19radix_merge_compareILb0ELb0EdNS0_19identity_decomposerEEEEE10hipError_tT0_T1_T2_jT3_P12ihipStream_tbPNSt15iterator_traitsISG_E10value_typeEPNSM_ISH_E10value_typeEPSI_NS1_7vsmem_tEENKUlT_SG_SH_SI_E_clIS7_S7_PlSB_EESF_SV_SG_SH_SI_EUlSV_E1_NS1_11comp_targetILNS1_3genE8ELNS1_11target_archE1030ELNS1_3gpuE2ELNS1_3repE0EEENS1_36merge_oddeven_config_static_selectorELNS0_4arch9wavefront6targetE1EEEvSH_,@function
_ZN7rocprim17ROCPRIM_400000_NS6detail17trampoline_kernelINS0_14default_configENS1_38merge_sort_block_merge_config_selectorIdlEEZZNS1_27merge_sort_block_merge_implIS3_PdN6thrust23THRUST_200600_302600_NS10device_ptrIlEEjNS1_19radix_merge_compareILb0ELb0EdNS0_19identity_decomposerEEEEE10hipError_tT0_T1_T2_jT3_P12ihipStream_tbPNSt15iterator_traitsISG_E10value_typeEPNSM_ISH_E10value_typeEPSI_NS1_7vsmem_tEENKUlT_SG_SH_SI_E_clIS7_S7_PlSB_EESF_SV_SG_SH_SI_EUlSV_E1_NS1_11comp_targetILNS1_3genE8ELNS1_11target_archE1030ELNS1_3gpuE2ELNS1_3repE0EEENS1_36merge_oddeven_config_static_selectorELNS0_4arch9wavefront6targetE1EEEvSH_: ; @_ZN7rocprim17ROCPRIM_400000_NS6detail17trampoline_kernelINS0_14default_configENS1_38merge_sort_block_merge_config_selectorIdlEEZZNS1_27merge_sort_block_merge_implIS3_PdN6thrust23THRUST_200600_302600_NS10device_ptrIlEEjNS1_19radix_merge_compareILb0ELb0EdNS0_19identity_decomposerEEEEE10hipError_tT0_T1_T2_jT3_P12ihipStream_tbPNSt15iterator_traitsISG_E10value_typeEPNSM_ISH_E10value_typeEPSI_NS1_7vsmem_tEENKUlT_SG_SH_SI_E_clIS7_S7_PlSB_EESF_SV_SG_SH_SI_EUlSV_E1_NS1_11comp_targetILNS1_3genE8ELNS1_11target_archE1030ELNS1_3gpuE2ELNS1_3repE0EEENS1_36merge_oddeven_config_static_selectorELNS0_4arch9wavefront6targetE1EEEvSH_
; %bb.0:
	.section	.rodata,"a",@progbits
	.p2align	6, 0x0
	.amdhsa_kernel _ZN7rocprim17ROCPRIM_400000_NS6detail17trampoline_kernelINS0_14default_configENS1_38merge_sort_block_merge_config_selectorIdlEEZZNS1_27merge_sort_block_merge_implIS3_PdN6thrust23THRUST_200600_302600_NS10device_ptrIlEEjNS1_19radix_merge_compareILb0ELb0EdNS0_19identity_decomposerEEEEE10hipError_tT0_T1_T2_jT3_P12ihipStream_tbPNSt15iterator_traitsISG_E10value_typeEPNSM_ISH_E10value_typeEPSI_NS1_7vsmem_tEENKUlT_SG_SH_SI_E_clIS7_S7_PlSB_EESF_SV_SG_SH_SI_EUlSV_E1_NS1_11comp_targetILNS1_3genE8ELNS1_11target_archE1030ELNS1_3gpuE2ELNS1_3repE0EEENS1_36merge_oddeven_config_static_selectorELNS0_4arch9wavefront6targetE1EEEvSH_
		.amdhsa_group_segment_fixed_size 0
		.amdhsa_private_segment_fixed_size 0
		.amdhsa_kernarg_size 48
		.amdhsa_user_sgpr_count 6
		.amdhsa_user_sgpr_private_segment_buffer 1
		.amdhsa_user_sgpr_dispatch_ptr 0
		.amdhsa_user_sgpr_queue_ptr 0
		.amdhsa_user_sgpr_kernarg_segment_ptr 1
		.amdhsa_user_sgpr_dispatch_id 0
		.amdhsa_user_sgpr_flat_scratch_init 0
		.amdhsa_user_sgpr_kernarg_preload_length 0
		.amdhsa_user_sgpr_kernarg_preload_offset 0
		.amdhsa_user_sgpr_private_segment_size 0
		.amdhsa_uses_dynamic_stack 0
		.amdhsa_system_sgpr_private_segment_wavefront_offset 0
		.amdhsa_system_sgpr_workgroup_id_x 1
		.amdhsa_system_sgpr_workgroup_id_y 0
		.amdhsa_system_sgpr_workgroup_id_z 0
		.amdhsa_system_sgpr_workgroup_info 0
		.amdhsa_system_vgpr_workitem_id 0
		.amdhsa_next_free_vgpr 1
		.amdhsa_next_free_sgpr 0
		.amdhsa_accum_offset 4
		.amdhsa_reserve_vcc 0
		.amdhsa_reserve_flat_scratch 0
		.amdhsa_float_round_mode_32 0
		.amdhsa_float_round_mode_16_64 0
		.amdhsa_float_denorm_mode_32 3
		.amdhsa_float_denorm_mode_16_64 3
		.amdhsa_dx10_clamp 1
		.amdhsa_ieee_mode 1
		.amdhsa_fp16_overflow 0
		.amdhsa_tg_split 0
		.amdhsa_exception_fp_ieee_invalid_op 0
		.amdhsa_exception_fp_denorm_src 0
		.amdhsa_exception_fp_ieee_div_zero 0
		.amdhsa_exception_fp_ieee_overflow 0
		.amdhsa_exception_fp_ieee_underflow 0
		.amdhsa_exception_fp_ieee_inexact 0
		.amdhsa_exception_int_div_zero 0
	.end_amdhsa_kernel
	.section	.text._ZN7rocprim17ROCPRIM_400000_NS6detail17trampoline_kernelINS0_14default_configENS1_38merge_sort_block_merge_config_selectorIdlEEZZNS1_27merge_sort_block_merge_implIS3_PdN6thrust23THRUST_200600_302600_NS10device_ptrIlEEjNS1_19radix_merge_compareILb0ELb0EdNS0_19identity_decomposerEEEEE10hipError_tT0_T1_T2_jT3_P12ihipStream_tbPNSt15iterator_traitsISG_E10value_typeEPNSM_ISH_E10value_typeEPSI_NS1_7vsmem_tEENKUlT_SG_SH_SI_E_clIS7_S7_PlSB_EESF_SV_SG_SH_SI_EUlSV_E1_NS1_11comp_targetILNS1_3genE8ELNS1_11target_archE1030ELNS1_3gpuE2ELNS1_3repE0EEENS1_36merge_oddeven_config_static_selectorELNS0_4arch9wavefront6targetE1EEEvSH_,"axG",@progbits,_ZN7rocprim17ROCPRIM_400000_NS6detail17trampoline_kernelINS0_14default_configENS1_38merge_sort_block_merge_config_selectorIdlEEZZNS1_27merge_sort_block_merge_implIS3_PdN6thrust23THRUST_200600_302600_NS10device_ptrIlEEjNS1_19radix_merge_compareILb0ELb0EdNS0_19identity_decomposerEEEEE10hipError_tT0_T1_T2_jT3_P12ihipStream_tbPNSt15iterator_traitsISG_E10value_typeEPNSM_ISH_E10value_typeEPSI_NS1_7vsmem_tEENKUlT_SG_SH_SI_E_clIS7_S7_PlSB_EESF_SV_SG_SH_SI_EUlSV_E1_NS1_11comp_targetILNS1_3genE8ELNS1_11target_archE1030ELNS1_3gpuE2ELNS1_3repE0EEENS1_36merge_oddeven_config_static_selectorELNS0_4arch9wavefront6targetE1EEEvSH_,comdat
.Lfunc_end1565:
	.size	_ZN7rocprim17ROCPRIM_400000_NS6detail17trampoline_kernelINS0_14default_configENS1_38merge_sort_block_merge_config_selectorIdlEEZZNS1_27merge_sort_block_merge_implIS3_PdN6thrust23THRUST_200600_302600_NS10device_ptrIlEEjNS1_19radix_merge_compareILb0ELb0EdNS0_19identity_decomposerEEEEE10hipError_tT0_T1_T2_jT3_P12ihipStream_tbPNSt15iterator_traitsISG_E10value_typeEPNSM_ISH_E10value_typeEPSI_NS1_7vsmem_tEENKUlT_SG_SH_SI_E_clIS7_S7_PlSB_EESF_SV_SG_SH_SI_EUlSV_E1_NS1_11comp_targetILNS1_3genE8ELNS1_11target_archE1030ELNS1_3gpuE2ELNS1_3repE0EEENS1_36merge_oddeven_config_static_selectorELNS0_4arch9wavefront6targetE1EEEvSH_, .Lfunc_end1565-_ZN7rocprim17ROCPRIM_400000_NS6detail17trampoline_kernelINS0_14default_configENS1_38merge_sort_block_merge_config_selectorIdlEEZZNS1_27merge_sort_block_merge_implIS3_PdN6thrust23THRUST_200600_302600_NS10device_ptrIlEEjNS1_19radix_merge_compareILb0ELb0EdNS0_19identity_decomposerEEEEE10hipError_tT0_T1_T2_jT3_P12ihipStream_tbPNSt15iterator_traitsISG_E10value_typeEPNSM_ISH_E10value_typeEPSI_NS1_7vsmem_tEENKUlT_SG_SH_SI_E_clIS7_S7_PlSB_EESF_SV_SG_SH_SI_EUlSV_E1_NS1_11comp_targetILNS1_3genE8ELNS1_11target_archE1030ELNS1_3gpuE2ELNS1_3repE0EEENS1_36merge_oddeven_config_static_selectorELNS0_4arch9wavefront6targetE1EEEvSH_
                                        ; -- End function
	.section	.AMDGPU.csdata,"",@progbits
; Kernel info:
; codeLenInByte = 0
; NumSgprs: 4
; NumVgprs: 0
; NumAgprs: 0
; TotalNumVgprs: 0
; ScratchSize: 0
; MemoryBound: 0
; FloatMode: 240
; IeeeMode: 1
; LDSByteSize: 0 bytes/workgroup (compile time only)
; SGPRBlocks: 0
; VGPRBlocks: 0
; NumSGPRsForWavesPerEU: 4
; NumVGPRsForWavesPerEU: 1
; AccumOffset: 4
; Occupancy: 8
; WaveLimiterHint : 0
; COMPUTE_PGM_RSRC2:SCRATCH_EN: 0
; COMPUTE_PGM_RSRC2:USER_SGPR: 6
; COMPUTE_PGM_RSRC2:TRAP_HANDLER: 0
; COMPUTE_PGM_RSRC2:TGID_X_EN: 1
; COMPUTE_PGM_RSRC2:TGID_Y_EN: 0
; COMPUTE_PGM_RSRC2:TGID_Z_EN: 0
; COMPUTE_PGM_RSRC2:TIDIG_COMP_CNT: 0
; COMPUTE_PGM_RSRC3_GFX90A:ACCUM_OFFSET: 0
; COMPUTE_PGM_RSRC3_GFX90A:TG_SPLIT: 0
	.section	.text._ZN7rocprim17ROCPRIM_400000_NS6detail17trampoline_kernelINS0_14default_configENS1_38merge_sort_block_merge_config_selectorIdlEEZZNS1_27merge_sort_block_merge_implIS3_PdN6thrust23THRUST_200600_302600_NS10device_ptrIlEEjNS1_19radix_merge_compareILb0ELb0EdNS0_19identity_decomposerEEEEE10hipError_tT0_T1_T2_jT3_P12ihipStream_tbPNSt15iterator_traitsISG_E10value_typeEPNSM_ISH_E10value_typeEPSI_NS1_7vsmem_tEENKUlT_SG_SH_SI_E_clIS7_S7_SB_PlEESF_SV_SG_SH_SI_EUlSV_E_NS1_11comp_targetILNS1_3genE0ELNS1_11target_archE4294967295ELNS1_3gpuE0ELNS1_3repE0EEENS1_48merge_mergepath_partition_config_static_selectorELNS0_4arch9wavefront6targetE1EEEvSH_,"axG",@progbits,_ZN7rocprim17ROCPRIM_400000_NS6detail17trampoline_kernelINS0_14default_configENS1_38merge_sort_block_merge_config_selectorIdlEEZZNS1_27merge_sort_block_merge_implIS3_PdN6thrust23THRUST_200600_302600_NS10device_ptrIlEEjNS1_19radix_merge_compareILb0ELb0EdNS0_19identity_decomposerEEEEE10hipError_tT0_T1_T2_jT3_P12ihipStream_tbPNSt15iterator_traitsISG_E10value_typeEPNSM_ISH_E10value_typeEPSI_NS1_7vsmem_tEENKUlT_SG_SH_SI_E_clIS7_S7_SB_PlEESF_SV_SG_SH_SI_EUlSV_E_NS1_11comp_targetILNS1_3genE0ELNS1_11target_archE4294967295ELNS1_3gpuE0ELNS1_3repE0EEENS1_48merge_mergepath_partition_config_static_selectorELNS0_4arch9wavefront6targetE1EEEvSH_,comdat
	.protected	_ZN7rocprim17ROCPRIM_400000_NS6detail17trampoline_kernelINS0_14default_configENS1_38merge_sort_block_merge_config_selectorIdlEEZZNS1_27merge_sort_block_merge_implIS3_PdN6thrust23THRUST_200600_302600_NS10device_ptrIlEEjNS1_19radix_merge_compareILb0ELb0EdNS0_19identity_decomposerEEEEE10hipError_tT0_T1_T2_jT3_P12ihipStream_tbPNSt15iterator_traitsISG_E10value_typeEPNSM_ISH_E10value_typeEPSI_NS1_7vsmem_tEENKUlT_SG_SH_SI_E_clIS7_S7_SB_PlEESF_SV_SG_SH_SI_EUlSV_E_NS1_11comp_targetILNS1_3genE0ELNS1_11target_archE4294967295ELNS1_3gpuE0ELNS1_3repE0EEENS1_48merge_mergepath_partition_config_static_selectorELNS0_4arch9wavefront6targetE1EEEvSH_ ; -- Begin function _ZN7rocprim17ROCPRIM_400000_NS6detail17trampoline_kernelINS0_14default_configENS1_38merge_sort_block_merge_config_selectorIdlEEZZNS1_27merge_sort_block_merge_implIS3_PdN6thrust23THRUST_200600_302600_NS10device_ptrIlEEjNS1_19radix_merge_compareILb0ELb0EdNS0_19identity_decomposerEEEEE10hipError_tT0_T1_T2_jT3_P12ihipStream_tbPNSt15iterator_traitsISG_E10value_typeEPNSM_ISH_E10value_typeEPSI_NS1_7vsmem_tEENKUlT_SG_SH_SI_E_clIS7_S7_SB_PlEESF_SV_SG_SH_SI_EUlSV_E_NS1_11comp_targetILNS1_3genE0ELNS1_11target_archE4294967295ELNS1_3gpuE0ELNS1_3repE0EEENS1_48merge_mergepath_partition_config_static_selectorELNS0_4arch9wavefront6targetE1EEEvSH_
	.globl	_ZN7rocprim17ROCPRIM_400000_NS6detail17trampoline_kernelINS0_14default_configENS1_38merge_sort_block_merge_config_selectorIdlEEZZNS1_27merge_sort_block_merge_implIS3_PdN6thrust23THRUST_200600_302600_NS10device_ptrIlEEjNS1_19radix_merge_compareILb0ELb0EdNS0_19identity_decomposerEEEEE10hipError_tT0_T1_T2_jT3_P12ihipStream_tbPNSt15iterator_traitsISG_E10value_typeEPNSM_ISH_E10value_typeEPSI_NS1_7vsmem_tEENKUlT_SG_SH_SI_E_clIS7_S7_SB_PlEESF_SV_SG_SH_SI_EUlSV_E_NS1_11comp_targetILNS1_3genE0ELNS1_11target_archE4294967295ELNS1_3gpuE0ELNS1_3repE0EEENS1_48merge_mergepath_partition_config_static_selectorELNS0_4arch9wavefront6targetE1EEEvSH_
	.p2align	8
	.type	_ZN7rocprim17ROCPRIM_400000_NS6detail17trampoline_kernelINS0_14default_configENS1_38merge_sort_block_merge_config_selectorIdlEEZZNS1_27merge_sort_block_merge_implIS3_PdN6thrust23THRUST_200600_302600_NS10device_ptrIlEEjNS1_19radix_merge_compareILb0ELb0EdNS0_19identity_decomposerEEEEE10hipError_tT0_T1_T2_jT3_P12ihipStream_tbPNSt15iterator_traitsISG_E10value_typeEPNSM_ISH_E10value_typeEPSI_NS1_7vsmem_tEENKUlT_SG_SH_SI_E_clIS7_S7_SB_PlEESF_SV_SG_SH_SI_EUlSV_E_NS1_11comp_targetILNS1_3genE0ELNS1_11target_archE4294967295ELNS1_3gpuE0ELNS1_3repE0EEENS1_48merge_mergepath_partition_config_static_selectorELNS0_4arch9wavefront6targetE1EEEvSH_,@function
_ZN7rocprim17ROCPRIM_400000_NS6detail17trampoline_kernelINS0_14default_configENS1_38merge_sort_block_merge_config_selectorIdlEEZZNS1_27merge_sort_block_merge_implIS3_PdN6thrust23THRUST_200600_302600_NS10device_ptrIlEEjNS1_19radix_merge_compareILb0ELb0EdNS0_19identity_decomposerEEEEE10hipError_tT0_T1_T2_jT3_P12ihipStream_tbPNSt15iterator_traitsISG_E10value_typeEPNSM_ISH_E10value_typeEPSI_NS1_7vsmem_tEENKUlT_SG_SH_SI_E_clIS7_S7_SB_PlEESF_SV_SG_SH_SI_EUlSV_E_NS1_11comp_targetILNS1_3genE0ELNS1_11target_archE4294967295ELNS1_3gpuE0ELNS1_3repE0EEENS1_48merge_mergepath_partition_config_static_selectorELNS0_4arch9wavefront6targetE1EEEvSH_: ; @_ZN7rocprim17ROCPRIM_400000_NS6detail17trampoline_kernelINS0_14default_configENS1_38merge_sort_block_merge_config_selectorIdlEEZZNS1_27merge_sort_block_merge_implIS3_PdN6thrust23THRUST_200600_302600_NS10device_ptrIlEEjNS1_19radix_merge_compareILb0ELb0EdNS0_19identity_decomposerEEEEE10hipError_tT0_T1_T2_jT3_P12ihipStream_tbPNSt15iterator_traitsISG_E10value_typeEPNSM_ISH_E10value_typeEPSI_NS1_7vsmem_tEENKUlT_SG_SH_SI_E_clIS7_S7_SB_PlEESF_SV_SG_SH_SI_EUlSV_E_NS1_11comp_targetILNS1_3genE0ELNS1_11target_archE4294967295ELNS1_3gpuE0ELNS1_3repE0EEENS1_48merge_mergepath_partition_config_static_selectorELNS0_4arch9wavefront6targetE1EEEvSH_
; %bb.0:
	.section	.rodata,"a",@progbits
	.p2align	6, 0x0
	.amdhsa_kernel _ZN7rocprim17ROCPRIM_400000_NS6detail17trampoline_kernelINS0_14default_configENS1_38merge_sort_block_merge_config_selectorIdlEEZZNS1_27merge_sort_block_merge_implIS3_PdN6thrust23THRUST_200600_302600_NS10device_ptrIlEEjNS1_19radix_merge_compareILb0ELb0EdNS0_19identity_decomposerEEEEE10hipError_tT0_T1_T2_jT3_P12ihipStream_tbPNSt15iterator_traitsISG_E10value_typeEPNSM_ISH_E10value_typeEPSI_NS1_7vsmem_tEENKUlT_SG_SH_SI_E_clIS7_S7_SB_PlEESF_SV_SG_SH_SI_EUlSV_E_NS1_11comp_targetILNS1_3genE0ELNS1_11target_archE4294967295ELNS1_3gpuE0ELNS1_3repE0EEENS1_48merge_mergepath_partition_config_static_selectorELNS0_4arch9wavefront6targetE1EEEvSH_
		.amdhsa_group_segment_fixed_size 0
		.amdhsa_private_segment_fixed_size 0
		.amdhsa_kernarg_size 40
		.amdhsa_user_sgpr_count 6
		.amdhsa_user_sgpr_private_segment_buffer 1
		.amdhsa_user_sgpr_dispatch_ptr 0
		.amdhsa_user_sgpr_queue_ptr 0
		.amdhsa_user_sgpr_kernarg_segment_ptr 1
		.amdhsa_user_sgpr_dispatch_id 0
		.amdhsa_user_sgpr_flat_scratch_init 0
		.amdhsa_user_sgpr_kernarg_preload_length 0
		.amdhsa_user_sgpr_kernarg_preload_offset 0
		.amdhsa_user_sgpr_private_segment_size 0
		.amdhsa_uses_dynamic_stack 0
		.amdhsa_system_sgpr_private_segment_wavefront_offset 0
		.amdhsa_system_sgpr_workgroup_id_x 1
		.amdhsa_system_sgpr_workgroup_id_y 0
		.amdhsa_system_sgpr_workgroup_id_z 0
		.amdhsa_system_sgpr_workgroup_info 0
		.amdhsa_system_vgpr_workitem_id 0
		.amdhsa_next_free_vgpr 1
		.amdhsa_next_free_sgpr 0
		.amdhsa_accum_offset 4
		.amdhsa_reserve_vcc 0
		.amdhsa_reserve_flat_scratch 0
		.amdhsa_float_round_mode_32 0
		.amdhsa_float_round_mode_16_64 0
		.amdhsa_float_denorm_mode_32 3
		.amdhsa_float_denorm_mode_16_64 3
		.amdhsa_dx10_clamp 1
		.amdhsa_ieee_mode 1
		.amdhsa_fp16_overflow 0
		.amdhsa_tg_split 0
		.amdhsa_exception_fp_ieee_invalid_op 0
		.amdhsa_exception_fp_denorm_src 0
		.amdhsa_exception_fp_ieee_div_zero 0
		.amdhsa_exception_fp_ieee_overflow 0
		.amdhsa_exception_fp_ieee_underflow 0
		.amdhsa_exception_fp_ieee_inexact 0
		.amdhsa_exception_int_div_zero 0
	.end_amdhsa_kernel
	.section	.text._ZN7rocprim17ROCPRIM_400000_NS6detail17trampoline_kernelINS0_14default_configENS1_38merge_sort_block_merge_config_selectorIdlEEZZNS1_27merge_sort_block_merge_implIS3_PdN6thrust23THRUST_200600_302600_NS10device_ptrIlEEjNS1_19radix_merge_compareILb0ELb0EdNS0_19identity_decomposerEEEEE10hipError_tT0_T1_T2_jT3_P12ihipStream_tbPNSt15iterator_traitsISG_E10value_typeEPNSM_ISH_E10value_typeEPSI_NS1_7vsmem_tEENKUlT_SG_SH_SI_E_clIS7_S7_SB_PlEESF_SV_SG_SH_SI_EUlSV_E_NS1_11comp_targetILNS1_3genE0ELNS1_11target_archE4294967295ELNS1_3gpuE0ELNS1_3repE0EEENS1_48merge_mergepath_partition_config_static_selectorELNS0_4arch9wavefront6targetE1EEEvSH_,"axG",@progbits,_ZN7rocprim17ROCPRIM_400000_NS6detail17trampoline_kernelINS0_14default_configENS1_38merge_sort_block_merge_config_selectorIdlEEZZNS1_27merge_sort_block_merge_implIS3_PdN6thrust23THRUST_200600_302600_NS10device_ptrIlEEjNS1_19radix_merge_compareILb0ELb0EdNS0_19identity_decomposerEEEEE10hipError_tT0_T1_T2_jT3_P12ihipStream_tbPNSt15iterator_traitsISG_E10value_typeEPNSM_ISH_E10value_typeEPSI_NS1_7vsmem_tEENKUlT_SG_SH_SI_E_clIS7_S7_SB_PlEESF_SV_SG_SH_SI_EUlSV_E_NS1_11comp_targetILNS1_3genE0ELNS1_11target_archE4294967295ELNS1_3gpuE0ELNS1_3repE0EEENS1_48merge_mergepath_partition_config_static_selectorELNS0_4arch9wavefront6targetE1EEEvSH_,comdat
.Lfunc_end1566:
	.size	_ZN7rocprim17ROCPRIM_400000_NS6detail17trampoline_kernelINS0_14default_configENS1_38merge_sort_block_merge_config_selectorIdlEEZZNS1_27merge_sort_block_merge_implIS3_PdN6thrust23THRUST_200600_302600_NS10device_ptrIlEEjNS1_19radix_merge_compareILb0ELb0EdNS0_19identity_decomposerEEEEE10hipError_tT0_T1_T2_jT3_P12ihipStream_tbPNSt15iterator_traitsISG_E10value_typeEPNSM_ISH_E10value_typeEPSI_NS1_7vsmem_tEENKUlT_SG_SH_SI_E_clIS7_S7_SB_PlEESF_SV_SG_SH_SI_EUlSV_E_NS1_11comp_targetILNS1_3genE0ELNS1_11target_archE4294967295ELNS1_3gpuE0ELNS1_3repE0EEENS1_48merge_mergepath_partition_config_static_selectorELNS0_4arch9wavefront6targetE1EEEvSH_, .Lfunc_end1566-_ZN7rocprim17ROCPRIM_400000_NS6detail17trampoline_kernelINS0_14default_configENS1_38merge_sort_block_merge_config_selectorIdlEEZZNS1_27merge_sort_block_merge_implIS3_PdN6thrust23THRUST_200600_302600_NS10device_ptrIlEEjNS1_19radix_merge_compareILb0ELb0EdNS0_19identity_decomposerEEEEE10hipError_tT0_T1_T2_jT3_P12ihipStream_tbPNSt15iterator_traitsISG_E10value_typeEPNSM_ISH_E10value_typeEPSI_NS1_7vsmem_tEENKUlT_SG_SH_SI_E_clIS7_S7_SB_PlEESF_SV_SG_SH_SI_EUlSV_E_NS1_11comp_targetILNS1_3genE0ELNS1_11target_archE4294967295ELNS1_3gpuE0ELNS1_3repE0EEENS1_48merge_mergepath_partition_config_static_selectorELNS0_4arch9wavefront6targetE1EEEvSH_
                                        ; -- End function
	.section	.AMDGPU.csdata,"",@progbits
; Kernel info:
; codeLenInByte = 0
; NumSgprs: 4
; NumVgprs: 0
; NumAgprs: 0
; TotalNumVgprs: 0
; ScratchSize: 0
; MemoryBound: 0
; FloatMode: 240
; IeeeMode: 1
; LDSByteSize: 0 bytes/workgroup (compile time only)
; SGPRBlocks: 0
; VGPRBlocks: 0
; NumSGPRsForWavesPerEU: 4
; NumVGPRsForWavesPerEU: 1
; AccumOffset: 4
; Occupancy: 8
; WaveLimiterHint : 0
; COMPUTE_PGM_RSRC2:SCRATCH_EN: 0
; COMPUTE_PGM_RSRC2:USER_SGPR: 6
; COMPUTE_PGM_RSRC2:TRAP_HANDLER: 0
; COMPUTE_PGM_RSRC2:TGID_X_EN: 1
; COMPUTE_PGM_RSRC2:TGID_Y_EN: 0
; COMPUTE_PGM_RSRC2:TGID_Z_EN: 0
; COMPUTE_PGM_RSRC2:TIDIG_COMP_CNT: 0
; COMPUTE_PGM_RSRC3_GFX90A:ACCUM_OFFSET: 0
; COMPUTE_PGM_RSRC3_GFX90A:TG_SPLIT: 0
	.section	.text._ZN7rocprim17ROCPRIM_400000_NS6detail17trampoline_kernelINS0_14default_configENS1_38merge_sort_block_merge_config_selectorIdlEEZZNS1_27merge_sort_block_merge_implIS3_PdN6thrust23THRUST_200600_302600_NS10device_ptrIlEEjNS1_19radix_merge_compareILb0ELb0EdNS0_19identity_decomposerEEEEE10hipError_tT0_T1_T2_jT3_P12ihipStream_tbPNSt15iterator_traitsISG_E10value_typeEPNSM_ISH_E10value_typeEPSI_NS1_7vsmem_tEENKUlT_SG_SH_SI_E_clIS7_S7_SB_PlEESF_SV_SG_SH_SI_EUlSV_E_NS1_11comp_targetILNS1_3genE10ELNS1_11target_archE1201ELNS1_3gpuE5ELNS1_3repE0EEENS1_48merge_mergepath_partition_config_static_selectorELNS0_4arch9wavefront6targetE1EEEvSH_,"axG",@progbits,_ZN7rocprim17ROCPRIM_400000_NS6detail17trampoline_kernelINS0_14default_configENS1_38merge_sort_block_merge_config_selectorIdlEEZZNS1_27merge_sort_block_merge_implIS3_PdN6thrust23THRUST_200600_302600_NS10device_ptrIlEEjNS1_19radix_merge_compareILb0ELb0EdNS0_19identity_decomposerEEEEE10hipError_tT0_T1_T2_jT3_P12ihipStream_tbPNSt15iterator_traitsISG_E10value_typeEPNSM_ISH_E10value_typeEPSI_NS1_7vsmem_tEENKUlT_SG_SH_SI_E_clIS7_S7_SB_PlEESF_SV_SG_SH_SI_EUlSV_E_NS1_11comp_targetILNS1_3genE10ELNS1_11target_archE1201ELNS1_3gpuE5ELNS1_3repE0EEENS1_48merge_mergepath_partition_config_static_selectorELNS0_4arch9wavefront6targetE1EEEvSH_,comdat
	.protected	_ZN7rocprim17ROCPRIM_400000_NS6detail17trampoline_kernelINS0_14default_configENS1_38merge_sort_block_merge_config_selectorIdlEEZZNS1_27merge_sort_block_merge_implIS3_PdN6thrust23THRUST_200600_302600_NS10device_ptrIlEEjNS1_19radix_merge_compareILb0ELb0EdNS0_19identity_decomposerEEEEE10hipError_tT0_T1_T2_jT3_P12ihipStream_tbPNSt15iterator_traitsISG_E10value_typeEPNSM_ISH_E10value_typeEPSI_NS1_7vsmem_tEENKUlT_SG_SH_SI_E_clIS7_S7_SB_PlEESF_SV_SG_SH_SI_EUlSV_E_NS1_11comp_targetILNS1_3genE10ELNS1_11target_archE1201ELNS1_3gpuE5ELNS1_3repE0EEENS1_48merge_mergepath_partition_config_static_selectorELNS0_4arch9wavefront6targetE1EEEvSH_ ; -- Begin function _ZN7rocprim17ROCPRIM_400000_NS6detail17trampoline_kernelINS0_14default_configENS1_38merge_sort_block_merge_config_selectorIdlEEZZNS1_27merge_sort_block_merge_implIS3_PdN6thrust23THRUST_200600_302600_NS10device_ptrIlEEjNS1_19radix_merge_compareILb0ELb0EdNS0_19identity_decomposerEEEEE10hipError_tT0_T1_T2_jT3_P12ihipStream_tbPNSt15iterator_traitsISG_E10value_typeEPNSM_ISH_E10value_typeEPSI_NS1_7vsmem_tEENKUlT_SG_SH_SI_E_clIS7_S7_SB_PlEESF_SV_SG_SH_SI_EUlSV_E_NS1_11comp_targetILNS1_3genE10ELNS1_11target_archE1201ELNS1_3gpuE5ELNS1_3repE0EEENS1_48merge_mergepath_partition_config_static_selectorELNS0_4arch9wavefront6targetE1EEEvSH_
	.globl	_ZN7rocprim17ROCPRIM_400000_NS6detail17trampoline_kernelINS0_14default_configENS1_38merge_sort_block_merge_config_selectorIdlEEZZNS1_27merge_sort_block_merge_implIS3_PdN6thrust23THRUST_200600_302600_NS10device_ptrIlEEjNS1_19radix_merge_compareILb0ELb0EdNS0_19identity_decomposerEEEEE10hipError_tT0_T1_T2_jT3_P12ihipStream_tbPNSt15iterator_traitsISG_E10value_typeEPNSM_ISH_E10value_typeEPSI_NS1_7vsmem_tEENKUlT_SG_SH_SI_E_clIS7_S7_SB_PlEESF_SV_SG_SH_SI_EUlSV_E_NS1_11comp_targetILNS1_3genE10ELNS1_11target_archE1201ELNS1_3gpuE5ELNS1_3repE0EEENS1_48merge_mergepath_partition_config_static_selectorELNS0_4arch9wavefront6targetE1EEEvSH_
	.p2align	8
	.type	_ZN7rocprim17ROCPRIM_400000_NS6detail17trampoline_kernelINS0_14default_configENS1_38merge_sort_block_merge_config_selectorIdlEEZZNS1_27merge_sort_block_merge_implIS3_PdN6thrust23THRUST_200600_302600_NS10device_ptrIlEEjNS1_19radix_merge_compareILb0ELb0EdNS0_19identity_decomposerEEEEE10hipError_tT0_T1_T2_jT3_P12ihipStream_tbPNSt15iterator_traitsISG_E10value_typeEPNSM_ISH_E10value_typeEPSI_NS1_7vsmem_tEENKUlT_SG_SH_SI_E_clIS7_S7_SB_PlEESF_SV_SG_SH_SI_EUlSV_E_NS1_11comp_targetILNS1_3genE10ELNS1_11target_archE1201ELNS1_3gpuE5ELNS1_3repE0EEENS1_48merge_mergepath_partition_config_static_selectorELNS0_4arch9wavefront6targetE1EEEvSH_,@function
_ZN7rocprim17ROCPRIM_400000_NS6detail17trampoline_kernelINS0_14default_configENS1_38merge_sort_block_merge_config_selectorIdlEEZZNS1_27merge_sort_block_merge_implIS3_PdN6thrust23THRUST_200600_302600_NS10device_ptrIlEEjNS1_19radix_merge_compareILb0ELb0EdNS0_19identity_decomposerEEEEE10hipError_tT0_T1_T2_jT3_P12ihipStream_tbPNSt15iterator_traitsISG_E10value_typeEPNSM_ISH_E10value_typeEPSI_NS1_7vsmem_tEENKUlT_SG_SH_SI_E_clIS7_S7_SB_PlEESF_SV_SG_SH_SI_EUlSV_E_NS1_11comp_targetILNS1_3genE10ELNS1_11target_archE1201ELNS1_3gpuE5ELNS1_3repE0EEENS1_48merge_mergepath_partition_config_static_selectorELNS0_4arch9wavefront6targetE1EEEvSH_: ; @_ZN7rocprim17ROCPRIM_400000_NS6detail17trampoline_kernelINS0_14default_configENS1_38merge_sort_block_merge_config_selectorIdlEEZZNS1_27merge_sort_block_merge_implIS3_PdN6thrust23THRUST_200600_302600_NS10device_ptrIlEEjNS1_19radix_merge_compareILb0ELb0EdNS0_19identity_decomposerEEEEE10hipError_tT0_T1_T2_jT3_P12ihipStream_tbPNSt15iterator_traitsISG_E10value_typeEPNSM_ISH_E10value_typeEPSI_NS1_7vsmem_tEENKUlT_SG_SH_SI_E_clIS7_S7_SB_PlEESF_SV_SG_SH_SI_EUlSV_E_NS1_11comp_targetILNS1_3genE10ELNS1_11target_archE1201ELNS1_3gpuE5ELNS1_3repE0EEENS1_48merge_mergepath_partition_config_static_selectorELNS0_4arch9wavefront6targetE1EEEvSH_
; %bb.0:
	.section	.rodata,"a",@progbits
	.p2align	6, 0x0
	.amdhsa_kernel _ZN7rocprim17ROCPRIM_400000_NS6detail17trampoline_kernelINS0_14default_configENS1_38merge_sort_block_merge_config_selectorIdlEEZZNS1_27merge_sort_block_merge_implIS3_PdN6thrust23THRUST_200600_302600_NS10device_ptrIlEEjNS1_19radix_merge_compareILb0ELb0EdNS0_19identity_decomposerEEEEE10hipError_tT0_T1_T2_jT3_P12ihipStream_tbPNSt15iterator_traitsISG_E10value_typeEPNSM_ISH_E10value_typeEPSI_NS1_7vsmem_tEENKUlT_SG_SH_SI_E_clIS7_S7_SB_PlEESF_SV_SG_SH_SI_EUlSV_E_NS1_11comp_targetILNS1_3genE10ELNS1_11target_archE1201ELNS1_3gpuE5ELNS1_3repE0EEENS1_48merge_mergepath_partition_config_static_selectorELNS0_4arch9wavefront6targetE1EEEvSH_
		.amdhsa_group_segment_fixed_size 0
		.amdhsa_private_segment_fixed_size 0
		.amdhsa_kernarg_size 40
		.amdhsa_user_sgpr_count 6
		.amdhsa_user_sgpr_private_segment_buffer 1
		.amdhsa_user_sgpr_dispatch_ptr 0
		.amdhsa_user_sgpr_queue_ptr 0
		.amdhsa_user_sgpr_kernarg_segment_ptr 1
		.amdhsa_user_sgpr_dispatch_id 0
		.amdhsa_user_sgpr_flat_scratch_init 0
		.amdhsa_user_sgpr_kernarg_preload_length 0
		.amdhsa_user_sgpr_kernarg_preload_offset 0
		.amdhsa_user_sgpr_private_segment_size 0
		.amdhsa_uses_dynamic_stack 0
		.amdhsa_system_sgpr_private_segment_wavefront_offset 0
		.amdhsa_system_sgpr_workgroup_id_x 1
		.amdhsa_system_sgpr_workgroup_id_y 0
		.amdhsa_system_sgpr_workgroup_id_z 0
		.amdhsa_system_sgpr_workgroup_info 0
		.amdhsa_system_vgpr_workitem_id 0
		.amdhsa_next_free_vgpr 1
		.amdhsa_next_free_sgpr 0
		.amdhsa_accum_offset 4
		.amdhsa_reserve_vcc 0
		.amdhsa_reserve_flat_scratch 0
		.amdhsa_float_round_mode_32 0
		.amdhsa_float_round_mode_16_64 0
		.amdhsa_float_denorm_mode_32 3
		.amdhsa_float_denorm_mode_16_64 3
		.amdhsa_dx10_clamp 1
		.amdhsa_ieee_mode 1
		.amdhsa_fp16_overflow 0
		.amdhsa_tg_split 0
		.amdhsa_exception_fp_ieee_invalid_op 0
		.amdhsa_exception_fp_denorm_src 0
		.amdhsa_exception_fp_ieee_div_zero 0
		.amdhsa_exception_fp_ieee_overflow 0
		.amdhsa_exception_fp_ieee_underflow 0
		.amdhsa_exception_fp_ieee_inexact 0
		.amdhsa_exception_int_div_zero 0
	.end_amdhsa_kernel
	.section	.text._ZN7rocprim17ROCPRIM_400000_NS6detail17trampoline_kernelINS0_14default_configENS1_38merge_sort_block_merge_config_selectorIdlEEZZNS1_27merge_sort_block_merge_implIS3_PdN6thrust23THRUST_200600_302600_NS10device_ptrIlEEjNS1_19radix_merge_compareILb0ELb0EdNS0_19identity_decomposerEEEEE10hipError_tT0_T1_T2_jT3_P12ihipStream_tbPNSt15iterator_traitsISG_E10value_typeEPNSM_ISH_E10value_typeEPSI_NS1_7vsmem_tEENKUlT_SG_SH_SI_E_clIS7_S7_SB_PlEESF_SV_SG_SH_SI_EUlSV_E_NS1_11comp_targetILNS1_3genE10ELNS1_11target_archE1201ELNS1_3gpuE5ELNS1_3repE0EEENS1_48merge_mergepath_partition_config_static_selectorELNS0_4arch9wavefront6targetE1EEEvSH_,"axG",@progbits,_ZN7rocprim17ROCPRIM_400000_NS6detail17trampoline_kernelINS0_14default_configENS1_38merge_sort_block_merge_config_selectorIdlEEZZNS1_27merge_sort_block_merge_implIS3_PdN6thrust23THRUST_200600_302600_NS10device_ptrIlEEjNS1_19radix_merge_compareILb0ELb0EdNS0_19identity_decomposerEEEEE10hipError_tT0_T1_T2_jT3_P12ihipStream_tbPNSt15iterator_traitsISG_E10value_typeEPNSM_ISH_E10value_typeEPSI_NS1_7vsmem_tEENKUlT_SG_SH_SI_E_clIS7_S7_SB_PlEESF_SV_SG_SH_SI_EUlSV_E_NS1_11comp_targetILNS1_3genE10ELNS1_11target_archE1201ELNS1_3gpuE5ELNS1_3repE0EEENS1_48merge_mergepath_partition_config_static_selectorELNS0_4arch9wavefront6targetE1EEEvSH_,comdat
.Lfunc_end1567:
	.size	_ZN7rocprim17ROCPRIM_400000_NS6detail17trampoline_kernelINS0_14default_configENS1_38merge_sort_block_merge_config_selectorIdlEEZZNS1_27merge_sort_block_merge_implIS3_PdN6thrust23THRUST_200600_302600_NS10device_ptrIlEEjNS1_19radix_merge_compareILb0ELb0EdNS0_19identity_decomposerEEEEE10hipError_tT0_T1_T2_jT3_P12ihipStream_tbPNSt15iterator_traitsISG_E10value_typeEPNSM_ISH_E10value_typeEPSI_NS1_7vsmem_tEENKUlT_SG_SH_SI_E_clIS7_S7_SB_PlEESF_SV_SG_SH_SI_EUlSV_E_NS1_11comp_targetILNS1_3genE10ELNS1_11target_archE1201ELNS1_3gpuE5ELNS1_3repE0EEENS1_48merge_mergepath_partition_config_static_selectorELNS0_4arch9wavefront6targetE1EEEvSH_, .Lfunc_end1567-_ZN7rocprim17ROCPRIM_400000_NS6detail17trampoline_kernelINS0_14default_configENS1_38merge_sort_block_merge_config_selectorIdlEEZZNS1_27merge_sort_block_merge_implIS3_PdN6thrust23THRUST_200600_302600_NS10device_ptrIlEEjNS1_19radix_merge_compareILb0ELb0EdNS0_19identity_decomposerEEEEE10hipError_tT0_T1_T2_jT3_P12ihipStream_tbPNSt15iterator_traitsISG_E10value_typeEPNSM_ISH_E10value_typeEPSI_NS1_7vsmem_tEENKUlT_SG_SH_SI_E_clIS7_S7_SB_PlEESF_SV_SG_SH_SI_EUlSV_E_NS1_11comp_targetILNS1_3genE10ELNS1_11target_archE1201ELNS1_3gpuE5ELNS1_3repE0EEENS1_48merge_mergepath_partition_config_static_selectorELNS0_4arch9wavefront6targetE1EEEvSH_
                                        ; -- End function
	.section	.AMDGPU.csdata,"",@progbits
; Kernel info:
; codeLenInByte = 0
; NumSgprs: 4
; NumVgprs: 0
; NumAgprs: 0
; TotalNumVgprs: 0
; ScratchSize: 0
; MemoryBound: 0
; FloatMode: 240
; IeeeMode: 1
; LDSByteSize: 0 bytes/workgroup (compile time only)
; SGPRBlocks: 0
; VGPRBlocks: 0
; NumSGPRsForWavesPerEU: 4
; NumVGPRsForWavesPerEU: 1
; AccumOffset: 4
; Occupancy: 8
; WaveLimiterHint : 0
; COMPUTE_PGM_RSRC2:SCRATCH_EN: 0
; COMPUTE_PGM_RSRC2:USER_SGPR: 6
; COMPUTE_PGM_RSRC2:TRAP_HANDLER: 0
; COMPUTE_PGM_RSRC2:TGID_X_EN: 1
; COMPUTE_PGM_RSRC2:TGID_Y_EN: 0
; COMPUTE_PGM_RSRC2:TGID_Z_EN: 0
; COMPUTE_PGM_RSRC2:TIDIG_COMP_CNT: 0
; COMPUTE_PGM_RSRC3_GFX90A:ACCUM_OFFSET: 0
; COMPUTE_PGM_RSRC3_GFX90A:TG_SPLIT: 0
	.section	.text._ZN7rocprim17ROCPRIM_400000_NS6detail17trampoline_kernelINS0_14default_configENS1_38merge_sort_block_merge_config_selectorIdlEEZZNS1_27merge_sort_block_merge_implIS3_PdN6thrust23THRUST_200600_302600_NS10device_ptrIlEEjNS1_19radix_merge_compareILb0ELb0EdNS0_19identity_decomposerEEEEE10hipError_tT0_T1_T2_jT3_P12ihipStream_tbPNSt15iterator_traitsISG_E10value_typeEPNSM_ISH_E10value_typeEPSI_NS1_7vsmem_tEENKUlT_SG_SH_SI_E_clIS7_S7_SB_PlEESF_SV_SG_SH_SI_EUlSV_E_NS1_11comp_targetILNS1_3genE5ELNS1_11target_archE942ELNS1_3gpuE9ELNS1_3repE0EEENS1_48merge_mergepath_partition_config_static_selectorELNS0_4arch9wavefront6targetE1EEEvSH_,"axG",@progbits,_ZN7rocprim17ROCPRIM_400000_NS6detail17trampoline_kernelINS0_14default_configENS1_38merge_sort_block_merge_config_selectorIdlEEZZNS1_27merge_sort_block_merge_implIS3_PdN6thrust23THRUST_200600_302600_NS10device_ptrIlEEjNS1_19radix_merge_compareILb0ELb0EdNS0_19identity_decomposerEEEEE10hipError_tT0_T1_T2_jT3_P12ihipStream_tbPNSt15iterator_traitsISG_E10value_typeEPNSM_ISH_E10value_typeEPSI_NS1_7vsmem_tEENKUlT_SG_SH_SI_E_clIS7_S7_SB_PlEESF_SV_SG_SH_SI_EUlSV_E_NS1_11comp_targetILNS1_3genE5ELNS1_11target_archE942ELNS1_3gpuE9ELNS1_3repE0EEENS1_48merge_mergepath_partition_config_static_selectorELNS0_4arch9wavefront6targetE1EEEvSH_,comdat
	.protected	_ZN7rocprim17ROCPRIM_400000_NS6detail17trampoline_kernelINS0_14default_configENS1_38merge_sort_block_merge_config_selectorIdlEEZZNS1_27merge_sort_block_merge_implIS3_PdN6thrust23THRUST_200600_302600_NS10device_ptrIlEEjNS1_19radix_merge_compareILb0ELb0EdNS0_19identity_decomposerEEEEE10hipError_tT0_T1_T2_jT3_P12ihipStream_tbPNSt15iterator_traitsISG_E10value_typeEPNSM_ISH_E10value_typeEPSI_NS1_7vsmem_tEENKUlT_SG_SH_SI_E_clIS7_S7_SB_PlEESF_SV_SG_SH_SI_EUlSV_E_NS1_11comp_targetILNS1_3genE5ELNS1_11target_archE942ELNS1_3gpuE9ELNS1_3repE0EEENS1_48merge_mergepath_partition_config_static_selectorELNS0_4arch9wavefront6targetE1EEEvSH_ ; -- Begin function _ZN7rocprim17ROCPRIM_400000_NS6detail17trampoline_kernelINS0_14default_configENS1_38merge_sort_block_merge_config_selectorIdlEEZZNS1_27merge_sort_block_merge_implIS3_PdN6thrust23THRUST_200600_302600_NS10device_ptrIlEEjNS1_19radix_merge_compareILb0ELb0EdNS0_19identity_decomposerEEEEE10hipError_tT0_T1_T2_jT3_P12ihipStream_tbPNSt15iterator_traitsISG_E10value_typeEPNSM_ISH_E10value_typeEPSI_NS1_7vsmem_tEENKUlT_SG_SH_SI_E_clIS7_S7_SB_PlEESF_SV_SG_SH_SI_EUlSV_E_NS1_11comp_targetILNS1_3genE5ELNS1_11target_archE942ELNS1_3gpuE9ELNS1_3repE0EEENS1_48merge_mergepath_partition_config_static_selectorELNS0_4arch9wavefront6targetE1EEEvSH_
	.globl	_ZN7rocprim17ROCPRIM_400000_NS6detail17trampoline_kernelINS0_14default_configENS1_38merge_sort_block_merge_config_selectorIdlEEZZNS1_27merge_sort_block_merge_implIS3_PdN6thrust23THRUST_200600_302600_NS10device_ptrIlEEjNS1_19radix_merge_compareILb0ELb0EdNS0_19identity_decomposerEEEEE10hipError_tT0_T1_T2_jT3_P12ihipStream_tbPNSt15iterator_traitsISG_E10value_typeEPNSM_ISH_E10value_typeEPSI_NS1_7vsmem_tEENKUlT_SG_SH_SI_E_clIS7_S7_SB_PlEESF_SV_SG_SH_SI_EUlSV_E_NS1_11comp_targetILNS1_3genE5ELNS1_11target_archE942ELNS1_3gpuE9ELNS1_3repE0EEENS1_48merge_mergepath_partition_config_static_selectorELNS0_4arch9wavefront6targetE1EEEvSH_
	.p2align	8
	.type	_ZN7rocprim17ROCPRIM_400000_NS6detail17trampoline_kernelINS0_14default_configENS1_38merge_sort_block_merge_config_selectorIdlEEZZNS1_27merge_sort_block_merge_implIS3_PdN6thrust23THRUST_200600_302600_NS10device_ptrIlEEjNS1_19radix_merge_compareILb0ELb0EdNS0_19identity_decomposerEEEEE10hipError_tT0_T1_T2_jT3_P12ihipStream_tbPNSt15iterator_traitsISG_E10value_typeEPNSM_ISH_E10value_typeEPSI_NS1_7vsmem_tEENKUlT_SG_SH_SI_E_clIS7_S7_SB_PlEESF_SV_SG_SH_SI_EUlSV_E_NS1_11comp_targetILNS1_3genE5ELNS1_11target_archE942ELNS1_3gpuE9ELNS1_3repE0EEENS1_48merge_mergepath_partition_config_static_selectorELNS0_4arch9wavefront6targetE1EEEvSH_,@function
_ZN7rocprim17ROCPRIM_400000_NS6detail17trampoline_kernelINS0_14default_configENS1_38merge_sort_block_merge_config_selectorIdlEEZZNS1_27merge_sort_block_merge_implIS3_PdN6thrust23THRUST_200600_302600_NS10device_ptrIlEEjNS1_19radix_merge_compareILb0ELb0EdNS0_19identity_decomposerEEEEE10hipError_tT0_T1_T2_jT3_P12ihipStream_tbPNSt15iterator_traitsISG_E10value_typeEPNSM_ISH_E10value_typeEPSI_NS1_7vsmem_tEENKUlT_SG_SH_SI_E_clIS7_S7_SB_PlEESF_SV_SG_SH_SI_EUlSV_E_NS1_11comp_targetILNS1_3genE5ELNS1_11target_archE942ELNS1_3gpuE9ELNS1_3repE0EEENS1_48merge_mergepath_partition_config_static_selectorELNS0_4arch9wavefront6targetE1EEEvSH_: ; @_ZN7rocprim17ROCPRIM_400000_NS6detail17trampoline_kernelINS0_14default_configENS1_38merge_sort_block_merge_config_selectorIdlEEZZNS1_27merge_sort_block_merge_implIS3_PdN6thrust23THRUST_200600_302600_NS10device_ptrIlEEjNS1_19radix_merge_compareILb0ELb0EdNS0_19identity_decomposerEEEEE10hipError_tT0_T1_T2_jT3_P12ihipStream_tbPNSt15iterator_traitsISG_E10value_typeEPNSM_ISH_E10value_typeEPSI_NS1_7vsmem_tEENKUlT_SG_SH_SI_E_clIS7_S7_SB_PlEESF_SV_SG_SH_SI_EUlSV_E_NS1_11comp_targetILNS1_3genE5ELNS1_11target_archE942ELNS1_3gpuE9ELNS1_3repE0EEENS1_48merge_mergepath_partition_config_static_selectorELNS0_4arch9wavefront6targetE1EEEvSH_
; %bb.0:
	.section	.rodata,"a",@progbits
	.p2align	6, 0x0
	.amdhsa_kernel _ZN7rocprim17ROCPRIM_400000_NS6detail17trampoline_kernelINS0_14default_configENS1_38merge_sort_block_merge_config_selectorIdlEEZZNS1_27merge_sort_block_merge_implIS3_PdN6thrust23THRUST_200600_302600_NS10device_ptrIlEEjNS1_19radix_merge_compareILb0ELb0EdNS0_19identity_decomposerEEEEE10hipError_tT0_T1_T2_jT3_P12ihipStream_tbPNSt15iterator_traitsISG_E10value_typeEPNSM_ISH_E10value_typeEPSI_NS1_7vsmem_tEENKUlT_SG_SH_SI_E_clIS7_S7_SB_PlEESF_SV_SG_SH_SI_EUlSV_E_NS1_11comp_targetILNS1_3genE5ELNS1_11target_archE942ELNS1_3gpuE9ELNS1_3repE0EEENS1_48merge_mergepath_partition_config_static_selectorELNS0_4arch9wavefront6targetE1EEEvSH_
		.amdhsa_group_segment_fixed_size 0
		.amdhsa_private_segment_fixed_size 0
		.amdhsa_kernarg_size 40
		.amdhsa_user_sgpr_count 6
		.amdhsa_user_sgpr_private_segment_buffer 1
		.amdhsa_user_sgpr_dispatch_ptr 0
		.amdhsa_user_sgpr_queue_ptr 0
		.amdhsa_user_sgpr_kernarg_segment_ptr 1
		.amdhsa_user_sgpr_dispatch_id 0
		.amdhsa_user_sgpr_flat_scratch_init 0
		.amdhsa_user_sgpr_kernarg_preload_length 0
		.amdhsa_user_sgpr_kernarg_preload_offset 0
		.amdhsa_user_sgpr_private_segment_size 0
		.amdhsa_uses_dynamic_stack 0
		.amdhsa_system_sgpr_private_segment_wavefront_offset 0
		.amdhsa_system_sgpr_workgroup_id_x 1
		.amdhsa_system_sgpr_workgroup_id_y 0
		.amdhsa_system_sgpr_workgroup_id_z 0
		.amdhsa_system_sgpr_workgroup_info 0
		.amdhsa_system_vgpr_workitem_id 0
		.amdhsa_next_free_vgpr 1
		.amdhsa_next_free_sgpr 0
		.amdhsa_accum_offset 4
		.amdhsa_reserve_vcc 0
		.amdhsa_reserve_flat_scratch 0
		.amdhsa_float_round_mode_32 0
		.amdhsa_float_round_mode_16_64 0
		.amdhsa_float_denorm_mode_32 3
		.amdhsa_float_denorm_mode_16_64 3
		.amdhsa_dx10_clamp 1
		.amdhsa_ieee_mode 1
		.amdhsa_fp16_overflow 0
		.amdhsa_tg_split 0
		.amdhsa_exception_fp_ieee_invalid_op 0
		.amdhsa_exception_fp_denorm_src 0
		.amdhsa_exception_fp_ieee_div_zero 0
		.amdhsa_exception_fp_ieee_overflow 0
		.amdhsa_exception_fp_ieee_underflow 0
		.amdhsa_exception_fp_ieee_inexact 0
		.amdhsa_exception_int_div_zero 0
	.end_amdhsa_kernel
	.section	.text._ZN7rocprim17ROCPRIM_400000_NS6detail17trampoline_kernelINS0_14default_configENS1_38merge_sort_block_merge_config_selectorIdlEEZZNS1_27merge_sort_block_merge_implIS3_PdN6thrust23THRUST_200600_302600_NS10device_ptrIlEEjNS1_19radix_merge_compareILb0ELb0EdNS0_19identity_decomposerEEEEE10hipError_tT0_T1_T2_jT3_P12ihipStream_tbPNSt15iterator_traitsISG_E10value_typeEPNSM_ISH_E10value_typeEPSI_NS1_7vsmem_tEENKUlT_SG_SH_SI_E_clIS7_S7_SB_PlEESF_SV_SG_SH_SI_EUlSV_E_NS1_11comp_targetILNS1_3genE5ELNS1_11target_archE942ELNS1_3gpuE9ELNS1_3repE0EEENS1_48merge_mergepath_partition_config_static_selectorELNS0_4arch9wavefront6targetE1EEEvSH_,"axG",@progbits,_ZN7rocprim17ROCPRIM_400000_NS6detail17trampoline_kernelINS0_14default_configENS1_38merge_sort_block_merge_config_selectorIdlEEZZNS1_27merge_sort_block_merge_implIS3_PdN6thrust23THRUST_200600_302600_NS10device_ptrIlEEjNS1_19radix_merge_compareILb0ELb0EdNS0_19identity_decomposerEEEEE10hipError_tT0_T1_T2_jT3_P12ihipStream_tbPNSt15iterator_traitsISG_E10value_typeEPNSM_ISH_E10value_typeEPSI_NS1_7vsmem_tEENKUlT_SG_SH_SI_E_clIS7_S7_SB_PlEESF_SV_SG_SH_SI_EUlSV_E_NS1_11comp_targetILNS1_3genE5ELNS1_11target_archE942ELNS1_3gpuE9ELNS1_3repE0EEENS1_48merge_mergepath_partition_config_static_selectorELNS0_4arch9wavefront6targetE1EEEvSH_,comdat
.Lfunc_end1568:
	.size	_ZN7rocprim17ROCPRIM_400000_NS6detail17trampoline_kernelINS0_14default_configENS1_38merge_sort_block_merge_config_selectorIdlEEZZNS1_27merge_sort_block_merge_implIS3_PdN6thrust23THRUST_200600_302600_NS10device_ptrIlEEjNS1_19radix_merge_compareILb0ELb0EdNS0_19identity_decomposerEEEEE10hipError_tT0_T1_T2_jT3_P12ihipStream_tbPNSt15iterator_traitsISG_E10value_typeEPNSM_ISH_E10value_typeEPSI_NS1_7vsmem_tEENKUlT_SG_SH_SI_E_clIS7_S7_SB_PlEESF_SV_SG_SH_SI_EUlSV_E_NS1_11comp_targetILNS1_3genE5ELNS1_11target_archE942ELNS1_3gpuE9ELNS1_3repE0EEENS1_48merge_mergepath_partition_config_static_selectorELNS0_4arch9wavefront6targetE1EEEvSH_, .Lfunc_end1568-_ZN7rocprim17ROCPRIM_400000_NS6detail17trampoline_kernelINS0_14default_configENS1_38merge_sort_block_merge_config_selectorIdlEEZZNS1_27merge_sort_block_merge_implIS3_PdN6thrust23THRUST_200600_302600_NS10device_ptrIlEEjNS1_19radix_merge_compareILb0ELb0EdNS0_19identity_decomposerEEEEE10hipError_tT0_T1_T2_jT3_P12ihipStream_tbPNSt15iterator_traitsISG_E10value_typeEPNSM_ISH_E10value_typeEPSI_NS1_7vsmem_tEENKUlT_SG_SH_SI_E_clIS7_S7_SB_PlEESF_SV_SG_SH_SI_EUlSV_E_NS1_11comp_targetILNS1_3genE5ELNS1_11target_archE942ELNS1_3gpuE9ELNS1_3repE0EEENS1_48merge_mergepath_partition_config_static_selectorELNS0_4arch9wavefront6targetE1EEEvSH_
                                        ; -- End function
	.section	.AMDGPU.csdata,"",@progbits
; Kernel info:
; codeLenInByte = 0
; NumSgprs: 4
; NumVgprs: 0
; NumAgprs: 0
; TotalNumVgprs: 0
; ScratchSize: 0
; MemoryBound: 0
; FloatMode: 240
; IeeeMode: 1
; LDSByteSize: 0 bytes/workgroup (compile time only)
; SGPRBlocks: 0
; VGPRBlocks: 0
; NumSGPRsForWavesPerEU: 4
; NumVGPRsForWavesPerEU: 1
; AccumOffset: 4
; Occupancy: 8
; WaveLimiterHint : 0
; COMPUTE_PGM_RSRC2:SCRATCH_EN: 0
; COMPUTE_PGM_RSRC2:USER_SGPR: 6
; COMPUTE_PGM_RSRC2:TRAP_HANDLER: 0
; COMPUTE_PGM_RSRC2:TGID_X_EN: 1
; COMPUTE_PGM_RSRC2:TGID_Y_EN: 0
; COMPUTE_PGM_RSRC2:TGID_Z_EN: 0
; COMPUTE_PGM_RSRC2:TIDIG_COMP_CNT: 0
; COMPUTE_PGM_RSRC3_GFX90A:ACCUM_OFFSET: 0
; COMPUTE_PGM_RSRC3_GFX90A:TG_SPLIT: 0
	.section	.text._ZN7rocprim17ROCPRIM_400000_NS6detail17trampoline_kernelINS0_14default_configENS1_38merge_sort_block_merge_config_selectorIdlEEZZNS1_27merge_sort_block_merge_implIS3_PdN6thrust23THRUST_200600_302600_NS10device_ptrIlEEjNS1_19radix_merge_compareILb0ELb0EdNS0_19identity_decomposerEEEEE10hipError_tT0_T1_T2_jT3_P12ihipStream_tbPNSt15iterator_traitsISG_E10value_typeEPNSM_ISH_E10value_typeEPSI_NS1_7vsmem_tEENKUlT_SG_SH_SI_E_clIS7_S7_SB_PlEESF_SV_SG_SH_SI_EUlSV_E_NS1_11comp_targetILNS1_3genE4ELNS1_11target_archE910ELNS1_3gpuE8ELNS1_3repE0EEENS1_48merge_mergepath_partition_config_static_selectorELNS0_4arch9wavefront6targetE1EEEvSH_,"axG",@progbits,_ZN7rocprim17ROCPRIM_400000_NS6detail17trampoline_kernelINS0_14default_configENS1_38merge_sort_block_merge_config_selectorIdlEEZZNS1_27merge_sort_block_merge_implIS3_PdN6thrust23THRUST_200600_302600_NS10device_ptrIlEEjNS1_19radix_merge_compareILb0ELb0EdNS0_19identity_decomposerEEEEE10hipError_tT0_T1_T2_jT3_P12ihipStream_tbPNSt15iterator_traitsISG_E10value_typeEPNSM_ISH_E10value_typeEPSI_NS1_7vsmem_tEENKUlT_SG_SH_SI_E_clIS7_S7_SB_PlEESF_SV_SG_SH_SI_EUlSV_E_NS1_11comp_targetILNS1_3genE4ELNS1_11target_archE910ELNS1_3gpuE8ELNS1_3repE0EEENS1_48merge_mergepath_partition_config_static_selectorELNS0_4arch9wavefront6targetE1EEEvSH_,comdat
	.protected	_ZN7rocprim17ROCPRIM_400000_NS6detail17trampoline_kernelINS0_14default_configENS1_38merge_sort_block_merge_config_selectorIdlEEZZNS1_27merge_sort_block_merge_implIS3_PdN6thrust23THRUST_200600_302600_NS10device_ptrIlEEjNS1_19radix_merge_compareILb0ELb0EdNS0_19identity_decomposerEEEEE10hipError_tT0_T1_T2_jT3_P12ihipStream_tbPNSt15iterator_traitsISG_E10value_typeEPNSM_ISH_E10value_typeEPSI_NS1_7vsmem_tEENKUlT_SG_SH_SI_E_clIS7_S7_SB_PlEESF_SV_SG_SH_SI_EUlSV_E_NS1_11comp_targetILNS1_3genE4ELNS1_11target_archE910ELNS1_3gpuE8ELNS1_3repE0EEENS1_48merge_mergepath_partition_config_static_selectorELNS0_4arch9wavefront6targetE1EEEvSH_ ; -- Begin function _ZN7rocprim17ROCPRIM_400000_NS6detail17trampoline_kernelINS0_14default_configENS1_38merge_sort_block_merge_config_selectorIdlEEZZNS1_27merge_sort_block_merge_implIS3_PdN6thrust23THRUST_200600_302600_NS10device_ptrIlEEjNS1_19radix_merge_compareILb0ELb0EdNS0_19identity_decomposerEEEEE10hipError_tT0_T1_T2_jT3_P12ihipStream_tbPNSt15iterator_traitsISG_E10value_typeEPNSM_ISH_E10value_typeEPSI_NS1_7vsmem_tEENKUlT_SG_SH_SI_E_clIS7_S7_SB_PlEESF_SV_SG_SH_SI_EUlSV_E_NS1_11comp_targetILNS1_3genE4ELNS1_11target_archE910ELNS1_3gpuE8ELNS1_3repE0EEENS1_48merge_mergepath_partition_config_static_selectorELNS0_4arch9wavefront6targetE1EEEvSH_
	.globl	_ZN7rocprim17ROCPRIM_400000_NS6detail17trampoline_kernelINS0_14default_configENS1_38merge_sort_block_merge_config_selectorIdlEEZZNS1_27merge_sort_block_merge_implIS3_PdN6thrust23THRUST_200600_302600_NS10device_ptrIlEEjNS1_19radix_merge_compareILb0ELb0EdNS0_19identity_decomposerEEEEE10hipError_tT0_T1_T2_jT3_P12ihipStream_tbPNSt15iterator_traitsISG_E10value_typeEPNSM_ISH_E10value_typeEPSI_NS1_7vsmem_tEENKUlT_SG_SH_SI_E_clIS7_S7_SB_PlEESF_SV_SG_SH_SI_EUlSV_E_NS1_11comp_targetILNS1_3genE4ELNS1_11target_archE910ELNS1_3gpuE8ELNS1_3repE0EEENS1_48merge_mergepath_partition_config_static_selectorELNS0_4arch9wavefront6targetE1EEEvSH_
	.p2align	8
	.type	_ZN7rocprim17ROCPRIM_400000_NS6detail17trampoline_kernelINS0_14default_configENS1_38merge_sort_block_merge_config_selectorIdlEEZZNS1_27merge_sort_block_merge_implIS3_PdN6thrust23THRUST_200600_302600_NS10device_ptrIlEEjNS1_19radix_merge_compareILb0ELb0EdNS0_19identity_decomposerEEEEE10hipError_tT0_T1_T2_jT3_P12ihipStream_tbPNSt15iterator_traitsISG_E10value_typeEPNSM_ISH_E10value_typeEPSI_NS1_7vsmem_tEENKUlT_SG_SH_SI_E_clIS7_S7_SB_PlEESF_SV_SG_SH_SI_EUlSV_E_NS1_11comp_targetILNS1_3genE4ELNS1_11target_archE910ELNS1_3gpuE8ELNS1_3repE0EEENS1_48merge_mergepath_partition_config_static_selectorELNS0_4arch9wavefront6targetE1EEEvSH_,@function
_ZN7rocprim17ROCPRIM_400000_NS6detail17trampoline_kernelINS0_14default_configENS1_38merge_sort_block_merge_config_selectorIdlEEZZNS1_27merge_sort_block_merge_implIS3_PdN6thrust23THRUST_200600_302600_NS10device_ptrIlEEjNS1_19radix_merge_compareILb0ELb0EdNS0_19identity_decomposerEEEEE10hipError_tT0_T1_T2_jT3_P12ihipStream_tbPNSt15iterator_traitsISG_E10value_typeEPNSM_ISH_E10value_typeEPSI_NS1_7vsmem_tEENKUlT_SG_SH_SI_E_clIS7_S7_SB_PlEESF_SV_SG_SH_SI_EUlSV_E_NS1_11comp_targetILNS1_3genE4ELNS1_11target_archE910ELNS1_3gpuE8ELNS1_3repE0EEENS1_48merge_mergepath_partition_config_static_selectorELNS0_4arch9wavefront6targetE1EEEvSH_: ; @_ZN7rocprim17ROCPRIM_400000_NS6detail17trampoline_kernelINS0_14default_configENS1_38merge_sort_block_merge_config_selectorIdlEEZZNS1_27merge_sort_block_merge_implIS3_PdN6thrust23THRUST_200600_302600_NS10device_ptrIlEEjNS1_19radix_merge_compareILb0ELb0EdNS0_19identity_decomposerEEEEE10hipError_tT0_T1_T2_jT3_P12ihipStream_tbPNSt15iterator_traitsISG_E10value_typeEPNSM_ISH_E10value_typeEPSI_NS1_7vsmem_tEENKUlT_SG_SH_SI_E_clIS7_S7_SB_PlEESF_SV_SG_SH_SI_EUlSV_E_NS1_11comp_targetILNS1_3genE4ELNS1_11target_archE910ELNS1_3gpuE8ELNS1_3repE0EEENS1_48merge_mergepath_partition_config_static_selectorELNS0_4arch9wavefront6targetE1EEEvSH_
; %bb.0:
	s_load_dword s0, s[4:5], 0x0
	v_lshl_or_b32 v0, s6, 7, v0
	s_waitcnt lgkmcnt(0)
	v_cmp_gt_u32_e32 vcc, s0, v0
	s_and_saveexec_b64 s[0:1], vcc
	s_cbranch_execz .LBB1569_6
; %bb.1:
	s_load_dwordx2 s[2:3], s[4:5], 0x4
	s_load_dwordx2 s[0:1], s[4:5], 0x20
	s_waitcnt lgkmcnt(0)
	s_lshr_b32 s6, s2, 9
	s_and_b32 s6, s6, 0x7ffffe
	s_add_i32 s7, s6, -1
	s_sub_i32 s6, 0, s6
	v_and_b32_e32 v1, s6, v0
	v_lshlrev_b32_e32 v1, 10, v1
	v_min_u32_e32 v2, s3, v1
	v_add_u32_e32 v1, s2, v1
	v_min_u32_e32 v4, s3, v1
	v_add_u32_e32 v1, s2, v4
	v_and_b32_e32 v3, s7, v0
	v_min_u32_e32 v1, s3, v1
	v_sub_u32_e32 v5, v1, v2
	v_lshlrev_b32_e32 v3, 10, v3
	v_min_u32_e32 v6, v5, v3
	v_sub_u32_e32 v3, v4, v2
	v_sub_u32_e32 v1, v1, v4
	v_sub_u32_e64 v1, v6, v1 clamp
	v_min_u32_e32 v7, v6, v3
	v_cmp_lt_u32_e32 vcc, v1, v7
	s_and_saveexec_b64 s[2:3], vcc
	s_cbranch_execz .LBB1569_5
; %bb.2:
	s_load_dwordx2 s[4:5], s[4:5], 0x10
	v_mov_b32_e32 v5, 0
	v_mov_b32_e32 v3, v5
	v_lshlrev_b64 v[8:9], 3, v[2:3]
	v_lshlrev_b64 v[10:11], 3, v[4:5]
	s_waitcnt lgkmcnt(0)
	v_mov_b32_e32 v12, s5
	v_add_co_u32_e32 v3, vcc, s4, v8
	v_addc_co_u32_e32 v8, vcc, v12, v9, vcc
	v_add_co_u32_e32 v9, vcc, s4, v10
	v_addc_co_u32_e32 v10, vcc, v12, v11, vcc
	s_mov_b64 s[4:5], 0
.LBB1569_3:                             ; =>This Inner Loop Header: Depth=1
	v_add_u32_e32 v4, v7, v1
	v_lshrrev_b32_e32 v4, 1, v4
	v_lshlrev_b64 v[14:15], 3, v[4:5]
	v_mov_b32_e32 v13, v5
	v_xad_u32 v12, v4, -1, v6
	v_add_co_u32_e32 v14, vcc, v3, v14
	v_addc_co_u32_e32 v15, vcc, v8, v15, vcc
	v_lshlrev_b64 v[12:13], 3, v[12:13]
	v_add_co_u32_e32 v12, vcc, v9, v12
	v_addc_co_u32_e32 v13, vcc, v10, v13, vcc
	global_load_dwordx2 v[16:17], v[14:15], off
	global_load_dwordx2 v[18:19], v[12:13], off
	v_add_u32_e32 v11, 1, v4
	s_waitcnt vmcnt(1)
	v_add_f64 v[12:13], v[16:17], 0
	s_waitcnt vmcnt(0)
	v_add_f64 v[14:15], v[18:19], 0
	v_ashrrev_i32_e32 v16, 31, v13
	v_or_b32_e32 v17, 0x80000000, v16
	v_xor_b32_e32 v12, v16, v12
	v_ashrrev_i32_e32 v16, 31, v15
	v_xor_b32_e32 v13, v17, v13
	v_or_b32_e32 v17, 0x80000000, v16
	v_xor_b32_e32 v14, v16, v14
	v_xor_b32_e32 v15, v17, v15
	v_cmp_gt_u64_e32 vcc, v[12:13], v[14:15]
	v_cndmask_b32_e32 v7, v7, v4, vcc
	v_cndmask_b32_e32 v1, v11, v1, vcc
	v_cmp_ge_u32_e32 vcc, v1, v7
	s_or_b64 s[4:5], vcc, s[4:5]
	s_andn2_b64 exec, exec, s[4:5]
	s_cbranch_execnz .LBB1569_3
; %bb.4:
	s_or_b64 exec, exec, s[4:5]
.LBB1569_5:
	s_or_b64 exec, exec, s[2:3]
	v_add_u32_e32 v2, v1, v2
	v_mov_b32_e32 v1, 0
	v_lshlrev_b64 v[0:1], 2, v[0:1]
	v_mov_b32_e32 v3, s1
	v_add_co_u32_e32 v0, vcc, s0, v0
	v_addc_co_u32_e32 v1, vcc, v3, v1, vcc
	global_store_dword v[0:1], v2, off
.LBB1569_6:
	s_endpgm
	.section	.rodata,"a",@progbits
	.p2align	6, 0x0
	.amdhsa_kernel _ZN7rocprim17ROCPRIM_400000_NS6detail17trampoline_kernelINS0_14default_configENS1_38merge_sort_block_merge_config_selectorIdlEEZZNS1_27merge_sort_block_merge_implIS3_PdN6thrust23THRUST_200600_302600_NS10device_ptrIlEEjNS1_19radix_merge_compareILb0ELb0EdNS0_19identity_decomposerEEEEE10hipError_tT0_T1_T2_jT3_P12ihipStream_tbPNSt15iterator_traitsISG_E10value_typeEPNSM_ISH_E10value_typeEPSI_NS1_7vsmem_tEENKUlT_SG_SH_SI_E_clIS7_S7_SB_PlEESF_SV_SG_SH_SI_EUlSV_E_NS1_11comp_targetILNS1_3genE4ELNS1_11target_archE910ELNS1_3gpuE8ELNS1_3repE0EEENS1_48merge_mergepath_partition_config_static_selectorELNS0_4arch9wavefront6targetE1EEEvSH_
		.amdhsa_group_segment_fixed_size 0
		.amdhsa_private_segment_fixed_size 0
		.amdhsa_kernarg_size 40
		.amdhsa_user_sgpr_count 6
		.amdhsa_user_sgpr_private_segment_buffer 1
		.amdhsa_user_sgpr_dispatch_ptr 0
		.amdhsa_user_sgpr_queue_ptr 0
		.amdhsa_user_sgpr_kernarg_segment_ptr 1
		.amdhsa_user_sgpr_dispatch_id 0
		.amdhsa_user_sgpr_flat_scratch_init 0
		.amdhsa_user_sgpr_kernarg_preload_length 0
		.amdhsa_user_sgpr_kernarg_preload_offset 0
		.amdhsa_user_sgpr_private_segment_size 0
		.amdhsa_uses_dynamic_stack 0
		.amdhsa_system_sgpr_private_segment_wavefront_offset 0
		.amdhsa_system_sgpr_workgroup_id_x 1
		.amdhsa_system_sgpr_workgroup_id_y 0
		.amdhsa_system_sgpr_workgroup_id_z 0
		.amdhsa_system_sgpr_workgroup_info 0
		.amdhsa_system_vgpr_workitem_id 0
		.amdhsa_next_free_vgpr 20
		.amdhsa_next_free_sgpr 8
		.amdhsa_accum_offset 20
		.amdhsa_reserve_vcc 1
		.amdhsa_reserve_flat_scratch 0
		.amdhsa_float_round_mode_32 0
		.amdhsa_float_round_mode_16_64 0
		.amdhsa_float_denorm_mode_32 3
		.amdhsa_float_denorm_mode_16_64 3
		.amdhsa_dx10_clamp 1
		.amdhsa_ieee_mode 1
		.amdhsa_fp16_overflow 0
		.amdhsa_tg_split 0
		.amdhsa_exception_fp_ieee_invalid_op 0
		.amdhsa_exception_fp_denorm_src 0
		.amdhsa_exception_fp_ieee_div_zero 0
		.amdhsa_exception_fp_ieee_overflow 0
		.amdhsa_exception_fp_ieee_underflow 0
		.amdhsa_exception_fp_ieee_inexact 0
		.amdhsa_exception_int_div_zero 0
	.end_amdhsa_kernel
	.section	.text._ZN7rocprim17ROCPRIM_400000_NS6detail17trampoline_kernelINS0_14default_configENS1_38merge_sort_block_merge_config_selectorIdlEEZZNS1_27merge_sort_block_merge_implIS3_PdN6thrust23THRUST_200600_302600_NS10device_ptrIlEEjNS1_19radix_merge_compareILb0ELb0EdNS0_19identity_decomposerEEEEE10hipError_tT0_T1_T2_jT3_P12ihipStream_tbPNSt15iterator_traitsISG_E10value_typeEPNSM_ISH_E10value_typeEPSI_NS1_7vsmem_tEENKUlT_SG_SH_SI_E_clIS7_S7_SB_PlEESF_SV_SG_SH_SI_EUlSV_E_NS1_11comp_targetILNS1_3genE4ELNS1_11target_archE910ELNS1_3gpuE8ELNS1_3repE0EEENS1_48merge_mergepath_partition_config_static_selectorELNS0_4arch9wavefront6targetE1EEEvSH_,"axG",@progbits,_ZN7rocprim17ROCPRIM_400000_NS6detail17trampoline_kernelINS0_14default_configENS1_38merge_sort_block_merge_config_selectorIdlEEZZNS1_27merge_sort_block_merge_implIS3_PdN6thrust23THRUST_200600_302600_NS10device_ptrIlEEjNS1_19radix_merge_compareILb0ELb0EdNS0_19identity_decomposerEEEEE10hipError_tT0_T1_T2_jT3_P12ihipStream_tbPNSt15iterator_traitsISG_E10value_typeEPNSM_ISH_E10value_typeEPSI_NS1_7vsmem_tEENKUlT_SG_SH_SI_E_clIS7_S7_SB_PlEESF_SV_SG_SH_SI_EUlSV_E_NS1_11comp_targetILNS1_3genE4ELNS1_11target_archE910ELNS1_3gpuE8ELNS1_3repE0EEENS1_48merge_mergepath_partition_config_static_selectorELNS0_4arch9wavefront6targetE1EEEvSH_,comdat
.Lfunc_end1569:
	.size	_ZN7rocprim17ROCPRIM_400000_NS6detail17trampoline_kernelINS0_14default_configENS1_38merge_sort_block_merge_config_selectorIdlEEZZNS1_27merge_sort_block_merge_implIS3_PdN6thrust23THRUST_200600_302600_NS10device_ptrIlEEjNS1_19radix_merge_compareILb0ELb0EdNS0_19identity_decomposerEEEEE10hipError_tT0_T1_T2_jT3_P12ihipStream_tbPNSt15iterator_traitsISG_E10value_typeEPNSM_ISH_E10value_typeEPSI_NS1_7vsmem_tEENKUlT_SG_SH_SI_E_clIS7_S7_SB_PlEESF_SV_SG_SH_SI_EUlSV_E_NS1_11comp_targetILNS1_3genE4ELNS1_11target_archE910ELNS1_3gpuE8ELNS1_3repE0EEENS1_48merge_mergepath_partition_config_static_selectorELNS0_4arch9wavefront6targetE1EEEvSH_, .Lfunc_end1569-_ZN7rocprim17ROCPRIM_400000_NS6detail17trampoline_kernelINS0_14default_configENS1_38merge_sort_block_merge_config_selectorIdlEEZZNS1_27merge_sort_block_merge_implIS3_PdN6thrust23THRUST_200600_302600_NS10device_ptrIlEEjNS1_19radix_merge_compareILb0ELb0EdNS0_19identity_decomposerEEEEE10hipError_tT0_T1_T2_jT3_P12ihipStream_tbPNSt15iterator_traitsISG_E10value_typeEPNSM_ISH_E10value_typeEPSI_NS1_7vsmem_tEENKUlT_SG_SH_SI_E_clIS7_S7_SB_PlEESF_SV_SG_SH_SI_EUlSV_E_NS1_11comp_targetILNS1_3genE4ELNS1_11target_archE910ELNS1_3gpuE8ELNS1_3repE0EEENS1_48merge_mergepath_partition_config_static_selectorELNS0_4arch9wavefront6targetE1EEEvSH_
                                        ; -- End function
	.section	.AMDGPU.csdata,"",@progbits
; Kernel info:
; codeLenInByte = 420
; NumSgprs: 12
; NumVgprs: 20
; NumAgprs: 0
; TotalNumVgprs: 20
; ScratchSize: 0
; MemoryBound: 0
; FloatMode: 240
; IeeeMode: 1
; LDSByteSize: 0 bytes/workgroup (compile time only)
; SGPRBlocks: 1
; VGPRBlocks: 2
; NumSGPRsForWavesPerEU: 12
; NumVGPRsForWavesPerEU: 20
; AccumOffset: 20
; Occupancy: 8
; WaveLimiterHint : 0
; COMPUTE_PGM_RSRC2:SCRATCH_EN: 0
; COMPUTE_PGM_RSRC2:USER_SGPR: 6
; COMPUTE_PGM_RSRC2:TRAP_HANDLER: 0
; COMPUTE_PGM_RSRC2:TGID_X_EN: 1
; COMPUTE_PGM_RSRC2:TGID_Y_EN: 0
; COMPUTE_PGM_RSRC2:TGID_Z_EN: 0
; COMPUTE_PGM_RSRC2:TIDIG_COMP_CNT: 0
; COMPUTE_PGM_RSRC3_GFX90A:ACCUM_OFFSET: 4
; COMPUTE_PGM_RSRC3_GFX90A:TG_SPLIT: 0
	.section	.text._ZN7rocprim17ROCPRIM_400000_NS6detail17trampoline_kernelINS0_14default_configENS1_38merge_sort_block_merge_config_selectorIdlEEZZNS1_27merge_sort_block_merge_implIS3_PdN6thrust23THRUST_200600_302600_NS10device_ptrIlEEjNS1_19radix_merge_compareILb0ELb0EdNS0_19identity_decomposerEEEEE10hipError_tT0_T1_T2_jT3_P12ihipStream_tbPNSt15iterator_traitsISG_E10value_typeEPNSM_ISH_E10value_typeEPSI_NS1_7vsmem_tEENKUlT_SG_SH_SI_E_clIS7_S7_SB_PlEESF_SV_SG_SH_SI_EUlSV_E_NS1_11comp_targetILNS1_3genE3ELNS1_11target_archE908ELNS1_3gpuE7ELNS1_3repE0EEENS1_48merge_mergepath_partition_config_static_selectorELNS0_4arch9wavefront6targetE1EEEvSH_,"axG",@progbits,_ZN7rocprim17ROCPRIM_400000_NS6detail17trampoline_kernelINS0_14default_configENS1_38merge_sort_block_merge_config_selectorIdlEEZZNS1_27merge_sort_block_merge_implIS3_PdN6thrust23THRUST_200600_302600_NS10device_ptrIlEEjNS1_19radix_merge_compareILb0ELb0EdNS0_19identity_decomposerEEEEE10hipError_tT0_T1_T2_jT3_P12ihipStream_tbPNSt15iterator_traitsISG_E10value_typeEPNSM_ISH_E10value_typeEPSI_NS1_7vsmem_tEENKUlT_SG_SH_SI_E_clIS7_S7_SB_PlEESF_SV_SG_SH_SI_EUlSV_E_NS1_11comp_targetILNS1_3genE3ELNS1_11target_archE908ELNS1_3gpuE7ELNS1_3repE0EEENS1_48merge_mergepath_partition_config_static_selectorELNS0_4arch9wavefront6targetE1EEEvSH_,comdat
	.protected	_ZN7rocprim17ROCPRIM_400000_NS6detail17trampoline_kernelINS0_14default_configENS1_38merge_sort_block_merge_config_selectorIdlEEZZNS1_27merge_sort_block_merge_implIS3_PdN6thrust23THRUST_200600_302600_NS10device_ptrIlEEjNS1_19radix_merge_compareILb0ELb0EdNS0_19identity_decomposerEEEEE10hipError_tT0_T1_T2_jT3_P12ihipStream_tbPNSt15iterator_traitsISG_E10value_typeEPNSM_ISH_E10value_typeEPSI_NS1_7vsmem_tEENKUlT_SG_SH_SI_E_clIS7_S7_SB_PlEESF_SV_SG_SH_SI_EUlSV_E_NS1_11comp_targetILNS1_3genE3ELNS1_11target_archE908ELNS1_3gpuE7ELNS1_3repE0EEENS1_48merge_mergepath_partition_config_static_selectorELNS0_4arch9wavefront6targetE1EEEvSH_ ; -- Begin function _ZN7rocprim17ROCPRIM_400000_NS6detail17trampoline_kernelINS0_14default_configENS1_38merge_sort_block_merge_config_selectorIdlEEZZNS1_27merge_sort_block_merge_implIS3_PdN6thrust23THRUST_200600_302600_NS10device_ptrIlEEjNS1_19radix_merge_compareILb0ELb0EdNS0_19identity_decomposerEEEEE10hipError_tT0_T1_T2_jT3_P12ihipStream_tbPNSt15iterator_traitsISG_E10value_typeEPNSM_ISH_E10value_typeEPSI_NS1_7vsmem_tEENKUlT_SG_SH_SI_E_clIS7_S7_SB_PlEESF_SV_SG_SH_SI_EUlSV_E_NS1_11comp_targetILNS1_3genE3ELNS1_11target_archE908ELNS1_3gpuE7ELNS1_3repE0EEENS1_48merge_mergepath_partition_config_static_selectorELNS0_4arch9wavefront6targetE1EEEvSH_
	.globl	_ZN7rocprim17ROCPRIM_400000_NS6detail17trampoline_kernelINS0_14default_configENS1_38merge_sort_block_merge_config_selectorIdlEEZZNS1_27merge_sort_block_merge_implIS3_PdN6thrust23THRUST_200600_302600_NS10device_ptrIlEEjNS1_19radix_merge_compareILb0ELb0EdNS0_19identity_decomposerEEEEE10hipError_tT0_T1_T2_jT3_P12ihipStream_tbPNSt15iterator_traitsISG_E10value_typeEPNSM_ISH_E10value_typeEPSI_NS1_7vsmem_tEENKUlT_SG_SH_SI_E_clIS7_S7_SB_PlEESF_SV_SG_SH_SI_EUlSV_E_NS1_11comp_targetILNS1_3genE3ELNS1_11target_archE908ELNS1_3gpuE7ELNS1_3repE0EEENS1_48merge_mergepath_partition_config_static_selectorELNS0_4arch9wavefront6targetE1EEEvSH_
	.p2align	8
	.type	_ZN7rocprim17ROCPRIM_400000_NS6detail17trampoline_kernelINS0_14default_configENS1_38merge_sort_block_merge_config_selectorIdlEEZZNS1_27merge_sort_block_merge_implIS3_PdN6thrust23THRUST_200600_302600_NS10device_ptrIlEEjNS1_19radix_merge_compareILb0ELb0EdNS0_19identity_decomposerEEEEE10hipError_tT0_T1_T2_jT3_P12ihipStream_tbPNSt15iterator_traitsISG_E10value_typeEPNSM_ISH_E10value_typeEPSI_NS1_7vsmem_tEENKUlT_SG_SH_SI_E_clIS7_S7_SB_PlEESF_SV_SG_SH_SI_EUlSV_E_NS1_11comp_targetILNS1_3genE3ELNS1_11target_archE908ELNS1_3gpuE7ELNS1_3repE0EEENS1_48merge_mergepath_partition_config_static_selectorELNS0_4arch9wavefront6targetE1EEEvSH_,@function
_ZN7rocprim17ROCPRIM_400000_NS6detail17trampoline_kernelINS0_14default_configENS1_38merge_sort_block_merge_config_selectorIdlEEZZNS1_27merge_sort_block_merge_implIS3_PdN6thrust23THRUST_200600_302600_NS10device_ptrIlEEjNS1_19radix_merge_compareILb0ELb0EdNS0_19identity_decomposerEEEEE10hipError_tT0_T1_T2_jT3_P12ihipStream_tbPNSt15iterator_traitsISG_E10value_typeEPNSM_ISH_E10value_typeEPSI_NS1_7vsmem_tEENKUlT_SG_SH_SI_E_clIS7_S7_SB_PlEESF_SV_SG_SH_SI_EUlSV_E_NS1_11comp_targetILNS1_3genE3ELNS1_11target_archE908ELNS1_3gpuE7ELNS1_3repE0EEENS1_48merge_mergepath_partition_config_static_selectorELNS0_4arch9wavefront6targetE1EEEvSH_: ; @_ZN7rocprim17ROCPRIM_400000_NS6detail17trampoline_kernelINS0_14default_configENS1_38merge_sort_block_merge_config_selectorIdlEEZZNS1_27merge_sort_block_merge_implIS3_PdN6thrust23THRUST_200600_302600_NS10device_ptrIlEEjNS1_19radix_merge_compareILb0ELb0EdNS0_19identity_decomposerEEEEE10hipError_tT0_T1_T2_jT3_P12ihipStream_tbPNSt15iterator_traitsISG_E10value_typeEPNSM_ISH_E10value_typeEPSI_NS1_7vsmem_tEENKUlT_SG_SH_SI_E_clIS7_S7_SB_PlEESF_SV_SG_SH_SI_EUlSV_E_NS1_11comp_targetILNS1_3genE3ELNS1_11target_archE908ELNS1_3gpuE7ELNS1_3repE0EEENS1_48merge_mergepath_partition_config_static_selectorELNS0_4arch9wavefront6targetE1EEEvSH_
; %bb.0:
	.section	.rodata,"a",@progbits
	.p2align	6, 0x0
	.amdhsa_kernel _ZN7rocprim17ROCPRIM_400000_NS6detail17trampoline_kernelINS0_14default_configENS1_38merge_sort_block_merge_config_selectorIdlEEZZNS1_27merge_sort_block_merge_implIS3_PdN6thrust23THRUST_200600_302600_NS10device_ptrIlEEjNS1_19radix_merge_compareILb0ELb0EdNS0_19identity_decomposerEEEEE10hipError_tT0_T1_T2_jT3_P12ihipStream_tbPNSt15iterator_traitsISG_E10value_typeEPNSM_ISH_E10value_typeEPSI_NS1_7vsmem_tEENKUlT_SG_SH_SI_E_clIS7_S7_SB_PlEESF_SV_SG_SH_SI_EUlSV_E_NS1_11comp_targetILNS1_3genE3ELNS1_11target_archE908ELNS1_3gpuE7ELNS1_3repE0EEENS1_48merge_mergepath_partition_config_static_selectorELNS0_4arch9wavefront6targetE1EEEvSH_
		.amdhsa_group_segment_fixed_size 0
		.amdhsa_private_segment_fixed_size 0
		.amdhsa_kernarg_size 40
		.amdhsa_user_sgpr_count 6
		.amdhsa_user_sgpr_private_segment_buffer 1
		.amdhsa_user_sgpr_dispatch_ptr 0
		.amdhsa_user_sgpr_queue_ptr 0
		.amdhsa_user_sgpr_kernarg_segment_ptr 1
		.amdhsa_user_sgpr_dispatch_id 0
		.amdhsa_user_sgpr_flat_scratch_init 0
		.amdhsa_user_sgpr_kernarg_preload_length 0
		.amdhsa_user_sgpr_kernarg_preload_offset 0
		.amdhsa_user_sgpr_private_segment_size 0
		.amdhsa_uses_dynamic_stack 0
		.amdhsa_system_sgpr_private_segment_wavefront_offset 0
		.amdhsa_system_sgpr_workgroup_id_x 1
		.amdhsa_system_sgpr_workgroup_id_y 0
		.amdhsa_system_sgpr_workgroup_id_z 0
		.amdhsa_system_sgpr_workgroup_info 0
		.amdhsa_system_vgpr_workitem_id 0
		.amdhsa_next_free_vgpr 1
		.amdhsa_next_free_sgpr 0
		.amdhsa_accum_offset 4
		.amdhsa_reserve_vcc 0
		.amdhsa_reserve_flat_scratch 0
		.amdhsa_float_round_mode_32 0
		.amdhsa_float_round_mode_16_64 0
		.amdhsa_float_denorm_mode_32 3
		.amdhsa_float_denorm_mode_16_64 3
		.amdhsa_dx10_clamp 1
		.amdhsa_ieee_mode 1
		.amdhsa_fp16_overflow 0
		.amdhsa_tg_split 0
		.amdhsa_exception_fp_ieee_invalid_op 0
		.amdhsa_exception_fp_denorm_src 0
		.amdhsa_exception_fp_ieee_div_zero 0
		.amdhsa_exception_fp_ieee_overflow 0
		.amdhsa_exception_fp_ieee_underflow 0
		.amdhsa_exception_fp_ieee_inexact 0
		.amdhsa_exception_int_div_zero 0
	.end_amdhsa_kernel
	.section	.text._ZN7rocprim17ROCPRIM_400000_NS6detail17trampoline_kernelINS0_14default_configENS1_38merge_sort_block_merge_config_selectorIdlEEZZNS1_27merge_sort_block_merge_implIS3_PdN6thrust23THRUST_200600_302600_NS10device_ptrIlEEjNS1_19radix_merge_compareILb0ELb0EdNS0_19identity_decomposerEEEEE10hipError_tT0_T1_T2_jT3_P12ihipStream_tbPNSt15iterator_traitsISG_E10value_typeEPNSM_ISH_E10value_typeEPSI_NS1_7vsmem_tEENKUlT_SG_SH_SI_E_clIS7_S7_SB_PlEESF_SV_SG_SH_SI_EUlSV_E_NS1_11comp_targetILNS1_3genE3ELNS1_11target_archE908ELNS1_3gpuE7ELNS1_3repE0EEENS1_48merge_mergepath_partition_config_static_selectorELNS0_4arch9wavefront6targetE1EEEvSH_,"axG",@progbits,_ZN7rocprim17ROCPRIM_400000_NS6detail17trampoline_kernelINS0_14default_configENS1_38merge_sort_block_merge_config_selectorIdlEEZZNS1_27merge_sort_block_merge_implIS3_PdN6thrust23THRUST_200600_302600_NS10device_ptrIlEEjNS1_19radix_merge_compareILb0ELb0EdNS0_19identity_decomposerEEEEE10hipError_tT0_T1_T2_jT3_P12ihipStream_tbPNSt15iterator_traitsISG_E10value_typeEPNSM_ISH_E10value_typeEPSI_NS1_7vsmem_tEENKUlT_SG_SH_SI_E_clIS7_S7_SB_PlEESF_SV_SG_SH_SI_EUlSV_E_NS1_11comp_targetILNS1_3genE3ELNS1_11target_archE908ELNS1_3gpuE7ELNS1_3repE0EEENS1_48merge_mergepath_partition_config_static_selectorELNS0_4arch9wavefront6targetE1EEEvSH_,comdat
.Lfunc_end1570:
	.size	_ZN7rocprim17ROCPRIM_400000_NS6detail17trampoline_kernelINS0_14default_configENS1_38merge_sort_block_merge_config_selectorIdlEEZZNS1_27merge_sort_block_merge_implIS3_PdN6thrust23THRUST_200600_302600_NS10device_ptrIlEEjNS1_19radix_merge_compareILb0ELb0EdNS0_19identity_decomposerEEEEE10hipError_tT0_T1_T2_jT3_P12ihipStream_tbPNSt15iterator_traitsISG_E10value_typeEPNSM_ISH_E10value_typeEPSI_NS1_7vsmem_tEENKUlT_SG_SH_SI_E_clIS7_S7_SB_PlEESF_SV_SG_SH_SI_EUlSV_E_NS1_11comp_targetILNS1_3genE3ELNS1_11target_archE908ELNS1_3gpuE7ELNS1_3repE0EEENS1_48merge_mergepath_partition_config_static_selectorELNS0_4arch9wavefront6targetE1EEEvSH_, .Lfunc_end1570-_ZN7rocprim17ROCPRIM_400000_NS6detail17trampoline_kernelINS0_14default_configENS1_38merge_sort_block_merge_config_selectorIdlEEZZNS1_27merge_sort_block_merge_implIS3_PdN6thrust23THRUST_200600_302600_NS10device_ptrIlEEjNS1_19radix_merge_compareILb0ELb0EdNS0_19identity_decomposerEEEEE10hipError_tT0_T1_T2_jT3_P12ihipStream_tbPNSt15iterator_traitsISG_E10value_typeEPNSM_ISH_E10value_typeEPSI_NS1_7vsmem_tEENKUlT_SG_SH_SI_E_clIS7_S7_SB_PlEESF_SV_SG_SH_SI_EUlSV_E_NS1_11comp_targetILNS1_3genE3ELNS1_11target_archE908ELNS1_3gpuE7ELNS1_3repE0EEENS1_48merge_mergepath_partition_config_static_selectorELNS0_4arch9wavefront6targetE1EEEvSH_
                                        ; -- End function
	.section	.AMDGPU.csdata,"",@progbits
; Kernel info:
; codeLenInByte = 0
; NumSgprs: 4
; NumVgprs: 0
; NumAgprs: 0
; TotalNumVgprs: 0
; ScratchSize: 0
; MemoryBound: 0
; FloatMode: 240
; IeeeMode: 1
; LDSByteSize: 0 bytes/workgroup (compile time only)
; SGPRBlocks: 0
; VGPRBlocks: 0
; NumSGPRsForWavesPerEU: 4
; NumVGPRsForWavesPerEU: 1
; AccumOffset: 4
; Occupancy: 8
; WaveLimiterHint : 0
; COMPUTE_PGM_RSRC2:SCRATCH_EN: 0
; COMPUTE_PGM_RSRC2:USER_SGPR: 6
; COMPUTE_PGM_RSRC2:TRAP_HANDLER: 0
; COMPUTE_PGM_RSRC2:TGID_X_EN: 1
; COMPUTE_PGM_RSRC2:TGID_Y_EN: 0
; COMPUTE_PGM_RSRC2:TGID_Z_EN: 0
; COMPUTE_PGM_RSRC2:TIDIG_COMP_CNT: 0
; COMPUTE_PGM_RSRC3_GFX90A:ACCUM_OFFSET: 0
; COMPUTE_PGM_RSRC3_GFX90A:TG_SPLIT: 0
	.section	.text._ZN7rocprim17ROCPRIM_400000_NS6detail17trampoline_kernelINS0_14default_configENS1_38merge_sort_block_merge_config_selectorIdlEEZZNS1_27merge_sort_block_merge_implIS3_PdN6thrust23THRUST_200600_302600_NS10device_ptrIlEEjNS1_19radix_merge_compareILb0ELb0EdNS0_19identity_decomposerEEEEE10hipError_tT0_T1_T2_jT3_P12ihipStream_tbPNSt15iterator_traitsISG_E10value_typeEPNSM_ISH_E10value_typeEPSI_NS1_7vsmem_tEENKUlT_SG_SH_SI_E_clIS7_S7_SB_PlEESF_SV_SG_SH_SI_EUlSV_E_NS1_11comp_targetILNS1_3genE2ELNS1_11target_archE906ELNS1_3gpuE6ELNS1_3repE0EEENS1_48merge_mergepath_partition_config_static_selectorELNS0_4arch9wavefront6targetE1EEEvSH_,"axG",@progbits,_ZN7rocprim17ROCPRIM_400000_NS6detail17trampoline_kernelINS0_14default_configENS1_38merge_sort_block_merge_config_selectorIdlEEZZNS1_27merge_sort_block_merge_implIS3_PdN6thrust23THRUST_200600_302600_NS10device_ptrIlEEjNS1_19radix_merge_compareILb0ELb0EdNS0_19identity_decomposerEEEEE10hipError_tT0_T1_T2_jT3_P12ihipStream_tbPNSt15iterator_traitsISG_E10value_typeEPNSM_ISH_E10value_typeEPSI_NS1_7vsmem_tEENKUlT_SG_SH_SI_E_clIS7_S7_SB_PlEESF_SV_SG_SH_SI_EUlSV_E_NS1_11comp_targetILNS1_3genE2ELNS1_11target_archE906ELNS1_3gpuE6ELNS1_3repE0EEENS1_48merge_mergepath_partition_config_static_selectorELNS0_4arch9wavefront6targetE1EEEvSH_,comdat
	.protected	_ZN7rocprim17ROCPRIM_400000_NS6detail17trampoline_kernelINS0_14default_configENS1_38merge_sort_block_merge_config_selectorIdlEEZZNS1_27merge_sort_block_merge_implIS3_PdN6thrust23THRUST_200600_302600_NS10device_ptrIlEEjNS1_19radix_merge_compareILb0ELb0EdNS0_19identity_decomposerEEEEE10hipError_tT0_T1_T2_jT3_P12ihipStream_tbPNSt15iterator_traitsISG_E10value_typeEPNSM_ISH_E10value_typeEPSI_NS1_7vsmem_tEENKUlT_SG_SH_SI_E_clIS7_S7_SB_PlEESF_SV_SG_SH_SI_EUlSV_E_NS1_11comp_targetILNS1_3genE2ELNS1_11target_archE906ELNS1_3gpuE6ELNS1_3repE0EEENS1_48merge_mergepath_partition_config_static_selectorELNS0_4arch9wavefront6targetE1EEEvSH_ ; -- Begin function _ZN7rocprim17ROCPRIM_400000_NS6detail17trampoline_kernelINS0_14default_configENS1_38merge_sort_block_merge_config_selectorIdlEEZZNS1_27merge_sort_block_merge_implIS3_PdN6thrust23THRUST_200600_302600_NS10device_ptrIlEEjNS1_19radix_merge_compareILb0ELb0EdNS0_19identity_decomposerEEEEE10hipError_tT0_T1_T2_jT3_P12ihipStream_tbPNSt15iterator_traitsISG_E10value_typeEPNSM_ISH_E10value_typeEPSI_NS1_7vsmem_tEENKUlT_SG_SH_SI_E_clIS7_S7_SB_PlEESF_SV_SG_SH_SI_EUlSV_E_NS1_11comp_targetILNS1_3genE2ELNS1_11target_archE906ELNS1_3gpuE6ELNS1_3repE0EEENS1_48merge_mergepath_partition_config_static_selectorELNS0_4arch9wavefront6targetE1EEEvSH_
	.globl	_ZN7rocprim17ROCPRIM_400000_NS6detail17trampoline_kernelINS0_14default_configENS1_38merge_sort_block_merge_config_selectorIdlEEZZNS1_27merge_sort_block_merge_implIS3_PdN6thrust23THRUST_200600_302600_NS10device_ptrIlEEjNS1_19radix_merge_compareILb0ELb0EdNS0_19identity_decomposerEEEEE10hipError_tT0_T1_T2_jT3_P12ihipStream_tbPNSt15iterator_traitsISG_E10value_typeEPNSM_ISH_E10value_typeEPSI_NS1_7vsmem_tEENKUlT_SG_SH_SI_E_clIS7_S7_SB_PlEESF_SV_SG_SH_SI_EUlSV_E_NS1_11comp_targetILNS1_3genE2ELNS1_11target_archE906ELNS1_3gpuE6ELNS1_3repE0EEENS1_48merge_mergepath_partition_config_static_selectorELNS0_4arch9wavefront6targetE1EEEvSH_
	.p2align	8
	.type	_ZN7rocprim17ROCPRIM_400000_NS6detail17trampoline_kernelINS0_14default_configENS1_38merge_sort_block_merge_config_selectorIdlEEZZNS1_27merge_sort_block_merge_implIS3_PdN6thrust23THRUST_200600_302600_NS10device_ptrIlEEjNS1_19radix_merge_compareILb0ELb0EdNS0_19identity_decomposerEEEEE10hipError_tT0_T1_T2_jT3_P12ihipStream_tbPNSt15iterator_traitsISG_E10value_typeEPNSM_ISH_E10value_typeEPSI_NS1_7vsmem_tEENKUlT_SG_SH_SI_E_clIS7_S7_SB_PlEESF_SV_SG_SH_SI_EUlSV_E_NS1_11comp_targetILNS1_3genE2ELNS1_11target_archE906ELNS1_3gpuE6ELNS1_3repE0EEENS1_48merge_mergepath_partition_config_static_selectorELNS0_4arch9wavefront6targetE1EEEvSH_,@function
_ZN7rocprim17ROCPRIM_400000_NS6detail17trampoline_kernelINS0_14default_configENS1_38merge_sort_block_merge_config_selectorIdlEEZZNS1_27merge_sort_block_merge_implIS3_PdN6thrust23THRUST_200600_302600_NS10device_ptrIlEEjNS1_19radix_merge_compareILb0ELb0EdNS0_19identity_decomposerEEEEE10hipError_tT0_T1_T2_jT3_P12ihipStream_tbPNSt15iterator_traitsISG_E10value_typeEPNSM_ISH_E10value_typeEPSI_NS1_7vsmem_tEENKUlT_SG_SH_SI_E_clIS7_S7_SB_PlEESF_SV_SG_SH_SI_EUlSV_E_NS1_11comp_targetILNS1_3genE2ELNS1_11target_archE906ELNS1_3gpuE6ELNS1_3repE0EEENS1_48merge_mergepath_partition_config_static_selectorELNS0_4arch9wavefront6targetE1EEEvSH_: ; @_ZN7rocprim17ROCPRIM_400000_NS6detail17trampoline_kernelINS0_14default_configENS1_38merge_sort_block_merge_config_selectorIdlEEZZNS1_27merge_sort_block_merge_implIS3_PdN6thrust23THRUST_200600_302600_NS10device_ptrIlEEjNS1_19radix_merge_compareILb0ELb0EdNS0_19identity_decomposerEEEEE10hipError_tT0_T1_T2_jT3_P12ihipStream_tbPNSt15iterator_traitsISG_E10value_typeEPNSM_ISH_E10value_typeEPSI_NS1_7vsmem_tEENKUlT_SG_SH_SI_E_clIS7_S7_SB_PlEESF_SV_SG_SH_SI_EUlSV_E_NS1_11comp_targetILNS1_3genE2ELNS1_11target_archE906ELNS1_3gpuE6ELNS1_3repE0EEENS1_48merge_mergepath_partition_config_static_selectorELNS0_4arch9wavefront6targetE1EEEvSH_
; %bb.0:
	.section	.rodata,"a",@progbits
	.p2align	6, 0x0
	.amdhsa_kernel _ZN7rocprim17ROCPRIM_400000_NS6detail17trampoline_kernelINS0_14default_configENS1_38merge_sort_block_merge_config_selectorIdlEEZZNS1_27merge_sort_block_merge_implIS3_PdN6thrust23THRUST_200600_302600_NS10device_ptrIlEEjNS1_19radix_merge_compareILb0ELb0EdNS0_19identity_decomposerEEEEE10hipError_tT0_T1_T2_jT3_P12ihipStream_tbPNSt15iterator_traitsISG_E10value_typeEPNSM_ISH_E10value_typeEPSI_NS1_7vsmem_tEENKUlT_SG_SH_SI_E_clIS7_S7_SB_PlEESF_SV_SG_SH_SI_EUlSV_E_NS1_11comp_targetILNS1_3genE2ELNS1_11target_archE906ELNS1_3gpuE6ELNS1_3repE0EEENS1_48merge_mergepath_partition_config_static_selectorELNS0_4arch9wavefront6targetE1EEEvSH_
		.amdhsa_group_segment_fixed_size 0
		.amdhsa_private_segment_fixed_size 0
		.amdhsa_kernarg_size 40
		.amdhsa_user_sgpr_count 6
		.amdhsa_user_sgpr_private_segment_buffer 1
		.amdhsa_user_sgpr_dispatch_ptr 0
		.amdhsa_user_sgpr_queue_ptr 0
		.amdhsa_user_sgpr_kernarg_segment_ptr 1
		.amdhsa_user_sgpr_dispatch_id 0
		.amdhsa_user_sgpr_flat_scratch_init 0
		.amdhsa_user_sgpr_kernarg_preload_length 0
		.amdhsa_user_sgpr_kernarg_preload_offset 0
		.amdhsa_user_sgpr_private_segment_size 0
		.amdhsa_uses_dynamic_stack 0
		.amdhsa_system_sgpr_private_segment_wavefront_offset 0
		.amdhsa_system_sgpr_workgroup_id_x 1
		.amdhsa_system_sgpr_workgroup_id_y 0
		.amdhsa_system_sgpr_workgroup_id_z 0
		.amdhsa_system_sgpr_workgroup_info 0
		.amdhsa_system_vgpr_workitem_id 0
		.amdhsa_next_free_vgpr 1
		.amdhsa_next_free_sgpr 0
		.amdhsa_accum_offset 4
		.amdhsa_reserve_vcc 0
		.amdhsa_reserve_flat_scratch 0
		.amdhsa_float_round_mode_32 0
		.amdhsa_float_round_mode_16_64 0
		.amdhsa_float_denorm_mode_32 3
		.amdhsa_float_denorm_mode_16_64 3
		.amdhsa_dx10_clamp 1
		.amdhsa_ieee_mode 1
		.amdhsa_fp16_overflow 0
		.amdhsa_tg_split 0
		.amdhsa_exception_fp_ieee_invalid_op 0
		.amdhsa_exception_fp_denorm_src 0
		.amdhsa_exception_fp_ieee_div_zero 0
		.amdhsa_exception_fp_ieee_overflow 0
		.amdhsa_exception_fp_ieee_underflow 0
		.amdhsa_exception_fp_ieee_inexact 0
		.amdhsa_exception_int_div_zero 0
	.end_amdhsa_kernel
	.section	.text._ZN7rocprim17ROCPRIM_400000_NS6detail17trampoline_kernelINS0_14default_configENS1_38merge_sort_block_merge_config_selectorIdlEEZZNS1_27merge_sort_block_merge_implIS3_PdN6thrust23THRUST_200600_302600_NS10device_ptrIlEEjNS1_19radix_merge_compareILb0ELb0EdNS0_19identity_decomposerEEEEE10hipError_tT0_T1_T2_jT3_P12ihipStream_tbPNSt15iterator_traitsISG_E10value_typeEPNSM_ISH_E10value_typeEPSI_NS1_7vsmem_tEENKUlT_SG_SH_SI_E_clIS7_S7_SB_PlEESF_SV_SG_SH_SI_EUlSV_E_NS1_11comp_targetILNS1_3genE2ELNS1_11target_archE906ELNS1_3gpuE6ELNS1_3repE0EEENS1_48merge_mergepath_partition_config_static_selectorELNS0_4arch9wavefront6targetE1EEEvSH_,"axG",@progbits,_ZN7rocprim17ROCPRIM_400000_NS6detail17trampoline_kernelINS0_14default_configENS1_38merge_sort_block_merge_config_selectorIdlEEZZNS1_27merge_sort_block_merge_implIS3_PdN6thrust23THRUST_200600_302600_NS10device_ptrIlEEjNS1_19radix_merge_compareILb0ELb0EdNS0_19identity_decomposerEEEEE10hipError_tT0_T1_T2_jT3_P12ihipStream_tbPNSt15iterator_traitsISG_E10value_typeEPNSM_ISH_E10value_typeEPSI_NS1_7vsmem_tEENKUlT_SG_SH_SI_E_clIS7_S7_SB_PlEESF_SV_SG_SH_SI_EUlSV_E_NS1_11comp_targetILNS1_3genE2ELNS1_11target_archE906ELNS1_3gpuE6ELNS1_3repE0EEENS1_48merge_mergepath_partition_config_static_selectorELNS0_4arch9wavefront6targetE1EEEvSH_,comdat
.Lfunc_end1571:
	.size	_ZN7rocprim17ROCPRIM_400000_NS6detail17trampoline_kernelINS0_14default_configENS1_38merge_sort_block_merge_config_selectorIdlEEZZNS1_27merge_sort_block_merge_implIS3_PdN6thrust23THRUST_200600_302600_NS10device_ptrIlEEjNS1_19radix_merge_compareILb0ELb0EdNS0_19identity_decomposerEEEEE10hipError_tT0_T1_T2_jT3_P12ihipStream_tbPNSt15iterator_traitsISG_E10value_typeEPNSM_ISH_E10value_typeEPSI_NS1_7vsmem_tEENKUlT_SG_SH_SI_E_clIS7_S7_SB_PlEESF_SV_SG_SH_SI_EUlSV_E_NS1_11comp_targetILNS1_3genE2ELNS1_11target_archE906ELNS1_3gpuE6ELNS1_3repE0EEENS1_48merge_mergepath_partition_config_static_selectorELNS0_4arch9wavefront6targetE1EEEvSH_, .Lfunc_end1571-_ZN7rocprim17ROCPRIM_400000_NS6detail17trampoline_kernelINS0_14default_configENS1_38merge_sort_block_merge_config_selectorIdlEEZZNS1_27merge_sort_block_merge_implIS3_PdN6thrust23THRUST_200600_302600_NS10device_ptrIlEEjNS1_19radix_merge_compareILb0ELb0EdNS0_19identity_decomposerEEEEE10hipError_tT0_T1_T2_jT3_P12ihipStream_tbPNSt15iterator_traitsISG_E10value_typeEPNSM_ISH_E10value_typeEPSI_NS1_7vsmem_tEENKUlT_SG_SH_SI_E_clIS7_S7_SB_PlEESF_SV_SG_SH_SI_EUlSV_E_NS1_11comp_targetILNS1_3genE2ELNS1_11target_archE906ELNS1_3gpuE6ELNS1_3repE0EEENS1_48merge_mergepath_partition_config_static_selectorELNS0_4arch9wavefront6targetE1EEEvSH_
                                        ; -- End function
	.section	.AMDGPU.csdata,"",@progbits
; Kernel info:
; codeLenInByte = 0
; NumSgprs: 4
; NumVgprs: 0
; NumAgprs: 0
; TotalNumVgprs: 0
; ScratchSize: 0
; MemoryBound: 0
; FloatMode: 240
; IeeeMode: 1
; LDSByteSize: 0 bytes/workgroup (compile time only)
; SGPRBlocks: 0
; VGPRBlocks: 0
; NumSGPRsForWavesPerEU: 4
; NumVGPRsForWavesPerEU: 1
; AccumOffset: 4
; Occupancy: 8
; WaveLimiterHint : 0
; COMPUTE_PGM_RSRC2:SCRATCH_EN: 0
; COMPUTE_PGM_RSRC2:USER_SGPR: 6
; COMPUTE_PGM_RSRC2:TRAP_HANDLER: 0
; COMPUTE_PGM_RSRC2:TGID_X_EN: 1
; COMPUTE_PGM_RSRC2:TGID_Y_EN: 0
; COMPUTE_PGM_RSRC2:TGID_Z_EN: 0
; COMPUTE_PGM_RSRC2:TIDIG_COMP_CNT: 0
; COMPUTE_PGM_RSRC3_GFX90A:ACCUM_OFFSET: 0
; COMPUTE_PGM_RSRC3_GFX90A:TG_SPLIT: 0
	.section	.text._ZN7rocprim17ROCPRIM_400000_NS6detail17trampoline_kernelINS0_14default_configENS1_38merge_sort_block_merge_config_selectorIdlEEZZNS1_27merge_sort_block_merge_implIS3_PdN6thrust23THRUST_200600_302600_NS10device_ptrIlEEjNS1_19radix_merge_compareILb0ELb0EdNS0_19identity_decomposerEEEEE10hipError_tT0_T1_T2_jT3_P12ihipStream_tbPNSt15iterator_traitsISG_E10value_typeEPNSM_ISH_E10value_typeEPSI_NS1_7vsmem_tEENKUlT_SG_SH_SI_E_clIS7_S7_SB_PlEESF_SV_SG_SH_SI_EUlSV_E_NS1_11comp_targetILNS1_3genE9ELNS1_11target_archE1100ELNS1_3gpuE3ELNS1_3repE0EEENS1_48merge_mergepath_partition_config_static_selectorELNS0_4arch9wavefront6targetE1EEEvSH_,"axG",@progbits,_ZN7rocprim17ROCPRIM_400000_NS6detail17trampoline_kernelINS0_14default_configENS1_38merge_sort_block_merge_config_selectorIdlEEZZNS1_27merge_sort_block_merge_implIS3_PdN6thrust23THRUST_200600_302600_NS10device_ptrIlEEjNS1_19radix_merge_compareILb0ELb0EdNS0_19identity_decomposerEEEEE10hipError_tT0_T1_T2_jT3_P12ihipStream_tbPNSt15iterator_traitsISG_E10value_typeEPNSM_ISH_E10value_typeEPSI_NS1_7vsmem_tEENKUlT_SG_SH_SI_E_clIS7_S7_SB_PlEESF_SV_SG_SH_SI_EUlSV_E_NS1_11comp_targetILNS1_3genE9ELNS1_11target_archE1100ELNS1_3gpuE3ELNS1_3repE0EEENS1_48merge_mergepath_partition_config_static_selectorELNS0_4arch9wavefront6targetE1EEEvSH_,comdat
	.protected	_ZN7rocprim17ROCPRIM_400000_NS6detail17trampoline_kernelINS0_14default_configENS1_38merge_sort_block_merge_config_selectorIdlEEZZNS1_27merge_sort_block_merge_implIS3_PdN6thrust23THRUST_200600_302600_NS10device_ptrIlEEjNS1_19radix_merge_compareILb0ELb0EdNS0_19identity_decomposerEEEEE10hipError_tT0_T1_T2_jT3_P12ihipStream_tbPNSt15iterator_traitsISG_E10value_typeEPNSM_ISH_E10value_typeEPSI_NS1_7vsmem_tEENKUlT_SG_SH_SI_E_clIS7_S7_SB_PlEESF_SV_SG_SH_SI_EUlSV_E_NS1_11comp_targetILNS1_3genE9ELNS1_11target_archE1100ELNS1_3gpuE3ELNS1_3repE0EEENS1_48merge_mergepath_partition_config_static_selectorELNS0_4arch9wavefront6targetE1EEEvSH_ ; -- Begin function _ZN7rocprim17ROCPRIM_400000_NS6detail17trampoline_kernelINS0_14default_configENS1_38merge_sort_block_merge_config_selectorIdlEEZZNS1_27merge_sort_block_merge_implIS3_PdN6thrust23THRUST_200600_302600_NS10device_ptrIlEEjNS1_19radix_merge_compareILb0ELb0EdNS0_19identity_decomposerEEEEE10hipError_tT0_T1_T2_jT3_P12ihipStream_tbPNSt15iterator_traitsISG_E10value_typeEPNSM_ISH_E10value_typeEPSI_NS1_7vsmem_tEENKUlT_SG_SH_SI_E_clIS7_S7_SB_PlEESF_SV_SG_SH_SI_EUlSV_E_NS1_11comp_targetILNS1_3genE9ELNS1_11target_archE1100ELNS1_3gpuE3ELNS1_3repE0EEENS1_48merge_mergepath_partition_config_static_selectorELNS0_4arch9wavefront6targetE1EEEvSH_
	.globl	_ZN7rocprim17ROCPRIM_400000_NS6detail17trampoline_kernelINS0_14default_configENS1_38merge_sort_block_merge_config_selectorIdlEEZZNS1_27merge_sort_block_merge_implIS3_PdN6thrust23THRUST_200600_302600_NS10device_ptrIlEEjNS1_19radix_merge_compareILb0ELb0EdNS0_19identity_decomposerEEEEE10hipError_tT0_T1_T2_jT3_P12ihipStream_tbPNSt15iterator_traitsISG_E10value_typeEPNSM_ISH_E10value_typeEPSI_NS1_7vsmem_tEENKUlT_SG_SH_SI_E_clIS7_S7_SB_PlEESF_SV_SG_SH_SI_EUlSV_E_NS1_11comp_targetILNS1_3genE9ELNS1_11target_archE1100ELNS1_3gpuE3ELNS1_3repE0EEENS1_48merge_mergepath_partition_config_static_selectorELNS0_4arch9wavefront6targetE1EEEvSH_
	.p2align	8
	.type	_ZN7rocprim17ROCPRIM_400000_NS6detail17trampoline_kernelINS0_14default_configENS1_38merge_sort_block_merge_config_selectorIdlEEZZNS1_27merge_sort_block_merge_implIS3_PdN6thrust23THRUST_200600_302600_NS10device_ptrIlEEjNS1_19radix_merge_compareILb0ELb0EdNS0_19identity_decomposerEEEEE10hipError_tT0_T1_T2_jT3_P12ihipStream_tbPNSt15iterator_traitsISG_E10value_typeEPNSM_ISH_E10value_typeEPSI_NS1_7vsmem_tEENKUlT_SG_SH_SI_E_clIS7_S7_SB_PlEESF_SV_SG_SH_SI_EUlSV_E_NS1_11comp_targetILNS1_3genE9ELNS1_11target_archE1100ELNS1_3gpuE3ELNS1_3repE0EEENS1_48merge_mergepath_partition_config_static_selectorELNS0_4arch9wavefront6targetE1EEEvSH_,@function
_ZN7rocprim17ROCPRIM_400000_NS6detail17trampoline_kernelINS0_14default_configENS1_38merge_sort_block_merge_config_selectorIdlEEZZNS1_27merge_sort_block_merge_implIS3_PdN6thrust23THRUST_200600_302600_NS10device_ptrIlEEjNS1_19radix_merge_compareILb0ELb0EdNS0_19identity_decomposerEEEEE10hipError_tT0_T1_T2_jT3_P12ihipStream_tbPNSt15iterator_traitsISG_E10value_typeEPNSM_ISH_E10value_typeEPSI_NS1_7vsmem_tEENKUlT_SG_SH_SI_E_clIS7_S7_SB_PlEESF_SV_SG_SH_SI_EUlSV_E_NS1_11comp_targetILNS1_3genE9ELNS1_11target_archE1100ELNS1_3gpuE3ELNS1_3repE0EEENS1_48merge_mergepath_partition_config_static_selectorELNS0_4arch9wavefront6targetE1EEEvSH_: ; @_ZN7rocprim17ROCPRIM_400000_NS6detail17trampoline_kernelINS0_14default_configENS1_38merge_sort_block_merge_config_selectorIdlEEZZNS1_27merge_sort_block_merge_implIS3_PdN6thrust23THRUST_200600_302600_NS10device_ptrIlEEjNS1_19radix_merge_compareILb0ELb0EdNS0_19identity_decomposerEEEEE10hipError_tT0_T1_T2_jT3_P12ihipStream_tbPNSt15iterator_traitsISG_E10value_typeEPNSM_ISH_E10value_typeEPSI_NS1_7vsmem_tEENKUlT_SG_SH_SI_E_clIS7_S7_SB_PlEESF_SV_SG_SH_SI_EUlSV_E_NS1_11comp_targetILNS1_3genE9ELNS1_11target_archE1100ELNS1_3gpuE3ELNS1_3repE0EEENS1_48merge_mergepath_partition_config_static_selectorELNS0_4arch9wavefront6targetE1EEEvSH_
; %bb.0:
	.section	.rodata,"a",@progbits
	.p2align	6, 0x0
	.amdhsa_kernel _ZN7rocprim17ROCPRIM_400000_NS6detail17trampoline_kernelINS0_14default_configENS1_38merge_sort_block_merge_config_selectorIdlEEZZNS1_27merge_sort_block_merge_implIS3_PdN6thrust23THRUST_200600_302600_NS10device_ptrIlEEjNS1_19radix_merge_compareILb0ELb0EdNS0_19identity_decomposerEEEEE10hipError_tT0_T1_T2_jT3_P12ihipStream_tbPNSt15iterator_traitsISG_E10value_typeEPNSM_ISH_E10value_typeEPSI_NS1_7vsmem_tEENKUlT_SG_SH_SI_E_clIS7_S7_SB_PlEESF_SV_SG_SH_SI_EUlSV_E_NS1_11comp_targetILNS1_3genE9ELNS1_11target_archE1100ELNS1_3gpuE3ELNS1_3repE0EEENS1_48merge_mergepath_partition_config_static_selectorELNS0_4arch9wavefront6targetE1EEEvSH_
		.amdhsa_group_segment_fixed_size 0
		.amdhsa_private_segment_fixed_size 0
		.amdhsa_kernarg_size 40
		.amdhsa_user_sgpr_count 6
		.amdhsa_user_sgpr_private_segment_buffer 1
		.amdhsa_user_sgpr_dispatch_ptr 0
		.amdhsa_user_sgpr_queue_ptr 0
		.amdhsa_user_sgpr_kernarg_segment_ptr 1
		.amdhsa_user_sgpr_dispatch_id 0
		.amdhsa_user_sgpr_flat_scratch_init 0
		.amdhsa_user_sgpr_kernarg_preload_length 0
		.amdhsa_user_sgpr_kernarg_preload_offset 0
		.amdhsa_user_sgpr_private_segment_size 0
		.amdhsa_uses_dynamic_stack 0
		.amdhsa_system_sgpr_private_segment_wavefront_offset 0
		.amdhsa_system_sgpr_workgroup_id_x 1
		.amdhsa_system_sgpr_workgroup_id_y 0
		.amdhsa_system_sgpr_workgroup_id_z 0
		.amdhsa_system_sgpr_workgroup_info 0
		.amdhsa_system_vgpr_workitem_id 0
		.amdhsa_next_free_vgpr 1
		.amdhsa_next_free_sgpr 0
		.amdhsa_accum_offset 4
		.amdhsa_reserve_vcc 0
		.amdhsa_reserve_flat_scratch 0
		.amdhsa_float_round_mode_32 0
		.amdhsa_float_round_mode_16_64 0
		.amdhsa_float_denorm_mode_32 3
		.amdhsa_float_denorm_mode_16_64 3
		.amdhsa_dx10_clamp 1
		.amdhsa_ieee_mode 1
		.amdhsa_fp16_overflow 0
		.amdhsa_tg_split 0
		.amdhsa_exception_fp_ieee_invalid_op 0
		.amdhsa_exception_fp_denorm_src 0
		.amdhsa_exception_fp_ieee_div_zero 0
		.amdhsa_exception_fp_ieee_overflow 0
		.amdhsa_exception_fp_ieee_underflow 0
		.amdhsa_exception_fp_ieee_inexact 0
		.amdhsa_exception_int_div_zero 0
	.end_amdhsa_kernel
	.section	.text._ZN7rocprim17ROCPRIM_400000_NS6detail17trampoline_kernelINS0_14default_configENS1_38merge_sort_block_merge_config_selectorIdlEEZZNS1_27merge_sort_block_merge_implIS3_PdN6thrust23THRUST_200600_302600_NS10device_ptrIlEEjNS1_19radix_merge_compareILb0ELb0EdNS0_19identity_decomposerEEEEE10hipError_tT0_T1_T2_jT3_P12ihipStream_tbPNSt15iterator_traitsISG_E10value_typeEPNSM_ISH_E10value_typeEPSI_NS1_7vsmem_tEENKUlT_SG_SH_SI_E_clIS7_S7_SB_PlEESF_SV_SG_SH_SI_EUlSV_E_NS1_11comp_targetILNS1_3genE9ELNS1_11target_archE1100ELNS1_3gpuE3ELNS1_3repE0EEENS1_48merge_mergepath_partition_config_static_selectorELNS0_4arch9wavefront6targetE1EEEvSH_,"axG",@progbits,_ZN7rocprim17ROCPRIM_400000_NS6detail17trampoline_kernelINS0_14default_configENS1_38merge_sort_block_merge_config_selectorIdlEEZZNS1_27merge_sort_block_merge_implIS3_PdN6thrust23THRUST_200600_302600_NS10device_ptrIlEEjNS1_19radix_merge_compareILb0ELb0EdNS0_19identity_decomposerEEEEE10hipError_tT0_T1_T2_jT3_P12ihipStream_tbPNSt15iterator_traitsISG_E10value_typeEPNSM_ISH_E10value_typeEPSI_NS1_7vsmem_tEENKUlT_SG_SH_SI_E_clIS7_S7_SB_PlEESF_SV_SG_SH_SI_EUlSV_E_NS1_11comp_targetILNS1_3genE9ELNS1_11target_archE1100ELNS1_3gpuE3ELNS1_3repE0EEENS1_48merge_mergepath_partition_config_static_selectorELNS0_4arch9wavefront6targetE1EEEvSH_,comdat
.Lfunc_end1572:
	.size	_ZN7rocprim17ROCPRIM_400000_NS6detail17trampoline_kernelINS0_14default_configENS1_38merge_sort_block_merge_config_selectorIdlEEZZNS1_27merge_sort_block_merge_implIS3_PdN6thrust23THRUST_200600_302600_NS10device_ptrIlEEjNS1_19radix_merge_compareILb0ELb0EdNS0_19identity_decomposerEEEEE10hipError_tT0_T1_T2_jT3_P12ihipStream_tbPNSt15iterator_traitsISG_E10value_typeEPNSM_ISH_E10value_typeEPSI_NS1_7vsmem_tEENKUlT_SG_SH_SI_E_clIS7_S7_SB_PlEESF_SV_SG_SH_SI_EUlSV_E_NS1_11comp_targetILNS1_3genE9ELNS1_11target_archE1100ELNS1_3gpuE3ELNS1_3repE0EEENS1_48merge_mergepath_partition_config_static_selectorELNS0_4arch9wavefront6targetE1EEEvSH_, .Lfunc_end1572-_ZN7rocprim17ROCPRIM_400000_NS6detail17trampoline_kernelINS0_14default_configENS1_38merge_sort_block_merge_config_selectorIdlEEZZNS1_27merge_sort_block_merge_implIS3_PdN6thrust23THRUST_200600_302600_NS10device_ptrIlEEjNS1_19radix_merge_compareILb0ELb0EdNS0_19identity_decomposerEEEEE10hipError_tT0_T1_T2_jT3_P12ihipStream_tbPNSt15iterator_traitsISG_E10value_typeEPNSM_ISH_E10value_typeEPSI_NS1_7vsmem_tEENKUlT_SG_SH_SI_E_clIS7_S7_SB_PlEESF_SV_SG_SH_SI_EUlSV_E_NS1_11comp_targetILNS1_3genE9ELNS1_11target_archE1100ELNS1_3gpuE3ELNS1_3repE0EEENS1_48merge_mergepath_partition_config_static_selectorELNS0_4arch9wavefront6targetE1EEEvSH_
                                        ; -- End function
	.section	.AMDGPU.csdata,"",@progbits
; Kernel info:
; codeLenInByte = 0
; NumSgprs: 4
; NumVgprs: 0
; NumAgprs: 0
; TotalNumVgprs: 0
; ScratchSize: 0
; MemoryBound: 0
; FloatMode: 240
; IeeeMode: 1
; LDSByteSize: 0 bytes/workgroup (compile time only)
; SGPRBlocks: 0
; VGPRBlocks: 0
; NumSGPRsForWavesPerEU: 4
; NumVGPRsForWavesPerEU: 1
; AccumOffset: 4
; Occupancy: 8
; WaveLimiterHint : 0
; COMPUTE_PGM_RSRC2:SCRATCH_EN: 0
; COMPUTE_PGM_RSRC2:USER_SGPR: 6
; COMPUTE_PGM_RSRC2:TRAP_HANDLER: 0
; COMPUTE_PGM_RSRC2:TGID_X_EN: 1
; COMPUTE_PGM_RSRC2:TGID_Y_EN: 0
; COMPUTE_PGM_RSRC2:TGID_Z_EN: 0
; COMPUTE_PGM_RSRC2:TIDIG_COMP_CNT: 0
; COMPUTE_PGM_RSRC3_GFX90A:ACCUM_OFFSET: 0
; COMPUTE_PGM_RSRC3_GFX90A:TG_SPLIT: 0
	.section	.text._ZN7rocprim17ROCPRIM_400000_NS6detail17trampoline_kernelINS0_14default_configENS1_38merge_sort_block_merge_config_selectorIdlEEZZNS1_27merge_sort_block_merge_implIS3_PdN6thrust23THRUST_200600_302600_NS10device_ptrIlEEjNS1_19radix_merge_compareILb0ELb0EdNS0_19identity_decomposerEEEEE10hipError_tT0_T1_T2_jT3_P12ihipStream_tbPNSt15iterator_traitsISG_E10value_typeEPNSM_ISH_E10value_typeEPSI_NS1_7vsmem_tEENKUlT_SG_SH_SI_E_clIS7_S7_SB_PlEESF_SV_SG_SH_SI_EUlSV_E_NS1_11comp_targetILNS1_3genE8ELNS1_11target_archE1030ELNS1_3gpuE2ELNS1_3repE0EEENS1_48merge_mergepath_partition_config_static_selectorELNS0_4arch9wavefront6targetE1EEEvSH_,"axG",@progbits,_ZN7rocprim17ROCPRIM_400000_NS6detail17trampoline_kernelINS0_14default_configENS1_38merge_sort_block_merge_config_selectorIdlEEZZNS1_27merge_sort_block_merge_implIS3_PdN6thrust23THRUST_200600_302600_NS10device_ptrIlEEjNS1_19radix_merge_compareILb0ELb0EdNS0_19identity_decomposerEEEEE10hipError_tT0_T1_T2_jT3_P12ihipStream_tbPNSt15iterator_traitsISG_E10value_typeEPNSM_ISH_E10value_typeEPSI_NS1_7vsmem_tEENKUlT_SG_SH_SI_E_clIS7_S7_SB_PlEESF_SV_SG_SH_SI_EUlSV_E_NS1_11comp_targetILNS1_3genE8ELNS1_11target_archE1030ELNS1_3gpuE2ELNS1_3repE0EEENS1_48merge_mergepath_partition_config_static_selectorELNS0_4arch9wavefront6targetE1EEEvSH_,comdat
	.protected	_ZN7rocprim17ROCPRIM_400000_NS6detail17trampoline_kernelINS0_14default_configENS1_38merge_sort_block_merge_config_selectorIdlEEZZNS1_27merge_sort_block_merge_implIS3_PdN6thrust23THRUST_200600_302600_NS10device_ptrIlEEjNS1_19radix_merge_compareILb0ELb0EdNS0_19identity_decomposerEEEEE10hipError_tT0_T1_T2_jT3_P12ihipStream_tbPNSt15iterator_traitsISG_E10value_typeEPNSM_ISH_E10value_typeEPSI_NS1_7vsmem_tEENKUlT_SG_SH_SI_E_clIS7_S7_SB_PlEESF_SV_SG_SH_SI_EUlSV_E_NS1_11comp_targetILNS1_3genE8ELNS1_11target_archE1030ELNS1_3gpuE2ELNS1_3repE0EEENS1_48merge_mergepath_partition_config_static_selectorELNS0_4arch9wavefront6targetE1EEEvSH_ ; -- Begin function _ZN7rocprim17ROCPRIM_400000_NS6detail17trampoline_kernelINS0_14default_configENS1_38merge_sort_block_merge_config_selectorIdlEEZZNS1_27merge_sort_block_merge_implIS3_PdN6thrust23THRUST_200600_302600_NS10device_ptrIlEEjNS1_19radix_merge_compareILb0ELb0EdNS0_19identity_decomposerEEEEE10hipError_tT0_T1_T2_jT3_P12ihipStream_tbPNSt15iterator_traitsISG_E10value_typeEPNSM_ISH_E10value_typeEPSI_NS1_7vsmem_tEENKUlT_SG_SH_SI_E_clIS7_S7_SB_PlEESF_SV_SG_SH_SI_EUlSV_E_NS1_11comp_targetILNS1_3genE8ELNS1_11target_archE1030ELNS1_3gpuE2ELNS1_3repE0EEENS1_48merge_mergepath_partition_config_static_selectorELNS0_4arch9wavefront6targetE1EEEvSH_
	.globl	_ZN7rocprim17ROCPRIM_400000_NS6detail17trampoline_kernelINS0_14default_configENS1_38merge_sort_block_merge_config_selectorIdlEEZZNS1_27merge_sort_block_merge_implIS3_PdN6thrust23THRUST_200600_302600_NS10device_ptrIlEEjNS1_19radix_merge_compareILb0ELb0EdNS0_19identity_decomposerEEEEE10hipError_tT0_T1_T2_jT3_P12ihipStream_tbPNSt15iterator_traitsISG_E10value_typeEPNSM_ISH_E10value_typeEPSI_NS1_7vsmem_tEENKUlT_SG_SH_SI_E_clIS7_S7_SB_PlEESF_SV_SG_SH_SI_EUlSV_E_NS1_11comp_targetILNS1_3genE8ELNS1_11target_archE1030ELNS1_3gpuE2ELNS1_3repE0EEENS1_48merge_mergepath_partition_config_static_selectorELNS0_4arch9wavefront6targetE1EEEvSH_
	.p2align	8
	.type	_ZN7rocprim17ROCPRIM_400000_NS6detail17trampoline_kernelINS0_14default_configENS1_38merge_sort_block_merge_config_selectorIdlEEZZNS1_27merge_sort_block_merge_implIS3_PdN6thrust23THRUST_200600_302600_NS10device_ptrIlEEjNS1_19radix_merge_compareILb0ELb0EdNS0_19identity_decomposerEEEEE10hipError_tT0_T1_T2_jT3_P12ihipStream_tbPNSt15iterator_traitsISG_E10value_typeEPNSM_ISH_E10value_typeEPSI_NS1_7vsmem_tEENKUlT_SG_SH_SI_E_clIS7_S7_SB_PlEESF_SV_SG_SH_SI_EUlSV_E_NS1_11comp_targetILNS1_3genE8ELNS1_11target_archE1030ELNS1_3gpuE2ELNS1_3repE0EEENS1_48merge_mergepath_partition_config_static_selectorELNS0_4arch9wavefront6targetE1EEEvSH_,@function
_ZN7rocprim17ROCPRIM_400000_NS6detail17trampoline_kernelINS0_14default_configENS1_38merge_sort_block_merge_config_selectorIdlEEZZNS1_27merge_sort_block_merge_implIS3_PdN6thrust23THRUST_200600_302600_NS10device_ptrIlEEjNS1_19radix_merge_compareILb0ELb0EdNS0_19identity_decomposerEEEEE10hipError_tT0_T1_T2_jT3_P12ihipStream_tbPNSt15iterator_traitsISG_E10value_typeEPNSM_ISH_E10value_typeEPSI_NS1_7vsmem_tEENKUlT_SG_SH_SI_E_clIS7_S7_SB_PlEESF_SV_SG_SH_SI_EUlSV_E_NS1_11comp_targetILNS1_3genE8ELNS1_11target_archE1030ELNS1_3gpuE2ELNS1_3repE0EEENS1_48merge_mergepath_partition_config_static_selectorELNS0_4arch9wavefront6targetE1EEEvSH_: ; @_ZN7rocprim17ROCPRIM_400000_NS6detail17trampoline_kernelINS0_14default_configENS1_38merge_sort_block_merge_config_selectorIdlEEZZNS1_27merge_sort_block_merge_implIS3_PdN6thrust23THRUST_200600_302600_NS10device_ptrIlEEjNS1_19radix_merge_compareILb0ELb0EdNS0_19identity_decomposerEEEEE10hipError_tT0_T1_T2_jT3_P12ihipStream_tbPNSt15iterator_traitsISG_E10value_typeEPNSM_ISH_E10value_typeEPSI_NS1_7vsmem_tEENKUlT_SG_SH_SI_E_clIS7_S7_SB_PlEESF_SV_SG_SH_SI_EUlSV_E_NS1_11comp_targetILNS1_3genE8ELNS1_11target_archE1030ELNS1_3gpuE2ELNS1_3repE0EEENS1_48merge_mergepath_partition_config_static_selectorELNS0_4arch9wavefront6targetE1EEEvSH_
; %bb.0:
	.section	.rodata,"a",@progbits
	.p2align	6, 0x0
	.amdhsa_kernel _ZN7rocprim17ROCPRIM_400000_NS6detail17trampoline_kernelINS0_14default_configENS1_38merge_sort_block_merge_config_selectorIdlEEZZNS1_27merge_sort_block_merge_implIS3_PdN6thrust23THRUST_200600_302600_NS10device_ptrIlEEjNS1_19radix_merge_compareILb0ELb0EdNS0_19identity_decomposerEEEEE10hipError_tT0_T1_T2_jT3_P12ihipStream_tbPNSt15iterator_traitsISG_E10value_typeEPNSM_ISH_E10value_typeEPSI_NS1_7vsmem_tEENKUlT_SG_SH_SI_E_clIS7_S7_SB_PlEESF_SV_SG_SH_SI_EUlSV_E_NS1_11comp_targetILNS1_3genE8ELNS1_11target_archE1030ELNS1_3gpuE2ELNS1_3repE0EEENS1_48merge_mergepath_partition_config_static_selectorELNS0_4arch9wavefront6targetE1EEEvSH_
		.amdhsa_group_segment_fixed_size 0
		.amdhsa_private_segment_fixed_size 0
		.amdhsa_kernarg_size 40
		.amdhsa_user_sgpr_count 6
		.amdhsa_user_sgpr_private_segment_buffer 1
		.amdhsa_user_sgpr_dispatch_ptr 0
		.amdhsa_user_sgpr_queue_ptr 0
		.amdhsa_user_sgpr_kernarg_segment_ptr 1
		.amdhsa_user_sgpr_dispatch_id 0
		.amdhsa_user_sgpr_flat_scratch_init 0
		.amdhsa_user_sgpr_kernarg_preload_length 0
		.amdhsa_user_sgpr_kernarg_preload_offset 0
		.amdhsa_user_sgpr_private_segment_size 0
		.amdhsa_uses_dynamic_stack 0
		.amdhsa_system_sgpr_private_segment_wavefront_offset 0
		.amdhsa_system_sgpr_workgroup_id_x 1
		.amdhsa_system_sgpr_workgroup_id_y 0
		.amdhsa_system_sgpr_workgroup_id_z 0
		.amdhsa_system_sgpr_workgroup_info 0
		.amdhsa_system_vgpr_workitem_id 0
		.amdhsa_next_free_vgpr 1
		.amdhsa_next_free_sgpr 0
		.amdhsa_accum_offset 4
		.amdhsa_reserve_vcc 0
		.amdhsa_reserve_flat_scratch 0
		.amdhsa_float_round_mode_32 0
		.amdhsa_float_round_mode_16_64 0
		.amdhsa_float_denorm_mode_32 3
		.amdhsa_float_denorm_mode_16_64 3
		.amdhsa_dx10_clamp 1
		.amdhsa_ieee_mode 1
		.amdhsa_fp16_overflow 0
		.amdhsa_tg_split 0
		.amdhsa_exception_fp_ieee_invalid_op 0
		.amdhsa_exception_fp_denorm_src 0
		.amdhsa_exception_fp_ieee_div_zero 0
		.amdhsa_exception_fp_ieee_overflow 0
		.amdhsa_exception_fp_ieee_underflow 0
		.amdhsa_exception_fp_ieee_inexact 0
		.amdhsa_exception_int_div_zero 0
	.end_amdhsa_kernel
	.section	.text._ZN7rocprim17ROCPRIM_400000_NS6detail17trampoline_kernelINS0_14default_configENS1_38merge_sort_block_merge_config_selectorIdlEEZZNS1_27merge_sort_block_merge_implIS3_PdN6thrust23THRUST_200600_302600_NS10device_ptrIlEEjNS1_19radix_merge_compareILb0ELb0EdNS0_19identity_decomposerEEEEE10hipError_tT0_T1_T2_jT3_P12ihipStream_tbPNSt15iterator_traitsISG_E10value_typeEPNSM_ISH_E10value_typeEPSI_NS1_7vsmem_tEENKUlT_SG_SH_SI_E_clIS7_S7_SB_PlEESF_SV_SG_SH_SI_EUlSV_E_NS1_11comp_targetILNS1_3genE8ELNS1_11target_archE1030ELNS1_3gpuE2ELNS1_3repE0EEENS1_48merge_mergepath_partition_config_static_selectorELNS0_4arch9wavefront6targetE1EEEvSH_,"axG",@progbits,_ZN7rocprim17ROCPRIM_400000_NS6detail17trampoline_kernelINS0_14default_configENS1_38merge_sort_block_merge_config_selectorIdlEEZZNS1_27merge_sort_block_merge_implIS3_PdN6thrust23THRUST_200600_302600_NS10device_ptrIlEEjNS1_19radix_merge_compareILb0ELb0EdNS0_19identity_decomposerEEEEE10hipError_tT0_T1_T2_jT3_P12ihipStream_tbPNSt15iterator_traitsISG_E10value_typeEPNSM_ISH_E10value_typeEPSI_NS1_7vsmem_tEENKUlT_SG_SH_SI_E_clIS7_S7_SB_PlEESF_SV_SG_SH_SI_EUlSV_E_NS1_11comp_targetILNS1_3genE8ELNS1_11target_archE1030ELNS1_3gpuE2ELNS1_3repE0EEENS1_48merge_mergepath_partition_config_static_selectorELNS0_4arch9wavefront6targetE1EEEvSH_,comdat
.Lfunc_end1573:
	.size	_ZN7rocprim17ROCPRIM_400000_NS6detail17trampoline_kernelINS0_14default_configENS1_38merge_sort_block_merge_config_selectorIdlEEZZNS1_27merge_sort_block_merge_implIS3_PdN6thrust23THRUST_200600_302600_NS10device_ptrIlEEjNS1_19radix_merge_compareILb0ELb0EdNS0_19identity_decomposerEEEEE10hipError_tT0_T1_T2_jT3_P12ihipStream_tbPNSt15iterator_traitsISG_E10value_typeEPNSM_ISH_E10value_typeEPSI_NS1_7vsmem_tEENKUlT_SG_SH_SI_E_clIS7_S7_SB_PlEESF_SV_SG_SH_SI_EUlSV_E_NS1_11comp_targetILNS1_3genE8ELNS1_11target_archE1030ELNS1_3gpuE2ELNS1_3repE0EEENS1_48merge_mergepath_partition_config_static_selectorELNS0_4arch9wavefront6targetE1EEEvSH_, .Lfunc_end1573-_ZN7rocprim17ROCPRIM_400000_NS6detail17trampoline_kernelINS0_14default_configENS1_38merge_sort_block_merge_config_selectorIdlEEZZNS1_27merge_sort_block_merge_implIS3_PdN6thrust23THRUST_200600_302600_NS10device_ptrIlEEjNS1_19radix_merge_compareILb0ELb0EdNS0_19identity_decomposerEEEEE10hipError_tT0_T1_T2_jT3_P12ihipStream_tbPNSt15iterator_traitsISG_E10value_typeEPNSM_ISH_E10value_typeEPSI_NS1_7vsmem_tEENKUlT_SG_SH_SI_E_clIS7_S7_SB_PlEESF_SV_SG_SH_SI_EUlSV_E_NS1_11comp_targetILNS1_3genE8ELNS1_11target_archE1030ELNS1_3gpuE2ELNS1_3repE0EEENS1_48merge_mergepath_partition_config_static_selectorELNS0_4arch9wavefront6targetE1EEEvSH_
                                        ; -- End function
	.section	.AMDGPU.csdata,"",@progbits
; Kernel info:
; codeLenInByte = 0
; NumSgprs: 4
; NumVgprs: 0
; NumAgprs: 0
; TotalNumVgprs: 0
; ScratchSize: 0
; MemoryBound: 0
; FloatMode: 240
; IeeeMode: 1
; LDSByteSize: 0 bytes/workgroup (compile time only)
; SGPRBlocks: 0
; VGPRBlocks: 0
; NumSGPRsForWavesPerEU: 4
; NumVGPRsForWavesPerEU: 1
; AccumOffset: 4
; Occupancy: 8
; WaveLimiterHint : 0
; COMPUTE_PGM_RSRC2:SCRATCH_EN: 0
; COMPUTE_PGM_RSRC2:USER_SGPR: 6
; COMPUTE_PGM_RSRC2:TRAP_HANDLER: 0
; COMPUTE_PGM_RSRC2:TGID_X_EN: 1
; COMPUTE_PGM_RSRC2:TGID_Y_EN: 0
; COMPUTE_PGM_RSRC2:TGID_Z_EN: 0
; COMPUTE_PGM_RSRC2:TIDIG_COMP_CNT: 0
; COMPUTE_PGM_RSRC3_GFX90A:ACCUM_OFFSET: 0
; COMPUTE_PGM_RSRC3_GFX90A:TG_SPLIT: 0
	.section	.text._ZN7rocprim17ROCPRIM_400000_NS6detail17trampoline_kernelINS0_14default_configENS1_38merge_sort_block_merge_config_selectorIdlEEZZNS1_27merge_sort_block_merge_implIS3_PdN6thrust23THRUST_200600_302600_NS10device_ptrIlEEjNS1_19radix_merge_compareILb0ELb0EdNS0_19identity_decomposerEEEEE10hipError_tT0_T1_T2_jT3_P12ihipStream_tbPNSt15iterator_traitsISG_E10value_typeEPNSM_ISH_E10value_typeEPSI_NS1_7vsmem_tEENKUlT_SG_SH_SI_E_clIS7_S7_SB_PlEESF_SV_SG_SH_SI_EUlSV_E0_NS1_11comp_targetILNS1_3genE0ELNS1_11target_archE4294967295ELNS1_3gpuE0ELNS1_3repE0EEENS1_38merge_mergepath_config_static_selectorELNS0_4arch9wavefront6targetE1EEEvSH_,"axG",@progbits,_ZN7rocprim17ROCPRIM_400000_NS6detail17trampoline_kernelINS0_14default_configENS1_38merge_sort_block_merge_config_selectorIdlEEZZNS1_27merge_sort_block_merge_implIS3_PdN6thrust23THRUST_200600_302600_NS10device_ptrIlEEjNS1_19radix_merge_compareILb0ELb0EdNS0_19identity_decomposerEEEEE10hipError_tT0_T1_T2_jT3_P12ihipStream_tbPNSt15iterator_traitsISG_E10value_typeEPNSM_ISH_E10value_typeEPSI_NS1_7vsmem_tEENKUlT_SG_SH_SI_E_clIS7_S7_SB_PlEESF_SV_SG_SH_SI_EUlSV_E0_NS1_11comp_targetILNS1_3genE0ELNS1_11target_archE4294967295ELNS1_3gpuE0ELNS1_3repE0EEENS1_38merge_mergepath_config_static_selectorELNS0_4arch9wavefront6targetE1EEEvSH_,comdat
	.protected	_ZN7rocprim17ROCPRIM_400000_NS6detail17trampoline_kernelINS0_14default_configENS1_38merge_sort_block_merge_config_selectorIdlEEZZNS1_27merge_sort_block_merge_implIS3_PdN6thrust23THRUST_200600_302600_NS10device_ptrIlEEjNS1_19radix_merge_compareILb0ELb0EdNS0_19identity_decomposerEEEEE10hipError_tT0_T1_T2_jT3_P12ihipStream_tbPNSt15iterator_traitsISG_E10value_typeEPNSM_ISH_E10value_typeEPSI_NS1_7vsmem_tEENKUlT_SG_SH_SI_E_clIS7_S7_SB_PlEESF_SV_SG_SH_SI_EUlSV_E0_NS1_11comp_targetILNS1_3genE0ELNS1_11target_archE4294967295ELNS1_3gpuE0ELNS1_3repE0EEENS1_38merge_mergepath_config_static_selectorELNS0_4arch9wavefront6targetE1EEEvSH_ ; -- Begin function _ZN7rocprim17ROCPRIM_400000_NS6detail17trampoline_kernelINS0_14default_configENS1_38merge_sort_block_merge_config_selectorIdlEEZZNS1_27merge_sort_block_merge_implIS3_PdN6thrust23THRUST_200600_302600_NS10device_ptrIlEEjNS1_19radix_merge_compareILb0ELb0EdNS0_19identity_decomposerEEEEE10hipError_tT0_T1_T2_jT3_P12ihipStream_tbPNSt15iterator_traitsISG_E10value_typeEPNSM_ISH_E10value_typeEPSI_NS1_7vsmem_tEENKUlT_SG_SH_SI_E_clIS7_S7_SB_PlEESF_SV_SG_SH_SI_EUlSV_E0_NS1_11comp_targetILNS1_3genE0ELNS1_11target_archE4294967295ELNS1_3gpuE0ELNS1_3repE0EEENS1_38merge_mergepath_config_static_selectorELNS0_4arch9wavefront6targetE1EEEvSH_
	.globl	_ZN7rocprim17ROCPRIM_400000_NS6detail17trampoline_kernelINS0_14default_configENS1_38merge_sort_block_merge_config_selectorIdlEEZZNS1_27merge_sort_block_merge_implIS3_PdN6thrust23THRUST_200600_302600_NS10device_ptrIlEEjNS1_19radix_merge_compareILb0ELb0EdNS0_19identity_decomposerEEEEE10hipError_tT0_T1_T2_jT3_P12ihipStream_tbPNSt15iterator_traitsISG_E10value_typeEPNSM_ISH_E10value_typeEPSI_NS1_7vsmem_tEENKUlT_SG_SH_SI_E_clIS7_S7_SB_PlEESF_SV_SG_SH_SI_EUlSV_E0_NS1_11comp_targetILNS1_3genE0ELNS1_11target_archE4294967295ELNS1_3gpuE0ELNS1_3repE0EEENS1_38merge_mergepath_config_static_selectorELNS0_4arch9wavefront6targetE1EEEvSH_
	.p2align	8
	.type	_ZN7rocprim17ROCPRIM_400000_NS6detail17trampoline_kernelINS0_14default_configENS1_38merge_sort_block_merge_config_selectorIdlEEZZNS1_27merge_sort_block_merge_implIS3_PdN6thrust23THRUST_200600_302600_NS10device_ptrIlEEjNS1_19radix_merge_compareILb0ELb0EdNS0_19identity_decomposerEEEEE10hipError_tT0_T1_T2_jT3_P12ihipStream_tbPNSt15iterator_traitsISG_E10value_typeEPNSM_ISH_E10value_typeEPSI_NS1_7vsmem_tEENKUlT_SG_SH_SI_E_clIS7_S7_SB_PlEESF_SV_SG_SH_SI_EUlSV_E0_NS1_11comp_targetILNS1_3genE0ELNS1_11target_archE4294967295ELNS1_3gpuE0ELNS1_3repE0EEENS1_38merge_mergepath_config_static_selectorELNS0_4arch9wavefront6targetE1EEEvSH_,@function
_ZN7rocprim17ROCPRIM_400000_NS6detail17trampoline_kernelINS0_14default_configENS1_38merge_sort_block_merge_config_selectorIdlEEZZNS1_27merge_sort_block_merge_implIS3_PdN6thrust23THRUST_200600_302600_NS10device_ptrIlEEjNS1_19radix_merge_compareILb0ELb0EdNS0_19identity_decomposerEEEEE10hipError_tT0_T1_T2_jT3_P12ihipStream_tbPNSt15iterator_traitsISG_E10value_typeEPNSM_ISH_E10value_typeEPSI_NS1_7vsmem_tEENKUlT_SG_SH_SI_E_clIS7_S7_SB_PlEESF_SV_SG_SH_SI_EUlSV_E0_NS1_11comp_targetILNS1_3genE0ELNS1_11target_archE4294967295ELNS1_3gpuE0ELNS1_3repE0EEENS1_38merge_mergepath_config_static_selectorELNS0_4arch9wavefront6targetE1EEEvSH_: ; @_ZN7rocprim17ROCPRIM_400000_NS6detail17trampoline_kernelINS0_14default_configENS1_38merge_sort_block_merge_config_selectorIdlEEZZNS1_27merge_sort_block_merge_implIS3_PdN6thrust23THRUST_200600_302600_NS10device_ptrIlEEjNS1_19radix_merge_compareILb0ELb0EdNS0_19identity_decomposerEEEEE10hipError_tT0_T1_T2_jT3_P12ihipStream_tbPNSt15iterator_traitsISG_E10value_typeEPNSM_ISH_E10value_typeEPSI_NS1_7vsmem_tEENKUlT_SG_SH_SI_E_clIS7_S7_SB_PlEESF_SV_SG_SH_SI_EUlSV_E0_NS1_11comp_targetILNS1_3genE0ELNS1_11target_archE4294967295ELNS1_3gpuE0ELNS1_3repE0EEENS1_38merge_mergepath_config_static_selectorELNS0_4arch9wavefront6targetE1EEEvSH_
; %bb.0:
	.section	.rodata,"a",@progbits
	.p2align	6, 0x0
	.amdhsa_kernel _ZN7rocprim17ROCPRIM_400000_NS6detail17trampoline_kernelINS0_14default_configENS1_38merge_sort_block_merge_config_selectorIdlEEZZNS1_27merge_sort_block_merge_implIS3_PdN6thrust23THRUST_200600_302600_NS10device_ptrIlEEjNS1_19radix_merge_compareILb0ELb0EdNS0_19identity_decomposerEEEEE10hipError_tT0_T1_T2_jT3_P12ihipStream_tbPNSt15iterator_traitsISG_E10value_typeEPNSM_ISH_E10value_typeEPSI_NS1_7vsmem_tEENKUlT_SG_SH_SI_E_clIS7_S7_SB_PlEESF_SV_SG_SH_SI_EUlSV_E0_NS1_11comp_targetILNS1_3genE0ELNS1_11target_archE4294967295ELNS1_3gpuE0ELNS1_3repE0EEENS1_38merge_mergepath_config_static_selectorELNS0_4arch9wavefront6targetE1EEEvSH_
		.amdhsa_group_segment_fixed_size 0
		.amdhsa_private_segment_fixed_size 0
		.amdhsa_kernarg_size 64
		.amdhsa_user_sgpr_count 6
		.amdhsa_user_sgpr_private_segment_buffer 1
		.amdhsa_user_sgpr_dispatch_ptr 0
		.amdhsa_user_sgpr_queue_ptr 0
		.amdhsa_user_sgpr_kernarg_segment_ptr 1
		.amdhsa_user_sgpr_dispatch_id 0
		.amdhsa_user_sgpr_flat_scratch_init 0
		.amdhsa_user_sgpr_kernarg_preload_length 0
		.amdhsa_user_sgpr_kernarg_preload_offset 0
		.amdhsa_user_sgpr_private_segment_size 0
		.amdhsa_uses_dynamic_stack 0
		.amdhsa_system_sgpr_private_segment_wavefront_offset 0
		.amdhsa_system_sgpr_workgroup_id_x 1
		.amdhsa_system_sgpr_workgroup_id_y 0
		.amdhsa_system_sgpr_workgroup_id_z 0
		.amdhsa_system_sgpr_workgroup_info 0
		.amdhsa_system_vgpr_workitem_id 0
		.amdhsa_next_free_vgpr 1
		.amdhsa_next_free_sgpr 0
		.amdhsa_accum_offset 4
		.amdhsa_reserve_vcc 0
		.amdhsa_reserve_flat_scratch 0
		.amdhsa_float_round_mode_32 0
		.amdhsa_float_round_mode_16_64 0
		.amdhsa_float_denorm_mode_32 3
		.amdhsa_float_denorm_mode_16_64 3
		.amdhsa_dx10_clamp 1
		.amdhsa_ieee_mode 1
		.amdhsa_fp16_overflow 0
		.amdhsa_tg_split 0
		.amdhsa_exception_fp_ieee_invalid_op 0
		.amdhsa_exception_fp_denorm_src 0
		.amdhsa_exception_fp_ieee_div_zero 0
		.amdhsa_exception_fp_ieee_overflow 0
		.amdhsa_exception_fp_ieee_underflow 0
		.amdhsa_exception_fp_ieee_inexact 0
		.amdhsa_exception_int_div_zero 0
	.end_amdhsa_kernel
	.section	.text._ZN7rocprim17ROCPRIM_400000_NS6detail17trampoline_kernelINS0_14default_configENS1_38merge_sort_block_merge_config_selectorIdlEEZZNS1_27merge_sort_block_merge_implIS3_PdN6thrust23THRUST_200600_302600_NS10device_ptrIlEEjNS1_19radix_merge_compareILb0ELb0EdNS0_19identity_decomposerEEEEE10hipError_tT0_T1_T2_jT3_P12ihipStream_tbPNSt15iterator_traitsISG_E10value_typeEPNSM_ISH_E10value_typeEPSI_NS1_7vsmem_tEENKUlT_SG_SH_SI_E_clIS7_S7_SB_PlEESF_SV_SG_SH_SI_EUlSV_E0_NS1_11comp_targetILNS1_3genE0ELNS1_11target_archE4294967295ELNS1_3gpuE0ELNS1_3repE0EEENS1_38merge_mergepath_config_static_selectorELNS0_4arch9wavefront6targetE1EEEvSH_,"axG",@progbits,_ZN7rocprim17ROCPRIM_400000_NS6detail17trampoline_kernelINS0_14default_configENS1_38merge_sort_block_merge_config_selectorIdlEEZZNS1_27merge_sort_block_merge_implIS3_PdN6thrust23THRUST_200600_302600_NS10device_ptrIlEEjNS1_19radix_merge_compareILb0ELb0EdNS0_19identity_decomposerEEEEE10hipError_tT0_T1_T2_jT3_P12ihipStream_tbPNSt15iterator_traitsISG_E10value_typeEPNSM_ISH_E10value_typeEPSI_NS1_7vsmem_tEENKUlT_SG_SH_SI_E_clIS7_S7_SB_PlEESF_SV_SG_SH_SI_EUlSV_E0_NS1_11comp_targetILNS1_3genE0ELNS1_11target_archE4294967295ELNS1_3gpuE0ELNS1_3repE0EEENS1_38merge_mergepath_config_static_selectorELNS0_4arch9wavefront6targetE1EEEvSH_,comdat
.Lfunc_end1574:
	.size	_ZN7rocprim17ROCPRIM_400000_NS6detail17trampoline_kernelINS0_14default_configENS1_38merge_sort_block_merge_config_selectorIdlEEZZNS1_27merge_sort_block_merge_implIS3_PdN6thrust23THRUST_200600_302600_NS10device_ptrIlEEjNS1_19radix_merge_compareILb0ELb0EdNS0_19identity_decomposerEEEEE10hipError_tT0_T1_T2_jT3_P12ihipStream_tbPNSt15iterator_traitsISG_E10value_typeEPNSM_ISH_E10value_typeEPSI_NS1_7vsmem_tEENKUlT_SG_SH_SI_E_clIS7_S7_SB_PlEESF_SV_SG_SH_SI_EUlSV_E0_NS1_11comp_targetILNS1_3genE0ELNS1_11target_archE4294967295ELNS1_3gpuE0ELNS1_3repE0EEENS1_38merge_mergepath_config_static_selectorELNS0_4arch9wavefront6targetE1EEEvSH_, .Lfunc_end1574-_ZN7rocprim17ROCPRIM_400000_NS6detail17trampoline_kernelINS0_14default_configENS1_38merge_sort_block_merge_config_selectorIdlEEZZNS1_27merge_sort_block_merge_implIS3_PdN6thrust23THRUST_200600_302600_NS10device_ptrIlEEjNS1_19radix_merge_compareILb0ELb0EdNS0_19identity_decomposerEEEEE10hipError_tT0_T1_T2_jT3_P12ihipStream_tbPNSt15iterator_traitsISG_E10value_typeEPNSM_ISH_E10value_typeEPSI_NS1_7vsmem_tEENKUlT_SG_SH_SI_E_clIS7_S7_SB_PlEESF_SV_SG_SH_SI_EUlSV_E0_NS1_11comp_targetILNS1_3genE0ELNS1_11target_archE4294967295ELNS1_3gpuE0ELNS1_3repE0EEENS1_38merge_mergepath_config_static_selectorELNS0_4arch9wavefront6targetE1EEEvSH_
                                        ; -- End function
	.section	.AMDGPU.csdata,"",@progbits
; Kernel info:
; codeLenInByte = 0
; NumSgprs: 4
; NumVgprs: 0
; NumAgprs: 0
; TotalNumVgprs: 0
; ScratchSize: 0
; MemoryBound: 0
; FloatMode: 240
; IeeeMode: 1
; LDSByteSize: 0 bytes/workgroup (compile time only)
; SGPRBlocks: 0
; VGPRBlocks: 0
; NumSGPRsForWavesPerEU: 4
; NumVGPRsForWavesPerEU: 1
; AccumOffset: 4
; Occupancy: 8
; WaveLimiterHint : 0
; COMPUTE_PGM_RSRC2:SCRATCH_EN: 0
; COMPUTE_PGM_RSRC2:USER_SGPR: 6
; COMPUTE_PGM_RSRC2:TRAP_HANDLER: 0
; COMPUTE_PGM_RSRC2:TGID_X_EN: 1
; COMPUTE_PGM_RSRC2:TGID_Y_EN: 0
; COMPUTE_PGM_RSRC2:TGID_Z_EN: 0
; COMPUTE_PGM_RSRC2:TIDIG_COMP_CNT: 0
; COMPUTE_PGM_RSRC3_GFX90A:ACCUM_OFFSET: 0
; COMPUTE_PGM_RSRC3_GFX90A:TG_SPLIT: 0
	.section	.text._ZN7rocprim17ROCPRIM_400000_NS6detail17trampoline_kernelINS0_14default_configENS1_38merge_sort_block_merge_config_selectorIdlEEZZNS1_27merge_sort_block_merge_implIS3_PdN6thrust23THRUST_200600_302600_NS10device_ptrIlEEjNS1_19radix_merge_compareILb0ELb0EdNS0_19identity_decomposerEEEEE10hipError_tT0_T1_T2_jT3_P12ihipStream_tbPNSt15iterator_traitsISG_E10value_typeEPNSM_ISH_E10value_typeEPSI_NS1_7vsmem_tEENKUlT_SG_SH_SI_E_clIS7_S7_SB_PlEESF_SV_SG_SH_SI_EUlSV_E0_NS1_11comp_targetILNS1_3genE10ELNS1_11target_archE1201ELNS1_3gpuE5ELNS1_3repE0EEENS1_38merge_mergepath_config_static_selectorELNS0_4arch9wavefront6targetE1EEEvSH_,"axG",@progbits,_ZN7rocprim17ROCPRIM_400000_NS6detail17trampoline_kernelINS0_14default_configENS1_38merge_sort_block_merge_config_selectorIdlEEZZNS1_27merge_sort_block_merge_implIS3_PdN6thrust23THRUST_200600_302600_NS10device_ptrIlEEjNS1_19radix_merge_compareILb0ELb0EdNS0_19identity_decomposerEEEEE10hipError_tT0_T1_T2_jT3_P12ihipStream_tbPNSt15iterator_traitsISG_E10value_typeEPNSM_ISH_E10value_typeEPSI_NS1_7vsmem_tEENKUlT_SG_SH_SI_E_clIS7_S7_SB_PlEESF_SV_SG_SH_SI_EUlSV_E0_NS1_11comp_targetILNS1_3genE10ELNS1_11target_archE1201ELNS1_3gpuE5ELNS1_3repE0EEENS1_38merge_mergepath_config_static_selectorELNS0_4arch9wavefront6targetE1EEEvSH_,comdat
	.protected	_ZN7rocprim17ROCPRIM_400000_NS6detail17trampoline_kernelINS0_14default_configENS1_38merge_sort_block_merge_config_selectorIdlEEZZNS1_27merge_sort_block_merge_implIS3_PdN6thrust23THRUST_200600_302600_NS10device_ptrIlEEjNS1_19radix_merge_compareILb0ELb0EdNS0_19identity_decomposerEEEEE10hipError_tT0_T1_T2_jT3_P12ihipStream_tbPNSt15iterator_traitsISG_E10value_typeEPNSM_ISH_E10value_typeEPSI_NS1_7vsmem_tEENKUlT_SG_SH_SI_E_clIS7_S7_SB_PlEESF_SV_SG_SH_SI_EUlSV_E0_NS1_11comp_targetILNS1_3genE10ELNS1_11target_archE1201ELNS1_3gpuE5ELNS1_3repE0EEENS1_38merge_mergepath_config_static_selectorELNS0_4arch9wavefront6targetE1EEEvSH_ ; -- Begin function _ZN7rocprim17ROCPRIM_400000_NS6detail17trampoline_kernelINS0_14default_configENS1_38merge_sort_block_merge_config_selectorIdlEEZZNS1_27merge_sort_block_merge_implIS3_PdN6thrust23THRUST_200600_302600_NS10device_ptrIlEEjNS1_19radix_merge_compareILb0ELb0EdNS0_19identity_decomposerEEEEE10hipError_tT0_T1_T2_jT3_P12ihipStream_tbPNSt15iterator_traitsISG_E10value_typeEPNSM_ISH_E10value_typeEPSI_NS1_7vsmem_tEENKUlT_SG_SH_SI_E_clIS7_S7_SB_PlEESF_SV_SG_SH_SI_EUlSV_E0_NS1_11comp_targetILNS1_3genE10ELNS1_11target_archE1201ELNS1_3gpuE5ELNS1_3repE0EEENS1_38merge_mergepath_config_static_selectorELNS0_4arch9wavefront6targetE1EEEvSH_
	.globl	_ZN7rocprim17ROCPRIM_400000_NS6detail17trampoline_kernelINS0_14default_configENS1_38merge_sort_block_merge_config_selectorIdlEEZZNS1_27merge_sort_block_merge_implIS3_PdN6thrust23THRUST_200600_302600_NS10device_ptrIlEEjNS1_19radix_merge_compareILb0ELb0EdNS0_19identity_decomposerEEEEE10hipError_tT0_T1_T2_jT3_P12ihipStream_tbPNSt15iterator_traitsISG_E10value_typeEPNSM_ISH_E10value_typeEPSI_NS1_7vsmem_tEENKUlT_SG_SH_SI_E_clIS7_S7_SB_PlEESF_SV_SG_SH_SI_EUlSV_E0_NS1_11comp_targetILNS1_3genE10ELNS1_11target_archE1201ELNS1_3gpuE5ELNS1_3repE0EEENS1_38merge_mergepath_config_static_selectorELNS0_4arch9wavefront6targetE1EEEvSH_
	.p2align	8
	.type	_ZN7rocprim17ROCPRIM_400000_NS6detail17trampoline_kernelINS0_14default_configENS1_38merge_sort_block_merge_config_selectorIdlEEZZNS1_27merge_sort_block_merge_implIS3_PdN6thrust23THRUST_200600_302600_NS10device_ptrIlEEjNS1_19radix_merge_compareILb0ELb0EdNS0_19identity_decomposerEEEEE10hipError_tT0_T1_T2_jT3_P12ihipStream_tbPNSt15iterator_traitsISG_E10value_typeEPNSM_ISH_E10value_typeEPSI_NS1_7vsmem_tEENKUlT_SG_SH_SI_E_clIS7_S7_SB_PlEESF_SV_SG_SH_SI_EUlSV_E0_NS1_11comp_targetILNS1_3genE10ELNS1_11target_archE1201ELNS1_3gpuE5ELNS1_3repE0EEENS1_38merge_mergepath_config_static_selectorELNS0_4arch9wavefront6targetE1EEEvSH_,@function
_ZN7rocprim17ROCPRIM_400000_NS6detail17trampoline_kernelINS0_14default_configENS1_38merge_sort_block_merge_config_selectorIdlEEZZNS1_27merge_sort_block_merge_implIS3_PdN6thrust23THRUST_200600_302600_NS10device_ptrIlEEjNS1_19radix_merge_compareILb0ELb0EdNS0_19identity_decomposerEEEEE10hipError_tT0_T1_T2_jT3_P12ihipStream_tbPNSt15iterator_traitsISG_E10value_typeEPNSM_ISH_E10value_typeEPSI_NS1_7vsmem_tEENKUlT_SG_SH_SI_E_clIS7_S7_SB_PlEESF_SV_SG_SH_SI_EUlSV_E0_NS1_11comp_targetILNS1_3genE10ELNS1_11target_archE1201ELNS1_3gpuE5ELNS1_3repE0EEENS1_38merge_mergepath_config_static_selectorELNS0_4arch9wavefront6targetE1EEEvSH_: ; @_ZN7rocprim17ROCPRIM_400000_NS6detail17trampoline_kernelINS0_14default_configENS1_38merge_sort_block_merge_config_selectorIdlEEZZNS1_27merge_sort_block_merge_implIS3_PdN6thrust23THRUST_200600_302600_NS10device_ptrIlEEjNS1_19radix_merge_compareILb0ELb0EdNS0_19identity_decomposerEEEEE10hipError_tT0_T1_T2_jT3_P12ihipStream_tbPNSt15iterator_traitsISG_E10value_typeEPNSM_ISH_E10value_typeEPSI_NS1_7vsmem_tEENKUlT_SG_SH_SI_E_clIS7_S7_SB_PlEESF_SV_SG_SH_SI_EUlSV_E0_NS1_11comp_targetILNS1_3genE10ELNS1_11target_archE1201ELNS1_3gpuE5ELNS1_3repE0EEENS1_38merge_mergepath_config_static_selectorELNS0_4arch9wavefront6targetE1EEEvSH_
; %bb.0:
	.section	.rodata,"a",@progbits
	.p2align	6, 0x0
	.amdhsa_kernel _ZN7rocprim17ROCPRIM_400000_NS6detail17trampoline_kernelINS0_14default_configENS1_38merge_sort_block_merge_config_selectorIdlEEZZNS1_27merge_sort_block_merge_implIS3_PdN6thrust23THRUST_200600_302600_NS10device_ptrIlEEjNS1_19radix_merge_compareILb0ELb0EdNS0_19identity_decomposerEEEEE10hipError_tT0_T1_T2_jT3_P12ihipStream_tbPNSt15iterator_traitsISG_E10value_typeEPNSM_ISH_E10value_typeEPSI_NS1_7vsmem_tEENKUlT_SG_SH_SI_E_clIS7_S7_SB_PlEESF_SV_SG_SH_SI_EUlSV_E0_NS1_11comp_targetILNS1_3genE10ELNS1_11target_archE1201ELNS1_3gpuE5ELNS1_3repE0EEENS1_38merge_mergepath_config_static_selectorELNS0_4arch9wavefront6targetE1EEEvSH_
		.amdhsa_group_segment_fixed_size 0
		.amdhsa_private_segment_fixed_size 0
		.amdhsa_kernarg_size 64
		.amdhsa_user_sgpr_count 6
		.amdhsa_user_sgpr_private_segment_buffer 1
		.amdhsa_user_sgpr_dispatch_ptr 0
		.amdhsa_user_sgpr_queue_ptr 0
		.amdhsa_user_sgpr_kernarg_segment_ptr 1
		.amdhsa_user_sgpr_dispatch_id 0
		.amdhsa_user_sgpr_flat_scratch_init 0
		.amdhsa_user_sgpr_kernarg_preload_length 0
		.amdhsa_user_sgpr_kernarg_preload_offset 0
		.amdhsa_user_sgpr_private_segment_size 0
		.amdhsa_uses_dynamic_stack 0
		.amdhsa_system_sgpr_private_segment_wavefront_offset 0
		.amdhsa_system_sgpr_workgroup_id_x 1
		.amdhsa_system_sgpr_workgroup_id_y 0
		.amdhsa_system_sgpr_workgroup_id_z 0
		.amdhsa_system_sgpr_workgroup_info 0
		.amdhsa_system_vgpr_workitem_id 0
		.amdhsa_next_free_vgpr 1
		.amdhsa_next_free_sgpr 0
		.amdhsa_accum_offset 4
		.amdhsa_reserve_vcc 0
		.amdhsa_reserve_flat_scratch 0
		.amdhsa_float_round_mode_32 0
		.amdhsa_float_round_mode_16_64 0
		.amdhsa_float_denorm_mode_32 3
		.amdhsa_float_denorm_mode_16_64 3
		.amdhsa_dx10_clamp 1
		.amdhsa_ieee_mode 1
		.amdhsa_fp16_overflow 0
		.amdhsa_tg_split 0
		.amdhsa_exception_fp_ieee_invalid_op 0
		.amdhsa_exception_fp_denorm_src 0
		.amdhsa_exception_fp_ieee_div_zero 0
		.amdhsa_exception_fp_ieee_overflow 0
		.amdhsa_exception_fp_ieee_underflow 0
		.amdhsa_exception_fp_ieee_inexact 0
		.amdhsa_exception_int_div_zero 0
	.end_amdhsa_kernel
	.section	.text._ZN7rocprim17ROCPRIM_400000_NS6detail17trampoline_kernelINS0_14default_configENS1_38merge_sort_block_merge_config_selectorIdlEEZZNS1_27merge_sort_block_merge_implIS3_PdN6thrust23THRUST_200600_302600_NS10device_ptrIlEEjNS1_19radix_merge_compareILb0ELb0EdNS0_19identity_decomposerEEEEE10hipError_tT0_T1_T2_jT3_P12ihipStream_tbPNSt15iterator_traitsISG_E10value_typeEPNSM_ISH_E10value_typeEPSI_NS1_7vsmem_tEENKUlT_SG_SH_SI_E_clIS7_S7_SB_PlEESF_SV_SG_SH_SI_EUlSV_E0_NS1_11comp_targetILNS1_3genE10ELNS1_11target_archE1201ELNS1_3gpuE5ELNS1_3repE0EEENS1_38merge_mergepath_config_static_selectorELNS0_4arch9wavefront6targetE1EEEvSH_,"axG",@progbits,_ZN7rocprim17ROCPRIM_400000_NS6detail17trampoline_kernelINS0_14default_configENS1_38merge_sort_block_merge_config_selectorIdlEEZZNS1_27merge_sort_block_merge_implIS3_PdN6thrust23THRUST_200600_302600_NS10device_ptrIlEEjNS1_19radix_merge_compareILb0ELb0EdNS0_19identity_decomposerEEEEE10hipError_tT0_T1_T2_jT3_P12ihipStream_tbPNSt15iterator_traitsISG_E10value_typeEPNSM_ISH_E10value_typeEPSI_NS1_7vsmem_tEENKUlT_SG_SH_SI_E_clIS7_S7_SB_PlEESF_SV_SG_SH_SI_EUlSV_E0_NS1_11comp_targetILNS1_3genE10ELNS1_11target_archE1201ELNS1_3gpuE5ELNS1_3repE0EEENS1_38merge_mergepath_config_static_selectorELNS0_4arch9wavefront6targetE1EEEvSH_,comdat
.Lfunc_end1575:
	.size	_ZN7rocprim17ROCPRIM_400000_NS6detail17trampoline_kernelINS0_14default_configENS1_38merge_sort_block_merge_config_selectorIdlEEZZNS1_27merge_sort_block_merge_implIS3_PdN6thrust23THRUST_200600_302600_NS10device_ptrIlEEjNS1_19radix_merge_compareILb0ELb0EdNS0_19identity_decomposerEEEEE10hipError_tT0_T1_T2_jT3_P12ihipStream_tbPNSt15iterator_traitsISG_E10value_typeEPNSM_ISH_E10value_typeEPSI_NS1_7vsmem_tEENKUlT_SG_SH_SI_E_clIS7_S7_SB_PlEESF_SV_SG_SH_SI_EUlSV_E0_NS1_11comp_targetILNS1_3genE10ELNS1_11target_archE1201ELNS1_3gpuE5ELNS1_3repE0EEENS1_38merge_mergepath_config_static_selectorELNS0_4arch9wavefront6targetE1EEEvSH_, .Lfunc_end1575-_ZN7rocprim17ROCPRIM_400000_NS6detail17trampoline_kernelINS0_14default_configENS1_38merge_sort_block_merge_config_selectorIdlEEZZNS1_27merge_sort_block_merge_implIS3_PdN6thrust23THRUST_200600_302600_NS10device_ptrIlEEjNS1_19radix_merge_compareILb0ELb0EdNS0_19identity_decomposerEEEEE10hipError_tT0_T1_T2_jT3_P12ihipStream_tbPNSt15iterator_traitsISG_E10value_typeEPNSM_ISH_E10value_typeEPSI_NS1_7vsmem_tEENKUlT_SG_SH_SI_E_clIS7_S7_SB_PlEESF_SV_SG_SH_SI_EUlSV_E0_NS1_11comp_targetILNS1_3genE10ELNS1_11target_archE1201ELNS1_3gpuE5ELNS1_3repE0EEENS1_38merge_mergepath_config_static_selectorELNS0_4arch9wavefront6targetE1EEEvSH_
                                        ; -- End function
	.section	.AMDGPU.csdata,"",@progbits
; Kernel info:
; codeLenInByte = 0
; NumSgprs: 4
; NumVgprs: 0
; NumAgprs: 0
; TotalNumVgprs: 0
; ScratchSize: 0
; MemoryBound: 0
; FloatMode: 240
; IeeeMode: 1
; LDSByteSize: 0 bytes/workgroup (compile time only)
; SGPRBlocks: 0
; VGPRBlocks: 0
; NumSGPRsForWavesPerEU: 4
; NumVGPRsForWavesPerEU: 1
; AccumOffset: 4
; Occupancy: 8
; WaveLimiterHint : 0
; COMPUTE_PGM_RSRC2:SCRATCH_EN: 0
; COMPUTE_PGM_RSRC2:USER_SGPR: 6
; COMPUTE_PGM_RSRC2:TRAP_HANDLER: 0
; COMPUTE_PGM_RSRC2:TGID_X_EN: 1
; COMPUTE_PGM_RSRC2:TGID_Y_EN: 0
; COMPUTE_PGM_RSRC2:TGID_Z_EN: 0
; COMPUTE_PGM_RSRC2:TIDIG_COMP_CNT: 0
; COMPUTE_PGM_RSRC3_GFX90A:ACCUM_OFFSET: 0
; COMPUTE_PGM_RSRC3_GFX90A:TG_SPLIT: 0
	.section	.text._ZN7rocprim17ROCPRIM_400000_NS6detail17trampoline_kernelINS0_14default_configENS1_38merge_sort_block_merge_config_selectorIdlEEZZNS1_27merge_sort_block_merge_implIS3_PdN6thrust23THRUST_200600_302600_NS10device_ptrIlEEjNS1_19radix_merge_compareILb0ELb0EdNS0_19identity_decomposerEEEEE10hipError_tT0_T1_T2_jT3_P12ihipStream_tbPNSt15iterator_traitsISG_E10value_typeEPNSM_ISH_E10value_typeEPSI_NS1_7vsmem_tEENKUlT_SG_SH_SI_E_clIS7_S7_SB_PlEESF_SV_SG_SH_SI_EUlSV_E0_NS1_11comp_targetILNS1_3genE5ELNS1_11target_archE942ELNS1_3gpuE9ELNS1_3repE0EEENS1_38merge_mergepath_config_static_selectorELNS0_4arch9wavefront6targetE1EEEvSH_,"axG",@progbits,_ZN7rocprim17ROCPRIM_400000_NS6detail17trampoline_kernelINS0_14default_configENS1_38merge_sort_block_merge_config_selectorIdlEEZZNS1_27merge_sort_block_merge_implIS3_PdN6thrust23THRUST_200600_302600_NS10device_ptrIlEEjNS1_19radix_merge_compareILb0ELb0EdNS0_19identity_decomposerEEEEE10hipError_tT0_T1_T2_jT3_P12ihipStream_tbPNSt15iterator_traitsISG_E10value_typeEPNSM_ISH_E10value_typeEPSI_NS1_7vsmem_tEENKUlT_SG_SH_SI_E_clIS7_S7_SB_PlEESF_SV_SG_SH_SI_EUlSV_E0_NS1_11comp_targetILNS1_3genE5ELNS1_11target_archE942ELNS1_3gpuE9ELNS1_3repE0EEENS1_38merge_mergepath_config_static_selectorELNS0_4arch9wavefront6targetE1EEEvSH_,comdat
	.protected	_ZN7rocprim17ROCPRIM_400000_NS6detail17trampoline_kernelINS0_14default_configENS1_38merge_sort_block_merge_config_selectorIdlEEZZNS1_27merge_sort_block_merge_implIS3_PdN6thrust23THRUST_200600_302600_NS10device_ptrIlEEjNS1_19radix_merge_compareILb0ELb0EdNS0_19identity_decomposerEEEEE10hipError_tT0_T1_T2_jT3_P12ihipStream_tbPNSt15iterator_traitsISG_E10value_typeEPNSM_ISH_E10value_typeEPSI_NS1_7vsmem_tEENKUlT_SG_SH_SI_E_clIS7_S7_SB_PlEESF_SV_SG_SH_SI_EUlSV_E0_NS1_11comp_targetILNS1_3genE5ELNS1_11target_archE942ELNS1_3gpuE9ELNS1_3repE0EEENS1_38merge_mergepath_config_static_selectorELNS0_4arch9wavefront6targetE1EEEvSH_ ; -- Begin function _ZN7rocprim17ROCPRIM_400000_NS6detail17trampoline_kernelINS0_14default_configENS1_38merge_sort_block_merge_config_selectorIdlEEZZNS1_27merge_sort_block_merge_implIS3_PdN6thrust23THRUST_200600_302600_NS10device_ptrIlEEjNS1_19radix_merge_compareILb0ELb0EdNS0_19identity_decomposerEEEEE10hipError_tT0_T1_T2_jT3_P12ihipStream_tbPNSt15iterator_traitsISG_E10value_typeEPNSM_ISH_E10value_typeEPSI_NS1_7vsmem_tEENKUlT_SG_SH_SI_E_clIS7_S7_SB_PlEESF_SV_SG_SH_SI_EUlSV_E0_NS1_11comp_targetILNS1_3genE5ELNS1_11target_archE942ELNS1_3gpuE9ELNS1_3repE0EEENS1_38merge_mergepath_config_static_selectorELNS0_4arch9wavefront6targetE1EEEvSH_
	.globl	_ZN7rocprim17ROCPRIM_400000_NS6detail17trampoline_kernelINS0_14default_configENS1_38merge_sort_block_merge_config_selectorIdlEEZZNS1_27merge_sort_block_merge_implIS3_PdN6thrust23THRUST_200600_302600_NS10device_ptrIlEEjNS1_19radix_merge_compareILb0ELb0EdNS0_19identity_decomposerEEEEE10hipError_tT0_T1_T2_jT3_P12ihipStream_tbPNSt15iterator_traitsISG_E10value_typeEPNSM_ISH_E10value_typeEPSI_NS1_7vsmem_tEENKUlT_SG_SH_SI_E_clIS7_S7_SB_PlEESF_SV_SG_SH_SI_EUlSV_E0_NS1_11comp_targetILNS1_3genE5ELNS1_11target_archE942ELNS1_3gpuE9ELNS1_3repE0EEENS1_38merge_mergepath_config_static_selectorELNS0_4arch9wavefront6targetE1EEEvSH_
	.p2align	8
	.type	_ZN7rocprim17ROCPRIM_400000_NS6detail17trampoline_kernelINS0_14default_configENS1_38merge_sort_block_merge_config_selectorIdlEEZZNS1_27merge_sort_block_merge_implIS3_PdN6thrust23THRUST_200600_302600_NS10device_ptrIlEEjNS1_19radix_merge_compareILb0ELb0EdNS0_19identity_decomposerEEEEE10hipError_tT0_T1_T2_jT3_P12ihipStream_tbPNSt15iterator_traitsISG_E10value_typeEPNSM_ISH_E10value_typeEPSI_NS1_7vsmem_tEENKUlT_SG_SH_SI_E_clIS7_S7_SB_PlEESF_SV_SG_SH_SI_EUlSV_E0_NS1_11comp_targetILNS1_3genE5ELNS1_11target_archE942ELNS1_3gpuE9ELNS1_3repE0EEENS1_38merge_mergepath_config_static_selectorELNS0_4arch9wavefront6targetE1EEEvSH_,@function
_ZN7rocprim17ROCPRIM_400000_NS6detail17trampoline_kernelINS0_14default_configENS1_38merge_sort_block_merge_config_selectorIdlEEZZNS1_27merge_sort_block_merge_implIS3_PdN6thrust23THRUST_200600_302600_NS10device_ptrIlEEjNS1_19radix_merge_compareILb0ELb0EdNS0_19identity_decomposerEEEEE10hipError_tT0_T1_T2_jT3_P12ihipStream_tbPNSt15iterator_traitsISG_E10value_typeEPNSM_ISH_E10value_typeEPSI_NS1_7vsmem_tEENKUlT_SG_SH_SI_E_clIS7_S7_SB_PlEESF_SV_SG_SH_SI_EUlSV_E0_NS1_11comp_targetILNS1_3genE5ELNS1_11target_archE942ELNS1_3gpuE9ELNS1_3repE0EEENS1_38merge_mergepath_config_static_selectorELNS0_4arch9wavefront6targetE1EEEvSH_: ; @_ZN7rocprim17ROCPRIM_400000_NS6detail17trampoline_kernelINS0_14default_configENS1_38merge_sort_block_merge_config_selectorIdlEEZZNS1_27merge_sort_block_merge_implIS3_PdN6thrust23THRUST_200600_302600_NS10device_ptrIlEEjNS1_19radix_merge_compareILb0ELb0EdNS0_19identity_decomposerEEEEE10hipError_tT0_T1_T2_jT3_P12ihipStream_tbPNSt15iterator_traitsISG_E10value_typeEPNSM_ISH_E10value_typeEPSI_NS1_7vsmem_tEENKUlT_SG_SH_SI_E_clIS7_S7_SB_PlEESF_SV_SG_SH_SI_EUlSV_E0_NS1_11comp_targetILNS1_3genE5ELNS1_11target_archE942ELNS1_3gpuE9ELNS1_3repE0EEENS1_38merge_mergepath_config_static_selectorELNS0_4arch9wavefront6targetE1EEEvSH_
; %bb.0:
	.section	.rodata,"a",@progbits
	.p2align	6, 0x0
	.amdhsa_kernel _ZN7rocprim17ROCPRIM_400000_NS6detail17trampoline_kernelINS0_14default_configENS1_38merge_sort_block_merge_config_selectorIdlEEZZNS1_27merge_sort_block_merge_implIS3_PdN6thrust23THRUST_200600_302600_NS10device_ptrIlEEjNS1_19radix_merge_compareILb0ELb0EdNS0_19identity_decomposerEEEEE10hipError_tT0_T1_T2_jT3_P12ihipStream_tbPNSt15iterator_traitsISG_E10value_typeEPNSM_ISH_E10value_typeEPSI_NS1_7vsmem_tEENKUlT_SG_SH_SI_E_clIS7_S7_SB_PlEESF_SV_SG_SH_SI_EUlSV_E0_NS1_11comp_targetILNS1_3genE5ELNS1_11target_archE942ELNS1_3gpuE9ELNS1_3repE0EEENS1_38merge_mergepath_config_static_selectorELNS0_4arch9wavefront6targetE1EEEvSH_
		.amdhsa_group_segment_fixed_size 0
		.amdhsa_private_segment_fixed_size 0
		.amdhsa_kernarg_size 64
		.amdhsa_user_sgpr_count 6
		.amdhsa_user_sgpr_private_segment_buffer 1
		.amdhsa_user_sgpr_dispatch_ptr 0
		.amdhsa_user_sgpr_queue_ptr 0
		.amdhsa_user_sgpr_kernarg_segment_ptr 1
		.amdhsa_user_sgpr_dispatch_id 0
		.amdhsa_user_sgpr_flat_scratch_init 0
		.amdhsa_user_sgpr_kernarg_preload_length 0
		.amdhsa_user_sgpr_kernarg_preload_offset 0
		.amdhsa_user_sgpr_private_segment_size 0
		.amdhsa_uses_dynamic_stack 0
		.amdhsa_system_sgpr_private_segment_wavefront_offset 0
		.amdhsa_system_sgpr_workgroup_id_x 1
		.amdhsa_system_sgpr_workgroup_id_y 0
		.amdhsa_system_sgpr_workgroup_id_z 0
		.amdhsa_system_sgpr_workgroup_info 0
		.amdhsa_system_vgpr_workitem_id 0
		.amdhsa_next_free_vgpr 1
		.amdhsa_next_free_sgpr 0
		.amdhsa_accum_offset 4
		.amdhsa_reserve_vcc 0
		.amdhsa_reserve_flat_scratch 0
		.amdhsa_float_round_mode_32 0
		.amdhsa_float_round_mode_16_64 0
		.amdhsa_float_denorm_mode_32 3
		.amdhsa_float_denorm_mode_16_64 3
		.amdhsa_dx10_clamp 1
		.amdhsa_ieee_mode 1
		.amdhsa_fp16_overflow 0
		.amdhsa_tg_split 0
		.amdhsa_exception_fp_ieee_invalid_op 0
		.amdhsa_exception_fp_denorm_src 0
		.amdhsa_exception_fp_ieee_div_zero 0
		.amdhsa_exception_fp_ieee_overflow 0
		.amdhsa_exception_fp_ieee_underflow 0
		.amdhsa_exception_fp_ieee_inexact 0
		.amdhsa_exception_int_div_zero 0
	.end_amdhsa_kernel
	.section	.text._ZN7rocprim17ROCPRIM_400000_NS6detail17trampoline_kernelINS0_14default_configENS1_38merge_sort_block_merge_config_selectorIdlEEZZNS1_27merge_sort_block_merge_implIS3_PdN6thrust23THRUST_200600_302600_NS10device_ptrIlEEjNS1_19radix_merge_compareILb0ELb0EdNS0_19identity_decomposerEEEEE10hipError_tT0_T1_T2_jT3_P12ihipStream_tbPNSt15iterator_traitsISG_E10value_typeEPNSM_ISH_E10value_typeEPSI_NS1_7vsmem_tEENKUlT_SG_SH_SI_E_clIS7_S7_SB_PlEESF_SV_SG_SH_SI_EUlSV_E0_NS1_11comp_targetILNS1_3genE5ELNS1_11target_archE942ELNS1_3gpuE9ELNS1_3repE0EEENS1_38merge_mergepath_config_static_selectorELNS0_4arch9wavefront6targetE1EEEvSH_,"axG",@progbits,_ZN7rocprim17ROCPRIM_400000_NS6detail17trampoline_kernelINS0_14default_configENS1_38merge_sort_block_merge_config_selectorIdlEEZZNS1_27merge_sort_block_merge_implIS3_PdN6thrust23THRUST_200600_302600_NS10device_ptrIlEEjNS1_19radix_merge_compareILb0ELb0EdNS0_19identity_decomposerEEEEE10hipError_tT0_T1_T2_jT3_P12ihipStream_tbPNSt15iterator_traitsISG_E10value_typeEPNSM_ISH_E10value_typeEPSI_NS1_7vsmem_tEENKUlT_SG_SH_SI_E_clIS7_S7_SB_PlEESF_SV_SG_SH_SI_EUlSV_E0_NS1_11comp_targetILNS1_3genE5ELNS1_11target_archE942ELNS1_3gpuE9ELNS1_3repE0EEENS1_38merge_mergepath_config_static_selectorELNS0_4arch9wavefront6targetE1EEEvSH_,comdat
.Lfunc_end1576:
	.size	_ZN7rocprim17ROCPRIM_400000_NS6detail17trampoline_kernelINS0_14default_configENS1_38merge_sort_block_merge_config_selectorIdlEEZZNS1_27merge_sort_block_merge_implIS3_PdN6thrust23THRUST_200600_302600_NS10device_ptrIlEEjNS1_19radix_merge_compareILb0ELb0EdNS0_19identity_decomposerEEEEE10hipError_tT0_T1_T2_jT3_P12ihipStream_tbPNSt15iterator_traitsISG_E10value_typeEPNSM_ISH_E10value_typeEPSI_NS1_7vsmem_tEENKUlT_SG_SH_SI_E_clIS7_S7_SB_PlEESF_SV_SG_SH_SI_EUlSV_E0_NS1_11comp_targetILNS1_3genE5ELNS1_11target_archE942ELNS1_3gpuE9ELNS1_3repE0EEENS1_38merge_mergepath_config_static_selectorELNS0_4arch9wavefront6targetE1EEEvSH_, .Lfunc_end1576-_ZN7rocprim17ROCPRIM_400000_NS6detail17trampoline_kernelINS0_14default_configENS1_38merge_sort_block_merge_config_selectorIdlEEZZNS1_27merge_sort_block_merge_implIS3_PdN6thrust23THRUST_200600_302600_NS10device_ptrIlEEjNS1_19radix_merge_compareILb0ELb0EdNS0_19identity_decomposerEEEEE10hipError_tT0_T1_T2_jT3_P12ihipStream_tbPNSt15iterator_traitsISG_E10value_typeEPNSM_ISH_E10value_typeEPSI_NS1_7vsmem_tEENKUlT_SG_SH_SI_E_clIS7_S7_SB_PlEESF_SV_SG_SH_SI_EUlSV_E0_NS1_11comp_targetILNS1_3genE5ELNS1_11target_archE942ELNS1_3gpuE9ELNS1_3repE0EEENS1_38merge_mergepath_config_static_selectorELNS0_4arch9wavefront6targetE1EEEvSH_
                                        ; -- End function
	.section	.AMDGPU.csdata,"",@progbits
; Kernel info:
; codeLenInByte = 0
; NumSgprs: 4
; NumVgprs: 0
; NumAgprs: 0
; TotalNumVgprs: 0
; ScratchSize: 0
; MemoryBound: 0
; FloatMode: 240
; IeeeMode: 1
; LDSByteSize: 0 bytes/workgroup (compile time only)
; SGPRBlocks: 0
; VGPRBlocks: 0
; NumSGPRsForWavesPerEU: 4
; NumVGPRsForWavesPerEU: 1
; AccumOffset: 4
; Occupancy: 8
; WaveLimiterHint : 0
; COMPUTE_PGM_RSRC2:SCRATCH_EN: 0
; COMPUTE_PGM_RSRC2:USER_SGPR: 6
; COMPUTE_PGM_RSRC2:TRAP_HANDLER: 0
; COMPUTE_PGM_RSRC2:TGID_X_EN: 1
; COMPUTE_PGM_RSRC2:TGID_Y_EN: 0
; COMPUTE_PGM_RSRC2:TGID_Z_EN: 0
; COMPUTE_PGM_RSRC2:TIDIG_COMP_CNT: 0
; COMPUTE_PGM_RSRC3_GFX90A:ACCUM_OFFSET: 0
; COMPUTE_PGM_RSRC3_GFX90A:TG_SPLIT: 0
	.section	.text._ZN7rocprim17ROCPRIM_400000_NS6detail17trampoline_kernelINS0_14default_configENS1_38merge_sort_block_merge_config_selectorIdlEEZZNS1_27merge_sort_block_merge_implIS3_PdN6thrust23THRUST_200600_302600_NS10device_ptrIlEEjNS1_19radix_merge_compareILb0ELb0EdNS0_19identity_decomposerEEEEE10hipError_tT0_T1_T2_jT3_P12ihipStream_tbPNSt15iterator_traitsISG_E10value_typeEPNSM_ISH_E10value_typeEPSI_NS1_7vsmem_tEENKUlT_SG_SH_SI_E_clIS7_S7_SB_PlEESF_SV_SG_SH_SI_EUlSV_E0_NS1_11comp_targetILNS1_3genE4ELNS1_11target_archE910ELNS1_3gpuE8ELNS1_3repE0EEENS1_38merge_mergepath_config_static_selectorELNS0_4arch9wavefront6targetE1EEEvSH_,"axG",@progbits,_ZN7rocprim17ROCPRIM_400000_NS6detail17trampoline_kernelINS0_14default_configENS1_38merge_sort_block_merge_config_selectorIdlEEZZNS1_27merge_sort_block_merge_implIS3_PdN6thrust23THRUST_200600_302600_NS10device_ptrIlEEjNS1_19radix_merge_compareILb0ELb0EdNS0_19identity_decomposerEEEEE10hipError_tT0_T1_T2_jT3_P12ihipStream_tbPNSt15iterator_traitsISG_E10value_typeEPNSM_ISH_E10value_typeEPSI_NS1_7vsmem_tEENKUlT_SG_SH_SI_E_clIS7_S7_SB_PlEESF_SV_SG_SH_SI_EUlSV_E0_NS1_11comp_targetILNS1_3genE4ELNS1_11target_archE910ELNS1_3gpuE8ELNS1_3repE0EEENS1_38merge_mergepath_config_static_selectorELNS0_4arch9wavefront6targetE1EEEvSH_,comdat
	.protected	_ZN7rocprim17ROCPRIM_400000_NS6detail17trampoline_kernelINS0_14default_configENS1_38merge_sort_block_merge_config_selectorIdlEEZZNS1_27merge_sort_block_merge_implIS3_PdN6thrust23THRUST_200600_302600_NS10device_ptrIlEEjNS1_19radix_merge_compareILb0ELb0EdNS0_19identity_decomposerEEEEE10hipError_tT0_T1_T2_jT3_P12ihipStream_tbPNSt15iterator_traitsISG_E10value_typeEPNSM_ISH_E10value_typeEPSI_NS1_7vsmem_tEENKUlT_SG_SH_SI_E_clIS7_S7_SB_PlEESF_SV_SG_SH_SI_EUlSV_E0_NS1_11comp_targetILNS1_3genE4ELNS1_11target_archE910ELNS1_3gpuE8ELNS1_3repE0EEENS1_38merge_mergepath_config_static_selectorELNS0_4arch9wavefront6targetE1EEEvSH_ ; -- Begin function _ZN7rocprim17ROCPRIM_400000_NS6detail17trampoline_kernelINS0_14default_configENS1_38merge_sort_block_merge_config_selectorIdlEEZZNS1_27merge_sort_block_merge_implIS3_PdN6thrust23THRUST_200600_302600_NS10device_ptrIlEEjNS1_19radix_merge_compareILb0ELb0EdNS0_19identity_decomposerEEEEE10hipError_tT0_T1_T2_jT3_P12ihipStream_tbPNSt15iterator_traitsISG_E10value_typeEPNSM_ISH_E10value_typeEPSI_NS1_7vsmem_tEENKUlT_SG_SH_SI_E_clIS7_S7_SB_PlEESF_SV_SG_SH_SI_EUlSV_E0_NS1_11comp_targetILNS1_3genE4ELNS1_11target_archE910ELNS1_3gpuE8ELNS1_3repE0EEENS1_38merge_mergepath_config_static_selectorELNS0_4arch9wavefront6targetE1EEEvSH_
	.globl	_ZN7rocprim17ROCPRIM_400000_NS6detail17trampoline_kernelINS0_14default_configENS1_38merge_sort_block_merge_config_selectorIdlEEZZNS1_27merge_sort_block_merge_implIS3_PdN6thrust23THRUST_200600_302600_NS10device_ptrIlEEjNS1_19radix_merge_compareILb0ELb0EdNS0_19identity_decomposerEEEEE10hipError_tT0_T1_T2_jT3_P12ihipStream_tbPNSt15iterator_traitsISG_E10value_typeEPNSM_ISH_E10value_typeEPSI_NS1_7vsmem_tEENKUlT_SG_SH_SI_E_clIS7_S7_SB_PlEESF_SV_SG_SH_SI_EUlSV_E0_NS1_11comp_targetILNS1_3genE4ELNS1_11target_archE910ELNS1_3gpuE8ELNS1_3repE0EEENS1_38merge_mergepath_config_static_selectorELNS0_4arch9wavefront6targetE1EEEvSH_
	.p2align	8
	.type	_ZN7rocprim17ROCPRIM_400000_NS6detail17trampoline_kernelINS0_14default_configENS1_38merge_sort_block_merge_config_selectorIdlEEZZNS1_27merge_sort_block_merge_implIS3_PdN6thrust23THRUST_200600_302600_NS10device_ptrIlEEjNS1_19radix_merge_compareILb0ELb0EdNS0_19identity_decomposerEEEEE10hipError_tT0_T1_T2_jT3_P12ihipStream_tbPNSt15iterator_traitsISG_E10value_typeEPNSM_ISH_E10value_typeEPSI_NS1_7vsmem_tEENKUlT_SG_SH_SI_E_clIS7_S7_SB_PlEESF_SV_SG_SH_SI_EUlSV_E0_NS1_11comp_targetILNS1_3genE4ELNS1_11target_archE910ELNS1_3gpuE8ELNS1_3repE0EEENS1_38merge_mergepath_config_static_selectorELNS0_4arch9wavefront6targetE1EEEvSH_,@function
_ZN7rocprim17ROCPRIM_400000_NS6detail17trampoline_kernelINS0_14default_configENS1_38merge_sort_block_merge_config_selectorIdlEEZZNS1_27merge_sort_block_merge_implIS3_PdN6thrust23THRUST_200600_302600_NS10device_ptrIlEEjNS1_19radix_merge_compareILb0ELb0EdNS0_19identity_decomposerEEEEE10hipError_tT0_T1_T2_jT3_P12ihipStream_tbPNSt15iterator_traitsISG_E10value_typeEPNSM_ISH_E10value_typeEPSI_NS1_7vsmem_tEENKUlT_SG_SH_SI_E_clIS7_S7_SB_PlEESF_SV_SG_SH_SI_EUlSV_E0_NS1_11comp_targetILNS1_3genE4ELNS1_11target_archE910ELNS1_3gpuE8ELNS1_3repE0EEENS1_38merge_mergepath_config_static_selectorELNS0_4arch9wavefront6targetE1EEEvSH_: ; @_ZN7rocprim17ROCPRIM_400000_NS6detail17trampoline_kernelINS0_14default_configENS1_38merge_sort_block_merge_config_selectorIdlEEZZNS1_27merge_sort_block_merge_implIS3_PdN6thrust23THRUST_200600_302600_NS10device_ptrIlEEjNS1_19radix_merge_compareILb0ELb0EdNS0_19identity_decomposerEEEEE10hipError_tT0_T1_T2_jT3_P12ihipStream_tbPNSt15iterator_traitsISG_E10value_typeEPNSM_ISH_E10value_typeEPSI_NS1_7vsmem_tEENKUlT_SG_SH_SI_E_clIS7_S7_SB_PlEESF_SV_SG_SH_SI_EUlSV_E0_NS1_11comp_targetILNS1_3genE4ELNS1_11target_archE910ELNS1_3gpuE8ELNS1_3repE0EEENS1_38merge_mergepath_config_static_selectorELNS0_4arch9wavefront6targetE1EEEvSH_
; %bb.0:
	s_load_dwordx2 s[24:25], s[4:5], 0x40
	s_load_dword s0, s[4:5], 0x30
	s_add_u32 s20, s4, 64
	s_addc_u32 s21, s5, 0
	s_waitcnt lgkmcnt(0)
	s_mul_i32 s1, s25, s8
	s_add_i32 s1, s1, s7
	s_mul_i32 s1, s1, s24
	s_add_i32 s22, s1, s6
	s_cmp_ge_u32 s22, s0
	s_cbranch_scc1 .LBB1577_45
; %bb.1:
	s_load_dwordx8 s[8:15], s[4:5], 0x10
	s_load_dwordx2 s[28:29], s[4:5], 0x8
	s_load_dwordx2 s[0:1], s[4:5], 0x38
	s_mov_b32 s23, 0
	v_mov_b32_e32 v3, 0
	s_waitcnt lgkmcnt(0)
	s_lshr_b32 s30, s14, 10
	s_cmp_lg_u32 s22, s30
	s_cselect_b64 s[4:5], -1, 0
	s_lshl_b64 s[2:3], s[22:23], 2
	s_add_u32 s0, s0, s2
	s_addc_u32 s1, s1, s3
	s_load_dwordx2 s[16:17], s[0:1], 0x0
	s_lshr_b32 s0, s15, 9
	s_and_b32 s0, s0, 0x7ffffe
	s_sub_i32 s1, 0, s0
	s_and_b32 s0, s22, s1
	s_lshl_b32 s3, s0, 10
	s_lshl_b32 s2, s22, 10
	;; [unrolled: 1-line block ×3, first 2 shown]
	s_sub_i32 s7, s2, s3
	s_add_i32 s18, s0, s15
	s_add_i32 s7, s18, s7
	s_waitcnt lgkmcnt(0)
	s_sub_i32 s0, s7, s16
	s_sub_i32 s7, s7, s17
	s_sub_i32 s3, s18, s3
	s_min_u32 s0, s14, s0
	s_addk_i32 s7, 0x400
	s_or_b32 s1, s22, s1
	s_min_u32 s18, s14, s3
	s_add_i32 s3, s3, s15
	s_cmp_eq_u32 s1, -1
	s_cselect_b32 s1, s3, s7
	s_cselect_b32 s3, s18, s17
	s_mov_b32 s17, s23
	s_min_u32 s15, s1, s14
	s_sub_i32 s3, s3, s16
	s_lshl_b64 s[16:17], s[16:17], 3
	s_add_u32 s26, s28, s16
	s_mov_b32 s1, s23
	s_addc_u32 s27, s29, s17
	s_lshl_b64 s[18:19], s[0:1], 3
	s_add_u32 s23, s28, s18
	s_addc_u32 s25, s29, s19
	s_cmp_lt_u32 s6, s24
	s_cselect_b32 s1, 12, 18
	global_load_dword v1, v3, s[20:21] offset:14
	s_add_u32 s6, s20, s1
	s_addc_u32 s7, s21, 0
	global_load_ushort v2, v3, s[6:7]
	s_cmp_eq_u32 s22, s30
	s_waitcnt vmcnt(1)
	v_lshrrev_b32_e32 v4, 16, v1
	v_and_b32_e32 v1, 0xffff, v1
	v_mul_lo_u32 v1, v1, v4
	s_waitcnt vmcnt(0)
	v_mul_lo_u32 v9, v1, v2
	v_lshlrev_b32_e32 v1, 3, v0
	v_add_u32_e32 v8, v9, v0
	s_cbranch_scc1 .LBB1577_3
; %bb.2:
	v_mov_b32_e32 v2, s27
	v_add_co_u32_e32 v4, vcc, s26, v1
	v_addc_co_u32_e32 v5, vcc, 0, v2, vcc
	v_subrev_u32_e32 v2, s3, v0
	v_lshlrev_b64 v[2:3], 3, v[2:3]
	v_mov_b32_e32 v6, s25
	v_add_co_u32_e32 v2, vcc, s23, v2
	v_addc_co_u32_e32 v3, vcc, v6, v3, vcc
	v_cmp_gt_u32_e32 vcc, s3, v0
	v_cndmask_b32_e32 v3, v3, v5, vcc
	v_cndmask_b32_e32 v2, v2, v4, vcc
	global_load_dwordx2 v[6:7], v[2:3], off
	v_add_u32_e32 v10, v9, v0
	s_mov_b64 s[6:7], -1
	s_sub_i32 s15, s15, s0
	s_cbranch_execz .LBB1577_4
	s_branch .LBB1577_7
.LBB1577_3:
	s_mov_b64 s[6:7], 0
                                        ; implicit-def: $vgpr6_vgpr7
                                        ; implicit-def: $vgpr10
	s_sub_i32 s15, s15, s0
.LBB1577_4:
	s_add_i32 s6, s15, s3
	v_cmp_gt_u32_e32 vcc, s6, v0
                                        ; implicit-def: $vgpr6_vgpr7
	s_and_saveexec_b64 s[0:1], vcc
	s_cbranch_execz .LBB1577_6
; %bb.5:
	v_mov_b32_e32 v2, s27
	v_add_co_u32_e32 v4, vcc, s26, v1
	v_mov_b32_e32 v3, 0
	v_addc_co_u32_e32 v5, vcc, 0, v2, vcc
	v_subrev_u32_e32 v2, s3, v0
	v_lshlrev_b64 v[2:3], 3, v[2:3]
	s_waitcnt vmcnt(0)
	v_mov_b32_e32 v6, s25
	v_add_co_u32_e32 v2, vcc, s23, v2
	v_addc_co_u32_e32 v3, vcc, v6, v3, vcc
	v_cmp_gt_u32_e32 vcc, s3, v0
	v_cndmask_b32_e32 v3, v3, v5, vcc
	v_cndmask_b32_e32 v2, v2, v4, vcc
	global_load_dwordx2 v[6:7], v[2:3], off
.LBB1577_6:
	s_or_b64 exec, exec, s[0:1]
	v_add_u32_e32 v10, v9, v0
	v_cmp_gt_u32_e64 s[6:7], s6, v10
.LBB1577_7:
	s_and_saveexec_b64 s[20:21], s[6:7]
                                        ; implicit-def: $vgpr2_vgpr3_vgpr4_vgpr5
	s_cbranch_execz .LBB1577_9
; %bb.8:
	v_mov_b32_e32 v11, 0
	v_lshlrev_b64 v[2:3], 3, v[10:11]
	v_mov_b32_e32 v4, s27
	v_add_co_u32_e32 v5, vcc, s26, v2
	v_addc_co_u32_e32 v4, vcc, v4, v3, vcc
	v_cmp_gt_u32_e32 vcc, s3, v10
	v_subrev_u32_e32 v10, s3, v10
	v_lshlrev_b64 v[2:3], 3, v[10:11]
	v_mov_b32_e32 v10, s25
	v_add_co_u32_e64 v2, s[0:1], s23, v2
	v_addc_co_u32_e64 v3, s[0:1], v10, v3, s[0:1]
	v_cndmask_b32_e32 v3, v3, v4, vcc
	v_cndmask_b32_e32 v2, v2, v5, vcc
	global_load_dwordx2 v[4:5], v[2:3], off
.LBB1577_9:
	s_or_b64 exec, exec, s[20:21]
	s_add_u32 s16, s10, s16
	s_addc_u32 s17, s11, s17
	s_add_u32 s10, s10, s18
	s_addc_u32 s11, s11, s19
	s_andn2_b64 vcc, exec, s[4:5]
	s_waitcnt vmcnt(0)
	ds_write2st64_b64 v1, v[6:7], v[4:5] offset1:8
	s_cbranch_vccnz .LBB1577_12
; %bb.10:
	v_subrev_u32_e32 v2, s3, v0
	v_mov_b32_e32 v3, 0
	v_lshlrev_b64 v[2:3], 3, v[2:3]
	v_mov_b32_e32 v10, s11
	v_add_co_u32_e32 v2, vcc, s10, v2
	v_addc_co_u32_e32 v3, vcc, v10, v3, vcc
	v_mov_b32_e32 v10, s17
	v_add_co_u32_e32 v11, vcc, s16, v1
	v_addc_co_u32_e32 v10, vcc, 0, v10, vcc
	v_cmp_gt_u32_e32 vcc, s3, v0
	v_cndmask_b32_e32 v3, v3, v10, vcc
	v_cndmask_b32_e32 v2, v2, v11, vcc
	global_load_dwordx2 v[2:3], v[2:3], off
	v_add_u32_e32 v9, v9, v0
	s_add_i32 s18, s15, s3
	s_mov_b64 s[0:1], -1
	s_cbranch_execz .LBB1577_13
; %bb.11:
	v_mov_b32_e32 v8, v9
	v_mov_b32_e32 v15, s18
                                        ; implicit-def: $vgpr10_vgpr11
	s_and_saveexec_b64 s[6:7], s[0:1]
	s_cbranch_execnz .LBB1577_16
	s_branch .LBB1577_17
.LBB1577_12:
	s_mov_b64 s[0:1], 0
                                        ; implicit-def: $vgpr2_vgpr3
                                        ; implicit-def: $vgpr9
                                        ; implicit-def: $sgpr18
.LBB1577_13:
	s_add_i32 s18, s15, s3
	v_cmp_gt_u32_e32 vcc, s18, v0
                                        ; implicit-def: $vgpr2_vgpr3
	s_and_saveexec_b64 s[0:1], vcc
	s_cbranch_execz .LBB1577_15
; %bb.14:
	s_waitcnt vmcnt(0)
	v_mov_b32_e32 v2, s17
	v_add_co_u32_e32 v9, vcc, s16, v1
	v_mov_b32_e32 v3, 0
	v_addc_co_u32_e32 v10, vcc, 0, v2, vcc
	v_subrev_u32_e32 v2, s3, v0
	v_lshlrev_b64 v[2:3], 3, v[2:3]
	v_mov_b32_e32 v11, s11
	v_add_co_u32_e32 v2, vcc, s10, v2
	v_addc_co_u32_e32 v3, vcc, v11, v3, vcc
	v_cmp_gt_u32_e32 vcc, s3, v0
	v_cndmask_b32_e32 v3, v3, v10, vcc
	v_cndmask_b32_e32 v2, v2, v9, vcc
	global_load_dwordx2 v[2:3], v[2:3], off
.LBB1577_15:
	s_or_b64 exec, exec, s[0:1]
	v_cmp_gt_u32_e64 s[0:1], s18, v8
	v_mov_b32_e32 v15, s18
                                        ; implicit-def: $vgpr10_vgpr11
	s_and_saveexec_b64 s[6:7], s[0:1]
	s_cbranch_execz .LBB1577_17
.LBB1577_16:
	v_subrev_u32_e32 v10, s3, v8
	v_mov_b32_e32 v11, 0
	v_lshlrev_b64 v[12:13], 3, v[10:11]
	v_mov_b32_e32 v9, s11
	v_add_co_u32_e32 v12, vcc, s10, v12
	v_addc_co_u32_e32 v13, vcc, v9, v13, vcc
	v_mov_b32_e32 v9, v11
	v_lshlrev_b64 v[10:11], 3, v[8:9]
	v_mov_b32_e32 v9, s17
	v_add_co_u32_e32 v10, vcc, s16, v10
	v_addc_co_u32_e32 v9, vcc, v9, v11, vcc
	v_cmp_gt_u32_e32 vcc, s3, v8
	v_cndmask_b32_e32 v9, v13, v9, vcc
	v_cndmask_b32_e32 v8, v12, v10, vcc
	global_load_dwordx2 v[10:11], v[8:9], off
	v_mov_b32_e32 v15, s18
.LBB1577_17:
	s_or_b64 exec, exec, s[6:7]
	v_lshlrev_b32_e32 v14, 1, v0
	v_min_u32_e32 v8, v15, v14
	v_sub_u32_e64 v16, v8, s15 clamp
	v_min_u32_e32 v9, s3, v8
	v_cmp_lt_u32_e32 vcc, v16, v9
	s_waitcnt lgkmcnt(0)
	s_barrier
	s_and_saveexec_b64 s[0:1], vcc
	s_cbranch_execz .LBB1577_21
; %bb.18:
	v_lshlrev_b32_e32 v12, 3, v8
	v_lshl_add_u32 v12, s3, 3, v12
	s_mov_b64 s[6:7], 0
.LBB1577_19:                            ; =>This Inner Loop Header: Depth=1
	v_add_u32_e32 v13, v9, v16
	v_lshrrev_b32_e32 v13, 1, v13
	v_not_b32_e32 v17, v13
	v_lshlrev_b32_e32 v18, 3, v13
	v_lshl_add_u32 v17, v17, 3, v12
	ds_read_b64 v[18:19], v18
	ds_read_b64 v[20:21], v17
	v_add_u32_e32 v22, 1, v13
	s_waitcnt lgkmcnt(1)
	v_add_f64 v[18:19], v[18:19], 0
	s_waitcnt lgkmcnt(0)
	v_add_f64 v[20:21], v[20:21], 0
	v_ashrrev_i32_e32 v17, 31, v19
	v_or_b32_e32 v23, 0x80000000, v17
	v_xor_b32_e32 v18, v17, v18
	v_ashrrev_i32_e32 v17, 31, v21
	v_xor_b32_e32 v19, v23, v19
	v_or_b32_e32 v23, 0x80000000, v17
	v_xor_b32_e32 v20, v17, v20
	v_xor_b32_e32 v21, v23, v21
	v_cmp_gt_u64_e32 vcc, v[18:19], v[20:21]
	v_cndmask_b32_e32 v9, v9, v13, vcc
	v_cndmask_b32_e32 v16, v22, v16, vcc
	v_cmp_ge_u32_e32 vcc, v16, v9
	s_or_b64 s[6:7], vcc, s[6:7]
	s_andn2_b64 exec, exec, s[6:7]
	s_cbranch_execnz .LBB1577_19
; %bb.20:
	s_or_b64 exec, exec, s[6:7]
.LBB1577_21:
	s_or_b64 exec, exec, s[0:1]
	v_sub_u32_e32 v8, v8, v16
	v_add_u32_e32 v18, s3, v8
	v_cmp_ge_u32_e32 vcc, s3, v16
	v_cmp_le_u32_e64 s[0:1], v18, v15
	s_or_b64 s[0:1], vcc, s[0:1]
                                        ; implicit-def: $vgpr19
                                        ; implicit-def: $vgpr17
	s_and_saveexec_b64 s[6:7], s[0:1]
	s_cbranch_execz .LBB1577_33
; %bb.22:
	v_cmp_le_u32_e32 vcc, s3, v16
	v_cmp_gt_u32_e64 s[0:1], s3, v16
                                        ; implicit-def: $vgpr4_vgpr5
	s_and_saveexec_b64 s[10:11], s[0:1]
	s_cbranch_execz .LBB1577_24
; %bb.23:
	v_lshlrev_b32_e32 v4, 3, v16
	ds_read_b64 v[4:5], v4
.LBB1577_24:
	s_or_b64 exec, exec, s[10:11]
	v_cmp_ge_u32_e64 s[10:11], v18, v15
	v_cmp_lt_u32_e64 s[0:1], v18, v15
                                        ; implicit-def: $vgpr6_vgpr7
	s_and_saveexec_b64 s[16:17], s[0:1]
	s_cbranch_execz .LBB1577_26
; %bb.25:
	v_lshlrev_b32_e32 v6, 3, v18
	ds_read_b64 v[6:7], v6
.LBB1577_26:
	s_or_b64 exec, exec, s[16:17]
	s_or_b64 s[16:17], vcc, s[10:11]
	s_mov_b64 s[0:1], -1
	s_xor_b64 s[18:19], s[16:17], -1
	s_and_saveexec_b64 s[16:17], s[18:19]
	s_cbranch_execz .LBB1577_28
; %bb.27:
	s_waitcnt lgkmcnt(0)
	v_add_f64 v[8:9], v[4:5], 0
	v_add_f64 v[12:13], v[6:7], 0
	v_ashrrev_i32_e32 v17, 31, v9
	v_or_b32_e32 v19, 0x80000000, v17
	v_xor_b32_e32 v8, v17, v8
	v_ashrrev_i32_e32 v17, 31, v13
	v_xor_b32_e32 v9, v19, v9
	v_or_b32_e32 v19, 0x80000000, v17
	v_xor_b32_e32 v13, v19, v13
	v_xor_b32_e32 v12, v17, v12
	v_cmp_le_u64_e32 vcc, v[8:9], v[12:13]
	s_andn2_b64 s[10:11], s[10:11], exec
	s_and_b64 s[18:19], vcc, exec
	s_or_b64 s[10:11], s[10:11], s[18:19]
.LBB1577_28:
	s_or_b64 exec, exec, s[16:17]
	v_mov_b32_e32 v8, s3
	v_cndmask_b32_e64 v17, v18, v16, s[10:11]
	v_cndmask_b32_e64 v8, v15, v8, s[10:11]
	v_add_u32_e32 v19, 1, v17
	v_add_u32_e32 v8, -1, v8
	v_min_u32_e32 v8, v19, v8
	v_lshlrev_b32_e32 v8, 3, v8
	ds_read_b64 v[12:13], v8
	v_cndmask_b32_e64 v18, v19, v18, s[10:11]
	v_cndmask_b32_e64 v16, v16, v19, s[10:11]
	v_cmp_lt_u32_e32 vcc, v18, v15
	s_waitcnt lgkmcnt(0)
	v_cndmask_b32_e64 v9, v13, v7, s[10:11]
	v_cndmask_b32_e64 v8, v12, v6, s[10:11]
	;; [unrolled: 1-line block ×4, first 2 shown]
	s_and_saveexec_b64 s[16:17], vcc
	s_cbranch_execz .LBB1577_32
; %bb.29:
	v_cmp_gt_u32_e32 vcc, s3, v16
	s_mov_b64 s[18:19], 0
	s_and_saveexec_b64 s[0:1], vcc
	s_cbranch_execz .LBB1577_31
; %bb.30:
	v_add_f64 v[20:21], v[12:13], 0
	v_add_f64 v[22:23], v[8:9], 0
	v_ashrrev_i32_e32 v15, 31, v21
	v_or_b32_e32 v19, 0x80000000, v15
	v_xor_b32_e32 v20, v15, v20
	v_ashrrev_i32_e32 v15, 31, v23
	v_xor_b32_e32 v21, v19, v21
	v_or_b32_e32 v19, 0x80000000, v15
	v_xor_b32_e32 v23, v19, v23
	v_xor_b32_e32 v22, v15, v22
	v_cmp_le_u64_e32 vcc, v[20:21], v[22:23]
	s_and_b64 s[18:19], vcc, exec
.LBB1577_31:
	s_or_b64 exec, exec, s[0:1]
	s_orn2_b64 s[0:1], s[18:19], exec
.LBB1577_32:
	s_or_b64 exec, exec, s[16:17]
	v_cndmask_b32_e64 v7, v7, v5, s[10:11]
	v_cndmask_b32_e64 v6, v6, v4, s[10:11]
	;; [unrolled: 1-line block ×5, first 2 shown]
.LBB1577_33:
	s_or_b64 exec, exec, s[6:7]
	s_barrier
	s_waitcnt vmcnt(0)
	ds_write2st64_b64 v1, v[2:3], v[10:11] offset1:8
	v_lshrrev_b32_e32 v10, 1, v0
	v_and_b32_e32 v10, 0xf8, v10
	v_lshlrev_b32_e32 v2, 3, v17
	v_lshlrev_b32_e32 v8, 3, v19
	v_lshl_add_u32 v11, v14, 3, v10
	s_waitcnt lgkmcnt(0)
	s_barrier
	ds_read_b64 v[2:3], v2
	ds_read_b64 v[8:9], v8
	s_waitcnt lgkmcnt(0)
	s_barrier
	s_barrier
	s_mov_b32 s3, 0
	ds_write2_b64 v11, v[6:7], v[4:5] offset1:1
	v_lshrrev_b32_e32 v4, 2, v0
	s_lshl_b64 s[6:7], s[2:3], 3
	v_and_b32_e32 v4, 0x78, v4
	v_or_b32_e32 v13, 0x200, v0
	s_add_u32 s0, s8, s6
	v_add_u32_e32 v10, v1, v4
	v_lshrrev_b32_e32 v4, 2, v13
	s_addc_u32 s1, s9, s7
	v_and_b32_e32 v4, 0xf8, v4
	v_add_u32_e32 v12, v1, v4
	v_mov_b32_e32 v5, s1
	v_add_co_u32_e32 v4, vcc, s0, v1
	v_addc_co_u32_e32 v5, vcc, 0, v5, vcc
	s_and_b64 vcc, exec, s[4:5]
	s_waitcnt lgkmcnt(0)
	s_cbranch_vccz .LBB1577_35
; %bb.34:
	s_barrier
	ds_read_b64 v[6:7], v10
	ds_read_b64 v[14:15], v12 offset:4096
	s_add_u32 s0, s12, s6
	s_addc_u32 s1, s13, s7
	s_mov_b64 s[4:5], -1
	s_waitcnt lgkmcnt(1)
	global_store_dwordx2 v[4:5], v[6:7], off
	v_add_co_u32_e32 v6, vcc, 0x1000, v4
	v_addc_co_u32_e32 v7, vcc, 0, v5, vcc
	s_waitcnt lgkmcnt(0)
	global_store_dwordx2 v[6:7], v[14:15], off
	s_barrier
	ds_write2_b64 v11, v[2:3], v[8:9] offset1:1
	s_waitcnt lgkmcnt(0)
	s_barrier
	ds_read_b64 v[14:15], v10
	ds_read_b64 v[6:7], v12 offset:4096
	s_waitcnt lgkmcnt(1)
	global_store_dwordx2 v1, v[14:15], s[0:1]
	s_cbranch_execz .LBB1577_36
	s_branch .LBB1577_43
.LBB1577_35:
	s_mov_b64 s[4:5], 0
                                        ; implicit-def: $vgpr6_vgpr7
.LBB1577_36:
	s_barrier
	s_waitcnt lgkmcnt(0)
	ds_read_b64 v[6:7], v12 offset:4096
	s_sub_i32 s4, s14, s2
	v_cmp_gt_u32_e64 s[0:1], s4, v0
	s_and_saveexec_b64 s[2:3], s[0:1]
	s_cbranch_execz .LBB1577_38
; %bb.37:
	ds_read_b64 v[14:15], v10
	s_waitcnt lgkmcnt(0)
	global_store_dwordx2 v[4:5], v[14:15], off
.LBB1577_38:
	s_or_b64 exec, exec, s[2:3]
	v_cmp_gt_u32_e64 s[4:5], s4, v13
	s_and_saveexec_b64 s[2:3], s[4:5]
	s_cbranch_execz .LBB1577_40
; %bb.39:
	v_add_co_u32_e32 v4, vcc, 0x1000, v4
	v_addc_co_u32_e32 v5, vcc, 0, v5, vcc
	s_waitcnt lgkmcnt(0)
	global_store_dwordx2 v[4:5], v[6:7], off
.LBB1577_40:
	s_or_b64 exec, exec, s[2:3]
	s_waitcnt lgkmcnt(0)
	s_barrier
	ds_write2_b64 v11, v[2:3], v[8:9] offset1:1
	s_waitcnt lgkmcnt(0)
	s_barrier
	ds_read_b64 v[6:7], v12 offset:4096
	s_and_saveexec_b64 s[2:3], s[0:1]
	s_cbranch_execz .LBB1577_42
; %bb.41:
	ds_read_b64 v[2:3], v10
	s_add_u32 s0, s12, s6
	s_addc_u32 s1, s13, s7
	s_waitcnt lgkmcnt(0)
	global_store_dwordx2 v1, v[2:3], s[0:1]
.LBB1577_42:
	s_or_b64 exec, exec, s[2:3]
.LBB1577_43:
	s_and_saveexec_b64 s[0:1], s[4:5]
	s_cbranch_execz .LBB1577_45
; %bb.44:
	s_add_u32 s0, s12, s6
	s_addc_u32 s1, s13, s7
	v_mov_b32_e32 v0, s1
	v_add_co_u32_e32 v1, vcc, s0, v1
	v_addc_co_u32_e32 v2, vcc, 0, v0, vcc
	v_add_co_u32_e32 v0, vcc, 0x1000, v1
	v_addc_co_u32_e32 v1, vcc, 0, v2, vcc
	s_waitcnt lgkmcnt(0)
	global_store_dwordx2 v[0:1], v[6:7], off
.LBB1577_45:
	s_endpgm
	.section	.rodata,"a",@progbits
	.p2align	6, 0x0
	.amdhsa_kernel _ZN7rocprim17ROCPRIM_400000_NS6detail17trampoline_kernelINS0_14default_configENS1_38merge_sort_block_merge_config_selectorIdlEEZZNS1_27merge_sort_block_merge_implIS3_PdN6thrust23THRUST_200600_302600_NS10device_ptrIlEEjNS1_19radix_merge_compareILb0ELb0EdNS0_19identity_decomposerEEEEE10hipError_tT0_T1_T2_jT3_P12ihipStream_tbPNSt15iterator_traitsISG_E10value_typeEPNSM_ISH_E10value_typeEPSI_NS1_7vsmem_tEENKUlT_SG_SH_SI_E_clIS7_S7_SB_PlEESF_SV_SG_SH_SI_EUlSV_E0_NS1_11comp_targetILNS1_3genE4ELNS1_11target_archE910ELNS1_3gpuE8ELNS1_3repE0EEENS1_38merge_mergepath_config_static_selectorELNS0_4arch9wavefront6targetE1EEEvSH_
		.amdhsa_group_segment_fixed_size 8448
		.amdhsa_private_segment_fixed_size 0
		.amdhsa_kernarg_size 320
		.amdhsa_user_sgpr_count 6
		.amdhsa_user_sgpr_private_segment_buffer 1
		.amdhsa_user_sgpr_dispatch_ptr 0
		.amdhsa_user_sgpr_queue_ptr 0
		.amdhsa_user_sgpr_kernarg_segment_ptr 1
		.amdhsa_user_sgpr_dispatch_id 0
		.amdhsa_user_sgpr_flat_scratch_init 0
		.amdhsa_user_sgpr_kernarg_preload_length 0
		.amdhsa_user_sgpr_kernarg_preload_offset 0
		.amdhsa_user_sgpr_private_segment_size 0
		.amdhsa_uses_dynamic_stack 0
		.amdhsa_system_sgpr_private_segment_wavefront_offset 0
		.amdhsa_system_sgpr_workgroup_id_x 1
		.amdhsa_system_sgpr_workgroup_id_y 1
		.amdhsa_system_sgpr_workgroup_id_z 1
		.amdhsa_system_sgpr_workgroup_info 0
		.amdhsa_system_vgpr_workitem_id 0
		.amdhsa_next_free_vgpr 24
		.amdhsa_next_free_sgpr 31
		.amdhsa_accum_offset 24
		.amdhsa_reserve_vcc 1
		.amdhsa_reserve_flat_scratch 0
		.amdhsa_float_round_mode_32 0
		.amdhsa_float_round_mode_16_64 0
		.amdhsa_float_denorm_mode_32 3
		.amdhsa_float_denorm_mode_16_64 3
		.amdhsa_dx10_clamp 1
		.amdhsa_ieee_mode 1
		.amdhsa_fp16_overflow 0
		.amdhsa_tg_split 0
		.amdhsa_exception_fp_ieee_invalid_op 0
		.amdhsa_exception_fp_denorm_src 0
		.amdhsa_exception_fp_ieee_div_zero 0
		.amdhsa_exception_fp_ieee_overflow 0
		.amdhsa_exception_fp_ieee_underflow 0
		.amdhsa_exception_fp_ieee_inexact 0
		.amdhsa_exception_int_div_zero 0
	.end_amdhsa_kernel
	.section	.text._ZN7rocprim17ROCPRIM_400000_NS6detail17trampoline_kernelINS0_14default_configENS1_38merge_sort_block_merge_config_selectorIdlEEZZNS1_27merge_sort_block_merge_implIS3_PdN6thrust23THRUST_200600_302600_NS10device_ptrIlEEjNS1_19radix_merge_compareILb0ELb0EdNS0_19identity_decomposerEEEEE10hipError_tT0_T1_T2_jT3_P12ihipStream_tbPNSt15iterator_traitsISG_E10value_typeEPNSM_ISH_E10value_typeEPSI_NS1_7vsmem_tEENKUlT_SG_SH_SI_E_clIS7_S7_SB_PlEESF_SV_SG_SH_SI_EUlSV_E0_NS1_11comp_targetILNS1_3genE4ELNS1_11target_archE910ELNS1_3gpuE8ELNS1_3repE0EEENS1_38merge_mergepath_config_static_selectorELNS0_4arch9wavefront6targetE1EEEvSH_,"axG",@progbits,_ZN7rocprim17ROCPRIM_400000_NS6detail17trampoline_kernelINS0_14default_configENS1_38merge_sort_block_merge_config_selectorIdlEEZZNS1_27merge_sort_block_merge_implIS3_PdN6thrust23THRUST_200600_302600_NS10device_ptrIlEEjNS1_19radix_merge_compareILb0ELb0EdNS0_19identity_decomposerEEEEE10hipError_tT0_T1_T2_jT3_P12ihipStream_tbPNSt15iterator_traitsISG_E10value_typeEPNSM_ISH_E10value_typeEPSI_NS1_7vsmem_tEENKUlT_SG_SH_SI_E_clIS7_S7_SB_PlEESF_SV_SG_SH_SI_EUlSV_E0_NS1_11comp_targetILNS1_3genE4ELNS1_11target_archE910ELNS1_3gpuE8ELNS1_3repE0EEENS1_38merge_mergepath_config_static_selectorELNS0_4arch9wavefront6targetE1EEEvSH_,comdat
.Lfunc_end1577:
	.size	_ZN7rocprim17ROCPRIM_400000_NS6detail17trampoline_kernelINS0_14default_configENS1_38merge_sort_block_merge_config_selectorIdlEEZZNS1_27merge_sort_block_merge_implIS3_PdN6thrust23THRUST_200600_302600_NS10device_ptrIlEEjNS1_19radix_merge_compareILb0ELb0EdNS0_19identity_decomposerEEEEE10hipError_tT0_T1_T2_jT3_P12ihipStream_tbPNSt15iterator_traitsISG_E10value_typeEPNSM_ISH_E10value_typeEPSI_NS1_7vsmem_tEENKUlT_SG_SH_SI_E_clIS7_S7_SB_PlEESF_SV_SG_SH_SI_EUlSV_E0_NS1_11comp_targetILNS1_3genE4ELNS1_11target_archE910ELNS1_3gpuE8ELNS1_3repE0EEENS1_38merge_mergepath_config_static_selectorELNS0_4arch9wavefront6targetE1EEEvSH_, .Lfunc_end1577-_ZN7rocprim17ROCPRIM_400000_NS6detail17trampoline_kernelINS0_14default_configENS1_38merge_sort_block_merge_config_selectorIdlEEZZNS1_27merge_sort_block_merge_implIS3_PdN6thrust23THRUST_200600_302600_NS10device_ptrIlEEjNS1_19radix_merge_compareILb0ELb0EdNS0_19identity_decomposerEEEEE10hipError_tT0_T1_T2_jT3_P12ihipStream_tbPNSt15iterator_traitsISG_E10value_typeEPNSM_ISH_E10value_typeEPSI_NS1_7vsmem_tEENKUlT_SG_SH_SI_E_clIS7_S7_SB_PlEESF_SV_SG_SH_SI_EUlSV_E0_NS1_11comp_targetILNS1_3genE4ELNS1_11target_archE910ELNS1_3gpuE8ELNS1_3repE0EEENS1_38merge_mergepath_config_static_selectorELNS0_4arch9wavefront6targetE1EEEvSH_
                                        ; -- End function
	.section	.AMDGPU.csdata,"",@progbits
; Kernel info:
; codeLenInByte = 2104
; NumSgprs: 35
; NumVgprs: 24
; NumAgprs: 0
; TotalNumVgprs: 24
; ScratchSize: 0
; MemoryBound: 0
; FloatMode: 240
; IeeeMode: 1
; LDSByteSize: 8448 bytes/workgroup (compile time only)
; SGPRBlocks: 4
; VGPRBlocks: 2
; NumSGPRsForWavesPerEU: 35
; NumVGPRsForWavesPerEU: 24
; AccumOffset: 24
; Occupancy: 8
; WaveLimiterHint : 1
; COMPUTE_PGM_RSRC2:SCRATCH_EN: 0
; COMPUTE_PGM_RSRC2:USER_SGPR: 6
; COMPUTE_PGM_RSRC2:TRAP_HANDLER: 0
; COMPUTE_PGM_RSRC2:TGID_X_EN: 1
; COMPUTE_PGM_RSRC2:TGID_Y_EN: 1
; COMPUTE_PGM_RSRC2:TGID_Z_EN: 1
; COMPUTE_PGM_RSRC2:TIDIG_COMP_CNT: 0
; COMPUTE_PGM_RSRC3_GFX90A:ACCUM_OFFSET: 5
; COMPUTE_PGM_RSRC3_GFX90A:TG_SPLIT: 0
	.section	.text._ZN7rocprim17ROCPRIM_400000_NS6detail17trampoline_kernelINS0_14default_configENS1_38merge_sort_block_merge_config_selectorIdlEEZZNS1_27merge_sort_block_merge_implIS3_PdN6thrust23THRUST_200600_302600_NS10device_ptrIlEEjNS1_19radix_merge_compareILb0ELb0EdNS0_19identity_decomposerEEEEE10hipError_tT0_T1_T2_jT3_P12ihipStream_tbPNSt15iterator_traitsISG_E10value_typeEPNSM_ISH_E10value_typeEPSI_NS1_7vsmem_tEENKUlT_SG_SH_SI_E_clIS7_S7_SB_PlEESF_SV_SG_SH_SI_EUlSV_E0_NS1_11comp_targetILNS1_3genE3ELNS1_11target_archE908ELNS1_3gpuE7ELNS1_3repE0EEENS1_38merge_mergepath_config_static_selectorELNS0_4arch9wavefront6targetE1EEEvSH_,"axG",@progbits,_ZN7rocprim17ROCPRIM_400000_NS6detail17trampoline_kernelINS0_14default_configENS1_38merge_sort_block_merge_config_selectorIdlEEZZNS1_27merge_sort_block_merge_implIS3_PdN6thrust23THRUST_200600_302600_NS10device_ptrIlEEjNS1_19radix_merge_compareILb0ELb0EdNS0_19identity_decomposerEEEEE10hipError_tT0_T1_T2_jT3_P12ihipStream_tbPNSt15iterator_traitsISG_E10value_typeEPNSM_ISH_E10value_typeEPSI_NS1_7vsmem_tEENKUlT_SG_SH_SI_E_clIS7_S7_SB_PlEESF_SV_SG_SH_SI_EUlSV_E0_NS1_11comp_targetILNS1_3genE3ELNS1_11target_archE908ELNS1_3gpuE7ELNS1_3repE0EEENS1_38merge_mergepath_config_static_selectorELNS0_4arch9wavefront6targetE1EEEvSH_,comdat
	.protected	_ZN7rocprim17ROCPRIM_400000_NS6detail17trampoline_kernelINS0_14default_configENS1_38merge_sort_block_merge_config_selectorIdlEEZZNS1_27merge_sort_block_merge_implIS3_PdN6thrust23THRUST_200600_302600_NS10device_ptrIlEEjNS1_19radix_merge_compareILb0ELb0EdNS0_19identity_decomposerEEEEE10hipError_tT0_T1_T2_jT3_P12ihipStream_tbPNSt15iterator_traitsISG_E10value_typeEPNSM_ISH_E10value_typeEPSI_NS1_7vsmem_tEENKUlT_SG_SH_SI_E_clIS7_S7_SB_PlEESF_SV_SG_SH_SI_EUlSV_E0_NS1_11comp_targetILNS1_3genE3ELNS1_11target_archE908ELNS1_3gpuE7ELNS1_3repE0EEENS1_38merge_mergepath_config_static_selectorELNS0_4arch9wavefront6targetE1EEEvSH_ ; -- Begin function _ZN7rocprim17ROCPRIM_400000_NS6detail17trampoline_kernelINS0_14default_configENS1_38merge_sort_block_merge_config_selectorIdlEEZZNS1_27merge_sort_block_merge_implIS3_PdN6thrust23THRUST_200600_302600_NS10device_ptrIlEEjNS1_19radix_merge_compareILb0ELb0EdNS0_19identity_decomposerEEEEE10hipError_tT0_T1_T2_jT3_P12ihipStream_tbPNSt15iterator_traitsISG_E10value_typeEPNSM_ISH_E10value_typeEPSI_NS1_7vsmem_tEENKUlT_SG_SH_SI_E_clIS7_S7_SB_PlEESF_SV_SG_SH_SI_EUlSV_E0_NS1_11comp_targetILNS1_3genE3ELNS1_11target_archE908ELNS1_3gpuE7ELNS1_3repE0EEENS1_38merge_mergepath_config_static_selectorELNS0_4arch9wavefront6targetE1EEEvSH_
	.globl	_ZN7rocprim17ROCPRIM_400000_NS6detail17trampoline_kernelINS0_14default_configENS1_38merge_sort_block_merge_config_selectorIdlEEZZNS1_27merge_sort_block_merge_implIS3_PdN6thrust23THRUST_200600_302600_NS10device_ptrIlEEjNS1_19radix_merge_compareILb0ELb0EdNS0_19identity_decomposerEEEEE10hipError_tT0_T1_T2_jT3_P12ihipStream_tbPNSt15iterator_traitsISG_E10value_typeEPNSM_ISH_E10value_typeEPSI_NS1_7vsmem_tEENKUlT_SG_SH_SI_E_clIS7_S7_SB_PlEESF_SV_SG_SH_SI_EUlSV_E0_NS1_11comp_targetILNS1_3genE3ELNS1_11target_archE908ELNS1_3gpuE7ELNS1_3repE0EEENS1_38merge_mergepath_config_static_selectorELNS0_4arch9wavefront6targetE1EEEvSH_
	.p2align	8
	.type	_ZN7rocprim17ROCPRIM_400000_NS6detail17trampoline_kernelINS0_14default_configENS1_38merge_sort_block_merge_config_selectorIdlEEZZNS1_27merge_sort_block_merge_implIS3_PdN6thrust23THRUST_200600_302600_NS10device_ptrIlEEjNS1_19radix_merge_compareILb0ELb0EdNS0_19identity_decomposerEEEEE10hipError_tT0_T1_T2_jT3_P12ihipStream_tbPNSt15iterator_traitsISG_E10value_typeEPNSM_ISH_E10value_typeEPSI_NS1_7vsmem_tEENKUlT_SG_SH_SI_E_clIS7_S7_SB_PlEESF_SV_SG_SH_SI_EUlSV_E0_NS1_11comp_targetILNS1_3genE3ELNS1_11target_archE908ELNS1_3gpuE7ELNS1_3repE0EEENS1_38merge_mergepath_config_static_selectorELNS0_4arch9wavefront6targetE1EEEvSH_,@function
_ZN7rocprim17ROCPRIM_400000_NS6detail17trampoline_kernelINS0_14default_configENS1_38merge_sort_block_merge_config_selectorIdlEEZZNS1_27merge_sort_block_merge_implIS3_PdN6thrust23THRUST_200600_302600_NS10device_ptrIlEEjNS1_19radix_merge_compareILb0ELb0EdNS0_19identity_decomposerEEEEE10hipError_tT0_T1_T2_jT3_P12ihipStream_tbPNSt15iterator_traitsISG_E10value_typeEPNSM_ISH_E10value_typeEPSI_NS1_7vsmem_tEENKUlT_SG_SH_SI_E_clIS7_S7_SB_PlEESF_SV_SG_SH_SI_EUlSV_E0_NS1_11comp_targetILNS1_3genE3ELNS1_11target_archE908ELNS1_3gpuE7ELNS1_3repE0EEENS1_38merge_mergepath_config_static_selectorELNS0_4arch9wavefront6targetE1EEEvSH_: ; @_ZN7rocprim17ROCPRIM_400000_NS6detail17trampoline_kernelINS0_14default_configENS1_38merge_sort_block_merge_config_selectorIdlEEZZNS1_27merge_sort_block_merge_implIS3_PdN6thrust23THRUST_200600_302600_NS10device_ptrIlEEjNS1_19radix_merge_compareILb0ELb0EdNS0_19identity_decomposerEEEEE10hipError_tT0_T1_T2_jT3_P12ihipStream_tbPNSt15iterator_traitsISG_E10value_typeEPNSM_ISH_E10value_typeEPSI_NS1_7vsmem_tEENKUlT_SG_SH_SI_E_clIS7_S7_SB_PlEESF_SV_SG_SH_SI_EUlSV_E0_NS1_11comp_targetILNS1_3genE3ELNS1_11target_archE908ELNS1_3gpuE7ELNS1_3repE0EEENS1_38merge_mergepath_config_static_selectorELNS0_4arch9wavefront6targetE1EEEvSH_
; %bb.0:
	.section	.rodata,"a",@progbits
	.p2align	6, 0x0
	.amdhsa_kernel _ZN7rocprim17ROCPRIM_400000_NS6detail17trampoline_kernelINS0_14default_configENS1_38merge_sort_block_merge_config_selectorIdlEEZZNS1_27merge_sort_block_merge_implIS3_PdN6thrust23THRUST_200600_302600_NS10device_ptrIlEEjNS1_19radix_merge_compareILb0ELb0EdNS0_19identity_decomposerEEEEE10hipError_tT0_T1_T2_jT3_P12ihipStream_tbPNSt15iterator_traitsISG_E10value_typeEPNSM_ISH_E10value_typeEPSI_NS1_7vsmem_tEENKUlT_SG_SH_SI_E_clIS7_S7_SB_PlEESF_SV_SG_SH_SI_EUlSV_E0_NS1_11comp_targetILNS1_3genE3ELNS1_11target_archE908ELNS1_3gpuE7ELNS1_3repE0EEENS1_38merge_mergepath_config_static_selectorELNS0_4arch9wavefront6targetE1EEEvSH_
		.amdhsa_group_segment_fixed_size 0
		.amdhsa_private_segment_fixed_size 0
		.amdhsa_kernarg_size 64
		.amdhsa_user_sgpr_count 6
		.amdhsa_user_sgpr_private_segment_buffer 1
		.amdhsa_user_sgpr_dispatch_ptr 0
		.amdhsa_user_sgpr_queue_ptr 0
		.amdhsa_user_sgpr_kernarg_segment_ptr 1
		.amdhsa_user_sgpr_dispatch_id 0
		.amdhsa_user_sgpr_flat_scratch_init 0
		.amdhsa_user_sgpr_kernarg_preload_length 0
		.amdhsa_user_sgpr_kernarg_preload_offset 0
		.amdhsa_user_sgpr_private_segment_size 0
		.amdhsa_uses_dynamic_stack 0
		.amdhsa_system_sgpr_private_segment_wavefront_offset 0
		.amdhsa_system_sgpr_workgroup_id_x 1
		.amdhsa_system_sgpr_workgroup_id_y 0
		.amdhsa_system_sgpr_workgroup_id_z 0
		.amdhsa_system_sgpr_workgroup_info 0
		.amdhsa_system_vgpr_workitem_id 0
		.amdhsa_next_free_vgpr 1
		.amdhsa_next_free_sgpr 0
		.amdhsa_accum_offset 4
		.amdhsa_reserve_vcc 0
		.amdhsa_reserve_flat_scratch 0
		.amdhsa_float_round_mode_32 0
		.amdhsa_float_round_mode_16_64 0
		.amdhsa_float_denorm_mode_32 3
		.amdhsa_float_denorm_mode_16_64 3
		.amdhsa_dx10_clamp 1
		.amdhsa_ieee_mode 1
		.amdhsa_fp16_overflow 0
		.amdhsa_tg_split 0
		.amdhsa_exception_fp_ieee_invalid_op 0
		.amdhsa_exception_fp_denorm_src 0
		.amdhsa_exception_fp_ieee_div_zero 0
		.amdhsa_exception_fp_ieee_overflow 0
		.amdhsa_exception_fp_ieee_underflow 0
		.amdhsa_exception_fp_ieee_inexact 0
		.amdhsa_exception_int_div_zero 0
	.end_amdhsa_kernel
	.section	.text._ZN7rocprim17ROCPRIM_400000_NS6detail17trampoline_kernelINS0_14default_configENS1_38merge_sort_block_merge_config_selectorIdlEEZZNS1_27merge_sort_block_merge_implIS3_PdN6thrust23THRUST_200600_302600_NS10device_ptrIlEEjNS1_19radix_merge_compareILb0ELb0EdNS0_19identity_decomposerEEEEE10hipError_tT0_T1_T2_jT3_P12ihipStream_tbPNSt15iterator_traitsISG_E10value_typeEPNSM_ISH_E10value_typeEPSI_NS1_7vsmem_tEENKUlT_SG_SH_SI_E_clIS7_S7_SB_PlEESF_SV_SG_SH_SI_EUlSV_E0_NS1_11comp_targetILNS1_3genE3ELNS1_11target_archE908ELNS1_3gpuE7ELNS1_3repE0EEENS1_38merge_mergepath_config_static_selectorELNS0_4arch9wavefront6targetE1EEEvSH_,"axG",@progbits,_ZN7rocprim17ROCPRIM_400000_NS6detail17trampoline_kernelINS0_14default_configENS1_38merge_sort_block_merge_config_selectorIdlEEZZNS1_27merge_sort_block_merge_implIS3_PdN6thrust23THRUST_200600_302600_NS10device_ptrIlEEjNS1_19radix_merge_compareILb0ELb0EdNS0_19identity_decomposerEEEEE10hipError_tT0_T1_T2_jT3_P12ihipStream_tbPNSt15iterator_traitsISG_E10value_typeEPNSM_ISH_E10value_typeEPSI_NS1_7vsmem_tEENKUlT_SG_SH_SI_E_clIS7_S7_SB_PlEESF_SV_SG_SH_SI_EUlSV_E0_NS1_11comp_targetILNS1_3genE3ELNS1_11target_archE908ELNS1_3gpuE7ELNS1_3repE0EEENS1_38merge_mergepath_config_static_selectorELNS0_4arch9wavefront6targetE1EEEvSH_,comdat
.Lfunc_end1578:
	.size	_ZN7rocprim17ROCPRIM_400000_NS6detail17trampoline_kernelINS0_14default_configENS1_38merge_sort_block_merge_config_selectorIdlEEZZNS1_27merge_sort_block_merge_implIS3_PdN6thrust23THRUST_200600_302600_NS10device_ptrIlEEjNS1_19radix_merge_compareILb0ELb0EdNS0_19identity_decomposerEEEEE10hipError_tT0_T1_T2_jT3_P12ihipStream_tbPNSt15iterator_traitsISG_E10value_typeEPNSM_ISH_E10value_typeEPSI_NS1_7vsmem_tEENKUlT_SG_SH_SI_E_clIS7_S7_SB_PlEESF_SV_SG_SH_SI_EUlSV_E0_NS1_11comp_targetILNS1_3genE3ELNS1_11target_archE908ELNS1_3gpuE7ELNS1_3repE0EEENS1_38merge_mergepath_config_static_selectorELNS0_4arch9wavefront6targetE1EEEvSH_, .Lfunc_end1578-_ZN7rocprim17ROCPRIM_400000_NS6detail17trampoline_kernelINS0_14default_configENS1_38merge_sort_block_merge_config_selectorIdlEEZZNS1_27merge_sort_block_merge_implIS3_PdN6thrust23THRUST_200600_302600_NS10device_ptrIlEEjNS1_19radix_merge_compareILb0ELb0EdNS0_19identity_decomposerEEEEE10hipError_tT0_T1_T2_jT3_P12ihipStream_tbPNSt15iterator_traitsISG_E10value_typeEPNSM_ISH_E10value_typeEPSI_NS1_7vsmem_tEENKUlT_SG_SH_SI_E_clIS7_S7_SB_PlEESF_SV_SG_SH_SI_EUlSV_E0_NS1_11comp_targetILNS1_3genE3ELNS1_11target_archE908ELNS1_3gpuE7ELNS1_3repE0EEENS1_38merge_mergepath_config_static_selectorELNS0_4arch9wavefront6targetE1EEEvSH_
                                        ; -- End function
	.section	.AMDGPU.csdata,"",@progbits
; Kernel info:
; codeLenInByte = 0
; NumSgprs: 4
; NumVgprs: 0
; NumAgprs: 0
; TotalNumVgprs: 0
; ScratchSize: 0
; MemoryBound: 0
; FloatMode: 240
; IeeeMode: 1
; LDSByteSize: 0 bytes/workgroup (compile time only)
; SGPRBlocks: 0
; VGPRBlocks: 0
; NumSGPRsForWavesPerEU: 4
; NumVGPRsForWavesPerEU: 1
; AccumOffset: 4
; Occupancy: 8
; WaveLimiterHint : 0
; COMPUTE_PGM_RSRC2:SCRATCH_EN: 0
; COMPUTE_PGM_RSRC2:USER_SGPR: 6
; COMPUTE_PGM_RSRC2:TRAP_HANDLER: 0
; COMPUTE_PGM_RSRC2:TGID_X_EN: 1
; COMPUTE_PGM_RSRC2:TGID_Y_EN: 0
; COMPUTE_PGM_RSRC2:TGID_Z_EN: 0
; COMPUTE_PGM_RSRC2:TIDIG_COMP_CNT: 0
; COMPUTE_PGM_RSRC3_GFX90A:ACCUM_OFFSET: 0
; COMPUTE_PGM_RSRC3_GFX90A:TG_SPLIT: 0
	.section	.text._ZN7rocprim17ROCPRIM_400000_NS6detail17trampoline_kernelINS0_14default_configENS1_38merge_sort_block_merge_config_selectorIdlEEZZNS1_27merge_sort_block_merge_implIS3_PdN6thrust23THRUST_200600_302600_NS10device_ptrIlEEjNS1_19radix_merge_compareILb0ELb0EdNS0_19identity_decomposerEEEEE10hipError_tT0_T1_T2_jT3_P12ihipStream_tbPNSt15iterator_traitsISG_E10value_typeEPNSM_ISH_E10value_typeEPSI_NS1_7vsmem_tEENKUlT_SG_SH_SI_E_clIS7_S7_SB_PlEESF_SV_SG_SH_SI_EUlSV_E0_NS1_11comp_targetILNS1_3genE2ELNS1_11target_archE906ELNS1_3gpuE6ELNS1_3repE0EEENS1_38merge_mergepath_config_static_selectorELNS0_4arch9wavefront6targetE1EEEvSH_,"axG",@progbits,_ZN7rocprim17ROCPRIM_400000_NS6detail17trampoline_kernelINS0_14default_configENS1_38merge_sort_block_merge_config_selectorIdlEEZZNS1_27merge_sort_block_merge_implIS3_PdN6thrust23THRUST_200600_302600_NS10device_ptrIlEEjNS1_19radix_merge_compareILb0ELb0EdNS0_19identity_decomposerEEEEE10hipError_tT0_T1_T2_jT3_P12ihipStream_tbPNSt15iterator_traitsISG_E10value_typeEPNSM_ISH_E10value_typeEPSI_NS1_7vsmem_tEENKUlT_SG_SH_SI_E_clIS7_S7_SB_PlEESF_SV_SG_SH_SI_EUlSV_E0_NS1_11comp_targetILNS1_3genE2ELNS1_11target_archE906ELNS1_3gpuE6ELNS1_3repE0EEENS1_38merge_mergepath_config_static_selectorELNS0_4arch9wavefront6targetE1EEEvSH_,comdat
	.protected	_ZN7rocprim17ROCPRIM_400000_NS6detail17trampoline_kernelINS0_14default_configENS1_38merge_sort_block_merge_config_selectorIdlEEZZNS1_27merge_sort_block_merge_implIS3_PdN6thrust23THRUST_200600_302600_NS10device_ptrIlEEjNS1_19radix_merge_compareILb0ELb0EdNS0_19identity_decomposerEEEEE10hipError_tT0_T1_T2_jT3_P12ihipStream_tbPNSt15iterator_traitsISG_E10value_typeEPNSM_ISH_E10value_typeEPSI_NS1_7vsmem_tEENKUlT_SG_SH_SI_E_clIS7_S7_SB_PlEESF_SV_SG_SH_SI_EUlSV_E0_NS1_11comp_targetILNS1_3genE2ELNS1_11target_archE906ELNS1_3gpuE6ELNS1_3repE0EEENS1_38merge_mergepath_config_static_selectorELNS0_4arch9wavefront6targetE1EEEvSH_ ; -- Begin function _ZN7rocprim17ROCPRIM_400000_NS6detail17trampoline_kernelINS0_14default_configENS1_38merge_sort_block_merge_config_selectorIdlEEZZNS1_27merge_sort_block_merge_implIS3_PdN6thrust23THRUST_200600_302600_NS10device_ptrIlEEjNS1_19radix_merge_compareILb0ELb0EdNS0_19identity_decomposerEEEEE10hipError_tT0_T1_T2_jT3_P12ihipStream_tbPNSt15iterator_traitsISG_E10value_typeEPNSM_ISH_E10value_typeEPSI_NS1_7vsmem_tEENKUlT_SG_SH_SI_E_clIS7_S7_SB_PlEESF_SV_SG_SH_SI_EUlSV_E0_NS1_11comp_targetILNS1_3genE2ELNS1_11target_archE906ELNS1_3gpuE6ELNS1_3repE0EEENS1_38merge_mergepath_config_static_selectorELNS0_4arch9wavefront6targetE1EEEvSH_
	.globl	_ZN7rocprim17ROCPRIM_400000_NS6detail17trampoline_kernelINS0_14default_configENS1_38merge_sort_block_merge_config_selectorIdlEEZZNS1_27merge_sort_block_merge_implIS3_PdN6thrust23THRUST_200600_302600_NS10device_ptrIlEEjNS1_19radix_merge_compareILb0ELb0EdNS0_19identity_decomposerEEEEE10hipError_tT0_T1_T2_jT3_P12ihipStream_tbPNSt15iterator_traitsISG_E10value_typeEPNSM_ISH_E10value_typeEPSI_NS1_7vsmem_tEENKUlT_SG_SH_SI_E_clIS7_S7_SB_PlEESF_SV_SG_SH_SI_EUlSV_E0_NS1_11comp_targetILNS1_3genE2ELNS1_11target_archE906ELNS1_3gpuE6ELNS1_3repE0EEENS1_38merge_mergepath_config_static_selectorELNS0_4arch9wavefront6targetE1EEEvSH_
	.p2align	8
	.type	_ZN7rocprim17ROCPRIM_400000_NS6detail17trampoline_kernelINS0_14default_configENS1_38merge_sort_block_merge_config_selectorIdlEEZZNS1_27merge_sort_block_merge_implIS3_PdN6thrust23THRUST_200600_302600_NS10device_ptrIlEEjNS1_19radix_merge_compareILb0ELb0EdNS0_19identity_decomposerEEEEE10hipError_tT0_T1_T2_jT3_P12ihipStream_tbPNSt15iterator_traitsISG_E10value_typeEPNSM_ISH_E10value_typeEPSI_NS1_7vsmem_tEENKUlT_SG_SH_SI_E_clIS7_S7_SB_PlEESF_SV_SG_SH_SI_EUlSV_E0_NS1_11comp_targetILNS1_3genE2ELNS1_11target_archE906ELNS1_3gpuE6ELNS1_3repE0EEENS1_38merge_mergepath_config_static_selectorELNS0_4arch9wavefront6targetE1EEEvSH_,@function
_ZN7rocprim17ROCPRIM_400000_NS6detail17trampoline_kernelINS0_14default_configENS1_38merge_sort_block_merge_config_selectorIdlEEZZNS1_27merge_sort_block_merge_implIS3_PdN6thrust23THRUST_200600_302600_NS10device_ptrIlEEjNS1_19radix_merge_compareILb0ELb0EdNS0_19identity_decomposerEEEEE10hipError_tT0_T1_T2_jT3_P12ihipStream_tbPNSt15iterator_traitsISG_E10value_typeEPNSM_ISH_E10value_typeEPSI_NS1_7vsmem_tEENKUlT_SG_SH_SI_E_clIS7_S7_SB_PlEESF_SV_SG_SH_SI_EUlSV_E0_NS1_11comp_targetILNS1_3genE2ELNS1_11target_archE906ELNS1_3gpuE6ELNS1_3repE0EEENS1_38merge_mergepath_config_static_selectorELNS0_4arch9wavefront6targetE1EEEvSH_: ; @_ZN7rocprim17ROCPRIM_400000_NS6detail17trampoline_kernelINS0_14default_configENS1_38merge_sort_block_merge_config_selectorIdlEEZZNS1_27merge_sort_block_merge_implIS3_PdN6thrust23THRUST_200600_302600_NS10device_ptrIlEEjNS1_19radix_merge_compareILb0ELb0EdNS0_19identity_decomposerEEEEE10hipError_tT0_T1_T2_jT3_P12ihipStream_tbPNSt15iterator_traitsISG_E10value_typeEPNSM_ISH_E10value_typeEPSI_NS1_7vsmem_tEENKUlT_SG_SH_SI_E_clIS7_S7_SB_PlEESF_SV_SG_SH_SI_EUlSV_E0_NS1_11comp_targetILNS1_3genE2ELNS1_11target_archE906ELNS1_3gpuE6ELNS1_3repE0EEENS1_38merge_mergepath_config_static_selectorELNS0_4arch9wavefront6targetE1EEEvSH_
; %bb.0:
	.section	.rodata,"a",@progbits
	.p2align	6, 0x0
	.amdhsa_kernel _ZN7rocprim17ROCPRIM_400000_NS6detail17trampoline_kernelINS0_14default_configENS1_38merge_sort_block_merge_config_selectorIdlEEZZNS1_27merge_sort_block_merge_implIS3_PdN6thrust23THRUST_200600_302600_NS10device_ptrIlEEjNS1_19radix_merge_compareILb0ELb0EdNS0_19identity_decomposerEEEEE10hipError_tT0_T1_T2_jT3_P12ihipStream_tbPNSt15iterator_traitsISG_E10value_typeEPNSM_ISH_E10value_typeEPSI_NS1_7vsmem_tEENKUlT_SG_SH_SI_E_clIS7_S7_SB_PlEESF_SV_SG_SH_SI_EUlSV_E0_NS1_11comp_targetILNS1_3genE2ELNS1_11target_archE906ELNS1_3gpuE6ELNS1_3repE0EEENS1_38merge_mergepath_config_static_selectorELNS0_4arch9wavefront6targetE1EEEvSH_
		.amdhsa_group_segment_fixed_size 0
		.amdhsa_private_segment_fixed_size 0
		.amdhsa_kernarg_size 64
		.amdhsa_user_sgpr_count 6
		.amdhsa_user_sgpr_private_segment_buffer 1
		.amdhsa_user_sgpr_dispatch_ptr 0
		.amdhsa_user_sgpr_queue_ptr 0
		.amdhsa_user_sgpr_kernarg_segment_ptr 1
		.amdhsa_user_sgpr_dispatch_id 0
		.amdhsa_user_sgpr_flat_scratch_init 0
		.amdhsa_user_sgpr_kernarg_preload_length 0
		.amdhsa_user_sgpr_kernarg_preload_offset 0
		.amdhsa_user_sgpr_private_segment_size 0
		.amdhsa_uses_dynamic_stack 0
		.amdhsa_system_sgpr_private_segment_wavefront_offset 0
		.amdhsa_system_sgpr_workgroup_id_x 1
		.amdhsa_system_sgpr_workgroup_id_y 0
		.amdhsa_system_sgpr_workgroup_id_z 0
		.amdhsa_system_sgpr_workgroup_info 0
		.amdhsa_system_vgpr_workitem_id 0
		.amdhsa_next_free_vgpr 1
		.amdhsa_next_free_sgpr 0
		.amdhsa_accum_offset 4
		.amdhsa_reserve_vcc 0
		.amdhsa_reserve_flat_scratch 0
		.amdhsa_float_round_mode_32 0
		.amdhsa_float_round_mode_16_64 0
		.amdhsa_float_denorm_mode_32 3
		.amdhsa_float_denorm_mode_16_64 3
		.amdhsa_dx10_clamp 1
		.amdhsa_ieee_mode 1
		.amdhsa_fp16_overflow 0
		.amdhsa_tg_split 0
		.amdhsa_exception_fp_ieee_invalid_op 0
		.amdhsa_exception_fp_denorm_src 0
		.amdhsa_exception_fp_ieee_div_zero 0
		.amdhsa_exception_fp_ieee_overflow 0
		.amdhsa_exception_fp_ieee_underflow 0
		.amdhsa_exception_fp_ieee_inexact 0
		.amdhsa_exception_int_div_zero 0
	.end_amdhsa_kernel
	.section	.text._ZN7rocprim17ROCPRIM_400000_NS6detail17trampoline_kernelINS0_14default_configENS1_38merge_sort_block_merge_config_selectorIdlEEZZNS1_27merge_sort_block_merge_implIS3_PdN6thrust23THRUST_200600_302600_NS10device_ptrIlEEjNS1_19radix_merge_compareILb0ELb0EdNS0_19identity_decomposerEEEEE10hipError_tT0_T1_T2_jT3_P12ihipStream_tbPNSt15iterator_traitsISG_E10value_typeEPNSM_ISH_E10value_typeEPSI_NS1_7vsmem_tEENKUlT_SG_SH_SI_E_clIS7_S7_SB_PlEESF_SV_SG_SH_SI_EUlSV_E0_NS1_11comp_targetILNS1_3genE2ELNS1_11target_archE906ELNS1_3gpuE6ELNS1_3repE0EEENS1_38merge_mergepath_config_static_selectorELNS0_4arch9wavefront6targetE1EEEvSH_,"axG",@progbits,_ZN7rocprim17ROCPRIM_400000_NS6detail17trampoline_kernelINS0_14default_configENS1_38merge_sort_block_merge_config_selectorIdlEEZZNS1_27merge_sort_block_merge_implIS3_PdN6thrust23THRUST_200600_302600_NS10device_ptrIlEEjNS1_19radix_merge_compareILb0ELb0EdNS0_19identity_decomposerEEEEE10hipError_tT0_T1_T2_jT3_P12ihipStream_tbPNSt15iterator_traitsISG_E10value_typeEPNSM_ISH_E10value_typeEPSI_NS1_7vsmem_tEENKUlT_SG_SH_SI_E_clIS7_S7_SB_PlEESF_SV_SG_SH_SI_EUlSV_E0_NS1_11comp_targetILNS1_3genE2ELNS1_11target_archE906ELNS1_3gpuE6ELNS1_3repE0EEENS1_38merge_mergepath_config_static_selectorELNS0_4arch9wavefront6targetE1EEEvSH_,comdat
.Lfunc_end1579:
	.size	_ZN7rocprim17ROCPRIM_400000_NS6detail17trampoline_kernelINS0_14default_configENS1_38merge_sort_block_merge_config_selectorIdlEEZZNS1_27merge_sort_block_merge_implIS3_PdN6thrust23THRUST_200600_302600_NS10device_ptrIlEEjNS1_19radix_merge_compareILb0ELb0EdNS0_19identity_decomposerEEEEE10hipError_tT0_T1_T2_jT3_P12ihipStream_tbPNSt15iterator_traitsISG_E10value_typeEPNSM_ISH_E10value_typeEPSI_NS1_7vsmem_tEENKUlT_SG_SH_SI_E_clIS7_S7_SB_PlEESF_SV_SG_SH_SI_EUlSV_E0_NS1_11comp_targetILNS1_3genE2ELNS1_11target_archE906ELNS1_3gpuE6ELNS1_3repE0EEENS1_38merge_mergepath_config_static_selectorELNS0_4arch9wavefront6targetE1EEEvSH_, .Lfunc_end1579-_ZN7rocprim17ROCPRIM_400000_NS6detail17trampoline_kernelINS0_14default_configENS1_38merge_sort_block_merge_config_selectorIdlEEZZNS1_27merge_sort_block_merge_implIS3_PdN6thrust23THRUST_200600_302600_NS10device_ptrIlEEjNS1_19radix_merge_compareILb0ELb0EdNS0_19identity_decomposerEEEEE10hipError_tT0_T1_T2_jT3_P12ihipStream_tbPNSt15iterator_traitsISG_E10value_typeEPNSM_ISH_E10value_typeEPSI_NS1_7vsmem_tEENKUlT_SG_SH_SI_E_clIS7_S7_SB_PlEESF_SV_SG_SH_SI_EUlSV_E0_NS1_11comp_targetILNS1_3genE2ELNS1_11target_archE906ELNS1_3gpuE6ELNS1_3repE0EEENS1_38merge_mergepath_config_static_selectorELNS0_4arch9wavefront6targetE1EEEvSH_
                                        ; -- End function
	.section	.AMDGPU.csdata,"",@progbits
; Kernel info:
; codeLenInByte = 0
; NumSgprs: 4
; NumVgprs: 0
; NumAgprs: 0
; TotalNumVgprs: 0
; ScratchSize: 0
; MemoryBound: 0
; FloatMode: 240
; IeeeMode: 1
; LDSByteSize: 0 bytes/workgroup (compile time only)
; SGPRBlocks: 0
; VGPRBlocks: 0
; NumSGPRsForWavesPerEU: 4
; NumVGPRsForWavesPerEU: 1
; AccumOffset: 4
; Occupancy: 8
; WaveLimiterHint : 0
; COMPUTE_PGM_RSRC2:SCRATCH_EN: 0
; COMPUTE_PGM_RSRC2:USER_SGPR: 6
; COMPUTE_PGM_RSRC2:TRAP_HANDLER: 0
; COMPUTE_PGM_RSRC2:TGID_X_EN: 1
; COMPUTE_PGM_RSRC2:TGID_Y_EN: 0
; COMPUTE_PGM_RSRC2:TGID_Z_EN: 0
; COMPUTE_PGM_RSRC2:TIDIG_COMP_CNT: 0
; COMPUTE_PGM_RSRC3_GFX90A:ACCUM_OFFSET: 0
; COMPUTE_PGM_RSRC3_GFX90A:TG_SPLIT: 0
	.section	.text._ZN7rocprim17ROCPRIM_400000_NS6detail17trampoline_kernelINS0_14default_configENS1_38merge_sort_block_merge_config_selectorIdlEEZZNS1_27merge_sort_block_merge_implIS3_PdN6thrust23THRUST_200600_302600_NS10device_ptrIlEEjNS1_19radix_merge_compareILb0ELb0EdNS0_19identity_decomposerEEEEE10hipError_tT0_T1_T2_jT3_P12ihipStream_tbPNSt15iterator_traitsISG_E10value_typeEPNSM_ISH_E10value_typeEPSI_NS1_7vsmem_tEENKUlT_SG_SH_SI_E_clIS7_S7_SB_PlEESF_SV_SG_SH_SI_EUlSV_E0_NS1_11comp_targetILNS1_3genE9ELNS1_11target_archE1100ELNS1_3gpuE3ELNS1_3repE0EEENS1_38merge_mergepath_config_static_selectorELNS0_4arch9wavefront6targetE1EEEvSH_,"axG",@progbits,_ZN7rocprim17ROCPRIM_400000_NS6detail17trampoline_kernelINS0_14default_configENS1_38merge_sort_block_merge_config_selectorIdlEEZZNS1_27merge_sort_block_merge_implIS3_PdN6thrust23THRUST_200600_302600_NS10device_ptrIlEEjNS1_19radix_merge_compareILb0ELb0EdNS0_19identity_decomposerEEEEE10hipError_tT0_T1_T2_jT3_P12ihipStream_tbPNSt15iterator_traitsISG_E10value_typeEPNSM_ISH_E10value_typeEPSI_NS1_7vsmem_tEENKUlT_SG_SH_SI_E_clIS7_S7_SB_PlEESF_SV_SG_SH_SI_EUlSV_E0_NS1_11comp_targetILNS1_3genE9ELNS1_11target_archE1100ELNS1_3gpuE3ELNS1_3repE0EEENS1_38merge_mergepath_config_static_selectorELNS0_4arch9wavefront6targetE1EEEvSH_,comdat
	.protected	_ZN7rocprim17ROCPRIM_400000_NS6detail17trampoline_kernelINS0_14default_configENS1_38merge_sort_block_merge_config_selectorIdlEEZZNS1_27merge_sort_block_merge_implIS3_PdN6thrust23THRUST_200600_302600_NS10device_ptrIlEEjNS1_19radix_merge_compareILb0ELb0EdNS0_19identity_decomposerEEEEE10hipError_tT0_T1_T2_jT3_P12ihipStream_tbPNSt15iterator_traitsISG_E10value_typeEPNSM_ISH_E10value_typeEPSI_NS1_7vsmem_tEENKUlT_SG_SH_SI_E_clIS7_S7_SB_PlEESF_SV_SG_SH_SI_EUlSV_E0_NS1_11comp_targetILNS1_3genE9ELNS1_11target_archE1100ELNS1_3gpuE3ELNS1_3repE0EEENS1_38merge_mergepath_config_static_selectorELNS0_4arch9wavefront6targetE1EEEvSH_ ; -- Begin function _ZN7rocprim17ROCPRIM_400000_NS6detail17trampoline_kernelINS0_14default_configENS1_38merge_sort_block_merge_config_selectorIdlEEZZNS1_27merge_sort_block_merge_implIS3_PdN6thrust23THRUST_200600_302600_NS10device_ptrIlEEjNS1_19radix_merge_compareILb0ELb0EdNS0_19identity_decomposerEEEEE10hipError_tT0_T1_T2_jT3_P12ihipStream_tbPNSt15iterator_traitsISG_E10value_typeEPNSM_ISH_E10value_typeEPSI_NS1_7vsmem_tEENKUlT_SG_SH_SI_E_clIS7_S7_SB_PlEESF_SV_SG_SH_SI_EUlSV_E0_NS1_11comp_targetILNS1_3genE9ELNS1_11target_archE1100ELNS1_3gpuE3ELNS1_3repE0EEENS1_38merge_mergepath_config_static_selectorELNS0_4arch9wavefront6targetE1EEEvSH_
	.globl	_ZN7rocprim17ROCPRIM_400000_NS6detail17trampoline_kernelINS0_14default_configENS1_38merge_sort_block_merge_config_selectorIdlEEZZNS1_27merge_sort_block_merge_implIS3_PdN6thrust23THRUST_200600_302600_NS10device_ptrIlEEjNS1_19radix_merge_compareILb0ELb0EdNS0_19identity_decomposerEEEEE10hipError_tT0_T1_T2_jT3_P12ihipStream_tbPNSt15iterator_traitsISG_E10value_typeEPNSM_ISH_E10value_typeEPSI_NS1_7vsmem_tEENKUlT_SG_SH_SI_E_clIS7_S7_SB_PlEESF_SV_SG_SH_SI_EUlSV_E0_NS1_11comp_targetILNS1_3genE9ELNS1_11target_archE1100ELNS1_3gpuE3ELNS1_3repE0EEENS1_38merge_mergepath_config_static_selectorELNS0_4arch9wavefront6targetE1EEEvSH_
	.p2align	8
	.type	_ZN7rocprim17ROCPRIM_400000_NS6detail17trampoline_kernelINS0_14default_configENS1_38merge_sort_block_merge_config_selectorIdlEEZZNS1_27merge_sort_block_merge_implIS3_PdN6thrust23THRUST_200600_302600_NS10device_ptrIlEEjNS1_19radix_merge_compareILb0ELb0EdNS0_19identity_decomposerEEEEE10hipError_tT0_T1_T2_jT3_P12ihipStream_tbPNSt15iterator_traitsISG_E10value_typeEPNSM_ISH_E10value_typeEPSI_NS1_7vsmem_tEENKUlT_SG_SH_SI_E_clIS7_S7_SB_PlEESF_SV_SG_SH_SI_EUlSV_E0_NS1_11comp_targetILNS1_3genE9ELNS1_11target_archE1100ELNS1_3gpuE3ELNS1_3repE0EEENS1_38merge_mergepath_config_static_selectorELNS0_4arch9wavefront6targetE1EEEvSH_,@function
_ZN7rocprim17ROCPRIM_400000_NS6detail17trampoline_kernelINS0_14default_configENS1_38merge_sort_block_merge_config_selectorIdlEEZZNS1_27merge_sort_block_merge_implIS3_PdN6thrust23THRUST_200600_302600_NS10device_ptrIlEEjNS1_19radix_merge_compareILb0ELb0EdNS0_19identity_decomposerEEEEE10hipError_tT0_T1_T2_jT3_P12ihipStream_tbPNSt15iterator_traitsISG_E10value_typeEPNSM_ISH_E10value_typeEPSI_NS1_7vsmem_tEENKUlT_SG_SH_SI_E_clIS7_S7_SB_PlEESF_SV_SG_SH_SI_EUlSV_E0_NS1_11comp_targetILNS1_3genE9ELNS1_11target_archE1100ELNS1_3gpuE3ELNS1_3repE0EEENS1_38merge_mergepath_config_static_selectorELNS0_4arch9wavefront6targetE1EEEvSH_: ; @_ZN7rocprim17ROCPRIM_400000_NS6detail17trampoline_kernelINS0_14default_configENS1_38merge_sort_block_merge_config_selectorIdlEEZZNS1_27merge_sort_block_merge_implIS3_PdN6thrust23THRUST_200600_302600_NS10device_ptrIlEEjNS1_19radix_merge_compareILb0ELb0EdNS0_19identity_decomposerEEEEE10hipError_tT0_T1_T2_jT3_P12ihipStream_tbPNSt15iterator_traitsISG_E10value_typeEPNSM_ISH_E10value_typeEPSI_NS1_7vsmem_tEENKUlT_SG_SH_SI_E_clIS7_S7_SB_PlEESF_SV_SG_SH_SI_EUlSV_E0_NS1_11comp_targetILNS1_3genE9ELNS1_11target_archE1100ELNS1_3gpuE3ELNS1_3repE0EEENS1_38merge_mergepath_config_static_selectorELNS0_4arch9wavefront6targetE1EEEvSH_
; %bb.0:
	.section	.rodata,"a",@progbits
	.p2align	6, 0x0
	.amdhsa_kernel _ZN7rocprim17ROCPRIM_400000_NS6detail17trampoline_kernelINS0_14default_configENS1_38merge_sort_block_merge_config_selectorIdlEEZZNS1_27merge_sort_block_merge_implIS3_PdN6thrust23THRUST_200600_302600_NS10device_ptrIlEEjNS1_19radix_merge_compareILb0ELb0EdNS0_19identity_decomposerEEEEE10hipError_tT0_T1_T2_jT3_P12ihipStream_tbPNSt15iterator_traitsISG_E10value_typeEPNSM_ISH_E10value_typeEPSI_NS1_7vsmem_tEENKUlT_SG_SH_SI_E_clIS7_S7_SB_PlEESF_SV_SG_SH_SI_EUlSV_E0_NS1_11comp_targetILNS1_3genE9ELNS1_11target_archE1100ELNS1_3gpuE3ELNS1_3repE0EEENS1_38merge_mergepath_config_static_selectorELNS0_4arch9wavefront6targetE1EEEvSH_
		.amdhsa_group_segment_fixed_size 0
		.amdhsa_private_segment_fixed_size 0
		.amdhsa_kernarg_size 64
		.amdhsa_user_sgpr_count 6
		.amdhsa_user_sgpr_private_segment_buffer 1
		.amdhsa_user_sgpr_dispatch_ptr 0
		.amdhsa_user_sgpr_queue_ptr 0
		.amdhsa_user_sgpr_kernarg_segment_ptr 1
		.amdhsa_user_sgpr_dispatch_id 0
		.amdhsa_user_sgpr_flat_scratch_init 0
		.amdhsa_user_sgpr_kernarg_preload_length 0
		.amdhsa_user_sgpr_kernarg_preload_offset 0
		.amdhsa_user_sgpr_private_segment_size 0
		.amdhsa_uses_dynamic_stack 0
		.amdhsa_system_sgpr_private_segment_wavefront_offset 0
		.amdhsa_system_sgpr_workgroup_id_x 1
		.amdhsa_system_sgpr_workgroup_id_y 0
		.amdhsa_system_sgpr_workgroup_id_z 0
		.amdhsa_system_sgpr_workgroup_info 0
		.amdhsa_system_vgpr_workitem_id 0
		.amdhsa_next_free_vgpr 1
		.amdhsa_next_free_sgpr 0
		.amdhsa_accum_offset 4
		.amdhsa_reserve_vcc 0
		.amdhsa_reserve_flat_scratch 0
		.amdhsa_float_round_mode_32 0
		.amdhsa_float_round_mode_16_64 0
		.amdhsa_float_denorm_mode_32 3
		.amdhsa_float_denorm_mode_16_64 3
		.amdhsa_dx10_clamp 1
		.amdhsa_ieee_mode 1
		.amdhsa_fp16_overflow 0
		.amdhsa_tg_split 0
		.amdhsa_exception_fp_ieee_invalid_op 0
		.amdhsa_exception_fp_denorm_src 0
		.amdhsa_exception_fp_ieee_div_zero 0
		.amdhsa_exception_fp_ieee_overflow 0
		.amdhsa_exception_fp_ieee_underflow 0
		.amdhsa_exception_fp_ieee_inexact 0
		.amdhsa_exception_int_div_zero 0
	.end_amdhsa_kernel
	.section	.text._ZN7rocprim17ROCPRIM_400000_NS6detail17trampoline_kernelINS0_14default_configENS1_38merge_sort_block_merge_config_selectorIdlEEZZNS1_27merge_sort_block_merge_implIS3_PdN6thrust23THRUST_200600_302600_NS10device_ptrIlEEjNS1_19radix_merge_compareILb0ELb0EdNS0_19identity_decomposerEEEEE10hipError_tT0_T1_T2_jT3_P12ihipStream_tbPNSt15iterator_traitsISG_E10value_typeEPNSM_ISH_E10value_typeEPSI_NS1_7vsmem_tEENKUlT_SG_SH_SI_E_clIS7_S7_SB_PlEESF_SV_SG_SH_SI_EUlSV_E0_NS1_11comp_targetILNS1_3genE9ELNS1_11target_archE1100ELNS1_3gpuE3ELNS1_3repE0EEENS1_38merge_mergepath_config_static_selectorELNS0_4arch9wavefront6targetE1EEEvSH_,"axG",@progbits,_ZN7rocprim17ROCPRIM_400000_NS6detail17trampoline_kernelINS0_14default_configENS1_38merge_sort_block_merge_config_selectorIdlEEZZNS1_27merge_sort_block_merge_implIS3_PdN6thrust23THRUST_200600_302600_NS10device_ptrIlEEjNS1_19radix_merge_compareILb0ELb0EdNS0_19identity_decomposerEEEEE10hipError_tT0_T1_T2_jT3_P12ihipStream_tbPNSt15iterator_traitsISG_E10value_typeEPNSM_ISH_E10value_typeEPSI_NS1_7vsmem_tEENKUlT_SG_SH_SI_E_clIS7_S7_SB_PlEESF_SV_SG_SH_SI_EUlSV_E0_NS1_11comp_targetILNS1_3genE9ELNS1_11target_archE1100ELNS1_3gpuE3ELNS1_3repE0EEENS1_38merge_mergepath_config_static_selectorELNS0_4arch9wavefront6targetE1EEEvSH_,comdat
.Lfunc_end1580:
	.size	_ZN7rocprim17ROCPRIM_400000_NS6detail17trampoline_kernelINS0_14default_configENS1_38merge_sort_block_merge_config_selectorIdlEEZZNS1_27merge_sort_block_merge_implIS3_PdN6thrust23THRUST_200600_302600_NS10device_ptrIlEEjNS1_19radix_merge_compareILb0ELb0EdNS0_19identity_decomposerEEEEE10hipError_tT0_T1_T2_jT3_P12ihipStream_tbPNSt15iterator_traitsISG_E10value_typeEPNSM_ISH_E10value_typeEPSI_NS1_7vsmem_tEENKUlT_SG_SH_SI_E_clIS7_S7_SB_PlEESF_SV_SG_SH_SI_EUlSV_E0_NS1_11comp_targetILNS1_3genE9ELNS1_11target_archE1100ELNS1_3gpuE3ELNS1_3repE0EEENS1_38merge_mergepath_config_static_selectorELNS0_4arch9wavefront6targetE1EEEvSH_, .Lfunc_end1580-_ZN7rocprim17ROCPRIM_400000_NS6detail17trampoline_kernelINS0_14default_configENS1_38merge_sort_block_merge_config_selectorIdlEEZZNS1_27merge_sort_block_merge_implIS3_PdN6thrust23THRUST_200600_302600_NS10device_ptrIlEEjNS1_19radix_merge_compareILb0ELb0EdNS0_19identity_decomposerEEEEE10hipError_tT0_T1_T2_jT3_P12ihipStream_tbPNSt15iterator_traitsISG_E10value_typeEPNSM_ISH_E10value_typeEPSI_NS1_7vsmem_tEENKUlT_SG_SH_SI_E_clIS7_S7_SB_PlEESF_SV_SG_SH_SI_EUlSV_E0_NS1_11comp_targetILNS1_3genE9ELNS1_11target_archE1100ELNS1_3gpuE3ELNS1_3repE0EEENS1_38merge_mergepath_config_static_selectorELNS0_4arch9wavefront6targetE1EEEvSH_
                                        ; -- End function
	.section	.AMDGPU.csdata,"",@progbits
; Kernel info:
; codeLenInByte = 0
; NumSgprs: 4
; NumVgprs: 0
; NumAgprs: 0
; TotalNumVgprs: 0
; ScratchSize: 0
; MemoryBound: 0
; FloatMode: 240
; IeeeMode: 1
; LDSByteSize: 0 bytes/workgroup (compile time only)
; SGPRBlocks: 0
; VGPRBlocks: 0
; NumSGPRsForWavesPerEU: 4
; NumVGPRsForWavesPerEU: 1
; AccumOffset: 4
; Occupancy: 8
; WaveLimiterHint : 0
; COMPUTE_PGM_RSRC2:SCRATCH_EN: 0
; COMPUTE_PGM_RSRC2:USER_SGPR: 6
; COMPUTE_PGM_RSRC2:TRAP_HANDLER: 0
; COMPUTE_PGM_RSRC2:TGID_X_EN: 1
; COMPUTE_PGM_RSRC2:TGID_Y_EN: 0
; COMPUTE_PGM_RSRC2:TGID_Z_EN: 0
; COMPUTE_PGM_RSRC2:TIDIG_COMP_CNT: 0
; COMPUTE_PGM_RSRC3_GFX90A:ACCUM_OFFSET: 0
; COMPUTE_PGM_RSRC3_GFX90A:TG_SPLIT: 0
	.section	.text._ZN7rocprim17ROCPRIM_400000_NS6detail17trampoline_kernelINS0_14default_configENS1_38merge_sort_block_merge_config_selectorIdlEEZZNS1_27merge_sort_block_merge_implIS3_PdN6thrust23THRUST_200600_302600_NS10device_ptrIlEEjNS1_19radix_merge_compareILb0ELb0EdNS0_19identity_decomposerEEEEE10hipError_tT0_T1_T2_jT3_P12ihipStream_tbPNSt15iterator_traitsISG_E10value_typeEPNSM_ISH_E10value_typeEPSI_NS1_7vsmem_tEENKUlT_SG_SH_SI_E_clIS7_S7_SB_PlEESF_SV_SG_SH_SI_EUlSV_E0_NS1_11comp_targetILNS1_3genE8ELNS1_11target_archE1030ELNS1_3gpuE2ELNS1_3repE0EEENS1_38merge_mergepath_config_static_selectorELNS0_4arch9wavefront6targetE1EEEvSH_,"axG",@progbits,_ZN7rocprim17ROCPRIM_400000_NS6detail17trampoline_kernelINS0_14default_configENS1_38merge_sort_block_merge_config_selectorIdlEEZZNS1_27merge_sort_block_merge_implIS3_PdN6thrust23THRUST_200600_302600_NS10device_ptrIlEEjNS1_19radix_merge_compareILb0ELb0EdNS0_19identity_decomposerEEEEE10hipError_tT0_T1_T2_jT3_P12ihipStream_tbPNSt15iterator_traitsISG_E10value_typeEPNSM_ISH_E10value_typeEPSI_NS1_7vsmem_tEENKUlT_SG_SH_SI_E_clIS7_S7_SB_PlEESF_SV_SG_SH_SI_EUlSV_E0_NS1_11comp_targetILNS1_3genE8ELNS1_11target_archE1030ELNS1_3gpuE2ELNS1_3repE0EEENS1_38merge_mergepath_config_static_selectorELNS0_4arch9wavefront6targetE1EEEvSH_,comdat
	.protected	_ZN7rocprim17ROCPRIM_400000_NS6detail17trampoline_kernelINS0_14default_configENS1_38merge_sort_block_merge_config_selectorIdlEEZZNS1_27merge_sort_block_merge_implIS3_PdN6thrust23THRUST_200600_302600_NS10device_ptrIlEEjNS1_19radix_merge_compareILb0ELb0EdNS0_19identity_decomposerEEEEE10hipError_tT0_T1_T2_jT3_P12ihipStream_tbPNSt15iterator_traitsISG_E10value_typeEPNSM_ISH_E10value_typeEPSI_NS1_7vsmem_tEENKUlT_SG_SH_SI_E_clIS7_S7_SB_PlEESF_SV_SG_SH_SI_EUlSV_E0_NS1_11comp_targetILNS1_3genE8ELNS1_11target_archE1030ELNS1_3gpuE2ELNS1_3repE0EEENS1_38merge_mergepath_config_static_selectorELNS0_4arch9wavefront6targetE1EEEvSH_ ; -- Begin function _ZN7rocprim17ROCPRIM_400000_NS6detail17trampoline_kernelINS0_14default_configENS1_38merge_sort_block_merge_config_selectorIdlEEZZNS1_27merge_sort_block_merge_implIS3_PdN6thrust23THRUST_200600_302600_NS10device_ptrIlEEjNS1_19radix_merge_compareILb0ELb0EdNS0_19identity_decomposerEEEEE10hipError_tT0_T1_T2_jT3_P12ihipStream_tbPNSt15iterator_traitsISG_E10value_typeEPNSM_ISH_E10value_typeEPSI_NS1_7vsmem_tEENKUlT_SG_SH_SI_E_clIS7_S7_SB_PlEESF_SV_SG_SH_SI_EUlSV_E0_NS1_11comp_targetILNS1_3genE8ELNS1_11target_archE1030ELNS1_3gpuE2ELNS1_3repE0EEENS1_38merge_mergepath_config_static_selectorELNS0_4arch9wavefront6targetE1EEEvSH_
	.globl	_ZN7rocprim17ROCPRIM_400000_NS6detail17trampoline_kernelINS0_14default_configENS1_38merge_sort_block_merge_config_selectorIdlEEZZNS1_27merge_sort_block_merge_implIS3_PdN6thrust23THRUST_200600_302600_NS10device_ptrIlEEjNS1_19radix_merge_compareILb0ELb0EdNS0_19identity_decomposerEEEEE10hipError_tT0_T1_T2_jT3_P12ihipStream_tbPNSt15iterator_traitsISG_E10value_typeEPNSM_ISH_E10value_typeEPSI_NS1_7vsmem_tEENKUlT_SG_SH_SI_E_clIS7_S7_SB_PlEESF_SV_SG_SH_SI_EUlSV_E0_NS1_11comp_targetILNS1_3genE8ELNS1_11target_archE1030ELNS1_3gpuE2ELNS1_3repE0EEENS1_38merge_mergepath_config_static_selectorELNS0_4arch9wavefront6targetE1EEEvSH_
	.p2align	8
	.type	_ZN7rocprim17ROCPRIM_400000_NS6detail17trampoline_kernelINS0_14default_configENS1_38merge_sort_block_merge_config_selectorIdlEEZZNS1_27merge_sort_block_merge_implIS3_PdN6thrust23THRUST_200600_302600_NS10device_ptrIlEEjNS1_19radix_merge_compareILb0ELb0EdNS0_19identity_decomposerEEEEE10hipError_tT0_T1_T2_jT3_P12ihipStream_tbPNSt15iterator_traitsISG_E10value_typeEPNSM_ISH_E10value_typeEPSI_NS1_7vsmem_tEENKUlT_SG_SH_SI_E_clIS7_S7_SB_PlEESF_SV_SG_SH_SI_EUlSV_E0_NS1_11comp_targetILNS1_3genE8ELNS1_11target_archE1030ELNS1_3gpuE2ELNS1_3repE0EEENS1_38merge_mergepath_config_static_selectorELNS0_4arch9wavefront6targetE1EEEvSH_,@function
_ZN7rocprim17ROCPRIM_400000_NS6detail17trampoline_kernelINS0_14default_configENS1_38merge_sort_block_merge_config_selectorIdlEEZZNS1_27merge_sort_block_merge_implIS3_PdN6thrust23THRUST_200600_302600_NS10device_ptrIlEEjNS1_19radix_merge_compareILb0ELb0EdNS0_19identity_decomposerEEEEE10hipError_tT0_T1_T2_jT3_P12ihipStream_tbPNSt15iterator_traitsISG_E10value_typeEPNSM_ISH_E10value_typeEPSI_NS1_7vsmem_tEENKUlT_SG_SH_SI_E_clIS7_S7_SB_PlEESF_SV_SG_SH_SI_EUlSV_E0_NS1_11comp_targetILNS1_3genE8ELNS1_11target_archE1030ELNS1_3gpuE2ELNS1_3repE0EEENS1_38merge_mergepath_config_static_selectorELNS0_4arch9wavefront6targetE1EEEvSH_: ; @_ZN7rocprim17ROCPRIM_400000_NS6detail17trampoline_kernelINS0_14default_configENS1_38merge_sort_block_merge_config_selectorIdlEEZZNS1_27merge_sort_block_merge_implIS3_PdN6thrust23THRUST_200600_302600_NS10device_ptrIlEEjNS1_19radix_merge_compareILb0ELb0EdNS0_19identity_decomposerEEEEE10hipError_tT0_T1_T2_jT3_P12ihipStream_tbPNSt15iterator_traitsISG_E10value_typeEPNSM_ISH_E10value_typeEPSI_NS1_7vsmem_tEENKUlT_SG_SH_SI_E_clIS7_S7_SB_PlEESF_SV_SG_SH_SI_EUlSV_E0_NS1_11comp_targetILNS1_3genE8ELNS1_11target_archE1030ELNS1_3gpuE2ELNS1_3repE0EEENS1_38merge_mergepath_config_static_selectorELNS0_4arch9wavefront6targetE1EEEvSH_
; %bb.0:
	.section	.rodata,"a",@progbits
	.p2align	6, 0x0
	.amdhsa_kernel _ZN7rocprim17ROCPRIM_400000_NS6detail17trampoline_kernelINS0_14default_configENS1_38merge_sort_block_merge_config_selectorIdlEEZZNS1_27merge_sort_block_merge_implIS3_PdN6thrust23THRUST_200600_302600_NS10device_ptrIlEEjNS1_19radix_merge_compareILb0ELb0EdNS0_19identity_decomposerEEEEE10hipError_tT0_T1_T2_jT3_P12ihipStream_tbPNSt15iterator_traitsISG_E10value_typeEPNSM_ISH_E10value_typeEPSI_NS1_7vsmem_tEENKUlT_SG_SH_SI_E_clIS7_S7_SB_PlEESF_SV_SG_SH_SI_EUlSV_E0_NS1_11comp_targetILNS1_3genE8ELNS1_11target_archE1030ELNS1_3gpuE2ELNS1_3repE0EEENS1_38merge_mergepath_config_static_selectorELNS0_4arch9wavefront6targetE1EEEvSH_
		.amdhsa_group_segment_fixed_size 0
		.amdhsa_private_segment_fixed_size 0
		.amdhsa_kernarg_size 64
		.amdhsa_user_sgpr_count 6
		.amdhsa_user_sgpr_private_segment_buffer 1
		.amdhsa_user_sgpr_dispatch_ptr 0
		.amdhsa_user_sgpr_queue_ptr 0
		.amdhsa_user_sgpr_kernarg_segment_ptr 1
		.amdhsa_user_sgpr_dispatch_id 0
		.amdhsa_user_sgpr_flat_scratch_init 0
		.amdhsa_user_sgpr_kernarg_preload_length 0
		.amdhsa_user_sgpr_kernarg_preload_offset 0
		.amdhsa_user_sgpr_private_segment_size 0
		.amdhsa_uses_dynamic_stack 0
		.amdhsa_system_sgpr_private_segment_wavefront_offset 0
		.amdhsa_system_sgpr_workgroup_id_x 1
		.amdhsa_system_sgpr_workgroup_id_y 0
		.amdhsa_system_sgpr_workgroup_id_z 0
		.amdhsa_system_sgpr_workgroup_info 0
		.amdhsa_system_vgpr_workitem_id 0
		.amdhsa_next_free_vgpr 1
		.amdhsa_next_free_sgpr 0
		.amdhsa_accum_offset 4
		.amdhsa_reserve_vcc 0
		.amdhsa_reserve_flat_scratch 0
		.amdhsa_float_round_mode_32 0
		.amdhsa_float_round_mode_16_64 0
		.amdhsa_float_denorm_mode_32 3
		.amdhsa_float_denorm_mode_16_64 3
		.amdhsa_dx10_clamp 1
		.amdhsa_ieee_mode 1
		.amdhsa_fp16_overflow 0
		.amdhsa_tg_split 0
		.amdhsa_exception_fp_ieee_invalid_op 0
		.amdhsa_exception_fp_denorm_src 0
		.amdhsa_exception_fp_ieee_div_zero 0
		.amdhsa_exception_fp_ieee_overflow 0
		.amdhsa_exception_fp_ieee_underflow 0
		.amdhsa_exception_fp_ieee_inexact 0
		.amdhsa_exception_int_div_zero 0
	.end_amdhsa_kernel
	.section	.text._ZN7rocprim17ROCPRIM_400000_NS6detail17trampoline_kernelINS0_14default_configENS1_38merge_sort_block_merge_config_selectorIdlEEZZNS1_27merge_sort_block_merge_implIS3_PdN6thrust23THRUST_200600_302600_NS10device_ptrIlEEjNS1_19radix_merge_compareILb0ELb0EdNS0_19identity_decomposerEEEEE10hipError_tT0_T1_T2_jT3_P12ihipStream_tbPNSt15iterator_traitsISG_E10value_typeEPNSM_ISH_E10value_typeEPSI_NS1_7vsmem_tEENKUlT_SG_SH_SI_E_clIS7_S7_SB_PlEESF_SV_SG_SH_SI_EUlSV_E0_NS1_11comp_targetILNS1_3genE8ELNS1_11target_archE1030ELNS1_3gpuE2ELNS1_3repE0EEENS1_38merge_mergepath_config_static_selectorELNS0_4arch9wavefront6targetE1EEEvSH_,"axG",@progbits,_ZN7rocprim17ROCPRIM_400000_NS6detail17trampoline_kernelINS0_14default_configENS1_38merge_sort_block_merge_config_selectorIdlEEZZNS1_27merge_sort_block_merge_implIS3_PdN6thrust23THRUST_200600_302600_NS10device_ptrIlEEjNS1_19radix_merge_compareILb0ELb0EdNS0_19identity_decomposerEEEEE10hipError_tT0_T1_T2_jT3_P12ihipStream_tbPNSt15iterator_traitsISG_E10value_typeEPNSM_ISH_E10value_typeEPSI_NS1_7vsmem_tEENKUlT_SG_SH_SI_E_clIS7_S7_SB_PlEESF_SV_SG_SH_SI_EUlSV_E0_NS1_11comp_targetILNS1_3genE8ELNS1_11target_archE1030ELNS1_3gpuE2ELNS1_3repE0EEENS1_38merge_mergepath_config_static_selectorELNS0_4arch9wavefront6targetE1EEEvSH_,comdat
.Lfunc_end1581:
	.size	_ZN7rocprim17ROCPRIM_400000_NS6detail17trampoline_kernelINS0_14default_configENS1_38merge_sort_block_merge_config_selectorIdlEEZZNS1_27merge_sort_block_merge_implIS3_PdN6thrust23THRUST_200600_302600_NS10device_ptrIlEEjNS1_19radix_merge_compareILb0ELb0EdNS0_19identity_decomposerEEEEE10hipError_tT0_T1_T2_jT3_P12ihipStream_tbPNSt15iterator_traitsISG_E10value_typeEPNSM_ISH_E10value_typeEPSI_NS1_7vsmem_tEENKUlT_SG_SH_SI_E_clIS7_S7_SB_PlEESF_SV_SG_SH_SI_EUlSV_E0_NS1_11comp_targetILNS1_3genE8ELNS1_11target_archE1030ELNS1_3gpuE2ELNS1_3repE0EEENS1_38merge_mergepath_config_static_selectorELNS0_4arch9wavefront6targetE1EEEvSH_, .Lfunc_end1581-_ZN7rocprim17ROCPRIM_400000_NS6detail17trampoline_kernelINS0_14default_configENS1_38merge_sort_block_merge_config_selectorIdlEEZZNS1_27merge_sort_block_merge_implIS3_PdN6thrust23THRUST_200600_302600_NS10device_ptrIlEEjNS1_19radix_merge_compareILb0ELb0EdNS0_19identity_decomposerEEEEE10hipError_tT0_T1_T2_jT3_P12ihipStream_tbPNSt15iterator_traitsISG_E10value_typeEPNSM_ISH_E10value_typeEPSI_NS1_7vsmem_tEENKUlT_SG_SH_SI_E_clIS7_S7_SB_PlEESF_SV_SG_SH_SI_EUlSV_E0_NS1_11comp_targetILNS1_3genE8ELNS1_11target_archE1030ELNS1_3gpuE2ELNS1_3repE0EEENS1_38merge_mergepath_config_static_selectorELNS0_4arch9wavefront6targetE1EEEvSH_
                                        ; -- End function
	.section	.AMDGPU.csdata,"",@progbits
; Kernel info:
; codeLenInByte = 0
; NumSgprs: 4
; NumVgprs: 0
; NumAgprs: 0
; TotalNumVgprs: 0
; ScratchSize: 0
; MemoryBound: 0
; FloatMode: 240
; IeeeMode: 1
; LDSByteSize: 0 bytes/workgroup (compile time only)
; SGPRBlocks: 0
; VGPRBlocks: 0
; NumSGPRsForWavesPerEU: 4
; NumVGPRsForWavesPerEU: 1
; AccumOffset: 4
; Occupancy: 8
; WaveLimiterHint : 0
; COMPUTE_PGM_RSRC2:SCRATCH_EN: 0
; COMPUTE_PGM_RSRC2:USER_SGPR: 6
; COMPUTE_PGM_RSRC2:TRAP_HANDLER: 0
; COMPUTE_PGM_RSRC2:TGID_X_EN: 1
; COMPUTE_PGM_RSRC2:TGID_Y_EN: 0
; COMPUTE_PGM_RSRC2:TGID_Z_EN: 0
; COMPUTE_PGM_RSRC2:TIDIG_COMP_CNT: 0
; COMPUTE_PGM_RSRC3_GFX90A:ACCUM_OFFSET: 0
; COMPUTE_PGM_RSRC3_GFX90A:TG_SPLIT: 0
	.section	.text._ZN7rocprim17ROCPRIM_400000_NS6detail17trampoline_kernelINS0_14default_configENS1_38merge_sort_block_merge_config_selectorIdlEEZZNS1_27merge_sort_block_merge_implIS3_PdN6thrust23THRUST_200600_302600_NS10device_ptrIlEEjNS1_19radix_merge_compareILb0ELb0EdNS0_19identity_decomposerEEEEE10hipError_tT0_T1_T2_jT3_P12ihipStream_tbPNSt15iterator_traitsISG_E10value_typeEPNSM_ISH_E10value_typeEPSI_NS1_7vsmem_tEENKUlT_SG_SH_SI_E_clIS7_S7_SB_PlEESF_SV_SG_SH_SI_EUlSV_E1_NS1_11comp_targetILNS1_3genE0ELNS1_11target_archE4294967295ELNS1_3gpuE0ELNS1_3repE0EEENS1_36merge_oddeven_config_static_selectorELNS0_4arch9wavefront6targetE1EEEvSH_,"axG",@progbits,_ZN7rocprim17ROCPRIM_400000_NS6detail17trampoline_kernelINS0_14default_configENS1_38merge_sort_block_merge_config_selectorIdlEEZZNS1_27merge_sort_block_merge_implIS3_PdN6thrust23THRUST_200600_302600_NS10device_ptrIlEEjNS1_19radix_merge_compareILb0ELb0EdNS0_19identity_decomposerEEEEE10hipError_tT0_T1_T2_jT3_P12ihipStream_tbPNSt15iterator_traitsISG_E10value_typeEPNSM_ISH_E10value_typeEPSI_NS1_7vsmem_tEENKUlT_SG_SH_SI_E_clIS7_S7_SB_PlEESF_SV_SG_SH_SI_EUlSV_E1_NS1_11comp_targetILNS1_3genE0ELNS1_11target_archE4294967295ELNS1_3gpuE0ELNS1_3repE0EEENS1_36merge_oddeven_config_static_selectorELNS0_4arch9wavefront6targetE1EEEvSH_,comdat
	.protected	_ZN7rocprim17ROCPRIM_400000_NS6detail17trampoline_kernelINS0_14default_configENS1_38merge_sort_block_merge_config_selectorIdlEEZZNS1_27merge_sort_block_merge_implIS3_PdN6thrust23THRUST_200600_302600_NS10device_ptrIlEEjNS1_19radix_merge_compareILb0ELb0EdNS0_19identity_decomposerEEEEE10hipError_tT0_T1_T2_jT3_P12ihipStream_tbPNSt15iterator_traitsISG_E10value_typeEPNSM_ISH_E10value_typeEPSI_NS1_7vsmem_tEENKUlT_SG_SH_SI_E_clIS7_S7_SB_PlEESF_SV_SG_SH_SI_EUlSV_E1_NS1_11comp_targetILNS1_3genE0ELNS1_11target_archE4294967295ELNS1_3gpuE0ELNS1_3repE0EEENS1_36merge_oddeven_config_static_selectorELNS0_4arch9wavefront6targetE1EEEvSH_ ; -- Begin function _ZN7rocprim17ROCPRIM_400000_NS6detail17trampoline_kernelINS0_14default_configENS1_38merge_sort_block_merge_config_selectorIdlEEZZNS1_27merge_sort_block_merge_implIS3_PdN6thrust23THRUST_200600_302600_NS10device_ptrIlEEjNS1_19radix_merge_compareILb0ELb0EdNS0_19identity_decomposerEEEEE10hipError_tT0_T1_T2_jT3_P12ihipStream_tbPNSt15iterator_traitsISG_E10value_typeEPNSM_ISH_E10value_typeEPSI_NS1_7vsmem_tEENKUlT_SG_SH_SI_E_clIS7_S7_SB_PlEESF_SV_SG_SH_SI_EUlSV_E1_NS1_11comp_targetILNS1_3genE0ELNS1_11target_archE4294967295ELNS1_3gpuE0ELNS1_3repE0EEENS1_36merge_oddeven_config_static_selectorELNS0_4arch9wavefront6targetE1EEEvSH_
	.globl	_ZN7rocprim17ROCPRIM_400000_NS6detail17trampoline_kernelINS0_14default_configENS1_38merge_sort_block_merge_config_selectorIdlEEZZNS1_27merge_sort_block_merge_implIS3_PdN6thrust23THRUST_200600_302600_NS10device_ptrIlEEjNS1_19radix_merge_compareILb0ELb0EdNS0_19identity_decomposerEEEEE10hipError_tT0_T1_T2_jT3_P12ihipStream_tbPNSt15iterator_traitsISG_E10value_typeEPNSM_ISH_E10value_typeEPSI_NS1_7vsmem_tEENKUlT_SG_SH_SI_E_clIS7_S7_SB_PlEESF_SV_SG_SH_SI_EUlSV_E1_NS1_11comp_targetILNS1_3genE0ELNS1_11target_archE4294967295ELNS1_3gpuE0ELNS1_3repE0EEENS1_36merge_oddeven_config_static_selectorELNS0_4arch9wavefront6targetE1EEEvSH_
	.p2align	8
	.type	_ZN7rocprim17ROCPRIM_400000_NS6detail17trampoline_kernelINS0_14default_configENS1_38merge_sort_block_merge_config_selectorIdlEEZZNS1_27merge_sort_block_merge_implIS3_PdN6thrust23THRUST_200600_302600_NS10device_ptrIlEEjNS1_19radix_merge_compareILb0ELb0EdNS0_19identity_decomposerEEEEE10hipError_tT0_T1_T2_jT3_P12ihipStream_tbPNSt15iterator_traitsISG_E10value_typeEPNSM_ISH_E10value_typeEPSI_NS1_7vsmem_tEENKUlT_SG_SH_SI_E_clIS7_S7_SB_PlEESF_SV_SG_SH_SI_EUlSV_E1_NS1_11comp_targetILNS1_3genE0ELNS1_11target_archE4294967295ELNS1_3gpuE0ELNS1_3repE0EEENS1_36merge_oddeven_config_static_selectorELNS0_4arch9wavefront6targetE1EEEvSH_,@function
_ZN7rocprim17ROCPRIM_400000_NS6detail17trampoline_kernelINS0_14default_configENS1_38merge_sort_block_merge_config_selectorIdlEEZZNS1_27merge_sort_block_merge_implIS3_PdN6thrust23THRUST_200600_302600_NS10device_ptrIlEEjNS1_19radix_merge_compareILb0ELb0EdNS0_19identity_decomposerEEEEE10hipError_tT0_T1_T2_jT3_P12ihipStream_tbPNSt15iterator_traitsISG_E10value_typeEPNSM_ISH_E10value_typeEPSI_NS1_7vsmem_tEENKUlT_SG_SH_SI_E_clIS7_S7_SB_PlEESF_SV_SG_SH_SI_EUlSV_E1_NS1_11comp_targetILNS1_3genE0ELNS1_11target_archE4294967295ELNS1_3gpuE0ELNS1_3repE0EEENS1_36merge_oddeven_config_static_selectorELNS0_4arch9wavefront6targetE1EEEvSH_: ; @_ZN7rocprim17ROCPRIM_400000_NS6detail17trampoline_kernelINS0_14default_configENS1_38merge_sort_block_merge_config_selectorIdlEEZZNS1_27merge_sort_block_merge_implIS3_PdN6thrust23THRUST_200600_302600_NS10device_ptrIlEEjNS1_19radix_merge_compareILb0ELb0EdNS0_19identity_decomposerEEEEE10hipError_tT0_T1_T2_jT3_P12ihipStream_tbPNSt15iterator_traitsISG_E10value_typeEPNSM_ISH_E10value_typeEPSI_NS1_7vsmem_tEENKUlT_SG_SH_SI_E_clIS7_S7_SB_PlEESF_SV_SG_SH_SI_EUlSV_E1_NS1_11comp_targetILNS1_3genE0ELNS1_11target_archE4294967295ELNS1_3gpuE0ELNS1_3repE0EEENS1_36merge_oddeven_config_static_selectorELNS0_4arch9wavefront6targetE1EEEvSH_
; %bb.0:
	.section	.rodata,"a",@progbits
	.p2align	6, 0x0
	.amdhsa_kernel _ZN7rocprim17ROCPRIM_400000_NS6detail17trampoline_kernelINS0_14default_configENS1_38merge_sort_block_merge_config_selectorIdlEEZZNS1_27merge_sort_block_merge_implIS3_PdN6thrust23THRUST_200600_302600_NS10device_ptrIlEEjNS1_19radix_merge_compareILb0ELb0EdNS0_19identity_decomposerEEEEE10hipError_tT0_T1_T2_jT3_P12ihipStream_tbPNSt15iterator_traitsISG_E10value_typeEPNSM_ISH_E10value_typeEPSI_NS1_7vsmem_tEENKUlT_SG_SH_SI_E_clIS7_S7_SB_PlEESF_SV_SG_SH_SI_EUlSV_E1_NS1_11comp_targetILNS1_3genE0ELNS1_11target_archE4294967295ELNS1_3gpuE0ELNS1_3repE0EEENS1_36merge_oddeven_config_static_selectorELNS0_4arch9wavefront6targetE1EEEvSH_
		.amdhsa_group_segment_fixed_size 0
		.amdhsa_private_segment_fixed_size 0
		.amdhsa_kernarg_size 48
		.amdhsa_user_sgpr_count 6
		.amdhsa_user_sgpr_private_segment_buffer 1
		.amdhsa_user_sgpr_dispatch_ptr 0
		.amdhsa_user_sgpr_queue_ptr 0
		.amdhsa_user_sgpr_kernarg_segment_ptr 1
		.amdhsa_user_sgpr_dispatch_id 0
		.amdhsa_user_sgpr_flat_scratch_init 0
		.amdhsa_user_sgpr_kernarg_preload_length 0
		.amdhsa_user_sgpr_kernarg_preload_offset 0
		.amdhsa_user_sgpr_private_segment_size 0
		.amdhsa_uses_dynamic_stack 0
		.amdhsa_system_sgpr_private_segment_wavefront_offset 0
		.amdhsa_system_sgpr_workgroup_id_x 1
		.amdhsa_system_sgpr_workgroup_id_y 0
		.amdhsa_system_sgpr_workgroup_id_z 0
		.amdhsa_system_sgpr_workgroup_info 0
		.amdhsa_system_vgpr_workitem_id 0
		.amdhsa_next_free_vgpr 1
		.amdhsa_next_free_sgpr 0
		.amdhsa_accum_offset 4
		.amdhsa_reserve_vcc 0
		.amdhsa_reserve_flat_scratch 0
		.amdhsa_float_round_mode_32 0
		.amdhsa_float_round_mode_16_64 0
		.amdhsa_float_denorm_mode_32 3
		.amdhsa_float_denorm_mode_16_64 3
		.amdhsa_dx10_clamp 1
		.amdhsa_ieee_mode 1
		.amdhsa_fp16_overflow 0
		.amdhsa_tg_split 0
		.amdhsa_exception_fp_ieee_invalid_op 0
		.amdhsa_exception_fp_denorm_src 0
		.amdhsa_exception_fp_ieee_div_zero 0
		.amdhsa_exception_fp_ieee_overflow 0
		.amdhsa_exception_fp_ieee_underflow 0
		.amdhsa_exception_fp_ieee_inexact 0
		.amdhsa_exception_int_div_zero 0
	.end_amdhsa_kernel
	.section	.text._ZN7rocprim17ROCPRIM_400000_NS6detail17trampoline_kernelINS0_14default_configENS1_38merge_sort_block_merge_config_selectorIdlEEZZNS1_27merge_sort_block_merge_implIS3_PdN6thrust23THRUST_200600_302600_NS10device_ptrIlEEjNS1_19radix_merge_compareILb0ELb0EdNS0_19identity_decomposerEEEEE10hipError_tT0_T1_T2_jT3_P12ihipStream_tbPNSt15iterator_traitsISG_E10value_typeEPNSM_ISH_E10value_typeEPSI_NS1_7vsmem_tEENKUlT_SG_SH_SI_E_clIS7_S7_SB_PlEESF_SV_SG_SH_SI_EUlSV_E1_NS1_11comp_targetILNS1_3genE0ELNS1_11target_archE4294967295ELNS1_3gpuE0ELNS1_3repE0EEENS1_36merge_oddeven_config_static_selectorELNS0_4arch9wavefront6targetE1EEEvSH_,"axG",@progbits,_ZN7rocprim17ROCPRIM_400000_NS6detail17trampoline_kernelINS0_14default_configENS1_38merge_sort_block_merge_config_selectorIdlEEZZNS1_27merge_sort_block_merge_implIS3_PdN6thrust23THRUST_200600_302600_NS10device_ptrIlEEjNS1_19radix_merge_compareILb0ELb0EdNS0_19identity_decomposerEEEEE10hipError_tT0_T1_T2_jT3_P12ihipStream_tbPNSt15iterator_traitsISG_E10value_typeEPNSM_ISH_E10value_typeEPSI_NS1_7vsmem_tEENKUlT_SG_SH_SI_E_clIS7_S7_SB_PlEESF_SV_SG_SH_SI_EUlSV_E1_NS1_11comp_targetILNS1_3genE0ELNS1_11target_archE4294967295ELNS1_3gpuE0ELNS1_3repE0EEENS1_36merge_oddeven_config_static_selectorELNS0_4arch9wavefront6targetE1EEEvSH_,comdat
.Lfunc_end1582:
	.size	_ZN7rocprim17ROCPRIM_400000_NS6detail17trampoline_kernelINS0_14default_configENS1_38merge_sort_block_merge_config_selectorIdlEEZZNS1_27merge_sort_block_merge_implIS3_PdN6thrust23THRUST_200600_302600_NS10device_ptrIlEEjNS1_19radix_merge_compareILb0ELb0EdNS0_19identity_decomposerEEEEE10hipError_tT0_T1_T2_jT3_P12ihipStream_tbPNSt15iterator_traitsISG_E10value_typeEPNSM_ISH_E10value_typeEPSI_NS1_7vsmem_tEENKUlT_SG_SH_SI_E_clIS7_S7_SB_PlEESF_SV_SG_SH_SI_EUlSV_E1_NS1_11comp_targetILNS1_3genE0ELNS1_11target_archE4294967295ELNS1_3gpuE0ELNS1_3repE0EEENS1_36merge_oddeven_config_static_selectorELNS0_4arch9wavefront6targetE1EEEvSH_, .Lfunc_end1582-_ZN7rocprim17ROCPRIM_400000_NS6detail17trampoline_kernelINS0_14default_configENS1_38merge_sort_block_merge_config_selectorIdlEEZZNS1_27merge_sort_block_merge_implIS3_PdN6thrust23THRUST_200600_302600_NS10device_ptrIlEEjNS1_19radix_merge_compareILb0ELb0EdNS0_19identity_decomposerEEEEE10hipError_tT0_T1_T2_jT3_P12ihipStream_tbPNSt15iterator_traitsISG_E10value_typeEPNSM_ISH_E10value_typeEPSI_NS1_7vsmem_tEENKUlT_SG_SH_SI_E_clIS7_S7_SB_PlEESF_SV_SG_SH_SI_EUlSV_E1_NS1_11comp_targetILNS1_3genE0ELNS1_11target_archE4294967295ELNS1_3gpuE0ELNS1_3repE0EEENS1_36merge_oddeven_config_static_selectorELNS0_4arch9wavefront6targetE1EEEvSH_
                                        ; -- End function
	.section	.AMDGPU.csdata,"",@progbits
; Kernel info:
; codeLenInByte = 0
; NumSgprs: 4
; NumVgprs: 0
; NumAgprs: 0
; TotalNumVgprs: 0
; ScratchSize: 0
; MemoryBound: 0
; FloatMode: 240
; IeeeMode: 1
; LDSByteSize: 0 bytes/workgroup (compile time only)
; SGPRBlocks: 0
; VGPRBlocks: 0
; NumSGPRsForWavesPerEU: 4
; NumVGPRsForWavesPerEU: 1
; AccumOffset: 4
; Occupancy: 8
; WaveLimiterHint : 0
; COMPUTE_PGM_RSRC2:SCRATCH_EN: 0
; COMPUTE_PGM_RSRC2:USER_SGPR: 6
; COMPUTE_PGM_RSRC2:TRAP_HANDLER: 0
; COMPUTE_PGM_RSRC2:TGID_X_EN: 1
; COMPUTE_PGM_RSRC2:TGID_Y_EN: 0
; COMPUTE_PGM_RSRC2:TGID_Z_EN: 0
; COMPUTE_PGM_RSRC2:TIDIG_COMP_CNT: 0
; COMPUTE_PGM_RSRC3_GFX90A:ACCUM_OFFSET: 0
; COMPUTE_PGM_RSRC3_GFX90A:TG_SPLIT: 0
	.section	.text._ZN7rocprim17ROCPRIM_400000_NS6detail17trampoline_kernelINS0_14default_configENS1_38merge_sort_block_merge_config_selectorIdlEEZZNS1_27merge_sort_block_merge_implIS3_PdN6thrust23THRUST_200600_302600_NS10device_ptrIlEEjNS1_19radix_merge_compareILb0ELb0EdNS0_19identity_decomposerEEEEE10hipError_tT0_T1_T2_jT3_P12ihipStream_tbPNSt15iterator_traitsISG_E10value_typeEPNSM_ISH_E10value_typeEPSI_NS1_7vsmem_tEENKUlT_SG_SH_SI_E_clIS7_S7_SB_PlEESF_SV_SG_SH_SI_EUlSV_E1_NS1_11comp_targetILNS1_3genE10ELNS1_11target_archE1201ELNS1_3gpuE5ELNS1_3repE0EEENS1_36merge_oddeven_config_static_selectorELNS0_4arch9wavefront6targetE1EEEvSH_,"axG",@progbits,_ZN7rocprim17ROCPRIM_400000_NS6detail17trampoline_kernelINS0_14default_configENS1_38merge_sort_block_merge_config_selectorIdlEEZZNS1_27merge_sort_block_merge_implIS3_PdN6thrust23THRUST_200600_302600_NS10device_ptrIlEEjNS1_19radix_merge_compareILb0ELb0EdNS0_19identity_decomposerEEEEE10hipError_tT0_T1_T2_jT3_P12ihipStream_tbPNSt15iterator_traitsISG_E10value_typeEPNSM_ISH_E10value_typeEPSI_NS1_7vsmem_tEENKUlT_SG_SH_SI_E_clIS7_S7_SB_PlEESF_SV_SG_SH_SI_EUlSV_E1_NS1_11comp_targetILNS1_3genE10ELNS1_11target_archE1201ELNS1_3gpuE5ELNS1_3repE0EEENS1_36merge_oddeven_config_static_selectorELNS0_4arch9wavefront6targetE1EEEvSH_,comdat
	.protected	_ZN7rocprim17ROCPRIM_400000_NS6detail17trampoline_kernelINS0_14default_configENS1_38merge_sort_block_merge_config_selectorIdlEEZZNS1_27merge_sort_block_merge_implIS3_PdN6thrust23THRUST_200600_302600_NS10device_ptrIlEEjNS1_19radix_merge_compareILb0ELb0EdNS0_19identity_decomposerEEEEE10hipError_tT0_T1_T2_jT3_P12ihipStream_tbPNSt15iterator_traitsISG_E10value_typeEPNSM_ISH_E10value_typeEPSI_NS1_7vsmem_tEENKUlT_SG_SH_SI_E_clIS7_S7_SB_PlEESF_SV_SG_SH_SI_EUlSV_E1_NS1_11comp_targetILNS1_3genE10ELNS1_11target_archE1201ELNS1_3gpuE5ELNS1_3repE0EEENS1_36merge_oddeven_config_static_selectorELNS0_4arch9wavefront6targetE1EEEvSH_ ; -- Begin function _ZN7rocprim17ROCPRIM_400000_NS6detail17trampoline_kernelINS0_14default_configENS1_38merge_sort_block_merge_config_selectorIdlEEZZNS1_27merge_sort_block_merge_implIS3_PdN6thrust23THRUST_200600_302600_NS10device_ptrIlEEjNS1_19radix_merge_compareILb0ELb0EdNS0_19identity_decomposerEEEEE10hipError_tT0_T1_T2_jT3_P12ihipStream_tbPNSt15iterator_traitsISG_E10value_typeEPNSM_ISH_E10value_typeEPSI_NS1_7vsmem_tEENKUlT_SG_SH_SI_E_clIS7_S7_SB_PlEESF_SV_SG_SH_SI_EUlSV_E1_NS1_11comp_targetILNS1_3genE10ELNS1_11target_archE1201ELNS1_3gpuE5ELNS1_3repE0EEENS1_36merge_oddeven_config_static_selectorELNS0_4arch9wavefront6targetE1EEEvSH_
	.globl	_ZN7rocprim17ROCPRIM_400000_NS6detail17trampoline_kernelINS0_14default_configENS1_38merge_sort_block_merge_config_selectorIdlEEZZNS1_27merge_sort_block_merge_implIS3_PdN6thrust23THRUST_200600_302600_NS10device_ptrIlEEjNS1_19radix_merge_compareILb0ELb0EdNS0_19identity_decomposerEEEEE10hipError_tT0_T1_T2_jT3_P12ihipStream_tbPNSt15iterator_traitsISG_E10value_typeEPNSM_ISH_E10value_typeEPSI_NS1_7vsmem_tEENKUlT_SG_SH_SI_E_clIS7_S7_SB_PlEESF_SV_SG_SH_SI_EUlSV_E1_NS1_11comp_targetILNS1_3genE10ELNS1_11target_archE1201ELNS1_3gpuE5ELNS1_3repE0EEENS1_36merge_oddeven_config_static_selectorELNS0_4arch9wavefront6targetE1EEEvSH_
	.p2align	8
	.type	_ZN7rocprim17ROCPRIM_400000_NS6detail17trampoline_kernelINS0_14default_configENS1_38merge_sort_block_merge_config_selectorIdlEEZZNS1_27merge_sort_block_merge_implIS3_PdN6thrust23THRUST_200600_302600_NS10device_ptrIlEEjNS1_19radix_merge_compareILb0ELb0EdNS0_19identity_decomposerEEEEE10hipError_tT0_T1_T2_jT3_P12ihipStream_tbPNSt15iterator_traitsISG_E10value_typeEPNSM_ISH_E10value_typeEPSI_NS1_7vsmem_tEENKUlT_SG_SH_SI_E_clIS7_S7_SB_PlEESF_SV_SG_SH_SI_EUlSV_E1_NS1_11comp_targetILNS1_3genE10ELNS1_11target_archE1201ELNS1_3gpuE5ELNS1_3repE0EEENS1_36merge_oddeven_config_static_selectorELNS0_4arch9wavefront6targetE1EEEvSH_,@function
_ZN7rocprim17ROCPRIM_400000_NS6detail17trampoline_kernelINS0_14default_configENS1_38merge_sort_block_merge_config_selectorIdlEEZZNS1_27merge_sort_block_merge_implIS3_PdN6thrust23THRUST_200600_302600_NS10device_ptrIlEEjNS1_19radix_merge_compareILb0ELb0EdNS0_19identity_decomposerEEEEE10hipError_tT0_T1_T2_jT3_P12ihipStream_tbPNSt15iterator_traitsISG_E10value_typeEPNSM_ISH_E10value_typeEPSI_NS1_7vsmem_tEENKUlT_SG_SH_SI_E_clIS7_S7_SB_PlEESF_SV_SG_SH_SI_EUlSV_E1_NS1_11comp_targetILNS1_3genE10ELNS1_11target_archE1201ELNS1_3gpuE5ELNS1_3repE0EEENS1_36merge_oddeven_config_static_selectorELNS0_4arch9wavefront6targetE1EEEvSH_: ; @_ZN7rocprim17ROCPRIM_400000_NS6detail17trampoline_kernelINS0_14default_configENS1_38merge_sort_block_merge_config_selectorIdlEEZZNS1_27merge_sort_block_merge_implIS3_PdN6thrust23THRUST_200600_302600_NS10device_ptrIlEEjNS1_19radix_merge_compareILb0ELb0EdNS0_19identity_decomposerEEEEE10hipError_tT0_T1_T2_jT3_P12ihipStream_tbPNSt15iterator_traitsISG_E10value_typeEPNSM_ISH_E10value_typeEPSI_NS1_7vsmem_tEENKUlT_SG_SH_SI_E_clIS7_S7_SB_PlEESF_SV_SG_SH_SI_EUlSV_E1_NS1_11comp_targetILNS1_3genE10ELNS1_11target_archE1201ELNS1_3gpuE5ELNS1_3repE0EEENS1_36merge_oddeven_config_static_selectorELNS0_4arch9wavefront6targetE1EEEvSH_
; %bb.0:
	.section	.rodata,"a",@progbits
	.p2align	6, 0x0
	.amdhsa_kernel _ZN7rocprim17ROCPRIM_400000_NS6detail17trampoline_kernelINS0_14default_configENS1_38merge_sort_block_merge_config_selectorIdlEEZZNS1_27merge_sort_block_merge_implIS3_PdN6thrust23THRUST_200600_302600_NS10device_ptrIlEEjNS1_19radix_merge_compareILb0ELb0EdNS0_19identity_decomposerEEEEE10hipError_tT0_T1_T2_jT3_P12ihipStream_tbPNSt15iterator_traitsISG_E10value_typeEPNSM_ISH_E10value_typeEPSI_NS1_7vsmem_tEENKUlT_SG_SH_SI_E_clIS7_S7_SB_PlEESF_SV_SG_SH_SI_EUlSV_E1_NS1_11comp_targetILNS1_3genE10ELNS1_11target_archE1201ELNS1_3gpuE5ELNS1_3repE0EEENS1_36merge_oddeven_config_static_selectorELNS0_4arch9wavefront6targetE1EEEvSH_
		.amdhsa_group_segment_fixed_size 0
		.amdhsa_private_segment_fixed_size 0
		.amdhsa_kernarg_size 48
		.amdhsa_user_sgpr_count 6
		.amdhsa_user_sgpr_private_segment_buffer 1
		.amdhsa_user_sgpr_dispatch_ptr 0
		.amdhsa_user_sgpr_queue_ptr 0
		.amdhsa_user_sgpr_kernarg_segment_ptr 1
		.amdhsa_user_sgpr_dispatch_id 0
		.amdhsa_user_sgpr_flat_scratch_init 0
		.amdhsa_user_sgpr_kernarg_preload_length 0
		.amdhsa_user_sgpr_kernarg_preload_offset 0
		.amdhsa_user_sgpr_private_segment_size 0
		.amdhsa_uses_dynamic_stack 0
		.amdhsa_system_sgpr_private_segment_wavefront_offset 0
		.amdhsa_system_sgpr_workgroup_id_x 1
		.amdhsa_system_sgpr_workgroup_id_y 0
		.amdhsa_system_sgpr_workgroup_id_z 0
		.amdhsa_system_sgpr_workgroup_info 0
		.amdhsa_system_vgpr_workitem_id 0
		.amdhsa_next_free_vgpr 1
		.amdhsa_next_free_sgpr 0
		.amdhsa_accum_offset 4
		.amdhsa_reserve_vcc 0
		.amdhsa_reserve_flat_scratch 0
		.amdhsa_float_round_mode_32 0
		.amdhsa_float_round_mode_16_64 0
		.amdhsa_float_denorm_mode_32 3
		.amdhsa_float_denorm_mode_16_64 3
		.amdhsa_dx10_clamp 1
		.amdhsa_ieee_mode 1
		.amdhsa_fp16_overflow 0
		.amdhsa_tg_split 0
		.amdhsa_exception_fp_ieee_invalid_op 0
		.amdhsa_exception_fp_denorm_src 0
		.amdhsa_exception_fp_ieee_div_zero 0
		.amdhsa_exception_fp_ieee_overflow 0
		.amdhsa_exception_fp_ieee_underflow 0
		.amdhsa_exception_fp_ieee_inexact 0
		.amdhsa_exception_int_div_zero 0
	.end_amdhsa_kernel
	.section	.text._ZN7rocprim17ROCPRIM_400000_NS6detail17trampoline_kernelINS0_14default_configENS1_38merge_sort_block_merge_config_selectorIdlEEZZNS1_27merge_sort_block_merge_implIS3_PdN6thrust23THRUST_200600_302600_NS10device_ptrIlEEjNS1_19radix_merge_compareILb0ELb0EdNS0_19identity_decomposerEEEEE10hipError_tT0_T1_T2_jT3_P12ihipStream_tbPNSt15iterator_traitsISG_E10value_typeEPNSM_ISH_E10value_typeEPSI_NS1_7vsmem_tEENKUlT_SG_SH_SI_E_clIS7_S7_SB_PlEESF_SV_SG_SH_SI_EUlSV_E1_NS1_11comp_targetILNS1_3genE10ELNS1_11target_archE1201ELNS1_3gpuE5ELNS1_3repE0EEENS1_36merge_oddeven_config_static_selectorELNS0_4arch9wavefront6targetE1EEEvSH_,"axG",@progbits,_ZN7rocprim17ROCPRIM_400000_NS6detail17trampoline_kernelINS0_14default_configENS1_38merge_sort_block_merge_config_selectorIdlEEZZNS1_27merge_sort_block_merge_implIS3_PdN6thrust23THRUST_200600_302600_NS10device_ptrIlEEjNS1_19radix_merge_compareILb0ELb0EdNS0_19identity_decomposerEEEEE10hipError_tT0_T1_T2_jT3_P12ihipStream_tbPNSt15iterator_traitsISG_E10value_typeEPNSM_ISH_E10value_typeEPSI_NS1_7vsmem_tEENKUlT_SG_SH_SI_E_clIS7_S7_SB_PlEESF_SV_SG_SH_SI_EUlSV_E1_NS1_11comp_targetILNS1_3genE10ELNS1_11target_archE1201ELNS1_3gpuE5ELNS1_3repE0EEENS1_36merge_oddeven_config_static_selectorELNS0_4arch9wavefront6targetE1EEEvSH_,comdat
.Lfunc_end1583:
	.size	_ZN7rocprim17ROCPRIM_400000_NS6detail17trampoline_kernelINS0_14default_configENS1_38merge_sort_block_merge_config_selectorIdlEEZZNS1_27merge_sort_block_merge_implIS3_PdN6thrust23THRUST_200600_302600_NS10device_ptrIlEEjNS1_19radix_merge_compareILb0ELb0EdNS0_19identity_decomposerEEEEE10hipError_tT0_T1_T2_jT3_P12ihipStream_tbPNSt15iterator_traitsISG_E10value_typeEPNSM_ISH_E10value_typeEPSI_NS1_7vsmem_tEENKUlT_SG_SH_SI_E_clIS7_S7_SB_PlEESF_SV_SG_SH_SI_EUlSV_E1_NS1_11comp_targetILNS1_3genE10ELNS1_11target_archE1201ELNS1_3gpuE5ELNS1_3repE0EEENS1_36merge_oddeven_config_static_selectorELNS0_4arch9wavefront6targetE1EEEvSH_, .Lfunc_end1583-_ZN7rocprim17ROCPRIM_400000_NS6detail17trampoline_kernelINS0_14default_configENS1_38merge_sort_block_merge_config_selectorIdlEEZZNS1_27merge_sort_block_merge_implIS3_PdN6thrust23THRUST_200600_302600_NS10device_ptrIlEEjNS1_19radix_merge_compareILb0ELb0EdNS0_19identity_decomposerEEEEE10hipError_tT0_T1_T2_jT3_P12ihipStream_tbPNSt15iterator_traitsISG_E10value_typeEPNSM_ISH_E10value_typeEPSI_NS1_7vsmem_tEENKUlT_SG_SH_SI_E_clIS7_S7_SB_PlEESF_SV_SG_SH_SI_EUlSV_E1_NS1_11comp_targetILNS1_3genE10ELNS1_11target_archE1201ELNS1_3gpuE5ELNS1_3repE0EEENS1_36merge_oddeven_config_static_selectorELNS0_4arch9wavefront6targetE1EEEvSH_
                                        ; -- End function
	.section	.AMDGPU.csdata,"",@progbits
; Kernel info:
; codeLenInByte = 0
; NumSgprs: 4
; NumVgprs: 0
; NumAgprs: 0
; TotalNumVgprs: 0
; ScratchSize: 0
; MemoryBound: 0
; FloatMode: 240
; IeeeMode: 1
; LDSByteSize: 0 bytes/workgroup (compile time only)
; SGPRBlocks: 0
; VGPRBlocks: 0
; NumSGPRsForWavesPerEU: 4
; NumVGPRsForWavesPerEU: 1
; AccumOffset: 4
; Occupancy: 8
; WaveLimiterHint : 0
; COMPUTE_PGM_RSRC2:SCRATCH_EN: 0
; COMPUTE_PGM_RSRC2:USER_SGPR: 6
; COMPUTE_PGM_RSRC2:TRAP_HANDLER: 0
; COMPUTE_PGM_RSRC2:TGID_X_EN: 1
; COMPUTE_PGM_RSRC2:TGID_Y_EN: 0
; COMPUTE_PGM_RSRC2:TGID_Z_EN: 0
; COMPUTE_PGM_RSRC2:TIDIG_COMP_CNT: 0
; COMPUTE_PGM_RSRC3_GFX90A:ACCUM_OFFSET: 0
; COMPUTE_PGM_RSRC3_GFX90A:TG_SPLIT: 0
	.section	.text._ZN7rocprim17ROCPRIM_400000_NS6detail17trampoline_kernelINS0_14default_configENS1_38merge_sort_block_merge_config_selectorIdlEEZZNS1_27merge_sort_block_merge_implIS3_PdN6thrust23THRUST_200600_302600_NS10device_ptrIlEEjNS1_19radix_merge_compareILb0ELb0EdNS0_19identity_decomposerEEEEE10hipError_tT0_T1_T2_jT3_P12ihipStream_tbPNSt15iterator_traitsISG_E10value_typeEPNSM_ISH_E10value_typeEPSI_NS1_7vsmem_tEENKUlT_SG_SH_SI_E_clIS7_S7_SB_PlEESF_SV_SG_SH_SI_EUlSV_E1_NS1_11comp_targetILNS1_3genE5ELNS1_11target_archE942ELNS1_3gpuE9ELNS1_3repE0EEENS1_36merge_oddeven_config_static_selectorELNS0_4arch9wavefront6targetE1EEEvSH_,"axG",@progbits,_ZN7rocprim17ROCPRIM_400000_NS6detail17trampoline_kernelINS0_14default_configENS1_38merge_sort_block_merge_config_selectorIdlEEZZNS1_27merge_sort_block_merge_implIS3_PdN6thrust23THRUST_200600_302600_NS10device_ptrIlEEjNS1_19radix_merge_compareILb0ELb0EdNS0_19identity_decomposerEEEEE10hipError_tT0_T1_T2_jT3_P12ihipStream_tbPNSt15iterator_traitsISG_E10value_typeEPNSM_ISH_E10value_typeEPSI_NS1_7vsmem_tEENKUlT_SG_SH_SI_E_clIS7_S7_SB_PlEESF_SV_SG_SH_SI_EUlSV_E1_NS1_11comp_targetILNS1_3genE5ELNS1_11target_archE942ELNS1_3gpuE9ELNS1_3repE0EEENS1_36merge_oddeven_config_static_selectorELNS0_4arch9wavefront6targetE1EEEvSH_,comdat
	.protected	_ZN7rocprim17ROCPRIM_400000_NS6detail17trampoline_kernelINS0_14default_configENS1_38merge_sort_block_merge_config_selectorIdlEEZZNS1_27merge_sort_block_merge_implIS3_PdN6thrust23THRUST_200600_302600_NS10device_ptrIlEEjNS1_19radix_merge_compareILb0ELb0EdNS0_19identity_decomposerEEEEE10hipError_tT0_T1_T2_jT3_P12ihipStream_tbPNSt15iterator_traitsISG_E10value_typeEPNSM_ISH_E10value_typeEPSI_NS1_7vsmem_tEENKUlT_SG_SH_SI_E_clIS7_S7_SB_PlEESF_SV_SG_SH_SI_EUlSV_E1_NS1_11comp_targetILNS1_3genE5ELNS1_11target_archE942ELNS1_3gpuE9ELNS1_3repE0EEENS1_36merge_oddeven_config_static_selectorELNS0_4arch9wavefront6targetE1EEEvSH_ ; -- Begin function _ZN7rocprim17ROCPRIM_400000_NS6detail17trampoline_kernelINS0_14default_configENS1_38merge_sort_block_merge_config_selectorIdlEEZZNS1_27merge_sort_block_merge_implIS3_PdN6thrust23THRUST_200600_302600_NS10device_ptrIlEEjNS1_19radix_merge_compareILb0ELb0EdNS0_19identity_decomposerEEEEE10hipError_tT0_T1_T2_jT3_P12ihipStream_tbPNSt15iterator_traitsISG_E10value_typeEPNSM_ISH_E10value_typeEPSI_NS1_7vsmem_tEENKUlT_SG_SH_SI_E_clIS7_S7_SB_PlEESF_SV_SG_SH_SI_EUlSV_E1_NS1_11comp_targetILNS1_3genE5ELNS1_11target_archE942ELNS1_3gpuE9ELNS1_3repE0EEENS1_36merge_oddeven_config_static_selectorELNS0_4arch9wavefront6targetE1EEEvSH_
	.globl	_ZN7rocprim17ROCPRIM_400000_NS6detail17trampoline_kernelINS0_14default_configENS1_38merge_sort_block_merge_config_selectorIdlEEZZNS1_27merge_sort_block_merge_implIS3_PdN6thrust23THRUST_200600_302600_NS10device_ptrIlEEjNS1_19radix_merge_compareILb0ELb0EdNS0_19identity_decomposerEEEEE10hipError_tT0_T1_T2_jT3_P12ihipStream_tbPNSt15iterator_traitsISG_E10value_typeEPNSM_ISH_E10value_typeEPSI_NS1_7vsmem_tEENKUlT_SG_SH_SI_E_clIS7_S7_SB_PlEESF_SV_SG_SH_SI_EUlSV_E1_NS1_11comp_targetILNS1_3genE5ELNS1_11target_archE942ELNS1_3gpuE9ELNS1_3repE0EEENS1_36merge_oddeven_config_static_selectorELNS0_4arch9wavefront6targetE1EEEvSH_
	.p2align	8
	.type	_ZN7rocprim17ROCPRIM_400000_NS6detail17trampoline_kernelINS0_14default_configENS1_38merge_sort_block_merge_config_selectorIdlEEZZNS1_27merge_sort_block_merge_implIS3_PdN6thrust23THRUST_200600_302600_NS10device_ptrIlEEjNS1_19radix_merge_compareILb0ELb0EdNS0_19identity_decomposerEEEEE10hipError_tT0_T1_T2_jT3_P12ihipStream_tbPNSt15iterator_traitsISG_E10value_typeEPNSM_ISH_E10value_typeEPSI_NS1_7vsmem_tEENKUlT_SG_SH_SI_E_clIS7_S7_SB_PlEESF_SV_SG_SH_SI_EUlSV_E1_NS1_11comp_targetILNS1_3genE5ELNS1_11target_archE942ELNS1_3gpuE9ELNS1_3repE0EEENS1_36merge_oddeven_config_static_selectorELNS0_4arch9wavefront6targetE1EEEvSH_,@function
_ZN7rocprim17ROCPRIM_400000_NS6detail17trampoline_kernelINS0_14default_configENS1_38merge_sort_block_merge_config_selectorIdlEEZZNS1_27merge_sort_block_merge_implIS3_PdN6thrust23THRUST_200600_302600_NS10device_ptrIlEEjNS1_19radix_merge_compareILb0ELb0EdNS0_19identity_decomposerEEEEE10hipError_tT0_T1_T2_jT3_P12ihipStream_tbPNSt15iterator_traitsISG_E10value_typeEPNSM_ISH_E10value_typeEPSI_NS1_7vsmem_tEENKUlT_SG_SH_SI_E_clIS7_S7_SB_PlEESF_SV_SG_SH_SI_EUlSV_E1_NS1_11comp_targetILNS1_3genE5ELNS1_11target_archE942ELNS1_3gpuE9ELNS1_3repE0EEENS1_36merge_oddeven_config_static_selectorELNS0_4arch9wavefront6targetE1EEEvSH_: ; @_ZN7rocprim17ROCPRIM_400000_NS6detail17trampoline_kernelINS0_14default_configENS1_38merge_sort_block_merge_config_selectorIdlEEZZNS1_27merge_sort_block_merge_implIS3_PdN6thrust23THRUST_200600_302600_NS10device_ptrIlEEjNS1_19radix_merge_compareILb0ELb0EdNS0_19identity_decomposerEEEEE10hipError_tT0_T1_T2_jT3_P12ihipStream_tbPNSt15iterator_traitsISG_E10value_typeEPNSM_ISH_E10value_typeEPSI_NS1_7vsmem_tEENKUlT_SG_SH_SI_E_clIS7_S7_SB_PlEESF_SV_SG_SH_SI_EUlSV_E1_NS1_11comp_targetILNS1_3genE5ELNS1_11target_archE942ELNS1_3gpuE9ELNS1_3repE0EEENS1_36merge_oddeven_config_static_selectorELNS0_4arch9wavefront6targetE1EEEvSH_
; %bb.0:
	.section	.rodata,"a",@progbits
	.p2align	6, 0x0
	.amdhsa_kernel _ZN7rocprim17ROCPRIM_400000_NS6detail17trampoline_kernelINS0_14default_configENS1_38merge_sort_block_merge_config_selectorIdlEEZZNS1_27merge_sort_block_merge_implIS3_PdN6thrust23THRUST_200600_302600_NS10device_ptrIlEEjNS1_19radix_merge_compareILb0ELb0EdNS0_19identity_decomposerEEEEE10hipError_tT0_T1_T2_jT3_P12ihipStream_tbPNSt15iterator_traitsISG_E10value_typeEPNSM_ISH_E10value_typeEPSI_NS1_7vsmem_tEENKUlT_SG_SH_SI_E_clIS7_S7_SB_PlEESF_SV_SG_SH_SI_EUlSV_E1_NS1_11comp_targetILNS1_3genE5ELNS1_11target_archE942ELNS1_3gpuE9ELNS1_3repE0EEENS1_36merge_oddeven_config_static_selectorELNS0_4arch9wavefront6targetE1EEEvSH_
		.amdhsa_group_segment_fixed_size 0
		.amdhsa_private_segment_fixed_size 0
		.amdhsa_kernarg_size 48
		.amdhsa_user_sgpr_count 6
		.amdhsa_user_sgpr_private_segment_buffer 1
		.amdhsa_user_sgpr_dispatch_ptr 0
		.amdhsa_user_sgpr_queue_ptr 0
		.amdhsa_user_sgpr_kernarg_segment_ptr 1
		.amdhsa_user_sgpr_dispatch_id 0
		.amdhsa_user_sgpr_flat_scratch_init 0
		.amdhsa_user_sgpr_kernarg_preload_length 0
		.amdhsa_user_sgpr_kernarg_preload_offset 0
		.amdhsa_user_sgpr_private_segment_size 0
		.amdhsa_uses_dynamic_stack 0
		.amdhsa_system_sgpr_private_segment_wavefront_offset 0
		.amdhsa_system_sgpr_workgroup_id_x 1
		.amdhsa_system_sgpr_workgroup_id_y 0
		.amdhsa_system_sgpr_workgroup_id_z 0
		.amdhsa_system_sgpr_workgroup_info 0
		.amdhsa_system_vgpr_workitem_id 0
		.amdhsa_next_free_vgpr 1
		.amdhsa_next_free_sgpr 0
		.amdhsa_accum_offset 4
		.amdhsa_reserve_vcc 0
		.amdhsa_reserve_flat_scratch 0
		.amdhsa_float_round_mode_32 0
		.amdhsa_float_round_mode_16_64 0
		.amdhsa_float_denorm_mode_32 3
		.amdhsa_float_denorm_mode_16_64 3
		.amdhsa_dx10_clamp 1
		.amdhsa_ieee_mode 1
		.amdhsa_fp16_overflow 0
		.amdhsa_tg_split 0
		.amdhsa_exception_fp_ieee_invalid_op 0
		.amdhsa_exception_fp_denorm_src 0
		.amdhsa_exception_fp_ieee_div_zero 0
		.amdhsa_exception_fp_ieee_overflow 0
		.amdhsa_exception_fp_ieee_underflow 0
		.amdhsa_exception_fp_ieee_inexact 0
		.amdhsa_exception_int_div_zero 0
	.end_amdhsa_kernel
	.section	.text._ZN7rocprim17ROCPRIM_400000_NS6detail17trampoline_kernelINS0_14default_configENS1_38merge_sort_block_merge_config_selectorIdlEEZZNS1_27merge_sort_block_merge_implIS3_PdN6thrust23THRUST_200600_302600_NS10device_ptrIlEEjNS1_19radix_merge_compareILb0ELb0EdNS0_19identity_decomposerEEEEE10hipError_tT0_T1_T2_jT3_P12ihipStream_tbPNSt15iterator_traitsISG_E10value_typeEPNSM_ISH_E10value_typeEPSI_NS1_7vsmem_tEENKUlT_SG_SH_SI_E_clIS7_S7_SB_PlEESF_SV_SG_SH_SI_EUlSV_E1_NS1_11comp_targetILNS1_3genE5ELNS1_11target_archE942ELNS1_3gpuE9ELNS1_3repE0EEENS1_36merge_oddeven_config_static_selectorELNS0_4arch9wavefront6targetE1EEEvSH_,"axG",@progbits,_ZN7rocprim17ROCPRIM_400000_NS6detail17trampoline_kernelINS0_14default_configENS1_38merge_sort_block_merge_config_selectorIdlEEZZNS1_27merge_sort_block_merge_implIS3_PdN6thrust23THRUST_200600_302600_NS10device_ptrIlEEjNS1_19radix_merge_compareILb0ELb0EdNS0_19identity_decomposerEEEEE10hipError_tT0_T1_T2_jT3_P12ihipStream_tbPNSt15iterator_traitsISG_E10value_typeEPNSM_ISH_E10value_typeEPSI_NS1_7vsmem_tEENKUlT_SG_SH_SI_E_clIS7_S7_SB_PlEESF_SV_SG_SH_SI_EUlSV_E1_NS1_11comp_targetILNS1_3genE5ELNS1_11target_archE942ELNS1_3gpuE9ELNS1_3repE0EEENS1_36merge_oddeven_config_static_selectorELNS0_4arch9wavefront6targetE1EEEvSH_,comdat
.Lfunc_end1584:
	.size	_ZN7rocprim17ROCPRIM_400000_NS6detail17trampoline_kernelINS0_14default_configENS1_38merge_sort_block_merge_config_selectorIdlEEZZNS1_27merge_sort_block_merge_implIS3_PdN6thrust23THRUST_200600_302600_NS10device_ptrIlEEjNS1_19radix_merge_compareILb0ELb0EdNS0_19identity_decomposerEEEEE10hipError_tT0_T1_T2_jT3_P12ihipStream_tbPNSt15iterator_traitsISG_E10value_typeEPNSM_ISH_E10value_typeEPSI_NS1_7vsmem_tEENKUlT_SG_SH_SI_E_clIS7_S7_SB_PlEESF_SV_SG_SH_SI_EUlSV_E1_NS1_11comp_targetILNS1_3genE5ELNS1_11target_archE942ELNS1_3gpuE9ELNS1_3repE0EEENS1_36merge_oddeven_config_static_selectorELNS0_4arch9wavefront6targetE1EEEvSH_, .Lfunc_end1584-_ZN7rocprim17ROCPRIM_400000_NS6detail17trampoline_kernelINS0_14default_configENS1_38merge_sort_block_merge_config_selectorIdlEEZZNS1_27merge_sort_block_merge_implIS3_PdN6thrust23THRUST_200600_302600_NS10device_ptrIlEEjNS1_19radix_merge_compareILb0ELb0EdNS0_19identity_decomposerEEEEE10hipError_tT0_T1_T2_jT3_P12ihipStream_tbPNSt15iterator_traitsISG_E10value_typeEPNSM_ISH_E10value_typeEPSI_NS1_7vsmem_tEENKUlT_SG_SH_SI_E_clIS7_S7_SB_PlEESF_SV_SG_SH_SI_EUlSV_E1_NS1_11comp_targetILNS1_3genE5ELNS1_11target_archE942ELNS1_3gpuE9ELNS1_3repE0EEENS1_36merge_oddeven_config_static_selectorELNS0_4arch9wavefront6targetE1EEEvSH_
                                        ; -- End function
	.section	.AMDGPU.csdata,"",@progbits
; Kernel info:
; codeLenInByte = 0
; NumSgprs: 4
; NumVgprs: 0
; NumAgprs: 0
; TotalNumVgprs: 0
; ScratchSize: 0
; MemoryBound: 0
; FloatMode: 240
; IeeeMode: 1
; LDSByteSize: 0 bytes/workgroup (compile time only)
; SGPRBlocks: 0
; VGPRBlocks: 0
; NumSGPRsForWavesPerEU: 4
; NumVGPRsForWavesPerEU: 1
; AccumOffset: 4
; Occupancy: 8
; WaveLimiterHint : 0
; COMPUTE_PGM_RSRC2:SCRATCH_EN: 0
; COMPUTE_PGM_RSRC2:USER_SGPR: 6
; COMPUTE_PGM_RSRC2:TRAP_HANDLER: 0
; COMPUTE_PGM_RSRC2:TGID_X_EN: 1
; COMPUTE_PGM_RSRC2:TGID_Y_EN: 0
; COMPUTE_PGM_RSRC2:TGID_Z_EN: 0
; COMPUTE_PGM_RSRC2:TIDIG_COMP_CNT: 0
; COMPUTE_PGM_RSRC3_GFX90A:ACCUM_OFFSET: 0
; COMPUTE_PGM_RSRC3_GFX90A:TG_SPLIT: 0
	.section	.text._ZN7rocprim17ROCPRIM_400000_NS6detail17trampoline_kernelINS0_14default_configENS1_38merge_sort_block_merge_config_selectorIdlEEZZNS1_27merge_sort_block_merge_implIS3_PdN6thrust23THRUST_200600_302600_NS10device_ptrIlEEjNS1_19radix_merge_compareILb0ELb0EdNS0_19identity_decomposerEEEEE10hipError_tT0_T1_T2_jT3_P12ihipStream_tbPNSt15iterator_traitsISG_E10value_typeEPNSM_ISH_E10value_typeEPSI_NS1_7vsmem_tEENKUlT_SG_SH_SI_E_clIS7_S7_SB_PlEESF_SV_SG_SH_SI_EUlSV_E1_NS1_11comp_targetILNS1_3genE4ELNS1_11target_archE910ELNS1_3gpuE8ELNS1_3repE0EEENS1_36merge_oddeven_config_static_selectorELNS0_4arch9wavefront6targetE1EEEvSH_,"axG",@progbits,_ZN7rocprim17ROCPRIM_400000_NS6detail17trampoline_kernelINS0_14default_configENS1_38merge_sort_block_merge_config_selectorIdlEEZZNS1_27merge_sort_block_merge_implIS3_PdN6thrust23THRUST_200600_302600_NS10device_ptrIlEEjNS1_19radix_merge_compareILb0ELb0EdNS0_19identity_decomposerEEEEE10hipError_tT0_T1_T2_jT3_P12ihipStream_tbPNSt15iterator_traitsISG_E10value_typeEPNSM_ISH_E10value_typeEPSI_NS1_7vsmem_tEENKUlT_SG_SH_SI_E_clIS7_S7_SB_PlEESF_SV_SG_SH_SI_EUlSV_E1_NS1_11comp_targetILNS1_3genE4ELNS1_11target_archE910ELNS1_3gpuE8ELNS1_3repE0EEENS1_36merge_oddeven_config_static_selectorELNS0_4arch9wavefront6targetE1EEEvSH_,comdat
	.protected	_ZN7rocprim17ROCPRIM_400000_NS6detail17trampoline_kernelINS0_14default_configENS1_38merge_sort_block_merge_config_selectorIdlEEZZNS1_27merge_sort_block_merge_implIS3_PdN6thrust23THRUST_200600_302600_NS10device_ptrIlEEjNS1_19radix_merge_compareILb0ELb0EdNS0_19identity_decomposerEEEEE10hipError_tT0_T1_T2_jT3_P12ihipStream_tbPNSt15iterator_traitsISG_E10value_typeEPNSM_ISH_E10value_typeEPSI_NS1_7vsmem_tEENKUlT_SG_SH_SI_E_clIS7_S7_SB_PlEESF_SV_SG_SH_SI_EUlSV_E1_NS1_11comp_targetILNS1_3genE4ELNS1_11target_archE910ELNS1_3gpuE8ELNS1_3repE0EEENS1_36merge_oddeven_config_static_selectorELNS0_4arch9wavefront6targetE1EEEvSH_ ; -- Begin function _ZN7rocprim17ROCPRIM_400000_NS6detail17trampoline_kernelINS0_14default_configENS1_38merge_sort_block_merge_config_selectorIdlEEZZNS1_27merge_sort_block_merge_implIS3_PdN6thrust23THRUST_200600_302600_NS10device_ptrIlEEjNS1_19radix_merge_compareILb0ELb0EdNS0_19identity_decomposerEEEEE10hipError_tT0_T1_T2_jT3_P12ihipStream_tbPNSt15iterator_traitsISG_E10value_typeEPNSM_ISH_E10value_typeEPSI_NS1_7vsmem_tEENKUlT_SG_SH_SI_E_clIS7_S7_SB_PlEESF_SV_SG_SH_SI_EUlSV_E1_NS1_11comp_targetILNS1_3genE4ELNS1_11target_archE910ELNS1_3gpuE8ELNS1_3repE0EEENS1_36merge_oddeven_config_static_selectorELNS0_4arch9wavefront6targetE1EEEvSH_
	.globl	_ZN7rocprim17ROCPRIM_400000_NS6detail17trampoline_kernelINS0_14default_configENS1_38merge_sort_block_merge_config_selectorIdlEEZZNS1_27merge_sort_block_merge_implIS3_PdN6thrust23THRUST_200600_302600_NS10device_ptrIlEEjNS1_19radix_merge_compareILb0ELb0EdNS0_19identity_decomposerEEEEE10hipError_tT0_T1_T2_jT3_P12ihipStream_tbPNSt15iterator_traitsISG_E10value_typeEPNSM_ISH_E10value_typeEPSI_NS1_7vsmem_tEENKUlT_SG_SH_SI_E_clIS7_S7_SB_PlEESF_SV_SG_SH_SI_EUlSV_E1_NS1_11comp_targetILNS1_3genE4ELNS1_11target_archE910ELNS1_3gpuE8ELNS1_3repE0EEENS1_36merge_oddeven_config_static_selectorELNS0_4arch9wavefront6targetE1EEEvSH_
	.p2align	8
	.type	_ZN7rocprim17ROCPRIM_400000_NS6detail17trampoline_kernelINS0_14default_configENS1_38merge_sort_block_merge_config_selectorIdlEEZZNS1_27merge_sort_block_merge_implIS3_PdN6thrust23THRUST_200600_302600_NS10device_ptrIlEEjNS1_19radix_merge_compareILb0ELb0EdNS0_19identity_decomposerEEEEE10hipError_tT0_T1_T2_jT3_P12ihipStream_tbPNSt15iterator_traitsISG_E10value_typeEPNSM_ISH_E10value_typeEPSI_NS1_7vsmem_tEENKUlT_SG_SH_SI_E_clIS7_S7_SB_PlEESF_SV_SG_SH_SI_EUlSV_E1_NS1_11comp_targetILNS1_3genE4ELNS1_11target_archE910ELNS1_3gpuE8ELNS1_3repE0EEENS1_36merge_oddeven_config_static_selectorELNS0_4arch9wavefront6targetE1EEEvSH_,@function
_ZN7rocprim17ROCPRIM_400000_NS6detail17trampoline_kernelINS0_14default_configENS1_38merge_sort_block_merge_config_selectorIdlEEZZNS1_27merge_sort_block_merge_implIS3_PdN6thrust23THRUST_200600_302600_NS10device_ptrIlEEjNS1_19radix_merge_compareILb0ELb0EdNS0_19identity_decomposerEEEEE10hipError_tT0_T1_T2_jT3_P12ihipStream_tbPNSt15iterator_traitsISG_E10value_typeEPNSM_ISH_E10value_typeEPSI_NS1_7vsmem_tEENKUlT_SG_SH_SI_E_clIS7_S7_SB_PlEESF_SV_SG_SH_SI_EUlSV_E1_NS1_11comp_targetILNS1_3genE4ELNS1_11target_archE910ELNS1_3gpuE8ELNS1_3repE0EEENS1_36merge_oddeven_config_static_selectorELNS0_4arch9wavefront6targetE1EEEvSH_: ; @_ZN7rocprim17ROCPRIM_400000_NS6detail17trampoline_kernelINS0_14default_configENS1_38merge_sort_block_merge_config_selectorIdlEEZZNS1_27merge_sort_block_merge_implIS3_PdN6thrust23THRUST_200600_302600_NS10device_ptrIlEEjNS1_19radix_merge_compareILb0ELb0EdNS0_19identity_decomposerEEEEE10hipError_tT0_T1_T2_jT3_P12ihipStream_tbPNSt15iterator_traitsISG_E10value_typeEPNSM_ISH_E10value_typeEPSI_NS1_7vsmem_tEENKUlT_SG_SH_SI_E_clIS7_S7_SB_PlEESF_SV_SG_SH_SI_EUlSV_E1_NS1_11comp_targetILNS1_3genE4ELNS1_11target_archE910ELNS1_3gpuE8ELNS1_3repE0EEENS1_36merge_oddeven_config_static_selectorELNS0_4arch9wavefront6targetE1EEEvSH_
; %bb.0:
	s_load_dword s20, s[4:5], 0x20
	s_waitcnt lgkmcnt(0)
	s_lshr_b32 s2, s20, 8
	s_cmp_lg_u32 s6, s2
	s_cselect_b64 s[0:1], -1, 0
	s_cmp_eq_u32 s6, s2
	s_cselect_b64 s[16:17], -1, 0
	s_lshl_b32 s18, s6, 8
	s_sub_i32 s2, s20, s18
	v_cmp_gt_u32_e64 s[2:3], s2, v0
	s_or_b64 s[0:1], s[0:1], s[2:3]
	s_and_saveexec_b64 s[8:9], s[0:1]
	s_cbranch_execz .LBB1585_26
; %bb.1:
	s_load_dwordx8 s[8:15], s[4:5], 0x0
	s_mov_b32 s19, 0
	s_lshl_b64 s[0:1], s[18:19], 3
	v_lshlrev_b32_e32 v1, 3, v0
	s_load_dword s21, s[4:5], 0x24
	s_waitcnt lgkmcnt(0)
	s_add_u32 s22, s8, s0
	s_addc_u32 s23, s9, s1
	s_add_u32 s0, s12, s0
	s_addc_u32 s1, s13, s1
	global_load_dwordx2 v[2:3], v1, s[0:1]
	global_load_dwordx2 v[4:5], v1, s[22:23]
	s_lshr_b32 s0, s21, 8
	s_sub_i32 s1, 0, s0
	s_and_b32 s1, s6, s1
	s_and_b32 s0, s1, s0
	s_lshl_b32 s22, s1, 8
	s_sub_i32 s6, 0, s21
	s_cmp_eq_u32 s0, 0
	s_cselect_b64 s[0:1], -1, 0
	s_and_b64 s[4:5], s[0:1], exec
	s_cselect_b32 s19, s21, s6
	s_add_i32 s19, s19, s22
	s_cmp_lt_u32 s19, s20
	v_add_u32_e32 v6, s18, v0
	s_cbranch_scc1 .LBB1585_6
; %bb.2:
	s_and_b64 vcc, exec, s[16:17]
	s_cbranch_vccz .LBB1585_7
; %bb.3:
	v_cmp_gt_u32_e32 vcc, s20, v6
	s_mov_b64 s[6:7], 0
	s_mov_b64 s[4:5], 0
                                        ; implicit-def: $vgpr0_vgpr1
	s_and_saveexec_b64 s[12:13], vcc
	s_cbranch_execz .LBB1585_5
; %bb.4:
	v_mov_b32_e32 v7, 0
	v_lshlrev_b64 v[8:9], 3, v[6:7]
	v_mov_b32_e32 v1, s15
	v_add_co_u32_e32 v0, vcc, s14, v8
	v_addc_co_u32_e32 v1, vcc, v1, v9, vcc
	v_mov_b32_e32 v7, s11
	v_add_co_u32_e32 v8, vcc, s10, v8
	s_mov_b64 s[4:5], exec
	v_addc_co_u32_e32 v9, vcc, v7, v9, vcc
	s_waitcnt vmcnt(0)
	global_store_dwordx2 v[8:9], v[4:5], off
.LBB1585_5:
	s_or_b64 exec, exec, s[12:13]
	s_and_b64 vcc, exec, s[6:7]
	s_cbranch_vccnz .LBB1585_8
	s_branch .LBB1585_9
.LBB1585_6:
	s_mov_b64 s[4:5], 0
                                        ; implicit-def: $vgpr0_vgpr1
	s_cbranch_execnz .LBB1585_10
	s_branch .LBB1585_24
.LBB1585_7:
	s_mov_b64 s[4:5], 0
                                        ; implicit-def: $vgpr0_vgpr1
	s_cbranch_execz .LBB1585_9
.LBB1585_8:
	v_mov_b32_e32 v7, 0
	v_lshlrev_b64 v[0:1], 3, v[6:7]
	v_mov_b32_e32 v7, s11
	v_add_co_u32_e32 v8, vcc, s10, v0
	v_addc_co_u32_e32 v9, vcc, v7, v1, vcc
	v_mov_b32_e32 v7, s15
	v_add_co_u32_e32 v0, vcc, s14, v0
	v_addc_co_u32_e32 v1, vcc, v7, v1, vcc
	s_or_b64 s[4:5], s[4:5], exec
	s_waitcnt vmcnt(0)
	global_store_dwordx2 v[8:9], v[4:5], off
.LBB1585_9:
	s_branch .LBB1585_24
.LBB1585_10:
	s_min_u32 s12, s19, s20
	s_add_i32 s6, s12, s21
	s_min_u32 s13, s6, s20
	s_min_u32 s6, s22, s12
	s_add_i32 s22, s22, s12
	v_subrev_u32_e32 v0, s22, v6
	v_add_u32_e32 v8, s6, v0
	s_and_b64 vcc, exec, s[16:17]
	s_cbranch_vccz .LBB1585_18
; %bb.11:
                                        ; implicit-def: $vgpr0_vgpr1
	s_and_saveexec_b64 s[6:7], s[2:3]
	s_cbranch_execz .LBB1585_17
; %bb.12:
	s_cmp_ge_u32 s19, s13
	v_mov_b32_e32 v9, s12
	s_cbranch_scc1 .LBB1585_16
; %bb.13:
	s_waitcnt vmcnt(0)
	v_add_f64 v[0:1], v[4:5], 0
	v_ashrrev_i32_e32 v6, 31, v1
	v_or_b32_e32 v7, 0x80000000, v6
	s_mov_b64 s[2:3], 0
	v_xor_b32_e32 v1, v7, v1
	v_xor_b32_e32 v0, v6, v0
	v_mov_b32_e32 v10, s13
	v_mov_b32_e32 v9, s12
	;; [unrolled: 1-line block ×4, first 2 shown]
.LBB1585_14:                            ; =>This Inner Loop Header: Depth=1
	v_add_u32_e32 v6, v9, v10
	v_lshrrev_b32_e32 v6, 1, v6
	v_lshlrev_b64 v[12:13], 3, v[6:7]
	v_add_co_u32_e32 v12, vcc, s8, v12
	v_addc_co_u32_e32 v13, vcc, v11, v13, vcc
	global_load_dwordx2 v[12:13], v[12:13], off
	v_add_u32_e32 v14, 1, v6
	s_waitcnt vmcnt(0)
	v_add_f64 v[12:13], v[12:13], 0
	v_ashrrev_i32_e32 v15, 31, v13
	v_or_b32_e32 v16, 0x80000000, v15
	v_xor_b32_e32 v12, v15, v12
	v_xor_b32_e32 v13, v16, v13
	v_cmp_gt_u64_e32 vcc, v[0:1], v[12:13]
	v_cndmask_b32_e64 v15, 0, 1, vcc
	v_cmp_le_u64_e32 vcc, v[12:13], v[0:1]
	v_cndmask_b32_e64 v12, 0, 1, vcc
	v_cndmask_b32_e64 v12, v12, v15, s[0:1]
	v_and_b32_e32 v12, 1, v12
	v_cmp_eq_u32_e32 vcc, 1, v12
	v_cndmask_b32_e32 v10, v6, v10, vcc
	v_cndmask_b32_e32 v9, v9, v14, vcc
	v_cmp_ge_u32_e32 vcc, v9, v10
	s_or_b64 s[2:3], vcc, s[2:3]
	s_andn2_b64 exec, exec, s[2:3]
	s_cbranch_execnz .LBB1585_14
; %bb.15:
	s_or_b64 exec, exec, s[2:3]
.LBB1585_16:
	v_add_u32_e32 v0, v9, v8
	v_mov_b32_e32 v1, 0
	v_lshlrev_b64 v[0:1], 3, v[0:1]
	v_mov_b32_e32 v7, s11
	v_add_co_u32_e32 v6, vcc, s10, v0
	v_addc_co_u32_e32 v7, vcc, v7, v1, vcc
	s_waitcnt vmcnt(0)
	global_store_dwordx2 v[6:7], v[4:5], off
	v_mov_b32_e32 v6, s15
	v_add_co_u32_e32 v0, vcc, s14, v0
	v_addc_co_u32_e32 v1, vcc, v6, v1, vcc
	s_or_b64 s[4:5], s[4:5], exec
.LBB1585_17:
	s_or_b64 exec, exec, s[6:7]
	s_branch .LBB1585_24
.LBB1585_18:
                                        ; implicit-def: $vgpr0_vgpr1
	s_cbranch_execz .LBB1585_24
; %bb.19:
	s_cmp_ge_u32 s19, s13
	v_mov_b32_e32 v9, s12
	s_cbranch_scc1 .LBB1585_23
; %bb.20:
	s_waitcnt vmcnt(0)
	v_add_f64 v[0:1], v[4:5], 0
	v_ashrrev_i32_e32 v6, 31, v1
	v_or_b32_e32 v7, 0x80000000, v6
	s_mov_b64 s[2:3], 0
	v_xor_b32_e32 v1, v7, v1
	v_xor_b32_e32 v0, v6, v0
	v_mov_b32_e32 v10, s13
	v_mov_b32_e32 v9, s12
	;; [unrolled: 1-line block ×4, first 2 shown]
.LBB1585_21:                            ; =>This Inner Loop Header: Depth=1
	v_add_u32_e32 v6, v9, v10
	v_lshrrev_b32_e32 v6, 1, v6
	v_lshlrev_b64 v[12:13], 3, v[6:7]
	v_add_co_u32_e32 v12, vcc, s8, v12
	v_addc_co_u32_e32 v13, vcc, v11, v13, vcc
	global_load_dwordx2 v[12:13], v[12:13], off
	v_add_u32_e32 v14, 1, v6
	s_waitcnt vmcnt(0)
	v_add_f64 v[12:13], v[12:13], 0
	v_ashrrev_i32_e32 v15, 31, v13
	v_or_b32_e32 v16, 0x80000000, v15
	v_xor_b32_e32 v12, v15, v12
	v_xor_b32_e32 v13, v16, v13
	v_cmp_gt_u64_e32 vcc, v[0:1], v[12:13]
	v_cndmask_b32_e64 v15, 0, 1, vcc
	v_cmp_le_u64_e32 vcc, v[12:13], v[0:1]
	v_cndmask_b32_e64 v12, 0, 1, vcc
	v_cndmask_b32_e64 v12, v12, v15, s[0:1]
	v_and_b32_e32 v12, 1, v12
	v_cmp_eq_u32_e32 vcc, 1, v12
	v_cndmask_b32_e32 v10, v6, v10, vcc
	v_cndmask_b32_e32 v9, v9, v14, vcc
	v_cmp_ge_u32_e32 vcc, v9, v10
	s_or_b64 s[2:3], vcc, s[2:3]
	s_andn2_b64 exec, exec, s[2:3]
	s_cbranch_execnz .LBB1585_21
; %bb.22:
	s_or_b64 exec, exec, s[2:3]
.LBB1585_23:
	v_add_u32_e32 v0, v9, v8
	v_mov_b32_e32 v1, 0
	v_lshlrev_b64 v[0:1], 3, v[0:1]
	v_mov_b32_e32 v7, s11
	v_add_co_u32_e32 v6, vcc, s10, v0
	v_addc_co_u32_e32 v7, vcc, v7, v1, vcc
	s_waitcnt vmcnt(0)
	global_store_dwordx2 v[6:7], v[4:5], off
	v_mov_b32_e32 v4, s15
	v_add_co_u32_e32 v0, vcc, s14, v0
	v_addc_co_u32_e32 v1, vcc, v4, v1, vcc
	s_mov_b64 s[4:5], -1
.LBB1585_24:
	s_and_b64 exec, exec, s[4:5]
	s_cbranch_execz .LBB1585_26
; %bb.25:
	s_waitcnt vmcnt(1)
	global_store_dwordx2 v[0:1], v[2:3], off
.LBB1585_26:
	s_endpgm
	.section	.rodata,"a",@progbits
	.p2align	6, 0x0
	.amdhsa_kernel _ZN7rocprim17ROCPRIM_400000_NS6detail17trampoline_kernelINS0_14default_configENS1_38merge_sort_block_merge_config_selectorIdlEEZZNS1_27merge_sort_block_merge_implIS3_PdN6thrust23THRUST_200600_302600_NS10device_ptrIlEEjNS1_19radix_merge_compareILb0ELb0EdNS0_19identity_decomposerEEEEE10hipError_tT0_T1_T2_jT3_P12ihipStream_tbPNSt15iterator_traitsISG_E10value_typeEPNSM_ISH_E10value_typeEPSI_NS1_7vsmem_tEENKUlT_SG_SH_SI_E_clIS7_S7_SB_PlEESF_SV_SG_SH_SI_EUlSV_E1_NS1_11comp_targetILNS1_3genE4ELNS1_11target_archE910ELNS1_3gpuE8ELNS1_3repE0EEENS1_36merge_oddeven_config_static_selectorELNS0_4arch9wavefront6targetE1EEEvSH_
		.amdhsa_group_segment_fixed_size 0
		.amdhsa_private_segment_fixed_size 0
		.amdhsa_kernarg_size 48
		.amdhsa_user_sgpr_count 6
		.amdhsa_user_sgpr_private_segment_buffer 1
		.amdhsa_user_sgpr_dispatch_ptr 0
		.amdhsa_user_sgpr_queue_ptr 0
		.amdhsa_user_sgpr_kernarg_segment_ptr 1
		.amdhsa_user_sgpr_dispatch_id 0
		.amdhsa_user_sgpr_flat_scratch_init 0
		.amdhsa_user_sgpr_kernarg_preload_length 0
		.amdhsa_user_sgpr_kernarg_preload_offset 0
		.amdhsa_user_sgpr_private_segment_size 0
		.amdhsa_uses_dynamic_stack 0
		.amdhsa_system_sgpr_private_segment_wavefront_offset 0
		.amdhsa_system_sgpr_workgroup_id_x 1
		.amdhsa_system_sgpr_workgroup_id_y 0
		.amdhsa_system_sgpr_workgroup_id_z 0
		.amdhsa_system_sgpr_workgroup_info 0
		.amdhsa_system_vgpr_workitem_id 0
		.amdhsa_next_free_vgpr 17
		.amdhsa_next_free_sgpr 24
		.amdhsa_accum_offset 20
		.amdhsa_reserve_vcc 1
		.amdhsa_reserve_flat_scratch 0
		.amdhsa_float_round_mode_32 0
		.amdhsa_float_round_mode_16_64 0
		.amdhsa_float_denorm_mode_32 3
		.amdhsa_float_denorm_mode_16_64 3
		.amdhsa_dx10_clamp 1
		.amdhsa_ieee_mode 1
		.amdhsa_fp16_overflow 0
		.amdhsa_tg_split 0
		.amdhsa_exception_fp_ieee_invalid_op 0
		.amdhsa_exception_fp_denorm_src 0
		.amdhsa_exception_fp_ieee_div_zero 0
		.amdhsa_exception_fp_ieee_overflow 0
		.amdhsa_exception_fp_ieee_underflow 0
		.amdhsa_exception_fp_ieee_inexact 0
		.amdhsa_exception_int_div_zero 0
	.end_amdhsa_kernel
	.section	.text._ZN7rocprim17ROCPRIM_400000_NS6detail17trampoline_kernelINS0_14default_configENS1_38merge_sort_block_merge_config_selectorIdlEEZZNS1_27merge_sort_block_merge_implIS3_PdN6thrust23THRUST_200600_302600_NS10device_ptrIlEEjNS1_19radix_merge_compareILb0ELb0EdNS0_19identity_decomposerEEEEE10hipError_tT0_T1_T2_jT3_P12ihipStream_tbPNSt15iterator_traitsISG_E10value_typeEPNSM_ISH_E10value_typeEPSI_NS1_7vsmem_tEENKUlT_SG_SH_SI_E_clIS7_S7_SB_PlEESF_SV_SG_SH_SI_EUlSV_E1_NS1_11comp_targetILNS1_3genE4ELNS1_11target_archE910ELNS1_3gpuE8ELNS1_3repE0EEENS1_36merge_oddeven_config_static_selectorELNS0_4arch9wavefront6targetE1EEEvSH_,"axG",@progbits,_ZN7rocprim17ROCPRIM_400000_NS6detail17trampoline_kernelINS0_14default_configENS1_38merge_sort_block_merge_config_selectorIdlEEZZNS1_27merge_sort_block_merge_implIS3_PdN6thrust23THRUST_200600_302600_NS10device_ptrIlEEjNS1_19radix_merge_compareILb0ELb0EdNS0_19identity_decomposerEEEEE10hipError_tT0_T1_T2_jT3_P12ihipStream_tbPNSt15iterator_traitsISG_E10value_typeEPNSM_ISH_E10value_typeEPSI_NS1_7vsmem_tEENKUlT_SG_SH_SI_E_clIS7_S7_SB_PlEESF_SV_SG_SH_SI_EUlSV_E1_NS1_11comp_targetILNS1_3genE4ELNS1_11target_archE910ELNS1_3gpuE8ELNS1_3repE0EEENS1_36merge_oddeven_config_static_selectorELNS0_4arch9wavefront6targetE1EEEvSH_,comdat
.Lfunc_end1585:
	.size	_ZN7rocprim17ROCPRIM_400000_NS6detail17trampoline_kernelINS0_14default_configENS1_38merge_sort_block_merge_config_selectorIdlEEZZNS1_27merge_sort_block_merge_implIS3_PdN6thrust23THRUST_200600_302600_NS10device_ptrIlEEjNS1_19radix_merge_compareILb0ELb0EdNS0_19identity_decomposerEEEEE10hipError_tT0_T1_T2_jT3_P12ihipStream_tbPNSt15iterator_traitsISG_E10value_typeEPNSM_ISH_E10value_typeEPSI_NS1_7vsmem_tEENKUlT_SG_SH_SI_E_clIS7_S7_SB_PlEESF_SV_SG_SH_SI_EUlSV_E1_NS1_11comp_targetILNS1_3genE4ELNS1_11target_archE910ELNS1_3gpuE8ELNS1_3repE0EEENS1_36merge_oddeven_config_static_selectorELNS0_4arch9wavefront6targetE1EEEvSH_, .Lfunc_end1585-_ZN7rocprim17ROCPRIM_400000_NS6detail17trampoline_kernelINS0_14default_configENS1_38merge_sort_block_merge_config_selectorIdlEEZZNS1_27merge_sort_block_merge_implIS3_PdN6thrust23THRUST_200600_302600_NS10device_ptrIlEEjNS1_19radix_merge_compareILb0ELb0EdNS0_19identity_decomposerEEEEE10hipError_tT0_T1_T2_jT3_P12ihipStream_tbPNSt15iterator_traitsISG_E10value_typeEPNSM_ISH_E10value_typeEPSI_NS1_7vsmem_tEENKUlT_SG_SH_SI_E_clIS7_S7_SB_PlEESF_SV_SG_SH_SI_EUlSV_E1_NS1_11comp_targetILNS1_3genE4ELNS1_11target_archE910ELNS1_3gpuE8ELNS1_3repE0EEENS1_36merge_oddeven_config_static_selectorELNS0_4arch9wavefront6targetE1EEEvSH_
                                        ; -- End function
	.section	.AMDGPU.csdata,"",@progbits
; Kernel info:
; codeLenInByte = 944
; NumSgprs: 28
; NumVgprs: 17
; NumAgprs: 0
; TotalNumVgprs: 17
; ScratchSize: 0
; MemoryBound: 0
; FloatMode: 240
; IeeeMode: 1
; LDSByteSize: 0 bytes/workgroup (compile time only)
; SGPRBlocks: 3
; VGPRBlocks: 2
; NumSGPRsForWavesPerEU: 28
; NumVGPRsForWavesPerEU: 17
; AccumOffset: 20
; Occupancy: 8
; WaveLimiterHint : 0
; COMPUTE_PGM_RSRC2:SCRATCH_EN: 0
; COMPUTE_PGM_RSRC2:USER_SGPR: 6
; COMPUTE_PGM_RSRC2:TRAP_HANDLER: 0
; COMPUTE_PGM_RSRC2:TGID_X_EN: 1
; COMPUTE_PGM_RSRC2:TGID_Y_EN: 0
; COMPUTE_PGM_RSRC2:TGID_Z_EN: 0
; COMPUTE_PGM_RSRC2:TIDIG_COMP_CNT: 0
; COMPUTE_PGM_RSRC3_GFX90A:ACCUM_OFFSET: 4
; COMPUTE_PGM_RSRC3_GFX90A:TG_SPLIT: 0
	.section	.text._ZN7rocprim17ROCPRIM_400000_NS6detail17trampoline_kernelINS0_14default_configENS1_38merge_sort_block_merge_config_selectorIdlEEZZNS1_27merge_sort_block_merge_implIS3_PdN6thrust23THRUST_200600_302600_NS10device_ptrIlEEjNS1_19radix_merge_compareILb0ELb0EdNS0_19identity_decomposerEEEEE10hipError_tT0_T1_T2_jT3_P12ihipStream_tbPNSt15iterator_traitsISG_E10value_typeEPNSM_ISH_E10value_typeEPSI_NS1_7vsmem_tEENKUlT_SG_SH_SI_E_clIS7_S7_SB_PlEESF_SV_SG_SH_SI_EUlSV_E1_NS1_11comp_targetILNS1_3genE3ELNS1_11target_archE908ELNS1_3gpuE7ELNS1_3repE0EEENS1_36merge_oddeven_config_static_selectorELNS0_4arch9wavefront6targetE1EEEvSH_,"axG",@progbits,_ZN7rocprim17ROCPRIM_400000_NS6detail17trampoline_kernelINS0_14default_configENS1_38merge_sort_block_merge_config_selectorIdlEEZZNS1_27merge_sort_block_merge_implIS3_PdN6thrust23THRUST_200600_302600_NS10device_ptrIlEEjNS1_19radix_merge_compareILb0ELb0EdNS0_19identity_decomposerEEEEE10hipError_tT0_T1_T2_jT3_P12ihipStream_tbPNSt15iterator_traitsISG_E10value_typeEPNSM_ISH_E10value_typeEPSI_NS1_7vsmem_tEENKUlT_SG_SH_SI_E_clIS7_S7_SB_PlEESF_SV_SG_SH_SI_EUlSV_E1_NS1_11comp_targetILNS1_3genE3ELNS1_11target_archE908ELNS1_3gpuE7ELNS1_3repE0EEENS1_36merge_oddeven_config_static_selectorELNS0_4arch9wavefront6targetE1EEEvSH_,comdat
	.protected	_ZN7rocprim17ROCPRIM_400000_NS6detail17trampoline_kernelINS0_14default_configENS1_38merge_sort_block_merge_config_selectorIdlEEZZNS1_27merge_sort_block_merge_implIS3_PdN6thrust23THRUST_200600_302600_NS10device_ptrIlEEjNS1_19radix_merge_compareILb0ELb0EdNS0_19identity_decomposerEEEEE10hipError_tT0_T1_T2_jT3_P12ihipStream_tbPNSt15iterator_traitsISG_E10value_typeEPNSM_ISH_E10value_typeEPSI_NS1_7vsmem_tEENKUlT_SG_SH_SI_E_clIS7_S7_SB_PlEESF_SV_SG_SH_SI_EUlSV_E1_NS1_11comp_targetILNS1_3genE3ELNS1_11target_archE908ELNS1_3gpuE7ELNS1_3repE0EEENS1_36merge_oddeven_config_static_selectorELNS0_4arch9wavefront6targetE1EEEvSH_ ; -- Begin function _ZN7rocprim17ROCPRIM_400000_NS6detail17trampoline_kernelINS0_14default_configENS1_38merge_sort_block_merge_config_selectorIdlEEZZNS1_27merge_sort_block_merge_implIS3_PdN6thrust23THRUST_200600_302600_NS10device_ptrIlEEjNS1_19radix_merge_compareILb0ELb0EdNS0_19identity_decomposerEEEEE10hipError_tT0_T1_T2_jT3_P12ihipStream_tbPNSt15iterator_traitsISG_E10value_typeEPNSM_ISH_E10value_typeEPSI_NS1_7vsmem_tEENKUlT_SG_SH_SI_E_clIS7_S7_SB_PlEESF_SV_SG_SH_SI_EUlSV_E1_NS1_11comp_targetILNS1_3genE3ELNS1_11target_archE908ELNS1_3gpuE7ELNS1_3repE0EEENS1_36merge_oddeven_config_static_selectorELNS0_4arch9wavefront6targetE1EEEvSH_
	.globl	_ZN7rocprim17ROCPRIM_400000_NS6detail17trampoline_kernelINS0_14default_configENS1_38merge_sort_block_merge_config_selectorIdlEEZZNS1_27merge_sort_block_merge_implIS3_PdN6thrust23THRUST_200600_302600_NS10device_ptrIlEEjNS1_19radix_merge_compareILb0ELb0EdNS0_19identity_decomposerEEEEE10hipError_tT0_T1_T2_jT3_P12ihipStream_tbPNSt15iterator_traitsISG_E10value_typeEPNSM_ISH_E10value_typeEPSI_NS1_7vsmem_tEENKUlT_SG_SH_SI_E_clIS7_S7_SB_PlEESF_SV_SG_SH_SI_EUlSV_E1_NS1_11comp_targetILNS1_3genE3ELNS1_11target_archE908ELNS1_3gpuE7ELNS1_3repE0EEENS1_36merge_oddeven_config_static_selectorELNS0_4arch9wavefront6targetE1EEEvSH_
	.p2align	8
	.type	_ZN7rocprim17ROCPRIM_400000_NS6detail17trampoline_kernelINS0_14default_configENS1_38merge_sort_block_merge_config_selectorIdlEEZZNS1_27merge_sort_block_merge_implIS3_PdN6thrust23THRUST_200600_302600_NS10device_ptrIlEEjNS1_19radix_merge_compareILb0ELb0EdNS0_19identity_decomposerEEEEE10hipError_tT0_T1_T2_jT3_P12ihipStream_tbPNSt15iterator_traitsISG_E10value_typeEPNSM_ISH_E10value_typeEPSI_NS1_7vsmem_tEENKUlT_SG_SH_SI_E_clIS7_S7_SB_PlEESF_SV_SG_SH_SI_EUlSV_E1_NS1_11comp_targetILNS1_3genE3ELNS1_11target_archE908ELNS1_3gpuE7ELNS1_3repE0EEENS1_36merge_oddeven_config_static_selectorELNS0_4arch9wavefront6targetE1EEEvSH_,@function
_ZN7rocprim17ROCPRIM_400000_NS6detail17trampoline_kernelINS0_14default_configENS1_38merge_sort_block_merge_config_selectorIdlEEZZNS1_27merge_sort_block_merge_implIS3_PdN6thrust23THRUST_200600_302600_NS10device_ptrIlEEjNS1_19radix_merge_compareILb0ELb0EdNS0_19identity_decomposerEEEEE10hipError_tT0_T1_T2_jT3_P12ihipStream_tbPNSt15iterator_traitsISG_E10value_typeEPNSM_ISH_E10value_typeEPSI_NS1_7vsmem_tEENKUlT_SG_SH_SI_E_clIS7_S7_SB_PlEESF_SV_SG_SH_SI_EUlSV_E1_NS1_11comp_targetILNS1_3genE3ELNS1_11target_archE908ELNS1_3gpuE7ELNS1_3repE0EEENS1_36merge_oddeven_config_static_selectorELNS0_4arch9wavefront6targetE1EEEvSH_: ; @_ZN7rocprim17ROCPRIM_400000_NS6detail17trampoline_kernelINS0_14default_configENS1_38merge_sort_block_merge_config_selectorIdlEEZZNS1_27merge_sort_block_merge_implIS3_PdN6thrust23THRUST_200600_302600_NS10device_ptrIlEEjNS1_19radix_merge_compareILb0ELb0EdNS0_19identity_decomposerEEEEE10hipError_tT0_T1_T2_jT3_P12ihipStream_tbPNSt15iterator_traitsISG_E10value_typeEPNSM_ISH_E10value_typeEPSI_NS1_7vsmem_tEENKUlT_SG_SH_SI_E_clIS7_S7_SB_PlEESF_SV_SG_SH_SI_EUlSV_E1_NS1_11comp_targetILNS1_3genE3ELNS1_11target_archE908ELNS1_3gpuE7ELNS1_3repE0EEENS1_36merge_oddeven_config_static_selectorELNS0_4arch9wavefront6targetE1EEEvSH_
; %bb.0:
	.section	.rodata,"a",@progbits
	.p2align	6, 0x0
	.amdhsa_kernel _ZN7rocprim17ROCPRIM_400000_NS6detail17trampoline_kernelINS0_14default_configENS1_38merge_sort_block_merge_config_selectorIdlEEZZNS1_27merge_sort_block_merge_implIS3_PdN6thrust23THRUST_200600_302600_NS10device_ptrIlEEjNS1_19radix_merge_compareILb0ELb0EdNS0_19identity_decomposerEEEEE10hipError_tT0_T1_T2_jT3_P12ihipStream_tbPNSt15iterator_traitsISG_E10value_typeEPNSM_ISH_E10value_typeEPSI_NS1_7vsmem_tEENKUlT_SG_SH_SI_E_clIS7_S7_SB_PlEESF_SV_SG_SH_SI_EUlSV_E1_NS1_11comp_targetILNS1_3genE3ELNS1_11target_archE908ELNS1_3gpuE7ELNS1_3repE0EEENS1_36merge_oddeven_config_static_selectorELNS0_4arch9wavefront6targetE1EEEvSH_
		.amdhsa_group_segment_fixed_size 0
		.amdhsa_private_segment_fixed_size 0
		.amdhsa_kernarg_size 48
		.amdhsa_user_sgpr_count 6
		.amdhsa_user_sgpr_private_segment_buffer 1
		.amdhsa_user_sgpr_dispatch_ptr 0
		.amdhsa_user_sgpr_queue_ptr 0
		.amdhsa_user_sgpr_kernarg_segment_ptr 1
		.amdhsa_user_sgpr_dispatch_id 0
		.amdhsa_user_sgpr_flat_scratch_init 0
		.amdhsa_user_sgpr_kernarg_preload_length 0
		.amdhsa_user_sgpr_kernarg_preload_offset 0
		.amdhsa_user_sgpr_private_segment_size 0
		.amdhsa_uses_dynamic_stack 0
		.amdhsa_system_sgpr_private_segment_wavefront_offset 0
		.amdhsa_system_sgpr_workgroup_id_x 1
		.amdhsa_system_sgpr_workgroup_id_y 0
		.amdhsa_system_sgpr_workgroup_id_z 0
		.amdhsa_system_sgpr_workgroup_info 0
		.amdhsa_system_vgpr_workitem_id 0
		.amdhsa_next_free_vgpr 1
		.amdhsa_next_free_sgpr 0
		.amdhsa_accum_offset 4
		.amdhsa_reserve_vcc 0
		.amdhsa_reserve_flat_scratch 0
		.amdhsa_float_round_mode_32 0
		.amdhsa_float_round_mode_16_64 0
		.amdhsa_float_denorm_mode_32 3
		.amdhsa_float_denorm_mode_16_64 3
		.amdhsa_dx10_clamp 1
		.amdhsa_ieee_mode 1
		.amdhsa_fp16_overflow 0
		.amdhsa_tg_split 0
		.amdhsa_exception_fp_ieee_invalid_op 0
		.amdhsa_exception_fp_denorm_src 0
		.amdhsa_exception_fp_ieee_div_zero 0
		.amdhsa_exception_fp_ieee_overflow 0
		.amdhsa_exception_fp_ieee_underflow 0
		.amdhsa_exception_fp_ieee_inexact 0
		.amdhsa_exception_int_div_zero 0
	.end_amdhsa_kernel
	.section	.text._ZN7rocprim17ROCPRIM_400000_NS6detail17trampoline_kernelINS0_14default_configENS1_38merge_sort_block_merge_config_selectorIdlEEZZNS1_27merge_sort_block_merge_implIS3_PdN6thrust23THRUST_200600_302600_NS10device_ptrIlEEjNS1_19radix_merge_compareILb0ELb0EdNS0_19identity_decomposerEEEEE10hipError_tT0_T1_T2_jT3_P12ihipStream_tbPNSt15iterator_traitsISG_E10value_typeEPNSM_ISH_E10value_typeEPSI_NS1_7vsmem_tEENKUlT_SG_SH_SI_E_clIS7_S7_SB_PlEESF_SV_SG_SH_SI_EUlSV_E1_NS1_11comp_targetILNS1_3genE3ELNS1_11target_archE908ELNS1_3gpuE7ELNS1_3repE0EEENS1_36merge_oddeven_config_static_selectorELNS0_4arch9wavefront6targetE1EEEvSH_,"axG",@progbits,_ZN7rocprim17ROCPRIM_400000_NS6detail17trampoline_kernelINS0_14default_configENS1_38merge_sort_block_merge_config_selectorIdlEEZZNS1_27merge_sort_block_merge_implIS3_PdN6thrust23THRUST_200600_302600_NS10device_ptrIlEEjNS1_19radix_merge_compareILb0ELb0EdNS0_19identity_decomposerEEEEE10hipError_tT0_T1_T2_jT3_P12ihipStream_tbPNSt15iterator_traitsISG_E10value_typeEPNSM_ISH_E10value_typeEPSI_NS1_7vsmem_tEENKUlT_SG_SH_SI_E_clIS7_S7_SB_PlEESF_SV_SG_SH_SI_EUlSV_E1_NS1_11comp_targetILNS1_3genE3ELNS1_11target_archE908ELNS1_3gpuE7ELNS1_3repE0EEENS1_36merge_oddeven_config_static_selectorELNS0_4arch9wavefront6targetE1EEEvSH_,comdat
.Lfunc_end1586:
	.size	_ZN7rocprim17ROCPRIM_400000_NS6detail17trampoline_kernelINS0_14default_configENS1_38merge_sort_block_merge_config_selectorIdlEEZZNS1_27merge_sort_block_merge_implIS3_PdN6thrust23THRUST_200600_302600_NS10device_ptrIlEEjNS1_19radix_merge_compareILb0ELb0EdNS0_19identity_decomposerEEEEE10hipError_tT0_T1_T2_jT3_P12ihipStream_tbPNSt15iterator_traitsISG_E10value_typeEPNSM_ISH_E10value_typeEPSI_NS1_7vsmem_tEENKUlT_SG_SH_SI_E_clIS7_S7_SB_PlEESF_SV_SG_SH_SI_EUlSV_E1_NS1_11comp_targetILNS1_3genE3ELNS1_11target_archE908ELNS1_3gpuE7ELNS1_3repE0EEENS1_36merge_oddeven_config_static_selectorELNS0_4arch9wavefront6targetE1EEEvSH_, .Lfunc_end1586-_ZN7rocprim17ROCPRIM_400000_NS6detail17trampoline_kernelINS0_14default_configENS1_38merge_sort_block_merge_config_selectorIdlEEZZNS1_27merge_sort_block_merge_implIS3_PdN6thrust23THRUST_200600_302600_NS10device_ptrIlEEjNS1_19radix_merge_compareILb0ELb0EdNS0_19identity_decomposerEEEEE10hipError_tT0_T1_T2_jT3_P12ihipStream_tbPNSt15iterator_traitsISG_E10value_typeEPNSM_ISH_E10value_typeEPSI_NS1_7vsmem_tEENKUlT_SG_SH_SI_E_clIS7_S7_SB_PlEESF_SV_SG_SH_SI_EUlSV_E1_NS1_11comp_targetILNS1_3genE3ELNS1_11target_archE908ELNS1_3gpuE7ELNS1_3repE0EEENS1_36merge_oddeven_config_static_selectorELNS0_4arch9wavefront6targetE1EEEvSH_
                                        ; -- End function
	.section	.AMDGPU.csdata,"",@progbits
; Kernel info:
; codeLenInByte = 0
; NumSgprs: 4
; NumVgprs: 0
; NumAgprs: 0
; TotalNumVgprs: 0
; ScratchSize: 0
; MemoryBound: 0
; FloatMode: 240
; IeeeMode: 1
; LDSByteSize: 0 bytes/workgroup (compile time only)
; SGPRBlocks: 0
; VGPRBlocks: 0
; NumSGPRsForWavesPerEU: 4
; NumVGPRsForWavesPerEU: 1
; AccumOffset: 4
; Occupancy: 8
; WaveLimiterHint : 0
; COMPUTE_PGM_RSRC2:SCRATCH_EN: 0
; COMPUTE_PGM_RSRC2:USER_SGPR: 6
; COMPUTE_PGM_RSRC2:TRAP_HANDLER: 0
; COMPUTE_PGM_RSRC2:TGID_X_EN: 1
; COMPUTE_PGM_RSRC2:TGID_Y_EN: 0
; COMPUTE_PGM_RSRC2:TGID_Z_EN: 0
; COMPUTE_PGM_RSRC2:TIDIG_COMP_CNT: 0
; COMPUTE_PGM_RSRC3_GFX90A:ACCUM_OFFSET: 0
; COMPUTE_PGM_RSRC3_GFX90A:TG_SPLIT: 0
	.section	.text._ZN7rocprim17ROCPRIM_400000_NS6detail17trampoline_kernelINS0_14default_configENS1_38merge_sort_block_merge_config_selectorIdlEEZZNS1_27merge_sort_block_merge_implIS3_PdN6thrust23THRUST_200600_302600_NS10device_ptrIlEEjNS1_19radix_merge_compareILb0ELb0EdNS0_19identity_decomposerEEEEE10hipError_tT0_T1_T2_jT3_P12ihipStream_tbPNSt15iterator_traitsISG_E10value_typeEPNSM_ISH_E10value_typeEPSI_NS1_7vsmem_tEENKUlT_SG_SH_SI_E_clIS7_S7_SB_PlEESF_SV_SG_SH_SI_EUlSV_E1_NS1_11comp_targetILNS1_3genE2ELNS1_11target_archE906ELNS1_3gpuE6ELNS1_3repE0EEENS1_36merge_oddeven_config_static_selectorELNS0_4arch9wavefront6targetE1EEEvSH_,"axG",@progbits,_ZN7rocprim17ROCPRIM_400000_NS6detail17trampoline_kernelINS0_14default_configENS1_38merge_sort_block_merge_config_selectorIdlEEZZNS1_27merge_sort_block_merge_implIS3_PdN6thrust23THRUST_200600_302600_NS10device_ptrIlEEjNS1_19radix_merge_compareILb0ELb0EdNS0_19identity_decomposerEEEEE10hipError_tT0_T1_T2_jT3_P12ihipStream_tbPNSt15iterator_traitsISG_E10value_typeEPNSM_ISH_E10value_typeEPSI_NS1_7vsmem_tEENKUlT_SG_SH_SI_E_clIS7_S7_SB_PlEESF_SV_SG_SH_SI_EUlSV_E1_NS1_11comp_targetILNS1_3genE2ELNS1_11target_archE906ELNS1_3gpuE6ELNS1_3repE0EEENS1_36merge_oddeven_config_static_selectorELNS0_4arch9wavefront6targetE1EEEvSH_,comdat
	.protected	_ZN7rocprim17ROCPRIM_400000_NS6detail17trampoline_kernelINS0_14default_configENS1_38merge_sort_block_merge_config_selectorIdlEEZZNS1_27merge_sort_block_merge_implIS3_PdN6thrust23THRUST_200600_302600_NS10device_ptrIlEEjNS1_19radix_merge_compareILb0ELb0EdNS0_19identity_decomposerEEEEE10hipError_tT0_T1_T2_jT3_P12ihipStream_tbPNSt15iterator_traitsISG_E10value_typeEPNSM_ISH_E10value_typeEPSI_NS1_7vsmem_tEENKUlT_SG_SH_SI_E_clIS7_S7_SB_PlEESF_SV_SG_SH_SI_EUlSV_E1_NS1_11comp_targetILNS1_3genE2ELNS1_11target_archE906ELNS1_3gpuE6ELNS1_3repE0EEENS1_36merge_oddeven_config_static_selectorELNS0_4arch9wavefront6targetE1EEEvSH_ ; -- Begin function _ZN7rocprim17ROCPRIM_400000_NS6detail17trampoline_kernelINS0_14default_configENS1_38merge_sort_block_merge_config_selectorIdlEEZZNS1_27merge_sort_block_merge_implIS3_PdN6thrust23THRUST_200600_302600_NS10device_ptrIlEEjNS1_19radix_merge_compareILb0ELb0EdNS0_19identity_decomposerEEEEE10hipError_tT0_T1_T2_jT3_P12ihipStream_tbPNSt15iterator_traitsISG_E10value_typeEPNSM_ISH_E10value_typeEPSI_NS1_7vsmem_tEENKUlT_SG_SH_SI_E_clIS7_S7_SB_PlEESF_SV_SG_SH_SI_EUlSV_E1_NS1_11comp_targetILNS1_3genE2ELNS1_11target_archE906ELNS1_3gpuE6ELNS1_3repE0EEENS1_36merge_oddeven_config_static_selectorELNS0_4arch9wavefront6targetE1EEEvSH_
	.globl	_ZN7rocprim17ROCPRIM_400000_NS6detail17trampoline_kernelINS0_14default_configENS1_38merge_sort_block_merge_config_selectorIdlEEZZNS1_27merge_sort_block_merge_implIS3_PdN6thrust23THRUST_200600_302600_NS10device_ptrIlEEjNS1_19radix_merge_compareILb0ELb0EdNS0_19identity_decomposerEEEEE10hipError_tT0_T1_T2_jT3_P12ihipStream_tbPNSt15iterator_traitsISG_E10value_typeEPNSM_ISH_E10value_typeEPSI_NS1_7vsmem_tEENKUlT_SG_SH_SI_E_clIS7_S7_SB_PlEESF_SV_SG_SH_SI_EUlSV_E1_NS1_11comp_targetILNS1_3genE2ELNS1_11target_archE906ELNS1_3gpuE6ELNS1_3repE0EEENS1_36merge_oddeven_config_static_selectorELNS0_4arch9wavefront6targetE1EEEvSH_
	.p2align	8
	.type	_ZN7rocprim17ROCPRIM_400000_NS6detail17trampoline_kernelINS0_14default_configENS1_38merge_sort_block_merge_config_selectorIdlEEZZNS1_27merge_sort_block_merge_implIS3_PdN6thrust23THRUST_200600_302600_NS10device_ptrIlEEjNS1_19radix_merge_compareILb0ELb0EdNS0_19identity_decomposerEEEEE10hipError_tT0_T1_T2_jT3_P12ihipStream_tbPNSt15iterator_traitsISG_E10value_typeEPNSM_ISH_E10value_typeEPSI_NS1_7vsmem_tEENKUlT_SG_SH_SI_E_clIS7_S7_SB_PlEESF_SV_SG_SH_SI_EUlSV_E1_NS1_11comp_targetILNS1_3genE2ELNS1_11target_archE906ELNS1_3gpuE6ELNS1_3repE0EEENS1_36merge_oddeven_config_static_selectorELNS0_4arch9wavefront6targetE1EEEvSH_,@function
_ZN7rocprim17ROCPRIM_400000_NS6detail17trampoline_kernelINS0_14default_configENS1_38merge_sort_block_merge_config_selectorIdlEEZZNS1_27merge_sort_block_merge_implIS3_PdN6thrust23THRUST_200600_302600_NS10device_ptrIlEEjNS1_19radix_merge_compareILb0ELb0EdNS0_19identity_decomposerEEEEE10hipError_tT0_T1_T2_jT3_P12ihipStream_tbPNSt15iterator_traitsISG_E10value_typeEPNSM_ISH_E10value_typeEPSI_NS1_7vsmem_tEENKUlT_SG_SH_SI_E_clIS7_S7_SB_PlEESF_SV_SG_SH_SI_EUlSV_E1_NS1_11comp_targetILNS1_3genE2ELNS1_11target_archE906ELNS1_3gpuE6ELNS1_3repE0EEENS1_36merge_oddeven_config_static_selectorELNS0_4arch9wavefront6targetE1EEEvSH_: ; @_ZN7rocprim17ROCPRIM_400000_NS6detail17trampoline_kernelINS0_14default_configENS1_38merge_sort_block_merge_config_selectorIdlEEZZNS1_27merge_sort_block_merge_implIS3_PdN6thrust23THRUST_200600_302600_NS10device_ptrIlEEjNS1_19radix_merge_compareILb0ELb0EdNS0_19identity_decomposerEEEEE10hipError_tT0_T1_T2_jT3_P12ihipStream_tbPNSt15iterator_traitsISG_E10value_typeEPNSM_ISH_E10value_typeEPSI_NS1_7vsmem_tEENKUlT_SG_SH_SI_E_clIS7_S7_SB_PlEESF_SV_SG_SH_SI_EUlSV_E1_NS1_11comp_targetILNS1_3genE2ELNS1_11target_archE906ELNS1_3gpuE6ELNS1_3repE0EEENS1_36merge_oddeven_config_static_selectorELNS0_4arch9wavefront6targetE1EEEvSH_
; %bb.0:
	.section	.rodata,"a",@progbits
	.p2align	6, 0x0
	.amdhsa_kernel _ZN7rocprim17ROCPRIM_400000_NS6detail17trampoline_kernelINS0_14default_configENS1_38merge_sort_block_merge_config_selectorIdlEEZZNS1_27merge_sort_block_merge_implIS3_PdN6thrust23THRUST_200600_302600_NS10device_ptrIlEEjNS1_19radix_merge_compareILb0ELb0EdNS0_19identity_decomposerEEEEE10hipError_tT0_T1_T2_jT3_P12ihipStream_tbPNSt15iterator_traitsISG_E10value_typeEPNSM_ISH_E10value_typeEPSI_NS1_7vsmem_tEENKUlT_SG_SH_SI_E_clIS7_S7_SB_PlEESF_SV_SG_SH_SI_EUlSV_E1_NS1_11comp_targetILNS1_3genE2ELNS1_11target_archE906ELNS1_3gpuE6ELNS1_3repE0EEENS1_36merge_oddeven_config_static_selectorELNS0_4arch9wavefront6targetE1EEEvSH_
		.amdhsa_group_segment_fixed_size 0
		.amdhsa_private_segment_fixed_size 0
		.amdhsa_kernarg_size 48
		.amdhsa_user_sgpr_count 6
		.amdhsa_user_sgpr_private_segment_buffer 1
		.amdhsa_user_sgpr_dispatch_ptr 0
		.amdhsa_user_sgpr_queue_ptr 0
		.amdhsa_user_sgpr_kernarg_segment_ptr 1
		.amdhsa_user_sgpr_dispatch_id 0
		.amdhsa_user_sgpr_flat_scratch_init 0
		.amdhsa_user_sgpr_kernarg_preload_length 0
		.amdhsa_user_sgpr_kernarg_preload_offset 0
		.amdhsa_user_sgpr_private_segment_size 0
		.amdhsa_uses_dynamic_stack 0
		.amdhsa_system_sgpr_private_segment_wavefront_offset 0
		.amdhsa_system_sgpr_workgroup_id_x 1
		.amdhsa_system_sgpr_workgroup_id_y 0
		.amdhsa_system_sgpr_workgroup_id_z 0
		.amdhsa_system_sgpr_workgroup_info 0
		.amdhsa_system_vgpr_workitem_id 0
		.amdhsa_next_free_vgpr 1
		.amdhsa_next_free_sgpr 0
		.amdhsa_accum_offset 4
		.amdhsa_reserve_vcc 0
		.amdhsa_reserve_flat_scratch 0
		.amdhsa_float_round_mode_32 0
		.amdhsa_float_round_mode_16_64 0
		.amdhsa_float_denorm_mode_32 3
		.amdhsa_float_denorm_mode_16_64 3
		.amdhsa_dx10_clamp 1
		.amdhsa_ieee_mode 1
		.amdhsa_fp16_overflow 0
		.amdhsa_tg_split 0
		.amdhsa_exception_fp_ieee_invalid_op 0
		.amdhsa_exception_fp_denorm_src 0
		.amdhsa_exception_fp_ieee_div_zero 0
		.amdhsa_exception_fp_ieee_overflow 0
		.amdhsa_exception_fp_ieee_underflow 0
		.amdhsa_exception_fp_ieee_inexact 0
		.amdhsa_exception_int_div_zero 0
	.end_amdhsa_kernel
	.section	.text._ZN7rocprim17ROCPRIM_400000_NS6detail17trampoline_kernelINS0_14default_configENS1_38merge_sort_block_merge_config_selectorIdlEEZZNS1_27merge_sort_block_merge_implIS3_PdN6thrust23THRUST_200600_302600_NS10device_ptrIlEEjNS1_19radix_merge_compareILb0ELb0EdNS0_19identity_decomposerEEEEE10hipError_tT0_T1_T2_jT3_P12ihipStream_tbPNSt15iterator_traitsISG_E10value_typeEPNSM_ISH_E10value_typeEPSI_NS1_7vsmem_tEENKUlT_SG_SH_SI_E_clIS7_S7_SB_PlEESF_SV_SG_SH_SI_EUlSV_E1_NS1_11comp_targetILNS1_3genE2ELNS1_11target_archE906ELNS1_3gpuE6ELNS1_3repE0EEENS1_36merge_oddeven_config_static_selectorELNS0_4arch9wavefront6targetE1EEEvSH_,"axG",@progbits,_ZN7rocprim17ROCPRIM_400000_NS6detail17trampoline_kernelINS0_14default_configENS1_38merge_sort_block_merge_config_selectorIdlEEZZNS1_27merge_sort_block_merge_implIS3_PdN6thrust23THRUST_200600_302600_NS10device_ptrIlEEjNS1_19radix_merge_compareILb0ELb0EdNS0_19identity_decomposerEEEEE10hipError_tT0_T1_T2_jT3_P12ihipStream_tbPNSt15iterator_traitsISG_E10value_typeEPNSM_ISH_E10value_typeEPSI_NS1_7vsmem_tEENKUlT_SG_SH_SI_E_clIS7_S7_SB_PlEESF_SV_SG_SH_SI_EUlSV_E1_NS1_11comp_targetILNS1_3genE2ELNS1_11target_archE906ELNS1_3gpuE6ELNS1_3repE0EEENS1_36merge_oddeven_config_static_selectorELNS0_4arch9wavefront6targetE1EEEvSH_,comdat
.Lfunc_end1587:
	.size	_ZN7rocprim17ROCPRIM_400000_NS6detail17trampoline_kernelINS0_14default_configENS1_38merge_sort_block_merge_config_selectorIdlEEZZNS1_27merge_sort_block_merge_implIS3_PdN6thrust23THRUST_200600_302600_NS10device_ptrIlEEjNS1_19radix_merge_compareILb0ELb0EdNS0_19identity_decomposerEEEEE10hipError_tT0_T1_T2_jT3_P12ihipStream_tbPNSt15iterator_traitsISG_E10value_typeEPNSM_ISH_E10value_typeEPSI_NS1_7vsmem_tEENKUlT_SG_SH_SI_E_clIS7_S7_SB_PlEESF_SV_SG_SH_SI_EUlSV_E1_NS1_11comp_targetILNS1_3genE2ELNS1_11target_archE906ELNS1_3gpuE6ELNS1_3repE0EEENS1_36merge_oddeven_config_static_selectorELNS0_4arch9wavefront6targetE1EEEvSH_, .Lfunc_end1587-_ZN7rocprim17ROCPRIM_400000_NS6detail17trampoline_kernelINS0_14default_configENS1_38merge_sort_block_merge_config_selectorIdlEEZZNS1_27merge_sort_block_merge_implIS3_PdN6thrust23THRUST_200600_302600_NS10device_ptrIlEEjNS1_19radix_merge_compareILb0ELb0EdNS0_19identity_decomposerEEEEE10hipError_tT0_T1_T2_jT3_P12ihipStream_tbPNSt15iterator_traitsISG_E10value_typeEPNSM_ISH_E10value_typeEPSI_NS1_7vsmem_tEENKUlT_SG_SH_SI_E_clIS7_S7_SB_PlEESF_SV_SG_SH_SI_EUlSV_E1_NS1_11comp_targetILNS1_3genE2ELNS1_11target_archE906ELNS1_3gpuE6ELNS1_3repE0EEENS1_36merge_oddeven_config_static_selectorELNS0_4arch9wavefront6targetE1EEEvSH_
                                        ; -- End function
	.section	.AMDGPU.csdata,"",@progbits
; Kernel info:
; codeLenInByte = 0
; NumSgprs: 4
; NumVgprs: 0
; NumAgprs: 0
; TotalNumVgprs: 0
; ScratchSize: 0
; MemoryBound: 0
; FloatMode: 240
; IeeeMode: 1
; LDSByteSize: 0 bytes/workgroup (compile time only)
; SGPRBlocks: 0
; VGPRBlocks: 0
; NumSGPRsForWavesPerEU: 4
; NumVGPRsForWavesPerEU: 1
; AccumOffset: 4
; Occupancy: 8
; WaveLimiterHint : 0
; COMPUTE_PGM_RSRC2:SCRATCH_EN: 0
; COMPUTE_PGM_RSRC2:USER_SGPR: 6
; COMPUTE_PGM_RSRC2:TRAP_HANDLER: 0
; COMPUTE_PGM_RSRC2:TGID_X_EN: 1
; COMPUTE_PGM_RSRC2:TGID_Y_EN: 0
; COMPUTE_PGM_RSRC2:TGID_Z_EN: 0
; COMPUTE_PGM_RSRC2:TIDIG_COMP_CNT: 0
; COMPUTE_PGM_RSRC3_GFX90A:ACCUM_OFFSET: 0
; COMPUTE_PGM_RSRC3_GFX90A:TG_SPLIT: 0
	.section	.text._ZN7rocprim17ROCPRIM_400000_NS6detail17trampoline_kernelINS0_14default_configENS1_38merge_sort_block_merge_config_selectorIdlEEZZNS1_27merge_sort_block_merge_implIS3_PdN6thrust23THRUST_200600_302600_NS10device_ptrIlEEjNS1_19radix_merge_compareILb0ELb0EdNS0_19identity_decomposerEEEEE10hipError_tT0_T1_T2_jT3_P12ihipStream_tbPNSt15iterator_traitsISG_E10value_typeEPNSM_ISH_E10value_typeEPSI_NS1_7vsmem_tEENKUlT_SG_SH_SI_E_clIS7_S7_SB_PlEESF_SV_SG_SH_SI_EUlSV_E1_NS1_11comp_targetILNS1_3genE9ELNS1_11target_archE1100ELNS1_3gpuE3ELNS1_3repE0EEENS1_36merge_oddeven_config_static_selectorELNS0_4arch9wavefront6targetE1EEEvSH_,"axG",@progbits,_ZN7rocprim17ROCPRIM_400000_NS6detail17trampoline_kernelINS0_14default_configENS1_38merge_sort_block_merge_config_selectorIdlEEZZNS1_27merge_sort_block_merge_implIS3_PdN6thrust23THRUST_200600_302600_NS10device_ptrIlEEjNS1_19radix_merge_compareILb0ELb0EdNS0_19identity_decomposerEEEEE10hipError_tT0_T1_T2_jT3_P12ihipStream_tbPNSt15iterator_traitsISG_E10value_typeEPNSM_ISH_E10value_typeEPSI_NS1_7vsmem_tEENKUlT_SG_SH_SI_E_clIS7_S7_SB_PlEESF_SV_SG_SH_SI_EUlSV_E1_NS1_11comp_targetILNS1_3genE9ELNS1_11target_archE1100ELNS1_3gpuE3ELNS1_3repE0EEENS1_36merge_oddeven_config_static_selectorELNS0_4arch9wavefront6targetE1EEEvSH_,comdat
	.protected	_ZN7rocprim17ROCPRIM_400000_NS6detail17trampoline_kernelINS0_14default_configENS1_38merge_sort_block_merge_config_selectorIdlEEZZNS1_27merge_sort_block_merge_implIS3_PdN6thrust23THRUST_200600_302600_NS10device_ptrIlEEjNS1_19radix_merge_compareILb0ELb0EdNS0_19identity_decomposerEEEEE10hipError_tT0_T1_T2_jT3_P12ihipStream_tbPNSt15iterator_traitsISG_E10value_typeEPNSM_ISH_E10value_typeEPSI_NS1_7vsmem_tEENKUlT_SG_SH_SI_E_clIS7_S7_SB_PlEESF_SV_SG_SH_SI_EUlSV_E1_NS1_11comp_targetILNS1_3genE9ELNS1_11target_archE1100ELNS1_3gpuE3ELNS1_3repE0EEENS1_36merge_oddeven_config_static_selectorELNS0_4arch9wavefront6targetE1EEEvSH_ ; -- Begin function _ZN7rocprim17ROCPRIM_400000_NS6detail17trampoline_kernelINS0_14default_configENS1_38merge_sort_block_merge_config_selectorIdlEEZZNS1_27merge_sort_block_merge_implIS3_PdN6thrust23THRUST_200600_302600_NS10device_ptrIlEEjNS1_19radix_merge_compareILb0ELb0EdNS0_19identity_decomposerEEEEE10hipError_tT0_T1_T2_jT3_P12ihipStream_tbPNSt15iterator_traitsISG_E10value_typeEPNSM_ISH_E10value_typeEPSI_NS1_7vsmem_tEENKUlT_SG_SH_SI_E_clIS7_S7_SB_PlEESF_SV_SG_SH_SI_EUlSV_E1_NS1_11comp_targetILNS1_3genE9ELNS1_11target_archE1100ELNS1_3gpuE3ELNS1_3repE0EEENS1_36merge_oddeven_config_static_selectorELNS0_4arch9wavefront6targetE1EEEvSH_
	.globl	_ZN7rocprim17ROCPRIM_400000_NS6detail17trampoline_kernelINS0_14default_configENS1_38merge_sort_block_merge_config_selectorIdlEEZZNS1_27merge_sort_block_merge_implIS3_PdN6thrust23THRUST_200600_302600_NS10device_ptrIlEEjNS1_19radix_merge_compareILb0ELb0EdNS0_19identity_decomposerEEEEE10hipError_tT0_T1_T2_jT3_P12ihipStream_tbPNSt15iterator_traitsISG_E10value_typeEPNSM_ISH_E10value_typeEPSI_NS1_7vsmem_tEENKUlT_SG_SH_SI_E_clIS7_S7_SB_PlEESF_SV_SG_SH_SI_EUlSV_E1_NS1_11comp_targetILNS1_3genE9ELNS1_11target_archE1100ELNS1_3gpuE3ELNS1_3repE0EEENS1_36merge_oddeven_config_static_selectorELNS0_4arch9wavefront6targetE1EEEvSH_
	.p2align	8
	.type	_ZN7rocprim17ROCPRIM_400000_NS6detail17trampoline_kernelINS0_14default_configENS1_38merge_sort_block_merge_config_selectorIdlEEZZNS1_27merge_sort_block_merge_implIS3_PdN6thrust23THRUST_200600_302600_NS10device_ptrIlEEjNS1_19radix_merge_compareILb0ELb0EdNS0_19identity_decomposerEEEEE10hipError_tT0_T1_T2_jT3_P12ihipStream_tbPNSt15iterator_traitsISG_E10value_typeEPNSM_ISH_E10value_typeEPSI_NS1_7vsmem_tEENKUlT_SG_SH_SI_E_clIS7_S7_SB_PlEESF_SV_SG_SH_SI_EUlSV_E1_NS1_11comp_targetILNS1_3genE9ELNS1_11target_archE1100ELNS1_3gpuE3ELNS1_3repE0EEENS1_36merge_oddeven_config_static_selectorELNS0_4arch9wavefront6targetE1EEEvSH_,@function
_ZN7rocprim17ROCPRIM_400000_NS6detail17trampoline_kernelINS0_14default_configENS1_38merge_sort_block_merge_config_selectorIdlEEZZNS1_27merge_sort_block_merge_implIS3_PdN6thrust23THRUST_200600_302600_NS10device_ptrIlEEjNS1_19radix_merge_compareILb0ELb0EdNS0_19identity_decomposerEEEEE10hipError_tT0_T1_T2_jT3_P12ihipStream_tbPNSt15iterator_traitsISG_E10value_typeEPNSM_ISH_E10value_typeEPSI_NS1_7vsmem_tEENKUlT_SG_SH_SI_E_clIS7_S7_SB_PlEESF_SV_SG_SH_SI_EUlSV_E1_NS1_11comp_targetILNS1_3genE9ELNS1_11target_archE1100ELNS1_3gpuE3ELNS1_3repE0EEENS1_36merge_oddeven_config_static_selectorELNS0_4arch9wavefront6targetE1EEEvSH_: ; @_ZN7rocprim17ROCPRIM_400000_NS6detail17trampoline_kernelINS0_14default_configENS1_38merge_sort_block_merge_config_selectorIdlEEZZNS1_27merge_sort_block_merge_implIS3_PdN6thrust23THRUST_200600_302600_NS10device_ptrIlEEjNS1_19radix_merge_compareILb0ELb0EdNS0_19identity_decomposerEEEEE10hipError_tT0_T1_T2_jT3_P12ihipStream_tbPNSt15iterator_traitsISG_E10value_typeEPNSM_ISH_E10value_typeEPSI_NS1_7vsmem_tEENKUlT_SG_SH_SI_E_clIS7_S7_SB_PlEESF_SV_SG_SH_SI_EUlSV_E1_NS1_11comp_targetILNS1_3genE9ELNS1_11target_archE1100ELNS1_3gpuE3ELNS1_3repE0EEENS1_36merge_oddeven_config_static_selectorELNS0_4arch9wavefront6targetE1EEEvSH_
; %bb.0:
	.section	.rodata,"a",@progbits
	.p2align	6, 0x0
	.amdhsa_kernel _ZN7rocprim17ROCPRIM_400000_NS6detail17trampoline_kernelINS0_14default_configENS1_38merge_sort_block_merge_config_selectorIdlEEZZNS1_27merge_sort_block_merge_implIS3_PdN6thrust23THRUST_200600_302600_NS10device_ptrIlEEjNS1_19radix_merge_compareILb0ELb0EdNS0_19identity_decomposerEEEEE10hipError_tT0_T1_T2_jT3_P12ihipStream_tbPNSt15iterator_traitsISG_E10value_typeEPNSM_ISH_E10value_typeEPSI_NS1_7vsmem_tEENKUlT_SG_SH_SI_E_clIS7_S7_SB_PlEESF_SV_SG_SH_SI_EUlSV_E1_NS1_11comp_targetILNS1_3genE9ELNS1_11target_archE1100ELNS1_3gpuE3ELNS1_3repE0EEENS1_36merge_oddeven_config_static_selectorELNS0_4arch9wavefront6targetE1EEEvSH_
		.amdhsa_group_segment_fixed_size 0
		.amdhsa_private_segment_fixed_size 0
		.amdhsa_kernarg_size 48
		.amdhsa_user_sgpr_count 6
		.amdhsa_user_sgpr_private_segment_buffer 1
		.amdhsa_user_sgpr_dispatch_ptr 0
		.amdhsa_user_sgpr_queue_ptr 0
		.amdhsa_user_sgpr_kernarg_segment_ptr 1
		.amdhsa_user_sgpr_dispatch_id 0
		.amdhsa_user_sgpr_flat_scratch_init 0
		.amdhsa_user_sgpr_kernarg_preload_length 0
		.amdhsa_user_sgpr_kernarg_preload_offset 0
		.amdhsa_user_sgpr_private_segment_size 0
		.amdhsa_uses_dynamic_stack 0
		.amdhsa_system_sgpr_private_segment_wavefront_offset 0
		.amdhsa_system_sgpr_workgroup_id_x 1
		.amdhsa_system_sgpr_workgroup_id_y 0
		.amdhsa_system_sgpr_workgroup_id_z 0
		.amdhsa_system_sgpr_workgroup_info 0
		.amdhsa_system_vgpr_workitem_id 0
		.amdhsa_next_free_vgpr 1
		.amdhsa_next_free_sgpr 0
		.amdhsa_accum_offset 4
		.amdhsa_reserve_vcc 0
		.amdhsa_reserve_flat_scratch 0
		.amdhsa_float_round_mode_32 0
		.amdhsa_float_round_mode_16_64 0
		.amdhsa_float_denorm_mode_32 3
		.amdhsa_float_denorm_mode_16_64 3
		.amdhsa_dx10_clamp 1
		.amdhsa_ieee_mode 1
		.amdhsa_fp16_overflow 0
		.amdhsa_tg_split 0
		.amdhsa_exception_fp_ieee_invalid_op 0
		.amdhsa_exception_fp_denorm_src 0
		.amdhsa_exception_fp_ieee_div_zero 0
		.amdhsa_exception_fp_ieee_overflow 0
		.amdhsa_exception_fp_ieee_underflow 0
		.amdhsa_exception_fp_ieee_inexact 0
		.amdhsa_exception_int_div_zero 0
	.end_amdhsa_kernel
	.section	.text._ZN7rocprim17ROCPRIM_400000_NS6detail17trampoline_kernelINS0_14default_configENS1_38merge_sort_block_merge_config_selectorIdlEEZZNS1_27merge_sort_block_merge_implIS3_PdN6thrust23THRUST_200600_302600_NS10device_ptrIlEEjNS1_19radix_merge_compareILb0ELb0EdNS0_19identity_decomposerEEEEE10hipError_tT0_T1_T2_jT3_P12ihipStream_tbPNSt15iterator_traitsISG_E10value_typeEPNSM_ISH_E10value_typeEPSI_NS1_7vsmem_tEENKUlT_SG_SH_SI_E_clIS7_S7_SB_PlEESF_SV_SG_SH_SI_EUlSV_E1_NS1_11comp_targetILNS1_3genE9ELNS1_11target_archE1100ELNS1_3gpuE3ELNS1_3repE0EEENS1_36merge_oddeven_config_static_selectorELNS0_4arch9wavefront6targetE1EEEvSH_,"axG",@progbits,_ZN7rocprim17ROCPRIM_400000_NS6detail17trampoline_kernelINS0_14default_configENS1_38merge_sort_block_merge_config_selectorIdlEEZZNS1_27merge_sort_block_merge_implIS3_PdN6thrust23THRUST_200600_302600_NS10device_ptrIlEEjNS1_19radix_merge_compareILb0ELb0EdNS0_19identity_decomposerEEEEE10hipError_tT0_T1_T2_jT3_P12ihipStream_tbPNSt15iterator_traitsISG_E10value_typeEPNSM_ISH_E10value_typeEPSI_NS1_7vsmem_tEENKUlT_SG_SH_SI_E_clIS7_S7_SB_PlEESF_SV_SG_SH_SI_EUlSV_E1_NS1_11comp_targetILNS1_3genE9ELNS1_11target_archE1100ELNS1_3gpuE3ELNS1_3repE0EEENS1_36merge_oddeven_config_static_selectorELNS0_4arch9wavefront6targetE1EEEvSH_,comdat
.Lfunc_end1588:
	.size	_ZN7rocprim17ROCPRIM_400000_NS6detail17trampoline_kernelINS0_14default_configENS1_38merge_sort_block_merge_config_selectorIdlEEZZNS1_27merge_sort_block_merge_implIS3_PdN6thrust23THRUST_200600_302600_NS10device_ptrIlEEjNS1_19radix_merge_compareILb0ELb0EdNS0_19identity_decomposerEEEEE10hipError_tT0_T1_T2_jT3_P12ihipStream_tbPNSt15iterator_traitsISG_E10value_typeEPNSM_ISH_E10value_typeEPSI_NS1_7vsmem_tEENKUlT_SG_SH_SI_E_clIS7_S7_SB_PlEESF_SV_SG_SH_SI_EUlSV_E1_NS1_11comp_targetILNS1_3genE9ELNS1_11target_archE1100ELNS1_3gpuE3ELNS1_3repE0EEENS1_36merge_oddeven_config_static_selectorELNS0_4arch9wavefront6targetE1EEEvSH_, .Lfunc_end1588-_ZN7rocprim17ROCPRIM_400000_NS6detail17trampoline_kernelINS0_14default_configENS1_38merge_sort_block_merge_config_selectorIdlEEZZNS1_27merge_sort_block_merge_implIS3_PdN6thrust23THRUST_200600_302600_NS10device_ptrIlEEjNS1_19radix_merge_compareILb0ELb0EdNS0_19identity_decomposerEEEEE10hipError_tT0_T1_T2_jT3_P12ihipStream_tbPNSt15iterator_traitsISG_E10value_typeEPNSM_ISH_E10value_typeEPSI_NS1_7vsmem_tEENKUlT_SG_SH_SI_E_clIS7_S7_SB_PlEESF_SV_SG_SH_SI_EUlSV_E1_NS1_11comp_targetILNS1_3genE9ELNS1_11target_archE1100ELNS1_3gpuE3ELNS1_3repE0EEENS1_36merge_oddeven_config_static_selectorELNS0_4arch9wavefront6targetE1EEEvSH_
                                        ; -- End function
	.section	.AMDGPU.csdata,"",@progbits
; Kernel info:
; codeLenInByte = 0
; NumSgprs: 4
; NumVgprs: 0
; NumAgprs: 0
; TotalNumVgprs: 0
; ScratchSize: 0
; MemoryBound: 0
; FloatMode: 240
; IeeeMode: 1
; LDSByteSize: 0 bytes/workgroup (compile time only)
; SGPRBlocks: 0
; VGPRBlocks: 0
; NumSGPRsForWavesPerEU: 4
; NumVGPRsForWavesPerEU: 1
; AccumOffset: 4
; Occupancy: 8
; WaveLimiterHint : 0
; COMPUTE_PGM_RSRC2:SCRATCH_EN: 0
; COMPUTE_PGM_RSRC2:USER_SGPR: 6
; COMPUTE_PGM_RSRC2:TRAP_HANDLER: 0
; COMPUTE_PGM_RSRC2:TGID_X_EN: 1
; COMPUTE_PGM_RSRC2:TGID_Y_EN: 0
; COMPUTE_PGM_RSRC2:TGID_Z_EN: 0
; COMPUTE_PGM_RSRC2:TIDIG_COMP_CNT: 0
; COMPUTE_PGM_RSRC3_GFX90A:ACCUM_OFFSET: 0
; COMPUTE_PGM_RSRC3_GFX90A:TG_SPLIT: 0
	.section	.text._ZN7rocprim17ROCPRIM_400000_NS6detail17trampoline_kernelINS0_14default_configENS1_38merge_sort_block_merge_config_selectorIdlEEZZNS1_27merge_sort_block_merge_implIS3_PdN6thrust23THRUST_200600_302600_NS10device_ptrIlEEjNS1_19radix_merge_compareILb0ELb0EdNS0_19identity_decomposerEEEEE10hipError_tT0_T1_T2_jT3_P12ihipStream_tbPNSt15iterator_traitsISG_E10value_typeEPNSM_ISH_E10value_typeEPSI_NS1_7vsmem_tEENKUlT_SG_SH_SI_E_clIS7_S7_SB_PlEESF_SV_SG_SH_SI_EUlSV_E1_NS1_11comp_targetILNS1_3genE8ELNS1_11target_archE1030ELNS1_3gpuE2ELNS1_3repE0EEENS1_36merge_oddeven_config_static_selectorELNS0_4arch9wavefront6targetE1EEEvSH_,"axG",@progbits,_ZN7rocprim17ROCPRIM_400000_NS6detail17trampoline_kernelINS0_14default_configENS1_38merge_sort_block_merge_config_selectorIdlEEZZNS1_27merge_sort_block_merge_implIS3_PdN6thrust23THRUST_200600_302600_NS10device_ptrIlEEjNS1_19radix_merge_compareILb0ELb0EdNS0_19identity_decomposerEEEEE10hipError_tT0_T1_T2_jT3_P12ihipStream_tbPNSt15iterator_traitsISG_E10value_typeEPNSM_ISH_E10value_typeEPSI_NS1_7vsmem_tEENKUlT_SG_SH_SI_E_clIS7_S7_SB_PlEESF_SV_SG_SH_SI_EUlSV_E1_NS1_11comp_targetILNS1_3genE8ELNS1_11target_archE1030ELNS1_3gpuE2ELNS1_3repE0EEENS1_36merge_oddeven_config_static_selectorELNS0_4arch9wavefront6targetE1EEEvSH_,comdat
	.protected	_ZN7rocprim17ROCPRIM_400000_NS6detail17trampoline_kernelINS0_14default_configENS1_38merge_sort_block_merge_config_selectorIdlEEZZNS1_27merge_sort_block_merge_implIS3_PdN6thrust23THRUST_200600_302600_NS10device_ptrIlEEjNS1_19radix_merge_compareILb0ELb0EdNS0_19identity_decomposerEEEEE10hipError_tT0_T1_T2_jT3_P12ihipStream_tbPNSt15iterator_traitsISG_E10value_typeEPNSM_ISH_E10value_typeEPSI_NS1_7vsmem_tEENKUlT_SG_SH_SI_E_clIS7_S7_SB_PlEESF_SV_SG_SH_SI_EUlSV_E1_NS1_11comp_targetILNS1_3genE8ELNS1_11target_archE1030ELNS1_3gpuE2ELNS1_3repE0EEENS1_36merge_oddeven_config_static_selectorELNS0_4arch9wavefront6targetE1EEEvSH_ ; -- Begin function _ZN7rocprim17ROCPRIM_400000_NS6detail17trampoline_kernelINS0_14default_configENS1_38merge_sort_block_merge_config_selectorIdlEEZZNS1_27merge_sort_block_merge_implIS3_PdN6thrust23THRUST_200600_302600_NS10device_ptrIlEEjNS1_19radix_merge_compareILb0ELb0EdNS0_19identity_decomposerEEEEE10hipError_tT0_T1_T2_jT3_P12ihipStream_tbPNSt15iterator_traitsISG_E10value_typeEPNSM_ISH_E10value_typeEPSI_NS1_7vsmem_tEENKUlT_SG_SH_SI_E_clIS7_S7_SB_PlEESF_SV_SG_SH_SI_EUlSV_E1_NS1_11comp_targetILNS1_3genE8ELNS1_11target_archE1030ELNS1_3gpuE2ELNS1_3repE0EEENS1_36merge_oddeven_config_static_selectorELNS0_4arch9wavefront6targetE1EEEvSH_
	.globl	_ZN7rocprim17ROCPRIM_400000_NS6detail17trampoline_kernelINS0_14default_configENS1_38merge_sort_block_merge_config_selectorIdlEEZZNS1_27merge_sort_block_merge_implIS3_PdN6thrust23THRUST_200600_302600_NS10device_ptrIlEEjNS1_19radix_merge_compareILb0ELb0EdNS0_19identity_decomposerEEEEE10hipError_tT0_T1_T2_jT3_P12ihipStream_tbPNSt15iterator_traitsISG_E10value_typeEPNSM_ISH_E10value_typeEPSI_NS1_7vsmem_tEENKUlT_SG_SH_SI_E_clIS7_S7_SB_PlEESF_SV_SG_SH_SI_EUlSV_E1_NS1_11comp_targetILNS1_3genE8ELNS1_11target_archE1030ELNS1_3gpuE2ELNS1_3repE0EEENS1_36merge_oddeven_config_static_selectorELNS0_4arch9wavefront6targetE1EEEvSH_
	.p2align	8
	.type	_ZN7rocprim17ROCPRIM_400000_NS6detail17trampoline_kernelINS0_14default_configENS1_38merge_sort_block_merge_config_selectorIdlEEZZNS1_27merge_sort_block_merge_implIS3_PdN6thrust23THRUST_200600_302600_NS10device_ptrIlEEjNS1_19radix_merge_compareILb0ELb0EdNS0_19identity_decomposerEEEEE10hipError_tT0_T1_T2_jT3_P12ihipStream_tbPNSt15iterator_traitsISG_E10value_typeEPNSM_ISH_E10value_typeEPSI_NS1_7vsmem_tEENKUlT_SG_SH_SI_E_clIS7_S7_SB_PlEESF_SV_SG_SH_SI_EUlSV_E1_NS1_11comp_targetILNS1_3genE8ELNS1_11target_archE1030ELNS1_3gpuE2ELNS1_3repE0EEENS1_36merge_oddeven_config_static_selectorELNS0_4arch9wavefront6targetE1EEEvSH_,@function
_ZN7rocprim17ROCPRIM_400000_NS6detail17trampoline_kernelINS0_14default_configENS1_38merge_sort_block_merge_config_selectorIdlEEZZNS1_27merge_sort_block_merge_implIS3_PdN6thrust23THRUST_200600_302600_NS10device_ptrIlEEjNS1_19radix_merge_compareILb0ELb0EdNS0_19identity_decomposerEEEEE10hipError_tT0_T1_T2_jT3_P12ihipStream_tbPNSt15iterator_traitsISG_E10value_typeEPNSM_ISH_E10value_typeEPSI_NS1_7vsmem_tEENKUlT_SG_SH_SI_E_clIS7_S7_SB_PlEESF_SV_SG_SH_SI_EUlSV_E1_NS1_11comp_targetILNS1_3genE8ELNS1_11target_archE1030ELNS1_3gpuE2ELNS1_3repE0EEENS1_36merge_oddeven_config_static_selectorELNS0_4arch9wavefront6targetE1EEEvSH_: ; @_ZN7rocprim17ROCPRIM_400000_NS6detail17trampoline_kernelINS0_14default_configENS1_38merge_sort_block_merge_config_selectorIdlEEZZNS1_27merge_sort_block_merge_implIS3_PdN6thrust23THRUST_200600_302600_NS10device_ptrIlEEjNS1_19radix_merge_compareILb0ELb0EdNS0_19identity_decomposerEEEEE10hipError_tT0_T1_T2_jT3_P12ihipStream_tbPNSt15iterator_traitsISG_E10value_typeEPNSM_ISH_E10value_typeEPSI_NS1_7vsmem_tEENKUlT_SG_SH_SI_E_clIS7_S7_SB_PlEESF_SV_SG_SH_SI_EUlSV_E1_NS1_11comp_targetILNS1_3genE8ELNS1_11target_archE1030ELNS1_3gpuE2ELNS1_3repE0EEENS1_36merge_oddeven_config_static_selectorELNS0_4arch9wavefront6targetE1EEEvSH_
; %bb.0:
	.section	.rodata,"a",@progbits
	.p2align	6, 0x0
	.amdhsa_kernel _ZN7rocprim17ROCPRIM_400000_NS6detail17trampoline_kernelINS0_14default_configENS1_38merge_sort_block_merge_config_selectorIdlEEZZNS1_27merge_sort_block_merge_implIS3_PdN6thrust23THRUST_200600_302600_NS10device_ptrIlEEjNS1_19radix_merge_compareILb0ELb0EdNS0_19identity_decomposerEEEEE10hipError_tT0_T1_T2_jT3_P12ihipStream_tbPNSt15iterator_traitsISG_E10value_typeEPNSM_ISH_E10value_typeEPSI_NS1_7vsmem_tEENKUlT_SG_SH_SI_E_clIS7_S7_SB_PlEESF_SV_SG_SH_SI_EUlSV_E1_NS1_11comp_targetILNS1_3genE8ELNS1_11target_archE1030ELNS1_3gpuE2ELNS1_3repE0EEENS1_36merge_oddeven_config_static_selectorELNS0_4arch9wavefront6targetE1EEEvSH_
		.amdhsa_group_segment_fixed_size 0
		.amdhsa_private_segment_fixed_size 0
		.amdhsa_kernarg_size 48
		.amdhsa_user_sgpr_count 6
		.amdhsa_user_sgpr_private_segment_buffer 1
		.amdhsa_user_sgpr_dispatch_ptr 0
		.amdhsa_user_sgpr_queue_ptr 0
		.amdhsa_user_sgpr_kernarg_segment_ptr 1
		.amdhsa_user_sgpr_dispatch_id 0
		.amdhsa_user_sgpr_flat_scratch_init 0
		.amdhsa_user_sgpr_kernarg_preload_length 0
		.amdhsa_user_sgpr_kernarg_preload_offset 0
		.amdhsa_user_sgpr_private_segment_size 0
		.amdhsa_uses_dynamic_stack 0
		.amdhsa_system_sgpr_private_segment_wavefront_offset 0
		.amdhsa_system_sgpr_workgroup_id_x 1
		.amdhsa_system_sgpr_workgroup_id_y 0
		.amdhsa_system_sgpr_workgroup_id_z 0
		.amdhsa_system_sgpr_workgroup_info 0
		.amdhsa_system_vgpr_workitem_id 0
		.amdhsa_next_free_vgpr 1
		.amdhsa_next_free_sgpr 0
		.amdhsa_accum_offset 4
		.amdhsa_reserve_vcc 0
		.amdhsa_reserve_flat_scratch 0
		.amdhsa_float_round_mode_32 0
		.amdhsa_float_round_mode_16_64 0
		.amdhsa_float_denorm_mode_32 3
		.amdhsa_float_denorm_mode_16_64 3
		.amdhsa_dx10_clamp 1
		.amdhsa_ieee_mode 1
		.amdhsa_fp16_overflow 0
		.amdhsa_tg_split 0
		.amdhsa_exception_fp_ieee_invalid_op 0
		.amdhsa_exception_fp_denorm_src 0
		.amdhsa_exception_fp_ieee_div_zero 0
		.amdhsa_exception_fp_ieee_overflow 0
		.amdhsa_exception_fp_ieee_underflow 0
		.amdhsa_exception_fp_ieee_inexact 0
		.amdhsa_exception_int_div_zero 0
	.end_amdhsa_kernel
	.section	.text._ZN7rocprim17ROCPRIM_400000_NS6detail17trampoline_kernelINS0_14default_configENS1_38merge_sort_block_merge_config_selectorIdlEEZZNS1_27merge_sort_block_merge_implIS3_PdN6thrust23THRUST_200600_302600_NS10device_ptrIlEEjNS1_19radix_merge_compareILb0ELb0EdNS0_19identity_decomposerEEEEE10hipError_tT0_T1_T2_jT3_P12ihipStream_tbPNSt15iterator_traitsISG_E10value_typeEPNSM_ISH_E10value_typeEPSI_NS1_7vsmem_tEENKUlT_SG_SH_SI_E_clIS7_S7_SB_PlEESF_SV_SG_SH_SI_EUlSV_E1_NS1_11comp_targetILNS1_3genE8ELNS1_11target_archE1030ELNS1_3gpuE2ELNS1_3repE0EEENS1_36merge_oddeven_config_static_selectorELNS0_4arch9wavefront6targetE1EEEvSH_,"axG",@progbits,_ZN7rocprim17ROCPRIM_400000_NS6detail17trampoline_kernelINS0_14default_configENS1_38merge_sort_block_merge_config_selectorIdlEEZZNS1_27merge_sort_block_merge_implIS3_PdN6thrust23THRUST_200600_302600_NS10device_ptrIlEEjNS1_19radix_merge_compareILb0ELb0EdNS0_19identity_decomposerEEEEE10hipError_tT0_T1_T2_jT3_P12ihipStream_tbPNSt15iterator_traitsISG_E10value_typeEPNSM_ISH_E10value_typeEPSI_NS1_7vsmem_tEENKUlT_SG_SH_SI_E_clIS7_S7_SB_PlEESF_SV_SG_SH_SI_EUlSV_E1_NS1_11comp_targetILNS1_3genE8ELNS1_11target_archE1030ELNS1_3gpuE2ELNS1_3repE0EEENS1_36merge_oddeven_config_static_selectorELNS0_4arch9wavefront6targetE1EEEvSH_,comdat
.Lfunc_end1589:
	.size	_ZN7rocprim17ROCPRIM_400000_NS6detail17trampoline_kernelINS0_14default_configENS1_38merge_sort_block_merge_config_selectorIdlEEZZNS1_27merge_sort_block_merge_implIS3_PdN6thrust23THRUST_200600_302600_NS10device_ptrIlEEjNS1_19radix_merge_compareILb0ELb0EdNS0_19identity_decomposerEEEEE10hipError_tT0_T1_T2_jT3_P12ihipStream_tbPNSt15iterator_traitsISG_E10value_typeEPNSM_ISH_E10value_typeEPSI_NS1_7vsmem_tEENKUlT_SG_SH_SI_E_clIS7_S7_SB_PlEESF_SV_SG_SH_SI_EUlSV_E1_NS1_11comp_targetILNS1_3genE8ELNS1_11target_archE1030ELNS1_3gpuE2ELNS1_3repE0EEENS1_36merge_oddeven_config_static_selectorELNS0_4arch9wavefront6targetE1EEEvSH_, .Lfunc_end1589-_ZN7rocprim17ROCPRIM_400000_NS6detail17trampoline_kernelINS0_14default_configENS1_38merge_sort_block_merge_config_selectorIdlEEZZNS1_27merge_sort_block_merge_implIS3_PdN6thrust23THRUST_200600_302600_NS10device_ptrIlEEjNS1_19radix_merge_compareILb0ELb0EdNS0_19identity_decomposerEEEEE10hipError_tT0_T1_T2_jT3_P12ihipStream_tbPNSt15iterator_traitsISG_E10value_typeEPNSM_ISH_E10value_typeEPSI_NS1_7vsmem_tEENKUlT_SG_SH_SI_E_clIS7_S7_SB_PlEESF_SV_SG_SH_SI_EUlSV_E1_NS1_11comp_targetILNS1_3genE8ELNS1_11target_archE1030ELNS1_3gpuE2ELNS1_3repE0EEENS1_36merge_oddeven_config_static_selectorELNS0_4arch9wavefront6targetE1EEEvSH_
                                        ; -- End function
	.section	.AMDGPU.csdata,"",@progbits
; Kernel info:
; codeLenInByte = 0
; NumSgprs: 4
; NumVgprs: 0
; NumAgprs: 0
; TotalNumVgprs: 0
; ScratchSize: 0
; MemoryBound: 0
; FloatMode: 240
; IeeeMode: 1
; LDSByteSize: 0 bytes/workgroup (compile time only)
; SGPRBlocks: 0
; VGPRBlocks: 0
; NumSGPRsForWavesPerEU: 4
; NumVGPRsForWavesPerEU: 1
; AccumOffset: 4
; Occupancy: 8
; WaveLimiterHint : 0
; COMPUTE_PGM_RSRC2:SCRATCH_EN: 0
; COMPUTE_PGM_RSRC2:USER_SGPR: 6
; COMPUTE_PGM_RSRC2:TRAP_HANDLER: 0
; COMPUTE_PGM_RSRC2:TGID_X_EN: 1
; COMPUTE_PGM_RSRC2:TGID_Y_EN: 0
; COMPUTE_PGM_RSRC2:TGID_Z_EN: 0
; COMPUTE_PGM_RSRC2:TIDIG_COMP_CNT: 0
; COMPUTE_PGM_RSRC3_GFX90A:ACCUM_OFFSET: 0
; COMPUTE_PGM_RSRC3_GFX90A:TG_SPLIT: 0
	.section	.text._ZN7rocprim17ROCPRIM_400000_NS6detail17trampoline_kernelINS0_14default_configENS1_25transform_config_selectorIdLb1EEEZNS1_14transform_implILb1ES3_S5_PdS7_NS0_8identityIdEEEE10hipError_tT2_T3_mT4_P12ihipStream_tbEUlT_E_NS1_11comp_targetILNS1_3genE0ELNS1_11target_archE4294967295ELNS1_3gpuE0ELNS1_3repE0EEENS1_30default_config_static_selectorELNS0_4arch9wavefront6targetE1EEEvT1_,"axG",@progbits,_ZN7rocprim17ROCPRIM_400000_NS6detail17trampoline_kernelINS0_14default_configENS1_25transform_config_selectorIdLb1EEEZNS1_14transform_implILb1ES3_S5_PdS7_NS0_8identityIdEEEE10hipError_tT2_T3_mT4_P12ihipStream_tbEUlT_E_NS1_11comp_targetILNS1_3genE0ELNS1_11target_archE4294967295ELNS1_3gpuE0ELNS1_3repE0EEENS1_30default_config_static_selectorELNS0_4arch9wavefront6targetE1EEEvT1_,comdat
	.protected	_ZN7rocprim17ROCPRIM_400000_NS6detail17trampoline_kernelINS0_14default_configENS1_25transform_config_selectorIdLb1EEEZNS1_14transform_implILb1ES3_S5_PdS7_NS0_8identityIdEEEE10hipError_tT2_T3_mT4_P12ihipStream_tbEUlT_E_NS1_11comp_targetILNS1_3genE0ELNS1_11target_archE4294967295ELNS1_3gpuE0ELNS1_3repE0EEENS1_30default_config_static_selectorELNS0_4arch9wavefront6targetE1EEEvT1_ ; -- Begin function _ZN7rocprim17ROCPRIM_400000_NS6detail17trampoline_kernelINS0_14default_configENS1_25transform_config_selectorIdLb1EEEZNS1_14transform_implILb1ES3_S5_PdS7_NS0_8identityIdEEEE10hipError_tT2_T3_mT4_P12ihipStream_tbEUlT_E_NS1_11comp_targetILNS1_3genE0ELNS1_11target_archE4294967295ELNS1_3gpuE0ELNS1_3repE0EEENS1_30default_config_static_selectorELNS0_4arch9wavefront6targetE1EEEvT1_
	.globl	_ZN7rocprim17ROCPRIM_400000_NS6detail17trampoline_kernelINS0_14default_configENS1_25transform_config_selectorIdLb1EEEZNS1_14transform_implILb1ES3_S5_PdS7_NS0_8identityIdEEEE10hipError_tT2_T3_mT4_P12ihipStream_tbEUlT_E_NS1_11comp_targetILNS1_3genE0ELNS1_11target_archE4294967295ELNS1_3gpuE0ELNS1_3repE0EEENS1_30default_config_static_selectorELNS0_4arch9wavefront6targetE1EEEvT1_
	.p2align	8
	.type	_ZN7rocprim17ROCPRIM_400000_NS6detail17trampoline_kernelINS0_14default_configENS1_25transform_config_selectorIdLb1EEEZNS1_14transform_implILb1ES3_S5_PdS7_NS0_8identityIdEEEE10hipError_tT2_T3_mT4_P12ihipStream_tbEUlT_E_NS1_11comp_targetILNS1_3genE0ELNS1_11target_archE4294967295ELNS1_3gpuE0ELNS1_3repE0EEENS1_30default_config_static_selectorELNS0_4arch9wavefront6targetE1EEEvT1_,@function
_ZN7rocprim17ROCPRIM_400000_NS6detail17trampoline_kernelINS0_14default_configENS1_25transform_config_selectorIdLb1EEEZNS1_14transform_implILb1ES3_S5_PdS7_NS0_8identityIdEEEE10hipError_tT2_T3_mT4_P12ihipStream_tbEUlT_E_NS1_11comp_targetILNS1_3genE0ELNS1_11target_archE4294967295ELNS1_3gpuE0ELNS1_3repE0EEENS1_30default_config_static_selectorELNS0_4arch9wavefront6targetE1EEEvT1_: ; @_ZN7rocprim17ROCPRIM_400000_NS6detail17trampoline_kernelINS0_14default_configENS1_25transform_config_selectorIdLb1EEEZNS1_14transform_implILb1ES3_S5_PdS7_NS0_8identityIdEEEE10hipError_tT2_T3_mT4_P12ihipStream_tbEUlT_E_NS1_11comp_targetILNS1_3genE0ELNS1_11target_archE4294967295ELNS1_3gpuE0ELNS1_3repE0EEENS1_30default_config_static_selectorELNS0_4arch9wavefront6targetE1EEEvT1_
; %bb.0:
	.section	.rodata,"a",@progbits
	.p2align	6, 0x0
	.amdhsa_kernel _ZN7rocprim17ROCPRIM_400000_NS6detail17trampoline_kernelINS0_14default_configENS1_25transform_config_selectorIdLb1EEEZNS1_14transform_implILb1ES3_S5_PdS7_NS0_8identityIdEEEE10hipError_tT2_T3_mT4_P12ihipStream_tbEUlT_E_NS1_11comp_targetILNS1_3genE0ELNS1_11target_archE4294967295ELNS1_3gpuE0ELNS1_3repE0EEENS1_30default_config_static_selectorELNS0_4arch9wavefront6targetE1EEEvT1_
		.amdhsa_group_segment_fixed_size 0
		.amdhsa_private_segment_fixed_size 0
		.amdhsa_kernarg_size 40
		.amdhsa_user_sgpr_count 6
		.amdhsa_user_sgpr_private_segment_buffer 1
		.amdhsa_user_sgpr_dispatch_ptr 0
		.amdhsa_user_sgpr_queue_ptr 0
		.amdhsa_user_sgpr_kernarg_segment_ptr 1
		.amdhsa_user_sgpr_dispatch_id 0
		.amdhsa_user_sgpr_flat_scratch_init 0
		.amdhsa_user_sgpr_kernarg_preload_length 0
		.amdhsa_user_sgpr_kernarg_preload_offset 0
		.amdhsa_user_sgpr_private_segment_size 0
		.amdhsa_uses_dynamic_stack 0
		.amdhsa_system_sgpr_private_segment_wavefront_offset 0
		.amdhsa_system_sgpr_workgroup_id_x 1
		.amdhsa_system_sgpr_workgroup_id_y 0
		.amdhsa_system_sgpr_workgroup_id_z 0
		.amdhsa_system_sgpr_workgroup_info 0
		.amdhsa_system_vgpr_workitem_id 0
		.amdhsa_next_free_vgpr 1
		.amdhsa_next_free_sgpr 0
		.amdhsa_accum_offset 4
		.amdhsa_reserve_vcc 0
		.amdhsa_reserve_flat_scratch 0
		.amdhsa_float_round_mode_32 0
		.amdhsa_float_round_mode_16_64 0
		.amdhsa_float_denorm_mode_32 3
		.amdhsa_float_denorm_mode_16_64 3
		.amdhsa_dx10_clamp 1
		.amdhsa_ieee_mode 1
		.amdhsa_fp16_overflow 0
		.amdhsa_tg_split 0
		.amdhsa_exception_fp_ieee_invalid_op 0
		.amdhsa_exception_fp_denorm_src 0
		.amdhsa_exception_fp_ieee_div_zero 0
		.amdhsa_exception_fp_ieee_overflow 0
		.amdhsa_exception_fp_ieee_underflow 0
		.amdhsa_exception_fp_ieee_inexact 0
		.amdhsa_exception_int_div_zero 0
	.end_amdhsa_kernel
	.section	.text._ZN7rocprim17ROCPRIM_400000_NS6detail17trampoline_kernelINS0_14default_configENS1_25transform_config_selectorIdLb1EEEZNS1_14transform_implILb1ES3_S5_PdS7_NS0_8identityIdEEEE10hipError_tT2_T3_mT4_P12ihipStream_tbEUlT_E_NS1_11comp_targetILNS1_3genE0ELNS1_11target_archE4294967295ELNS1_3gpuE0ELNS1_3repE0EEENS1_30default_config_static_selectorELNS0_4arch9wavefront6targetE1EEEvT1_,"axG",@progbits,_ZN7rocprim17ROCPRIM_400000_NS6detail17trampoline_kernelINS0_14default_configENS1_25transform_config_selectorIdLb1EEEZNS1_14transform_implILb1ES3_S5_PdS7_NS0_8identityIdEEEE10hipError_tT2_T3_mT4_P12ihipStream_tbEUlT_E_NS1_11comp_targetILNS1_3genE0ELNS1_11target_archE4294967295ELNS1_3gpuE0ELNS1_3repE0EEENS1_30default_config_static_selectorELNS0_4arch9wavefront6targetE1EEEvT1_,comdat
.Lfunc_end1590:
	.size	_ZN7rocprim17ROCPRIM_400000_NS6detail17trampoline_kernelINS0_14default_configENS1_25transform_config_selectorIdLb1EEEZNS1_14transform_implILb1ES3_S5_PdS7_NS0_8identityIdEEEE10hipError_tT2_T3_mT4_P12ihipStream_tbEUlT_E_NS1_11comp_targetILNS1_3genE0ELNS1_11target_archE4294967295ELNS1_3gpuE0ELNS1_3repE0EEENS1_30default_config_static_selectorELNS0_4arch9wavefront6targetE1EEEvT1_, .Lfunc_end1590-_ZN7rocprim17ROCPRIM_400000_NS6detail17trampoline_kernelINS0_14default_configENS1_25transform_config_selectorIdLb1EEEZNS1_14transform_implILb1ES3_S5_PdS7_NS0_8identityIdEEEE10hipError_tT2_T3_mT4_P12ihipStream_tbEUlT_E_NS1_11comp_targetILNS1_3genE0ELNS1_11target_archE4294967295ELNS1_3gpuE0ELNS1_3repE0EEENS1_30default_config_static_selectorELNS0_4arch9wavefront6targetE1EEEvT1_
                                        ; -- End function
	.section	.AMDGPU.csdata,"",@progbits
; Kernel info:
; codeLenInByte = 0
; NumSgprs: 4
; NumVgprs: 0
; NumAgprs: 0
; TotalNumVgprs: 0
; ScratchSize: 0
; MemoryBound: 0
; FloatMode: 240
; IeeeMode: 1
; LDSByteSize: 0 bytes/workgroup (compile time only)
; SGPRBlocks: 0
; VGPRBlocks: 0
; NumSGPRsForWavesPerEU: 4
; NumVGPRsForWavesPerEU: 1
; AccumOffset: 4
; Occupancy: 8
; WaveLimiterHint : 0
; COMPUTE_PGM_RSRC2:SCRATCH_EN: 0
; COMPUTE_PGM_RSRC2:USER_SGPR: 6
; COMPUTE_PGM_RSRC2:TRAP_HANDLER: 0
; COMPUTE_PGM_RSRC2:TGID_X_EN: 1
; COMPUTE_PGM_RSRC2:TGID_Y_EN: 0
; COMPUTE_PGM_RSRC2:TGID_Z_EN: 0
; COMPUTE_PGM_RSRC2:TIDIG_COMP_CNT: 0
; COMPUTE_PGM_RSRC3_GFX90A:ACCUM_OFFSET: 0
; COMPUTE_PGM_RSRC3_GFX90A:TG_SPLIT: 0
	.section	.text._ZN7rocprim17ROCPRIM_400000_NS6detail17trampoline_kernelINS0_14default_configENS1_25transform_config_selectorIdLb1EEEZNS1_14transform_implILb1ES3_S5_PdS7_NS0_8identityIdEEEE10hipError_tT2_T3_mT4_P12ihipStream_tbEUlT_E_NS1_11comp_targetILNS1_3genE10ELNS1_11target_archE1201ELNS1_3gpuE5ELNS1_3repE0EEENS1_30default_config_static_selectorELNS0_4arch9wavefront6targetE1EEEvT1_,"axG",@progbits,_ZN7rocprim17ROCPRIM_400000_NS6detail17trampoline_kernelINS0_14default_configENS1_25transform_config_selectorIdLb1EEEZNS1_14transform_implILb1ES3_S5_PdS7_NS0_8identityIdEEEE10hipError_tT2_T3_mT4_P12ihipStream_tbEUlT_E_NS1_11comp_targetILNS1_3genE10ELNS1_11target_archE1201ELNS1_3gpuE5ELNS1_3repE0EEENS1_30default_config_static_selectorELNS0_4arch9wavefront6targetE1EEEvT1_,comdat
	.protected	_ZN7rocprim17ROCPRIM_400000_NS6detail17trampoline_kernelINS0_14default_configENS1_25transform_config_selectorIdLb1EEEZNS1_14transform_implILb1ES3_S5_PdS7_NS0_8identityIdEEEE10hipError_tT2_T3_mT4_P12ihipStream_tbEUlT_E_NS1_11comp_targetILNS1_3genE10ELNS1_11target_archE1201ELNS1_3gpuE5ELNS1_3repE0EEENS1_30default_config_static_selectorELNS0_4arch9wavefront6targetE1EEEvT1_ ; -- Begin function _ZN7rocprim17ROCPRIM_400000_NS6detail17trampoline_kernelINS0_14default_configENS1_25transform_config_selectorIdLb1EEEZNS1_14transform_implILb1ES3_S5_PdS7_NS0_8identityIdEEEE10hipError_tT2_T3_mT4_P12ihipStream_tbEUlT_E_NS1_11comp_targetILNS1_3genE10ELNS1_11target_archE1201ELNS1_3gpuE5ELNS1_3repE0EEENS1_30default_config_static_selectorELNS0_4arch9wavefront6targetE1EEEvT1_
	.globl	_ZN7rocprim17ROCPRIM_400000_NS6detail17trampoline_kernelINS0_14default_configENS1_25transform_config_selectorIdLb1EEEZNS1_14transform_implILb1ES3_S5_PdS7_NS0_8identityIdEEEE10hipError_tT2_T3_mT4_P12ihipStream_tbEUlT_E_NS1_11comp_targetILNS1_3genE10ELNS1_11target_archE1201ELNS1_3gpuE5ELNS1_3repE0EEENS1_30default_config_static_selectorELNS0_4arch9wavefront6targetE1EEEvT1_
	.p2align	8
	.type	_ZN7rocprim17ROCPRIM_400000_NS6detail17trampoline_kernelINS0_14default_configENS1_25transform_config_selectorIdLb1EEEZNS1_14transform_implILb1ES3_S5_PdS7_NS0_8identityIdEEEE10hipError_tT2_T3_mT4_P12ihipStream_tbEUlT_E_NS1_11comp_targetILNS1_3genE10ELNS1_11target_archE1201ELNS1_3gpuE5ELNS1_3repE0EEENS1_30default_config_static_selectorELNS0_4arch9wavefront6targetE1EEEvT1_,@function
_ZN7rocprim17ROCPRIM_400000_NS6detail17trampoline_kernelINS0_14default_configENS1_25transform_config_selectorIdLb1EEEZNS1_14transform_implILb1ES3_S5_PdS7_NS0_8identityIdEEEE10hipError_tT2_T3_mT4_P12ihipStream_tbEUlT_E_NS1_11comp_targetILNS1_3genE10ELNS1_11target_archE1201ELNS1_3gpuE5ELNS1_3repE0EEENS1_30default_config_static_selectorELNS0_4arch9wavefront6targetE1EEEvT1_: ; @_ZN7rocprim17ROCPRIM_400000_NS6detail17trampoline_kernelINS0_14default_configENS1_25transform_config_selectorIdLb1EEEZNS1_14transform_implILb1ES3_S5_PdS7_NS0_8identityIdEEEE10hipError_tT2_T3_mT4_P12ihipStream_tbEUlT_E_NS1_11comp_targetILNS1_3genE10ELNS1_11target_archE1201ELNS1_3gpuE5ELNS1_3repE0EEENS1_30default_config_static_selectorELNS0_4arch9wavefront6targetE1EEEvT1_
; %bb.0:
	.section	.rodata,"a",@progbits
	.p2align	6, 0x0
	.amdhsa_kernel _ZN7rocprim17ROCPRIM_400000_NS6detail17trampoline_kernelINS0_14default_configENS1_25transform_config_selectorIdLb1EEEZNS1_14transform_implILb1ES3_S5_PdS7_NS0_8identityIdEEEE10hipError_tT2_T3_mT4_P12ihipStream_tbEUlT_E_NS1_11comp_targetILNS1_3genE10ELNS1_11target_archE1201ELNS1_3gpuE5ELNS1_3repE0EEENS1_30default_config_static_selectorELNS0_4arch9wavefront6targetE1EEEvT1_
		.amdhsa_group_segment_fixed_size 0
		.amdhsa_private_segment_fixed_size 0
		.amdhsa_kernarg_size 40
		.amdhsa_user_sgpr_count 6
		.amdhsa_user_sgpr_private_segment_buffer 1
		.amdhsa_user_sgpr_dispatch_ptr 0
		.amdhsa_user_sgpr_queue_ptr 0
		.amdhsa_user_sgpr_kernarg_segment_ptr 1
		.amdhsa_user_sgpr_dispatch_id 0
		.amdhsa_user_sgpr_flat_scratch_init 0
		.amdhsa_user_sgpr_kernarg_preload_length 0
		.amdhsa_user_sgpr_kernarg_preload_offset 0
		.amdhsa_user_sgpr_private_segment_size 0
		.amdhsa_uses_dynamic_stack 0
		.amdhsa_system_sgpr_private_segment_wavefront_offset 0
		.amdhsa_system_sgpr_workgroup_id_x 1
		.amdhsa_system_sgpr_workgroup_id_y 0
		.amdhsa_system_sgpr_workgroup_id_z 0
		.amdhsa_system_sgpr_workgroup_info 0
		.amdhsa_system_vgpr_workitem_id 0
		.amdhsa_next_free_vgpr 1
		.amdhsa_next_free_sgpr 0
		.amdhsa_accum_offset 4
		.amdhsa_reserve_vcc 0
		.amdhsa_reserve_flat_scratch 0
		.amdhsa_float_round_mode_32 0
		.amdhsa_float_round_mode_16_64 0
		.amdhsa_float_denorm_mode_32 3
		.amdhsa_float_denorm_mode_16_64 3
		.amdhsa_dx10_clamp 1
		.amdhsa_ieee_mode 1
		.amdhsa_fp16_overflow 0
		.amdhsa_tg_split 0
		.amdhsa_exception_fp_ieee_invalid_op 0
		.amdhsa_exception_fp_denorm_src 0
		.amdhsa_exception_fp_ieee_div_zero 0
		.amdhsa_exception_fp_ieee_overflow 0
		.amdhsa_exception_fp_ieee_underflow 0
		.amdhsa_exception_fp_ieee_inexact 0
		.amdhsa_exception_int_div_zero 0
	.end_amdhsa_kernel
	.section	.text._ZN7rocprim17ROCPRIM_400000_NS6detail17trampoline_kernelINS0_14default_configENS1_25transform_config_selectorIdLb1EEEZNS1_14transform_implILb1ES3_S5_PdS7_NS0_8identityIdEEEE10hipError_tT2_T3_mT4_P12ihipStream_tbEUlT_E_NS1_11comp_targetILNS1_3genE10ELNS1_11target_archE1201ELNS1_3gpuE5ELNS1_3repE0EEENS1_30default_config_static_selectorELNS0_4arch9wavefront6targetE1EEEvT1_,"axG",@progbits,_ZN7rocprim17ROCPRIM_400000_NS6detail17trampoline_kernelINS0_14default_configENS1_25transform_config_selectorIdLb1EEEZNS1_14transform_implILb1ES3_S5_PdS7_NS0_8identityIdEEEE10hipError_tT2_T3_mT4_P12ihipStream_tbEUlT_E_NS1_11comp_targetILNS1_3genE10ELNS1_11target_archE1201ELNS1_3gpuE5ELNS1_3repE0EEENS1_30default_config_static_selectorELNS0_4arch9wavefront6targetE1EEEvT1_,comdat
.Lfunc_end1591:
	.size	_ZN7rocprim17ROCPRIM_400000_NS6detail17trampoline_kernelINS0_14default_configENS1_25transform_config_selectorIdLb1EEEZNS1_14transform_implILb1ES3_S5_PdS7_NS0_8identityIdEEEE10hipError_tT2_T3_mT4_P12ihipStream_tbEUlT_E_NS1_11comp_targetILNS1_3genE10ELNS1_11target_archE1201ELNS1_3gpuE5ELNS1_3repE0EEENS1_30default_config_static_selectorELNS0_4arch9wavefront6targetE1EEEvT1_, .Lfunc_end1591-_ZN7rocprim17ROCPRIM_400000_NS6detail17trampoline_kernelINS0_14default_configENS1_25transform_config_selectorIdLb1EEEZNS1_14transform_implILb1ES3_S5_PdS7_NS0_8identityIdEEEE10hipError_tT2_T3_mT4_P12ihipStream_tbEUlT_E_NS1_11comp_targetILNS1_3genE10ELNS1_11target_archE1201ELNS1_3gpuE5ELNS1_3repE0EEENS1_30default_config_static_selectorELNS0_4arch9wavefront6targetE1EEEvT1_
                                        ; -- End function
	.section	.AMDGPU.csdata,"",@progbits
; Kernel info:
; codeLenInByte = 0
; NumSgprs: 4
; NumVgprs: 0
; NumAgprs: 0
; TotalNumVgprs: 0
; ScratchSize: 0
; MemoryBound: 0
; FloatMode: 240
; IeeeMode: 1
; LDSByteSize: 0 bytes/workgroup (compile time only)
; SGPRBlocks: 0
; VGPRBlocks: 0
; NumSGPRsForWavesPerEU: 4
; NumVGPRsForWavesPerEU: 1
; AccumOffset: 4
; Occupancy: 8
; WaveLimiterHint : 0
; COMPUTE_PGM_RSRC2:SCRATCH_EN: 0
; COMPUTE_PGM_RSRC2:USER_SGPR: 6
; COMPUTE_PGM_RSRC2:TRAP_HANDLER: 0
; COMPUTE_PGM_RSRC2:TGID_X_EN: 1
; COMPUTE_PGM_RSRC2:TGID_Y_EN: 0
; COMPUTE_PGM_RSRC2:TGID_Z_EN: 0
; COMPUTE_PGM_RSRC2:TIDIG_COMP_CNT: 0
; COMPUTE_PGM_RSRC3_GFX90A:ACCUM_OFFSET: 0
; COMPUTE_PGM_RSRC3_GFX90A:TG_SPLIT: 0
	.section	.text._ZN7rocprim17ROCPRIM_400000_NS6detail17trampoline_kernelINS0_14default_configENS1_25transform_config_selectorIdLb1EEEZNS1_14transform_implILb1ES3_S5_PdS7_NS0_8identityIdEEEE10hipError_tT2_T3_mT4_P12ihipStream_tbEUlT_E_NS1_11comp_targetILNS1_3genE5ELNS1_11target_archE942ELNS1_3gpuE9ELNS1_3repE0EEENS1_30default_config_static_selectorELNS0_4arch9wavefront6targetE1EEEvT1_,"axG",@progbits,_ZN7rocprim17ROCPRIM_400000_NS6detail17trampoline_kernelINS0_14default_configENS1_25transform_config_selectorIdLb1EEEZNS1_14transform_implILb1ES3_S5_PdS7_NS0_8identityIdEEEE10hipError_tT2_T3_mT4_P12ihipStream_tbEUlT_E_NS1_11comp_targetILNS1_3genE5ELNS1_11target_archE942ELNS1_3gpuE9ELNS1_3repE0EEENS1_30default_config_static_selectorELNS0_4arch9wavefront6targetE1EEEvT1_,comdat
	.protected	_ZN7rocprim17ROCPRIM_400000_NS6detail17trampoline_kernelINS0_14default_configENS1_25transform_config_selectorIdLb1EEEZNS1_14transform_implILb1ES3_S5_PdS7_NS0_8identityIdEEEE10hipError_tT2_T3_mT4_P12ihipStream_tbEUlT_E_NS1_11comp_targetILNS1_3genE5ELNS1_11target_archE942ELNS1_3gpuE9ELNS1_3repE0EEENS1_30default_config_static_selectorELNS0_4arch9wavefront6targetE1EEEvT1_ ; -- Begin function _ZN7rocprim17ROCPRIM_400000_NS6detail17trampoline_kernelINS0_14default_configENS1_25transform_config_selectorIdLb1EEEZNS1_14transform_implILb1ES3_S5_PdS7_NS0_8identityIdEEEE10hipError_tT2_T3_mT4_P12ihipStream_tbEUlT_E_NS1_11comp_targetILNS1_3genE5ELNS1_11target_archE942ELNS1_3gpuE9ELNS1_3repE0EEENS1_30default_config_static_selectorELNS0_4arch9wavefront6targetE1EEEvT1_
	.globl	_ZN7rocprim17ROCPRIM_400000_NS6detail17trampoline_kernelINS0_14default_configENS1_25transform_config_selectorIdLb1EEEZNS1_14transform_implILb1ES3_S5_PdS7_NS0_8identityIdEEEE10hipError_tT2_T3_mT4_P12ihipStream_tbEUlT_E_NS1_11comp_targetILNS1_3genE5ELNS1_11target_archE942ELNS1_3gpuE9ELNS1_3repE0EEENS1_30default_config_static_selectorELNS0_4arch9wavefront6targetE1EEEvT1_
	.p2align	8
	.type	_ZN7rocprim17ROCPRIM_400000_NS6detail17trampoline_kernelINS0_14default_configENS1_25transform_config_selectorIdLb1EEEZNS1_14transform_implILb1ES3_S5_PdS7_NS0_8identityIdEEEE10hipError_tT2_T3_mT4_P12ihipStream_tbEUlT_E_NS1_11comp_targetILNS1_3genE5ELNS1_11target_archE942ELNS1_3gpuE9ELNS1_3repE0EEENS1_30default_config_static_selectorELNS0_4arch9wavefront6targetE1EEEvT1_,@function
_ZN7rocprim17ROCPRIM_400000_NS6detail17trampoline_kernelINS0_14default_configENS1_25transform_config_selectorIdLb1EEEZNS1_14transform_implILb1ES3_S5_PdS7_NS0_8identityIdEEEE10hipError_tT2_T3_mT4_P12ihipStream_tbEUlT_E_NS1_11comp_targetILNS1_3genE5ELNS1_11target_archE942ELNS1_3gpuE9ELNS1_3repE0EEENS1_30default_config_static_selectorELNS0_4arch9wavefront6targetE1EEEvT1_: ; @_ZN7rocprim17ROCPRIM_400000_NS6detail17trampoline_kernelINS0_14default_configENS1_25transform_config_selectorIdLb1EEEZNS1_14transform_implILb1ES3_S5_PdS7_NS0_8identityIdEEEE10hipError_tT2_T3_mT4_P12ihipStream_tbEUlT_E_NS1_11comp_targetILNS1_3genE5ELNS1_11target_archE942ELNS1_3gpuE9ELNS1_3repE0EEENS1_30default_config_static_selectorELNS0_4arch9wavefront6targetE1EEEvT1_
; %bb.0:
	.section	.rodata,"a",@progbits
	.p2align	6, 0x0
	.amdhsa_kernel _ZN7rocprim17ROCPRIM_400000_NS6detail17trampoline_kernelINS0_14default_configENS1_25transform_config_selectorIdLb1EEEZNS1_14transform_implILb1ES3_S5_PdS7_NS0_8identityIdEEEE10hipError_tT2_T3_mT4_P12ihipStream_tbEUlT_E_NS1_11comp_targetILNS1_3genE5ELNS1_11target_archE942ELNS1_3gpuE9ELNS1_3repE0EEENS1_30default_config_static_selectorELNS0_4arch9wavefront6targetE1EEEvT1_
		.amdhsa_group_segment_fixed_size 0
		.amdhsa_private_segment_fixed_size 0
		.amdhsa_kernarg_size 40
		.amdhsa_user_sgpr_count 6
		.amdhsa_user_sgpr_private_segment_buffer 1
		.amdhsa_user_sgpr_dispatch_ptr 0
		.amdhsa_user_sgpr_queue_ptr 0
		.amdhsa_user_sgpr_kernarg_segment_ptr 1
		.amdhsa_user_sgpr_dispatch_id 0
		.amdhsa_user_sgpr_flat_scratch_init 0
		.amdhsa_user_sgpr_kernarg_preload_length 0
		.amdhsa_user_sgpr_kernarg_preload_offset 0
		.amdhsa_user_sgpr_private_segment_size 0
		.amdhsa_uses_dynamic_stack 0
		.amdhsa_system_sgpr_private_segment_wavefront_offset 0
		.amdhsa_system_sgpr_workgroup_id_x 1
		.amdhsa_system_sgpr_workgroup_id_y 0
		.amdhsa_system_sgpr_workgroup_id_z 0
		.amdhsa_system_sgpr_workgroup_info 0
		.amdhsa_system_vgpr_workitem_id 0
		.amdhsa_next_free_vgpr 1
		.amdhsa_next_free_sgpr 0
		.amdhsa_accum_offset 4
		.amdhsa_reserve_vcc 0
		.amdhsa_reserve_flat_scratch 0
		.amdhsa_float_round_mode_32 0
		.amdhsa_float_round_mode_16_64 0
		.amdhsa_float_denorm_mode_32 3
		.amdhsa_float_denorm_mode_16_64 3
		.amdhsa_dx10_clamp 1
		.amdhsa_ieee_mode 1
		.amdhsa_fp16_overflow 0
		.amdhsa_tg_split 0
		.amdhsa_exception_fp_ieee_invalid_op 0
		.amdhsa_exception_fp_denorm_src 0
		.amdhsa_exception_fp_ieee_div_zero 0
		.amdhsa_exception_fp_ieee_overflow 0
		.amdhsa_exception_fp_ieee_underflow 0
		.amdhsa_exception_fp_ieee_inexact 0
		.amdhsa_exception_int_div_zero 0
	.end_amdhsa_kernel
	.section	.text._ZN7rocprim17ROCPRIM_400000_NS6detail17trampoline_kernelINS0_14default_configENS1_25transform_config_selectorIdLb1EEEZNS1_14transform_implILb1ES3_S5_PdS7_NS0_8identityIdEEEE10hipError_tT2_T3_mT4_P12ihipStream_tbEUlT_E_NS1_11comp_targetILNS1_3genE5ELNS1_11target_archE942ELNS1_3gpuE9ELNS1_3repE0EEENS1_30default_config_static_selectorELNS0_4arch9wavefront6targetE1EEEvT1_,"axG",@progbits,_ZN7rocprim17ROCPRIM_400000_NS6detail17trampoline_kernelINS0_14default_configENS1_25transform_config_selectorIdLb1EEEZNS1_14transform_implILb1ES3_S5_PdS7_NS0_8identityIdEEEE10hipError_tT2_T3_mT4_P12ihipStream_tbEUlT_E_NS1_11comp_targetILNS1_3genE5ELNS1_11target_archE942ELNS1_3gpuE9ELNS1_3repE0EEENS1_30default_config_static_selectorELNS0_4arch9wavefront6targetE1EEEvT1_,comdat
.Lfunc_end1592:
	.size	_ZN7rocprim17ROCPRIM_400000_NS6detail17trampoline_kernelINS0_14default_configENS1_25transform_config_selectorIdLb1EEEZNS1_14transform_implILb1ES3_S5_PdS7_NS0_8identityIdEEEE10hipError_tT2_T3_mT4_P12ihipStream_tbEUlT_E_NS1_11comp_targetILNS1_3genE5ELNS1_11target_archE942ELNS1_3gpuE9ELNS1_3repE0EEENS1_30default_config_static_selectorELNS0_4arch9wavefront6targetE1EEEvT1_, .Lfunc_end1592-_ZN7rocprim17ROCPRIM_400000_NS6detail17trampoline_kernelINS0_14default_configENS1_25transform_config_selectorIdLb1EEEZNS1_14transform_implILb1ES3_S5_PdS7_NS0_8identityIdEEEE10hipError_tT2_T3_mT4_P12ihipStream_tbEUlT_E_NS1_11comp_targetILNS1_3genE5ELNS1_11target_archE942ELNS1_3gpuE9ELNS1_3repE0EEENS1_30default_config_static_selectorELNS0_4arch9wavefront6targetE1EEEvT1_
                                        ; -- End function
	.section	.AMDGPU.csdata,"",@progbits
; Kernel info:
; codeLenInByte = 0
; NumSgprs: 4
; NumVgprs: 0
; NumAgprs: 0
; TotalNumVgprs: 0
; ScratchSize: 0
; MemoryBound: 0
; FloatMode: 240
; IeeeMode: 1
; LDSByteSize: 0 bytes/workgroup (compile time only)
; SGPRBlocks: 0
; VGPRBlocks: 0
; NumSGPRsForWavesPerEU: 4
; NumVGPRsForWavesPerEU: 1
; AccumOffset: 4
; Occupancy: 8
; WaveLimiterHint : 0
; COMPUTE_PGM_RSRC2:SCRATCH_EN: 0
; COMPUTE_PGM_RSRC2:USER_SGPR: 6
; COMPUTE_PGM_RSRC2:TRAP_HANDLER: 0
; COMPUTE_PGM_RSRC2:TGID_X_EN: 1
; COMPUTE_PGM_RSRC2:TGID_Y_EN: 0
; COMPUTE_PGM_RSRC2:TGID_Z_EN: 0
; COMPUTE_PGM_RSRC2:TIDIG_COMP_CNT: 0
; COMPUTE_PGM_RSRC3_GFX90A:ACCUM_OFFSET: 0
; COMPUTE_PGM_RSRC3_GFX90A:TG_SPLIT: 0
	.section	.text._ZN7rocprim17ROCPRIM_400000_NS6detail17trampoline_kernelINS0_14default_configENS1_25transform_config_selectorIdLb1EEEZNS1_14transform_implILb1ES3_S5_PdS7_NS0_8identityIdEEEE10hipError_tT2_T3_mT4_P12ihipStream_tbEUlT_E_NS1_11comp_targetILNS1_3genE4ELNS1_11target_archE910ELNS1_3gpuE8ELNS1_3repE0EEENS1_30default_config_static_selectorELNS0_4arch9wavefront6targetE1EEEvT1_,"axG",@progbits,_ZN7rocprim17ROCPRIM_400000_NS6detail17trampoline_kernelINS0_14default_configENS1_25transform_config_selectorIdLb1EEEZNS1_14transform_implILb1ES3_S5_PdS7_NS0_8identityIdEEEE10hipError_tT2_T3_mT4_P12ihipStream_tbEUlT_E_NS1_11comp_targetILNS1_3genE4ELNS1_11target_archE910ELNS1_3gpuE8ELNS1_3repE0EEENS1_30default_config_static_selectorELNS0_4arch9wavefront6targetE1EEEvT1_,comdat
	.protected	_ZN7rocprim17ROCPRIM_400000_NS6detail17trampoline_kernelINS0_14default_configENS1_25transform_config_selectorIdLb1EEEZNS1_14transform_implILb1ES3_S5_PdS7_NS0_8identityIdEEEE10hipError_tT2_T3_mT4_P12ihipStream_tbEUlT_E_NS1_11comp_targetILNS1_3genE4ELNS1_11target_archE910ELNS1_3gpuE8ELNS1_3repE0EEENS1_30default_config_static_selectorELNS0_4arch9wavefront6targetE1EEEvT1_ ; -- Begin function _ZN7rocprim17ROCPRIM_400000_NS6detail17trampoline_kernelINS0_14default_configENS1_25transform_config_selectorIdLb1EEEZNS1_14transform_implILb1ES3_S5_PdS7_NS0_8identityIdEEEE10hipError_tT2_T3_mT4_P12ihipStream_tbEUlT_E_NS1_11comp_targetILNS1_3genE4ELNS1_11target_archE910ELNS1_3gpuE8ELNS1_3repE0EEENS1_30default_config_static_selectorELNS0_4arch9wavefront6targetE1EEEvT1_
	.globl	_ZN7rocprim17ROCPRIM_400000_NS6detail17trampoline_kernelINS0_14default_configENS1_25transform_config_selectorIdLb1EEEZNS1_14transform_implILb1ES3_S5_PdS7_NS0_8identityIdEEEE10hipError_tT2_T3_mT4_P12ihipStream_tbEUlT_E_NS1_11comp_targetILNS1_3genE4ELNS1_11target_archE910ELNS1_3gpuE8ELNS1_3repE0EEENS1_30default_config_static_selectorELNS0_4arch9wavefront6targetE1EEEvT1_
	.p2align	8
	.type	_ZN7rocprim17ROCPRIM_400000_NS6detail17trampoline_kernelINS0_14default_configENS1_25transform_config_selectorIdLb1EEEZNS1_14transform_implILb1ES3_S5_PdS7_NS0_8identityIdEEEE10hipError_tT2_T3_mT4_P12ihipStream_tbEUlT_E_NS1_11comp_targetILNS1_3genE4ELNS1_11target_archE910ELNS1_3gpuE8ELNS1_3repE0EEENS1_30default_config_static_selectorELNS0_4arch9wavefront6targetE1EEEvT1_,@function
_ZN7rocprim17ROCPRIM_400000_NS6detail17trampoline_kernelINS0_14default_configENS1_25transform_config_selectorIdLb1EEEZNS1_14transform_implILb1ES3_S5_PdS7_NS0_8identityIdEEEE10hipError_tT2_T3_mT4_P12ihipStream_tbEUlT_E_NS1_11comp_targetILNS1_3genE4ELNS1_11target_archE910ELNS1_3gpuE8ELNS1_3repE0EEENS1_30default_config_static_selectorELNS0_4arch9wavefront6targetE1EEEvT1_: ; @_ZN7rocprim17ROCPRIM_400000_NS6detail17trampoline_kernelINS0_14default_configENS1_25transform_config_selectorIdLb1EEEZNS1_14transform_implILb1ES3_S5_PdS7_NS0_8identityIdEEEE10hipError_tT2_T3_mT4_P12ihipStream_tbEUlT_E_NS1_11comp_targetILNS1_3genE4ELNS1_11target_archE910ELNS1_3gpuE8ELNS1_3repE0EEENS1_30default_config_static_selectorELNS0_4arch9wavefront6targetE1EEEvT1_
; %bb.0:
	s_load_dwordx8 s[8:15], s[4:5], 0x0
	s_load_dword s2, s[4:5], 0x28
	s_waitcnt lgkmcnt(0)
	s_lshl_b64 s[0:1], s[10:11], 3
	s_add_u32 s4, s8, s0
	s_addc_u32 s5, s9, s1
	s_add_u32 s8, s14, s0
	s_addc_u32 s9, s15, s1
	s_lshl_b32 s0, s6, 11
	s_mov_b32 s1, 0
	s_add_i32 s7, s2, -1
	s_lshl_b64 s[2:3], s[0:1], 3
	s_add_u32 s4, s4, s2
	s_addc_u32 s5, s5, s3
	s_cmp_lg_u32 s6, s7
	s_mov_b64 s[6:7], -1
	s_cbranch_scc0 .LBB1593_2
; %bb.1:
	v_lshlrev_b32_e32 v1, 4, v0
	global_load_dwordx4 v[2:5], v1, s[4:5]
	s_add_u32 s6, s8, s2
	s_addc_u32 s7, s9, s3
	s_waitcnt vmcnt(0)
	global_store_dwordx4 v1, v[2:5], s[6:7]
	s_mov_b64 s[6:7], 0
.LBB1593_2:
	s_andn2_b64 vcc, exec, s[6:7]
	s_cbranch_vccnz .LBB1593_11
; %bb.3:
	s_sub_i32 s6, s12, s0
	v_cmp_gt_u32_e32 vcc, s6, v0
	v_lshlrev_b32_e32 v1, 3, v0
                                        ; implicit-def: $vgpr2_vgpr3_vgpr4_vgpr5
	s_and_saveexec_b64 s[0:1], vcc
	s_cbranch_execz .LBB1593_5
; %bb.4:
	global_load_dwordx2 v[2:3], v1, s[4:5]
.LBB1593_5:
	s_or_b64 exec, exec, s[0:1]
	v_or_b32_e32 v0, 0x400, v0
	v_cmp_gt_u32_e64 s[0:1], s6, v0
	s_and_saveexec_b64 s[6:7], s[0:1]
	s_cbranch_execz .LBB1593_7
; %bb.6:
	v_lshlrev_b32_e32 v0, 3, v0
	global_load_dwordx2 v[4:5], v0, s[4:5]
.LBB1593_7:
	s_or_b64 exec, exec, s[6:7]
	s_add_u32 s2, s8, s2
	s_addc_u32 s3, s9, s3
	v_mov_b32_e32 v6, s3
	v_add_co_u32_e64 v0, s[2:3], s2, v1
	v_addc_co_u32_e64 v1, s[2:3], 0, v6, s[2:3]
	s_and_saveexec_b64 s[2:3], vcc
	s_cbranch_execz .LBB1593_9
; %bb.8:
	s_waitcnt vmcnt(0)
	global_store_dwordx2 v[0:1], v[2:3], off
.LBB1593_9:
	s_or_b64 exec, exec, s[2:3]
	s_and_saveexec_b64 s[2:3], s[0:1]
	s_cbranch_execz .LBB1593_11
; %bb.10:
	v_add_co_u32_e32 v0, vcc, 0x2000, v0
	v_addc_co_u32_e32 v1, vcc, 0, v1, vcc
	s_waitcnt vmcnt(0)
	global_store_dwordx2 v[0:1], v[4:5], off
.LBB1593_11:
	s_endpgm
	.section	.rodata,"a",@progbits
	.p2align	6, 0x0
	.amdhsa_kernel _ZN7rocprim17ROCPRIM_400000_NS6detail17trampoline_kernelINS0_14default_configENS1_25transform_config_selectorIdLb1EEEZNS1_14transform_implILb1ES3_S5_PdS7_NS0_8identityIdEEEE10hipError_tT2_T3_mT4_P12ihipStream_tbEUlT_E_NS1_11comp_targetILNS1_3genE4ELNS1_11target_archE910ELNS1_3gpuE8ELNS1_3repE0EEENS1_30default_config_static_selectorELNS0_4arch9wavefront6targetE1EEEvT1_
		.amdhsa_group_segment_fixed_size 0
		.amdhsa_private_segment_fixed_size 0
		.amdhsa_kernarg_size 296
		.amdhsa_user_sgpr_count 6
		.amdhsa_user_sgpr_private_segment_buffer 1
		.amdhsa_user_sgpr_dispatch_ptr 0
		.amdhsa_user_sgpr_queue_ptr 0
		.amdhsa_user_sgpr_kernarg_segment_ptr 1
		.amdhsa_user_sgpr_dispatch_id 0
		.amdhsa_user_sgpr_flat_scratch_init 0
		.amdhsa_user_sgpr_kernarg_preload_length 0
		.amdhsa_user_sgpr_kernarg_preload_offset 0
		.amdhsa_user_sgpr_private_segment_size 0
		.amdhsa_uses_dynamic_stack 0
		.amdhsa_system_sgpr_private_segment_wavefront_offset 0
		.amdhsa_system_sgpr_workgroup_id_x 1
		.amdhsa_system_sgpr_workgroup_id_y 0
		.amdhsa_system_sgpr_workgroup_id_z 0
		.amdhsa_system_sgpr_workgroup_info 0
		.amdhsa_system_vgpr_workitem_id 0
		.amdhsa_next_free_vgpr 7
		.amdhsa_next_free_sgpr 16
		.amdhsa_accum_offset 8
		.amdhsa_reserve_vcc 1
		.amdhsa_reserve_flat_scratch 0
		.amdhsa_float_round_mode_32 0
		.amdhsa_float_round_mode_16_64 0
		.amdhsa_float_denorm_mode_32 3
		.amdhsa_float_denorm_mode_16_64 3
		.amdhsa_dx10_clamp 1
		.amdhsa_ieee_mode 1
		.amdhsa_fp16_overflow 0
		.amdhsa_tg_split 0
		.amdhsa_exception_fp_ieee_invalid_op 0
		.amdhsa_exception_fp_denorm_src 0
		.amdhsa_exception_fp_ieee_div_zero 0
		.amdhsa_exception_fp_ieee_overflow 0
		.amdhsa_exception_fp_ieee_underflow 0
		.amdhsa_exception_fp_ieee_inexact 0
		.amdhsa_exception_int_div_zero 0
	.end_amdhsa_kernel
	.section	.text._ZN7rocprim17ROCPRIM_400000_NS6detail17trampoline_kernelINS0_14default_configENS1_25transform_config_selectorIdLb1EEEZNS1_14transform_implILb1ES3_S5_PdS7_NS0_8identityIdEEEE10hipError_tT2_T3_mT4_P12ihipStream_tbEUlT_E_NS1_11comp_targetILNS1_3genE4ELNS1_11target_archE910ELNS1_3gpuE8ELNS1_3repE0EEENS1_30default_config_static_selectorELNS0_4arch9wavefront6targetE1EEEvT1_,"axG",@progbits,_ZN7rocprim17ROCPRIM_400000_NS6detail17trampoline_kernelINS0_14default_configENS1_25transform_config_selectorIdLb1EEEZNS1_14transform_implILb1ES3_S5_PdS7_NS0_8identityIdEEEE10hipError_tT2_T3_mT4_P12ihipStream_tbEUlT_E_NS1_11comp_targetILNS1_3genE4ELNS1_11target_archE910ELNS1_3gpuE8ELNS1_3repE0EEENS1_30default_config_static_selectorELNS0_4arch9wavefront6targetE1EEEvT1_,comdat
.Lfunc_end1593:
	.size	_ZN7rocprim17ROCPRIM_400000_NS6detail17trampoline_kernelINS0_14default_configENS1_25transform_config_selectorIdLb1EEEZNS1_14transform_implILb1ES3_S5_PdS7_NS0_8identityIdEEEE10hipError_tT2_T3_mT4_P12ihipStream_tbEUlT_E_NS1_11comp_targetILNS1_3genE4ELNS1_11target_archE910ELNS1_3gpuE8ELNS1_3repE0EEENS1_30default_config_static_selectorELNS0_4arch9wavefront6targetE1EEEvT1_, .Lfunc_end1593-_ZN7rocprim17ROCPRIM_400000_NS6detail17trampoline_kernelINS0_14default_configENS1_25transform_config_selectorIdLb1EEEZNS1_14transform_implILb1ES3_S5_PdS7_NS0_8identityIdEEEE10hipError_tT2_T3_mT4_P12ihipStream_tbEUlT_E_NS1_11comp_targetILNS1_3genE4ELNS1_11target_archE910ELNS1_3gpuE8ELNS1_3repE0EEENS1_30default_config_static_selectorELNS0_4arch9wavefront6targetE1EEEvT1_
                                        ; -- End function
	.section	.AMDGPU.csdata,"",@progbits
; Kernel info:
; codeLenInByte = 280
; NumSgprs: 20
; NumVgprs: 7
; NumAgprs: 0
; TotalNumVgprs: 7
; ScratchSize: 0
; MemoryBound: 1
; FloatMode: 240
; IeeeMode: 1
; LDSByteSize: 0 bytes/workgroup (compile time only)
; SGPRBlocks: 2
; VGPRBlocks: 0
; NumSGPRsForWavesPerEU: 20
; NumVGPRsForWavesPerEU: 7
; AccumOffset: 8
; Occupancy: 8
; WaveLimiterHint : 0
; COMPUTE_PGM_RSRC2:SCRATCH_EN: 0
; COMPUTE_PGM_RSRC2:USER_SGPR: 6
; COMPUTE_PGM_RSRC2:TRAP_HANDLER: 0
; COMPUTE_PGM_RSRC2:TGID_X_EN: 1
; COMPUTE_PGM_RSRC2:TGID_Y_EN: 0
; COMPUTE_PGM_RSRC2:TGID_Z_EN: 0
; COMPUTE_PGM_RSRC2:TIDIG_COMP_CNT: 0
; COMPUTE_PGM_RSRC3_GFX90A:ACCUM_OFFSET: 1
; COMPUTE_PGM_RSRC3_GFX90A:TG_SPLIT: 0
	.section	.text._ZN7rocprim17ROCPRIM_400000_NS6detail17trampoline_kernelINS0_14default_configENS1_25transform_config_selectorIdLb1EEEZNS1_14transform_implILb1ES3_S5_PdS7_NS0_8identityIdEEEE10hipError_tT2_T3_mT4_P12ihipStream_tbEUlT_E_NS1_11comp_targetILNS1_3genE3ELNS1_11target_archE908ELNS1_3gpuE7ELNS1_3repE0EEENS1_30default_config_static_selectorELNS0_4arch9wavefront6targetE1EEEvT1_,"axG",@progbits,_ZN7rocprim17ROCPRIM_400000_NS6detail17trampoline_kernelINS0_14default_configENS1_25transform_config_selectorIdLb1EEEZNS1_14transform_implILb1ES3_S5_PdS7_NS0_8identityIdEEEE10hipError_tT2_T3_mT4_P12ihipStream_tbEUlT_E_NS1_11comp_targetILNS1_3genE3ELNS1_11target_archE908ELNS1_3gpuE7ELNS1_3repE0EEENS1_30default_config_static_selectorELNS0_4arch9wavefront6targetE1EEEvT1_,comdat
	.protected	_ZN7rocprim17ROCPRIM_400000_NS6detail17trampoline_kernelINS0_14default_configENS1_25transform_config_selectorIdLb1EEEZNS1_14transform_implILb1ES3_S5_PdS7_NS0_8identityIdEEEE10hipError_tT2_T3_mT4_P12ihipStream_tbEUlT_E_NS1_11comp_targetILNS1_3genE3ELNS1_11target_archE908ELNS1_3gpuE7ELNS1_3repE0EEENS1_30default_config_static_selectorELNS0_4arch9wavefront6targetE1EEEvT1_ ; -- Begin function _ZN7rocprim17ROCPRIM_400000_NS6detail17trampoline_kernelINS0_14default_configENS1_25transform_config_selectorIdLb1EEEZNS1_14transform_implILb1ES3_S5_PdS7_NS0_8identityIdEEEE10hipError_tT2_T3_mT4_P12ihipStream_tbEUlT_E_NS1_11comp_targetILNS1_3genE3ELNS1_11target_archE908ELNS1_3gpuE7ELNS1_3repE0EEENS1_30default_config_static_selectorELNS0_4arch9wavefront6targetE1EEEvT1_
	.globl	_ZN7rocprim17ROCPRIM_400000_NS6detail17trampoline_kernelINS0_14default_configENS1_25transform_config_selectorIdLb1EEEZNS1_14transform_implILb1ES3_S5_PdS7_NS0_8identityIdEEEE10hipError_tT2_T3_mT4_P12ihipStream_tbEUlT_E_NS1_11comp_targetILNS1_3genE3ELNS1_11target_archE908ELNS1_3gpuE7ELNS1_3repE0EEENS1_30default_config_static_selectorELNS0_4arch9wavefront6targetE1EEEvT1_
	.p2align	8
	.type	_ZN7rocprim17ROCPRIM_400000_NS6detail17trampoline_kernelINS0_14default_configENS1_25transform_config_selectorIdLb1EEEZNS1_14transform_implILb1ES3_S5_PdS7_NS0_8identityIdEEEE10hipError_tT2_T3_mT4_P12ihipStream_tbEUlT_E_NS1_11comp_targetILNS1_3genE3ELNS1_11target_archE908ELNS1_3gpuE7ELNS1_3repE0EEENS1_30default_config_static_selectorELNS0_4arch9wavefront6targetE1EEEvT1_,@function
_ZN7rocprim17ROCPRIM_400000_NS6detail17trampoline_kernelINS0_14default_configENS1_25transform_config_selectorIdLb1EEEZNS1_14transform_implILb1ES3_S5_PdS7_NS0_8identityIdEEEE10hipError_tT2_T3_mT4_P12ihipStream_tbEUlT_E_NS1_11comp_targetILNS1_3genE3ELNS1_11target_archE908ELNS1_3gpuE7ELNS1_3repE0EEENS1_30default_config_static_selectorELNS0_4arch9wavefront6targetE1EEEvT1_: ; @_ZN7rocprim17ROCPRIM_400000_NS6detail17trampoline_kernelINS0_14default_configENS1_25transform_config_selectorIdLb1EEEZNS1_14transform_implILb1ES3_S5_PdS7_NS0_8identityIdEEEE10hipError_tT2_T3_mT4_P12ihipStream_tbEUlT_E_NS1_11comp_targetILNS1_3genE3ELNS1_11target_archE908ELNS1_3gpuE7ELNS1_3repE0EEENS1_30default_config_static_selectorELNS0_4arch9wavefront6targetE1EEEvT1_
; %bb.0:
	.section	.rodata,"a",@progbits
	.p2align	6, 0x0
	.amdhsa_kernel _ZN7rocprim17ROCPRIM_400000_NS6detail17trampoline_kernelINS0_14default_configENS1_25transform_config_selectorIdLb1EEEZNS1_14transform_implILb1ES3_S5_PdS7_NS0_8identityIdEEEE10hipError_tT2_T3_mT4_P12ihipStream_tbEUlT_E_NS1_11comp_targetILNS1_3genE3ELNS1_11target_archE908ELNS1_3gpuE7ELNS1_3repE0EEENS1_30default_config_static_selectorELNS0_4arch9wavefront6targetE1EEEvT1_
		.amdhsa_group_segment_fixed_size 0
		.amdhsa_private_segment_fixed_size 0
		.amdhsa_kernarg_size 40
		.amdhsa_user_sgpr_count 6
		.amdhsa_user_sgpr_private_segment_buffer 1
		.amdhsa_user_sgpr_dispatch_ptr 0
		.amdhsa_user_sgpr_queue_ptr 0
		.amdhsa_user_sgpr_kernarg_segment_ptr 1
		.amdhsa_user_sgpr_dispatch_id 0
		.amdhsa_user_sgpr_flat_scratch_init 0
		.amdhsa_user_sgpr_kernarg_preload_length 0
		.amdhsa_user_sgpr_kernarg_preload_offset 0
		.amdhsa_user_sgpr_private_segment_size 0
		.amdhsa_uses_dynamic_stack 0
		.amdhsa_system_sgpr_private_segment_wavefront_offset 0
		.amdhsa_system_sgpr_workgroup_id_x 1
		.amdhsa_system_sgpr_workgroup_id_y 0
		.amdhsa_system_sgpr_workgroup_id_z 0
		.amdhsa_system_sgpr_workgroup_info 0
		.amdhsa_system_vgpr_workitem_id 0
		.amdhsa_next_free_vgpr 1
		.amdhsa_next_free_sgpr 0
		.amdhsa_accum_offset 4
		.amdhsa_reserve_vcc 0
		.amdhsa_reserve_flat_scratch 0
		.amdhsa_float_round_mode_32 0
		.amdhsa_float_round_mode_16_64 0
		.amdhsa_float_denorm_mode_32 3
		.amdhsa_float_denorm_mode_16_64 3
		.amdhsa_dx10_clamp 1
		.amdhsa_ieee_mode 1
		.amdhsa_fp16_overflow 0
		.amdhsa_tg_split 0
		.amdhsa_exception_fp_ieee_invalid_op 0
		.amdhsa_exception_fp_denorm_src 0
		.amdhsa_exception_fp_ieee_div_zero 0
		.amdhsa_exception_fp_ieee_overflow 0
		.amdhsa_exception_fp_ieee_underflow 0
		.amdhsa_exception_fp_ieee_inexact 0
		.amdhsa_exception_int_div_zero 0
	.end_amdhsa_kernel
	.section	.text._ZN7rocprim17ROCPRIM_400000_NS6detail17trampoline_kernelINS0_14default_configENS1_25transform_config_selectorIdLb1EEEZNS1_14transform_implILb1ES3_S5_PdS7_NS0_8identityIdEEEE10hipError_tT2_T3_mT4_P12ihipStream_tbEUlT_E_NS1_11comp_targetILNS1_3genE3ELNS1_11target_archE908ELNS1_3gpuE7ELNS1_3repE0EEENS1_30default_config_static_selectorELNS0_4arch9wavefront6targetE1EEEvT1_,"axG",@progbits,_ZN7rocprim17ROCPRIM_400000_NS6detail17trampoline_kernelINS0_14default_configENS1_25transform_config_selectorIdLb1EEEZNS1_14transform_implILb1ES3_S5_PdS7_NS0_8identityIdEEEE10hipError_tT2_T3_mT4_P12ihipStream_tbEUlT_E_NS1_11comp_targetILNS1_3genE3ELNS1_11target_archE908ELNS1_3gpuE7ELNS1_3repE0EEENS1_30default_config_static_selectorELNS0_4arch9wavefront6targetE1EEEvT1_,comdat
.Lfunc_end1594:
	.size	_ZN7rocprim17ROCPRIM_400000_NS6detail17trampoline_kernelINS0_14default_configENS1_25transform_config_selectorIdLb1EEEZNS1_14transform_implILb1ES3_S5_PdS7_NS0_8identityIdEEEE10hipError_tT2_T3_mT4_P12ihipStream_tbEUlT_E_NS1_11comp_targetILNS1_3genE3ELNS1_11target_archE908ELNS1_3gpuE7ELNS1_3repE0EEENS1_30default_config_static_selectorELNS0_4arch9wavefront6targetE1EEEvT1_, .Lfunc_end1594-_ZN7rocprim17ROCPRIM_400000_NS6detail17trampoline_kernelINS0_14default_configENS1_25transform_config_selectorIdLb1EEEZNS1_14transform_implILb1ES3_S5_PdS7_NS0_8identityIdEEEE10hipError_tT2_T3_mT4_P12ihipStream_tbEUlT_E_NS1_11comp_targetILNS1_3genE3ELNS1_11target_archE908ELNS1_3gpuE7ELNS1_3repE0EEENS1_30default_config_static_selectorELNS0_4arch9wavefront6targetE1EEEvT1_
                                        ; -- End function
	.section	.AMDGPU.csdata,"",@progbits
; Kernel info:
; codeLenInByte = 0
; NumSgprs: 4
; NumVgprs: 0
; NumAgprs: 0
; TotalNumVgprs: 0
; ScratchSize: 0
; MemoryBound: 0
; FloatMode: 240
; IeeeMode: 1
; LDSByteSize: 0 bytes/workgroup (compile time only)
; SGPRBlocks: 0
; VGPRBlocks: 0
; NumSGPRsForWavesPerEU: 4
; NumVGPRsForWavesPerEU: 1
; AccumOffset: 4
; Occupancy: 8
; WaveLimiterHint : 0
; COMPUTE_PGM_RSRC2:SCRATCH_EN: 0
; COMPUTE_PGM_RSRC2:USER_SGPR: 6
; COMPUTE_PGM_RSRC2:TRAP_HANDLER: 0
; COMPUTE_PGM_RSRC2:TGID_X_EN: 1
; COMPUTE_PGM_RSRC2:TGID_Y_EN: 0
; COMPUTE_PGM_RSRC2:TGID_Z_EN: 0
; COMPUTE_PGM_RSRC2:TIDIG_COMP_CNT: 0
; COMPUTE_PGM_RSRC3_GFX90A:ACCUM_OFFSET: 0
; COMPUTE_PGM_RSRC3_GFX90A:TG_SPLIT: 0
	.section	.text._ZN7rocprim17ROCPRIM_400000_NS6detail17trampoline_kernelINS0_14default_configENS1_25transform_config_selectorIdLb1EEEZNS1_14transform_implILb1ES3_S5_PdS7_NS0_8identityIdEEEE10hipError_tT2_T3_mT4_P12ihipStream_tbEUlT_E_NS1_11comp_targetILNS1_3genE2ELNS1_11target_archE906ELNS1_3gpuE6ELNS1_3repE0EEENS1_30default_config_static_selectorELNS0_4arch9wavefront6targetE1EEEvT1_,"axG",@progbits,_ZN7rocprim17ROCPRIM_400000_NS6detail17trampoline_kernelINS0_14default_configENS1_25transform_config_selectorIdLb1EEEZNS1_14transform_implILb1ES3_S5_PdS7_NS0_8identityIdEEEE10hipError_tT2_T3_mT4_P12ihipStream_tbEUlT_E_NS1_11comp_targetILNS1_3genE2ELNS1_11target_archE906ELNS1_3gpuE6ELNS1_3repE0EEENS1_30default_config_static_selectorELNS0_4arch9wavefront6targetE1EEEvT1_,comdat
	.protected	_ZN7rocprim17ROCPRIM_400000_NS6detail17trampoline_kernelINS0_14default_configENS1_25transform_config_selectorIdLb1EEEZNS1_14transform_implILb1ES3_S5_PdS7_NS0_8identityIdEEEE10hipError_tT2_T3_mT4_P12ihipStream_tbEUlT_E_NS1_11comp_targetILNS1_3genE2ELNS1_11target_archE906ELNS1_3gpuE6ELNS1_3repE0EEENS1_30default_config_static_selectorELNS0_4arch9wavefront6targetE1EEEvT1_ ; -- Begin function _ZN7rocprim17ROCPRIM_400000_NS6detail17trampoline_kernelINS0_14default_configENS1_25transform_config_selectorIdLb1EEEZNS1_14transform_implILb1ES3_S5_PdS7_NS0_8identityIdEEEE10hipError_tT2_T3_mT4_P12ihipStream_tbEUlT_E_NS1_11comp_targetILNS1_3genE2ELNS1_11target_archE906ELNS1_3gpuE6ELNS1_3repE0EEENS1_30default_config_static_selectorELNS0_4arch9wavefront6targetE1EEEvT1_
	.globl	_ZN7rocprim17ROCPRIM_400000_NS6detail17trampoline_kernelINS0_14default_configENS1_25transform_config_selectorIdLb1EEEZNS1_14transform_implILb1ES3_S5_PdS7_NS0_8identityIdEEEE10hipError_tT2_T3_mT4_P12ihipStream_tbEUlT_E_NS1_11comp_targetILNS1_3genE2ELNS1_11target_archE906ELNS1_3gpuE6ELNS1_3repE0EEENS1_30default_config_static_selectorELNS0_4arch9wavefront6targetE1EEEvT1_
	.p2align	8
	.type	_ZN7rocprim17ROCPRIM_400000_NS6detail17trampoline_kernelINS0_14default_configENS1_25transform_config_selectorIdLb1EEEZNS1_14transform_implILb1ES3_S5_PdS7_NS0_8identityIdEEEE10hipError_tT2_T3_mT4_P12ihipStream_tbEUlT_E_NS1_11comp_targetILNS1_3genE2ELNS1_11target_archE906ELNS1_3gpuE6ELNS1_3repE0EEENS1_30default_config_static_selectorELNS0_4arch9wavefront6targetE1EEEvT1_,@function
_ZN7rocprim17ROCPRIM_400000_NS6detail17trampoline_kernelINS0_14default_configENS1_25transform_config_selectorIdLb1EEEZNS1_14transform_implILb1ES3_S5_PdS7_NS0_8identityIdEEEE10hipError_tT2_T3_mT4_P12ihipStream_tbEUlT_E_NS1_11comp_targetILNS1_3genE2ELNS1_11target_archE906ELNS1_3gpuE6ELNS1_3repE0EEENS1_30default_config_static_selectorELNS0_4arch9wavefront6targetE1EEEvT1_: ; @_ZN7rocprim17ROCPRIM_400000_NS6detail17trampoline_kernelINS0_14default_configENS1_25transform_config_selectorIdLb1EEEZNS1_14transform_implILb1ES3_S5_PdS7_NS0_8identityIdEEEE10hipError_tT2_T3_mT4_P12ihipStream_tbEUlT_E_NS1_11comp_targetILNS1_3genE2ELNS1_11target_archE906ELNS1_3gpuE6ELNS1_3repE0EEENS1_30default_config_static_selectorELNS0_4arch9wavefront6targetE1EEEvT1_
; %bb.0:
	.section	.rodata,"a",@progbits
	.p2align	6, 0x0
	.amdhsa_kernel _ZN7rocprim17ROCPRIM_400000_NS6detail17trampoline_kernelINS0_14default_configENS1_25transform_config_selectorIdLb1EEEZNS1_14transform_implILb1ES3_S5_PdS7_NS0_8identityIdEEEE10hipError_tT2_T3_mT4_P12ihipStream_tbEUlT_E_NS1_11comp_targetILNS1_3genE2ELNS1_11target_archE906ELNS1_3gpuE6ELNS1_3repE0EEENS1_30default_config_static_selectorELNS0_4arch9wavefront6targetE1EEEvT1_
		.amdhsa_group_segment_fixed_size 0
		.amdhsa_private_segment_fixed_size 0
		.amdhsa_kernarg_size 40
		.amdhsa_user_sgpr_count 6
		.amdhsa_user_sgpr_private_segment_buffer 1
		.amdhsa_user_sgpr_dispatch_ptr 0
		.amdhsa_user_sgpr_queue_ptr 0
		.amdhsa_user_sgpr_kernarg_segment_ptr 1
		.amdhsa_user_sgpr_dispatch_id 0
		.amdhsa_user_sgpr_flat_scratch_init 0
		.amdhsa_user_sgpr_kernarg_preload_length 0
		.amdhsa_user_sgpr_kernarg_preload_offset 0
		.amdhsa_user_sgpr_private_segment_size 0
		.amdhsa_uses_dynamic_stack 0
		.amdhsa_system_sgpr_private_segment_wavefront_offset 0
		.amdhsa_system_sgpr_workgroup_id_x 1
		.amdhsa_system_sgpr_workgroup_id_y 0
		.amdhsa_system_sgpr_workgroup_id_z 0
		.amdhsa_system_sgpr_workgroup_info 0
		.amdhsa_system_vgpr_workitem_id 0
		.amdhsa_next_free_vgpr 1
		.amdhsa_next_free_sgpr 0
		.amdhsa_accum_offset 4
		.amdhsa_reserve_vcc 0
		.amdhsa_reserve_flat_scratch 0
		.amdhsa_float_round_mode_32 0
		.amdhsa_float_round_mode_16_64 0
		.amdhsa_float_denorm_mode_32 3
		.amdhsa_float_denorm_mode_16_64 3
		.amdhsa_dx10_clamp 1
		.amdhsa_ieee_mode 1
		.amdhsa_fp16_overflow 0
		.amdhsa_tg_split 0
		.amdhsa_exception_fp_ieee_invalid_op 0
		.amdhsa_exception_fp_denorm_src 0
		.amdhsa_exception_fp_ieee_div_zero 0
		.amdhsa_exception_fp_ieee_overflow 0
		.amdhsa_exception_fp_ieee_underflow 0
		.amdhsa_exception_fp_ieee_inexact 0
		.amdhsa_exception_int_div_zero 0
	.end_amdhsa_kernel
	.section	.text._ZN7rocprim17ROCPRIM_400000_NS6detail17trampoline_kernelINS0_14default_configENS1_25transform_config_selectorIdLb1EEEZNS1_14transform_implILb1ES3_S5_PdS7_NS0_8identityIdEEEE10hipError_tT2_T3_mT4_P12ihipStream_tbEUlT_E_NS1_11comp_targetILNS1_3genE2ELNS1_11target_archE906ELNS1_3gpuE6ELNS1_3repE0EEENS1_30default_config_static_selectorELNS0_4arch9wavefront6targetE1EEEvT1_,"axG",@progbits,_ZN7rocprim17ROCPRIM_400000_NS6detail17trampoline_kernelINS0_14default_configENS1_25transform_config_selectorIdLb1EEEZNS1_14transform_implILb1ES3_S5_PdS7_NS0_8identityIdEEEE10hipError_tT2_T3_mT4_P12ihipStream_tbEUlT_E_NS1_11comp_targetILNS1_3genE2ELNS1_11target_archE906ELNS1_3gpuE6ELNS1_3repE0EEENS1_30default_config_static_selectorELNS0_4arch9wavefront6targetE1EEEvT1_,comdat
.Lfunc_end1595:
	.size	_ZN7rocprim17ROCPRIM_400000_NS6detail17trampoline_kernelINS0_14default_configENS1_25transform_config_selectorIdLb1EEEZNS1_14transform_implILb1ES3_S5_PdS7_NS0_8identityIdEEEE10hipError_tT2_T3_mT4_P12ihipStream_tbEUlT_E_NS1_11comp_targetILNS1_3genE2ELNS1_11target_archE906ELNS1_3gpuE6ELNS1_3repE0EEENS1_30default_config_static_selectorELNS0_4arch9wavefront6targetE1EEEvT1_, .Lfunc_end1595-_ZN7rocprim17ROCPRIM_400000_NS6detail17trampoline_kernelINS0_14default_configENS1_25transform_config_selectorIdLb1EEEZNS1_14transform_implILb1ES3_S5_PdS7_NS0_8identityIdEEEE10hipError_tT2_T3_mT4_P12ihipStream_tbEUlT_E_NS1_11comp_targetILNS1_3genE2ELNS1_11target_archE906ELNS1_3gpuE6ELNS1_3repE0EEENS1_30default_config_static_selectorELNS0_4arch9wavefront6targetE1EEEvT1_
                                        ; -- End function
	.section	.AMDGPU.csdata,"",@progbits
; Kernel info:
; codeLenInByte = 0
; NumSgprs: 4
; NumVgprs: 0
; NumAgprs: 0
; TotalNumVgprs: 0
; ScratchSize: 0
; MemoryBound: 0
; FloatMode: 240
; IeeeMode: 1
; LDSByteSize: 0 bytes/workgroup (compile time only)
; SGPRBlocks: 0
; VGPRBlocks: 0
; NumSGPRsForWavesPerEU: 4
; NumVGPRsForWavesPerEU: 1
; AccumOffset: 4
; Occupancy: 8
; WaveLimiterHint : 0
; COMPUTE_PGM_RSRC2:SCRATCH_EN: 0
; COMPUTE_PGM_RSRC2:USER_SGPR: 6
; COMPUTE_PGM_RSRC2:TRAP_HANDLER: 0
; COMPUTE_PGM_RSRC2:TGID_X_EN: 1
; COMPUTE_PGM_RSRC2:TGID_Y_EN: 0
; COMPUTE_PGM_RSRC2:TGID_Z_EN: 0
; COMPUTE_PGM_RSRC2:TIDIG_COMP_CNT: 0
; COMPUTE_PGM_RSRC3_GFX90A:ACCUM_OFFSET: 0
; COMPUTE_PGM_RSRC3_GFX90A:TG_SPLIT: 0
	.section	.text._ZN7rocprim17ROCPRIM_400000_NS6detail17trampoline_kernelINS0_14default_configENS1_25transform_config_selectorIdLb1EEEZNS1_14transform_implILb1ES3_S5_PdS7_NS0_8identityIdEEEE10hipError_tT2_T3_mT4_P12ihipStream_tbEUlT_E_NS1_11comp_targetILNS1_3genE9ELNS1_11target_archE1100ELNS1_3gpuE3ELNS1_3repE0EEENS1_30default_config_static_selectorELNS0_4arch9wavefront6targetE1EEEvT1_,"axG",@progbits,_ZN7rocprim17ROCPRIM_400000_NS6detail17trampoline_kernelINS0_14default_configENS1_25transform_config_selectorIdLb1EEEZNS1_14transform_implILb1ES3_S5_PdS7_NS0_8identityIdEEEE10hipError_tT2_T3_mT4_P12ihipStream_tbEUlT_E_NS1_11comp_targetILNS1_3genE9ELNS1_11target_archE1100ELNS1_3gpuE3ELNS1_3repE0EEENS1_30default_config_static_selectorELNS0_4arch9wavefront6targetE1EEEvT1_,comdat
	.protected	_ZN7rocprim17ROCPRIM_400000_NS6detail17trampoline_kernelINS0_14default_configENS1_25transform_config_selectorIdLb1EEEZNS1_14transform_implILb1ES3_S5_PdS7_NS0_8identityIdEEEE10hipError_tT2_T3_mT4_P12ihipStream_tbEUlT_E_NS1_11comp_targetILNS1_3genE9ELNS1_11target_archE1100ELNS1_3gpuE3ELNS1_3repE0EEENS1_30default_config_static_selectorELNS0_4arch9wavefront6targetE1EEEvT1_ ; -- Begin function _ZN7rocprim17ROCPRIM_400000_NS6detail17trampoline_kernelINS0_14default_configENS1_25transform_config_selectorIdLb1EEEZNS1_14transform_implILb1ES3_S5_PdS7_NS0_8identityIdEEEE10hipError_tT2_T3_mT4_P12ihipStream_tbEUlT_E_NS1_11comp_targetILNS1_3genE9ELNS1_11target_archE1100ELNS1_3gpuE3ELNS1_3repE0EEENS1_30default_config_static_selectorELNS0_4arch9wavefront6targetE1EEEvT1_
	.globl	_ZN7rocprim17ROCPRIM_400000_NS6detail17trampoline_kernelINS0_14default_configENS1_25transform_config_selectorIdLb1EEEZNS1_14transform_implILb1ES3_S5_PdS7_NS0_8identityIdEEEE10hipError_tT2_T3_mT4_P12ihipStream_tbEUlT_E_NS1_11comp_targetILNS1_3genE9ELNS1_11target_archE1100ELNS1_3gpuE3ELNS1_3repE0EEENS1_30default_config_static_selectorELNS0_4arch9wavefront6targetE1EEEvT1_
	.p2align	8
	.type	_ZN7rocprim17ROCPRIM_400000_NS6detail17trampoline_kernelINS0_14default_configENS1_25transform_config_selectorIdLb1EEEZNS1_14transform_implILb1ES3_S5_PdS7_NS0_8identityIdEEEE10hipError_tT2_T3_mT4_P12ihipStream_tbEUlT_E_NS1_11comp_targetILNS1_3genE9ELNS1_11target_archE1100ELNS1_3gpuE3ELNS1_3repE0EEENS1_30default_config_static_selectorELNS0_4arch9wavefront6targetE1EEEvT1_,@function
_ZN7rocprim17ROCPRIM_400000_NS6detail17trampoline_kernelINS0_14default_configENS1_25transform_config_selectorIdLb1EEEZNS1_14transform_implILb1ES3_S5_PdS7_NS0_8identityIdEEEE10hipError_tT2_T3_mT4_P12ihipStream_tbEUlT_E_NS1_11comp_targetILNS1_3genE9ELNS1_11target_archE1100ELNS1_3gpuE3ELNS1_3repE0EEENS1_30default_config_static_selectorELNS0_4arch9wavefront6targetE1EEEvT1_: ; @_ZN7rocprim17ROCPRIM_400000_NS6detail17trampoline_kernelINS0_14default_configENS1_25transform_config_selectorIdLb1EEEZNS1_14transform_implILb1ES3_S5_PdS7_NS0_8identityIdEEEE10hipError_tT2_T3_mT4_P12ihipStream_tbEUlT_E_NS1_11comp_targetILNS1_3genE9ELNS1_11target_archE1100ELNS1_3gpuE3ELNS1_3repE0EEENS1_30default_config_static_selectorELNS0_4arch9wavefront6targetE1EEEvT1_
; %bb.0:
	.section	.rodata,"a",@progbits
	.p2align	6, 0x0
	.amdhsa_kernel _ZN7rocprim17ROCPRIM_400000_NS6detail17trampoline_kernelINS0_14default_configENS1_25transform_config_selectorIdLb1EEEZNS1_14transform_implILb1ES3_S5_PdS7_NS0_8identityIdEEEE10hipError_tT2_T3_mT4_P12ihipStream_tbEUlT_E_NS1_11comp_targetILNS1_3genE9ELNS1_11target_archE1100ELNS1_3gpuE3ELNS1_3repE0EEENS1_30default_config_static_selectorELNS0_4arch9wavefront6targetE1EEEvT1_
		.amdhsa_group_segment_fixed_size 0
		.amdhsa_private_segment_fixed_size 0
		.amdhsa_kernarg_size 40
		.amdhsa_user_sgpr_count 6
		.amdhsa_user_sgpr_private_segment_buffer 1
		.amdhsa_user_sgpr_dispatch_ptr 0
		.amdhsa_user_sgpr_queue_ptr 0
		.amdhsa_user_sgpr_kernarg_segment_ptr 1
		.amdhsa_user_sgpr_dispatch_id 0
		.amdhsa_user_sgpr_flat_scratch_init 0
		.amdhsa_user_sgpr_kernarg_preload_length 0
		.amdhsa_user_sgpr_kernarg_preload_offset 0
		.amdhsa_user_sgpr_private_segment_size 0
		.amdhsa_uses_dynamic_stack 0
		.amdhsa_system_sgpr_private_segment_wavefront_offset 0
		.amdhsa_system_sgpr_workgroup_id_x 1
		.amdhsa_system_sgpr_workgroup_id_y 0
		.amdhsa_system_sgpr_workgroup_id_z 0
		.amdhsa_system_sgpr_workgroup_info 0
		.amdhsa_system_vgpr_workitem_id 0
		.amdhsa_next_free_vgpr 1
		.amdhsa_next_free_sgpr 0
		.amdhsa_accum_offset 4
		.amdhsa_reserve_vcc 0
		.amdhsa_reserve_flat_scratch 0
		.amdhsa_float_round_mode_32 0
		.amdhsa_float_round_mode_16_64 0
		.amdhsa_float_denorm_mode_32 3
		.amdhsa_float_denorm_mode_16_64 3
		.amdhsa_dx10_clamp 1
		.amdhsa_ieee_mode 1
		.amdhsa_fp16_overflow 0
		.amdhsa_tg_split 0
		.amdhsa_exception_fp_ieee_invalid_op 0
		.amdhsa_exception_fp_denorm_src 0
		.amdhsa_exception_fp_ieee_div_zero 0
		.amdhsa_exception_fp_ieee_overflow 0
		.amdhsa_exception_fp_ieee_underflow 0
		.amdhsa_exception_fp_ieee_inexact 0
		.amdhsa_exception_int_div_zero 0
	.end_amdhsa_kernel
	.section	.text._ZN7rocprim17ROCPRIM_400000_NS6detail17trampoline_kernelINS0_14default_configENS1_25transform_config_selectorIdLb1EEEZNS1_14transform_implILb1ES3_S5_PdS7_NS0_8identityIdEEEE10hipError_tT2_T3_mT4_P12ihipStream_tbEUlT_E_NS1_11comp_targetILNS1_3genE9ELNS1_11target_archE1100ELNS1_3gpuE3ELNS1_3repE0EEENS1_30default_config_static_selectorELNS0_4arch9wavefront6targetE1EEEvT1_,"axG",@progbits,_ZN7rocprim17ROCPRIM_400000_NS6detail17trampoline_kernelINS0_14default_configENS1_25transform_config_selectorIdLb1EEEZNS1_14transform_implILb1ES3_S5_PdS7_NS0_8identityIdEEEE10hipError_tT2_T3_mT4_P12ihipStream_tbEUlT_E_NS1_11comp_targetILNS1_3genE9ELNS1_11target_archE1100ELNS1_3gpuE3ELNS1_3repE0EEENS1_30default_config_static_selectorELNS0_4arch9wavefront6targetE1EEEvT1_,comdat
.Lfunc_end1596:
	.size	_ZN7rocprim17ROCPRIM_400000_NS6detail17trampoline_kernelINS0_14default_configENS1_25transform_config_selectorIdLb1EEEZNS1_14transform_implILb1ES3_S5_PdS7_NS0_8identityIdEEEE10hipError_tT2_T3_mT4_P12ihipStream_tbEUlT_E_NS1_11comp_targetILNS1_3genE9ELNS1_11target_archE1100ELNS1_3gpuE3ELNS1_3repE0EEENS1_30default_config_static_selectorELNS0_4arch9wavefront6targetE1EEEvT1_, .Lfunc_end1596-_ZN7rocprim17ROCPRIM_400000_NS6detail17trampoline_kernelINS0_14default_configENS1_25transform_config_selectorIdLb1EEEZNS1_14transform_implILb1ES3_S5_PdS7_NS0_8identityIdEEEE10hipError_tT2_T3_mT4_P12ihipStream_tbEUlT_E_NS1_11comp_targetILNS1_3genE9ELNS1_11target_archE1100ELNS1_3gpuE3ELNS1_3repE0EEENS1_30default_config_static_selectorELNS0_4arch9wavefront6targetE1EEEvT1_
                                        ; -- End function
	.section	.AMDGPU.csdata,"",@progbits
; Kernel info:
; codeLenInByte = 0
; NumSgprs: 4
; NumVgprs: 0
; NumAgprs: 0
; TotalNumVgprs: 0
; ScratchSize: 0
; MemoryBound: 0
; FloatMode: 240
; IeeeMode: 1
; LDSByteSize: 0 bytes/workgroup (compile time only)
; SGPRBlocks: 0
; VGPRBlocks: 0
; NumSGPRsForWavesPerEU: 4
; NumVGPRsForWavesPerEU: 1
; AccumOffset: 4
; Occupancy: 8
; WaveLimiterHint : 0
; COMPUTE_PGM_RSRC2:SCRATCH_EN: 0
; COMPUTE_PGM_RSRC2:USER_SGPR: 6
; COMPUTE_PGM_RSRC2:TRAP_HANDLER: 0
; COMPUTE_PGM_RSRC2:TGID_X_EN: 1
; COMPUTE_PGM_RSRC2:TGID_Y_EN: 0
; COMPUTE_PGM_RSRC2:TGID_Z_EN: 0
; COMPUTE_PGM_RSRC2:TIDIG_COMP_CNT: 0
; COMPUTE_PGM_RSRC3_GFX90A:ACCUM_OFFSET: 0
; COMPUTE_PGM_RSRC3_GFX90A:TG_SPLIT: 0
	.section	.text._ZN7rocprim17ROCPRIM_400000_NS6detail17trampoline_kernelINS0_14default_configENS1_25transform_config_selectorIdLb1EEEZNS1_14transform_implILb1ES3_S5_PdS7_NS0_8identityIdEEEE10hipError_tT2_T3_mT4_P12ihipStream_tbEUlT_E_NS1_11comp_targetILNS1_3genE8ELNS1_11target_archE1030ELNS1_3gpuE2ELNS1_3repE0EEENS1_30default_config_static_selectorELNS0_4arch9wavefront6targetE1EEEvT1_,"axG",@progbits,_ZN7rocprim17ROCPRIM_400000_NS6detail17trampoline_kernelINS0_14default_configENS1_25transform_config_selectorIdLb1EEEZNS1_14transform_implILb1ES3_S5_PdS7_NS0_8identityIdEEEE10hipError_tT2_T3_mT4_P12ihipStream_tbEUlT_E_NS1_11comp_targetILNS1_3genE8ELNS1_11target_archE1030ELNS1_3gpuE2ELNS1_3repE0EEENS1_30default_config_static_selectorELNS0_4arch9wavefront6targetE1EEEvT1_,comdat
	.protected	_ZN7rocprim17ROCPRIM_400000_NS6detail17trampoline_kernelINS0_14default_configENS1_25transform_config_selectorIdLb1EEEZNS1_14transform_implILb1ES3_S5_PdS7_NS0_8identityIdEEEE10hipError_tT2_T3_mT4_P12ihipStream_tbEUlT_E_NS1_11comp_targetILNS1_3genE8ELNS1_11target_archE1030ELNS1_3gpuE2ELNS1_3repE0EEENS1_30default_config_static_selectorELNS0_4arch9wavefront6targetE1EEEvT1_ ; -- Begin function _ZN7rocprim17ROCPRIM_400000_NS6detail17trampoline_kernelINS0_14default_configENS1_25transform_config_selectorIdLb1EEEZNS1_14transform_implILb1ES3_S5_PdS7_NS0_8identityIdEEEE10hipError_tT2_T3_mT4_P12ihipStream_tbEUlT_E_NS1_11comp_targetILNS1_3genE8ELNS1_11target_archE1030ELNS1_3gpuE2ELNS1_3repE0EEENS1_30default_config_static_selectorELNS0_4arch9wavefront6targetE1EEEvT1_
	.globl	_ZN7rocprim17ROCPRIM_400000_NS6detail17trampoline_kernelINS0_14default_configENS1_25transform_config_selectorIdLb1EEEZNS1_14transform_implILb1ES3_S5_PdS7_NS0_8identityIdEEEE10hipError_tT2_T3_mT4_P12ihipStream_tbEUlT_E_NS1_11comp_targetILNS1_3genE8ELNS1_11target_archE1030ELNS1_3gpuE2ELNS1_3repE0EEENS1_30default_config_static_selectorELNS0_4arch9wavefront6targetE1EEEvT1_
	.p2align	8
	.type	_ZN7rocprim17ROCPRIM_400000_NS6detail17trampoline_kernelINS0_14default_configENS1_25transform_config_selectorIdLb1EEEZNS1_14transform_implILb1ES3_S5_PdS7_NS0_8identityIdEEEE10hipError_tT2_T3_mT4_P12ihipStream_tbEUlT_E_NS1_11comp_targetILNS1_3genE8ELNS1_11target_archE1030ELNS1_3gpuE2ELNS1_3repE0EEENS1_30default_config_static_selectorELNS0_4arch9wavefront6targetE1EEEvT1_,@function
_ZN7rocprim17ROCPRIM_400000_NS6detail17trampoline_kernelINS0_14default_configENS1_25transform_config_selectorIdLb1EEEZNS1_14transform_implILb1ES3_S5_PdS7_NS0_8identityIdEEEE10hipError_tT2_T3_mT4_P12ihipStream_tbEUlT_E_NS1_11comp_targetILNS1_3genE8ELNS1_11target_archE1030ELNS1_3gpuE2ELNS1_3repE0EEENS1_30default_config_static_selectorELNS0_4arch9wavefront6targetE1EEEvT1_: ; @_ZN7rocprim17ROCPRIM_400000_NS6detail17trampoline_kernelINS0_14default_configENS1_25transform_config_selectorIdLb1EEEZNS1_14transform_implILb1ES3_S5_PdS7_NS0_8identityIdEEEE10hipError_tT2_T3_mT4_P12ihipStream_tbEUlT_E_NS1_11comp_targetILNS1_3genE8ELNS1_11target_archE1030ELNS1_3gpuE2ELNS1_3repE0EEENS1_30default_config_static_selectorELNS0_4arch9wavefront6targetE1EEEvT1_
; %bb.0:
	.section	.rodata,"a",@progbits
	.p2align	6, 0x0
	.amdhsa_kernel _ZN7rocprim17ROCPRIM_400000_NS6detail17trampoline_kernelINS0_14default_configENS1_25transform_config_selectorIdLb1EEEZNS1_14transform_implILb1ES3_S5_PdS7_NS0_8identityIdEEEE10hipError_tT2_T3_mT4_P12ihipStream_tbEUlT_E_NS1_11comp_targetILNS1_3genE8ELNS1_11target_archE1030ELNS1_3gpuE2ELNS1_3repE0EEENS1_30default_config_static_selectorELNS0_4arch9wavefront6targetE1EEEvT1_
		.amdhsa_group_segment_fixed_size 0
		.amdhsa_private_segment_fixed_size 0
		.amdhsa_kernarg_size 40
		.amdhsa_user_sgpr_count 6
		.amdhsa_user_sgpr_private_segment_buffer 1
		.amdhsa_user_sgpr_dispatch_ptr 0
		.amdhsa_user_sgpr_queue_ptr 0
		.amdhsa_user_sgpr_kernarg_segment_ptr 1
		.amdhsa_user_sgpr_dispatch_id 0
		.amdhsa_user_sgpr_flat_scratch_init 0
		.amdhsa_user_sgpr_kernarg_preload_length 0
		.amdhsa_user_sgpr_kernarg_preload_offset 0
		.amdhsa_user_sgpr_private_segment_size 0
		.amdhsa_uses_dynamic_stack 0
		.amdhsa_system_sgpr_private_segment_wavefront_offset 0
		.amdhsa_system_sgpr_workgroup_id_x 1
		.amdhsa_system_sgpr_workgroup_id_y 0
		.amdhsa_system_sgpr_workgroup_id_z 0
		.amdhsa_system_sgpr_workgroup_info 0
		.amdhsa_system_vgpr_workitem_id 0
		.amdhsa_next_free_vgpr 1
		.amdhsa_next_free_sgpr 0
		.amdhsa_accum_offset 4
		.amdhsa_reserve_vcc 0
		.amdhsa_reserve_flat_scratch 0
		.amdhsa_float_round_mode_32 0
		.amdhsa_float_round_mode_16_64 0
		.amdhsa_float_denorm_mode_32 3
		.amdhsa_float_denorm_mode_16_64 3
		.amdhsa_dx10_clamp 1
		.amdhsa_ieee_mode 1
		.amdhsa_fp16_overflow 0
		.amdhsa_tg_split 0
		.amdhsa_exception_fp_ieee_invalid_op 0
		.amdhsa_exception_fp_denorm_src 0
		.amdhsa_exception_fp_ieee_div_zero 0
		.amdhsa_exception_fp_ieee_overflow 0
		.amdhsa_exception_fp_ieee_underflow 0
		.amdhsa_exception_fp_ieee_inexact 0
		.amdhsa_exception_int_div_zero 0
	.end_amdhsa_kernel
	.section	.text._ZN7rocprim17ROCPRIM_400000_NS6detail17trampoline_kernelINS0_14default_configENS1_25transform_config_selectorIdLb1EEEZNS1_14transform_implILb1ES3_S5_PdS7_NS0_8identityIdEEEE10hipError_tT2_T3_mT4_P12ihipStream_tbEUlT_E_NS1_11comp_targetILNS1_3genE8ELNS1_11target_archE1030ELNS1_3gpuE2ELNS1_3repE0EEENS1_30default_config_static_selectorELNS0_4arch9wavefront6targetE1EEEvT1_,"axG",@progbits,_ZN7rocprim17ROCPRIM_400000_NS6detail17trampoline_kernelINS0_14default_configENS1_25transform_config_selectorIdLb1EEEZNS1_14transform_implILb1ES3_S5_PdS7_NS0_8identityIdEEEE10hipError_tT2_T3_mT4_P12ihipStream_tbEUlT_E_NS1_11comp_targetILNS1_3genE8ELNS1_11target_archE1030ELNS1_3gpuE2ELNS1_3repE0EEENS1_30default_config_static_selectorELNS0_4arch9wavefront6targetE1EEEvT1_,comdat
.Lfunc_end1597:
	.size	_ZN7rocprim17ROCPRIM_400000_NS6detail17trampoline_kernelINS0_14default_configENS1_25transform_config_selectorIdLb1EEEZNS1_14transform_implILb1ES3_S5_PdS7_NS0_8identityIdEEEE10hipError_tT2_T3_mT4_P12ihipStream_tbEUlT_E_NS1_11comp_targetILNS1_3genE8ELNS1_11target_archE1030ELNS1_3gpuE2ELNS1_3repE0EEENS1_30default_config_static_selectorELNS0_4arch9wavefront6targetE1EEEvT1_, .Lfunc_end1597-_ZN7rocprim17ROCPRIM_400000_NS6detail17trampoline_kernelINS0_14default_configENS1_25transform_config_selectorIdLb1EEEZNS1_14transform_implILb1ES3_S5_PdS7_NS0_8identityIdEEEE10hipError_tT2_T3_mT4_P12ihipStream_tbEUlT_E_NS1_11comp_targetILNS1_3genE8ELNS1_11target_archE1030ELNS1_3gpuE2ELNS1_3repE0EEENS1_30default_config_static_selectorELNS0_4arch9wavefront6targetE1EEEvT1_
                                        ; -- End function
	.section	.AMDGPU.csdata,"",@progbits
; Kernel info:
; codeLenInByte = 0
; NumSgprs: 4
; NumVgprs: 0
; NumAgprs: 0
; TotalNumVgprs: 0
; ScratchSize: 0
; MemoryBound: 0
; FloatMode: 240
; IeeeMode: 1
; LDSByteSize: 0 bytes/workgroup (compile time only)
; SGPRBlocks: 0
; VGPRBlocks: 0
; NumSGPRsForWavesPerEU: 4
; NumVGPRsForWavesPerEU: 1
; AccumOffset: 4
; Occupancy: 8
; WaveLimiterHint : 0
; COMPUTE_PGM_RSRC2:SCRATCH_EN: 0
; COMPUTE_PGM_RSRC2:USER_SGPR: 6
; COMPUTE_PGM_RSRC2:TRAP_HANDLER: 0
; COMPUTE_PGM_RSRC2:TGID_X_EN: 1
; COMPUTE_PGM_RSRC2:TGID_Y_EN: 0
; COMPUTE_PGM_RSRC2:TGID_Z_EN: 0
; COMPUTE_PGM_RSRC2:TIDIG_COMP_CNT: 0
; COMPUTE_PGM_RSRC3_GFX90A:ACCUM_OFFSET: 0
; COMPUTE_PGM_RSRC3_GFX90A:TG_SPLIT: 0
	.section	.text._ZN7rocprim17ROCPRIM_400000_NS6detail17trampoline_kernelINS0_14default_configENS1_35radix_sort_onesweep_config_selectorIdlEEZNS1_34radix_sort_onesweep_global_offsetsIS3_Lb0EPdN6thrust23THRUST_200600_302600_NS10device_ptrIlEEjNS0_19identity_decomposerEEE10hipError_tT1_T2_PT3_SG_jT4_jjP12ihipStream_tbEUlT_E_NS1_11comp_targetILNS1_3genE0ELNS1_11target_archE4294967295ELNS1_3gpuE0ELNS1_3repE0EEENS1_52radix_sort_onesweep_histogram_config_static_selectorELNS0_4arch9wavefront6targetE1EEEvSE_,"axG",@progbits,_ZN7rocprim17ROCPRIM_400000_NS6detail17trampoline_kernelINS0_14default_configENS1_35radix_sort_onesweep_config_selectorIdlEEZNS1_34radix_sort_onesweep_global_offsetsIS3_Lb0EPdN6thrust23THRUST_200600_302600_NS10device_ptrIlEEjNS0_19identity_decomposerEEE10hipError_tT1_T2_PT3_SG_jT4_jjP12ihipStream_tbEUlT_E_NS1_11comp_targetILNS1_3genE0ELNS1_11target_archE4294967295ELNS1_3gpuE0ELNS1_3repE0EEENS1_52radix_sort_onesweep_histogram_config_static_selectorELNS0_4arch9wavefront6targetE1EEEvSE_,comdat
	.protected	_ZN7rocprim17ROCPRIM_400000_NS6detail17trampoline_kernelINS0_14default_configENS1_35radix_sort_onesweep_config_selectorIdlEEZNS1_34radix_sort_onesweep_global_offsetsIS3_Lb0EPdN6thrust23THRUST_200600_302600_NS10device_ptrIlEEjNS0_19identity_decomposerEEE10hipError_tT1_T2_PT3_SG_jT4_jjP12ihipStream_tbEUlT_E_NS1_11comp_targetILNS1_3genE0ELNS1_11target_archE4294967295ELNS1_3gpuE0ELNS1_3repE0EEENS1_52radix_sort_onesweep_histogram_config_static_selectorELNS0_4arch9wavefront6targetE1EEEvSE_ ; -- Begin function _ZN7rocprim17ROCPRIM_400000_NS6detail17trampoline_kernelINS0_14default_configENS1_35radix_sort_onesweep_config_selectorIdlEEZNS1_34radix_sort_onesweep_global_offsetsIS3_Lb0EPdN6thrust23THRUST_200600_302600_NS10device_ptrIlEEjNS0_19identity_decomposerEEE10hipError_tT1_T2_PT3_SG_jT4_jjP12ihipStream_tbEUlT_E_NS1_11comp_targetILNS1_3genE0ELNS1_11target_archE4294967295ELNS1_3gpuE0ELNS1_3repE0EEENS1_52radix_sort_onesweep_histogram_config_static_selectorELNS0_4arch9wavefront6targetE1EEEvSE_
	.globl	_ZN7rocprim17ROCPRIM_400000_NS6detail17trampoline_kernelINS0_14default_configENS1_35radix_sort_onesweep_config_selectorIdlEEZNS1_34radix_sort_onesweep_global_offsetsIS3_Lb0EPdN6thrust23THRUST_200600_302600_NS10device_ptrIlEEjNS0_19identity_decomposerEEE10hipError_tT1_T2_PT3_SG_jT4_jjP12ihipStream_tbEUlT_E_NS1_11comp_targetILNS1_3genE0ELNS1_11target_archE4294967295ELNS1_3gpuE0ELNS1_3repE0EEENS1_52radix_sort_onesweep_histogram_config_static_selectorELNS0_4arch9wavefront6targetE1EEEvSE_
	.p2align	8
	.type	_ZN7rocprim17ROCPRIM_400000_NS6detail17trampoline_kernelINS0_14default_configENS1_35radix_sort_onesweep_config_selectorIdlEEZNS1_34radix_sort_onesweep_global_offsetsIS3_Lb0EPdN6thrust23THRUST_200600_302600_NS10device_ptrIlEEjNS0_19identity_decomposerEEE10hipError_tT1_T2_PT3_SG_jT4_jjP12ihipStream_tbEUlT_E_NS1_11comp_targetILNS1_3genE0ELNS1_11target_archE4294967295ELNS1_3gpuE0ELNS1_3repE0EEENS1_52radix_sort_onesweep_histogram_config_static_selectorELNS0_4arch9wavefront6targetE1EEEvSE_,@function
_ZN7rocprim17ROCPRIM_400000_NS6detail17trampoline_kernelINS0_14default_configENS1_35radix_sort_onesweep_config_selectorIdlEEZNS1_34radix_sort_onesweep_global_offsetsIS3_Lb0EPdN6thrust23THRUST_200600_302600_NS10device_ptrIlEEjNS0_19identity_decomposerEEE10hipError_tT1_T2_PT3_SG_jT4_jjP12ihipStream_tbEUlT_E_NS1_11comp_targetILNS1_3genE0ELNS1_11target_archE4294967295ELNS1_3gpuE0ELNS1_3repE0EEENS1_52radix_sort_onesweep_histogram_config_static_selectorELNS0_4arch9wavefront6targetE1EEEvSE_: ; @_ZN7rocprim17ROCPRIM_400000_NS6detail17trampoline_kernelINS0_14default_configENS1_35radix_sort_onesweep_config_selectorIdlEEZNS1_34radix_sort_onesweep_global_offsetsIS3_Lb0EPdN6thrust23THRUST_200600_302600_NS10device_ptrIlEEjNS0_19identity_decomposerEEE10hipError_tT1_T2_PT3_SG_jT4_jjP12ihipStream_tbEUlT_E_NS1_11comp_targetILNS1_3genE0ELNS1_11target_archE4294967295ELNS1_3gpuE0ELNS1_3repE0EEENS1_52radix_sort_onesweep_histogram_config_static_selectorELNS0_4arch9wavefront6targetE1EEEvSE_
; %bb.0:
	.section	.rodata,"a",@progbits
	.p2align	6, 0x0
	.amdhsa_kernel _ZN7rocprim17ROCPRIM_400000_NS6detail17trampoline_kernelINS0_14default_configENS1_35radix_sort_onesweep_config_selectorIdlEEZNS1_34radix_sort_onesweep_global_offsetsIS3_Lb0EPdN6thrust23THRUST_200600_302600_NS10device_ptrIlEEjNS0_19identity_decomposerEEE10hipError_tT1_T2_PT3_SG_jT4_jjP12ihipStream_tbEUlT_E_NS1_11comp_targetILNS1_3genE0ELNS1_11target_archE4294967295ELNS1_3gpuE0ELNS1_3repE0EEENS1_52radix_sort_onesweep_histogram_config_static_selectorELNS0_4arch9wavefront6targetE1EEEvSE_
		.amdhsa_group_segment_fixed_size 0
		.amdhsa_private_segment_fixed_size 0
		.amdhsa_kernarg_size 40
		.amdhsa_user_sgpr_count 6
		.amdhsa_user_sgpr_private_segment_buffer 1
		.amdhsa_user_sgpr_dispatch_ptr 0
		.amdhsa_user_sgpr_queue_ptr 0
		.amdhsa_user_sgpr_kernarg_segment_ptr 1
		.amdhsa_user_sgpr_dispatch_id 0
		.amdhsa_user_sgpr_flat_scratch_init 0
		.amdhsa_user_sgpr_kernarg_preload_length 0
		.amdhsa_user_sgpr_kernarg_preload_offset 0
		.amdhsa_user_sgpr_private_segment_size 0
		.amdhsa_uses_dynamic_stack 0
		.amdhsa_system_sgpr_private_segment_wavefront_offset 0
		.amdhsa_system_sgpr_workgroup_id_x 1
		.amdhsa_system_sgpr_workgroup_id_y 0
		.amdhsa_system_sgpr_workgroup_id_z 0
		.amdhsa_system_sgpr_workgroup_info 0
		.amdhsa_system_vgpr_workitem_id 0
		.amdhsa_next_free_vgpr 1
		.amdhsa_next_free_sgpr 0
		.amdhsa_accum_offset 4
		.amdhsa_reserve_vcc 0
		.amdhsa_reserve_flat_scratch 0
		.amdhsa_float_round_mode_32 0
		.amdhsa_float_round_mode_16_64 0
		.amdhsa_float_denorm_mode_32 3
		.amdhsa_float_denorm_mode_16_64 3
		.amdhsa_dx10_clamp 1
		.amdhsa_ieee_mode 1
		.amdhsa_fp16_overflow 0
		.amdhsa_tg_split 0
		.amdhsa_exception_fp_ieee_invalid_op 0
		.amdhsa_exception_fp_denorm_src 0
		.amdhsa_exception_fp_ieee_div_zero 0
		.amdhsa_exception_fp_ieee_overflow 0
		.amdhsa_exception_fp_ieee_underflow 0
		.amdhsa_exception_fp_ieee_inexact 0
		.amdhsa_exception_int_div_zero 0
	.end_amdhsa_kernel
	.section	.text._ZN7rocprim17ROCPRIM_400000_NS6detail17trampoline_kernelINS0_14default_configENS1_35radix_sort_onesweep_config_selectorIdlEEZNS1_34radix_sort_onesweep_global_offsetsIS3_Lb0EPdN6thrust23THRUST_200600_302600_NS10device_ptrIlEEjNS0_19identity_decomposerEEE10hipError_tT1_T2_PT3_SG_jT4_jjP12ihipStream_tbEUlT_E_NS1_11comp_targetILNS1_3genE0ELNS1_11target_archE4294967295ELNS1_3gpuE0ELNS1_3repE0EEENS1_52radix_sort_onesweep_histogram_config_static_selectorELNS0_4arch9wavefront6targetE1EEEvSE_,"axG",@progbits,_ZN7rocprim17ROCPRIM_400000_NS6detail17trampoline_kernelINS0_14default_configENS1_35radix_sort_onesweep_config_selectorIdlEEZNS1_34radix_sort_onesweep_global_offsetsIS3_Lb0EPdN6thrust23THRUST_200600_302600_NS10device_ptrIlEEjNS0_19identity_decomposerEEE10hipError_tT1_T2_PT3_SG_jT4_jjP12ihipStream_tbEUlT_E_NS1_11comp_targetILNS1_3genE0ELNS1_11target_archE4294967295ELNS1_3gpuE0ELNS1_3repE0EEENS1_52radix_sort_onesweep_histogram_config_static_selectorELNS0_4arch9wavefront6targetE1EEEvSE_,comdat
.Lfunc_end1598:
	.size	_ZN7rocprim17ROCPRIM_400000_NS6detail17trampoline_kernelINS0_14default_configENS1_35radix_sort_onesweep_config_selectorIdlEEZNS1_34radix_sort_onesweep_global_offsetsIS3_Lb0EPdN6thrust23THRUST_200600_302600_NS10device_ptrIlEEjNS0_19identity_decomposerEEE10hipError_tT1_T2_PT3_SG_jT4_jjP12ihipStream_tbEUlT_E_NS1_11comp_targetILNS1_3genE0ELNS1_11target_archE4294967295ELNS1_3gpuE0ELNS1_3repE0EEENS1_52radix_sort_onesweep_histogram_config_static_selectorELNS0_4arch9wavefront6targetE1EEEvSE_, .Lfunc_end1598-_ZN7rocprim17ROCPRIM_400000_NS6detail17trampoline_kernelINS0_14default_configENS1_35radix_sort_onesweep_config_selectorIdlEEZNS1_34radix_sort_onesweep_global_offsetsIS3_Lb0EPdN6thrust23THRUST_200600_302600_NS10device_ptrIlEEjNS0_19identity_decomposerEEE10hipError_tT1_T2_PT3_SG_jT4_jjP12ihipStream_tbEUlT_E_NS1_11comp_targetILNS1_3genE0ELNS1_11target_archE4294967295ELNS1_3gpuE0ELNS1_3repE0EEENS1_52radix_sort_onesweep_histogram_config_static_selectorELNS0_4arch9wavefront6targetE1EEEvSE_
                                        ; -- End function
	.section	.AMDGPU.csdata,"",@progbits
; Kernel info:
; codeLenInByte = 0
; NumSgprs: 4
; NumVgprs: 0
; NumAgprs: 0
; TotalNumVgprs: 0
; ScratchSize: 0
; MemoryBound: 0
; FloatMode: 240
; IeeeMode: 1
; LDSByteSize: 0 bytes/workgroup (compile time only)
; SGPRBlocks: 0
; VGPRBlocks: 0
; NumSGPRsForWavesPerEU: 4
; NumVGPRsForWavesPerEU: 1
; AccumOffset: 4
; Occupancy: 8
; WaveLimiterHint : 0
; COMPUTE_PGM_RSRC2:SCRATCH_EN: 0
; COMPUTE_PGM_RSRC2:USER_SGPR: 6
; COMPUTE_PGM_RSRC2:TRAP_HANDLER: 0
; COMPUTE_PGM_RSRC2:TGID_X_EN: 1
; COMPUTE_PGM_RSRC2:TGID_Y_EN: 0
; COMPUTE_PGM_RSRC2:TGID_Z_EN: 0
; COMPUTE_PGM_RSRC2:TIDIG_COMP_CNT: 0
; COMPUTE_PGM_RSRC3_GFX90A:ACCUM_OFFSET: 0
; COMPUTE_PGM_RSRC3_GFX90A:TG_SPLIT: 0
	.section	.text._ZN7rocprim17ROCPRIM_400000_NS6detail17trampoline_kernelINS0_14default_configENS1_35radix_sort_onesweep_config_selectorIdlEEZNS1_34radix_sort_onesweep_global_offsetsIS3_Lb0EPdN6thrust23THRUST_200600_302600_NS10device_ptrIlEEjNS0_19identity_decomposerEEE10hipError_tT1_T2_PT3_SG_jT4_jjP12ihipStream_tbEUlT_E_NS1_11comp_targetILNS1_3genE6ELNS1_11target_archE950ELNS1_3gpuE13ELNS1_3repE0EEENS1_52radix_sort_onesweep_histogram_config_static_selectorELNS0_4arch9wavefront6targetE1EEEvSE_,"axG",@progbits,_ZN7rocprim17ROCPRIM_400000_NS6detail17trampoline_kernelINS0_14default_configENS1_35radix_sort_onesweep_config_selectorIdlEEZNS1_34radix_sort_onesweep_global_offsetsIS3_Lb0EPdN6thrust23THRUST_200600_302600_NS10device_ptrIlEEjNS0_19identity_decomposerEEE10hipError_tT1_T2_PT3_SG_jT4_jjP12ihipStream_tbEUlT_E_NS1_11comp_targetILNS1_3genE6ELNS1_11target_archE950ELNS1_3gpuE13ELNS1_3repE0EEENS1_52radix_sort_onesweep_histogram_config_static_selectorELNS0_4arch9wavefront6targetE1EEEvSE_,comdat
	.protected	_ZN7rocprim17ROCPRIM_400000_NS6detail17trampoline_kernelINS0_14default_configENS1_35radix_sort_onesweep_config_selectorIdlEEZNS1_34radix_sort_onesweep_global_offsetsIS3_Lb0EPdN6thrust23THRUST_200600_302600_NS10device_ptrIlEEjNS0_19identity_decomposerEEE10hipError_tT1_T2_PT3_SG_jT4_jjP12ihipStream_tbEUlT_E_NS1_11comp_targetILNS1_3genE6ELNS1_11target_archE950ELNS1_3gpuE13ELNS1_3repE0EEENS1_52radix_sort_onesweep_histogram_config_static_selectorELNS0_4arch9wavefront6targetE1EEEvSE_ ; -- Begin function _ZN7rocprim17ROCPRIM_400000_NS6detail17trampoline_kernelINS0_14default_configENS1_35radix_sort_onesweep_config_selectorIdlEEZNS1_34radix_sort_onesweep_global_offsetsIS3_Lb0EPdN6thrust23THRUST_200600_302600_NS10device_ptrIlEEjNS0_19identity_decomposerEEE10hipError_tT1_T2_PT3_SG_jT4_jjP12ihipStream_tbEUlT_E_NS1_11comp_targetILNS1_3genE6ELNS1_11target_archE950ELNS1_3gpuE13ELNS1_3repE0EEENS1_52radix_sort_onesweep_histogram_config_static_selectorELNS0_4arch9wavefront6targetE1EEEvSE_
	.globl	_ZN7rocprim17ROCPRIM_400000_NS6detail17trampoline_kernelINS0_14default_configENS1_35radix_sort_onesweep_config_selectorIdlEEZNS1_34radix_sort_onesweep_global_offsetsIS3_Lb0EPdN6thrust23THRUST_200600_302600_NS10device_ptrIlEEjNS0_19identity_decomposerEEE10hipError_tT1_T2_PT3_SG_jT4_jjP12ihipStream_tbEUlT_E_NS1_11comp_targetILNS1_3genE6ELNS1_11target_archE950ELNS1_3gpuE13ELNS1_3repE0EEENS1_52radix_sort_onesweep_histogram_config_static_selectorELNS0_4arch9wavefront6targetE1EEEvSE_
	.p2align	8
	.type	_ZN7rocprim17ROCPRIM_400000_NS6detail17trampoline_kernelINS0_14default_configENS1_35radix_sort_onesweep_config_selectorIdlEEZNS1_34radix_sort_onesweep_global_offsetsIS3_Lb0EPdN6thrust23THRUST_200600_302600_NS10device_ptrIlEEjNS0_19identity_decomposerEEE10hipError_tT1_T2_PT3_SG_jT4_jjP12ihipStream_tbEUlT_E_NS1_11comp_targetILNS1_3genE6ELNS1_11target_archE950ELNS1_3gpuE13ELNS1_3repE0EEENS1_52radix_sort_onesweep_histogram_config_static_selectorELNS0_4arch9wavefront6targetE1EEEvSE_,@function
_ZN7rocprim17ROCPRIM_400000_NS6detail17trampoline_kernelINS0_14default_configENS1_35radix_sort_onesweep_config_selectorIdlEEZNS1_34radix_sort_onesweep_global_offsetsIS3_Lb0EPdN6thrust23THRUST_200600_302600_NS10device_ptrIlEEjNS0_19identity_decomposerEEE10hipError_tT1_T2_PT3_SG_jT4_jjP12ihipStream_tbEUlT_E_NS1_11comp_targetILNS1_3genE6ELNS1_11target_archE950ELNS1_3gpuE13ELNS1_3repE0EEENS1_52radix_sort_onesweep_histogram_config_static_selectorELNS0_4arch9wavefront6targetE1EEEvSE_: ; @_ZN7rocprim17ROCPRIM_400000_NS6detail17trampoline_kernelINS0_14default_configENS1_35radix_sort_onesweep_config_selectorIdlEEZNS1_34radix_sort_onesweep_global_offsetsIS3_Lb0EPdN6thrust23THRUST_200600_302600_NS10device_ptrIlEEjNS0_19identity_decomposerEEE10hipError_tT1_T2_PT3_SG_jT4_jjP12ihipStream_tbEUlT_E_NS1_11comp_targetILNS1_3genE6ELNS1_11target_archE950ELNS1_3gpuE13ELNS1_3repE0EEENS1_52radix_sort_onesweep_histogram_config_static_selectorELNS0_4arch9wavefront6targetE1EEEvSE_
; %bb.0:
	.section	.rodata,"a",@progbits
	.p2align	6, 0x0
	.amdhsa_kernel _ZN7rocprim17ROCPRIM_400000_NS6detail17trampoline_kernelINS0_14default_configENS1_35radix_sort_onesweep_config_selectorIdlEEZNS1_34radix_sort_onesweep_global_offsetsIS3_Lb0EPdN6thrust23THRUST_200600_302600_NS10device_ptrIlEEjNS0_19identity_decomposerEEE10hipError_tT1_T2_PT3_SG_jT4_jjP12ihipStream_tbEUlT_E_NS1_11comp_targetILNS1_3genE6ELNS1_11target_archE950ELNS1_3gpuE13ELNS1_3repE0EEENS1_52radix_sort_onesweep_histogram_config_static_selectorELNS0_4arch9wavefront6targetE1EEEvSE_
		.amdhsa_group_segment_fixed_size 0
		.amdhsa_private_segment_fixed_size 0
		.amdhsa_kernarg_size 40
		.amdhsa_user_sgpr_count 6
		.amdhsa_user_sgpr_private_segment_buffer 1
		.amdhsa_user_sgpr_dispatch_ptr 0
		.amdhsa_user_sgpr_queue_ptr 0
		.amdhsa_user_sgpr_kernarg_segment_ptr 1
		.amdhsa_user_sgpr_dispatch_id 0
		.amdhsa_user_sgpr_flat_scratch_init 0
		.amdhsa_user_sgpr_kernarg_preload_length 0
		.amdhsa_user_sgpr_kernarg_preload_offset 0
		.amdhsa_user_sgpr_private_segment_size 0
		.amdhsa_uses_dynamic_stack 0
		.amdhsa_system_sgpr_private_segment_wavefront_offset 0
		.amdhsa_system_sgpr_workgroup_id_x 1
		.amdhsa_system_sgpr_workgroup_id_y 0
		.amdhsa_system_sgpr_workgroup_id_z 0
		.amdhsa_system_sgpr_workgroup_info 0
		.amdhsa_system_vgpr_workitem_id 0
		.amdhsa_next_free_vgpr 1
		.amdhsa_next_free_sgpr 0
		.amdhsa_accum_offset 4
		.amdhsa_reserve_vcc 0
		.amdhsa_reserve_flat_scratch 0
		.amdhsa_float_round_mode_32 0
		.amdhsa_float_round_mode_16_64 0
		.amdhsa_float_denorm_mode_32 3
		.amdhsa_float_denorm_mode_16_64 3
		.amdhsa_dx10_clamp 1
		.amdhsa_ieee_mode 1
		.amdhsa_fp16_overflow 0
		.amdhsa_tg_split 0
		.amdhsa_exception_fp_ieee_invalid_op 0
		.amdhsa_exception_fp_denorm_src 0
		.amdhsa_exception_fp_ieee_div_zero 0
		.amdhsa_exception_fp_ieee_overflow 0
		.amdhsa_exception_fp_ieee_underflow 0
		.amdhsa_exception_fp_ieee_inexact 0
		.amdhsa_exception_int_div_zero 0
	.end_amdhsa_kernel
	.section	.text._ZN7rocprim17ROCPRIM_400000_NS6detail17trampoline_kernelINS0_14default_configENS1_35radix_sort_onesweep_config_selectorIdlEEZNS1_34radix_sort_onesweep_global_offsetsIS3_Lb0EPdN6thrust23THRUST_200600_302600_NS10device_ptrIlEEjNS0_19identity_decomposerEEE10hipError_tT1_T2_PT3_SG_jT4_jjP12ihipStream_tbEUlT_E_NS1_11comp_targetILNS1_3genE6ELNS1_11target_archE950ELNS1_3gpuE13ELNS1_3repE0EEENS1_52radix_sort_onesweep_histogram_config_static_selectorELNS0_4arch9wavefront6targetE1EEEvSE_,"axG",@progbits,_ZN7rocprim17ROCPRIM_400000_NS6detail17trampoline_kernelINS0_14default_configENS1_35radix_sort_onesweep_config_selectorIdlEEZNS1_34radix_sort_onesweep_global_offsetsIS3_Lb0EPdN6thrust23THRUST_200600_302600_NS10device_ptrIlEEjNS0_19identity_decomposerEEE10hipError_tT1_T2_PT3_SG_jT4_jjP12ihipStream_tbEUlT_E_NS1_11comp_targetILNS1_3genE6ELNS1_11target_archE950ELNS1_3gpuE13ELNS1_3repE0EEENS1_52radix_sort_onesweep_histogram_config_static_selectorELNS0_4arch9wavefront6targetE1EEEvSE_,comdat
.Lfunc_end1599:
	.size	_ZN7rocprim17ROCPRIM_400000_NS6detail17trampoline_kernelINS0_14default_configENS1_35radix_sort_onesweep_config_selectorIdlEEZNS1_34radix_sort_onesweep_global_offsetsIS3_Lb0EPdN6thrust23THRUST_200600_302600_NS10device_ptrIlEEjNS0_19identity_decomposerEEE10hipError_tT1_T2_PT3_SG_jT4_jjP12ihipStream_tbEUlT_E_NS1_11comp_targetILNS1_3genE6ELNS1_11target_archE950ELNS1_3gpuE13ELNS1_3repE0EEENS1_52radix_sort_onesweep_histogram_config_static_selectorELNS0_4arch9wavefront6targetE1EEEvSE_, .Lfunc_end1599-_ZN7rocprim17ROCPRIM_400000_NS6detail17trampoline_kernelINS0_14default_configENS1_35radix_sort_onesweep_config_selectorIdlEEZNS1_34radix_sort_onesweep_global_offsetsIS3_Lb0EPdN6thrust23THRUST_200600_302600_NS10device_ptrIlEEjNS0_19identity_decomposerEEE10hipError_tT1_T2_PT3_SG_jT4_jjP12ihipStream_tbEUlT_E_NS1_11comp_targetILNS1_3genE6ELNS1_11target_archE950ELNS1_3gpuE13ELNS1_3repE0EEENS1_52radix_sort_onesweep_histogram_config_static_selectorELNS0_4arch9wavefront6targetE1EEEvSE_
                                        ; -- End function
	.section	.AMDGPU.csdata,"",@progbits
; Kernel info:
; codeLenInByte = 0
; NumSgprs: 4
; NumVgprs: 0
; NumAgprs: 0
; TotalNumVgprs: 0
; ScratchSize: 0
; MemoryBound: 0
; FloatMode: 240
; IeeeMode: 1
; LDSByteSize: 0 bytes/workgroup (compile time only)
; SGPRBlocks: 0
; VGPRBlocks: 0
; NumSGPRsForWavesPerEU: 4
; NumVGPRsForWavesPerEU: 1
; AccumOffset: 4
; Occupancy: 8
; WaveLimiterHint : 0
; COMPUTE_PGM_RSRC2:SCRATCH_EN: 0
; COMPUTE_PGM_RSRC2:USER_SGPR: 6
; COMPUTE_PGM_RSRC2:TRAP_HANDLER: 0
; COMPUTE_PGM_RSRC2:TGID_X_EN: 1
; COMPUTE_PGM_RSRC2:TGID_Y_EN: 0
; COMPUTE_PGM_RSRC2:TGID_Z_EN: 0
; COMPUTE_PGM_RSRC2:TIDIG_COMP_CNT: 0
; COMPUTE_PGM_RSRC3_GFX90A:ACCUM_OFFSET: 0
; COMPUTE_PGM_RSRC3_GFX90A:TG_SPLIT: 0
	.section	.text._ZN7rocprim17ROCPRIM_400000_NS6detail17trampoline_kernelINS0_14default_configENS1_35radix_sort_onesweep_config_selectorIdlEEZNS1_34radix_sort_onesweep_global_offsetsIS3_Lb0EPdN6thrust23THRUST_200600_302600_NS10device_ptrIlEEjNS0_19identity_decomposerEEE10hipError_tT1_T2_PT3_SG_jT4_jjP12ihipStream_tbEUlT_E_NS1_11comp_targetILNS1_3genE5ELNS1_11target_archE942ELNS1_3gpuE9ELNS1_3repE0EEENS1_52radix_sort_onesweep_histogram_config_static_selectorELNS0_4arch9wavefront6targetE1EEEvSE_,"axG",@progbits,_ZN7rocprim17ROCPRIM_400000_NS6detail17trampoline_kernelINS0_14default_configENS1_35radix_sort_onesweep_config_selectorIdlEEZNS1_34radix_sort_onesweep_global_offsetsIS3_Lb0EPdN6thrust23THRUST_200600_302600_NS10device_ptrIlEEjNS0_19identity_decomposerEEE10hipError_tT1_T2_PT3_SG_jT4_jjP12ihipStream_tbEUlT_E_NS1_11comp_targetILNS1_3genE5ELNS1_11target_archE942ELNS1_3gpuE9ELNS1_3repE0EEENS1_52radix_sort_onesweep_histogram_config_static_selectorELNS0_4arch9wavefront6targetE1EEEvSE_,comdat
	.protected	_ZN7rocprim17ROCPRIM_400000_NS6detail17trampoline_kernelINS0_14default_configENS1_35radix_sort_onesweep_config_selectorIdlEEZNS1_34radix_sort_onesweep_global_offsetsIS3_Lb0EPdN6thrust23THRUST_200600_302600_NS10device_ptrIlEEjNS0_19identity_decomposerEEE10hipError_tT1_T2_PT3_SG_jT4_jjP12ihipStream_tbEUlT_E_NS1_11comp_targetILNS1_3genE5ELNS1_11target_archE942ELNS1_3gpuE9ELNS1_3repE0EEENS1_52radix_sort_onesweep_histogram_config_static_selectorELNS0_4arch9wavefront6targetE1EEEvSE_ ; -- Begin function _ZN7rocprim17ROCPRIM_400000_NS6detail17trampoline_kernelINS0_14default_configENS1_35radix_sort_onesweep_config_selectorIdlEEZNS1_34radix_sort_onesweep_global_offsetsIS3_Lb0EPdN6thrust23THRUST_200600_302600_NS10device_ptrIlEEjNS0_19identity_decomposerEEE10hipError_tT1_T2_PT3_SG_jT4_jjP12ihipStream_tbEUlT_E_NS1_11comp_targetILNS1_3genE5ELNS1_11target_archE942ELNS1_3gpuE9ELNS1_3repE0EEENS1_52radix_sort_onesweep_histogram_config_static_selectorELNS0_4arch9wavefront6targetE1EEEvSE_
	.globl	_ZN7rocprim17ROCPRIM_400000_NS6detail17trampoline_kernelINS0_14default_configENS1_35radix_sort_onesweep_config_selectorIdlEEZNS1_34radix_sort_onesweep_global_offsetsIS3_Lb0EPdN6thrust23THRUST_200600_302600_NS10device_ptrIlEEjNS0_19identity_decomposerEEE10hipError_tT1_T2_PT3_SG_jT4_jjP12ihipStream_tbEUlT_E_NS1_11comp_targetILNS1_3genE5ELNS1_11target_archE942ELNS1_3gpuE9ELNS1_3repE0EEENS1_52radix_sort_onesweep_histogram_config_static_selectorELNS0_4arch9wavefront6targetE1EEEvSE_
	.p2align	8
	.type	_ZN7rocprim17ROCPRIM_400000_NS6detail17trampoline_kernelINS0_14default_configENS1_35radix_sort_onesweep_config_selectorIdlEEZNS1_34radix_sort_onesweep_global_offsetsIS3_Lb0EPdN6thrust23THRUST_200600_302600_NS10device_ptrIlEEjNS0_19identity_decomposerEEE10hipError_tT1_T2_PT3_SG_jT4_jjP12ihipStream_tbEUlT_E_NS1_11comp_targetILNS1_3genE5ELNS1_11target_archE942ELNS1_3gpuE9ELNS1_3repE0EEENS1_52radix_sort_onesweep_histogram_config_static_selectorELNS0_4arch9wavefront6targetE1EEEvSE_,@function
_ZN7rocprim17ROCPRIM_400000_NS6detail17trampoline_kernelINS0_14default_configENS1_35radix_sort_onesweep_config_selectorIdlEEZNS1_34radix_sort_onesweep_global_offsetsIS3_Lb0EPdN6thrust23THRUST_200600_302600_NS10device_ptrIlEEjNS0_19identity_decomposerEEE10hipError_tT1_T2_PT3_SG_jT4_jjP12ihipStream_tbEUlT_E_NS1_11comp_targetILNS1_3genE5ELNS1_11target_archE942ELNS1_3gpuE9ELNS1_3repE0EEENS1_52radix_sort_onesweep_histogram_config_static_selectorELNS0_4arch9wavefront6targetE1EEEvSE_: ; @_ZN7rocprim17ROCPRIM_400000_NS6detail17trampoline_kernelINS0_14default_configENS1_35radix_sort_onesweep_config_selectorIdlEEZNS1_34radix_sort_onesweep_global_offsetsIS3_Lb0EPdN6thrust23THRUST_200600_302600_NS10device_ptrIlEEjNS0_19identity_decomposerEEE10hipError_tT1_T2_PT3_SG_jT4_jjP12ihipStream_tbEUlT_E_NS1_11comp_targetILNS1_3genE5ELNS1_11target_archE942ELNS1_3gpuE9ELNS1_3repE0EEENS1_52radix_sort_onesweep_histogram_config_static_selectorELNS0_4arch9wavefront6targetE1EEEvSE_
; %bb.0:
	.section	.rodata,"a",@progbits
	.p2align	6, 0x0
	.amdhsa_kernel _ZN7rocprim17ROCPRIM_400000_NS6detail17trampoline_kernelINS0_14default_configENS1_35radix_sort_onesweep_config_selectorIdlEEZNS1_34radix_sort_onesweep_global_offsetsIS3_Lb0EPdN6thrust23THRUST_200600_302600_NS10device_ptrIlEEjNS0_19identity_decomposerEEE10hipError_tT1_T2_PT3_SG_jT4_jjP12ihipStream_tbEUlT_E_NS1_11comp_targetILNS1_3genE5ELNS1_11target_archE942ELNS1_3gpuE9ELNS1_3repE0EEENS1_52radix_sort_onesweep_histogram_config_static_selectorELNS0_4arch9wavefront6targetE1EEEvSE_
		.amdhsa_group_segment_fixed_size 0
		.amdhsa_private_segment_fixed_size 0
		.amdhsa_kernarg_size 40
		.amdhsa_user_sgpr_count 6
		.amdhsa_user_sgpr_private_segment_buffer 1
		.amdhsa_user_sgpr_dispatch_ptr 0
		.amdhsa_user_sgpr_queue_ptr 0
		.amdhsa_user_sgpr_kernarg_segment_ptr 1
		.amdhsa_user_sgpr_dispatch_id 0
		.amdhsa_user_sgpr_flat_scratch_init 0
		.amdhsa_user_sgpr_kernarg_preload_length 0
		.amdhsa_user_sgpr_kernarg_preload_offset 0
		.amdhsa_user_sgpr_private_segment_size 0
		.amdhsa_uses_dynamic_stack 0
		.amdhsa_system_sgpr_private_segment_wavefront_offset 0
		.amdhsa_system_sgpr_workgroup_id_x 1
		.amdhsa_system_sgpr_workgroup_id_y 0
		.amdhsa_system_sgpr_workgroup_id_z 0
		.amdhsa_system_sgpr_workgroup_info 0
		.amdhsa_system_vgpr_workitem_id 0
		.amdhsa_next_free_vgpr 1
		.amdhsa_next_free_sgpr 0
		.amdhsa_accum_offset 4
		.amdhsa_reserve_vcc 0
		.amdhsa_reserve_flat_scratch 0
		.amdhsa_float_round_mode_32 0
		.amdhsa_float_round_mode_16_64 0
		.amdhsa_float_denorm_mode_32 3
		.amdhsa_float_denorm_mode_16_64 3
		.amdhsa_dx10_clamp 1
		.amdhsa_ieee_mode 1
		.amdhsa_fp16_overflow 0
		.amdhsa_tg_split 0
		.amdhsa_exception_fp_ieee_invalid_op 0
		.amdhsa_exception_fp_denorm_src 0
		.amdhsa_exception_fp_ieee_div_zero 0
		.amdhsa_exception_fp_ieee_overflow 0
		.amdhsa_exception_fp_ieee_underflow 0
		.amdhsa_exception_fp_ieee_inexact 0
		.amdhsa_exception_int_div_zero 0
	.end_amdhsa_kernel
	.section	.text._ZN7rocprim17ROCPRIM_400000_NS6detail17trampoline_kernelINS0_14default_configENS1_35radix_sort_onesweep_config_selectorIdlEEZNS1_34radix_sort_onesweep_global_offsetsIS3_Lb0EPdN6thrust23THRUST_200600_302600_NS10device_ptrIlEEjNS0_19identity_decomposerEEE10hipError_tT1_T2_PT3_SG_jT4_jjP12ihipStream_tbEUlT_E_NS1_11comp_targetILNS1_3genE5ELNS1_11target_archE942ELNS1_3gpuE9ELNS1_3repE0EEENS1_52radix_sort_onesweep_histogram_config_static_selectorELNS0_4arch9wavefront6targetE1EEEvSE_,"axG",@progbits,_ZN7rocprim17ROCPRIM_400000_NS6detail17trampoline_kernelINS0_14default_configENS1_35radix_sort_onesweep_config_selectorIdlEEZNS1_34radix_sort_onesweep_global_offsetsIS3_Lb0EPdN6thrust23THRUST_200600_302600_NS10device_ptrIlEEjNS0_19identity_decomposerEEE10hipError_tT1_T2_PT3_SG_jT4_jjP12ihipStream_tbEUlT_E_NS1_11comp_targetILNS1_3genE5ELNS1_11target_archE942ELNS1_3gpuE9ELNS1_3repE0EEENS1_52radix_sort_onesweep_histogram_config_static_selectorELNS0_4arch9wavefront6targetE1EEEvSE_,comdat
.Lfunc_end1600:
	.size	_ZN7rocprim17ROCPRIM_400000_NS6detail17trampoline_kernelINS0_14default_configENS1_35radix_sort_onesweep_config_selectorIdlEEZNS1_34radix_sort_onesweep_global_offsetsIS3_Lb0EPdN6thrust23THRUST_200600_302600_NS10device_ptrIlEEjNS0_19identity_decomposerEEE10hipError_tT1_T2_PT3_SG_jT4_jjP12ihipStream_tbEUlT_E_NS1_11comp_targetILNS1_3genE5ELNS1_11target_archE942ELNS1_3gpuE9ELNS1_3repE0EEENS1_52radix_sort_onesweep_histogram_config_static_selectorELNS0_4arch9wavefront6targetE1EEEvSE_, .Lfunc_end1600-_ZN7rocprim17ROCPRIM_400000_NS6detail17trampoline_kernelINS0_14default_configENS1_35radix_sort_onesweep_config_selectorIdlEEZNS1_34radix_sort_onesweep_global_offsetsIS3_Lb0EPdN6thrust23THRUST_200600_302600_NS10device_ptrIlEEjNS0_19identity_decomposerEEE10hipError_tT1_T2_PT3_SG_jT4_jjP12ihipStream_tbEUlT_E_NS1_11comp_targetILNS1_3genE5ELNS1_11target_archE942ELNS1_3gpuE9ELNS1_3repE0EEENS1_52radix_sort_onesweep_histogram_config_static_selectorELNS0_4arch9wavefront6targetE1EEEvSE_
                                        ; -- End function
	.section	.AMDGPU.csdata,"",@progbits
; Kernel info:
; codeLenInByte = 0
; NumSgprs: 4
; NumVgprs: 0
; NumAgprs: 0
; TotalNumVgprs: 0
; ScratchSize: 0
; MemoryBound: 0
; FloatMode: 240
; IeeeMode: 1
; LDSByteSize: 0 bytes/workgroup (compile time only)
; SGPRBlocks: 0
; VGPRBlocks: 0
; NumSGPRsForWavesPerEU: 4
; NumVGPRsForWavesPerEU: 1
; AccumOffset: 4
; Occupancy: 8
; WaveLimiterHint : 0
; COMPUTE_PGM_RSRC2:SCRATCH_EN: 0
; COMPUTE_PGM_RSRC2:USER_SGPR: 6
; COMPUTE_PGM_RSRC2:TRAP_HANDLER: 0
; COMPUTE_PGM_RSRC2:TGID_X_EN: 1
; COMPUTE_PGM_RSRC2:TGID_Y_EN: 0
; COMPUTE_PGM_RSRC2:TGID_Z_EN: 0
; COMPUTE_PGM_RSRC2:TIDIG_COMP_CNT: 0
; COMPUTE_PGM_RSRC3_GFX90A:ACCUM_OFFSET: 0
; COMPUTE_PGM_RSRC3_GFX90A:TG_SPLIT: 0
	.section	.text._ZN7rocprim17ROCPRIM_400000_NS6detail17trampoline_kernelINS0_14default_configENS1_35radix_sort_onesweep_config_selectorIdlEEZNS1_34radix_sort_onesweep_global_offsetsIS3_Lb0EPdN6thrust23THRUST_200600_302600_NS10device_ptrIlEEjNS0_19identity_decomposerEEE10hipError_tT1_T2_PT3_SG_jT4_jjP12ihipStream_tbEUlT_E_NS1_11comp_targetILNS1_3genE2ELNS1_11target_archE906ELNS1_3gpuE6ELNS1_3repE0EEENS1_52radix_sort_onesweep_histogram_config_static_selectorELNS0_4arch9wavefront6targetE1EEEvSE_,"axG",@progbits,_ZN7rocprim17ROCPRIM_400000_NS6detail17trampoline_kernelINS0_14default_configENS1_35radix_sort_onesweep_config_selectorIdlEEZNS1_34radix_sort_onesweep_global_offsetsIS3_Lb0EPdN6thrust23THRUST_200600_302600_NS10device_ptrIlEEjNS0_19identity_decomposerEEE10hipError_tT1_T2_PT3_SG_jT4_jjP12ihipStream_tbEUlT_E_NS1_11comp_targetILNS1_3genE2ELNS1_11target_archE906ELNS1_3gpuE6ELNS1_3repE0EEENS1_52radix_sort_onesweep_histogram_config_static_selectorELNS0_4arch9wavefront6targetE1EEEvSE_,comdat
	.protected	_ZN7rocprim17ROCPRIM_400000_NS6detail17trampoline_kernelINS0_14default_configENS1_35radix_sort_onesweep_config_selectorIdlEEZNS1_34radix_sort_onesweep_global_offsetsIS3_Lb0EPdN6thrust23THRUST_200600_302600_NS10device_ptrIlEEjNS0_19identity_decomposerEEE10hipError_tT1_T2_PT3_SG_jT4_jjP12ihipStream_tbEUlT_E_NS1_11comp_targetILNS1_3genE2ELNS1_11target_archE906ELNS1_3gpuE6ELNS1_3repE0EEENS1_52radix_sort_onesweep_histogram_config_static_selectorELNS0_4arch9wavefront6targetE1EEEvSE_ ; -- Begin function _ZN7rocprim17ROCPRIM_400000_NS6detail17trampoline_kernelINS0_14default_configENS1_35radix_sort_onesweep_config_selectorIdlEEZNS1_34radix_sort_onesweep_global_offsetsIS3_Lb0EPdN6thrust23THRUST_200600_302600_NS10device_ptrIlEEjNS0_19identity_decomposerEEE10hipError_tT1_T2_PT3_SG_jT4_jjP12ihipStream_tbEUlT_E_NS1_11comp_targetILNS1_3genE2ELNS1_11target_archE906ELNS1_3gpuE6ELNS1_3repE0EEENS1_52radix_sort_onesweep_histogram_config_static_selectorELNS0_4arch9wavefront6targetE1EEEvSE_
	.globl	_ZN7rocprim17ROCPRIM_400000_NS6detail17trampoline_kernelINS0_14default_configENS1_35radix_sort_onesweep_config_selectorIdlEEZNS1_34radix_sort_onesweep_global_offsetsIS3_Lb0EPdN6thrust23THRUST_200600_302600_NS10device_ptrIlEEjNS0_19identity_decomposerEEE10hipError_tT1_T2_PT3_SG_jT4_jjP12ihipStream_tbEUlT_E_NS1_11comp_targetILNS1_3genE2ELNS1_11target_archE906ELNS1_3gpuE6ELNS1_3repE0EEENS1_52radix_sort_onesweep_histogram_config_static_selectorELNS0_4arch9wavefront6targetE1EEEvSE_
	.p2align	8
	.type	_ZN7rocprim17ROCPRIM_400000_NS6detail17trampoline_kernelINS0_14default_configENS1_35radix_sort_onesweep_config_selectorIdlEEZNS1_34radix_sort_onesweep_global_offsetsIS3_Lb0EPdN6thrust23THRUST_200600_302600_NS10device_ptrIlEEjNS0_19identity_decomposerEEE10hipError_tT1_T2_PT3_SG_jT4_jjP12ihipStream_tbEUlT_E_NS1_11comp_targetILNS1_3genE2ELNS1_11target_archE906ELNS1_3gpuE6ELNS1_3repE0EEENS1_52radix_sort_onesweep_histogram_config_static_selectorELNS0_4arch9wavefront6targetE1EEEvSE_,@function
_ZN7rocprim17ROCPRIM_400000_NS6detail17trampoline_kernelINS0_14default_configENS1_35radix_sort_onesweep_config_selectorIdlEEZNS1_34radix_sort_onesweep_global_offsetsIS3_Lb0EPdN6thrust23THRUST_200600_302600_NS10device_ptrIlEEjNS0_19identity_decomposerEEE10hipError_tT1_T2_PT3_SG_jT4_jjP12ihipStream_tbEUlT_E_NS1_11comp_targetILNS1_3genE2ELNS1_11target_archE906ELNS1_3gpuE6ELNS1_3repE0EEENS1_52radix_sort_onesweep_histogram_config_static_selectorELNS0_4arch9wavefront6targetE1EEEvSE_: ; @_ZN7rocprim17ROCPRIM_400000_NS6detail17trampoline_kernelINS0_14default_configENS1_35radix_sort_onesweep_config_selectorIdlEEZNS1_34radix_sort_onesweep_global_offsetsIS3_Lb0EPdN6thrust23THRUST_200600_302600_NS10device_ptrIlEEjNS0_19identity_decomposerEEE10hipError_tT1_T2_PT3_SG_jT4_jjP12ihipStream_tbEUlT_E_NS1_11comp_targetILNS1_3genE2ELNS1_11target_archE906ELNS1_3gpuE6ELNS1_3repE0EEENS1_52radix_sort_onesweep_histogram_config_static_selectorELNS0_4arch9wavefront6targetE1EEEvSE_
; %bb.0:
	.section	.rodata,"a",@progbits
	.p2align	6, 0x0
	.amdhsa_kernel _ZN7rocprim17ROCPRIM_400000_NS6detail17trampoline_kernelINS0_14default_configENS1_35radix_sort_onesweep_config_selectorIdlEEZNS1_34radix_sort_onesweep_global_offsetsIS3_Lb0EPdN6thrust23THRUST_200600_302600_NS10device_ptrIlEEjNS0_19identity_decomposerEEE10hipError_tT1_T2_PT3_SG_jT4_jjP12ihipStream_tbEUlT_E_NS1_11comp_targetILNS1_3genE2ELNS1_11target_archE906ELNS1_3gpuE6ELNS1_3repE0EEENS1_52radix_sort_onesweep_histogram_config_static_selectorELNS0_4arch9wavefront6targetE1EEEvSE_
		.amdhsa_group_segment_fixed_size 0
		.amdhsa_private_segment_fixed_size 0
		.amdhsa_kernarg_size 40
		.amdhsa_user_sgpr_count 6
		.amdhsa_user_sgpr_private_segment_buffer 1
		.amdhsa_user_sgpr_dispatch_ptr 0
		.amdhsa_user_sgpr_queue_ptr 0
		.amdhsa_user_sgpr_kernarg_segment_ptr 1
		.amdhsa_user_sgpr_dispatch_id 0
		.amdhsa_user_sgpr_flat_scratch_init 0
		.amdhsa_user_sgpr_kernarg_preload_length 0
		.amdhsa_user_sgpr_kernarg_preload_offset 0
		.amdhsa_user_sgpr_private_segment_size 0
		.amdhsa_uses_dynamic_stack 0
		.amdhsa_system_sgpr_private_segment_wavefront_offset 0
		.amdhsa_system_sgpr_workgroup_id_x 1
		.amdhsa_system_sgpr_workgroup_id_y 0
		.amdhsa_system_sgpr_workgroup_id_z 0
		.amdhsa_system_sgpr_workgroup_info 0
		.amdhsa_system_vgpr_workitem_id 0
		.amdhsa_next_free_vgpr 1
		.amdhsa_next_free_sgpr 0
		.amdhsa_accum_offset 4
		.amdhsa_reserve_vcc 0
		.amdhsa_reserve_flat_scratch 0
		.amdhsa_float_round_mode_32 0
		.amdhsa_float_round_mode_16_64 0
		.amdhsa_float_denorm_mode_32 3
		.amdhsa_float_denorm_mode_16_64 3
		.amdhsa_dx10_clamp 1
		.amdhsa_ieee_mode 1
		.amdhsa_fp16_overflow 0
		.amdhsa_tg_split 0
		.amdhsa_exception_fp_ieee_invalid_op 0
		.amdhsa_exception_fp_denorm_src 0
		.amdhsa_exception_fp_ieee_div_zero 0
		.amdhsa_exception_fp_ieee_overflow 0
		.amdhsa_exception_fp_ieee_underflow 0
		.amdhsa_exception_fp_ieee_inexact 0
		.amdhsa_exception_int_div_zero 0
	.end_amdhsa_kernel
	.section	.text._ZN7rocprim17ROCPRIM_400000_NS6detail17trampoline_kernelINS0_14default_configENS1_35radix_sort_onesweep_config_selectorIdlEEZNS1_34radix_sort_onesweep_global_offsetsIS3_Lb0EPdN6thrust23THRUST_200600_302600_NS10device_ptrIlEEjNS0_19identity_decomposerEEE10hipError_tT1_T2_PT3_SG_jT4_jjP12ihipStream_tbEUlT_E_NS1_11comp_targetILNS1_3genE2ELNS1_11target_archE906ELNS1_3gpuE6ELNS1_3repE0EEENS1_52radix_sort_onesweep_histogram_config_static_selectorELNS0_4arch9wavefront6targetE1EEEvSE_,"axG",@progbits,_ZN7rocprim17ROCPRIM_400000_NS6detail17trampoline_kernelINS0_14default_configENS1_35radix_sort_onesweep_config_selectorIdlEEZNS1_34radix_sort_onesweep_global_offsetsIS3_Lb0EPdN6thrust23THRUST_200600_302600_NS10device_ptrIlEEjNS0_19identity_decomposerEEE10hipError_tT1_T2_PT3_SG_jT4_jjP12ihipStream_tbEUlT_E_NS1_11comp_targetILNS1_3genE2ELNS1_11target_archE906ELNS1_3gpuE6ELNS1_3repE0EEENS1_52radix_sort_onesweep_histogram_config_static_selectorELNS0_4arch9wavefront6targetE1EEEvSE_,comdat
.Lfunc_end1601:
	.size	_ZN7rocprim17ROCPRIM_400000_NS6detail17trampoline_kernelINS0_14default_configENS1_35radix_sort_onesweep_config_selectorIdlEEZNS1_34radix_sort_onesweep_global_offsetsIS3_Lb0EPdN6thrust23THRUST_200600_302600_NS10device_ptrIlEEjNS0_19identity_decomposerEEE10hipError_tT1_T2_PT3_SG_jT4_jjP12ihipStream_tbEUlT_E_NS1_11comp_targetILNS1_3genE2ELNS1_11target_archE906ELNS1_3gpuE6ELNS1_3repE0EEENS1_52radix_sort_onesweep_histogram_config_static_selectorELNS0_4arch9wavefront6targetE1EEEvSE_, .Lfunc_end1601-_ZN7rocprim17ROCPRIM_400000_NS6detail17trampoline_kernelINS0_14default_configENS1_35radix_sort_onesweep_config_selectorIdlEEZNS1_34radix_sort_onesweep_global_offsetsIS3_Lb0EPdN6thrust23THRUST_200600_302600_NS10device_ptrIlEEjNS0_19identity_decomposerEEE10hipError_tT1_T2_PT3_SG_jT4_jjP12ihipStream_tbEUlT_E_NS1_11comp_targetILNS1_3genE2ELNS1_11target_archE906ELNS1_3gpuE6ELNS1_3repE0EEENS1_52radix_sort_onesweep_histogram_config_static_selectorELNS0_4arch9wavefront6targetE1EEEvSE_
                                        ; -- End function
	.section	.AMDGPU.csdata,"",@progbits
; Kernel info:
; codeLenInByte = 0
; NumSgprs: 4
; NumVgprs: 0
; NumAgprs: 0
; TotalNumVgprs: 0
; ScratchSize: 0
; MemoryBound: 0
; FloatMode: 240
; IeeeMode: 1
; LDSByteSize: 0 bytes/workgroup (compile time only)
; SGPRBlocks: 0
; VGPRBlocks: 0
; NumSGPRsForWavesPerEU: 4
; NumVGPRsForWavesPerEU: 1
; AccumOffset: 4
; Occupancy: 8
; WaveLimiterHint : 0
; COMPUTE_PGM_RSRC2:SCRATCH_EN: 0
; COMPUTE_PGM_RSRC2:USER_SGPR: 6
; COMPUTE_PGM_RSRC2:TRAP_HANDLER: 0
; COMPUTE_PGM_RSRC2:TGID_X_EN: 1
; COMPUTE_PGM_RSRC2:TGID_Y_EN: 0
; COMPUTE_PGM_RSRC2:TGID_Z_EN: 0
; COMPUTE_PGM_RSRC2:TIDIG_COMP_CNT: 0
; COMPUTE_PGM_RSRC3_GFX90A:ACCUM_OFFSET: 0
; COMPUTE_PGM_RSRC3_GFX90A:TG_SPLIT: 0
	.section	.text._ZN7rocprim17ROCPRIM_400000_NS6detail17trampoline_kernelINS0_14default_configENS1_35radix_sort_onesweep_config_selectorIdlEEZNS1_34radix_sort_onesweep_global_offsetsIS3_Lb0EPdN6thrust23THRUST_200600_302600_NS10device_ptrIlEEjNS0_19identity_decomposerEEE10hipError_tT1_T2_PT3_SG_jT4_jjP12ihipStream_tbEUlT_E_NS1_11comp_targetILNS1_3genE4ELNS1_11target_archE910ELNS1_3gpuE8ELNS1_3repE0EEENS1_52radix_sort_onesweep_histogram_config_static_selectorELNS0_4arch9wavefront6targetE1EEEvSE_,"axG",@progbits,_ZN7rocprim17ROCPRIM_400000_NS6detail17trampoline_kernelINS0_14default_configENS1_35radix_sort_onesweep_config_selectorIdlEEZNS1_34radix_sort_onesweep_global_offsetsIS3_Lb0EPdN6thrust23THRUST_200600_302600_NS10device_ptrIlEEjNS0_19identity_decomposerEEE10hipError_tT1_T2_PT3_SG_jT4_jjP12ihipStream_tbEUlT_E_NS1_11comp_targetILNS1_3genE4ELNS1_11target_archE910ELNS1_3gpuE8ELNS1_3repE0EEENS1_52radix_sort_onesweep_histogram_config_static_selectorELNS0_4arch9wavefront6targetE1EEEvSE_,comdat
	.protected	_ZN7rocprim17ROCPRIM_400000_NS6detail17trampoline_kernelINS0_14default_configENS1_35radix_sort_onesweep_config_selectorIdlEEZNS1_34radix_sort_onesweep_global_offsetsIS3_Lb0EPdN6thrust23THRUST_200600_302600_NS10device_ptrIlEEjNS0_19identity_decomposerEEE10hipError_tT1_T2_PT3_SG_jT4_jjP12ihipStream_tbEUlT_E_NS1_11comp_targetILNS1_3genE4ELNS1_11target_archE910ELNS1_3gpuE8ELNS1_3repE0EEENS1_52radix_sort_onesweep_histogram_config_static_selectorELNS0_4arch9wavefront6targetE1EEEvSE_ ; -- Begin function _ZN7rocprim17ROCPRIM_400000_NS6detail17trampoline_kernelINS0_14default_configENS1_35radix_sort_onesweep_config_selectorIdlEEZNS1_34radix_sort_onesweep_global_offsetsIS3_Lb0EPdN6thrust23THRUST_200600_302600_NS10device_ptrIlEEjNS0_19identity_decomposerEEE10hipError_tT1_T2_PT3_SG_jT4_jjP12ihipStream_tbEUlT_E_NS1_11comp_targetILNS1_3genE4ELNS1_11target_archE910ELNS1_3gpuE8ELNS1_3repE0EEENS1_52radix_sort_onesweep_histogram_config_static_selectorELNS0_4arch9wavefront6targetE1EEEvSE_
	.globl	_ZN7rocprim17ROCPRIM_400000_NS6detail17trampoline_kernelINS0_14default_configENS1_35radix_sort_onesweep_config_selectorIdlEEZNS1_34radix_sort_onesweep_global_offsetsIS3_Lb0EPdN6thrust23THRUST_200600_302600_NS10device_ptrIlEEjNS0_19identity_decomposerEEE10hipError_tT1_T2_PT3_SG_jT4_jjP12ihipStream_tbEUlT_E_NS1_11comp_targetILNS1_3genE4ELNS1_11target_archE910ELNS1_3gpuE8ELNS1_3repE0EEENS1_52radix_sort_onesweep_histogram_config_static_selectorELNS0_4arch9wavefront6targetE1EEEvSE_
	.p2align	8
	.type	_ZN7rocprim17ROCPRIM_400000_NS6detail17trampoline_kernelINS0_14default_configENS1_35radix_sort_onesweep_config_selectorIdlEEZNS1_34radix_sort_onesweep_global_offsetsIS3_Lb0EPdN6thrust23THRUST_200600_302600_NS10device_ptrIlEEjNS0_19identity_decomposerEEE10hipError_tT1_T2_PT3_SG_jT4_jjP12ihipStream_tbEUlT_E_NS1_11comp_targetILNS1_3genE4ELNS1_11target_archE910ELNS1_3gpuE8ELNS1_3repE0EEENS1_52radix_sort_onesweep_histogram_config_static_selectorELNS0_4arch9wavefront6targetE1EEEvSE_,@function
_ZN7rocprim17ROCPRIM_400000_NS6detail17trampoline_kernelINS0_14default_configENS1_35radix_sort_onesweep_config_selectorIdlEEZNS1_34radix_sort_onesweep_global_offsetsIS3_Lb0EPdN6thrust23THRUST_200600_302600_NS10device_ptrIlEEjNS0_19identity_decomposerEEE10hipError_tT1_T2_PT3_SG_jT4_jjP12ihipStream_tbEUlT_E_NS1_11comp_targetILNS1_3genE4ELNS1_11target_archE910ELNS1_3gpuE8ELNS1_3repE0EEENS1_52radix_sort_onesweep_histogram_config_static_selectorELNS0_4arch9wavefront6targetE1EEEvSE_: ; @_ZN7rocprim17ROCPRIM_400000_NS6detail17trampoline_kernelINS0_14default_configENS1_35radix_sort_onesweep_config_selectorIdlEEZNS1_34radix_sort_onesweep_global_offsetsIS3_Lb0EPdN6thrust23THRUST_200600_302600_NS10device_ptrIlEEjNS0_19identity_decomposerEEE10hipError_tT1_T2_PT3_SG_jT4_jjP12ihipStream_tbEUlT_E_NS1_11comp_targetILNS1_3genE4ELNS1_11target_archE910ELNS1_3gpuE8ELNS1_3repE0EEENS1_52radix_sort_onesweep_histogram_config_static_selectorELNS0_4arch9wavefront6targetE1EEEvSE_
; %bb.0:
	s_load_dword s7, s[4:5], 0x14
	s_load_dwordx4 s[8:11], s[4:5], 0x0
	s_load_dwordx2 s[2:3], s[4:5], 0x1c
	s_lshl_b32 s12, s6, 13
	s_mov_b64 s[0:1], -1
	s_waitcnt lgkmcnt(0)
	s_cmp_ge_u32 s6, s7
	s_cbranch_scc0 .LBB1602_319
; %bb.1:
	s_load_dword s4, s[4:5], 0x10
	s_lshl_b32 s5, s7, 13
	s_mov_b32 s13, 0
	s_lshl_b64 s[0:1], s[12:13], 3
                                        ; implicit-def: $vgpr16_vgpr17
	s_waitcnt lgkmcnt(0)
	s_sub_i32 s13, s4, s5
	s_add_u32 s0, s8, s0
	s_addc_u32 s1, s9, s1
	v_cmp_gt_u32_e32 vcc, s13, v0
	s_and_saveexec_b64 s[4:5], vcc
	s_cbranch_execz .LBB1602_3
; %bb.2:
	v_lshlrev_b32_e32 v1, 3, v0
	global_load_dwordx2 v[16:17], v1, s[0:1]
.LBB1602_3:
	s_or_b64 exec, exec, s[4:5]
	v_or_b32_e32 v24, 0x400, v0
	v_cmp_gt_u32_e32 vcc, s13, v24
                                        ; implicit-def: $vgpr14_vgpr15
	s_and_saveexec_b64 s[4:5], vcc
	s_cbranch_execz .LBB1602_5
; %bb.4:
	v_lshlrev_b32_e32 v1, 3, v24
	global_load_dwordx2 v[14:15], v1, s[0:1]
.LBB1602_5:
	s_or_b64 exec, exec, s[4:5]
	v_or_b32_e32 v23, 0x800, v0
	v_cmp_gt_u32_e32 vcc, s13, v23
                                        ; implicit-def: $vgpr12_vgpr13
	s_and_saveexec_b64 s[4:5], vcc
	s_cbranch_execz .LBB1602_7
; %bb.6:
	v_lshlrev_b32_e32 v1, 3, v23
	global_load_dwordx2 v[12:13], v1, s[0:1]
.LBB1602_7:
	s_or_b64 exec, exec, s[4:5]
	v_or_b32_e32 v22, 0xc00, v0
	v_cmp_gt_u32_e32 vcc, s13, v22
                                        ; implicit-def: $vgpr10_vgpr11
	s_and_saveexec_b64 s[4:5], vcc
	s_cbranch_execz .LBB1602_9
; %bb.8:
	v_lshlrev_b32_e32 v1, 3, v22
	global_load_dwordx2 v[10:11], v1, s[0:1]
.LBB1602_9:
	s_or_b64 exec, exec, s[4:5]
	v_or_b32_e32 v21, 0x1000, v0
	v_cmp_gt_u32_e32 vcc, s13, v21
                                        ; implicit-def: $vgpr8_vgpr9
	s_and_saveexec_b64 s[4:5], vcc
	s_cbranch_execz .LBB1602_11
; %bb.10:
	v_lshlrev_b32_e32 v1, 3, v21
	global_load_dwordx2 v[8:9], v1, s[0:1]
.LBB1602_11:
	s_or_b64 exec, exec, s[4:5]
	v_or_b32_e32 v20, 0x1400, v0
	v_cmp_gt_u32_e32 vcc, s13, v20
                                        ; implicit-def: $vgpr6_vgpr7
	s_and_saveexec_b64 s[4:5], vcc
	s_cbranch_execz .LBB1602_13
; %bb.12:
	v_lshlrev_b32_e32 v1, 3, v20
	global_load_dwordx2 v[6:7], v1, s[0:1]
.LBB1602_13:
	s_or_b64 exec, exec, s[4:5]
	v_or_b32_e32 v19, 0x1800, v0
	v_cmp_gt_u32_e32 vcc, s13, v19
                                        ; implicit-def: $vgpr4_vgpr5
	s_and_saveexec_b64 s[4:5], vcc
	s_cbranch_execz .LBB1602_15
; %bb.14:
	v_lshlrev_b32_e32 v1, 3, v19
	global_load_dwordx2 v[4:5], v1, s[0:1]
.LBB1602_15:
	s_or_b64 exec, exec, s[4:5]
	v_or_b32_e32 v18, 0x1c00, v0
	v_cmp_gt_u32_e32 vcc, s13, v18
                                        ; implicit-def: $vgpr2_vgpr3
	s_and_saveexec_b64 s[4:5], vcc
	s_cbranch_execz .LBB1602_17
; %bb.16:
	v_lshlrev_b32_e32 v1, 3, v18
	global_load_dwordx2 v[2:3], v1, s[0:1]
.LBB1602_17:
	s_or_b64 exec, exec, s[4:5]
	v_lshlrev_b32_e32 v25, 2, v0
	v_mov_b32_e32 v26, 0
	s_cmp_ge_u32 s2, s3
	ds_write2st64_b32 v25, v26, v26 offset1:16
	ds_write2st64_b32 v25, v26, v26 offset0:32 offset1:48
	ds_write2st64_b32 v25, v26, v26 offset0:64 offset1:80
	;; [unrolled: 1-line block ×3, first 2 shown]
	v_bfrev_b32_e32 v25, 1
	s_waitcnt vmcnt(0)
	v_cmp_lt_i64_e32 vcc, -1, v[16:17]
	s_cselect_b64 s[4:5], -1, 0
	v_cndmask_b32_e32 v26, -1, v25, vcc
	v_cmp_le_u32_e32 vcc, s13, v0
	s_and_b64 s[6:7], s[4:5], exec
	v_ashrrev_i32_e32 v27, 31, v17
	s_cselect_b32 s18, 8, 10
	s_or_b64 s[6:7], s[4:5], vcc
	v_and_b32_e32 v1, 3, v0
	s_mov_b32 s0, -1
	v_xor_b32_e32 v17, v26, v17
	v_xor_b32_e32 v16, v27, v16
	s_xor_b64 s[14:15], s[6:7], -1
	v_mov_b32_e32 v26, s18
	s_waitcnt lgkmcnt(0)
	s_barrier
	s_and_saveexec_b64 s[6:7], s[14:15]
	s_cbranch_execz .LBB1602_19
; %bb.18:
	s_sub_i32 s1, s3, s2
	s_min_u32 s14, s1, 8
	s_brev_b32 s1, -2
	v_cmp_ne_u64_e64 s[0:1], s[0:1], v[16:17]
	v_cndmask_b32_e64 v27, v25, v17, s[0:1]
	v_cndmask_b32_e64 v26, 0, v16, s[0:1]
	v_lshrrev_b64 v[26:27], s2, v[26:27]
	v_bfe_u32 v25, v26, 0, s14
	v_lshlrev_b32_e32 v26, 2, v1
	v_lshl_or_b32 v25, v25, 4, v26
	v_mov_b32_e32 v26, 1
	ds_add_u32 v25, v26
	v_mov_b32_e32 v26, 0
.LBB1602_19:
	s_or_b64 exec, exec, s[6:7]
	v_cmp_gt_i32_e64 s[0:1], 10, v26
	s_mov_b64 s[14:15], -1
	s_and_saveexec_b64 s[6:7], s[0:1]
; %bb.20:
	v_cmp_eq_u32_e64 s[0:1], 0, v26
	s_orn2_b64 s[14:15], s[0:1], exec
; %bb.21:
	s_or_b64 exec, exec, s[6:7]
	s_and_saveexec_b64 s[6:7], s[14:15]
	s_cbranch_execz .LBB1602_54
; %bb.22:
	s_add_i32 s16, s2, 8
	s_cmp_le_u32 s3, s16
	s_cselect_b64 s[0:1], -1, 0
	s_and_b64 s[14:15], s[0:1], exec
	s_cselect_b32 s14, 8, 10
	s_or_b64 s[0:1], s[0:1], vcc
	s_xor_b64 s[0:1], s[0:1], -1
	v_mov_b32_e32 v25, s14
	s_and_saveexec_b64 s[14:15], s[0:1]
	s_cbranch_execz .LBB1602_24
; %bb.23:
	s_sub_i32 s0, s3, s16
	s_min_u32 s17, s0, 8
	s_mov_b32 s0, -1
	s_brev_b32 s1, -2
	v_bfrev_b32_e32 v25, 1
	v_cmp_ne_u64_e64 s[0:1], s[0:1], v[16:17]
	v_cndmask_b32_e64 v27, v25, v17, s[0:1]
	v_cndmask_b32_e64 v26, 0, v16, s[0:1]
	v_lshrrev_b64 v[26:27], s16, v[26:27]
	v_bfe_u32 v25, v26, 0, s17
	v_lshlrev_b32_e32 v26, 2, v1
	v_lshl_or_b32 v25, v25, 4, v26
	v_mov_b32_e32 v26, 1
	ds_add_u32 v25, v26 offset:4096
	v_mov_b32_e32 v25, 0
.LBB1602_24:
	s_or_b64 exec, exec, s[14:15]
	v_cmp_gt_i32_e64 s[0:1], 10, v25
	s_mov_b64 s[14:15], -1
	s_and_saveexec_b64 s[16:17], s[0:1]
; %bb.25:
	v_cmp_eq_u32_e64 s[0:1], 0, v25
	s_orn2_b64 s[14:15], s[0:1], exec
; %bb.26:
	s_or_b64 exec, exec, s[16:17]
	s_and_b64 exec, exec, s[14:15]
	s_cbranch_execz .LBB1602_54
; %bb.27:
	s_add_i32 s16, s2, 16
	s_cmp_le_u32 s3, s16
	s_cselect_b64 s[0:1], -1, 0
	s_and_b64 s[14:15], s[0:1], exec
	s_cselect_b32 s14, 8, 10
	s_or_b64 s[0:1], s[0:1], vcc
	s_xor_b64 s[0:1], s[0:1], -1
	v_mov_b32_e32 v25, s14
	s_and_saveexec_b64 s[14:15], s[0:1]
	s_cbranch_execz .LBB1602_29
; %bb.28:
	s_sub_i32 s0, s3, s16
	s_min_u32 s17, s0, 8
	s_mov_b32 s0, -1
	s_brev_b32 s1, -2
	v_bfrev_b32_e32 v25, 1
	v_cmp_ne_u64_e64 s[0:1], s[0:1], v[16:17]
	v_cndmask_b32_e64 v27, v25, v17, s[0:1]
	v_cndmask_b32_e64 v26, 0, v16, s[0:1]
	v_lshrrev_b64 v[26:27], s16, v[26:27]
	v_bfe_u32 v25, v26, 0, s17
	v_lshlrev_b32_e32 v26, 2, v1
	v_lshl_or_b32 v25, v25, 4, v26
	v_mov_b32_e32 v26, 1
	ds_add_u32 v25, v26 offset:8192
	v_mov_b32_e32 v25, 0
.LBB1602_29:
	s_or_b64 exec, exec, s[14:15]
	v_cmp_gt_i32_e64 s[0:1], 10, v25
	s_mov_b64 s[14:15], -1
	s_and_saveexec_b64 s[16:17], s[0:1]
; %bb.30:
	v_cmp_eq_u32_e64 s[0:1], 0, v25
	s_orn2_b64 s[14:15], s[0:1], exec
; %bb.31:
	s_or_b64 exec, exec, s[16:17]
	s_and_b64 exec, exec, s[14:15]
	;; [unrolled: 39-line block ×6, first 2 shown]
	s_cbranch_execz .LBB1602_54
; %bb.52:
	s_add_i32 s0, s2, 56
	s_cmp_gt_u32 s3, s0
	s_cselect_b64 s[14:15], -1, 0
	s_xor_b64 s[16:17], vcc, -1
	s_and_b64 s[14:15], s[14:15], s[16:17]
	s_and_b64 exec, exec, s[14:15]
	s_cbranch_execz .LBB1602_54
; %bb.53:
	s_mov_b32 s14, -1
	s_brev_b32 s15, -2
	v_bfrev_b32_e32 v25, 1
	v_cmp_ne_u64_e32 vcc, s[14:15], v[16:17]
	s_sub_i32 s1, s3, s0
	v_cndmask_b32_e32 v17, v25, v17, vcc
	v_cndmask_b32_e32 v16, 0, v16, vcc
	s_min_u32 s1, s1, 8
	v_lshrrev_b64 v[16:17], s0, v[16:17]
	v_bfe_u32 v16, v16, 0, s1
	v_lshlrev_b32_e32 v17, 2, v1
	v_lshl_or_b32 v16, v16, 4, v17
	v_mov_b32_e32 v17, 1
	ds_add_u32 v16, v17 offset:28672
.LBB1602_54:
	s_or_b64 exec, exec, s[6:7]
	v_bfrev_b32_e32 v16, 1
	v_cmp_lt_i64_e32 vcc, -1, v[14:15]
	v_cndmask_b32_e32 v17, -1, v16, vcc
	v_cmp_le_u32_e32 vcc, s13, v24
	v_ashrrev_i32_e32 v25, 31, v15
	s_or_b64 s[6:7], s[4:5], vcc
	s_mov_b32 s0, -1
	v_xor_b32_e32 v15, v17, v15
	v_xor_b32_e32 v14, v25, v14
	s_xor_b64 s[14:15], s[6:7], -1
	v_mov_b32_e32 v17, s18
	s_and_saveexec_b64 s[6:7], s[14:15]
	s_cbranch_execz .LBB1602_56
; %bb.55:
	s_sub_i32 s1, s3, s2
	s_min_u32 s14, s1, 8
	s_brev_b32 s1, -2
	v_cmp_ne_u64_e64 s[0:1], s[0:1], v[14:15]
	v_cndmask_b32_e64 v17, v16, v15, s[0:1]
	v_cndmask_b32_e64 v16, 0, v14, s[0:1]
	v_lshrrev_b64 v[16:17], s2, v[16:17]
	v_bfe_u32 v16, v16, 0, s14
	v_lshlrev_b32_e32 v17, 2, v1
	v_lshl_or_b32 v16, v16, 4, v17
	v_mov_b32_e32 v17, 1
	ds_add_u32 v16, v17
	v_mov_b32_e32 v17, 0
.LBB1602_56:
	s_or_b64 exec, exec, s[6:7]
	v_cmp_gt_i32_e64 s[0:1], 10, v17
	s_mov_b64 s[14:15], -1
	s_and_saveexec_b64 s[6:7], s[0:1]
; %bb.57:
	v_cmp_eq_u32_e64 s[0:1], 0, v17
	s_orn2_b64 s[14:15], s[0:1], exec
; %bb.58:
	s_or_b64 exec, exec, s[6:7]
	s_and_saveexec_b64 s[6:7], s[14:15]
	s_cbranch_execz .LBB1602_91
; %bb.59:
	s_add_i32 s16, s2, 8
	s_cmp_le_u32 s3, s16
	s_cselect_b64 s[0:1], -1, 0
	s_and_b64 s[14:15], s[0:1], exec
	s_cselect_b32 s14, 8, 10
	s_or_b64 s[0:1], s[0:1], vcc
	s_xor_b64 s[0:1], s[0:1], -1
	v_mov_b32_e32 v16, s14
	s_and_saveexec_b64 s[14:15], s[0:1]
	s_cbranch_execz .LBB1602_61
; %bb.60:
	s_sub_i32 s0, s3, s16
	s_min_u32 s17, s0, 8
	s_mov_b32 s0, -1
	s_brev_b32 s1, -2
	v_bfrev_b32_e32 v16, 1
	v_cmp_ne_u64_e64 s[0:1], s[0:1], v[14:15]
	v_cndmask_b32_e64 v17, v16, v15, s[0:1]
	v_cndmask_b32_e64 v16, 0, v14, s[0:1]
	v_lshrrev_b64 v[16:17], s16, v[16:17]
	v_bfe_u32 v16, v16, 0, s17
	v_lshlrev_b32_e32 v17, 2, v1
	v_lshl_or_b32 v16, v16, 4, v17
	v_mov_b32_e32 v17, 1
	ds_add_u32 v16, v17 offset:4096
	v_mov_b32_e32 v16, 0
.LBB1602_61:
	s_or_b64 exec, exec, s[14:15]
	v_cmp_gt_i32_e64 s[0:1], 10, v16
	s_mov_b64 s[14:15], -1
	s_and_saveexec_b64 s[16:17], s[0:1]
; %bb.62:
	v_cmp_eq_u32_e64 s[0:1], 0, v16
	s_orn2_b64 s[14:15], s[0:1], exec
; %bb.63:
	s_or_b64 exec, exec, s[16:17]
	s_and_b64 exec, exec, s[14:15]
	s_cbranch_execz .LBB1602_91
; %bb.64:
	s_add_i32 s16, s2, 16
	s_cmp_le_u32 s3, s16
	s_cselect_b64 s[0:1], -1, 0
	s_and_b64 s[14:15], s[0:1], exec
	s_cselect_b32 s14, 8, 10
	s_or_b64 s[0:1], s[0:1], vcc
	s_xor_b64 s[0:1], s[0:1], -1
	v_mov_b32_e32 v16, s14
	s_and_saveexec_b64 s[14:15], s[0:1]
	s_cbranch_execz .LBB1602_66
; %bb.65:
	s_sub_i32 s0, s3, s16
	s_min_u32 s17, s0, 8
	s_mov_b32 s0, -1
	s_brev_b32 s1, -2
	v_bfrev_b32_e32 v16, 1
	v_cmp_ne_u64_e64 s[0:1], s[0:1], v[14:15]
	v_cndmask_b32_e64 v17, v16, v15, s[0:1]
	v_cndmask_b32_e64 v16, 0, v14, s[0:1]
	v_lshrrev_b64 v[16:17], s16, v[16:17]
	v_bfe_u32 v16, v16, 0, s17
	v_lshlrev_b32_e32 v17, 2, v1
	v_lshl_or_b32 v16, v16, 4, v17
	v_mov_b32_e32 v17, 1
	ds_add_u32 v16, v17 offset:8192
	v_mov_b32_e32 v16, 0
.LBB1602_66:
	s_or_b64 exec, exec, s[14:15]
	v_cmp_gt_i32_e64 s[0:1], 10, v16
	s_mov_b64 s[14:15], -1
	s_and_saveexec_b64 s[16:17], s[0:1]
; %bb.67:
	v_cmp_eq_u32_e64 s[0:1], 0, v16
	s_orn2_b64 s[14:15], s[0:1], exec
; %bb.68:
	s_or_b64 exec, exec, s[16:17]
	s_and_b64 exec, exec, s[14:15]
	;; [unrolled: 39-line block ×6, first 2 shown]
	s_cbranch_execz .LBB1602_91
; %bb.89:
	s_add_i32 s0, s2, 56
	s_cmp_gt_u32 s3, s0
	s_cselect_b64 s[14:15], -1, 0
	s_xor_b64 s[16:17], vcc, -1
	s_and_b64 s[14:15], s[14:15], s[16:17]
	s_and_b64 exec, exec, s[14:15]
	s_cbranch_execz .LBB1602_91
; %bb.90:
	s_mov_b32 s14, -1
	s_brev_b32 s15, -2
	v_bfrev_b32_e32 v16, 1
	v_cmp_ne_u64_e32 vcc, s[14:15], v[14:15]
	s_sub_i32 s1, s3, s0
	v_cndmask_b32_e32 v15, v16, v15, vcc
	v_cndmask_b32_e32 v14, 0, v14, vcc
	s_min_u32 s1, s1, 8
	v_lshrrev_b64 v[14:15], s0, v[14:15]
	v_bfe_u32 v14, v14, 0, s1
	v_lshlrev_b32_e32 v15, 2, v1
	v_lshl_or_b32 v14, v14, 4, v15
	v_mov_b32_e32 v15, 1
	ds_add_u32 v14, v15 offset:28672
.LBB1602_91:
	s_or_b64 exec, exec, s[6:7]
	v_bfrev_b32_e32 v14, 1
	v_cmp_lt_i64_e32 vcc, -1, v[12:13]
	v_cndmask_b32_e32 v15, -1, v14, vcc
	v_cmp_le_u32_e32 vcc, s13, v23
	v_ashrrev_i32_e32 v16, 31, v13
	s_or_b64 s[6:7], s[4:5], vcc
	s_mov_b32 s0, -1
	v_xor_b32_e32 v13, v15, v13
	v_xor_b32_e32 v12, v16, v12
	s_xor_b64 s[14:15], s[6:7], -1
	v_mov_b32_e32 v15, s18
	s_and_saveexec_b64 s[6:7], s[14:15]
	s_cbranch_execz .LBB1602_93
; %bb.92:
	s_sub_i32 s1, s3, s2
	s_min_u32 s14, s1, 8
	s_brev_b32 s1, -2
	v_cmp_ne_u64_e64 s[0:1], s[0:1], v[12:13]
	v_cndmask_b32_e64 v15, v14, v13, s[0:1]
	v_cndmask_b32_e64 v14, 0, v12, s[0:1]
	v_lshrrev_b64 v[14:15], s2, v[14:15]
	v_bfe_u32 v14, v14, 0, s14
	v_lshlrev_b32_e32 v15, 2, v1
	v_lshl_or_b32 v14, v14, 4, v15
	v_mov_b32_e32 v15, 1
	ds_add_u32 v14, v15
	v_mov_b32_e32 v15, 0
.LBB1602_93:
	s_or_b64 exec, exec, s[6:7]
	v_cmp_gt_i32_e64 s[0:1], 10, v15
	s_mov_b64 s[14:15], -1
	s_and_saveexec_b64 s[6:7], s[0:1]
; %bb.94:
	v_cmp_eq_u32_e64 s[0:1], 0, v15
	s_orn2_b64 s[14:15], s[0:1], exec
; %bb.95:
	s_or_b64 exec, exec, s[6:7]
	s_and_saveexec_b64 s[6:7], s[14:15]
	s_cbranch_execz .LBB1602_128
; %bb.96:
	s_add_i32 s16, s2, 8
	s_cmp_le_u32 s3, s16
	s_cselect_b64 s[0:1], -1, 0
	s_and_b64 s[14:15], s[0:1], exec
	s_cselect_b32 s14, 8, 10
	s_or_b64 s[0:1], s[0:1], vcc
	s_xor_b64 s[0:1], s[0:1], -1
	v_mov_b32_e32 v14, s14
	s_and_saveexec_b64 s[14:15], s[0:1]
	s_cbranch_execz .LBB1602_98
; %bb.97:
	s_sub_i32 s0, s3, s16
	s_min_u32 s17, s0, 8
	s_mov_b32 s0, -1
	s_brev_b32 s1, -2
	v_bfrev_b32_e32 v14, 1
	v_cmp_ne_u64_e64 s[0:1], s[0:1], v[12:13]
	v_cndmask_b32_e64 v15, v14, v13, s[0:1]
	v_cndmask_b32_e64 v14, 0, v12, s[0:1]
	v_lshrrev_b64 v[14:15], s16, v[14:15]
	v_bfe_u32 v14, v14, 0, s17
	v_lshlrev_b32_e32 v15, 2, v1
	v_lshl_or_b32 v14, v14, 4, v15
	v_mov_b32_e32 v15, 1
	ds_add_u32 v14, v15 offset:4096
	v_mov_b32_e32 v14, 0
.LBB1602_98:
	s_or_b64 exec, exec, s[14:15]
	v_cmp_gt_i32_e64 s[0:1], 10, v14
	s_mov_b64 s[14:15], -1
	s_and_saveexec_b64 s[16:17], s[0:1]
; %bb.99:
	v_cmp_eq_u32_e64 s[0:1], 0, v14
	s_orn2_b64 s[14:15], s[0:1], exec
; %bb.100:
	s_or_b64 exec, exec, s[16:17]
	s_and_b64 exec, exec, s[14:15]
	s_cbranch_execz .LBB1602_128
; %bb.101:
	s_add_i32 s16, s2, 16
	s_cmp_le_u32 s3, s16
	s_cselect_b64 s[0:1], -1, 0
	s_and_b64 s[14:15], s[0:1], exec
	s_cselect_b32 s14, 8, 10
	s_or_b64 s[0:1], s[0:1], vcc
	s_xor_b64 s[0:1], s[0:1], -1
	v_mov_b32_e32 v14, s14
	s_and_saveexec_b64 s[14:15], s[0:1]
	s_cbranch_execz .LBB1602_103
; %bb.102:
	s_sub_i32 s0, s3, s16
	s_min_u32 s17, s0, 8
	s_mov_b32 s0, -1
	s_brev_b32 s1, -2
	v_bfrev_b32_e32 v14, 1
	v_cmp_ne_u64_e64 s[0:1], s[0:1], v[12:13]
	v_cndmask_b32_e64 v15, v14, v13, s[0:1]
	v_cndmask_b32_e64 v14, 0, v12, s[0:1]
	v_lshrrev_b64 v[14:15], s16, v[14:15]
	v_bfe_u32 v14, v14, 0, s17
	v_lshlrev_b32_e32 v15, 2, v1
	v_lshl_or_b32 v14, v14, 4, v15
	v_mov_b32_e32 v15, 1
	ds_add_u32 v14, v15 offset:8192
	v_mov_b32_e32 v14, 0
.LBB1602_103:
	s_or_b64 exec, exec, s[14:15]
	v_cmp_gt_i32_e64 s[0:1], 10, v14
	s_mov_b64 s[14:15], -1
	s_and_saveexec_b64 s[16:17], s[0:1]
; %bb.104:
	v_cmp_eq_u32_e64 s[0:1], 0, v14
	s_orn2_b64 s[14:15], s[0:1], exec
; %bb.105:
	s_or_b64 exec, exec, s[16:17]
	s_and_b64 exec, exec, s[14:15]
	;; [unrolled: 39-line block ×6, first 2 shown]
	s_cbranch_execz .LBB1602_128
; %bb.126:
	s_add_i32 s0, s2, 56
	s_cmp_gt_u32 s3, s0
	s_cselect_b64 s[14:15], -1, 0
	s_xor_b64 s[16:17], vcc, -1
	s_and_b64 s[14:15], s[14:15], s[16:17]
	s_and_b64 exec, exec, s[14:15]
	s_cbranch_execz .LBB1602_128
; %bb.127:
	s_mov_b32 s14, -1
	s_brev_b32 s15, -2
	v_bfrev_b32_e32 v14, 1
	v_cmp_ne_u64_e32 vcc, s[14:15], v[12:13]
	s_sub_i32 s1, s3, s0
	v_cndmask_b32_e32 v13, v14, v13, vcc
	v_cndmask_b32_e32 v12, 0, v12, vcc
	s_min_u32 s1, s1, 8
	v_lshrrev_b64 v[12:13], s0, v[12:13]
	v_bfe_u32 v12, v12, 0, s1
	v_lshlrev_b32_e32 v13, 2, v1
	v_lshl_or_b32 v12, v12, 4, v13
	v_mov_b32_e32 v13, 1
	ds_add_u32 v12, v13 offset:28672
.LBB1602_128:
	s_or_b64 exec, exec, s[6:7]
	v_bfrev_b32_e32 v12, 1
	v_cmp_lt_i64_e32 vcc, -1, v[10:11]
	v_cndmask_b32_e32 v13, -1, v12, vcc
	v_cmp_le_u32_e32 vcc, s13, v22
	v_ashrrev_i32_e32 v14, 31, v11
	s_or_b64 s[6:7], s[4:5], vcc
	s_mov_b32 s0, -1
	v_xor_b32_e32 v11, v13, v11
	v_xor_b32_e32 v10, v14, v10
	s_xor_b64 s[14:15], s[6:7], -1
	v_mov_b32_e32 v13, s18
	s_and_saveexec_b64 s[6:7], s[14:15]
	s_cbranch_execz .LBB1602_130
; %bb.129:
	s_sub_i32 s1, s3, s2
	s_min_u32 s14, s1, 8
	s_brev_b32 s1, -2
	v_cmp_ne_u64_e64 s[0:1], s[0:1], v[10:11]
	v_cndmask_b32_e64 v13, v12, v11, s[0:1]
	v_cndmask_b32_e64 v12, 0, v10, s[0:1]
	v_lshrrev_b64 v[12:13], s2, v[12:13]
	v_bfe_u32 v12, v12, 0, s14
	v_lshlrev_b32_e32 v13, 2, v1
	v_lshl_or_b32 v12, v12, 4, v13
	v_mov_b32_e32 v13, 1
	ds_add_u32 v12, v13
	v_mov_b32_e32 v13, 0
.LBB1602_130:
	s_or_b64 exec, exec, s[6:7]
	v_cmp_gt_i32_e64 s[0:1], 10, v13
	s_mov_b64 s[14:15], -1
	s_and_saveexec_b64 s[6:7], s[0:1]
; %bb.131:
	v_cmp_eq_u32_e64 s[0:1], 0, v13
	s_orn2_b64 s[14:15], s[0:1], exec
; %bb.132:
	s_or_b64 exec, exec, s[6:7]
	s_and_saveexec_b64 s[6:7], s[14:15]
	s_cbranch_execz .LBB1602_165
; %bb.133:
	s_add_i32 s16, s2, 8
	s_cmp_le_u32 s3, s16
	s_cselect_b64 s[0:1], -1, 0
	s_and_b64 s[14:15], s[0:1], exec
	s_cselect_b32 s14, 8, 10
	s_or_b64 s[0:1], s[0:1], vcc
	s_xor_b64 s[0:1], s[0:1], -1
	v_mov_b32_e32 v12, s14
	s_and_saveexec_b64 s[14:15], s[0:1]
	s_cbranch_execz .LBB1602_135
; %bb.134:
	s_sub_i32 s0, s3, s16
	s_min_u32 s17, s0, 8
	s_mov_b32 s0, -1
	s_brev_b32 s1, -2
	v_bfrev_b32_e32 v12, 1
	v_cmp_ne_u64_e64 s[0:1], s[0:1], v[10:11]
	v_cndmask_b32_e64 v13, v12, v11, s[0:1]
	v_cndmask_b32_e64 v12, 0, v10, s[0:1]
	v_lshrrev_b64 v[12:13], s16, v[12:13]
	v_bfe_u32 v12, v12, 0, s17
	v_lshlrev_b32_e32 v13, 2, v1
	v_lshl_or_b32 v12, v12, 4, v13
	v_mov_b32_e32 v13, 1
	ds_add_u32 v12, v13 offset:4096
	v_mov_b32_e32 v12, 0
.LBB1602_135:
	s_or_b64 exec, exec, s[14:15]
	v_cmp_gt_i32_e64 s[0:1], 10, v12
	s_mov_b64 s[14:15], -1
	s_and_saveexec_b64 s[16:17], s[0:1]
; %bb.136:
	v_cmp_eq_u32_e64 s[0:1], 0, v12
	s_orn2_b64 s[14:15], s[0:1], exec
; %bb.137:
	s_or_b64 exec, exec, s[16:17]
	s_and_b64 exec, exec, s[14:15]
	s_cbranch_execz .LBB1602_165
; %bb.138:
	s_add_i32 s16, s2, 16
	s_cmp_le_u32 s3, s16
	s_cselect_b64 s[0:1], -1, 0
	s_and_b64 s[14:15], s[0:1], exec
	s_cselect_b32 s14, 8, 10
	s_or_b64 s[0:1], s[0:1], vcc
	s_xor_b64 s[0:1], s[0:1], -1
	v_mov_b32_e32 v12, s14
	s_and_saveexec_b64 s[14:15], s[0:1]
	s_cbranch_execz .LBB1602_140
; %bb.139:
	s_sub_i32 s0, s3, s16
	s_min_u32 s17, s0, 8
	s_mov_b32 s0, -1
	s_brev_b32 s1, -2
	v_bfrev_b32_e32 v12, 1
	v_cmp_ne_u64_e64 s[0:1], s[0:1], v[10:11]
	v_cndmask_b32_e64 v13, v12, v11, s[0:1]
	v_cndmask_b32_e64 v12, 0, v10, s[0:1]
	v_lshrrev_b64 v[12:13], s16, v[12:13]
	v_bfe_u32 v12, v12, 0, s17
	v_lshlrev_b32_e32 v13, 2, v1
	v_lshl_or_b32 v12, v12, 4, v13
	v_mov_b32_e32 v13, 1
	ds_add_u32 v12, v13 offset:8192
	v_mov_b32_e32 v12, 0
.LBB1602_140:
	s_or_b64 exec, exec, s[14:15]
	v_cmp_gt_i32_e64 s[0:1], 10, v12
	s_mov_b64 s[14:15], -1
	s_and_saveexec_b64 s[16:17], s[0:1]
; %bb.141:
	v_cmp_eq_u32_e64 s[0:1], 0, v12
	s_orn2_b64 s[14:15], s[0:1], exec
; %bb.142:
	s_or_b64 exec, exec, s[16:17]
	s_and_b64 exec, exec, s[14:15]
	;; [unrolled: 39-line block ×6, first 2 shown]
	s_cbranch_execz .LBB1602_165
; %bb.163:
	s_add_i32 s0, s2, 56
	s_cmp_gt_u32 s3, s0
	s_cselect_b64 s[14:15], -1, 0
	s_xor_b64 s[16:17], vcc, -1
	s_and_b64 s[14:15], s[14:15], s[16:17]
	s_and_b64 exec, exec, s[14:15]
	s_cbranch_execz .LBB1602_165
; %bb.164:
	s_mov_b32 s14, -1
	s_brev_b32 s15, -2
	v_bfrev_b32_e32 v12, 1
	v_cmp_ne_u64_e32 vcc, s[14:15], v[10:11]
	s_sub_i32 s1, s3, s0
	v_cndmask_b32_e32 v11, v12, v11, vcc
	v_cndmask_b32_e32 v10, 0, v10, vcc
	s_min_u32 s1, s1, 8
	v_lshrrev_b64 v[10:11], s0, v[10:11]
	v_bfe_u32 v10, v10, 0, s1
	v_lshlrev_b32_e32 v11, 2, v1
	v_lshl_or_b32 v10, v10, 4, v11
	v_mov_b32_e32 v11, 1
	ds_add_u32 v10, v11 offset:28672
.LBB1602_165:
	s_or_b64 exec, exec, s[6:7]
	v_bfrev_b32_e32 v10, 1
	v_cmp_lt_i64_e32 vcc, -1, v[8:9]
	v_cndmask_b32_e32 v11, -1, v10, vcc
	v_cmp_le_u32_e32 vcc, s13, v21
	v_ashrrev_i32_e32 v12, 31, v9
	s_or_b64 s[6:7], s[4:5], vcc
	s_mov_b32 s0, -1
	v_xor_b32_e32 v9, v11, v9
	v_xor_b32_e32 v8, v12, v8
	s_xor_b64 s[14:15], s[6:7], -1
	v_mov_b32_e32 v11, s18
	s_and_saveexec_b64 s[6:7], s[14:15]
	s_cbranch_execz .LBB1602_167
; %bb.166:
	s_sub_i32 s1, s3, s2
	s_min_u32 s14, s1, 8
	s_brev_b32 s1, -2
	v_cmp_ne_u64_e64 s[0:1], s[0:1], v[8:9]
	v_cndmask_b32_e64 v11, v10, v9, s[0:1]
	v_cndmask_b32_e64 v10, 0, v8, s[0:1]
	v_lshrrev_b64 v[10:11], s2, v[10:11]
	v_bfe_u32 v10, v10, 0, s14
	v_lshlrev_b32_e32 v11, 2, v1
	v_lshl_or_b32 v10, v10, 4, v11
	v_mov_b32_e32 v11, 1
	ds_add_u32 v10, v11
	v_mov_b32_e32 v11, 0
.LBB1602_167:
	s_or_b64 exec, exec, s[6:7]
	v_cmp_gt_i32_e64 s[0:1], 10, v11
	s_mov_b64 s[14:15], -1
	s_and_saveexec_b64 s[6:7], s[0:1]
; %bb.168:
	v_cmp_eq_u32_e64 s[0:1], 0, v11
	s_orn2_b64 s[14:15], s[0:1], exec
; %bb.169:
	s_or_b64 exec, exec, s[6:7]
	s_and_saveexec_b64 s[6:7], s[14:15]
	s_cbranch_execz .LBB1602_202
; %bb.170:
	s_add_i32 s16, s2, 8
	s_cmp_le_u32 s3, s16
	s_cselect_b64 s[0:1], -1, 0
	s_and_b64 s[14:15], s[0:1], exec
	s_cselect_b32 s14, 8, 10
	s_or_b64 s[0:1], s[0:1], vcc
	s_xor_b64 s[0:1], s[0:1], -1
	v_mov_b32_e32 v10, s14
	s_and_saveexec_b64 s[14:15], s[0:1]
	s_cbranch_execz .LBB1602_172
; %bb.171:
	s_sub_i32 s0, s3, s16
	s_min_u32 s17, s0, 8
	s_mov_b32 s0, -1
	s_brev_b32 s1, -2
	v_bfrev_b32_e32 v10, 1
	v_cmp_ne_u64_e64 s[0:1], s[0:1], v[8:9]
	v_cndmask_b32_e64 v11, v10, v9, s[0:1]
	v_cndmask_b32_e64 v10, 0, v8, s[0:1]
	v_lshrrev_b64 v[10:11], s16, v[10:11]
	v_bfe_u32 v10, v10, 0, s17
	v_lshlrev_b32_e32 v11, 2, v1
	v_lshl_or_b32 v10, v10, 4, v11
	v_mov_b32_e32 v11, 1
	ds_add_u32 v10, v11 offset:4096
	v_mov_b32_e32 v10, 0
.LBB1602_172:
	s_or_b64 exec, exec, s[14:15]
	v_cmp_gt_i32_e64 s[0:1], 10, v10
	s_mov_b64 s[14:15], -1
	s_and_saveexec_b64 s[16:17], s[0:1]
; %bb.173:
	v_cmp_eq_u32_e64 s[0:1], 0, v10
	s_orn2_b64 s[14:15], s[0:1], exec
; %bb.174:
	s_or_b64 exec, exec, s[16:17]
	s_and_b64 exec, exec, s[14:15]
	s_cbranch_execz .LBB1602_202
; %bb.175:
	s_add_i32 s16, s2, 16
	s_cmp_le_u32 s3, s16
	s_cselect_b64 s[0:1], -1, 0
	s_and_b64 s[14:15], s[0:1], exec
	s_cselect_b32 s14, 8, 10
	s_or_b64 s[0:1], s[0:1], vcc
	s_xor_b64 s[0:1], s[0:1], -1
	v_mov_b32_e32 v10, s14
	s_and_saveexec_b64 s[14:15], s[0:1]
	s_cbranch_execz .LBB1602_177
; %bb.176:
	s_sub_i32 s0, s3, s16
	s_min_u32 s17, s0, 8
	s_mov_b32 s0, -1
	s_brev_b32 s1, -2
	v_bfrev_b32_e32 v10, 1
	v_cmp_ne_u64_e64 s[0:1], s[0:1], v[8:9]
	v_cndmask_b32_e64 v11, v10, v9, s[0:1]
	v_cndmask_b32_e64 v10, 0, v8, s[0:1]
	v_lshrrev_b64 v[10:11], s16, v[10:11]
	v_bfe_u32 v10, v10, 0, s17
	v_lshlrev_b32_e32 v11, 2, v1
	v_lshl_or_b32 v10, v10, 4, v11
	v_mov_b32_e32 v11, 1
	ds_add_u32 v10, v11 offset:8192
	v_mov_b32_e32 v10, 0
.LBB1602_177:
	s_or_b64 exec, exec, s[14:15]
	v_cmp_gt_i32_e64 s[0:1], 10, v10
	s_mov_b64 s[14:15], -1
	s_and_saveexec_b64 s[16:17], s[0:1]
; %bb.178:
	v_cmp_eq_u32_e64 s[0:1], 0, v10
	s_orn2_b64 s[14:15], s[0:1], exec
; %bb.179:
	s_or_b64 exec, exec, s[16:17]
	s_and_b64 exec, exec, s[14:15]
	;; [unrolled: 39-line block ×6, first 2 shown]
	s_cbranch_execz .LBB1602_202
; %bb.200:
	s_add_i32 s0, s2, 56
	s_cmp_gt_u32 s3, s0
	s_cselect_b64 s[14:15], -1, 0
	s_xor_b64 s[16:17], vcc, -1
	s_and_b64 s[14:15], s[14:15], s[16:17]
	s_and_b64 exec, exec, s[14:15]
	s_cbranch_execz .LBB1602_202
; %bb.201:
	s_mov_b32 s14, -1
	s_brev_b32 s15, -2
	v_bfrev_b32_e32 v10, 1
	v_cmp_ne_u64_e32 vcc, s[14:15], v[8:9]
	s_sub_i32 s1, s3, s0
	v_cndmask_b32_e32 v9, v10, v9, vcc
	v_cndmask_b32_e32 v8, 0, v8, vcc
	s_min_u32 s1, s1, 8
	v_lshrrev_b64 v[8:9], s0, v[8:9]
	v_bfe_u32 v8, v8, 0, s1
	v_lshlrev_b32_e32 v9, 2, v1
	v_lshl_or_b32 v8, v8, 4, v9
	v_mov_b32_e32 v9, 1
	ds_add_u32 v8, v9 offset:28672
.LBB1602_202:
	s_or_b64 exec, exec, s[6:7]
	v_bfrev_b32_e32 v8, 1
	v_cmp_lt_i64_e32 vcc, -1, v[6:7]
	v_cndmask_b32_e32 v9, -1, v8, vcc
	v_cmp_le_u32_e32 vcc, s13, v20
	v_ashrrev_i32_e32 v10, 31, v7
	s_or_b64 s[6:7], s[4:5], vcc
	s_mov_b32 s0, -1
	v_xor_b32_e32 v7, v9, v7
	v_xor_b32_e32 v6, v10, v6
	s_xor_b64 s[14:15], s[6:7], -1
	v_mov_b32_e32 v9, s18
	s_and_saveexec_b64 s[6:7], s[14:15]
	s_cbranch_execz .LBB1602_204
; %bb.203:
	s_sub_i32 s1, s3, s2
	s_min_u32 s14, s1, 8
	s_brev_b32 s1, -2
	v_cmp_ne_u64_e64 s[0:1], s[0:1], v[6:7]
	v_cndmask_b32_e64 v9, v8, v7, s[0:1]
	v_cndmask_b32_e64 v8, 0, v6, s[0:1]
	v_lshrrev_b64 v[8:9], s2, v[8:9]
	v_bfe_u32 v8, v8, 0, s14
	v_lshlrev_b32_e32 v9, 2, v1
	v_lshl_or_b32 v8, v8, 4, v9
	v_mov_b32_e32 v9, 1
	ds_add_u32 v8, v9
	v_mov_b32_e32 v9, 0
.LBB1602_204:
	s_or_b64 exec, exec, s[6:7]
	v_cmp_gt_i32_e64 s[0:1], 10, v9
	s_mov_b64 s[14:15], -1
	s_and_saveexec_b64 s[6:7], s[0:1]
; %bb.205:
	v_cmp_eq_u32_e64 s[0:1], 0, v9
	s_orn2_b64 s[14:15], s[0:1], exec
; %bb.206:
	s_or_b64 exec, exec, s[6:7]
	s_and_saveexec_b64 s[6:7], s[14:15]
	s_cbranch_execz .LBB1602_239
; %bb.207:
	s_add_i32 s16, s2, 8
	s_cmp_le_u32 s3, s16
	s_cselect_b64 s[0:1], -1, 0
	s_and_b64 s[14:15], s[0:1], exec
	s_cselect_b32 s14, 8, 10
	s_or_b64 s[0:1], s[0:1], vcc
	s_xor_b64 s[0:1], s[0:1], -1
	v_mov_b32_e32 v8, s14
	s_and_saveexec_b64 s[14:15], s[0:1]
	s_cbranch_execz .LBB1602_209
; %bb.208:
	s_sub_i32 s0, s3, s16
	s_min_u32 s17, s0, 8
	s_mov_b32 s0, -1
	s_brev_b32 s1, -2
	v_bfrev_b32_e32 v8, 1
	v_cmp_ne_u64_e64 s[0:1], s[0:1], v[6:7]
	v_cndmask_b32_e64 v9, v8, v7, s[0:1]
	v_cndmask_b32_e64 v8, 0, v6, s[0:1]
	v_lshrrev_b64 v[8:9], s16, v[8:9]
	v_bfe_u32 v8, v8, 0, s17
	v_lshlrev_b32_e32 v9, 2, v1
	v_lshl_or_b32 v8, v8, 4, v9
	v_mov_b32_e32 v9, 1
	ds_add_u32 v8, v9 offset:4096
	v_mov_b32_e32 v8, 0
.LBB1602_209:
	s_or_b64 exec, exec, s[14:15]
	v_cmp_gt_i32_e64 s[0:1], 10, v8
	s_mov_b64 s[14:15], -1
	s_and_saveexec_b64 s[16:17], s[0:1]
; %bb.210:
	v_cmp_eq_u32_e64 s[0:1], 0, v8
	s_orn2_b64 s[14:15], s[0:1], exec
; %bb.211:
	s_or_b64 exec, exec, s[16:17]
	s_and_b64 exec, exec, s[14:15]
	s_cbranch_execz .LBB1602_239
; %bb.212:
	s_add_i32 s16, s2, 16
	s_cmp_le_u32 s3, s16
	s_cselect_b64 s[0:1], -1, 0
	s_and_b64 s[14:15], s[0:1], exec
	s_cselect_b32 s14, 8, 10
	s_or_b64 s[0:1], s[0:1], vcc
	s_xor_b64 s[0:1], s[0:1], -1
	v_mov_b32_e32 v8, s14
	s_and_saveexec_b64 s[14:15], s[0:1]
	s_cbranch_execz .LBB1602_214
; %bb.213:
	s_sub_i32 s0, s3, s16
	s_min_u32 s17, s0, 8
	s_mov_b32 s0, -1
	s_brev_b32 s1, -2
	v_bfrev_b32_e32 v8, 1
	v_cmp_ne_u64_e64 s[0:1], s[0:1], v[6:7]
	v_cndmask_b32_e64 v9, v8, v7, s[0:1]
	v_cndmask_b32_e64 v8, 0, v6, s[0:1]
	v_lshrrev_b64 v[8:9], s16, v[8:9]
	v_bfe_u32 v8, v8, 0, s17
	v_lshlrev_b32_e32 v9, 2, v1
	v_lshl_or_b32 v8, v8, 4, v9
	v_mov_b32_e32 v9, 1
	ds_add_u32 v8, v9 offset:8192
	v_mov_b32_e32 v8, 0
.LBB1602_214:
	s_or_b64 exec, exec, s[14:15]
	v_cmp_gt_i32_e64 s[0:1], 10, v8
	s_mov_b64 s[14:15], -1
	s_and_saveexec_b64 s[16:17], s[0:1]
; %bb.215:
	v_cmp_eq_u32_e64 s[0:1], 0, v8
	s_orn2_b64 s[14:15], s[0:1], exec
; %bb.216:
	s_or_b64 exec, exec, s[16:17]
	s_and_b64 exec, exec, s[14:15]
	;; [unrolled: 39-line block ×6, first 2 shown]
	s_cbranch_execz .LBB1602_239
; %bb.237:
	s_add_i32 s0, s2, 56
	s_cmp_gt_u32 s3, s0
	s_cselect_b64 s[14:15], -1, 0
	s_xor_b64 s[16:17], vcc, -1
	s_and_b64 s[14:15], s[14:15], s[16:17]
	s_and_b64 exec, exec, s[14:15]
	s_cbranch_execz .LBB1602_239
; %bb.238:
	s_mov_b32 s14, -1
	s_brev_b32 s15, -2
	v_bfrev_b32_e32 v8, 1
	v_cmp_ne_u64_e32 vcc, s[14:15], v[6:7]
	s_sub_i32 s1, s3, s0
	v_cndmask_b32_e32 v7, v8, v7, vcc
	v_cndmask_b32_e32 v6, 0, v6, vcc
	s_min_u32 s1, s1, 8
	v_lshrrev_b64 v[6:7], s0, v[6:7]
	v_bfe_u32 v6, v6, 0, s1
	v_lshlrev_b32_e32 v7, 2, v1
	v_lshl_or_b32 v6, v6, 4, v7
	v_mov_b32_e32 v7, 1
	ds_add_u32 v6, v7 offset:28672
.LBB1602_239:
	s_or_b64 exec, exec, s[6:7]
	v_bfrev_b32_e32 v6, 1
	v_cmp_lt_i64_e32 vcc, -1, v[4:5]
	v_cndmask_b32_e32 v7, -1, v6, vcc
	v_cmp_le_u32_e32 vcc, s13, v19
	v_ashrrev_i32_e32 v8, 31, v5
	s_or_b64 s[6:7], s[4:5], vcc
	s_mov_b32 s0, -1
	v_xor_b32_e32 v5, v7, v5
	v_xor_b32_e32 v4, v8, v4
	s_xor_b64 s[14:15], s[6:7], -1
	v_mov_b32_e32 v7, s18
	s_and_saveexec_b64 s[6:7], s[14:15]
	s_cbranch_execz .LBB1602_241
; %bb.240:
	s_sub_i32 s1, s3, s2
	s_min_u32 s14, s1, 8
	s_brev_b32 s1, -2
	v_cmp_ne_u64_e64 s[0:1], s[0:1], v[4:5]
	v_cndmask_b32_e64 v7, v6, v5, s[0:1]
	v_cndmask_b32_e64 v6, 0, v4, s[0:1]
	v_lshrrev_b64 v[6:7], s2, v[6:7]
	v_bfe_u32 v6, v6, 0, s14
	v_lshlrev_b32_e32 v7, 2, v1
	v_lshl_or_b32 v6, v6, 4, v7
	v_mov_b32_e32 v7, 1
	ds_add_u32 v6, v7
	v_mov_b32_e32 v7, 0
.LBB1602_241:
	s_or_b64 exec, exec, s[6:7]
	v_cmp_gt_i32_e64 s[0:1], 10, v7
	s_mov_b64 s[14:15], -1
	s_and_saveexec_b64 s[6:7], s[0:1]
; %bb.242:
	v_cmp_eq_u32_e64 s[0:1], 0, v7
	s_orn2_b64 s[14:15], s[0:1], exec
; %bb.243:
	s_or_b64 exec, exec, s[6:7]
	s_and_saveexec_b64 s[6:7], s[14:15]
	s_cbranch_execz .LBB1602_276
; %bb.244:
	s_add_i32 s16, s2, 8
	s_cmp_le_u32 s3, s16
	s_cselect_b64 s[0:1], -1, 0
	s_and_b64 s[14:15], s[0:1], exec
	s_cselect_b32 s14, 8, 10
	s_or_b64 s[0:1], s[0:1], vcc
	s_xor_b64 s[0:1], s[0:1], -1
	v_mov_b32_e32 v6, s14
	s_and_saveexec_b64 s[14:15], s[0:1]
	s_cbranch_execz .LBB1602_246
; %bb.245:
	s_sub_i32 s0, s3, s16
	s_min_u32 s17, s0, 8
	s_mov_b32 s0, -1
	s_brev_b32 s1, -2
	v_bfrev_b32_e32 v6, 1
	v_cmp_ne_u64_e64 s[0:1], s[0:1], v[4:5]
	v_cndmask_b32_e64 v7, v6, v5, s[0:1]
	v_cndmask_b32_e64 v6, 0, v4, s[0:1]
	v_lshrrev_b64 v[6:7], s16, v[6:7]
	v_bfe_u32 v6, v6, 0, s17
	v_lshlrev_b32_e32 v7, 2, v1
	v_lshl_or_b32 v6, v6, 4, v7
	v_mov_b32_e32 v7, 1
	ds_add_u32 v6, v7 offset:4096
	v_mov_b32_e32 v6, 0
.LBB1602_246:
	s_or_b64 exec, exec, s[14:15]
	v_cmp_gt_i32_e64 s[0:1], 10, v6
	s_mov_b64 s[14:15], -1
	s_and_saveexec_b64 s[16:17], s[0:1]
; %bb.247:
	v_cmp_eq_u32_e64 s[0:1], 0, v6
	s_orn2_b64 s[14:15], s[0:1], exec
; %bb.248:
	s_or_b64 exec, exec, s[16:17]
	s_and_b64 exec, exec, s[14:15]
	s_cbranch_execz .LBB1602_276
; %bb.249:
	s_add_i32 s16, s2, 16
	s_cmp_le_u32 s3, s16
	s_cselect_b64 s[0:1], -1, 0
	s_and_b64 s[14:15], s[0:1], exec
	s_cselect_b32 s14, 8, 10
	s_or_b64 s[0:1], s[0:1], vcc
	s_xor_b64 s[0:1], s[0:1], -1
	v_mov_b32_e32 v6, s14
	s_and_saveexec_b64 s[14:15], s[0:1]
	s_cbranch_execz .LBB1602_251
; %bb.250:
	s_sub_i32 s0, s3, s16
	s_min_u32 s17, s0, 8
	s_mov_b32 s0, -1
	s_brev_b32 s1, -2
	v_bfrev_b32_e32 v6, 1
	v_cmp_ne_u64_e64 s[0:1], s[0:1], v[4:5]
	v_cndmask_b32_e64 v7, v6, v5, s[0:1]
	v_cndmask_b32_e64 v6, 0, v4, s[0:1]
	v_lshrrev_b64 v[6:7], s16, v[6:7]
	v_bfe_u32 v6, v6, 0, s17
	v_lshlrev_b32_e32 v7, 2, v1
	v_lshl_or_b32 v6, v6, 4, v7
	v_mov_b32_e32 v7, 1
	ds_add_u32 v6, v7 offset:8192
	v_mov_b32_e32 v6, 0
.LBB1602_251:
	s_or_b64 exec, exec, s[14:15]
	v_cmp_gt_i32_e64 s[0:1], 10, v6
	s_mov_b64 s[14:15], -1
	s_and_saveexec_b64 s[16:17], s[0:1]
; %bb.252:
	v_cmp_eq_u32_e64 s[0:1], 0, v6
	s_orn2_b64 s[14:15], s[0:1], exec
; %bb.253:
	s_or_b64 exec, exec, s[16:17]
	s_and_b64 exec, exec, s[14:15]
	;; [unrolled: 39-line block ×6, first 2 shown]
	s_cbranch_execz .LBB1602_276
; %bb.274:
	s_add_i32 s0, s2, 56
	s_cmp_gt_u32 s3, s0
	s_cselect_b64 s[14:15], -1, 0
	s_xor_b64 s[16:17], vcc, -1
	s_and_b64 s[14:15], s[14:15], s[16:17]
	s_and_b64 exec, exec, s[14:15]
	s_cbranch_execz .LBB1602_276
; %bb.275:
	s_mov_b32 s14, -1
	s_brev_b32 s15, -2
	v_bfrev_b32_e32 v6, 1
	v_cmp_ne_u64_e32 vcc, s[14:15], v[4:5]
	s_sub_i32 s1, s3, s0
	v_cndmask_b32_e32 v5, v6, v5, vcc
	v_cndmask_b32_e32 v4, 0, v4, vcc
	s_min_u32 s1, s1, 8
	v_lshrrev_b64 v[4:5], s0, v[4:5]
	v_bfe_u32 v4, v4, 0, s1
	v_lshlrev_b32_e32 v5, 2, v1
	v_lshl_or_b32 v4, v4, 4, v5
	v_mov_b32_e32 v5, 1
	ds_add_u32 v4, v5 offset:28672
.LBB1602_276:
	s_or_b64 exec, exec, s[6:7]
	v_bfrev_b32_e32 v4, 1
	v_cmp_lt_i64_e32 vcc, -1, v[2:3]
	v_cndmask_b32_e32 v5, -1, v4, vcc
	v_cmp_le_u32_e32 vcc, s13, v18
	v_ashrrev_i32_e32 v6, 31, v3
	s_or_b64 s[4:5], s[4:5], vcc
	s_mov_b32 s0, -1
	v_xor_b32_e32 v3, v5, v3
	v_xor_b32_e32 v2, v6, v2
	s_xor_b64 s[6:7], s[4:5], -1
	v_mov_b32_e32 v5, s18
	s_and_saveexec_b64 s[4:5], s[6:7]
	s_cbranch_execz .LBB1602_278
; %bb.277:
	s_sub_i32 s1, s3, s2
	s_min_u32 s6, s1, 8
	s_brev_b32 s1, -2
	v_cmp_ne_u64_e64 s[0:1], s[0:1], v[2:3]
	v_cndmask_b32_e64 v5, v4, v3, s[0:1]
	v_cndmask_b32_e64 v4, 0, v2, s[0:1]
	v_lshrrev_b64 v[4:5], s2, v[4:5]
	v_bfe_u32 v4, v4, 0, s6
	v_lshlrev_b32_e32 v5, 2, v1
	v_lshl_or_b32 v4, v4, 4, v5
	v_mov_b32_e32 v5, 1
	ds_add_u32 v4, v5
	v_mov_b32_e32 v5, 0
.LBB1602_278:
	s_or_b64 exec, exec, s[4:5]
	v_cmp_gt_i32_e64 s[0:1], 10, v5
	s_mov_b64 s[6:7], -1
	s_and_saveexec_b64 s[4:5], s[0:1]
; %bb.279:
	v_cmp_eq_u32_e64 s[0:1], 0, v5
	s_orn2_b64 s[6:7], s[0:1], exec
; %bb.280:
	s_or_b64 exec, exec, s[4:5]
	s_and_saveexec_b64 s[4:5], s[6:7]
	s_cbranch_execz .LBB1602_313
; %bb.281:
	s_add_i32 s13, s2, 8
	s_cmp_le_u32 s3, s13
	s_cselect_b64 s[0:1], -1, 0
	s_and_b64 s[6:7], s[0:1], exec
	s_cselect_b32 s6, 8, 10
	s_or_b64 s[0:1], s[0:1], vcc
	s_xor_b64 s[0:1], s[0:1], -1
	v_mov_b32_e32 v4, s6
	s_and_saveexec_b64 s[6:7], s[0:1]
	s_cbranch_execz .LBB1602_283
; %bb.282:
	s_sub_i32 s0, s3, s13
	s_min_u32 s14, s0, 8
	s_mov_b32 s0, -1
	s_brev_b32 s1, -2
	v_bfrev_b32_e32 v4, 1
	v_cmp_ne_u64_e64 s[0:1], s[0:1], v[2:3]
	v_cndmask_b32_e64 v5, v4, v3, s[0:1]
	v_cndmask_b32_e64 v4, 0, v2, s[0:1]
	v_lshrrev_b64 v[4:5], s13, v[4:5]
	v_bfe_u32 v4, v4, 0, s14
	v_lshlrev_b32_e32 v5, 2, v1
	v_lshl_or_b32 v4, v4, 4, v5
	v_mov_b32_e32 v5, 1
	ds_add_u32 v4, v5 offset:4096
	v_mov_b32_e32 v4, 0
.LBB1602_283:
	s_or_b64 exec, exec, s[6:7]
	v_cmp_gt_i32_e64 s[0:1], 10, v4
	s_mov_b64 s[6:7], -1
	s_and_saveexec_b64 s[14:15], s[0:1]
; %bb.284:
	v_cmp_eq_u32_e64 s[0:1], 0, v4
	s_orn2_b64 s[6:7], s[0:1], exec
; %bb.285:
	s_or_b64 exec, exec, s[14:15]
	s_and_b64 exec, exec, s[6:7]
	s_cbranch_execz .LBB1602_313
; %bb.286:
	s_add_i32 s13, s2, 16
	s_cmp_le_u32 s3, s13
	s_cselect_b64 s[0:1], -1, 0
	s_and_b64 s[6:7], s[0:1], exec
	s_cselect_b32 s6, 8, 10
	s_or_b64 s[0:1], s[0:1], vcc
	s_xor_b64 s[0:1], s[0:1], -1
	v_mov_b32_e32 v4, s6
	s_and_saveexec_b64 s[6:7], s[0:1]
	s_cbranch_execz .LBB1602_288
; %bb.287:
	s_sub_i32 s0, s3, s13
	s_min_u32 s14, s0, 8
	s_mov_b32 s0, -1
	s_brev_b32 s1, -2
	v_bfrev_b32_e32 v4, 1
	v_cmp_ne_u64_e64 s[0:1], s[0:1], v[2:3]
	v_cndmask_b32_e64 v5, v4, v3, s[0:1]
	v_cndmask_b32_e64 v4, 0, v2, s[0:1]
	v_lshrrev_b64 v[4:5], s13, v[4:5]
	v_bfe_u32 v4, v4, 0, s14
	v_lshlrev_b32_e32 v5, 2, v1
	v_lshl_or_b32 v4, v4, 4, v5
	v_mov_b32_e32 v5, 1
	ds_add_u32 v4, v5 offset:8192
	v_mov_b32_e32 v4, 0
.LBB1602_288:
	s_or_b64 exec, exec, s[6:7]
	v_cmp_gt_i32_e64 s[0:1], 10, v4
	s_mov_b64 s[6:7], -1
	s_and_saveexec_b64 s[14:15], s[0:1]
; %bb.289:
	v_cmp_eq_u32_e64 s[0:1], 0, v4
	s_orn2_b64 s[6:7], s[0:1], exec
; %bb.290:
	s_or_b64 exec, exec, s[14:15]
	s_and_b64 exec, exec, s[6:7]
	;; [unrolled: 39-line block ×6, first 2 shown]
	s_cbranch_execz .LBB1602_313
; %bb.311:
	s_add_i32 s0, s2, 56
	s_cmp_gt_u32 s3, s0
	s_cselect_b64 s[6:7], -1, 0
	s_xor_b64 s[14:15], vcc, -1
	s_and_b64 s[6:7], s[6:7], s[14:15]
	s_and_b64 exec, exec, s[6:7]
	s_cbranch_execz .LBB1602_313
; %bb.312:
	s_mov_b32 s6, -1
	s_brev_b32 s7, -2
	v_bfrev_b32_e32 v4, 1
	v_cmp_ne_u64_e32 vcc, s[6:7], v[2:3]
	s_sub_i32 s1, s3, s0
	v_cndmask_b32_e32 v3, v4, v3, vcc
	v_cndmask_b32_e32 v2, 0, v2, vcc
	s_min_u32 s1, s1, 8
	v_lshrrev_b64 v[2:3], s0, v[2:3]
	v_bfe_u32 v2, v2, 0, s1
	v_lshlrev_b32_e32 v1, 2, v1
	v_lshl_or_b32 v1, v2, 4, v1
	v_mov_b32_e32 v2, 1
	ds_add_u32 v1, v2 offset:28672
.LBB1602_313:
	s_or_b64 exec, exec, s[4:5]
	s_cmp_lt_u32 s2, s3
	s_waitcnt lgkmcnt(0)
	s_barrier
	s_cbranch_scc0 .LBB1602_318
; %bb.314:
	s_movk_i32 s0, 0x100
	v_cmp_gt_u32_e32 vcc, s0, v0
	v_lshlrev_b32_e32 v1, 4, v0
	v_mov_b32_e32 v3, 0
	v_mov_b32_e32 v2, v0
	s_mov_b32 s6, s2
	s_branch .LBB1602_316
.LBB1602_315:                           ;   in Loop: Header=BB1602_316 Depth=1
	s_or_b64 exec, exec, s[4:5]
	s_add_i32 s6, s6, 8
	v_add_u32_e32 v2, 0x100, v2
	s_cmp_lt_u32 s6, s3
	v_add_u32_e32 v1, 0x1000, v1
	s_cbranch_scc0 .LBB1602_318
.LBB1602_316:                           ; =>This Inner Loop Header: Depth=1
	s_and_saveexec_b64 s[4:5], vcc
	s_cbranch_execz .LBB1602_315
; %bb.317:                              ;   in Loop: Header=BB1602_316 Depth=1
	ds_read2_b32 v[4:5], v1 offset1:1
	ds_read2_b32 v[6:7], v1 offset0:2 offset1:3
	v_lshlrev_b64 v[8:9], 2, v[2:3]
	v_mov_b32_e32 v10, s11
	s_waitcnt lgkmcnt(1)
	v_add_u32_e32 v4, v5, v4
	s_waitcnt lgkmcnt(0)
	v_add3_u32 v6, v4, v6, v7
	v_add_co_u32_e64 v4, s[0:1], s10, v8
	v_addc_co_u32_e64 v5, s[0:1], v10, v9, s[0:1]
	global_atomic_add v[4:5], v6, off
	s_branch .LBB1602_315
.LBB1602_318:
	s_mov_b64 s[0:1], 0
.LBB1602_319:
	s_and_b64 vcc, exec, s[0:1]
	s_cbranch_vccz .LBB1602_395
; %bb.320:
	s_cmp_eq_u32 s2, 0
	s_cselect_b64 s[0:1], -1, 0
	s_cmp_eq_u32 s3, 64
	s_mov_b32 s13, 0
	s_cselect_b64 s[4:5], -1, 0
	s_and_b64 s[4:5], s[0:1], s[4:5]
	s_lshl_b64 s[0:1], s[12:13], 3
	s_add_u32 s0, s8, s0
	s_addc_u32 s1, s9, s1
	v_lshlrev_b32_e32 v1, 3, v0
	v_mov_b32_e32 v2, s1
	v_add_co_u32_e32 v16, vcc, s0, v1
	v_addc_co_u32_e32 v17, vcc, 0, v2, vcc
	s_movk_i32 s6, 0x2000
	v_add_co_u32_e32 v6, vcc, s6, v16
	v_addc_co_u32_e32 v7, vcc, 0, v17, vcc
	s_movk_i32 s6, 0x4000
	;; [unrolled: 3-line block ×3, first 2 shown]
	v_add_co_u32_e32 v14, vcc, s6, v16
	v_addc_co_u32_e32 v15, vcc, 0, v17, vcc
	global_load_dwordx2 v[12:13], v1, s[0:1]
	global_load_dwordx2 v[8:9], v[6:7], off
	global_load_dwordx2 v[4:5], v[10:11], off
	;; [unrolled: 1-line block ×3, first 2 shown]
	s_mov_b32 s0, 0x8000
	v_add_co_u32_e32 v18, vcc, s0, v16
	v_addc_co_u32_e32 v19, vcc, 0, v17, vcc
	s_mov_b32 s0, 0xa000
	v_add_co_u32_e32 v20, vcc, s0, v16
	v_addc_co_u32_e32 v21, vcc, 0, v17, vcc
	v_add_co_u32_e32 v22, vcc, 0xc000, v16
	v_addc_co_u32_e32 v23, vcc, 0, v17, vcc
	;; [unrolled: 2-line block ×3, first 2 shown]
	global_load_dwordx2 v[16:17], v[18:19], off
	global_load_dwordx2 v[14:15], v[20:21], off
	;; [unrolled: 1-line block ×4, first 2 shown]
	s_mov_b64 s[0:1], -1
	s_and_b64 vcc, exec, s[4:5]
	v_lshlrev_b32_e32 v1, 2, v0
	s_cbranch_vccnz .LBB1602_392
; %bb.321:
	s_cmp_lt_u32 s2, s3
	s_cselect_b64 s[4:5], -1, 0
	v_mov_b32_e32 v18, 0
	s_and_b64 vcc, exec, s[4:5]
	ds_write2st64_b32 v1, v18, v18 offset1:16
	ds_write2st64_b32 v1, v18, v18 offset0:32 offset1:48
	ds_write2st64_b32 v1, v18, v18 offset0:64 offset1:80
	;; [unrolled: 1-line block ×3, first 2 shown]
	s_waitcnt lgkmcnt(0)
	s_barrier
	s_cbranch_vccz .LBB1602_386
; %bb.322:
	v_bfrev_b32_e32 v21, 1
	s_waitcnt vmcnt(7)
	v_cmp_lt_i64_e32 vcc, -1, v[12:13]
	s_mov_b32 s0, -1
	v_cndmask_b32_e32 v18, -1, v21, vcc
	v_ashrrev_i32_e32 v22, 31, v13
	s_brev_b32 s1, -2
	v_xor_b32_e32 v19, v18, v13
	v_xor_b32_e32 v18, v22, v12
	s_sub_i32 s6, s3, s2
	s_min_u32 s6, s6, 8
	v_cmp_ne_u64_e32 vcc, s[0:1], v[18:19]
	s_lshl_b32 s6, -1, s6
	v_cndmask_b32_e32 v19, v21, v19, vcc
	v_cndmask_b32_e32 v18, 0, v18, vcc
	v_and_b32_e32 v20, 3, v0
	s_not_b32 s8, s6
	v_lshrrev_b64 v[22:23], s2, v[18:19]
	v_and_b32_e32 v22, s8, v22
	v_lshlrev_b32_e32 v20, 2, v20
	v_lshl_or_b32 v23, v22, 4, v20
	v_mov_b32_e32 v22, 1
	ds_add_u32 v23, v22
	s_add_i32 s9, s2, 8
	s_cmp_gt_u32 s3, s9
	s_cselect_b64 s[6:7], -1, 0
	s_cmp_le_u32 s3, s9
	s_cbranch_scc1 .LBB1602_330
; %bb.323:
	s_sub_i32 s12, s3, s9
	s_min_u32 s12, s12, 8
	v_lshrrev_b64 v[24:25], s9, v[18:19]
	v_bfe_u32 v23, v24, 0, s12
	v_lshl_or_b32 v23, v23, 4, v20
	ds_add_u32 v23, v22 offset:4096
	s_add_i32 s12, s2, 16
	s_cmp_le_u32 s3, s12
	s_cbranch_scc1 .LBB1602_330
; %bb.324:
	s_sub_i32 s13, s3, s12
	s_min_u32 s13, s13, 8
	v_lshrrev_b64 v[24:25], s12, v[18:19]
	v_bfe_u32 v23, v24, 0, s13
	v_lshl_or_b32 v24, v23, 4, v20
	v_mov_b32_e32 v23, 1
	ds_add_u32 v24, v23 offset:8192
	s_add_i32 s12, s2, 24
	s_cmp_le_u32 s3, s12
	s_cbranch_scc1 .LBB1602_330
; %bb.325:
	s_sub_i32 s13, s3, s12
	s_min_u32 s13, s13, 8
	v_lshrrev_b64 v[24:25], s12, v[18:19]
	v_bfe_u32 v24, v24, 0, s13
	v_lshl_or_b32 v24, v24, 4, v20
	ds_add_u32 v24, v23 offset:12288
	s_add_i32 s12, s2, 32
	s_cmp_le_u32 s3, s12
	s_cbranch_scc1 .LBB1602_330
; %bb.326:
	s_sub_i32 s13, s3, s12
	s_min_u32 s13, s13, 8
	v_lshrrev_b64 v[24:25], s12, v[18:19]
	v_bfe_u32 v23, v24, 0, s13
	v_lshl_or_b32 v24, v23, 4, v20
	v_mov_b32_e32 v23, 1
	ds_add_u32 v24, v23 offset:16384
	s_add_i32 s12, s2, 40
	;; [unrolled: 21-line block ×3, first 2 shown]
	s_cmp_le_u32 s3, s12
	s_cbranch_scc1 .LBB1602_330
; %bb.329:
	s_sub_i32 s13, s3, s12
	s_min_u32 s13, s13, 8
	v_lshrrev_b64 v[18:19], s12, v[18:19]
	v_bfe_u32 v18, v18, 0, s13
	v_lshl_or_b32 v18, v18, 4, v20
	ds_add_u32 v18, v23 offset:28672
.LBB1602_330:
	s_waitcnt vmcnt(6)
	v_cmp_lt_i64_e32 vcc, -1, v[8:9]
	v_cndmask_b32_e32 v18, -1, v21, vcc
	v_ashrrev_i32_e32 v23, 31, v9
	v_xor_b32_e32 v19, v18, v9
	v_xor_b32_e32 v18, v23, v8
	v_cmp_ne_u64_e32 vcc, s[0:1], v[18:19]
	v_cndmask_b32_e32 v19, v21, v19, vcc
	v_cndmask_b32_e32 v18, 0, v18, vcc
	v_lshrrev_b64 v[24:25], s2, v[18:19]
	v_and_b32_e32 v21, s8, v24
	v_lshl_or_b32 v21, v21, 4, v20
	ds_add_u32 v21, v22
	v_cndmask_b32_e64 v21, 0, 1, s[6:7]
	v_cmp_ne_u32_e64 s[0:1], 1, v21
	s_andn2_b64 vcc, exec, s[6:7]
	s_cbranch_vccnz .LBB1602_338
; %bb.331:
	s_sub_i32 s6, s3, s9
	s_min_u32 s6, s6, 8
	v_lshrrev_b64 v[22:23], s9, v[18:19]
	v_bfe_u32 v21, v22, 0, s6
	v_lshl_or_b32 v22, v21, 4, v20
	v_mov_b32_e32 v21, 1
	ds_add_u32 v22, v21 offset:4096
	s_add_i32 s6, s2, 16
	s_cmp_le_u32 s3, s6
	s_cbranch_scc1 .LBB1602_338
; %bb.332:
	s_sub_i32 s7, s3, s6
	s_min_u32 s7, s7, 8
	v_lshrrev_b64 v[22:23], s6, v[18:19]
	v_bfe_u32 v22, v22, 0, s7
	v_lshl_or_b32 v22, v22, 4, v20
	ds_add_u32 v22, v21 offset:8192
	s_add_i32 s6, s2, 24
	s_cmp_le_u32 s3, s6
	s_cbranch_scc1 .LBB1602_338
; %bb.333:
	s_sub_i32 s7, s3, s6
	s_min_u32 s7, s7, 8
	v_lshrrev_b64 v[22:23], s6, v[18:19]
	v_bfe_u32 v21, v22, 0, s7
	v_lshl_or_b32 v22, v21, 4, v20
	v_mov_b32_e32 v21, 1
	ds_add_u32 v22, v21 offset:12288
	s_add_i32 s6, s2, 32
	s_cmp_le_u32 s3, s6
	s_cbranch_scc1 .LBB1602_338
; %bb.334:
	s_sub_i32 s7, s3, s6
	s_min_u32 s7, s7, 8
	v_lshrrev_b64 v[22:23], s6, v[18:19]
	v_bfe_u32 v22, v22, 0, s7
	v_lshl_or_b32 v22, v22, 4, v20
	ds_add_u32 v22, v21 offset:16384
	s_add_i32 s6, s2, 40
	s_cmp_le_u32 s3, s6
	s_cbranch_scc1 .LBB1602_338
	;; [unrolled: 21-line block ×3, first 2 shown]
; %bb.337:
	s_sub_i32 s7, s3, s6
	s_min_u32 s7, s7, 8
	v_lshrrev_b64 v[18:19], s6, v[18:19]
	v_bfe_u32 v18, v18, 0, s7
	v_lshl_or_b32 v18, v18, 4, v20
	v_mov_b32_e32 v19, 1
	ds_add_u32 v18, v19 offset:28672
.LBB1602_338:
	v_bfrev_b32_e32 v21, 1
	s_waitcnt vmcnt(5)
	v_cmp_lt_i64_e32 vcc, -1, v[4:5]
	s_mov_b32 s6, -1
	v_cndmask_b32_e32 v18, -1, v21, vcc
	v_ashrrev_i32_e32 v22, 31, v5
	s_brev_b32 s7, -2
	v_xor_b32_e32 v19, v18, v5
	v_xor_b32_e32 v18, v22, v4
	v_cmp_ne_u64_e32 vcc, s[6:7], v[18:19]
	v_cndmask_b32_e32 v19, v21, v19, vcc
	v_cndmask_b32_e32 v18, 0, v18, vcc
	v_lshrrev_b64 v[22:23], s2, v[18:19]
	v_and_b32_e32 v22, s8, v22
	v_lshl_or_b32 v23, v22, 4, v20
	v_mov_b32_e32 v22, 1
	ds_add_u32 v23, v22
	s_and_b64 vcc, exec, s[0:1]
	s_cbranch_vccnz .LBB1602_346
; %bb.339:
	s_sub_i32 s12, s3, s9
	s_min_u32 s12, s12, 8
	v_lshrrev_b64 v[24:25], s9, v[18:19]
	v_bfe_u32 v23, v24, 0, s12
	v_lshl_or_b32 v23, v23, 4, v20
	ds_add_u32 v23, v22 offset:4096
	s_add_i32 s12, s2, 16
	s_cmp_le_u32 s3, s12
	s_cbranch_scc1 .LBB1602_346
; %bb.340:
	s_sub_i32 s13, s3, s12
	s_min_u32 s13, s13, 8
	v_lshrrev_b64 v[24:25], s12, v[18:19]
	v_bfe_u32 v23, v24, 0, s13
	v_lshl_or_b32 v23, v23, 4, v20
	ds_add_u32 v23, v22 offset:8192
	s_add_i32 s12, s2, 24
	s_cmp_le_u32 s3, s12
	s_cbranch_scc1 .LBB1602_346
; %bb.341:
	s_sub_i32 s13, s3, s12
	s_min_u32 s13, s13, 8
	v_lshrrev_b64 v[24:25], s12, v[18:19]
	v_bfe_u32 v23, v24, 0, s13
	v_lshl_or_b32 v24, v23, 4, v20
	v_mov_b32_e32 v23, 1
	ds_add_u32 v24, v23 offset:12288
	s_add_i32 s12, s2, 32
	s_cmp_le_u32 s3, s12
	s_cbranch_scc1 .LBB1602_346
; %bb.342:
	s_sub_i32 s13, s3, s12
	s_min_u32 s13, s13, 8
	v_lshrrev_b64 v[24:25], s12, v[18:19]
	v_bfe_u32 v24, v24, 0, s13
	v_lshl_or_b32 v24, v24, 4, v20
	ds_add_u32 v24, v23 offset:16384
	s_add_i32 s12, s2, 40
	s_cmp_le_u32 s3, s12
	s_cbranch_scc1 .LBB1602_346
; %bb.343:
	s_sub_i32 s13, s3, s12
	s_min_u32 s13, s13, 8
	v_lshrrev_b64 v[24:25], s12, v[18:19]
	v_bfe_u32 v23, v24, 0, s13
	v_lshl_or_b32 v24, v23, 4, v20
	v_mov_b32_e32 v23, 1
	;; [unrolled: 21-line block ×3, first 2 shown]
	ds_add_u32 v18, v19 offset:28672
.LBB1602_346:
	s_waitcnt vmcnt(4)
	v_cmp_lt_i64_e32 vcc, -1, v[2:3]
	v_cndmask_b32_e32 v18, -1, v21, vcc
	v_ashrrev_i32_e32 v23, 31, v3
	v_xor_b32_e32 v19, v18, v3
	v_xor_b32_e32 v18, v23, v2
	v_cmp_ne_u64_e32 vcc, s[6:7], v[18:19]
	v_cndmask_b32_e32 v19, v21, v19, vcc
	v_cndmask_b32_e32 v18, 0, v18, vcc
	v_lshrrev_b64 v[24:25], s2, v[18:19]
	v_and_b32_e32 v21, s8, v24
	v_lshl_or_b32 v21, v21, 4, v20
	ds_add_u32 v21, v22
	s_and_b64 vcc, exec, s[0:1]
	s_cbranch_vccnz .LBB1602_354
; %bb.347:
	s_sub_i32 s6, s3, s9
	s_min_u32 s6, s6, 8
	v_lshrrev_b64 v[22:23], s9, v[18:19]
	v_bfe_u32 v21, v22, 0, s6
	v_lshl_or_b32 v22, v21, 4, v20
	v_mov_b32_e32 v21, 1
	ds_add_u32 v22, v21 offset:4096
	s_add_i32 s6, s2, 16
	s_cmp_le_u32 s3, s6
	s_cbranch_scc1 .LBB1602_354
; %bb.348:
	s_sub_i32 s7, s3, s6
	s_min_u32 s7, s7, 8
	v_lshrrev_b64 v[22:23], s6, v[18:19]
	v_bfe_u32 v22, v22, 0, s7
	v_lshl_or_b32 v22, v22, 4, v20
	ds_add_u32 v22, v21 offset:8192
	s_add_i32 s6, s2, 24
	s_cmp_le_u32 s3, s6
	s_cbranch_scc1 .LBB1602_354
; %bb.349:
	s_sub_i32 s7, s3, s6
	s_min_u32 s7, s7, 8
	v_lshrrev_b64 v[22:23], s6, v[18:19]
	v_bfe_u32 v21, v22, 0, s7
	v_lshl_or_b32 v22, v21, 4, v20
	v_mov_b32_e32 v21, 1
	ds_add_u32 v22, v21 offset:12288
	s_add_i32 s6, s2, 32
	s_cmp_le_u32 s3, s6
	s_cbranch_scc1 .LBB1602_354
; %bb.350:
	s_sub_i32 s7, s3, s6
	s_min_u32 s7, s7, 8
	v_lshrrev_b64 v[22:23], s6, v[18:19]
	v_bfe_u32 v22, v22, 0, s7
	v_lshl_or_b32 v22, v22, 4, v20
	ds_add_u32 v22, v21 offset:16384
	s_add_i32 s6, s2, 40
	s_cmp_le_u32 s3, s6
	s_cbranch_scc1 .LBB1602_354
	;; [unrolled: 21-line block ×3, first 2 shown]
; %bb.353:
	s_sub_i32 s7, s3, s6
	s_min_u32 s7, s7, 8
	v_lshrrev_b64 v[18:19], s6, v[18:19]
	v_bfe_u32 v18, v18, 0, s7
	v_lshl_or_b32 v18, v18, 4, v20
	v_mov_b32_e32 v19, 1
	ds_add_u32 v18, v19 offset:28672
.LBB1602_354:
	v_bfrev_b32_e32 v21, 1
	s_waitcnt vmcnt(3)
	v_cmp_lt_i64_e32 vcc, -1, v[16:17]
	s_mov_b32 s6, -1
	v_cndmask_b32_e32 v18, -1, v21, vcc
	v_ashrrev_i32_e32 v22, 31, v17
	s_brev_b32 s7, -2
	v_xor_b32_e32 v19, v18, v17
	v_xor_b32_e32 v18, v22, v16
	v_cmp_ne_u64_e32 vcc, s[6:7], v[18:19]
	v_cndmask_b32_e32 v19, v21, v19, vcc
	v_cndmask_b32_e32 v18, 0, v18, vcc
	v_lshrrev_b64 v[22:23], s2, v[18:19]
	v_and_b32_e32 v22, s8, v22
	v_lshl_or_b32 v23, v22, 4, v20
	v_mov_b32_e32 v22, 1
	ds_add_u32 v23, v22
	s_and_b64 vcc, exec, s[0:1]
	s_cbranch_vccnz .LBB1602_362
; %bb.355:
	s_sub_i32 s12, s3, s9
	s_min_u32 s12, s12, 8
	v_lshrrev_b64 v[24:25], s9, v[18:19]
	v_bfe_u32 v23, v24, 0, s12
	v_lshl_or_b32 v23, v23, 4, v20
	ds_add_u32 v23, v22 offset:4096
	s_add_i32 s12, s2, 16
	s_cmp_le_u32 s3, s12
	s_cbranch_scc1 .LBB1602_362
; %bb.356:
	s_sub_i32 s13, s3, s12
	s_min_u32 s13, s13, 8
	v_lshrrev_b64 v[24:25], s12, v[18:19]
	v_bfe_u32 v23, v24, 0, s13
	v_lshl_or_b32 v23, v23, 4, v20
	ds_add_u32 v23, v22 offset:8192
	s_add_i32 s12, s2, 24
	s_cmp_le_u32 s3, s12
	s_cbranch_scc1 .LBB1602_362
; %bb.357:
	s_sub_i32 s13, s3, s12
	s_min_u32 s13, s13, 8
	v_lshrrev_b64 v[24:25], s12, v[18:19]
	v_bfe_u32 v23, v24, 0, s13
	v_lshl_or_b32 v24, v23, 4, v20
	v_mov_b32_e32 v23, 1
	ds_add_u32 v24, v23 offset:12288
	s_add_i32 s12, s2, 32
	s_cmp_le_u32 s3, s12
	s_cbranch_scc1 .LBB1602_362
; %bb.358:
	s_sub_i32 s13, s3, s12
	s_min_u32 s13, s13, 8
	v_lshrrev_b64 v[24:25], s12, v[18:19]
	v_bfe_u32 v24, v24, 0, s13
	v_lshl_or_b32 v24, v24, 4, v20
	ds_add_u32 v24, v23 offset:16384
	s_add_i32 s12, s2, 40
	s_cmp_le_u32 s3, s12
	s_cbranch_scc1 .LBB1602_362
; %bb.359:
	s_sub_i32 s13, s3, s12
	s_min_u32 s13, s13, 8
	v_lshrrev_b64 v[24:25], s12, v[18:19]
	v_bfe_u32 v23, v24, 0, s13
	v_lshl_or_b32 v24, v23, 4, v20
	v_mov_b32_e32 v23, 1
	;; [unrolled: 21-line block ×3, first 2 shown]
	ds_add_u32 v18, v19 offset:28672
.LBB1602_362:
	s_waitcnt vmcnt(2)
	v_cmp_lt_i64_e32 vcc, -1, v[14:15]
	v_cndmask_b32_e32 v18, -1, v21, vcc
	v_ashrrev_i32_e32 v23, 31, v15
	v_xor_b32_e32 v19, v18, v15
	v_xor_b32_e32 v18, v23, v14
	v_cmp_ne_u64_e32 vcc, s[6:7], v[18:19]
	v_cndmask_b32_e32 v19, v21, v19, vcc
	v_cndmask_b32_e32 v18, 0, v18, vcc
	v_lshrrev_b64 v[24:25], s2, v[18:19]
	v_and_b32_e32 v21, s8, v24
	v_lshl_or_b32 v21, v21, 4, v20
	ds_add_u32 v21, v22
	s_and_b64 vcc, exec, s[0:1]
	s_cbranch_vccnz .LBB1602_370
; %bb.363:
	s_sub_i32 s6, s3, s9
	s_min_u32 s6, s6, 8
	v_lshrrev_b64 v[22:23], s9, v[18:19]
	v_bfe_u32 v21, v22, 0, s6
	v_lshl_or_b32 v22, v21, 4, v20
	v_mov_b32_e32 v21, 1
	ds_add_u32 v22, v21 offset:4096
	s_add_i32 s6, s2, 16
	s_cmp_le_u32 s3, s6
	s_cbranch_scc1 .LBB1602_370
; %bb.364:
	s_sub_i32 s7, s3, s6
	s_min_u32 s7, s7, 8
	v_lshrrev_b64 v[22:23], s6, v[18:19]
	v_bfe_u32 v22, v22, 0, s7
	v_lshl_or_b32 v22, v22, 4, v20
	ds_add_u32 v22, v21 offset:8192
	s_add_i32 s6, s2, 24
	s_cmp_le_u32 s3, s6
	s_cbranch_scc1 .LBB1602_370
; %bb.365:
	s_sub_i32 s7, s3, s6
	s_min_u32 s7, s7, 8
	v_lshrrev_b64 v[22:23], s6, v[18:19]
	v_bfe_u32 v21, v22, 0, s7
	v_lshl_or_b32 v22, v21, 4, v20
	v_mov_b32_e32 v21, 1
	ds_add_u32 v22, v21 offset:12288
	s_add_i32 s6, s2, 32
	s_cmp_le_u32 s3, s6
	s_cbranch_scc1 .LBB1602_370
; %bb.366:
	s_sub_i32 s7, s3, s6
	s_min_u32 s7, s7, 8
	v_lshrrev_b64 v[22:23], s6, v[18:19]
	v_bfe_u32 v22, v22, 0, s7
	v_lshl_or_b32 v22, v22, 4, v20
	ds_add_u32 v22, v21 offset:16384
	s_add_i32 s6, s2, 40
	s_cmp_le_u32 s3, s6
	s_cbranch_scc1 .LBB1602_370
	;; [unrolled: 21-line block ×3, first 2 shown]
; %bb.369:
	s_sub_i32 s7, s3, s6
	s_min_u32 s7, s7, 8
	v_lshrrev_b64 v[18:19], s6, v[18:19]
	v_bfe_u32 v18, v18, 0, s7
	v_lshl_or_b32 v18, v18, 4, v20
	v_mov_b32_e32 v19, 1
	ds_add_u32 v18, v19 offset:28672
.LBB1602_370:
	v_bfrev_b32_e32 v21, 1
	s_waitcnt vmcnt(1)
	v_cmp_lt_i64_e32 vcc, -1, v[10:11]
	s_mov_b32 s6, -1
	v_cndmask_b32_e32 v18, -1, v21, vcc
	v_ashrrev_i32_e32 v22, 31, v11
	s_brev_b32 s7, -2
	v_xor_b32_e32 v19, v18, v11
	v_xor_b32_e32 v18, v22, v10
	v_cmp_ne_u64_e32 vcc, s[6:7], v[18:19]
	v_cndmask_b32_e32 v19, v21, v19, vcc
	v_cndmask_b32_e32 v18, 0, v18, vcc
	v_lshrrev_b64 v[22:23], s2, v[18:19]
	v_and_b32_e32 v22, s8, v22
	v_lshl_or_b32 v23, v22, 4, v20
	v_mov_b32_e32 v22, 1
	ds_add_u32 v23, v22
	s_and_b64 vcc, exec, s[0:1]
	s_cbranch_vccnz .LBB1602_378
; %bb.371:
	s_sub_i32 s12, s3, s9
	s_min_u32 s12, s12, 8
	v_lshrrev_b64 v[24:25], s9, v[18:19]
	v_bfe_u32 v23, v24, 0, s12
	v_lshl_or_b32 v23, v23, 4, v20
	ds_add_u32 v23, v22 offset:4096
	s_add_i32 s12, s2, 16
	s_cmp_le_u32 s3, s12
	s_cbranch_scc1 .LBB1602_378
; %bb.372:
	s_sub_i32 s13, s3, s12
	s_min_u32 s13, s13, 8
	v_lshrrev_b64 v[24:25], s12, v[18:19]
	v_bfe_u32 v23, v24, 0, s13
	v_lshl_or_b32 v23, v23, 4, v20
	ds_add_u32 v23, v22 offset:8192
	s_add_i32 s12, s2, 24
	s_cmp_le_u32 s3, s12
	s_cbranch_scc1 .LBB1602_378
; %bb.373:
	s_sub_i32 s13, s3, s12
	s_min_u32 s13, s13, 8
	v_lshrrev_b64 v[24:25], s12, v[18:19]
	v_bfe_u32 v23, v24, 0, s13
	v_lshl_or_b32 v24, v23, 4, v20
	v_mov_b32_e32 v23, 1
	ds_add_u32 v24, v23 offset:12288
	s_add_i32 s12, s2, 32
	s_cmp_le_u32 s3, s12
	s_cbranch_scc1 .LBB1602_378
; %bb.374:
	s_sub_i32 s13, s3, s12
	s_min_u32 s13, s13, 8
	v_lshrrev_b64 v[24:25], s12, v[18:19]
	v_bfe_u32 v24, v24, 0, s13
	v_lshl_or_b32 v24, v24, 4, v20
	ds_add_u32 v24, v23 offset:16384
	s_add_i32 s12, s2, 40
	s_cmp_le_u32 s3, s12
	s_cbranch_scc1 .LBB1602_378
; %bb.375:
	s_sub_i32 s13, s3, s12
	s_min_u32 s13, s13, 8
	v_lshrrev_b64 v[24:25], s12, v[18:19]
	v_bfe_u32 v23, v24, 0, s13
	v_lshl_or_b32 v24, v23, 4, v20
	v_mov_b32_e32 v23, 1
	;; [unrolled: 21-line block ×3, first 2 shown]
	ds_add_u32 v18, v19 offset:28672
.LBB1602_378:
	s_waitcnt vmcnt(0)
	v_cmp_lt_i64_e32 vcc, -1, v[6:7]
	v_cndmask_b32_e32 v18, -1, v21, vcc
	v_ashrrev_i32_e32 v23, 31, v7
	v_xor_b32_e32 v19, v18, v7
	v_xor_b32_e32 v18, v23, v6
	v_cmp_ne_u64_e32 vcc, s[6:7], v[18:19]
	v_cndmask_b32_e32 v19, v21, v19, vcc
	v_cndmask_b32_e32 v18, 0, v18, vcc
	v_lshrrev_b64 v[24:25], s2, v[18:19]
	v_and_b32_e32 v21, s8, v24
	v_lshl_or_b32 v21, v21, 4, v20
	ds_add_u32 v21, v22
	s_and_b64 vcc, exec, s[0:1]
	s_cbranch_vccnz .LBB1602_386
; %bb.379:
	s_sub_i32 s0, s3, s9
	s_min_u32 s0, s0, 8
	v_lshrrev_b64 v[22:23], s9, v[18:19]
	v_bfe_u32 v21, v22, 0, s0
	v_lshl_or_b32 v22, v21, 4, v20
	v_mov_b32_e32 v21, 1
	ds_add_u32 v22, v21 offset:4096
	s_add_i32 s0, s2, 16
	s_cmp_le_u32 s3, s0
	s_cbranch_scc1 .LBB1602_386
; %bb.380:
	s_sub_i32 s1, s3, s0
	s_min_u32 s1, s1, 8
	v_lshrrev_b64 v[22:23], s0, v[18:19]
	v_bfe_u32 v22, v22, 0, s1
	v_lshl_or_b32 v22, v22, 4, v20
	ds_add_u32 v22, v21 offset:8192
	s_add_i32 s0, s2, 24
	s_cmp_le_u32 s3, s0
	s_cbranch_scc1 .LBB1602_386
; %bb.381:
	s_sub_i32 s1, s3, s0
	s_min_u32 s1, s1, 8
	v_lshrrev_b64 v[22:23], s0, v[18:19]
	v_bfe_u32 v21, v22, 0, s1
	v_lshl_or_b32 v22, v21, 4, v20
	v_mov_b32_e32 v21, 1
	ds_add_u32 v22, v21 offset:12288
	s_add_i32 s0, s2, 32
	s_cmp_le_u32 s3, s0
	s_cbranch_scc1 .LBB1602_386
; %bb.382:
	s_sub_i32 s1, s3, s0
	s_min_u32 s1, s1, 8
	v_lshrrev_b64 v[22:23], s0, v[18:19]
	v_bfe_u32 v22, v22, 0, s1
	v_lshl_or_b32 v22, v22, 4, v20
	ds_add_u32 v22, v21 offset:16384
	s_add_i32 s0, s2, 40
	s_cmp_le_u32 s3, s0
	s_cbranch_scc1 .LBB1602_386
	;; [unrolled: 21-line block ×3, first 2 shown]
; %bb.385:
	s_sub_i32 s1, s3, s0
	s_min_u32 s1, s1, 8
	v_lshrrev_b64 v[18:19], s0, v[18:19]
	v_bfe_u32 v18, v18, 0, s1
	v_lshl_or_b32 v18, v18, 4, v20
	v_mov_b32_e32 v19, 1
	ds_add_u32 v18, v19 offset:28672
.LBB1602_386:
	s_and_b64 vcc, exec, s[4:5]
	s_waitcnt lgkmcnt(0)
	s_barrier
	s_cbranch_vccz .LBB1602_391
; %bb.387:
	s_movk_i32 s0, 0x100
	v_cmp_gt_u32_e32 vcc, s0, v0
	v_lshlrev_b32_e32 v20, 4, v0
	v_mov_b32_e32 v19, 0
	v_mov_b32_e32 v18, v0
	s_branch .LBB1602_389
.LBB1602_388:                           ;   in Loop: Header=BB1602_389 Depth=1
	s_or_b64 exec, exec, s[4:5]
	s_add_i32 s2, s2, 8
	v_add_u32_e32 v18, 0x100, v18
	s_cmp_ge_u32 s2, s3
	v_add_u32_e32 v20, 0x1000, v20
	s_cbranch_scc1 .LBB1602_391
.LBB1602_389:                           ; =>This Inner Loop Header: Depth=1
	s_and_saveexec_b64 s[4:5], vcc
	s_cbranch_execz .LBB1602_388
; %bb.390:                              ;   in Loop: Header=BB1602_389 Depth=1
	ds_read2_b32 v[22:23], v20 offset1:1
	ds_read2_b32 v[24:25], v20 offset0:2 offset1:3
	v_lshlrev_b64 v[26:27], 2, v[18:19]
	v_mov_b32_e32 v21, s11
	s_waitcnt lgkmcnt(1)
	v_add_u32_e32 v22, v23, v22
	s_waitcnt lgkmcnt(0)
	v_add3_u32 v24, v22, v24, v25
	v_add_co_u32_e64 v22, s[0:1], s10, v26
	v_addc_co_u32_e64 v23, s[0:1], v21, v27, s[0:1]
	global_atomic_add v[22:23], v24, off
	s_branch .LBB1602_388
.LBB1602_391:
	s_mov_b64 s[0:1], 0
.LBB1602_392:
	s_and_b64 vcc, exec, s[0:1]
	s_cbranch_vccz .LBB1602_395
; %bb.393:
	v_mov_b32_e32 v18, 0
	v_bfrev_b32_e32 v20, 1
	s_waitcnt vmcnt(7)
	v_cmp_lt_i64_e32 vcc, -1, v[12:13]
	ds_write2st64_b32 v1, v18, v18 offset1:16
	ds_write2st64_b32 v1, v18, v18 offset0:32 offset1:48
	ds_write2st64_b32 v1, v18, v18 offset0:64 offset1:80
	;; [unrolled: 1-line block ×3, first 2 shown]
	v_cndmask_b32_e32 v18, -1, v20, vcc
	v_ashrrev_i32_e32 v19, 31, v13
	s_waitcnt vmcnt(6)
	v_cmp_lt_i64_e32 vcc, -1, v[8:9]
	v_xor_b32_e32 v23, v18, v13
	v_xor_b32_e32 v22, v19, v12
	v_cndmask_b32_e32 v12, -1, v20, vcc
	v_ashrrev_i32_e32 v13, 31, v9
	s_waitcnt vmcnt(5)
	v_cmp_lt_i64_e32 vcc, -1, v[4:5]
	v_xor_b32_e32 v25, v12, v9
	v_xor_b32_e32 v24, v13, v8
	;; [unrolled: 6-line block ×3, first 2 shown]
	v_cndmask_b32_e32 v4, -1, v20, vcc
	v_ashrrev_i32_e32 v5, 31, v3
	s_waitcnt vmcnt(3)
	v_cmp_lt_i64_e32 vcc, -1, v[16:17]
	v_xor_b32_e32 v18, v5, v2
	v_cndmask_b32_e32 v2, -1, v20, vcc
	s_waitcnt vmcnt(2)
	v_cmp_lt_i64_e32 vcc, -1, v[14:15]
	s_mov_b32 s0, -1
	v_xor_b32_e32 v19, v4, v3
	v_ashrrev_i32_e32 v3, 31, v17
	v_xor_b32_e32 v13, v2, v17
	v_cndmask_b32_e32 v2, -1, v20, vcc
	s_waitcnt vmcnt(1)
	v_cmp_lt_i64_e32 vcc, -1, v[10:11]
	s_brev_b32 s1, -2
	v_xor_b32_e32 v12, v3, v16
	v_ashrrev_i32_e32 v3, 31, v15
	v_xor_b32_e32 v9, v2, v15
	v_cndmask_b32_e32 v2, -1, v20, vcc
	s_waitcnt vmcnt(0)
	v_cmp_lt_i64_e32 vcc, -1, v[6:7]
	v_xor_b32_e32 v8, v3, v14
	v_ashrrev_i32_e32 v3, 31, v11
	v_xor_b32_e32 v5, v2, v11
	v_cndmask_b32_e32 v2, -1, v20, vcc
	v_cmp_ne_u64_e32 vcc, s[0:1], v[22:23]
	v_xor_b32_e32 v4, v3, v10
	v_ashrrev_i32_e32 v10, 31, v7
	v_cndmask_b32_e32 v11, 0, v22, vcc
	v_xor_b32_e32 v3, v2, v7
	v_xor_b32_e32 v2, v10, v6
	v_and_b32_e32 v6, 3, v0
	v_lshlrev_b32_e32 v7, 2, v11
	s_movk_i32 s2, 0x3fc
	v_and_or_b32 v7, v7, s2, v6
	v_lshlrev_b32_e32 v14, 2, v7
	v_mov_b32_e32 v7, 1
	s_waitcnt lgkmcnt(0)
	s_barrier
	ds_add_u32 v14, v7
	v_bfe_u32 v14, v11, 8, 8
	v_lshl_or_b32 v14, v14, 2, v6
	v_lshlrev_b32_e32 v14, 2, v14
	ds_add_u32 v14, v7 offset:4096
	v_bfe_u32 v14, v11, 16, 8
	v_lshl_or_b32 v14, v14, 2, v6
	v_lshlrev_b32_e32 v14, 2, v14
	v_cndmask_b32_e32 v10, v20, v23, vcc
	ds_add_u32 v14, v7 offset:8192
	v_lshrrev_b32_e32 v14, 24, v11
	v_lshl_or_b32 v14, v14, 2, v6
	v_alignbit_b32 v11, v10, v11, 30
	v_lshlrev_b32_e32 v14, 2, v14
	v_and_or_b32 v11, v11, s2, v6
	ds_add_u32 v14, v7 offset:12288
	v_lshlrev_b32_e32 v11, 2, v11
	ds_add_u32 v11, v7 offset:16384
	v_bfe_u32 v11, v10, 8, 8
	v_lshl_or_b32 v11, v11, 2, v6
	v_lshlrev_b32_e32 v11, 2, v11
	ds_add_u32 v11, v7 offset:20480
	v_bfe_u32 v11, v10, 16, 8
	v_lshl_or_b32 v11, v11, 2, v6
	v_lshlrev_b32_e32 v11, 2, v11
	v_cmp_ne_u64_e32 vcc, s[0:1], v[24:25]
	ds_add_u32 v11, v7 offset:24576
	v_lshrrev_b32_e32 v10, 24, v10
	v_cndmask_b32_e32 v11, 0, v24, vcc
	v_lshl_or_b32 v10, v10, 2, v6
	v_lshlrev_b32_e32 v14, 2, v11
	v_lshlrev_b32_e32 v10, 2, v10
	v_and_or_b32 v14, v14, s2, v6
	ds_add_u32 v10, v7 offset:28672
	v_lshlrev_b32_e32 v14, 2, v14
	ds_add_u32 v14, v7
	v_bfe_u32 v14, v11, 8, 8
	v_lshl_or_b32 v14, v14, 2, v6
	v_lshlrev_b32_e32 v14, 2, v14
	ds_add_u32 v14, v7 offset:4096
	v_bfe_u32 v14, v11, 16, 8
	v_lshl_or_b32 v14, v14, 2, v6
	v_lshlrev_b32_e32 v14, 2, v14
	v_cndmask_b32_e32 v10, v20, v25, vcc
	ds_add_u32 v14, v7 offset:8192
	v_lshrrev_b32_e32 v14, 24, v11
	v_lshl_or_b32 v14, v14, 2, v6
	v_alignbit_b32 v11, v10, v11, 30
	v_lshlrev_b32_e32 v14, 2, v14
	v_and_or_b32 v11, v11, s2, v6
	ds_add_u32 v14, v7 offset:12288
	v_lshlrev_b32_e32 v11, 2, v11
	ds_add_u32 v11, v7 offset:16384
	v_bfe_u32 v11, v10, 8, 8
	v_lshl_or_b32 v11, v11, 2, v6
	v_lshlrev_b32_e32 v11, 2, v11
	ds_add_u32 v11, v7 offset:20480
	v_bfe_u32 v11, v10, 16, 8
	v_lshl_or_b32 v11, v11, 2, v6
	v_lshlrev_b32_e32 v11, 2, v11
	v_cmp_ne_u64_e32 vcc, s[0:1], v[26:27]
	ds_add_u32 v11, v7 offset:24576
	v_lshrrev_b32_e32 v10, 24, v10
	v_cndmask_b32_e32 v11, 0, v26, vcc
	v_lshl_or_b32 v10, v10, 2, v6
	v_lshlrev_b32_e32 v14, 2, v11
	v_lshlrev_b32_e32 v10, 2, v10
	v_and_or_b32 v14, v14, s2, v6
	ds_add_u32 v10, v7 offset:28672
	v_lshlrev_b32_e32 v14, 2, v14
	;; [unrolled: 35-line block ×4, first 2 shown]
	ds_add_u32 v12, v7
	v_bfe_u32 v12, v11, 8, 8
	v_lshl_or_b32 v12, v12, 2, v6
	v_lshlrev_b32_e32 v12, 2, v12
	ds_add_u32 v12, v7 offset:4096
	v_bfe_u32 v12, v11, 16, 8
	v_lshl_or_b32 v12, v12, 2, v6
	v_lshlrev_b32_e32 v12, 2, v12
	v_cndmask_b32_e32 v10, v20, v13, vcc
	ds_add_u32 v12, v7 offset:8192
	v_lshrrev_b32_e32 v12, 24, v11
	v_lshl_or_b32 v12, v12, 2, v6
	v_alignbit_b32 v11, v10, v11, 30
	v_lshlrev_b32_e32 v12, 2, v12
	v_and_or_b32 v11, v11, s2, v6
	ds_add_u32 v12, v7 offset:12288
	v_lshlrev_b32_e32 v11, 2, v11
	ds_add_u32 v11, v7 offset:16384
	v_bfe_u32 v11, v10, 8, 8
	v_lshl_or_b32 v11, v11, 2, v6
	v_lshlrev_b32_e32 v11, 2, v11
	ds_add_u32 v11, v7 offset:20480
	v_bfe_u32 v11, v10, 16, 8
	v_lshl_or_b32 v11, v11, 2, v6
	v_lshrrev_b32_e32 v10, 24, v10
	v_lshlrev_b32_e32 v11, 2, v11
	v_lshl_or_b32 v10, v10, 2, v6
	v_cmp_ne_u64_e32 vcc, s[0:1], v[8:9]
	ds_add_u32 v11, v7 offset:24576
	v_lshlrev_b32_e32 v10, 2, v10
	v_cndmask_b32_e32 v8, 0, v8, vcc
	ds_add_u32 v10, v7 offset:28672
	v_lshlrev_b32_e32 v10, 2, v8
	v_and_or_b32 v10, v10, s2, v6
	v_lshlrev_b32_e32 v10, 2, v10
	ds_add_u32 v10, v7
	v_bfe_u32 v10, v8, 8, 8
	v_lshl_or_b32 v10, v10, 2, v6
	v_lshlrev_b32_e32 v10, 2, v10
	ds_add_u32 v10, v7 offset:4096
	v_bfe_u32 v10, v8, 16, 8
	v_lshl_or_b32 v10, v10, 2, v6
	v_lshlrev_b32_e32 v10, 2, v10
	v_cndmask_b32_e32 v9, v20, v9, vcc
	ds_add_u32 v10, v7 offset:8192
	v_lshrrev_b32_e32 v10, 24, v8
	v_lshl_or_b32 v10, v10, 2, v6
	v_alignbit_b32 v8, v9, v8, 30
	v_lshlrev_b32_e32 v10, 2, v10
	v_and_or_b32 v8, v8, s2, v6
	ds_add_u32 v10, v7 offset:12288
	v_lshlrev_b32_e32 v8, 2, v8
	ds_add_u32 v8, v7 offset:16384
	v_bfe_u32 v8, v9, 8, 8
	v_lshl_or_b32 v8, v8, 2, v6
	v_lshlrev_b32_e32 v8, 2, v8
	ds_add_u32 v8, v7 offset:20480
	v_bfe_u32 v8, v9, 16, 8
	v_lshl_or_b32 v8, v8, 2, v6
	v_lshlrev_b32_e32 v8, 2, v8
	ds_add_u32 v8, v7 offset:24576
	v_lshrrev_b32_e32 v8, 24, v9
	v_lshl_or_b32 v8, v8, 2, v6
	v_cmp_ne_u64_e32 vcc, s[0:1], v[4:5]
	v_lshlrev_b32_e32 v8, 2, v8
	v_cndmask_b32_e32 v4, 0, v4, vcc
	ds_add_u32 v8, v7 offset:28672
	v_lshlrev_b32_e32 v8, 2, v4
	v_and_or_b32 v8, v8, s2, v6
	v_lshlrev_b32_e32 v8, 2, v8
	ds_add_u32 v8, v7
	v_bfe_u32 v8, v4, 8, 8
	v_lshl_or_b32 v8, v8, 2, v6
	v_lshlrev_b32_e32 v8, 2, v8
	ds_add_u32 v8, v7 offset:4096
	v_bfe_u32 v8, v4, 16, 8
	v_lshl_or_b32 v8, v8, 2, v6
	v_lshlrev_b32_e32 v8, 2, v8
	v_cndmask_b32_e32 v5, v20, v5, vcc
	ds_add_u32 v8, v7 offset:8192
	v_lshrrev_b32_e32 v8, 24, v4
	v_lshl_or_b32 v8, v8, 2, v6
	v_alignbit_b32 v4, v5, v4, 30
	v_lshlrev_b32_e32 v8, 2, v8
	v_and_or_b32 v4, v4, s2, v6
	ds_add_u32 v8, v7 offset:12288
	v_lshlrev_b32_e32 v4, 2, v4
	ds_add_u32 v4, v7 offset:16384
	v_bfe_u32 v4, v5, 8, 8
	v_lshl_or_b32 v4, v4, 2, v6
	v_lshlrev_b32_e32 v4, 2, v4
	ds_add_u32 v4, v7 offset:20480
	v_bfe_u32 v4, v5, 16, 8
	v_lshl_or_b32 v4, v4, 2, v6
	v_lshlrev_b32_e32 v4, 2, v4
	ds_add_u32 v4, v7 offset:24576
	v_lshrrev_b32_e32 v4, 24, v5
	v_lshl_or_b32 v4, v4, 2, v6
	v_cmp_ne_u64_e32 vcc, s[0:1], v[2:3]
	v_lshlrev_b32_e32 v4, 2, v4
	v_cndmask_b32_e32 v2, 0, v2, vcc
	ds_add_u32 v4, v7 offset:28672
	v_lshlrev_b32_e32 v4, 2, v2
	v_and_or_b32 v4, v4, s2, v6
	v_lshlrev_b32_e32 v4, 2, v4
	ds_add_u32 v4, v7
	v_bfe_u32 v4, v2, 8, 8
	v_lshl_or_b32 v4, v4, 2, v6
	v_lshlrev_b32_e32 v4, 2, v4
	ds_add_u32 v4, v7 offset:4096
	v_bfe_u32 v4, v2, 16, 8
	v_lshl_or_b32 v4, v4, 2, v6
	v_lshlrev_b32_e32 v4, 2, v4
	v_cndmask_b32_e32 v3, v20, v3, vcc
	ds_add_u32 v4, v7 offset:8192
	v_lshrrev_b32_e32 v4, 24, v2
	v_lshl_or_b32 v4, v4, 2, v6
	v_alignbit_b32 v2, v3, v2, 30
	v_lshlrev_b32_e32 v4, 2, v4
	v_and_or_b32 v2, v2, s2, v6
	ds_add_u32 v4, v7 offset:12288
	v_lshlrev_b32_e32 v2, 2, v2
	ds_add_u32 v2, v7 offset:16384
	v_bfe_u32 v2, v3, 8, 8
	v_lshl_or_b32 v2, v2, 2, v6
	v_lshlrev_b32_e32 v2, 2, v2
	ds_add_u32 v2, v7 offset:20480
	v_bfe_u32 v2, v3, 16, 8
	v_lshl_or_b32 v2, v2, 2, v6
	v_lshlrev_b32_e32 v2, 2, v2
	ds_add_u32 v2, v7 offset:24576
	v_lshrrev_b32_e32 v2, 24, v3
	v_lshl_or_b32 v2, v2, 2, v6
	v_lshlrev_b32_e32 v2, 2, v2
	ds_add_u32 v2, v7 offset:28672
	s_movk_i32 s0, 0x100
	v_cmp_gt_u32_e32 vcc, s0, v0
	s_waitcnt lgkmcnt(0)
	s_barrier
	s_and_saveexec_b64 s[0:1], vcc
	s_cbranch_execz .LBB1602_395
; %bb.394:
	v_lshlrev_b32_e32 v0, 4, v0
	ds_read2_b32 v[2:3], v0 offset1:1
	ds_read2_b32 v[4:5], v0 offset0:2 offset1:3
	v_add_u32_e32 v6, 0x1000, v0
	v_add_u32_e32 v7, 0x1008, v0
	;; [unrolled: 1-line block ×3, first 2 shown]
	s_waitcnt lgkmcnt(1)
	v_add_u32_e32 v2, v3, v2
	s_waitcnt lgkmcnt(0)
	v_add3_u32 v2, v2, v4, v5
	global_atomic_add v1, v2, s[10:11]
	ds_read2_b32 v[2:3], v6 offset1:1
	ds_read2_b32 v[4:5], v7 offset1:1
	v_add_u32_e32 v6, 0x2000, v0
	v_add_u32_e32 v7, 0x2008, v0
	s_waitcnt lgkmcnt(1)
	v_add_u32_e32 v2, v3, v2
	s_waitcnt lgkmcnt(0)
	v_add3_u32 v2, v2, v4, v5
	global_atomic_add v1, v2, s[10:11] offset:1024
	ds_read2_b32 v[2:3], v6 offset1:1
	ds_read2_b32 v[4:5], v7 offset1:1
	v_add_u32_e32 v6, 0x3000, v0
	v_add_u32_e32 v7, 0x3008, v0
	s_waitcnt lgkmcnt(1)
	v_add_u32_e32 v2, v3, v2
	s_waitcnt lgkmcnt(0)
	v_add3_u32 v2, v2, v4, v5
	global_atomic_add v1, v2, s[10:11] offset:2048
	ds_read2_b32 v[2:3], v6 offset1:1
	ds_read2_b32 v[4:5], v7 offset1:1
	v_or_b32_e32 v6, 0x4000, v0
	v_or_b32_e32 v7, 0x4008, v0
	s_waitcnt lgkmcnt(1)
	v_add_u32_e32 v2, v3, v2
	s_waitcnt lgkmcnt(0)
	v_add3_u32 v2, v2, v4, v5
	global_atomic_add v1, v2, s[10:11] offset:3072
	ds_read2_b32 v[2:3], v6 offset1:1
	ds_read2_b32 v[4:5], v7 offset1:1
	v_or_b32_e32 v6, 0x1000, v1
	v_add_u32_e32 v7, 0x5000, v0
	s_waitcnt lgkmcnt(1)
	v_add_u32_e32 v2, v3, v2
	s_waitcnt lgkmcnt(0)
	v_add3_u32 v2, v2, v4, v5
	global_atomic_add v6, v2, s[10:11]
	ds_read2_b32 v[2:3], v7 offset1:1
	ds_read2_b32 v[4:5], v8 offset1:1
	v_or_b32_e32 v6, 0x1400, v1
	v_add_u32_e32 v7, 0x6000, v0
	v_add_u32_e32 v8, 0x6008, v0
	s_waitcnt lgkmcnt(1)
	v_add_u32_e32 v2, v3, v2
	s_waitcnt lgkmcnt(0)
	v_add3_u32 v2, v2, v4, v5
	global_atomic_add v6, v2, s[10:11]
	ds_read2_b32 v[2:3], v7 offset1:1
	ds_read2_b32 v[4:5], v8 offset1:1
	v_or_b32_e32 v6, 0x1800, v1
	v_add_u32_e32 v7, 0x7000, v0
	v_add_u32_e32 v0, 0x7008, v0
	s_waitcnt lgkmcnt(1)
	v_add_u32_e32 v2, v3, v2
	s_waitcnt lgkmcnt(0)
	v_add3_u32 v2, v2, v4, v5
	global_atomic_add v6, v2, s[10:11]
	ds_read2_b32 v[2:3], v7 offset1:1
	ds_read2_b32 v[4:5], v0 offset1:1
	v_or_b32_e32 v1, 0x1c00, v1
	s_waitcnt lgkmcnt(1)
	v_add_u32_e32 v0, v3, v2
	s_waitcnt lgkmcnt(0)
	v_add3_u32 v0, v0, v4, v5
	global_atomic_add v1, v0, s[10:11]
.LBB1602_395:
	s_endpgm
	.section	.rodata,"a",@progbits
	.p2align	6, 0x0
	.amdhsa_kernel _ZN7rocprim17ROCPRIM_400000_NS6detail17trampoline_kernelINS0_14default_configENS1_35radix_sort_onesweep_config_selectorIdlEEZNS1_34radix_sort_onesweep_global_offsetsIS3_Lb0EPdN6thrust23THRUST_200600_302600_NS10device_ptrIlEEjNS0_19identity_decomposerEEE10hipError_tT1_T2_PT3_SG_jT4_jjP12ihipStream_tbEUlT_E_NS1_11comp_targetILNS1_3genE4ELNS1_11target_archE910ELNS1_3gpuE8ELNS1_3repE0EEENS1_52radix_sort_onesweep_histogram_config_static_selectorELNS0_4arch9wavefront6targetE1EEEvSE_
		.amdhsa_group_segment_fixed_size 32768
		.amdhsa_private_segment_fixed_size 0
		.amdhsa_kernarg_size 40
		.amdhsa_user_sgpr_count 6
		.amdhsa_user_sgpr_private_segment_buffer 1
		.amdhsa_user_sgpr_dispatch_ptr 0
		.amdhsa_user_sgpr_queue_ptr 0
		.amdhsa_user_sgpr_kernarg_segment_ptr 1
		.amdhsa_user_sgpr_dispatch_id 0
		.amdhsa_user_sgpr_flat_scratch_init 0
		.amdhsa_user_sgpr_kernarg_preload_length 0
		.amdhsa_user_sgpr_kernarg_preload_offset 0
		.amdhsa_user_sgpr_private_segment_size 0
		.amdhsa_uses_dynamic_stack 0
		.amdhsa_system_sgpr_private_segment_wavefront_offset 0
		.amdhsa_system_sgpr_workgroup_id_x 1
		.amdhsa_system_sgpr_workgroup_id_y 0
		.amdhsa_system_sgpr_workgroup_id_z 0
		.amdhsa_system_sgpr_workgroup_info 0
		.amdhsa_system_vgpr_workitem_id 0
		.amdhsa_next_free_vgpr 28
		.amdhsa_next_free_sgpr 19
		.amdhsa_accum_offset 28
		.amdhsa_reserve_vcc 1
		.amdhsa_reserve_flat_scratch 0
		.amdhsa_float_round_mode_32 0
		.amdhsa_float_round_mode_16_64 0
		.amdhsa_float_denorm_mode_32 3
		.amdhsa_float_denorm_mode_16_64 3
		.amdhsa_dx10_clamp 1
		.amdhsa_ieee_mode 1
		.amdhsa_fp16_overflow 0
		.amdhsa_tg_split 0
		.amdhsa_exception_fp_ieee_invalid_op 0
		.amdhsa_exception_fp_denorm_src 0
		.amdhsa_exception_fp_ieee_div_zero 0
		.amdhsa_exception_fp_ieee_overflow 0
		.amdhsa_exception_fp_ieee_underflow 0
		.amdhsa_exception_fp_ieee_inexact 0
		.amdhsa_exception_int_div_zero 0
	.end_amdhsa_kernel
	.section	.text._ZN7rocprim17ROCPRIM_400000_NS6detail17trampoline_kernelINS0_14default_configENS1_35radix_sort_onesweep_config_selectorIdlEEZNS1_34radix_sort_onesweep_global_offsetsIS3_Lb0EPdN6thrust23THRUST_200600_302600_NS10device_ptrIlEEjNS0_19identity_decomposerEEE10hipError_tT1_T2_PT3_SG_jT4_jjP12ihipStream_tbEUlT_E_NS1_11comp_targetILNS1_3genE4ELNS1_11target_archE910ELNS1_3gpuE8ELNS1_3repE0EEENS1_52radix_sort_onesweep_histogram_config_static_selectorELNS0_4arch9wavefront6targetE1EEEvSE_,"axG",@progbits,_ZN7rocprim17ROCPRIM_400000_NS6detail17trampoline_kernelINS0_14default_configENS1_35radix_sort_onesweep_config_selectorIdlEEZNS1_34radix_sort_onesweep_global_offsetsIS3_Lb0EPdN6thrust23THRUST_200600_302600_NS10device_ptrIlEEjNS0_19identity_decomposerEEE10hipError_tT1_T2_PT3_SG_jT4_jjP12ihipStream_tbEUlT_E_NS1_11comp_targetILNS1_3genE4ELNS1_11target_archE910ELNS1_3gpuE8ELNS1_3repE0EEENS1_52radix_sort_onesweep_histogram_config_static_selectorELNS0_4arch9wavefront6targetE1EEEvSE_,comdat
.Lfunc_end1602:
	.size	_ZN7rocprim17ROCPRIM_400000_NS6detail17trampoline_kernelINS0_14default_configENS1_35radix_sort_onesweep_config_selectorIdlEEZNS1_34radix_sort_onesweep_global_offsetsIS3_Lb0EPdN6thrust23THRUST_200600_302600_NS10device_ptrIlEEjNS0_19identity_decomposerEEE10hipError_tT1_T2_PT3_SG_jT4_jjP12ihipStream_tbEUlT_E_NS1_11comp_targetILNS1_3genE4ELNS1_11target_archE910ELNS1_3gpuE8ELNS1_3repE0EEENS1_52radix_sort_onesweep_histogram_config_static_selectorELNS0_4arch9wavefront6targetE1EEEvSE_, .Lfunc_end1602-_ZN7rocprim17ROCPRIM_400000_NS6detail17trampoline_kernelINS0_14default_configENS1_35radix_sort_onesweep_config_selectorIdlEEZNS1_34radix_sort_onesweep_global_offsetsIS3_Lb0EPdN6thrust23THRUST_200600_302600_NS10device_ptrIlEEjNS0_19identity_decomposerEEE10hipError_tT1_T2_PT3_SG_jT4_jjP12ihipStream_tbEUlT_E_NS1_11comp_targetILNS1_3genE4ELNS1_11target_archE910ELNS1_3gpuE8ELNS1_3repE0EEENS1_52radix_sort_onesweep_histogram_config_static_selectorELNS0_4arch9wavefront6targetE1EEEvSE_
                                        ; -- End function
	.section	.AMDGPU.csdata,"",@progbits
; Kernel info:
; codeLenInByte = 17752
; NumSgprs: 23
; NumVgprs: 28
; NumAgprs: 0
; TotalNumVgprs: 28
; ScratchSize: 0
; MemoryBound: 0
; FloatMode: 240
; IeeeMode: 1
; LDSByteSize: 32768 bytes/workgroup (compile time only)
; SGPRBlocks: 2
; VGPRBlocks: 3
; NumSGPRsForWavesPerEU: 23
; NumVGPRsForWavesPerEU: 28
; AccumOffset: 28
; Occupancy: 8
; WaveLimiterHint : 1
; COMPUTE_PGM_RSRC2:SCRATCH_EN: 0
; COMPUTE_PGM_RSRC2:USER_SGPR: 6
; COMPUTE_PGM_RSRC2:TRAP_HANDLER: 0
; COMPUTE_PGM_RSRC2:TGID_X_EN: 1
; COMPUTE_PGM_RSRC2:TGID_Y_EN: 0
; COMPUTE_PGM_RSRC2:TGID_Z_EN: 0
; COMPUTE_PGM_RSRC2:TIDIG_COMP_CNT: 0
; COMPUTE_PGM_RSRC3_GFX90A:ACCUM_OFFSET: 6
; COMPUTE_PGM_RSRC3_GFX90A:TG_SPLIT: 0
	.section	.text._ZN7rocprim17ROCPRIM_400000_NS6detail17trampoline_kernelINS0_14default_configENS1_35radix_sort_onesweep_config_selectorIdlEEZNS1_34radix_sort_onesweep_global_offsetsIS3_Lb0EPdN6thrust23THRUST_200600_302600_NS10device_ptrIlEEjNS0_19identity_decomposerEEE10hipError_tT1_T2_PT3_SG_jT4_jjP12ihipStream_tbEUlT_E_NS1_11comp_targetILNS1_3genE3ELNS1_11target_archE908ELNS1_3gpuE7ELNS1_3repE0EEENS1_52radix_sort_onesweep_histogram_config_static_selectorELNS0_4arch9wavefront6targetE1EEEvSE_,"axG",@progbits,_ZN7rocprim17ROCPRIM_400000_NS6detail17trampoline_kernelINS0_14default_configENS1_35radix_sort_onesweep_config_selectorIdlEEZNS1_34radix_sort_onesweep_global_offsetsIS3_Lb0EPdN6thrust23THRUST_200600_302600_NS10device_ptrIlEEjNS0_19identity_decomposerEEE10hipError_tT1_T2_PT3_SG_jT4_jjP12ihipStream_tbEUlT_E_NS1_11comp_targetILNS1_3genE3ELNS1_11target_archE908ELNS1_3gpuE7ELNS1_3repE0EEENS1_52radix_sort_onesweep_histogram_config_static_selectorELNS0_4arch9wavefront6targetE1EEEvSE_,comdat
	.protected	_ZN7rocprim17ROCPRIM_400000_NS6detail17trampoline_kernelINS0_14default_configENS1_35radix_sort_onesweep_config_selectorIdlEEZNS1_34radix_sort_onesweep_global_offsetsIS3_Lb0EPdN6thrust23THRUST_200600_302600_NS10device_ptrIlEEjNS0_19identity_decomposerEEE10hipError_tT1_T2_PT3_SG_jT4_jjP12ihipStream_tbEUlT_E_NS1_11comp_targetILNS1_3genE3ELNS1_11target_archE908ELNS1_3gpuE7ELNS1_3repE0EEENS1_52radix_sort_onesweep_histogram_config_static_selectorELNS0_4arch9wavefront6targetE1EEEvSE_ ; -- Begin function _ZN7rocprim17ROCPRIM_400000_NS6detail17trampoline_kernelINS0_14default_configENS1_35radix_sort_onesweep_config_selectorIdlEEZNS1_34radix_sort_onesweep_global_offsetsIS3_Lb0EPdN6thrust23THRUST_200600_302600_NS10device_ptrIlEEjNS0_19identity_decomposerEEE10hipError_tT1_T2_PT3_SG_jT4_jjP12ihipStream_tbEUlT_E_NS1_11comp_targetILNS1_3genE3ELNS1_11target_archE908ELNS1_3gpuE7ELNS1_3repE0EEENS1_52radix_sort_onesweep_histogram_config_static_selectorELNS0_4arch9wavefront6targetE1EEEvSE_
	.globl	_ZN7rocprim17ROCPRIM_400000_NS6detail17trampoline_kernelINS0_14default_configENS1_35radix_sort_onesweep_config_selectorIdlEEZNS1_34radix_sort_onesweep_global_offsetsIS3_Lb0EPdN6thrust23THRUST_200600_302600_NS10device_ptrIlEEjNS0_19identity_decomposerEEE10hipError_tT1_T2_PT3_SG_jT4_jjP12ihipStream_tbEUlT_E_NS1_11comp_targetILNS1_3genE3ELNS1_11target_archE908ELNS1_3gpuE7ELNS1_3repE0EEENS1_52radix_sort_onesweep_histogram_config_static_selectorELNS0_4arch9wavefront6targetE1EEEvSE_
	.p2align	8
	.type	_ZN7rocprim17ROCPRIM_400000_NS6detail17trampoline_kernelINS0_14default_configENS1_35radix_sort_onesweep_config_selectorIdlEEZNS1_34radix_sort_onesweep_global_offsetsIS3_Lb0EPdN6thrust23THRUST_200600_302600_NS10device_ptrIlEEjNS0_19identity_decomposerEEE10hipError_tT1_T2_PT3_SG_jT4_jjP12ihipStream_tbEUlT_E_NS1_11comp_targetILNS1_3genE3ELNS1_11target_archE908ELNS1_3gpuE7ELNS1_3repE0EEENS1_52radix_sort_onesweep_histogram_config_static_selectorELNS0_4arch9wavefront6targetE1EEEvSE_,@function
_ZN7rocprim17ROCPRIM_400000_NS6detail17trampoline_kernelINS0_14default_configENS1_35radix_sort_onesweep_config_selectorIdlEEZNS1_34radix_sort_onesweep_global_offsetsIS3_Lb0EPdN6thrust23THRUST_200600_302600_NS10device_ptrIlEEjNS0_19identity_decomposerEEE10hipError_tT1_T2_PT3_SG_jT4_jjP12ihipStream_tbEUlT_E_NS1_11comp_targetILNS1_3genE3ELNS1_11target_archE908ELNS1_3gpuE7ELNS1_3repE0EEENS1_52radix_sort_onesweep_histogram_config_static_selectorELNS0_4arch9wavefront6targetE1EEEvSE_: ; @_ZN7rocprim17ROCPRIM_400000_NS6detail17trampoline_kernelINS0_14default_configENS1_35radix_sort_onesweep_config_selectorIdlEEZNS1_34radix_sort_onesweep_global_offsetsIS3_Lb0EPdN6thrust23THRUST_200600_302600_NS10device_ptrIlEEjNS0_19identity_decomposerEEE10hipError_tT1_T2_PT3_SG_jT4_jjP12ihipStream_tbEUlT_E_NS1_11comp_targetILNS1_3genE3ELNS1_11target_archE908ELNS1_3gpuE7ELNS1_3repE0EEENS1_52radix_sort_onesweep_histogram_config_static_selectorELNS0_4arch9wavefront6targetE1EEEvSE_
; %bb.0:
	.section	.rodata,"a",@progbits
	.p2align	6, 0x0
	.amdhsa_kernel _ZN7rocprim17ROCPRIM_400000_NS6detail17trampoline_kernelINS0_14default_configENS1_35radix_sort_onesweep_config_selectorIdlEEZNS1_34radix_sort_onesweep_global_offsetsIS3_Lb0EPdN6thrust23THRUST_200600_302600_NS10device_ptrIlEEjNS0_19identity_decomposerEEE10hipError_tT1_T2_PT3_SG_jT4_jjP12ihipStream_tbEUlT_E_NS1_11comp_targetILNS1_3genE3ELNS1_11target_archE908ELNS1_3gpuE7ELNS1_3repE0EEENS1_52radix_sort_onesweep_histogram_config_static_selectorELNS0_4arch9wavefront6targetE1EEEvSE_
		.amdhsa_group_segment_fixed_size 0
		.amdhsa_private_segment_fixed_size 0
		.amdhsa_kernarg_size 40
		.amdhsa_user_sgpr_count 6
		.amdhsa_user_sgpr_private_segment_buffer 1
		.amdhsa_user_sgpr_dispatch_ptr 0
		.amdhsa_user_sgpr_queue_ptr 0
		.amdhsa_user_sgpr_kernarg_segment_ptr 1
		.amdhsa_user_sgpr_dispatch_id 0
		.amdhsa_user_sgpr_flat_scratch_init 0
		.amdhsa_user_sgpr_kernarg_preload_length 0
		.amdhsa_user_sgpr_kernarg_preload_offset 0
		.amdhsa_user_sgpr_private_segment_size 0
		.amdhsa_uses_dynamic_stack 0
		.amdhsa_system_sgpr_private_segment_wavefront_offset 0
		.amdhsa_system_sgpr_workgroup_id_x 1
		.amdhsa_system_sgpr_workgroup_id_y 0
		.amdhsa_system_sgpr_workgroup_id_z 0
		.amdhsa_system_sgpr_workgroup_info 0
		.amdhsa_system_vgpr_workitem_id 0
		.amdhsa_next_free_vgpr 1
		.amdhsa_next_free_sgpr 0
		.amdhsa_accum_offset 4
		.amdhsa_reserve_vcc 0
		.amdhsa_reserve_flat_scratch 0
		.amdhsa_float_round_mode_32 0
		.amdhsa_float_round_mode_16_64 0
		.amdhsa_float_denorm_mode_32 3
		.amdhsa_float_denorm_mode_16_64 3
		.amdhsa_dx10_clamp 1
		.amdhsa_ieee_mode 1
		.amdhsa_fp16_overflow 0
		.amdhsa_tg_split 0
		.amdhsa_exception_fp_ieee_invalid_op 0
		.amdhsa_exception_fp_denorm_src 0
		.amdhsa_exception_fp_ieee_div_zero 0
		.amdhsa_exception_fp_ieee_overflow 0
		.amdhsa_exception_fp_ieee_underflow 0
		.amdhsa_exception_fp_ieee_inexact 0
		.amdhsa_exception_int_div_zero 0
	.end_amdhsa_kernel
	.section	.text._ZN7rocprim17ROCPRIM_400000_NS6detail17trampoline_kernelINS0_14default_configENS1_35radix_sort_onesweep_config_selectorIdlEEZNS1_34radix_sort_onesweep_global_offsetsIS3_Lb0EPdN6thrust23THRUST_200600_302600_NS10device_ptrIlEEjNS0_19identity_decomposerEEE10hipError_tT1_T2_PT3_SG_jT4_jjP12ihipStream_tbEUlT_E_NS1_11comp_targetILNS1_3genE3ELNS1_11target_archE908ELNS1_3gpuE7ELNS1_3repE0EEENS1_52radix_sort_onesweep_histogram_config_static_selectorELNS0_4arch9wavefront6targetE1EEEvSE_,"axG",@progbits,_ZN7rocprim17ROCPRIM_400000_NS6detail17trampoline_kernelINS0_14default_configENS1_35radix_sort_onesweep_config_selectorIdlEEZNS1_34radix_sort_onesweep_global_offsetsIS3_Lb0EPdN6thrust23THRUST_200600_302600_NS10device_ptrIlEEjNS0_19identity_decomposerEEE10hipError_tT1_T2_PT3_SG_jT4_jjP12ihipStream_tbEUlT_E_NS1_11comp_targetILNS1_3genE3ELNS1_11target_archE908ELNS1_3gpuE7ELNS1_3repE0EEENS1_52radix_sort_onesweep_histogram_config_static_selectorELNS0_4arch9wavefront6targetE1EEEvSE_,comdat
.Lfunc_end1603:
	.size	_ZN7rocprim17ROCPRIM_400000_NS6detail17trampoline_kernelINS0_14default_configENS1_35radix_sort_onesweep_config_selectorIdlEEZNS1_34radix_sort_onesweep_global_offsetsIS3_Lb0EPdN6thrust23THRUST_200600_302600_NS10device_ptrIlEEjNS0_19identity_decomposerEEE10hipError_tT1_T2_PT3_SG_jT4_jjP12ihipStream_tbEUlT_E_NS1_11comp_targetILNS1_3genE3ELNS1_11target_archE908ELNS1_3gpuE7ELNS1_3repE0EEENS1_52radix_sort_onesweep_histogram_config_static_selectorELNS0_4arch9wavefront6targetE1EEEvSE_, .Lfunc_end1603-_ZN7rocprim17ROCPRIM_400000_NS6detail17trampoline_kernelINS0_14default_configENS1_35radix_sort_onesweep_config_selectorIdlEEZNS1_34radix_sort_onesweep_global_offsetsIS3_Lb0EPdN6thrust23THRUST_200600_302600_NS10device_ptrIlEEjNS0_19identity_decomposerEEE10hipError_tT1_T2_PT3_SG_jT4_jjP12ihipStream_tbEUlT_E_NS1_11comp_targetILNS1_3genE3ELNS1_11target_archE908ELNS1_3gpuE7ELNS1_3repE0EEENS1_52radix_sort_onesweep_histogram_config_static_selectorELNS0_4arch9wavefront6targetE1EEEvSE_
                                        ; -- End function
	.section	.AMDGPU.csdata,"",@progbits
; Kernel info:
; codeLenInByte = 0
; NumSgprs: 4
; NumVgprs: 0
; NumAgprs: 0
; TotalNumVgprs: 0
; ScratchSize: 0
; MemoryBound: 0
; FloatMode: 240
; IeeeMode: 1
; LDSByteSize: 0 bytes/workgroup (compile time only)
; SGPRBlocks: 0
; VGPRBlocks: 0
; NumSGPRsForWavesPerEU: 4
; NumVGPRsForWavesPerEU: 1
; AccumOffset: 4
; Occupancy: 8
; WaveLimiterHint : 0
; COMPUTE_PGM_RSRC2:SCRATCH_EN: 0
; COMPUTE_PGM_RSRC2:USER_SGPR: 6
; COMPUTE_PGM_RSRC2:TRAP_HANDLER: 0
; COMPUTE_PGM_RSRC2:TGID_X_EN: 1
; COMPUTE_PGM_RSRC2:TGID_Y_EN: 0
; COMPUTE_PGM_RSRC2:TGID_Z_EN: 0
; COMPUTE_PGM_RSRC2:TIDIG_COMP_CNT: 0
; COMPUTE_PGM_RSRC3_GFX90A:ACCUM_OFFSET: 0
; COMPUTE_PGM_RSRC3_GFX90A:TG_SPLIT: 0
	.section	.text._ZN7rocprim17ROCPRIM_400000_NS6detail17trampoline_kernelINS0_14default_configENS1_35radix_sort_onesweep_config_selectorIdlEEZNS1_34radix_sort_onesweep_global_offsetsIS3_Lb0EPdN6thrust23THRUST_200600_302600_NS10device_ptrIlEEjNS0_19identity_decomposerEEE10hipError_tT1_T2_PT3_SG_jT4_jjP12ihipStream_tbEUlT_E_NS1_11comp_targetILNS1_3genE10ELNS1_11target_archE1201ELNS1_3gpuE5ELNS1_3repE0EEENS1_52radix_sort_onesweep_histogram_config_static_selectorELNS0_4arch9wavefront6targetE1EEEvSE_,"axG",@progbits,_ZN7rocprim17ROCPRIM_400000_NS6detail17trampoline_kernelINS0_14default_configENS1_35radix_sort_onesweep_config_selectorIdlEEZNS1_34radix_sort_onesweep_global_offsetsIS3_Lb0EPdN6thrust23THRUST_200600_302600_NS10device_ptrIlEEjNS0_19identity_decomposerEEE10hipError_tT1_T2_PT3_SG_jT4_jjP12ihipStream_tbEUlT_E_NS1_11comp_targetILNS1_3genE10ELNS1_11target_archE1201ELNS1_3gpuE5ELNS1_3repE0EEENS1_52radix_sort_onesweep_histogram_config_static_selectorELNS0_4arch9wavefront6targetE1EEEvSE_,comdat
	.protected	_ZN7rocprim17ROCPRIM_400000_NS6detail17trampoline_kernelINS0_14default_configENS1_35radix_sort_onesweep_config_selectorIdlEEZNS1_34radix_sort_onesweep_global_offsetsIS3_Lb0EPdN6thrust23THRUST_200600_302600_NS10device_ptrIlEEjNS0_19identity_decomposerEEE10hipError_tT1_T2_PT3_SG_jT4_jjP12ihipStream_tbEUlT_E_NS1_11comp_targetILNS1_3genE10ELNS1_11target_archE1201ELNS1_3gpuE5ELNS1_3repE0EEENS1_52radix_sort_onesweep_histogram_config_static_selectorELNS0_4arch9wavefront6targetE1EEEvSE_ ; -- Begin function _ZN7rocprim17ROCPRIM_400000_NS6detail17trampoline_kernelINS0_14default_configENS1_35radix_sort_onesweep_config_selectorIdlEEZNS1_34radix_sort_onesweep_global_offsetsIS3_Lb0EPdN6thrust23THRUST_200600_302600_NS10device_ptrIlEEjNS0_19identity_decomposerEEE10hipError_tT1_T2_PT3_SG_jT4_jjP12ihipStream_tbEUlT_E_NS1_11comp_targetILNS1_3genE10ELNS1_11target_archE1201ELNS1_3gpuE5ELNS1_3repE0EEENS1_52radix_sort_onesweep_histogram_config_static_selectorELNS0_4arch9wavefront6targetE1EEEvSE_
	.globl	_ZN7rocprim17ROCPRIM_400000_NS6detail17trampoline_kernelINS0_14default_configENS1_35radix_sort_onesweep_config_selectorIdlEEZNS1_34radix_sort_onesweep_global_offsetsIS3_Lb0EPdN6thrust23THRUST_200600_302600_NS10device_ptrIlEEjNS0_19identity_decomposerEEE10hipError_tT1_T2_PT3_SG_jT4_jjP12ihipStream_tbEUlT_E_NS1_11comp_targetILNS1_3genE10ELNS1_11target_archE1201ELNS1_3gpuE5ELNS1_3repE0EEENS1_52radix_sort_onesweep_histogram_config_static_selectorELNS0_4arch9wavefront6targetE1EEEvSE_
	.p2align	8
	.type	_ZN7rocprim17ROCPRIM_400000_NS6detail17trampoline_kernelINS0_14default_configENS1_35radix_sort_onesweep_config_selectorIdlEEZNS1_34radix_sort_onesweep_global_offsetsIS3_Lb0EPdN6thrust23THRUST_200600_302600_NS10device_ptrIlEEjNS0_19identity_decomposerEEE10hipError_tT1_T2_PT3_SG_jT4_jjP12ihipStream_tbEUlT_E_NS1_11comp_targetILNS1_3genE10ELNS1_11target_archE1201ELNS1_3gpuE5ELNS1_3repE0EEENS1_52radix_sort_onesweep_histogram_config_static_selectorELNS0_4arch9wavefront6targetE1EEEvSE_,@function
_ZN7rocprim17ROCPRIM_400000_NS6detail17trampoline_kernelINS0_14default_configENS1_35radix_sort_onesweep_config_selectorIdlEEZNS1_34radix_sort_onesweep_global_offsetsIS3_Lb0EPdN6thrust23THRUST_200600_302600_NS10device_ptrIlEEjNS0_19identity_decomposerEEE10hipError_tT1_T2_PT3_SG_jT4_jjP12ihipStream_tbEUlT_E_NS1_11comp_targetILNS1_3genE10ELNS1_11target_archE1201ELNS1_3gpuE5ELNS1_3repE0EEENS1_52radix_sort_onesweep_histogram_config_static_selectorELNS0_4arch9wavefront6targetE1EEEvSE_: ; @_ZN7rocprim17ROCPRIM_400000_NS6detail17trampoline_kernelINS0_14default_configENS1_35radix_sort_onesweep_config_selectorIdlEEZNS1_34radix_sort_onesweep_global_offsetsIS3_Lb0EPdN6thrust23THRUST_200600_302600_NS10device_ptrIlEEjNS0_19identity_decomposerEEE10hipError_tT1_T2_PT3_SG_jT4_jjP12ihipStream_tbEUlT_E_NS1_11comp_targetILNS1_3genE10ELNS1_11target_archE1201ELNS1_3gpuE5ELNS1_3repE0EEENS1_52radix_sort_onesweep_histogram_config_static_selectorELNS0_4arch9wavefront6targetE1EEEvSE_
; %bb.0:
	.section	.rodata,"a",@progbits
	.p2align	6, 0x0
	.amdhsa_kernel _ZN7rocprim17ROCPRIM_400000_NS6detail17trampoline_kernelINS0_14default_configENS1_35radix_sort_onesweep_config_selectorIdlEEZNS1_34radix_sort_onesweep_global_offsetsIS3_Lb0EPdN6thrust23THRUST_200600_302600_NS10device_ptrIlEEjNS0_19identity_decomposerEEE10hipError_tT1_T2_PT3_SG_jT4_jjP12ihipStream_tbEUlT_E_NS1_11comp_targetILNS1_3genE10ELNS1_11target_archE1201ELNS1_3gpuE5ELNS1_3repE0EEENS1_52radix_sort_onesweep_histogram_config_static_selectorELNS0_4arch9wavefront6targetE1EEEvSE_
		.amdhsa_group_segment_fixed_size 0
		.amdhsa_private_segment_fixed_size 0
		.amdhsa_kernarg_size 40
		.amdhsa_user_sgpr_count 6
		.amdhsa_user_sgpr_private_segment_buffer 1
		.amdhsa_user_sgpr_dispatch_ptr 0
		.amdhsa_user_sgpr_queue_ptr 0
		.amdhsa_user_sgpr_kernarg_segment_ptr 1
		.amdhsa_user_sgpr_dispatch_id 0
		.amdhsa_user_sgpr_flat_scratch_init 0
		.amdhsa_user_sgpr_kernarg_preload_length 0
		.amdhsa_user_sgpr_kernarg_preload_offset 0
		.amdhsa_user_sgpr_private_segment_size 0
		.amdhsa_uses_dynamic_stack 0
		.amdhsa_system_sgpr_private_segment_wavefront_offset 0
		.amdhsa_system_sgpr_workgroup_id_x 1
		.amdhsa_system_sgpr_workgroup_id_y 0
		.amdhsa_system_sgpr_workgroup_id_z 0
		.amdhsa_system_sgpr_workgroup_info 0
		.amdhsa_system_vgpr_workitem_id 0
		.amdhsa_next_free_vgpr 1
		.amdhsa_next_free_sgpr 0
		.amdhsa_accum_offset 4
		.amdhsa_reserve_vcc 0
		.amdhsa_reserve_flat_scratch 0
		.amdhsa_float_round_mode_32 0
		.amdhsa_float_round_mode_16_64 0
		.amdhsa_float_denorm_mode_32 3
		.amdhsa_float_denorm_mode_16_64 3
		.amdhsa_dx10_clamp 1
		.amdhsa_ieee_mode 1
		.amdhsa_fp16_overflow 0
		.amdhsa_tg_split 0
		.amdhsa_exception_fp_ieee_invalid_op 0
		.amdhsa_exception_fp_denorm_src 0
		.amdhsa_exception_fp_ieee_div_zero 0
		.amdhsa_exception_fp_ieee_overflow 0
		.amdhsa_exception_fp_ieee_underflow 0
		.amdhsa_exception_fp_ieee_inexact 0
		.amdhsa_exception_int_div_zero 0
	.end_amdhsa_kernel
	.section	.text._ZN7rocprim17ROCPRIM_400000_NS6detail17trampoline_kernelINS0_14default_configENS1_35radix_sort_onesweep_config_selectorIdlEEZNS1_34radix_sort_onesweep_global_offsetsIS3_Lb0EPdN6thrust23THRUST_200600_302600_NS10device_ptrIlEEjNS0_19identity_decomposerEEE10hipError_tT1_T2_PT3_SG_jT4_jjP12ihipStream_tbEUlT_E_NS1_11comp_targetILNS1_3genE10ELNS1_11target_archE1201ELNS1_3gpuE5ELNS1_3repE0EEENS1_52radix_sort_onesweep_histogram_config_static_selectorELNS0_4arch9wavefront6targetE1EEEvSE_,"axG",@progbits,_ZN7rocprim17ROCPRIM_400000_NS6detail17trampoline_kernelINS0_14default_configENS1_35radix_sort_onesweep_config_selectorIdlEEZNS1_34radix_sort_onesweep_global_offsetsIS3_Lb0EPdN6thrust23THRUST_200600_302600_NS10device_ptrIlEEjNS0_19identity_decomposerEEE10hipError_tT1_T2_PT3_SG_jT4_jjP12ihipStream_tbEUlT_E_NS1_11comp_targetILNS1_3genE10ELNS1_11target_archE1201ELNS1_3gpuE5ELNS1_3repE0EEENS1_52radix_sort_onesweep_histogram_config_static_selectorELNS0_4arch9wavefront6targetE1EEEvSE_,comdat
.Lfunc_end1604:
	.size	_ZN7rocprim17ROCPRIM_400000_NS6detail17trampoline_kernelINS0_14default_configENS1_35radix_sort_onesweep_config_selectorIdlEEZNS1_34radix_sort_onesweep_global_offsetsIS3_Lb0EPdN6thrust23THRUST_200600_302600_NS10device_ptrIlEEjNS0_19identity_decomposerEEE10hipError_tT1_T2_PT3_SG_jT4_jjP12ihipStream_tbEUlT_E_NS1_11comp_targetILNS1_3genE10ELNS1_11target_archE1201ELNS1_3gpuE5ELNS1_3repE0EEENS1_52radix_sort_onesweep_histogram_config_static_selectorELNS0_4arch9wavefront6targetE1EEEvSE_, .Lfunc_end1604-_ZN7rocprim17ROCPRIM_400000_NS6detail17trampoline_kernelINS0_14default_configENS1_35radix_sort_onesweep_config_selectorIdlEEZNS1_34radix_sort_onesweep_global_offsetsIS3_Lb0EPdN6thrust23THRUST_200600_302600_NS10device_ptrIlEEjNS0_19identity_decomposerEEE10hipError_tT1_T2_PT3_SG_jT4_jjP12ihipStream_tbEUlT_E_NS1_11comp_targetILNS1_3genE10ELNS1_11target_archE1201ELNS1_3gpuE5ELNS1_3repE0EEENS1_52radix_sort_onesweep_histogram_config_static_selectorELNS0_4arch9wavefront6targetE1EEEvSE_
                                        ; -- End function
	.section	.AMDGPU.csdata,"",@progbits
; Kernel info:
; codeLenInByte = 0
; NumSgprs: 4
; NumVgprs: 0
; NumAgprs: 0
; TotalNumVgprs: 0
; ScratchSize: 0
; MemoryBound: 0
; FloatMode: 240
; IeeeMode: 1
; LDSByteSize: 0 bytes/workgroup (compile time only)
; SGPRBlocks: 0
; VGPRBlocks: 0
; NumSGPRsForWavesPerEU: 4
; NumVGPRsForWavesPerEU: 1
; AccumOffset: 4
; Occupancy: 8
; WaveLimiterHint : 0
; COMPUTE_PGM_RSRC2:SCRATCH_EN: 0
; COMPUTE_PGM_RSRC2:USER_SGPR: 6
; COMPUTE_PGM_RSRC2:TRAP_HANDLER: 0
; COMPUTE_PGM_RSRC2:TGID_X_EN: 1
; COMPUTE_PGM_RSRC2:TGID_Y_EN: 0
; COMPUTE_PGM_RSRC2:TGID_Z_EN: 0
; COMPUTE_PGM_RSRC2:TIDIG_COMP_CNT: 0
; COMPUTE_PGM_RSRC3_GFX90A:ACCUM_OFFSET: 0
; COMPUTE_PGM_RSRC3_GFX90A:TG_SPLIT: 0
	.section	.text._ZN7rocprim17ROCPRIM_400000_NS6detail17trampoline_kernelINS0_14default_configENS1_35radix_sort_onesweep_config_selectorIdlEEZNS1_34radix_sort_onesweep_global_offsetsIS3_Lb0EPdN6thrust23THRUST_200600_302600_NS10device_ptrIlEEjNS0_19identity_decomposerEEE10hipError_tT1_T2_PT3_SG_jT4_jjP12ihipStream_tbEUlT_E_NS1_11comp_targetILNS1_3genE9ELNS1_11target_archE1100ELNS1_3gpuE3ELNS1_3repE0EEENS1_52radix_sort_onesweep_histogram_config_static_selectorELNS0_4arch9wavefront6targetE1EEEvSE_,"axG",@progbits,_ZN7rocprim17ROCPRIM_400000_NS6detail17trampoline_kernelINS0_14default_configENS1_35radix_sort_onesweep_config_selectorIdlEEZNS1_34radix_sort_onesweep_global_offsetsIS3_Lb0EPdN6thrust23THRUST_200600_302600_NS10device_ptrIlEEjNS0_19identity_decomposerEEE10hipError_tT1_T2_PT3_SG_jT4_jjP12ihipStream_tbEUlT_E_NS1_11comp_targetILNS1_3genE9ELNS1_11target_archE1100ELNS1_3gpuE3ELNS1_3repE0EEENS1_52radix_sort_onesweep_histogram_config_static_selectorELNS0_4arch9wavefront6targetE1EEEvSE_,comdat
	.protected	_ZN7rocprim17ROCPRIM_400000_NS6detail17trampoline_kernelINS0_14default_configENS1_35radix_sort_onesweep_config_selectorIdlEEZNS1_34radix_sort_onesweep_global_offsetsIS3_Lb0EPdN6thrust23THRUST_200600_302600_NS10device_ptrIlEEjNS0_19identity_decomposerEEE10hipError_tT1_T2_PT3_SG_jT4_jjP12ihipStream_tbEUlT_E_NS1_11comp_targetILNS1_3genE9ELNS1_11target_archE1100ELNS1_3gpuE3ELNS1_3repE0EEENS1_52radix_sort_onesweep_histogram_config_static_selectorELNS0_4arch9wavefront6targetE1EEEvSE_ ; -- Begin function _ZN7rocprim17ROCPRIM_400000_NS6detail17trampoline_kernelINS0_14default_configENS1_35radix_sort_onesweep_config_selectorIdlEEZNS1_34radix_sort_onesweep_global_offsetsIS3_Lb0EPdN6thrust23THRUST_200600_302600_NS10device_ptrIlEEjNS0_19identity_decomposerEEE10hipError_tT1_T2_PT3_SG_jT4_jjP12ihipStream_tbEUlT_E_NS1_11comp_targetILNS1_3genE9ELNS1_11target_archE1100ELNS1_3gpuE3ELNS1_3repE0EEENS1_52radix_sort_onesweep_histogram_config_static_selectorELNS0_4arch9wavefront6targetE1EEEvSE_
	.globl	_ZN7rocprim17ROCPRIM_400000_NS6detail17trampoline_kernelINS0_14default_configENS1_35radix_sort_onesweep_config_selectorIdlEEZNS1_34radix_sort_onesweep_global_offsetsIS3_Lb0EPdN6thrust23THRUST_200600_302600_NS10device_ptrIlEEjNS0_19identity_decomposerEEE10hipError_tT1_T2_PT3_SG_jT4_jjP12ihipStream_tbEUlT_E_NS1_11comp_targetILNS1_3genE9ELNS1_11target_archE1100ELNS1_3gpuE3ELNS1_3repE0EEENS1_52radix_sort_onesweep_histogram_config_static_selectorELNS0_4arch9wavefront6targetE1EEEvSE_
	.p2align	8
	.type	_ZN7rocprim17ROCPRIM_400000_NS6detail17trampoline_kernelINS0_14default_configENS1_35radix_sort_onesweep_config_selectorIdlEEZNS1_34radix_sort_onesweep_global_offsetsIS3_Lb0EPdN6thrust23THRUST_200600_302600_NS10device_ptrIlEEjNS0_19identity_decomposerEEE10hipError_tT1_T2_PT3_SG_jT4_jjP12ihipStream_tbEUlT_E_NS1_11comp_targetILNS1_3genE9ELNS1_11target_archE1100ELNS1_3gpuE3ELNS1_3repE0EEENS1_52radix_sort_onesweep_histogram_config_static_selectorELNS0_4arch9wavefront6targetE1EEEvSE_,@function
_ZN7rocprim17ROCPRIM_400000_NS6detail17trampoline_kernelINS0_14default_configENS1_35radix_sort_onesweep_config_selectorIdlEEZNS1_34radix_sort_onesweep_global_offsetsIS3_Lb0EPdN6thrust23THRUST_200600_302600_NS10device_ptrIlEEjNS0_19identity_decomposerEEE10hipError_tT1_T2_PT3_SG_jT4_jjP12ihipStream_tbEUlT_E_NS1_11comp_targetILNS1_3genE9ELNS1_11target_archE1100ELNS1_3gpuE3ELNS1_3repE0EEENS1_52radix_sort_onesweep_histogram_config_static_selectorELNS0_4arch9wavefront6targetE1EEEvSE_: ; @_ZN7rocprim17ROCPRIM_400000_NS6detail17trampoline_kernelINS0_14default_configENS1_35radix_sort_onesweep_config_selectorIdlEEZNS1_34radix_sort_onesweep_global_offsetsIS3_Lb0EPdN6thrust23THRUST_200600_302600_NS10device_ptrIlEEjNS0_19identity_decomposerEEE10hipError_tT1_T2_PT3_SG_jT4_jjP12ihipStream_tbEUlT_E_NS1_11comp_targetILNS1_3genE9ELNS1_11target_archE1100ELNS1_3gpuE3ELNS1_3repE0EEENS1_52radix_sort_onesweep_histogram_config_static_selectorELNS0_4arch9wavefront6targetE1EEEvSE_
; %bb.0:
	.section	.rodata,"a",@progbits
	.p2align	6, 0x0
	.amdhsa_kernel _ZN7rocprim17ROCPRIM_400000_NS6detail17trampoline_kernelINS0_14default_configENS1_35radix_sort_onesweep_config_selectorIdlEEZNS1_34radix_sort_onesweep_global_offsetsIS3_Lb0EPdN6thrust23THRUST_200600_302600_NS10device_ptrIlEEjNS0_19identity_decomposerEEE10hipError_tT1_T2_PT3_SG_jT4_jjP12ihipStream_tbEUlT_E_NS1_11comp_targetILNS1_3genE9ELNS1_11target_archE1100ELNS1_3gpuE3ELNS1_3repE0EEENS1_52radix_sort_onesweep_histogram_config_static_selectorELNS0_4arch9wavefront6targetE1EEEvSE_
		.amdhsa_group_segment_fixed_size 0
		.amdhsa_private_segment_fixed_size 0
		.amdhsa_kernarg_size 40
		.amdhsa_user_sgpr_count 6
		.amdhsa_user_sgpr_private_segment_buffer 1
		.amdhsa_user_sgpr_dispatch_ptr 0
		.amdhsa_user_sgpr_queue_ptr 0
		.amdhsa_user_sgpr_kernarg_segment_ptr 1
		.amdhsa_user_sgpr_dispatch_id 0
		.amdhsa_user_sgpr_flat_scratch_init 0
		.amdhsa_user_sgpr_kernarg_preload_length 0
		.amdhsa_user_sgpr_kernarg_preload_offset 0
		.amdhsa_user_sgpr_private_segment_size 0
		.amdhsa_uses_dynamic_stack 0
		.amdhsa_system_sgpr_private_segment_wavefront_offset 0
		.amdhsa_system_sgpr_workgroup_id_x 1
		.amdhsa_system_sgpr_workgroup_id_y 0
		.amdhsa_system_sgpr_workgroup_id_z 0
		.amdhsa_system_sgpr_workgroup_info 0
		.amdhsa_system_vgpr_workitem_id 0
		.amdhsa_next_free_vgpr 1
		.amdhsa_next_free_sgpr 0
		.amdhsa_accum_offset 4
		.amdhsa_reserve_vcc 0
		.amdhsa_reserve_flat_scratch 0
		.amdhsa_float_round_mode_32 0
		.amdhsa_float_round_mode_16_64 0
		.amdhsa_float_denorm_mode_32 3
		.amdhsa_float_denorm_mode_16_64 3
		.amdhsa_dx10_clamp 1
		.amdhsa_ieee_mode 1
		.amdhsa_fp16_overflow 0
		.amdhsa_tg_split 0
		.amdhsa_exception_fp_ieee_invalid_op 0
		.amdhsa_exception_fp_denorm_src 0
		.amdhsa_exception_fp_ieee_div_zero 0
		.amdhsa_exception_fp_ieee_overflow 0
		.amdhsa_exception_fp_ieee_underflow 0
		.amdhsa_exception_fp_ieee_inexact 0
		.amdhsa_exception_int_div_zero 0
	.end_amdhsa_kernel
	.section	.text._ZN7rocprim17ROCPRIM_400000_NS6detail17trampoline_kernelINS0_14default_configENS1_35radix_sort_onesweep_config_selectorIdlEEZNS1_34radix_sort_onesweep_global_offsetsIS3_Lb0EPdN6thrust23THRUST_200600_302600_NS10device_ptrIlEEjNS0_19identity_decomposerEEE10hipError_tT1_T2_PT3_SG_jT4_jjP12ihipStream_tbEUlT_E_NS1_11comp_targetILNS1_3genE9ELNS1_11target_archE1100ELNS1_3gpuE3ELNS1_3repE0EEENS1_52radix_sort_onesweep_histogram_config_static_selectorELNS0_4arch9wavefront6targetE1EEEvSE_,"axG",@progbits,_ZN7rocprim17ROCPRIM_400000_NS6detail17trampoline_kernelINS0_14default_configENS1_35radix_sort_onesweep_config_selectorIdlEEZNS1_34radix_sort_onesweep_global_offsetsIS3_Lb0EPdN6thrust23THRUST_200600_302600_NS10device_ptrIlEEjNS0_19identity_decomposerEEE10hipError_tT1_T2_PT3_SG_jT4_jjP12ihipStream_tbEUlT_E_NS1_11comp_targetILNS1_3genE9ELNS1_11target_archE1100ELNS1_3gpuE3ELNS1_3repE0EEENS1_52radix_sort_onesweep_histogram_config_static_selectorELNS0_4arch9wavefront6targetE1EEEvSE_,comdat
.Lfunc_end1605:
	.size	_ZN7rocprim17ROCPRIM_400000_NS6detail17trampoline_kernelINS0_14default_configENS1_35radix_sort_onesweep_config_selectorIdlEEZNS1_34radix_sort_onesweep_global_offsetsIS3_Lb0EPdN6thrust23THRUST_200600_302600_NS10device_ptrIlEEjNS0_19identity_decomposerEEE10hipError_tT1_T2_PT3_SG_jT4_jjP12ihipStream_tbEUlT_E_NS1_11comp_targetILNS1_3genE9ELNS1_11target_archE1100ELNS1_3gpuE3ELNS1_3repE0EEENS1_52radix_sort_onesweep_histogram_config_static_selectorELNS0_4arch9wavefront6targetE1EEEvSE_, .Lfunc_end1605-_ZN7rocprim17ROCPRIM_400000_NS6detail17trampoline_kernelINS0_14default_configENS1_35radix_sort_onesweep_config_selectorIdlEEZNS1_34radix_sort_onesweep_global_offsetsIS3_Lb0EPdN6thrust23THRUST_200600_302600_NS10device_ptrIlEEjNS0_19identity_decomposerEEE10hipError_tT1_T2_PT3_SG_jT4_jjP12ihipStream_tbEUlT_E_NS1_11comp_targetILNS1_3genE9ELNS1_11target_archE1100ELNS1_3gpuE3ELNS1_3repE0EEENS1_52radix_sort_onesweep_histogram_config_static_selectorELNS0_4arch9wavefront6targetE1EEEvSE_
                                        ; -- End function
	.section	.AMDGPU.csdata,"",@progbits
; Kernel info:
; codeLenInByte = 0
; NumSgprs: 4
; NumVgprs: 0
; NumAgprs: 0
; TotalNumVgprs: 0
; ScratchSize: 0
; MemoryBound: 0
; FloatMode: 240
; IeeeMode: 1
; LDSByteSize: 0 bytes/workgroup (compile time only)
; SGPRBlocks: 0
; VGPRBlocks: 0
; NumSGPRsForWavesPerEU: 4
; NumVGPRsForWavesPerEU: 1
; AccumOffset: 4
; Occupancy: 8
; WaveLimiterHint : 0
; COMPUTE_PGM_RSRC2:SCRATCH_EN: 0
; COMPUTE_PGM_RSRC2:USER_SGPR: 6
; COMPUTE_PGM_RSRC2:TRAP_HANDLER: 0
; COMPUTE_PGM_RSRC2:TGID_X_EN: 1
; COMPUTE_PGM_RSRC2:TGID_Y_EN: 0
; COMPUTE_PGM_RSRC2:TGID_Z_EN: 0
; COMPUTE_PGM_RSRC2:TIDIG_COMP_CNT: 0
; COMPUTE_PGM_RSRC3_GFX90A:ACCUM_OFFSET: 0
; COMPUTE_PGM_RSRC3_GFX90A:TG_SPLIT: 0
	.section	.text._ZN7rocprim17ROCPRIM_400000_NS6detail17trampoline_kernelINS0_14default_configENS1_35radix_sort_onesweep_config_selectorIdlEEZNS1_34radix_sort_onesweep_global_offsetsIS3_Lb0EPdN6thrust23THRUST_200600_302600_NS10device_ptrIlEEjNS0_19identity_decomposerEEE10hipError_tT1_T2_PT3_SG_jT4_jjP12ihipStream_tbEUlT_E_NS1_11comp_targetILNS1_3genE8ELNS1_11target_archE1030ELNS1_3gpuE2ELNS1_3repE0EEENS1_52radix_sort_onesweep_histogram_config_static_selectorELNS0_4arch9wavefront6targetE1EEEvSE_,"axG",@progbits,_ZN7rocprim17ROCPRIM_400000_NS6detail17trampoline_kernelINS0_14default_configENS1_35radix_sort_onesweep_config_selectorIdlEEZNS1_34radix_sort_onesweep_global_offsetsIS3_Lb0EPdN6thrust23THRUST_200600_302600_NS10device_ptrIlEEjNS0_19identity_decomposerEEE10hipError_tT1_T2_PT3_SG_jT4_jjP12ihipStream_tbEUlT_E_NS1_11comp_targetILNS1_3genE8ELNS1_11target_archE1030ELNS1_3gpuE2ELNS1_3repE0EEENS1_52radix_sort_onesweep_histogram_config_static_selectorELNS0_4arch9wavefront6targetE1EEEvSE_,comdat
	.protected	_ZN7rocprim17ROCPRIM_400000_NS6detail17trampoline_kernelINS0_14default_configENS1_35radix_sort_onesweep_config_selectorIdlEEZNS1_34radix_sort_onesweep_global_offsetsIS3_Lb0EPdN6thrust23THRUST_200600_302600_NS10device_ptrIlEEjNS0_19identity_decomposerEEE10hipError_tT1_T2_PT3_SG_jT4_jjP12ihipStream_tbEUlT_E_NS1_11comp_targetILNS1_3genE8ELNS1_11target_archE1030ELNS1_3gpuE2ELNS1_3repE0EEENS1_52radix_sort_onesweep_histogram_config_static_selectorELNS0_4arch9wavefront6targetE1EEEvSE_ ; -- Begin function _ZN7rocprim17ROCPRIM_400000_NS6detail17trampoline_kernelINS0_14default_configENS1_35radix_sort_onesweep_config_selectorIdlEEZNS1_34radix_sort_onesweep_global_offsetsIS3_Lb0EPdN6thrust23THRUST_200600_302600_NS10device_ptrIlEEjNS0_19identity_decomposerEEE10hipError_tT1_T2_PT3_SG_jT4_jjP12ihipStream_tbEUlT_E_NS1_11comp_targetILNS1_3genE8ELNS1_11target_archE1030ELNS1_3gpuE2ELNS1_3repE0EEENS1_52radix_sort_onesweep_histogram_config_static_selectorELNS0_4arch9wavefront6targetE1EEEvSE_
	.globl	_ZN7rocprim17ROCPRIM_400000_NS6detail17trampoline_kernelINS0_14default_configENS1_35radix_sort_onesweep_config_selectorIdlEEZNS1_34radix_sort_onesweep_global_offsetsIS3_Lb0EPdN6thrust23THRUST_200600_302600_NS10device_ptrIlEEjNS0_19identity_decomposerEEE10hipError_tT1_T2_PT3_SG_jT4_jjP12ihipStream_tbEUlT_E_NS1_11comp_targetILNS1_3genE8ELNS1_11target_archE1030ELNS1_3gpuE2ELNS1_3repE0EEENS1_52radix_sort_onesweep_histogram_config_static_selectorELNS0_4arch9wavefront6targetE1EEEvSE_
	.p2align	8
	.type	_ZN7rocprim17ROCPRIM_400000_NS6detail17trampoline_kernelINS0_14default_configENS1_35radix_sort_onesweep_config_selectorIdlEEZNS1_34radix_sort_onesweep_global_offsetsIS3_Lb0EPdN6thrust23THRUST_200600_302600_NS10device_ptrIlEEjNS0_19identity_decomposerEEE10hipError_tT1_T2_PT3_SG_jT4_jjP12ihipStream_tbEUlT_E_NS1_11comp_targetILNS1_3genE8ELNS1_11target_archE1030ELNS1_3gpuE2ELNS1_3repE0EEENS1_52radix_sort_onesweep_histogram_config_static_selectorELNS0_4arch9wavefront6targetE1EEEvSE_,@function
_ZN7rocprim17ROCPRIM_400000_NS6detail17trampoline_kernelINS0_14default_configENS1_35radix_sort_onesweep_config_selectorIdlEEZNS1_34radix_sort_onesweep_global_offsetsIS3_Lb0EPdN6thrust23THRUST_200600_302600_NS10device_ptrIlEEjNS0_19identity_decomposerEEE10hipError_tT1_T2_PT3_SG_jT4_jjP12ihipStream_tbEUlT_E_NS1_11comp_targetILNS1_3genE8ELNS1_11target_archE1030ELNS1_3gpuE2ELNS1_3repE0EEENS1_52radix_sort_onesweep_histogram_config_static_selectorELNS0_4arch9wavefront6targetE1EEEvSE_: ; @_ZN7rocprim17ROCPRIM_400000_NS6detail17trampoline_kernelINS0_14default_configENS1_35radix_sort_onesweep_config_selectorIdlEEZNS1_34radix_sort_onesweep_global_offsetsIS3_Lb0EPdN6thrust23THRUST_200600_302600_NS10device_ptrIlEEjNS0_19identity_decomposerEEE10hipError_tT1_T2_PT3_SG_jT4_jjP12ihipStream_tbEUlT_E_NS1_11comp_targetILNS1_3genE8ELNS1_11target_archE1030ELNS1_3gpuE2ELNS1_3repE0EEENS1_52radix_sort_onesweep_histogram_config_static_selectorELNS0_4arch9wavefront6targetE1EEEvSE_
; %bb.0:
	.section	.rodata,"a",@progbits
	.p2align	6, 0x0
	.amdhsa_kernel _ZN7rocprim17ROCPRIM_400000_NS6detail17trampoline_kernelINS0_14default_configENS1_35radix_sort_onesweep_config_selectorIdlEEZNS1_34radix_sort_onesweep_global_offsetsIS3_Lb0EPdN6thrust23THRUST_200600_302600_NS10device_ptrIlEEjNS0_19identity_decomposerEEE10hipError_tT1_T2_PT3_SG_jT4_jjP12ihipStream_tbEUlT_E_NS1_11comp_targetILNS1_3genE8ELNS1_11target_archE1030ELNS1_3gpuE2ELNS1_3repE0EEENS1_52radix_sort_onesweep_histogram_config_static_selectorELNS0_4arch9wavefront6targetE1EEEvSE_
		.amdhsa_group_segment_fixed_size 0
		.amdhsa_private_segment_fixed_size 0
		.amdhsa_kernarg_size 40
		.amdhsa_user_sgpr_count 6
		.amdhsa_user_sgpr_private_segment_buffer 1
		.amdhsa_user_sgpr_dispatch_ptr 0
		.amdhsa_user_sgpr_queue_ptr 0
		.amdhsa_user_sgpr_kernarg_segment_ptr 1
		.amdhsa_user_sgpr_dispatch_id 0
		.amdhsa_user_sgpr_flat_scratch_init 0
		.amdhsa_user_sgpr_kernarg_preload_length 0
		.amdhsa_user_sgpr_kernarg_preload_offset 0
		.amdhsa_user_sgpr_private_segment_size 0
		.amdhsa_uses_dynamic_stack 0
		.amdhsa_system_sgpr_private_segment_wavefront_offset 0
		.amdhsa_system_sgpr_workgroup_id_x 1
		.amdhsa_system_sgpr_workgroup_id_y 0
		.amdhsa_system_sgpr_workgroup_id_z 0
		.amdhsa_system_sgpr_workgroup_info 0
		.amdhsa_system_vgpr_workitem_id 0
		.amdhsa_next_free_vgpr 1
		.amdhsa_next_free_sgpr 0
		.amdhsa_accum_offset 4
		.amdhsa_reserve_vcc 0
		.amdhsa_reserve_flat_scratch 0
		.amdhsa_float_round_mode_32 0
		.amdhsa_float_round_mode_16_64 0
		.amdhsa_float_denorm_mode_32 3
		.amdhsa_float_denorm_mode_16_64 3
		.amdhsa_dx10_clamp 1
		.amdhsa_ieee_mode 1
		.amdhsa_fp16_overflow 0
		.amdhsa_tg_split 0
		.amdhsa_exception_fp_ieee_invalid_op 0
		.amdhsa_exception_fp_denorm_src 0
		.amdhsa_exception_fp_ieee_div_zero 0
		.amdhsa_exception_fp_ieee_overflow 0
		.amdhsa_exception_fp_ieee_underflow 0
		.amdhsa_exception_fp_ieee_inexact 0
		.amdhsa_exception_int_div_zero 0
	.end_amdhsa_kernel
	.section	.text._ZN7rocprim17ROCPRIM_400000_NS6detail17trampoline_kernelINS0_14default_configENS1_35radix_sort_onesweep_config_selectorIdlEEZNS1_34radix_sort_onesweep_global_offsetsIS3_Lb0EPdN6thrust23THRUST_200600_302600_NS10device_ptrIlEEjNS0_19identity_decomposerEEE10hipError_tT1_T2_PT3_SG_jT4_jjP12ihipStream_tbEUlT_E_NS1_11comp_targetILNS1_3genE8ELNS1_11target_archE1030ELNS1_3gpuE2ELNS1_3repE0EEENS1_52radix_sort_onesweep_histogram_config_static_selectorELNS0_4arch9wavefront6targetE1EEEvSE_,"axG",@progbits,_ZN7rocprim17ROCPRIM_400000_NS6detail17trampoline_kernelINS0_14default_configENS1_35radix_sort_onesweep_config_selectorIdlEEZNS1_34radix_sort_onesweep_global_offsetsIS3_Lb0EPdN6thrust23THRUST_200600_302600_NS10device_ptrIlEEjNS0_19identity_decomposerEEE10hipError_tT1_T2_PT3_SG_jT4_jjP12ihipStream_tbEUlT_E_NS1_11comp_targetILNS1_3genE8ELNS1_11target_archE1030ELNS1_3gpuE2ELNS1_3repE0EEENS1_52radix_sort_onesweep_histogram_config_static_selectorELNS0_4arch9wavefront6targetE1EEEvSE_,comdat
.Lfunc_end1606:
	.size	_ZN7rocprim17ROCPRIM_400000_NS6detail17trampoline_kernelINS0_14default_configENS1_35radix_sort_onesweep_config_selectorIdlEEZNS1_34radix_sort_onesweep_global_offsetsIS3_Lb0EPdN6thrust23THRUST_200600_302600_NS10device_ptrIlEEjNS0_19identity_decomposerEEE10hipError_tT1_T2_PT3_SG_jT4_jjP12ihipStream_tbEUlT_E_NS1_11comp_targetILNS1_3genE8ELNS1_11target_archE1030ELNS1_3gpuE2ELNS1_3repE0EEENS1_52radix_sort_onesweep_histogram_config_static_selectorELNS0_4arch9wavefront6targetE1EEEvSE_, .Lfunc_end1606-_ZN7rocprim17ROCPRIM_400000_NS6detail17trampoline_kernelINS0_14default_configENS1_35radix_sort_onesweep_config_selectorIdlEEZNS1_34radix_sort_onesweep_global_offsetsIS3_Lb0EPdN6thrust23THRUST_200600_302600_NS10device_ptrIlEEjNS0_19identity_decomposerEEE10hipError_tT1_T2_PT3_SG_jT4_jjP12ihipStream_tbEUlT_E_NS1_11comp_targetILNS1_3genE8ELNS1_11target_archE1030ELNS1_3gpuE2ELNS1_3repE0EEENS1_52radix_sort_onesweep_histogram_config_static_selectorELNS0_4arch9wavefront6targetE1EEEvSE_
                                        ; -- End function
	.section	.AMDGPU.csdata,"",@progbits
; Kernel info:
; codeLenInByte = 0
; NumSgprs: 4
; NumVgprs: 0
; NumAgprs: 0
; TotalNumVgprs: 0
; ScratchSize: 0
; MemoryBound: 0
; FloatMode: 240
; IeeeMode: 1
; LDSByteSize: 0 bytes/workgroup (compile time only)
; SGPRBlocks: 0
; VGPRBlocks: 0
; NumSGPRsForWavesPerEU: 4
; NumVGPRsForWavesPerEU: 1
; AccumOffset: 4
; Occupancy: 8
; WaveLimiterHint : 0
; COMPUTE_PGM_RSRC2:SCRATCH_EN: 0
; COMPUTE_PGM_RSRC2:USER_SGPR: 6
; COMPUTE_PGM_RSRC2:TRAP_HANDLER: 0
; COMPUTE_PGM_RSRC2:TGID_X_EN: 1
; COMPUTE_PGM_RSRC2:TGID_Y_EN: 0
; COMPUTE_PGM_RSRC2:TGID_Z_EN: 0
; COMPUTE_PGM_RSRC2:TIDIG_COMP_CNT: 0
; COMPUTE_PGM_RSRC3_GFX90A:ACCUM_OFFSET: 0
; COMPUTE_PGM_RSRC3_GFX90A:TG_SPLIT: 0
	.section	.text._ZN7rocprim17ROCPRIM_400000_NS6detail17trampoline_kernelINS0_14default_configENS1_35radix_sort_onesweep_config_selectorIdlEEZNS1_34radix_sort_onesweep_global_offsetsIS3_Lb0EPdN6thrust23THRUST_200600_302600_NS10device_ptrIlEEjNS0_19identity_decomposerEEE10hipError_tT1_T2_PT3_SG_jT4_jjP12ihipStream_tbEUlT_E0_NS1_11comp_targetILNS1_3genE0ELNS1_11target_archE4294967295ELNS1_3gpuE0ELNS1_3repE0EEENS1_52radix_sort_onesweep_histogram_config_static_selectorELNS0_4arch9wavefront6targetE1EEEvSE_,"axG",@progbits,_ZN7rocprim17ROCPRIM_400000_NS6detail17trampoline_kernelINS0_14default_configENS1_35radix_sort_onesweep_config_selectorIdlEEZNS1_34radix_sort_onesweep_global_offsetsIS3_Lb0EPdN6thrust23THRUST_200600_302600_NS10device_ptrIlEEjNS0_19identity_decomposerEEE10hipError_tT1_T2_PT3_SG_jT4_jjP12ihipStream_tbEUlT_E0_NS1_11comp_targetILNS1_3genE0ELNS1_11target_archE4294967295ELNS1_3gpuE0ELNS1_3repE0EEENS1_52radix_sort_onesweep_histogram_config_static_selectorELNS0_4arch9wavefront6targetE1EEEvSE_,comdat
	.protected	_ZN7rocprim17ROCPRIM_400000_NS6detail17trampoline_kernelINS0_14default_configENS1_35radix_sort_onesweep_config_selectorIdlEEZNS1_34radix_sort_onesweep_global_offsetsIS3_Lb0EPdN6thrust23THRUST_200600_302600_NS10device_ptrIlEEjNS0_19identity_decomposerEEE10hipError_tT1_T2_PT3_SG_jT4_jjP12ihipStream_tbEUlT_E0_NS1_11comp_targetILNS1_3genE0ELNS1_11target_archE4294967295ELNS1_3gpuE0ELNS1_3repE0EEENS1_52radix_sort_onesweep_histogram_config_static_selectorELNS0_4arch9wavefront6targetE1EEEvSE_ ; -- Begin function _ZN7rocprim17ROCPRIM_400000_NS6detail17trampoline_kernelINS0_14default_configENS1_35radix_sort_onesweep_config_selectorIdlEEZNS1_34radix_sort_onesweep_global_offsetsIS3_Lb0EPdN6thrust23THRUST_200600_302600_NS10device_ptrIlEEjNS0_19identity_decomposerEEE10hipError_tT1_T2_PT3_SG_jT4_jjP12ihipStream_tbEUlT_E0_NS1_11comp_targetILNS1_3genE0ELNS1_11target_archE4294967295ELNS1_3gpuE0ELNS1_3repE0EEENS1_52radix_sort_onesweep_histogram_config_static_selectorELNS0_4arch9wavefront6targetE1EEEvSE_
	.globl	_ZN7rocprim17ROCPRIM_400000_NS6detail17trampoline_kernelINS0_14default_configENS1_35radix_sort_onesweep_config_selectorIdlEEZNS1_34radix_sort_onesweep_global_offsetsIS3_Lb0EPdN6thrust23THRUST_200600_302600_NS10device_ptrIlEEjNS0_19identity_decomposerEEE10hipError_tT1_T2_PT3_SG_jT4_jjP12ihipStream_tbEUlT_E0_NS1_11comp_targetILNS1_3genE0ELNS1_11target_archE4294967295ELNS1_3gpuE0ELNS1_3repE0EEENS1_52radix_sort_onesweep_histogram_config_static_selectorELNS0_4arch9wavefront6targetE1EEEvSE_
	.p2align	8
	.type	_ZN7rocprim17ROCPRIM_400000_NS6detail17trampoline_kernelINS0_14default_configENS1_35radix_sort_onesweep_config_selectorIdlEEZNS1_34radix_sort_onesweep_global_offsetsIS3_Lb0EPdN6thrust23THRUST_200600_302600_NS10device_ptrIlEEjNS0_19identity_decomposerEEE10hipError_tT1_T2_PT3_SG_jT4_jjP12ihipStream_tbEUlT_E0_NS1_11comp_targetILNS1_3genE0ELNS1_11target_archE4294967295ELNS1_3gpuE0ELNS1_3repE0EEENS1_52radix_sort_onesweep_histogram_config_static_selectorELNS0_4arch9wavefront6targetE1EEEvSE_,@function
_ZN7rocprim17ROCPRIM_400000_NS6detail17trampoline_kernelINS0_14default_configENS1_35radix_sort_onesweep_config_selectorIdlEEZNS1_34radix_sort_onesweep_global_offsetsIS3_Lb0EPdN6thrust23THRUST_200600_302600_NS10device_ptrIlEEjNS0_19identity_decomposerEEE10hipError_tT1_T2_PT3_SG_jT4_jjP12ihipStream_tbEUlT_E0_NS1_11comp_targetILNS1_3genE0ELNS1_11target_archE4294967295ELNS1_3gpuE0ELNS1_3repE0EEENS1_52radix_sort_onesweep_histogram_config_static_selectorELNS0_4arch9wavefront6targetE1EEEvSE_: ; @_ZN7rocprim17ROCPRIM_400000_NS6detail17trampoline_kernelINS0_14default_configENS1_35radix_sort_onesweep_config_selectorIdlEEZNS1_34radix_sort_onesweep_global_offsetsIS3_Lb0EPdN6thrust23THRUST_200600_302600_NS10device_ptrIlEEjNS0_19identity_decomposerEEE10hipError_tT1_T2_PT3_SG_jT4_jjP12ihipStream_tbEUlT_E0_NS1_11comp_targetILNS1_3genE0ELNS1_11target_archE4294967295ELNS1_3gpuE0ELNS1_3repE0EEENS1_52radix_sort_onesweep_histogram_config_static_selectorELNS0_4arch9wavefront6targetE1EEEvSE_
; %bb.0:
	.section	.rodata,"a",@progbits
	.p2align	6, 0x0
	.amdhsa_kernel _ZN7rocprim17ROCPRIM_400000_NS6detail17trampoline_kernelINS0_14default_configENS1_35radix_sort_onesweep_config_selectorIdlEEZNS1_34radix_sort_onesweep_global_offsetsIS3_Lb0EPdN6thrust23THRUST_200600_302600_NS10device_ptrIlEEjNS0_19identity_decomposerEEE10hipError_tT1_T2_PT3_SG_jT4_jjP12ihipStream_tbEUlT_E0_NS1_11comp_targetILNS1_3genE0ELNS1_11target_archE4294967295ELNS1_3gpuE0ELNS1_3repE0EEENS1_52radix_sort_onesweep_histogram_config_static_selectorELNS0_4arch9wavefront6targetE1EEEvSE_
		.amdhsa_group_segment_fixed_size 0
		.amdhsa_private_segment_fixed_size 0
		.amdhsa_kernarg_size 8
		.amdhsa_user_sgpr_count 6
		.amdhsa_user_sgpr_private_segment_buffer 1
		.amdhsa_user_sgpr_dispatch_ptr 0
		.amdhsa_user_sgpr_queue_ptr 0
		.amdhsa_user_sgpr_kernarg_segment_ptr 1
		.amdhsa_user_sgpr_dispatch_id 0
		.amdhsa_user_sgpr_flat_scratch_init 0
		.amdhsa_user_sgpr_kernarg_preload_length 0
		.amdhsa_user_sgpr_kernarg_preload_offset 0
		.amdhsa_user_sgpr_private_segment_size 0
		.amdhsa_uses_dynamic_stack 0
		.amdhsa_system_sgpr_private_segment_wavefront_offset 0
		.amdhsa_system_sgpr_workgroup_id_x 1
		.amdhsa_system_sgpr_workgroup_id_y 0
		.amdhsa_system_sgpr_workgroup_id_z 0
		.amdhsa_system_sgpr_workgroup_info 0
		.amdhsa_system_vgpr_workitem_id 0
		.amdhsa_next_free_vgpr 1
		.amdhsa_next_free_sgpr 0
		.amdhsa_accum_offset 4
		.amdhsa_reserve_vcc 0
		.amdhsa_reserve_flat_scratch 0
		.amdhsa_float_round_mode_32 0
		.amdhsa_float_round_mode_16_64 0
		.amdhsa_float_denorm_mode_32 3
		.amdhsa_float_denorm_mode_16_64 3
		.amdhsa_dx10_clamp 1
		.amdhsa_ieee_mode 1
		.amdhsa_fp16_overflow 0
		.amdhsa_tg_split 0
		.amdhsa_exception_fp_ieee_invalid_op 0
		.amdhsa_exception_fp_denorm_src 0
		.amdhsa_exception_fp_ieee_div_zero 0
		.amdhsa_exception_fp_ieee_overflow 0
		.amdhsa_exception_fp_ieee_underflow 0
		.amdhsa_exception_fp_ieee_inexact 0
		.amdhsa_exception_int_div_zero 0
	.end_amdhsa_kernel
	.section	.text._ZN7rocprim17ROCPRIM_400000_NS6detail17trampoline_kernelINS0_14default_configENS1_35radix_sort_onesweep_config_selectorIdlEEZNS1_34radix_sort_onesweep_global_offsetsIS3_Lb0EPdN6thrust23THRUST_200600_302600_NS10device_ptrIlEEjNS0_19identity_decomposerEEE10hipError_tT1_T2_PT3_SG_jT4_jjP12ihipStream_tbEUlT_E0_NS1_11comp_targetILNS1_3genE0ELNS1_11target_archE4294967295ELNS1_3gpuE0ELNS1_3repE0EEENS1_52radix_sort_onesweep_histogram_config_static_selectorELNS0_4arch9wavefront6targetE1EEEvSE_,"axG",@progbits,_ZN7rocprim17ROCPRIM_400000_NS6detail17trampoline_kernelINS0_14default_configENS1_35radix_sort_onesweep_config_selectorIdlEEZNS1_34radix_sort_onesweep_global_offsetsIS3_Lb0EPdN6thrust23THRUST_200600_302600_NS10device_ptrIlEEjNS0_19identity_decomposerEEE10hipError_tT1_T2_PT3_SG_jT4_jjP12ihipStream_tbEUlT_E0_NS1_11comp_targetILNS1_3genE0ELNS1_11target_archE4294967295ELNS1_3gpuE0ELNS1_3repE0EEENS1_52radix_sort_onesweep_histogram_config_static_selectorELNS0_4arch9wavefront6targetE1EEEvSE_,comdat
.Lfunc_end1607:
	.size	_ZN7rocprim17ROCPRIM_400000_NS6detail17trampoline_kernelINS0_14default_configENS1_35radix_sort_onesweep_config_selectorIdlEEZNS1_34radix_sort_onesweep_global_offsetsIS3_Lb0EPdN6thrust23THRUST_200600_302600_NS10device_ptrIlEEjNS0_19identity_decomposerEEE10hipError_tT1_T2_PT3_SG_jT4_jjP12ihipStream_tbEUlT_E0_NS1_11comp_targetILNS1_3genE0ELNS1_11target_archE4294967295ELNS1_3gpuE0ELNS1_3repE0EEENS1_52radix_sort_onesweep_histogram_config_static_selectorELNS0_4arch9wavefront6targetE1EEEvSE_, .Lfunc_end1607-_ZN7rocprim17ROCPRIM_400000_NS6detail17trampoline_kernelINS0_14default_configENS1_35radix_sort_onesweep_config_selectorIdlEEZNS1_34radix_sort_onesweep_global_offsetsIS3_Lb0EPdN6thrust23THRUST_200600_302600_NS10device_ptrIlEEjNS0_19identity_decomposerEEE10hipError_tT1_T2_PT3_SG_jT4_jjP12ihipStream_tbEUlT_E0_NS1_11comp_targetILNS1_3genE0ELNS1_11target_archE4294967295ELNS1_3gpuE0ELNS1_3repE0EEENS1_52radix_sort_onesweep_histogram_config_static_selectorELNS0_4arch9wavefront6targetE1EEEvSE_
                                        ; -- End function
	.section	.AMDGPU.csdata,"",@progbits
; Kernel info:
; codeLenInByte = 0
; NumSgprs: 4
; NumVgprs: 0
; NumAgprs: 0
; TotalNumVgprs: 0
; ScratchSize: 0
; MemoryBound: 0
; FloatMode: 240
; IeeeMode: 1
; LDSByteSize: 0 bytes/workgroup (compile time only)
; SGPRBlocks: 0
; VGPRBlocks: 0
; NumSGPRsForWavesPerEU: 4
; NumVGPRsForWavesPerEU: 1
; AccumOffset: 4
; Occupancy: 8
; WaveLimiterHint : 0
; COMPUTE_PGM_RSRC2:SCRATCH_EN: 0
; COMPUTE_PGM_RSRC2:USER_SGPR: 6
; COMPUTE_PGM_RSRC2:TRAP_HANDLER: 0
; COMPUTE_PGM_RSRC2:TGID_X_EN: 1
; COMPUTE_PGM_RSRC2:TGID_Y_EN: 0
; COMPUTE_PGM_RSRC2:TGID_Z_EN: 0
; COMPUTE_PGM_RSRC2:TIDIG_COMP_CNT: 0
; COMPUTE_PGM_RSRC3_GFX90A:ACCUM_OFFSET: 0
; COMPUTE_PGM_RSRC3_GFX90A:TG_SPLIT: 0
	.section	.text._ZN7rocprim17ROCPRIM_400000_NS6detail17trampoline_kernelINS0_14default_configENS1_35radix_sort_onesweep_config_selectorIdlEEZNS1_34radix_sort_onesweep_global_offsetsIS3_Lb0EPdN6thrust23THRUST_200600_302600_NS10device_ptrIlEEjNS0_19identity_decomposerEEE10hipError_tT1_T2_PT3_SG_jT4_jjP12ihipStream_tbEUlT_E0_NS1_11comp_targetILNS1_3genE6ELNS1_11target_archE950ELNS1_3gpuE13ELNS1_3repE0EEENS1_52radix_sort_onesweep_histogram_config_static_selectorELNS0_4arch9wavefront6targetE1EEEvSE_,"axG",@progbits,_ZN7rocprim17ROCPRIM_400000_NS6detail17trampoline_kernelINS0_14default_configENS1_35radix_sort_onesweep_config_selectorIdlEEZNS1_34radix_sort_onesweep_global_offsetsIS3_Lb0EPdN6thrust23THRUST_200600_302600_NS10device_ptrIlEEjNS0_19identity_decomposerEEE10hipError_tT1_T2_PT3_SG_jT4_jjP12ihipStream_tbEUlT_E0_NS1_11comp_targetILNS1_3genE6ELNS1_11target_archE950ELNS1_3gpuE13ELNS1_3repE0EEENS1_52radix_sort_onesweep_histogram_config_static_selectorELNS0_4arch9wavefront6targetE1EEEvSE_,comdat
	.protected	_ZN7rocprim17ROCPRIM_400000_NS6detail17trampoline_kernelINS0_14default_configENS1_35radix_sort_onesweep_config_selectorIdlEEZNS1_34radix_sort_onesweep_global_offsetsIS3_Lb0EPdN6thrust23THRUST_200600_302600_NS10device_ptrIlEEjNS0_19identity_decomposerEEE10hipError_tT1_T2_PT3_SG_jT4_jjP12ihipStream_tbEUlT_E0_NS1_11comp_targetILNS1_3genE6ELNS1_11target_archE950ELNS1_3gpuE13ELNS1_3repE0EEENS1_52radix_sort_onesweep_histogram_config_static_selectorELNS0_4arch9wavefront6targetE1EEEvSE_ ; -- Begin function _ZN7rocprim17ROCPRIM_400000_NS6detail17trampoline_kernelINS0_14default_configENS1_35radix_sort_onesweep_config_selectorIdlEEZNS1_34radix_sort_onesweep_global_offsetsIS3_Lb0EPdN6thrust23THRUST_200600_302600_NS10device_ptrIlEEjNS0_19identity_decomposerEEE10hipError_tT1_T2_PT3_SG_jT4_jjP12ihipStream_tbEUlT_E0_NS1_11comp_targetILNS1_3genE6ELNS1_11target_archE950ELNS1_3gpuE13ELNS1_3repE0EEENS1_52radix_sort_onesweep_histogram_config_static_selectorELNS0_4arch9wavefront6targetE1EEEvSE_
	.globl	_ZN7rocprim17ROCPRIM_400000_NS6detail17trampoline_kernelINS0_14default_configENS1_35radix_sort_onesweep_config_selectorIdlEEZNS1_34radix_sort_onesweep_global_offsetsIS3_Lb0EPdN6thrust23THRUST_200600_302600_NS10device_ptrIlEEjNS0_19identity_decomposerEEE10hipError_tT1_T2_PT3_SG_jT4_jjP12ihipStream_tbEUlT_E0_NS1_11comp_targetILNS1_3genE6ELNS1_11target_archE950ELNS1_3gpuE13ELNS1_3repE0EEENS1_52radix_sort_onesweep_histogram_config_static_selectorELNS0_4arch9wavefront6targetE1EEEvSE_
	.p2align	8
	.type	_ZN7rocprim17ROCPRIM_400000_NS6detail17trampoline_kernelINS0_14default_configENS1_35radix_sort_onesweep_config_selectorIdlEEZNS1_34radix_sort_onesweep_global_offsetsIS3_Lb0EPdN6thrust23THRUST_200600_302600_NS10device_ptrIlEEjNS0_19identity_decomposerEEE10hipError_tT1_T2_PT3_SG_jT4_jjP12ihipStream_tbEUlT_E0_NS1_11comp_targetILNS1_3genE6ELNS1_11target_archE950ELNS1_3gpuE13ELNS1_3repE0EEENS1_52radix_sort_onesweep_histogram_config_static_selectorELNS0_4arch9wavefront6targetE1EEEvSE_,@function
_ZN7rocprim17ROCPRIM_400000_NS6detail17trampoline_kernelINS0_14default_configENS1_35radix_sort_onesweep_config_selectorIdlEEZNS1_34radix_sort_onesweep_global_offsetsIS3_Lb0EPdN6thrust23THRUST_200600_302600_NS10device_ptrIlEEjNS0_19identity_decomposerEEE10hipError_tT1_T2_PT3_SG_jT4_jjP12ihipStream_tbEUlT_E0_NS1_11comp_targetILNS1_3genE6ELNS1_11target_archE950ELNS1_3gpuE13ELNS1_3repE0EEENS1_52radix_sort_onesweep_histogram_config_static_selectorELNS0_4arch9wavefront6targetE1EEEvSE_: ; @_ZN7rocprim17ROCPRIM_400000_NS6detail17trampoline_kernelINS0_14default_configENS1_35radix_sort_onesweep_config_selectorIdlEEZNS1_34radix_sort_onesweep_global_offsetsIS3_Lb0EPdN6thrust23THRUST_200600_302600_NS10device_ptrIlEEjNS0_19identity_decomposerEEE10hipError_tT1_T2_PT3_SG_jT4_jjP12ihipStream_tbEUlT_E0_NS1_11comp_targetILNS1_3genE6ELNS1_11target_archE950ELNS1_3gpuE13ELNS1_3repE0EEENS1_52radix_sort_onesweep_histogram_config_static_selectorELNS0_4arch9wavefront6targetE1EEEvSE_
; %bb.0:
	.section	.rodata,"a",@progbits
	.p2align	6, 0x0
	.amdhsa_kernel _ZN7rocprim17ROCPRIM_400000_NS6detail17trampoline_kernelINS0_14default_configENS1_35radix_sort_onesweep_config_selectorIdlEEZNS1_34radix_sort_onesweep_global_offsetsIS3_Lb0EPdN6thrust23THRUST_200600_302600_NS10device_ptrIlEEjNS0_19identity_decomposerEEE10hipError_tT1_T2_PT3_SG_jT4_jjP12ihipStream_tbEUlT_E0_NS1_11comp_targetILNS1_3genE6ELNS1_11target_archE950ELNS1_3gpuE13ELNS1_3repE0EEENS1_52radix_sort_onesweep_histogram_config_static_selectorELNS0_4arch9wavefront6targetE1EEEvSE_
		.amdhsa_group_segment_fixed_size 0
		.amdhsa_private_segment_fixed_size 0
		.amdhsa_kernarg_size 8
		.amdhsa_user_sgpr_count 6
		.amdhsa_user_sgpr_private_segment_buffer 1
		.amdhsa_user_sgpr_dispatch_ptr 0
		.amdhsa_user_sgpr_queue_ptr 0
		.amdhsa_user_sgpr_kernarg_segment_ptr 1
		.amdhsa_user_sgpr_dispatch_id 0
		.amdhsa_user_sgpr_flat_scratch_init 0
		.amdhsa_user_sgpr_kernarg_preload_length 0
		.amdhsa_user_sgpr_kernarg_preload_offset 0
		.amdhsa_user_sgpr_private_segment_size 0
		.amdhsa_uses_dynamic_stack 0
		.amdhsa_system_sgpr_private_segment_wavefront_offset 0
		.amdhsa_system_sgpr_workgroup_id_x 1
		.amdhsa_system_sgpr_workgroup_id_y 0
		.amdhsa_system_sgpr_workgroup_id_z 0
		.amdhsa_system_sgpr_workgroup_info 0
		.amdhsa_system_vgpr_workitem_id 0
		.amdhsa_next_free_vgpr 1
		.amdhsa_next_free_sgpr 0
		.amdhsa_accum_offset 4
		.amdhsa_reserve_vcc 0
		.amdhsa_reserve_flat_scratch 0
		.amdhsa_float_round_mode_32 0
		.amdhsa_float_round_mode_16_64 0
		.amdhsa_float_denorm_mode_32 3
		.amdhsa_float_denorm_mode_16_64 3
		.amdhsa_dx10_clamp 1
		.amdhsa_ieee_mode 1
		.amdhsa_fp16_overflow 0
		.amdhsa_tg_split 0
		.amdhsa_exception_fp_ieee_invalid_op 0
		.amdhsa_exception_fp_denorm_src 0
		.amdhsa_exception_fp_ieee_div_zero 0
		.amdhsa_exception_fp_ieee_overflow 0
		.amdhsa_exception_fp_ieee_underflow 0
		.amdhsa_exception_fp_ieee_inexact 0
		.amdhsa_exception_int_div_zero 0
	.end_amdhsa_kernel
	.section	.text._ZN7rocprim17ROCPRIM_400000_NS6detail17trampoline_kernelINS0_14default_configENS1_35radix_sort_onesweep_config_selectorIdlEEZNS1_34radix_sort_onesweep_global_offsetsIS3_Lb0EPdN6thrust23THRUST_200600_302600_NS10device_ptrIlEEjNS0_19identity_decomposerEEE10hipError_tT1_T2_PT3_SG_jT4_jjP12ihipStream_tbEUlT_E0_NS1_11comp_targetILNS1_3genE6ELNS1_11target_archE950ELNS1_3gpuE13ELNS1_3repE0EEENS1_52radix_sort_onesweep_histogram_config_static_selectorELNS0_4arch9wavefront6targetE1EEEvSE_,"axG",@progbits,_ZN7rocprim17ROCPRIM_400000_NS6detail17trampoline_kernelINS0_14default_configENS1_35radix_sort_onesweep_config_selectorIdlEEZNS1_34radix_sort_onesweep_global_offsetsIS3_Lb0EPdN6thrust23THRUST_200600_302600_NS10device_ptrIlEEjNS0_19identity_decomposerEEE10hipError_tT1_T2_PT3_SG_jT4_jjP12ihipStream_tbEUlT_E0_NS1_11comp_targetILNS1_3genE6ELNS1_11target_archE950ELNS1_3gpuE13ELNS1_3repE0EEENS1_52radix_sort_onesweep_histogram_config_static_selectorELNS0_4arch9wavefront6targetE1EEEvSE_,comdat
.Lfunc_end1608:
	.size	_ZN7rocprim17ROCPRIM_400000_NS6detail17trampoline_kernelINS0_14default_configENS1_35radix_sort_onesweep_config_selectorIdlEEZNS1_34radix_sort_onesweep_global_offsetsIS3_Lb0EPdN6thrust23THRUST_200600_302600_NS10device_ptrIlEEjNS0_19identity_decomposerEEE10hipError_tT1_T2_PT3_SG_jT4_jjP12ihipStream_tbEUlT_E0_NS1_11comp_targetILNS1_3genE6ELNS1_11target_archE950ELNS1_3gpuE13ELNS1_3repE0EEENS1_52radix_sort_onesweep_histogram_config_static_selectorELNS0_4arch9wavefront6targetE1EEEvSE_, .Lfunc_end1608-_ZN7rocprim17ROCPRIM_400000_NS6detail17trampoline_kernelINS0_14default_configENS1_35radix_sort_onesweep_config_selectorIdlEEZNS1_34radix_sort_onesweep_global_offsetsIS3_Lb0EPdN6thrust23THRUST_200600_302600_NS10device_ptrIlEEjNS0_19identity_decomposerEEE10hipError_tT1_T2_PT3_SG_jT4_jjP12ihipStream_tbEUlT_E0_NS1_11comp_targetILNS1_3genE6ELNS1_11target_archE950ELNS1_3gpuE13ELNS1_3repE0EEENS1_52radix_sort_onesweep_histogram_config_static_selectorELNS0_4arch9wavefront6targetE1EEEvSE_
                                        ; -- End function
	.section	.AMDGPU.csdata,"",@progbits
; Kernel info:
; codeLenInByte = 0
; NumSgprs: 4
; NumVgprs: 0
; NumAgprs: 0
; TotalNumVgprs: 0
; ScratchSize: 0
; MemoryBound: 0
; FloatMode: 240
; IeeeMode: 1
; LDSByteSize: 0 bytes/workgroup (compile time only)
; SGPRBlocks: 0
; VGPRBlocks: 0
; NumSGPRsForWavesPerEU: 4
; NumVGPRsForWavesPerEU: 1
; AccumOffset: 4
; Occupancy: 8
; WaveLimiterHint : 0
; COMPUTE_PGM_RSRC2:SCRATCH_EN: 0
; COMPUTE_PGM_RSRC2:USER_SGPR: 6
; COMPUTE_PGM_RSRC2:TRAP_HANDLER: 0
; COMPUTE_PGM_RSRC2:TGID_X_EN: 1
; COMPUTE_PGM_RSRC2:TGID_Y_EN: 0
; COMPUTE_PGM_RSRC2:TGID_Z_EN: 0
; COMPUTE_PGM_RSRC2:TIDIG_COMP_CNT: 0
; COMPUTE_PGM_RSRC3_GFX90A:ACCUM_OFFSET: 0
; COMPUTE_PGM_RSRC3_GFX90A:TG_SPLIT: 0
	.section	.text._ZN7rocprim17ROCPRIM_400000_NS6detail17trampoline_kernelINS0_14default_configENS1_35radix_sort_onesweep_config_selectorIdlEEZNS1_34radix_sort_onesweep_global_offsetsIS3_Lb0EPdN6thrust23THRUST_200600_302600_NS10device_ptrIlEEjNS0_19identity_decomposerEEE10hipError_tT1_T2_PT3_SG_jT4_jjP12ihipStream_tbEUlT_E0_NS1_11comp_targetILNS1_3genE5ELNS1_11target_archE942ELNS1_3gpuE9ELNS1_3repE0EEENS1_52radix_sort_onesweep_histogram_config_static_selectorELNS0_4arch9wavefront6targetE1EEEvSE_,"axG",@progbits,_ZN7rocprim17ROCPRIM_400000_NS6detail17trampoline_kernelINS0_14default_configENS1_35radix_sort_onesweep_config_selectorIdlEEZNS1_34radix_sort_onesweep_global_offsetsIS3_Lb0EPdN6thrust23THRUST_200600_302600_NS10device_ptrIlEEjNS0_19identity_decomposerEEE10hipError_tT1_T2_PT3_SG_jT4_jjP12ihipStream_tbEUlT_E0_NS1_11comp_targetILNS1_3genE5ELNS1_11target_archE942ELNS1_3gpuE9ELNS1_3repE0EEENS1_52radix_sort_onesweep_histogram_config_static_selectorELNS0_4arch9wavefront6targetE1EEEvSE_,comdat
	.protected	_ZN7rocprim17ROCPRIM_400000_NS6detail17trampoline_kernelINS0_14default_configENS1_35radix_sort_onesweep_config_selectorIdlEEZNS1_34radix_sort_onesweep_global_offsetsIS3_Lb0EPdN6thrust23THRUST_200600_302600_NS10device_ptrIlEEjNS0_19identity_decomposerEEE10hipError_tT1_T2_PT3_SG_jT4_jjP12ihipStream_tbEUlT_E0_NS1_11comp_targetILNS1_3genE5ELNS1_11target_archE942ELNS1_3gpuE9ELNS1_3repE0EEENS1_52radix_sort_onesweep_histogram_config_static_selectorELNS0_4arch9wavefront6targetE1EEEvSE_ ; -- Begin function _ZN7rocprim17ROCPRIM_400000_NS6detail17trampoline_kernelINS0_14default_configENS1_35radix_sort_onesweep_config_selectorIdlEEZNS1_34radix_sort_onesweep_global_offsetsIS3_Lb0EPdN6thrust23THRUST_200600_302600_NS10device_ptrIlEEjNS0_19identity_decomposerEEE10hipError_tT1_T2_PT3_SG_jT4_jjP12ihipStream_tbEUlT_E0_NS1_11comp_targetILNS1_3genE5ELNS1_11target_archE942ELNS1_3gpuE9ELNS1_3repE0EEENS1_52radix_sort_onesweep_histogram_config_static_selectorELNS0_4arch9wavefront6targetE1EEEvSE_
	.globl	_ZN7rocprim17ROCPRIM_400000_NS6detail17trampoline_kernelINS0_14default_configENS1_35radix_sort_onesweep_config_selectorIdlEEZNS1_34radix_sort_onesweep_global_offsetsIS3_Lb0EPdN6thrust23THRUST_200600_302600_NS10device_ptrIlEEjNS0_19identity_decomposerEEE10hipError_tT1_T2_PT3_SG_jT4_jjP12ihipStream_tbEUlT_E0_NS1_11comp_targetILNS1_3genE5ELNS1_11target_archE942ELNS1_3gpuE9ELNS1_3repE0EEENS1_52radix_sort_onesweep_histogram_config_static_selectorELNS0_4arch9wavefront6targetE1EEEvSE_
	.p2align	8
	.type	_ZN7rocprim17ROCPRIM_400000_NS6detail17trampoline_kernelINS0_14default_configENS1_35radix_sort_onesweep_config_selectorIdlEEZNS1_34radix_sort_onesweep_global_offsetsIS3_Lb0EPdN6thrust23THRUST_200600_302600_NS10device_ptrIlEEjNS0_19identity_decomposerEEE10hipError_tT1_T2_PT3_SG_jT4_jjP12ihipStream_tbEUlT_E0_NS1_11comp_targetILNS1_3genE5ELNS1_11target_archE942ELNS1_3gpuE9ELNS1_3repE0EEENS1_52radix_sort_onesweep_histogram_config_static_selectorELNS0_4arch9wavefront6targetE1EEEvSE_,@function
_ZN7rocprim17ROCPRIM_400000_NS6detail17trampoline_kernelINS0_14default_configENS1_35radix_sort_onesweep_config_selectorIdlEEZNS1_34radix_sort_onesweep_global_offsetsIS3_Lb0EPdN6thrust23THRUST_200600_302600_NS10device_ptrIlEEjNS0_19identity_decomposerEEE10hipError_tT1_T2_PT3_SG_jT4_jjP12ihipStream_tbEUlT_E0_NS1_11comp_targetILNS1_3genE5ELNS1_11target_archE942ELNS1_3gpuE9ELNS1_3repE0EEENS1_52radix_sort_onesweep_histogram_config_static_selectorELNS0_4arch9wavefront6targetE1EEEvSE_: ; @_ZN7rocprim17ROCPRIM_400000_NS6detail17trampoline_kernelINS0_14default_configENS1_35radix_sort_onesweep_config_selectorIdlEEZNS1_34radix_sort_onesweep_global_offsetsIS3_Lb0EPdN6thrust23THRUST_200600_302600_NS10device_ptrIlEEjNS0_19identity_decomposerEEE10hipError_tT1_T2_PT3_SG_jT4_jjP12ihipStream_tbEUlT_E0_NS1_11comp_targetILNS1_3genE5ELNS1_11target_archE942ELNS1_3gpuE9ELNS1_3repE0EEENS1_52radix_sort_onesweep_histogram_config_static_selectorELNS0_4arch9wavefront6targetE1EEEvSE_
; %bb.0:
	.section	.rodata,"a",@progbits
	.p2align	6, 0x0
	.amdhsa_kernel _ZN7rocprim17ROCPRIM_400000_NS6detail17trampoline_kernelINS0_14default_configENS1_35radix_sort_onesweep_config_selectorIdlEEZNS1_34radix_sort_onesweep_global_offsetsIS3_Lb0EPdN6thrust23THRUST_200600_302600_NS10device_ptrIlEEjNS0_19identity_decomposerEEE10hipError_tT1_T2_PT3_SG_jT4_jjP12ihipStream_tbEUlT_E0_NS1_11comp_targetILNS1_3genE5ELNS1_11target_archE942ELNS1_3gpuE9ELNS1_3repE0EEENS1_52radix_sort_onesweep_histogram_config_static_selectorELNS0_4arch9wavefront6targetE1EEEvSE_
		.amdhsa_group_segment_fixed_size 0
		.amdhsa_private_segment_fixed_size 0
		.amdhsa_kernarg_size 8
		.amdhsa_user_sgpr_count 6
		.amdhsa_user_sgpr_private_segment_buffer 1
		.amdhsa_user_sgpr_dispatch_ptr 0
		.amdhsa_user_sgpr_queue_ptr 0
		.amdhsa_user_sgpr_kernarg_segment_ptr 1
		.amdhsa_user_sgpr_dispatch_id 0
		.amdhsa_user_sgpr_flat_scratch_init 0
		.amdhsa_user_sgpr_kernarg_preload_length 0
		.amdhsa_user_sgpr_kernarg_preload_offset 0
		.amdhsa_user_sgpr_private_segment_size 0
		.amdhsa_uses_dynamic_stack 0
		.amdhsa_system_sgpr_private_segment_wavefront_offset 0
		.amdhsa_system_sgpr_workgroup_id_x 1
		.amdhsa_system_sgpr_workgroup_id_y 0
		.amdhsa_system_sgpr_workgroup_id_z 0
		.amdhsa_system_sgpr_workgroup_info 0
		.amdhsa_system_vgpr_workitem_id 0
		.amdhsa_next_free_vgpr 1
		.amdhsa_next_free_sgpr 0
		.amdhsa_accum_offset 4
		.amdhsa_reserve_vcc 0
		.amdhsa_reserve_flat_scratch 0
		.amdhsa_float_round_mode_32 0
		.amdhsa_float_round_mode_16_64 0
		.amdhsa_float_denorm_mode_32 3
		.amdhsa_float_denorm_mode_16_64 3
		.amdhsa_dx10_clamp 1
		.amdhsa_ieee_mode 1
		.amdhsa_fp16_overflow 0
		.amdhsa_tg_split 0
		.amdhsa_exception_fp_ieee_invalid_op 0
		.amdhsa_exception_fp_denorm_src 0
		.amdhsa_exception_fp_ieee_div_zero 0
		.amdhsa_exception_fp_ieee_overflow 0
		.amdhsa_exception_fp_ieee_underflow 0
		.amdhsa_exception_fp_ieee_inexact 0
		.amdhsa_exception_int_div_zero 0
	.end_amdhsa_kernel
	.section	.text._ZN7rocprim17ROCPRIM_400000_NS6detail17trampoline_kernelINS0_14default_configENS1_35radix_sort_onesweep_config_selectorIdlEEZNS1_34radix_sort_onesweep_global_offsetsIS3_Lb0EPdN6thrust23THRUST_200600_302600_NS10device_ptrIlEEjNS0_19identity_decomposerEEE10hipError_tT1_T2_PT3_SG_jT4_jjP12ihipStream_tbEUlT_E0_NS1_11comp_targetILNS1_3genE5ELNS1_11target_archE942ELNS1_3gpuE9ELNS1_3repE0EEENS1_52radix_sort_onesweep_histogram_config_static_selectorELNS0_4arch9wavefront6targetE1EEEvSE_,"axG",@progbits,_ZN7rocprim17ROCPRIM_400000_NS6detail17trampoline_kernelINS0_14default_configENS1_35radix_sort_onesweep_config_selectorIdlEEZNS1_34radix_sort_onesweep_global_offsetsIS3_Lb0EPdN6thrust23THRUST_200600_302600_NS10device_ptrIlEEjNS0_19identity_decomposerEEE10hipError_tT1_T2_PT3_SG_jT4_jjP12ihipStream_tbEUlT_E0_NS1_11comp_targetILNS1_3genE5ELNS1_11target_archE942ELNS1_3gpuE9ELNS1_3repE0EEENS1_52radix_sort_onesweep_histogram_config_static_selectorELNS0_4arch9wavefront6targetE1EEEvSE_,comdat
.Lfunc_end1609:
	.size	_ZN7rocprim17ROCPRIM_400000_NS6detail17trampoline_kernelINS0_14default_configENS1_35radix_sort_onesweep_config_selectorIdlEEZNS1_34radix_sort_onesweep_global_offsetsIS3_Lb0EPdN6thrust23THRUST_200600_302600_NS10device_ptrIlEEjNS0_19identity_decomposerEEE10hipError_tT1_T2_PT3_SG_jT4_jjP12ihipStream_tbEUlT_E0_NS1_11comp_targetILNS1_3genE5ELNS1_11target_archE942ELNS1_3gpuE9ELNS1_3repE0EEENS1_52radix_sort_onesweep_histogram_config_static_selectorELNS0_4arch9wavefront6targetE1EEEvSE_, .Lfunc_end1609-_ZN7rocprim17ROCPRIM_400000_NS6detail17trampoline_kernelINS0_14default_configENS1_35radix_sort_onesweep_config_selectorIdlEEZNS1_34radix_sort_onesweep_global_offsetsIS3_Lb0EPdN6thrust23THRUST_200600_302600_NS10device_ptrIlEEjNS0_19identity_decomposerEEE10hipError_tT1_T2_PT3_SG_jT4_jjP12ihipStream_tbEUlT_E0_NS1_11comp_targetILNS1_3genE5ELNS1_11target_archE942ELNS1_3gpuE9ELNS1_3repE0EEENS1_52radix_sort_onesweep_histogram_config_static_selectorELNS0_4arch9wavefront6targetE1EEEvSE_
                                        ; -- End function
	.section	.AMDGPU.csdata,"",@progbits
; Kernel info:
; codeLenInByte = 0
; NumSgprs: 4
; NumVgprs: 0
; NumAgprs: 0
; TotalNumVgprs: 0
; ScratchSize: 0
; MemoryBound: 0
; FloatMode: 240
; IeeeMode: 1
; LDSByteSize: 0 bytes/workgroup (compile time only)
; SGPRBlocks: 0
; VGPRBlocks: 0
; NumSGPRsForWavesPerEU: 4
; NumVGPRsForWavesPerEU: 1
; AccumOffset: 4
; Occupancy: 8
; WaveLimiterHint : 0
; COMPUTE_PGM_RSRC2:SCRATCH_EN: 0
; COMPUTE_PGM_RSRC2:USER_SGPR: 6
; COMPUTE_PGM_RSRC2:TRAP_HANDLER: 0
; COMPUTE_PGM_RSRC2:TGID_X_EN: 1
; COMPUTE_PGM_RSRC2:TGID_Y_EN: 0
; COMPUTE_PGM_RSRC2:TGID_Z_EN: 0
; COMPUTE_PGM_RSRC2:TIDIG_COMP_CNT: 0
; COMPUTE_PGM_RSRC3_GFX90A:ACCUM_OFFSET: 0
; COMPUTE_PGM_RSRC3_GFX90A:TG_SPLIT: 0
	.section	.text._ZN7rocprim17ROCPRIM_400000_NS6detail17trampoline_kernelINS0_14default_configENS1_35radix_sort_onesweep_config_selectorIdlEEZNS1_34radix_sort_onesweep_global_offsetsIS3_Lb0EPdN6thrust23THRUST_200600_302600_NS10device_ptrIlEEjNS0_19identity_decomposerEEE10hipError_tT1_T2_PT3_SG_jT4_jjP12ihipStream_tbEUlT_E0_NS1_11comp_targetILNS1_3genE2ELNS1_11target_archE906ELNS1_3gpuE6ELNS1_3repE0EEENS1_52radix_sort_onesweep_histogram_config_static_selectorELNS0_4arch9wavefront6targetE1EEEvSE_,"axG",@progbits,_ZN7rocprim17ROCPRIM_400000_NS6detail17trampoline_kernelINS0_14default_configENS1_35radix_sort_onesweep_config_selectorIdlEEZNS1_34radix_sort_onesweep_global_offsetsIS3_Lb0EPdN6thrust23THRUST_200600_302600_NS10device_ptrIlEEjNS0_19identity_decomposerEEE10hipError_tT1_T2_PT3_SG_jT4_jjP12ihipStream_tbEUlT_E0_NS1_11comp_targetILNS1_3genE2ELNS1_11target_archE906ELNS1_3gpuE6ELNS1_3repE0EEENS1_52radix_sort_onesweep_histogram_config_static_selectorELNS0_4arch9wavefront6targetE1EEEvSE_,comdat
	.protected	_ZN7rocprim17ROCPRIM_400000_NS6detail17trampoline_kernelINS0_14default_configENS1_35radix_sort_onesweep_config_selectorIdlEEZNS1_34radix_sort_onesweep_global_offsetsIS3_Lb0EPdN6thrust23THRUST_200600_302600_NS10device_ptrIlEEjNS0_19identity_decomposerEEE10hipError_tT1_T2_PT3_SG_jT4_jjP12ihipStream_tbEUlT_E0_NS1_11comp_targetILNS1_3genE2ELNS1_11target_archE906ELNS1_3gpuE6ELNS1_3repE0EEENS1_52radix_sort_onesweep_histogram_config_static_selectorELNS0_4arch9wavefront6targetE1EEEvSE_ ; -- Begin function _ZN7rocprim17ROCPRIM_400000_NS6detail17trampoline_kernelINS0_14default_configENS1_35radix_sort_onesweep_config_selectorIdlEEZNS1_34radix_sort_onesweep_global_offsetsIS3_Lb0EPdN6thrust23THRUST_200600_302600_NS10device_ptrIlEEjNS0_19identity_decomposerEEE10hipError_tT1_T2_PT3_SG_jT4_jjP12ihipStream_tbEUlT_E0_NS1_11comp_targetILNS1_3genE2ELNS1_11target_archE906ELNS1_3gpuE6ELNS1_3repE0EEENS1_52radix_sort_onesweep_histogram_config_static_selectorELNS0_4arch9wavefront6targetE1EEEvSE_
	.globl	_ZN7rocprim17ROCPRIM_400000_NS6detail17trampoline_kernelINS0_14default_configENS1_35radix_sort_onesweep_config_selectorIdlEEZNS1_34radix_sort_onesweep_global_offsetsIS3_Lb0EPdN6thrust23THRUST_200600_302600_NS10device_ptrIlEEjNS0_19identity_decomposerEEE10hipError_tT1_T2_PT3_SG_jT4_jjP12ihipStream_tbEUlT_E0_NS1_11comp_targetILNS1_3genE2ELNS1_11target_archE906ELNS1_3gpuE6ELNS1_3repE0EEENS1_52radix_sort_onesweep_histogram_config_static_selectorELNS0_4arch9wavefront6targetE1EEEvSE_
	.p2align	8
	.type	_ZN7rocprim17ROCPRIM_400000_NS6detail17trampoline_kernelINS0_14default_configENS1_35radix_sort_onesweep_config_selectorIdlEEZNS1_34radix_sort_onesweep_global_offsetsIS3_Lb0EPdN6thrust23THRUST_200600_302600_NS10device_ptrIlEEjNS0_19identity_decomposerEEE10hipError_tT1_T2_PT3_SG_jT4_jjP12ihipStream_tbEUlT_E0_NS1_11comp_targetILNS1_3genE2ELNS1_11target_archE906ELNS1_3gpuE6ELNS1_3repE0EEENS1_52radix_sort_onesweep_histogram_config_static_selectorELNS0_4arch9wavefront6targetE1EEEvSE_,@function
_ZN7rocprim17ROCPRIM_400000_NS6detail17trampoline_kernelINS0_14default_configENS1_35radix_sort_onesweep_config_selectorIdlEEZNS1_34radix_sort_onesweep_global_offsetsIS3_Lb0EPdN6thrust23THRUST_200600_302600_NS10device_ptrIlEEjNS0_19identity_decomposerEEE10hipError_tT1_T2_PT3_SG_jT4_jjP12ihipStream_tbEUlT_E0_NS1_11comp_targetILNS1_3genE2ELNS1_11target_archE906ELNS1_3gpuE6ELNS1_3repE0EEENS1_52radix_sort_onesweep_histogram_config_static_selectorELNS0_4arch9wavefront6targetE1EEEvSE_: ; @_ZN7rocprim17ROCPRIM_400000_NS6detail17trampoline_kernelINS0_14default_configENS1_35radix_sort_onesweep_config_selectorIdlEEZNS1_34radix_sort_onesweep_global_offsetsIS3_Lb0EPdN6thrust23THRUST_200600_302600_NS10device_ptrIlEEjNS0_19identity_decomposerEEE10hipError_tT1_T2_PT3_SG_jT4_jjP12ihipStream_tbEUlT_E0_NS1_11comp_targetILNS1_3genE2ELNS1_11target_archE906ELNS1_3gpuE6ELNS1_3repE0EEENS1_52radix_sort_onesweep_histogram_config_static_selectorELNS0_4arch9wavefront6targetE1EEEvSE_
; %bb.0:
	.section	.rodata,"a",@progbits
	.p2align	6, 0x0
	.amdhsa_kernel _ZN7rocprim17ROCPRIM_400000_NS6detail17trampoline_kernelINS0_14default_configENS1_35radix_sort_onesweep_config_selectorIdlEEZNS1_34radix_sort_onesweep_global_offsetsIS3_Lb0EPdN6thrust23THRUST_200600_302600_NS10device_ptrIlEEjNS0_19identity_decomposerEEE10hipError_tT1_T2_PT3_SG_jT4_jjP12ihipStream_tbEUlT_E0_NS1_11comp_targetILNS1_3genE2ELNS1_11target_archE906ELNS1_3gpuE6ELNS1_3repE0EEENS1_52radix_sort_onesweep_histogram_config_static_selectorELNS0_4arch9wavefront6targetE1EEEvSE_
		.amdhsa_group_segment_fixed_size 0
		.amdhsa_private_segment_fixed_size 0
		.amdhsa_kernarg_size 8
		.amdhsa_user_sgpr_count 6
		.amdhsa_user_sgpr_private_segment_buffer 1
		.amdhsa_user_sgpr_dispatch_ptr 0
		.amdhsa_user_sgpr_queue_ptr 0
		.amdhsa_user_sgpr_kernarg_segment_ptr 1
		.amdhsa_user_sgpr_dispatch_id 0
		.amdhsa_user_sgpr_flat_scratch_init 0
		.amdhsa_user_sgpr_kernarg_preload_length 0
		.amdhsa_user_sgpr_kernarg_preload_offset 0
		.amdhsa_user_sgpr_private_segment_size 0
		.amdhsa_uses_dynamic_stack 0
		.amdhsa_system_sgpr_private_segment_wavefront_offset 0
		.amdhsa_system_sgpr_workgroup_id_x 1
		.amdhsa_system_sgpr_workgroup_id_y 0
		.amdhsa_system_sgpr_workgroup_id_z 0
		.amdhsa_system_sgpr_workgroup_info 0
		.amdhsa_system_vgpr_workitem_id 0
		.amdhsa_next_free_vgpr 1
		.amdhsa_next_free_sgpr 0
		.amdhsa_accum_offset 4
		.amdhsa_reserve_vcc 0
		.amdhsa_reserve_flat_scratch 0
		.amdhsa_float_round_mode_32 0
		.amdhsa_float_round_mode_16_64 0
		.amdhsa_float_denorm_mode_32 3
		.amdhsa_float_denorm_mode_16_64 3
		.amdhsa_dx10_clamp 1
		.amdhsa_ieee_mode 1
		.amdhsa_fp16_overflow 0
		.amdhsa_tg_split 0
		.amdhsa_exception_fp_ieee_invalid_op 0
		.amdhsa_exception_fp_denorm_src 0
		.amdhsa_exception_fp_ieee_div_zero 0
		.amdhsa_exception_fp_ieee_overflow 0
		.amdhsa_exception_fp_ieee_underflow 0
		.amdhsa_exception_fp_ieee_inexact 0
		.amdhsa_exception_int_div_zero 0
	.end_amdhsa_kernel
	.section	.text._ZN7rocprim17ROCPRIM_400000_NS6detail17trampoline_kernelINS0_14default_configENS1_35radix_sort_onesweep_config_selectorIdlEEZNS1_34radix_sort_onesweep_global_offsetsIS3_Lb0EPdN6thrust23THRUST_200600_302600_NS10device_ptrIlEEjNS0_19identity_decomposerEEE10hipError_tT1_T2_PT3_SG_jT4_jjP12ihipStream_tbEUlT_E0_NS1_11comp_targetILNS1_3genE2ELNS1_11target_archE906ELNS1_3gpuE6ELNS1_3repE0EEENS1_52radix_sort_onesweep_histogram_config_static_selectorELNS0_4arch9wavefront6targetE1EEEvSE_,"axG",@progbits,_ZN7rocprim17ROCPRIM_400000_NS6detail17trampoline_kernelINS0_14default_configENS1_35radix_sort_onesweep_config_selectorIdlEEZNS1_34radix_sort_onesweep_global_offsetsIS3_Lb0EPdN6thrust23THRUST_200600_302600_NS10device_ptrIlEEjNS0_19identity_decomposerEEE10hipError_tT1_T2_PT3_SG_jT4_jjP12ihipStream_tbEUlT_E0_NS1_11comp_targetILNS1_3genE2ELNS1_11target_archE906ELNS1_3gpuE6ELNS1_3repE0EEENS1_52radix_sort_onesweep_histogram_config_static_selectorELNS0_4arch9wavefront6targetE1EEEvSE_,comdat
.Lfunc_end1610:
	.size	_ZN7rocprim17ROCPRIM_400000_NS6detail17trampoline_kernelINS0_14default_configENS1_35radix_sort_onesweep_config_selectorIdlEEZNS1_34radix_sort_onesweep_global_offsetsIS3_Lb0EPdN6thrust23THRUST_200600_302600_NS10device_ptrIlEEjNS0_19identity_decomposerEEE10hipError_tT1_T2_PT3_SG_jT4_jjP12ihipStream_tbEUlT_E0_NS1_11comp_targetILNS1_3genE2ELNS1_11target_archE906ELNS1_3gpuE6ELNS1_3repE0EEENS1_52radix_sort_onesweep_histogram_config_static_selectorELNS0_4arch9wavefront6targetE1EEEvSE_, .Lfunc_end1610-_ZN7rocprim17ROCPRIM_400000_NS6detail17trampoline_kernelINS0_14default_configENS1_35radix_sort_onesweep_config_selectorIdlEEZNS1_34radix_sort_onesweep_global_offsetsIS3_Lb0EPdN6thrust23THRUST_200600_302600_NS10device_ptrIlEEjNS0_19identity_decomposerEEE10hipError_tT1_T2_PT3_SG_jT4_jjP12ihipStream_tbEUlT_E0_NS1_11comp_targetILNS1_3genE2ELNS1_11target_archE906ELNS1_3gpuE6ELNS1_3repE0EEENS1_52radix_sort_onesweep_histogram_config_static_selectorELNS0_4arch9wavefront6targetE1EEEvSE_
                                        ; -- End function
	.section	.AMDGPU.csdata,"",@progbits
; Kernel info:
; codeLenInByte = 0
; NumSgprs: 4
; NumVgprs: 0
; NumAgprs: 0
; TotalNumVgprs: 0
; ScratchSize: 0
; MemoryBound: 0
; FloatMode: 240
; IeeeMode: 1
; LDSByteSize: 0 bytes/workgroup (compile time only)
; SGPRBlocks: 0
; VGPRBlocks: 0
; NumSGPRsForWavesPerEU: 4
; NumVGPRsForWavesPerEU: 1
; AccumOffset: 4
; Occupancy: 8
; WaveLimiterHint : 0
; COMPUTE_PGM_RSRC2:SCRATCH_EN: 0
; COMPUTE_PGM_RSRC2:USER_SGPR: 6
; COMPUTE_PGM_RSRC2:TRAP_HANDLER: 0
; COMPUTE_PGM_RSRC2:TGID_X_EN: 1
; COMPUTE_PGM_RSRC2:TGID_Y_EN: 0
; COMPUTE_PGM_RSRC2:TGID_Z_EN: 0
; COMPUTE_PGM_RSRC2:TIDIG_COMP_CNT: 0
; COMPUTE_PGM_RSRC3_GFX90A:ACCUM_OFFSET: 0
; COMPUTE_PGM_RSRC3_GFX90A:TG_SPLIT: 0
	.section	.text._ZN7rocprim17ROCPRIM_400000_NS6detail17trampoline_kernelINS0_14default_configENS1_35radix_sort_onesweep_config_selectorIdlEEZNS1_34radix_sort_onesweep_global_offsetsIS3_Lb0EPdN6thrust23THRUST_200600_302600_NS10device_ptrIlEEjNS0_19identity_decomposerEEE10hipError_tT1_T2_PT3_SG_jT4_jjP12ihipStream_tbEUlT_E0_NS1_11comp_targetILNS1_3genE4ELNS1_11target_archE910ELNS1_3gpuE8ELNS1_3repE0EEENS1_52radix_sort_onesweep_histogram_config_static_selectorELNS0_4arch9wavefront6targetE1EEEvSE_,"axG",@progbits,_ZN7rocprim17ROCPRIM_400000_NS6detail17trampoline_kernelINS0_14default_configENS1_35radix_sort_onesweep_config_selectorIdlEEZNS1_34radix_sort_onesweep_global_offsetsIS3_Lb0EPdN6thrust23THRUST_200600_302600_NS10device_ptrIlEEjNS0_19identity_decomposerEEE10hipError_tT1_T2_PT3_SG_jT4_jjP12ihipStream_tbEUlT_E0_NS1_11comp_targetILNS1_3genE4ELNS1_11target_archE910ELNS1_3gpuE8ELNS1_3repE0EEENS1_52radix_sort_onesweep_histogram_config_static_selectorELNS0_4arch9wavefront6targetE1EEEvSE_,comdat
	.protected	_ZN7rocprim17ROCPRIM_400000_NS6detail17trampoline_kernelINS0_14default_configENS1_35radix_sort_onesweep_config_selectorIdlEEZNS1_34radix_sort_onesweep_global_offsetsIS3_Lb0EPdN6thrust23THRUST_200600_302600_NS10device_ptrIlEEjNS0_19identity_decomposerEEE10hipError_tT1_T2_PT3_SG_jT4_jjP12ihipStream_tbEUlT_E0_NS1_11comp_targetILNS1_3genE4ELNS1_11target_archE910ELNS1_3gpuE8ELNS1_3repE0EEENS1_52radix_sort_onesweep_histogram_config_static_selectorELNS0_4arch9wavefront6targetE1EEEvSE_ ; -- Begin function _ZN7rocprim17ROCPRIM_400000_NS6detail17trampoline_kernelINS0_14default_configENS1_35radix_sort_onesweep_config_selectorIdlEEZNS1_34radix_sort_onesweep_global_offsetsIS3_Lb0EPdN6thrust23THRUST_200600_302600_NS10device_ptrIlEEjNS0_19identity_decomposerEEE10hipError_tT1_T2_PT3_SG_jT4_jjP12ihipStream_tbEUlT_E0_NS1_11comp_targetILNS1_3genE4ELNS1_11target_archE910ELNS1_3gpuE8ELNS1_3repE0EEENS1_52radix_sort_onesweep_histogram_config_static_selectorELNS0_4arch9wavefront6targetE1EEEvSE_
	.globl	_ZN7rocprim17ROCPRIM_400000_NS6detail17trampoline_kernelINS0_14default_configENS1_35radix_sort_onesweep_config_selectorIdlEEZNS1_34radix_sort_onesweep_global_offsetsIS3_Lb0EPdN6thrust23THRUST_200600_302600_NS10device_ptrIlEEjNS0_19identity_decomposerEEE10hipError_tT1_T2_PT3_SG_jT4_jjP12ihipStream_tbEUlT_E0_NS1_11comp_targetILNS1_3genE4ELNS1_11target_archE910ELNS1_3gpuE8ELNS1_3repE0EEENS1_52radix_sort_onesweep_histogram_config_static_selectorELNS0_4arch9wavefront6targetE1EEEvSE_
	.p2align	8
	.type	_ZN7rocprim17ROCPRIM_400000_NS6detail17trampoline_kernelINS0_14default_configENS1_35radix_sort_onesweep_config_selectorIdlEEZNS1_34radix_sort_onesweep_global_offsetsIS3_Lb0EPdN6thrust23THRUST_200600_302600_NS10device_ptrIlEEjNS0_19identity_decomposerEEE10hipError_tT1_T2_PT3_SG_jT4_jjP12ihipStream_tbEUlT_E0_NS1_11comp_targetILNS1_3genE4ELNS1_11target_archE910ELNS1_3gpuE8ELNS1_3repE0EEENS1_52radix_sort_onesweep_histogram_config_static_selectorELNS0_4arch9wavefront6targetE1EEEvSE_,@function
_ZN7rocprim17ROCPRIM_400000_NS6detail17trampoline_kernelINS0_14default_configENS1_35radix_sort_onesweep_config_selectorIdlEEZNS1_34radix_sort_onesweep_global_offsetsIS3_Lb0EPdN6thrust23THRUST_200600_302600_NS10device_ptrIlEEjNS0_19identity_decomposerEEE10hipError_tT1_T2_PT3_SG_jT4_jjP12ihipStream_tbEUlT_E0_NS1_11comp_targetILNS1_3genE4ELNS1_11target_archE910ELNS1_3gpuE8ELNS1_3repE0EEENS1_52radix_sort_onesweep_histogram_config_static_selectorELNS0_4arch9wavefront6targetE1EEEvSE_: ; @_ZN7rocprim17ROCPRIM_400000_NS6detail17trampoline_kernelINS0_14default_configENS1_35radix_sort_onesweep_config_selectorIdlEEZNS1_34radix_sort_onesweep_global_offsetsIS3_Lb0EPdN6thrust23THRUST_200600_302600_NS10device_ptrIlEEjNS0_19identity_decomposerEEE10hipError_tT1_T2_PT3_SG_jT4_jjP12ihipStream_tbEUlT_E0_NS1_11comp_targetILNS1_3genE4ELNS1_11target_archE910ELNS1_3gpuE8ELNS1_3repE0EEENS1_52radix_sort_onesweep_histogram_config_static_selectorELNS0_4arch9wavefront6targetE1EEEvSE_
; %bb.0:
	s_load_dwordx2 s[0:1], s[4:5], 0x0
	s_lshl_b32 s2, s6, 8
	s_mov_b32 s3, 0
	s_lshl_b64 s[2:3], s[2:3], 2
	v_lshlrev_b32_e32 v1, 2, v0
	s_waitcnt lgkmcnt(0)
	s_add_u32 s10, s0, s2
	s_movk_i32 s0, 0x100
	s_addc_u32 s11, s1, s3
	v_cmp_gt_u32_e32 vcc, s0, v0
                                        ; implicit-def: $vgpr3
	s_and_saveexec_b64 s[0:1], vcc
	s_cbranch_execz .LBB1611_2
; %bb.1:
	global_load_dword v3, v1, s[10:11]
.LBB1611_2:
	s_or_b64 exec, exec, s[0:1]
	v_mbcnt_lo_u32_b32 v2, -1, 0
	v_mbcnt_hi_u32_b32 v2, -1, v2
	v_and_b32_e32 v4, 15, v2
	s_waitcnt vmcnt(0)
	v_mov_b32_dpp v5, v3 row_shr:1 row_mask:0xf bank_mask:0xf
	v_cmp_eq_u32_e64 s[0:1], 0, v4
	v_cndmask_b32_e64 v5, v5, 0, s[0:1]
	v_add_u32_e32 v3, v5, v3
	v_cmp_lt_u32_e64 s[2:3], 1, v4
	v_cmp_lt_u32_e64 s[4:5], 3, v4
	v_mov_b32_dpp v5, v3 row_shr:2 row_mask:0xf bank_mask:0xf
	v_cndmask_b32_e64 v5, 0, v5, s[2:3]
	v_add_u32_e32 v3, v3, v5
	v_cmp_lt_u32_e64 s[6:7], 7, v4
	v_cmp_lt_u32_e64 s[8:9], 31, v2
	v_mov_b32_dpp v5, v3 row_shr:4 row_mask:0xf bank_mask:0xf
	v_cndmask_b32_e64 v5, 0, v5, s[4:5]
	v_add_u32_e32 v3, v3, v5
	s_nop 1
	v_mov_b32_dpp v5, v3 row_shr:8 row_mask:0xf bank_mask:0xf
	v_cndmask_b32_e64 v4, 0, v5, s[6:7]
	v_add_u32_e32 v3, v3, v4
	v_bfe_i32 v5, v2, 4, 1
	s_nop 0
	v_mov_b32_dpp v4, v3 row_bcast:15 row_mask:0xf bank_mask:0xf
	v_and_b32_e32 v4, v5, v4
	v_add_u32_e32 v3, v3, v4
	v_and_b32_e32 v5, 63, v0
	s_nop 0
	v_mov_b32_dpp v4, v3 row_bcast:31 row_mask:0xf bank_mask:0xf
	v_cndmask_b32_e64 v4, 0, v4, s[8:9]
	v_add_u32_e32 v3, v3, v4
	v_lshrrev_b32_e32 v4, 6, v0
	v_cmp_eq_u32_e64 s[8:9], 63, v5
	s_and_saveexec_b64 s[12:13], s[8:9]
	s_cbranch_execz .LBB1611_4
; %bb.3:
	v_lshlrev_b32_e32 v5, 2, v4
	ds_write_b32 v5, v3
.LBB1611_4:
	s_or_b64 exec, exec, s[12:13]
	v_cmp_gt_u32_e64 s[8:9], 16, v0
	s_waitcnt lgkmcnt(0)
	s_barrier
	s_and_saveexec_b64 s[12:13], s[8:9]
	s_cbranch_execz .LBB1611_6
; %bb.5:
	ds_read_b32 v5, v1
	s_waitcnt lgkmcnt(0)
	s_nop 0
	v_mov_b32_dpp v6, v5 row_shr:1 row_mask:0xf bank_mask:0xf
	v_cndmask_b32_e64 v6, v6, 0, s[0:1]
	v_add_u32_e32 v5, v6, v5
	s_nop 1
	v_mov_b32_dpp v6, v5 row_shr:2 row_mask:0xf bank_mask:0xf
	v_cndmask_b32_e64 v6, 0, v6, s[2:3]
	v_add_u32_e32 v5, v5, v6
	;; [unrolled: 4-line block ×4, first 2 shown]
	ds_write_b32 v1, v5
.LBB1611_6:
	s_or_b64 exec, exec, s[12:13]
	v_cmp_lt_u32_e64 s[0:1], 63, v0
	v_mov_b32_e32 v0, 0
	s_waitcnt lgkmcnt(0)
	s_barrier
	s_and_saveexec_b64 s[2:3], s[0:1]
	s_cbranch_execz .LBB1611_8
; %bb.7:
	v_lshl_add_u32 v0, v4, 2, -4
	ds_read_b32 v0, v0
.LBB1611_8:
	s_or_b64 exec, exec, s[2:3]
	v_add_u32_e32 v4, -1, v2
	v_and_b32_e32 v5, 64, v2
	v_cmp_lt_i32_e64 s[0:1], v4, v5
	v_cndmask_b32_e64 v4, v4, v2, s[0:1]
	s_waitcnt lgkmcnt(0)
	v_add_u32_e32 v3, v0, v3
	v_lshlrev_b32_e32 v4, 2, v4
	ds_bpermute_b32 v3, v4, v3
	s_and_saveexec_b64 s[0:1], vcc
	s_cbranch_execz .LBB1611_10
; %bb.9:
	v_cmp_eq_u32_e32 vcc, 0, v2
	s_waitcnt lgkmcnt(0)
	v_cndmask_b32_e32 v0, v3, v0, vcc
	global_store_dword v1, v0, s[10:11]
.LBB1611_10:
	s_endpgm
	.section	.rodata,"a",@progbits
	.p2align	6, 0x0
	.amdhsa_kernel _ZN7rocprim17ROCPRIM_400000_NS6detail17trampoline_kernelINS0_14default_configENS1_35radix_sort_onesweep_config_selectorIdlEEZNS1_34radix_sort_onesweep_global_offsetsIS3_Lb0EPdN6thrust23THRUST_200600_302600_NS10device_ptrIlEEjNS0_19identity_decomposerEEE10hipError_tT1_T2_PT3_SG_jT4_jjP12ihipStream_tbEUlT_E0_NS1_11comp_targetILNS1_3genE4ELNS1_11target_archE910ELNS1_3gpuE8ELNS1_3repE0EEENS1_52radix_sort_onesweep_histogram_config_static_selectorELNS0_4arch9wavefront6targetE1EEEvSE_
		.amdhsa_group_segment_fixed_size 64
		.amdhsa_private_segment_fixed_size 0
		.amdhsa_kernarg_size 8
		.amdhsa_user_sgpr_count 6
		.amdhsa_user_sgpr_private_segment_buffer 1
		.amdhsa_user_sgpr_dispatch_ptr 0
		.amdhsa_user_sgpr_queue_ptr 0
		.amdhsa_user_sgpr_kernarg_segment_ptr 1
		.amdhsa_user_sgpr_dispatch_id 0
		.amdhsa_user_sgpr_flat_scratch_init 0
		.amdhsa_user_sgpr_kernarg_preload_length 0
		.amdhsa_user_sgpr_kernarg_preload_offset 0
		.amdhsa_user_sgpr_private_segment_size 0
		.amdhsa_uses_dynamic_stack 0
		.amdhsa_system_sgpr_private_segment_wavefront_offset 0
		.amdhsa_system_sgpr_workgroup_id_x 1
		.amdhsa_system_sgpr_workgroup_id_y 0
		.amdhsa_system_sgpr_workgroup_id_z 0
		.amdhsa_system_sgpr_workgroup_info 0
		.amdhsa_system_vgpr_workitem_id 0
		.amdhsa_next_free_vgpr 7
		.amdhsa_next_free_sgpr 14
		.amdhsa_accum_offset 8
		.amdhsa_reserve_vcc 1
		.amdhsa_reserve_flat_scratch 0
		.amdhsa_float_round_mode_32 0
		.amdhsa_float_round_mode_16_64 0
		.amdhsa_float_denorm_mode_32 3
		.amdhsa_float_denorm_mode_16_64 3
		.amdhsa_dx10_clamp 1
		.amdhsa_ieee_mode 1
		.amdhsa_fp16_overflow 0
		.amdhsa_tg_split 0
		.amdhsa_exception_fp_ieee_invalid_op 0
		.amdhsa_exception_fp_denorm_src 0
		.amdhsa_exception_fp_ieee_div_zero 0
		.amdhsa_exception_fp_ieee_overflow 0
		.amdhsa_exception_fp_ieee_underflow 0
		.amdhsa_exception_fp_ieee_inexact 0
		.amdhsa_exception_int_div_zero 0
	.end_amdhsa_kernel
	.section	.text._ZN7rocprim17ROCPRIM_400000_NS6detail17trampoline_kernelINS0_14default_configENS1_35radix_sort_onesweep_config_selectorIdlEEZNS1_34radix_sort_onesweep_global_offsetsIS3_Lb0EPdN6thrust23THRUST_200600_302600_NS10device_ptrIlEEjNS0_19identity_decomposerEEE10hipError_tT1_T2_PT3_SG_jT4_jjP12ihipStream_tbEUlT_E0_NS1_11comp_targetILNS1_3genE4ELNS1_11target_archE910ELNS1_3gpuE8ELNS1_3repE0EEENS1_52radix_sort_onesweep_histogram_config_static_selectorELNS0_4arch9wavefront6targetE1EEEvSE_,"axG",@progbits,_ZN7rocprim17ROCPRIM_400000_NS6detail17trampoline_kernelINS0_14default_configENS1_35radix_sort_onesweep_config_selectorIdlEEZNS1_34radix_sort_onesweep_global_offsetsIS3_Lb0EPdN6thrust23THRUST_200600_302600_NS10device_ptrIlEEjNS0_19identity_decomposerEEE10hipError_tT1_T2_PT3_SG_jT4_jjP12ihipStream_tbEUlT_E0_NS1_11comp_targetILNS1_3genE4ELNS1_11target_archE910ELNS1_3gpuE8ELNS1_3repE0EEENS1_52radix_sort_onesweep_histogram_config_static_selectorELNS0_4arch9wavefront6targetE1EEEvSE_,comdat
.Lfunc_end1611:
	.size	_ZN7rocprim17ROCPRIM_400000_NS6detail17trampoline_kernelINS0_14default_configENS1_35radix_sort_onesweep_config_selectorIdlEEZNS1_34radix_sort_onesweep_global_offsetsIS3_Lb0EPdN6thrust23THRUST_200600_302600_NS10device_ptrIlEEjNS0_19identity_decomposerEEE10hipError_tT1_T2_PT3_SG_jT4_jjP12ihipStream_tbEUlT_E0_NS1_11comp_targetILNS1_3genE4ELNS1_11target_archE910ELNS1_3gpuE8ELNS1_3repE0EEENS1_52radix_sort_onesweep_histogram_config_static_selectorELNS0_4arch9wavefront6targetE1EEEvSE_, .Lfunc_end1611-_ZN7rocprim17ROCPRIM_400000_NS6detail17trampoline_kernelINS0_14default_configENS1_35radix_sort_onesweep_config_selectorIdlEEZNS1_34radix_sort_onesweep_global_offsetsIS3_Lb0EPdN6thrust23THRUST_200600_302600_NS10device_ptrIlEEjNS0_19identity_decomposerEEE10hipError_tT1_T2_PT3_SG_jT4_jjP12ihipStream_tbEUlT_E0_NS1_11comp_targetILNS1_3genE4ELNS1_11target_archE910ELNS1_3gpuE8ELNS1_3repE0EEENS1_52radix_sort_onesweep_histogram_config_static_selectorELNS0_4arch9wavefront6targetE1EEEvSE_
                                        ; -- End function
	.section	.AMDGPU.csdata,"",@progbits
; Kernel info:
; codeLenInByte = 572
; NumSgprs: 18
; NumVgprs: 7
; NumAgprs: 0
; TotalNumVgprs: 7
; ScratchSize: 0
; MemoryBound: 0
; FloatMode: 240
; IeeeMode: 1
; LDSByteSize: 64 bytes/workgroup (compile time only)
; SGPRBlocks: 2
; VGPRBlocks: 0
; NumSGPRsForWavesPerEU: 18
; NumVGPRsForWavesPerEU: 7
; AccumOffset: 8
; Occupancy: 8
; WaveLimiterHint : 0
; COMPUTE_PGM_RSRC2:SCRATCH_EN: 0
; COMPUTE_PGM_RSRC2:USER_SGPR: 6
; COMPUTE_PGM_RSRC2:TRAP_HANDLER: 0
; COMPUTE_PGM_RSRC2:TGID_X_EN: 1
; COMPUTE_PGM_RSRC2:TGID_Y_EN: 0
; COMPUTE_PGM_RSRC2:TGID_Z_EN: 0
; COMPUTE_PGM_RSRC2:TIDIG_COMP_CNT: 0
; COMPUTE_PGM_RSRC3_GFX90A:ACCUM_OFFSET: 1
; COMPUTE_PGM_RSRC3_GFX90A:TG_SPLIT: 0
	.section	.text._ZN7rocprim17ROCPRIM_400000_NS6detail17trampoline_kernelINS0_14default_configENS1_35radix_sort_onesweep_config_selectorIdlEEZNS1_34radix_sort_onesweep_global_offsetsIS3_Lb0EPdN6thrust23THRUST_200600_302600_NS10device_ptrIlEEjNS0_19identity_decomposerEEE10hipError_tT1_T2_PT3_SG_jT4_jjP12ihipStream_tbEUlT_E0_NS1_11comp_targetILNS1_3genE3ELNS1_11target_archE908ELNS1_3gpuE7ELNS1_3repE0EEENS1_52radix_sort_onesweep_histogram_config_static_selectorELNS0_4arch9wavefront6targetE1EEEvSE_,"axG",@progbits,_ZN7rocprim17ROCPRIM_400000_NS6detail17trampoline_kernelINS0_14default_configENS1_35radix_sort_onesweep_config_selectorIdlEEZNS1_34radix_sort_onesweep_global_offsetsIS3_Lb0EPdN6thrust23THRUST_200600_302600_NS10device_ptrIlEEjNS0_19identity_decomposerEEE10hipError_tT1_T2_PT3_SG_jT4_jjP12ihipStream_tbEUlT_E0_NS1_11comp_targetILNS1_3genE3ELNS1_11target_archE908ELNS1_3gpuE7ELNS1_3repE0EEENS1_52radix_sort_onesweep_histogram_config_static_selectorELNS0_4arch9wavefront6targetE1EEEvSE_,comdat
	.protected	_ZN7rocprim17ROCPRIM_400000_NS6detail17trampoline_kernelINS0_14default_configENS1_35radix_sort_onesweep_config_selectorIdlEEZNS1_34radix_sort_onesweep_global_offsetsIS3_Lb0EPdN6thrust23THRUST_200600_302600_NS10device_ptrIlEEjNS0_19identity_decomposerEEE10hipError_tT1_T2_PT3_SG_jT4_jjP12ihipStream_tbEUlT_E0_NS1_11comp_targetILNS1_3genE3ELNS1_11target_archE908ELNS1_3gpuE7ELNS1_3repE0EEENS1_52radix_sort_onesweep_histogram_config_static_selectorELNS0_4arch9wavefront6targetE1EEEvSE_ ; -- Begin function _ZN7rocprim17ROCPRIM_400000_NS6detail17trampoline_kernelINS0_14default_configENS1_35radix_sort_onesweep_config_selectorIdlEEZNS1_34radix_sort_onesweep_global_offsetsIS3_Lb0EPdN6thrust23THRUST_200600_302600_NS10device_ptrIlEEjNS0_19identity_decomposerEEE10hipError_tT1_T2_PT3_SG_jT4_jjP12ihipStream_tbEUlT_E0_NS1_11comp_targetILNS1_3genE3ELNS1_11target_archE908ELNS1_3gpuE7ELNS1_3repE0EEENS1_52radix_sort_onesweep_histogram_config_static_selectorELNS0_4arch9wavefront6targetE1EEEvSE_
	.globl	_ZN7rocprim17ROCPRIM_400000_NS6detail17trampoline_kernelINS0_14default_configENS1_35radix_sort_onesweep_config_selectorIdlEEZNS1_34radix_sort_onesweep_global_offsetsIS3_Lb0EPdN6thrust23THRUST_200600_302600_NS10device_ptrIlEEjNS0_19identity_decomposerEEE10hipError_tT1_T2_PT3_SG_jT4_jjP12ihipStream_tbEUlT_E0_NS1_11comp_targetILNS1_3genE3ELNS1_11target_archE908ELNS1_3gpuE7ELNS1_3repE0EEENS1_52radix_sort_onesweep_histogram_config_static_selectorELNS0_4arch9wavefront6targetE1EEEvSE_
	.p2align	8
	.type	_ZN7rocprim17ROCPRIM_400000_NS6detail17trampoline_kernelINS0_14default_configENS1_35radix_sort_onesweep_config_selectorIdlEEZNS1_34radix_sort_onesweep_global_offsetsIS3_Lb0EPdN6thrust23THRUST_200600_302600_NS10device_ptrIlEEjNS0_19identity_decomposerEEE10hipError_tT1_T2_PT3_SG_jT4_jjP12ihipStream_tbEUlT_E0_NS1_11comp_targetILNS1_3genE3ELNS1_11target_archE908ELNS1_3gpuE7ELNS1_3repE0EEENS1_52radix_sort_onesweep_histogram_config_static_selectorELNS0_4arch9wavefront6targetE1EEEvSE_,@function
_ZN7rocprim17ROCPRIM_400000_NS6detail17trampoline_kernelINS0_14default_configENS1_35radix_sort_onesweep_config_selectorIdlEEZNS1_34radix_sort_onesweep_global_offsetsIS3_Lb0EPdN6thrust23THRUST_200600_302600_NS10device_ptrIlEEjNS0_19identity_decomposerEEE10hipError_tT1_T2_PT3_SG_jT4_jjP12ihipStream_tbEUlT_E0_NS1_11comp_targetILNS1_3genE3ELNS1_11target_archE908ELNS1_3gpuE7ELNS1_3repE0EEENS1_52radix_sort_onesweep_histogram_config_static_selectorELNS0_4arch9wavefront6targetE1EEEvSE_: ; @_ZN7rocprim17ROCPRIM_400000_NS6detail17trampoline_kernelINS0_14default_configENS1_35radix_sort_onesweep_config_selectorIdlEEZNS1_34radix_sort_onesweep_global_offsetsIS3_Lb0EPdN6thrust23THRUST_200600_302600_NS10device_ptrIlEEjNS0_19identity_decomposerEEE10hipError_tT1_T2_PT3_SG_jT4_jjP12ihipStream_tbEUlT_E0_NS1_11comp_targetILNS1_3genE3ELNS1_11target_archE908ELNS1_3gpuE7ELNS1_3repE0EEENS1_52radix_sort_onesweep_histogram_config_static_selectorELNS0_4arch9wavefront6targetE1EEEvSE_
; %bb.0:
	.section	.rodata,"a",@progbits
	.p2align	6, 0x0
	.amdhsa_kernel _ZN7rocprim17ROCPRIM_400000_NS6detail17trampoline_kernelINS0_14default_configENS1_35radix_sort_onesweep_config_selectorIdlEEZNS1_34radix_sort_onesweep_global_offsetsIS3_Lb0EPdN6thrust23THRUST_200600_302600_NS10device_ptrIlEEjNS0_19identity_decomposerEEE10hipError_tT1_T2_PT3_SG_jT4_jjP12ihipStream_tbEUlT_E0_NS1_11comp_targetILNS1_3genE3ELNS1_11target_archE908ELNS1_3gpuE7ELNS1_3repE0EEENS1_52radix_sort_onesweep_histogram_config_static_selectorELNS0_4arch9wavefront6targetE1EEEvSE_
		.amdhsa_group_segment_fixed_size 0
		.amdhsa_private_segment_fixed_size 0
		.amdhsa_kernarg_size 8
		.amdhsa_user_sgpr_count 6
		.amdhsa_user_sgpr_private_segment_buffer 1
		.amdhsa_user_sgpr_dispatch_ptr 0
		.amdhsa_user_sgpr_queue_ptr 0
		.amdhsa_user_sgpr_kernarg_segment_ptr 1
		.amdhsa_user_sgpr_dispatch_id 0
		.amdhsa_user_sgpr_flat_scratch_init 0
		.amdhsa_user_sgpr_kernarg_preload_length 0
		.amdhsa_user_sgpr_kernarg_preload_offset 0
		.amdhsa_user_sgpr_private_segment_size 0
		.amdhsa_uses_dynamic_stack 0
		.amdhsa_system_sgpr_private_segment_wavefront_offset 0
		.amdhsa_system_sgpr_workgroup_id_x 1
		.amdhsa_system_sgpr_workgroup_id_y 0
		.amdhsa_system_sgpr_workgroup_id_z 0
		.amdhsa_system_sgpr_workgroup_info 0
		.amdhsa_system_vgpr_workitem_id 0
		.amdhsa_next_free_vgpr 1
		.amdhsa_next_free_sgpr 0
		.amdhsa_accum_offset 4
		.amdhsa_reserve_vcc 0
		.amdhsa_reserve_flat_scratch 0
		.amdhsa_float_round_mode_32 0
		.amdhsa_float_round_mode_16_64 0
		.amdhsa_float_denorm_mode_32 3
		.amdhsa_float_denorm_mode_16_64 3
		.amdhsa_dx10_clamp 1
		.amdhsa_ieee_mode 1
		.amdhsa_fp16_overflow 0
		.amdhsa_tg_split 0
		.amdhsa_exception_fp_ieee_invalid_op 0
		.amdhsa_exception_fp_denorm_src 0
		.amdhsa_exception_fp_ieee_div_zero 0
		.amdhsa_exception_fp_ieee_overflow 0
		.amdhsa_exception_fp_ieee_underflow 0
		.amdhsa_exception_fp_ieee_inexact 0
		.amdhsa_exception_int_div_zero 0
	.end_amdhsa_kernel
	.section	.text._ZN7rocprim17ROCPRIM_400000_NS6detail17trampoline_kernelINS0_14default_configENS1_35radix_sort_onesweep_config_selectorIdlEEZNS1_34radix_sort_onesweep_global_offsetsIS3_Lb0EPdN6thrust23THRUST_200600_302600_NS10device_ptrIlEEjNS0_19identity_decomposerEEE10hipError_tT1_T2_PT3_SG_jT4_jjP12ihipStream_tbEUlT_E0_NS1_11comp_targetILNS1_3genE3ELNS1_11target_archE908ELNS1_3gpuE7ELNS1_3repE0EEENS1_52radix_sort_onesweep_histogram_config_static_selectorELNS0_4arch9wavefront6targetE1EEEvSE_,"axG",@progbits,_ZN7rocprim17ROCPRIM_400000_NS6detail17trampoline_kernelINS0_14default_configENS1_35radix_sort_onesweep_config_selectorIdlEEZNS1_34radix_sort_onesweep_global_offsetsIS3_Lb0EPdN6thrust23THRUST_200600_302600_NS10device_ptrIlEEjNS0_19identity_decomposerEEE10hipError_tT1_T2_PT3_SG_jT4_jjP12ihipStream_tbEUlT_E0_NS1_11comp_targetILNS1_3genE3ELNS1_11target_archE908ELNS1_3gpuE7ELNS1_3repE0EEENS1_52radix_sort_onesweep_histogram_config_static_selectorELNS0_4arch9wavefront6targetE1EEEvSE_,comdat
.Lfunc_end1612:
	.size	_ZN7rocprim17ROCPRIM_400000_NS6detail17trampoline_kernelINS0_14default_configENS1_35radix_sort_onesweep_config_selectorIdlEEZNS1_34radix_sort_onesweep_global_offsetsIS3_Lb0EPdN6thrust23THRUST_200600_302600_NS10device_ptrIlEEjNS0_19identity_decomposerEEE10hipError_tT1_T2_PT3_SG_jT4_jjP12ihipStream_tbEUlT_E0_NS1_11comp_targetILNS1_3genE3ELNS1_11target_archE908ELNS1_3gpuE7ELNS1_3repE0EEENS1_52radix_sort_onesweep_histogram_config_static_selectorELNS0_4arch9wavefront6targetE1EEEvSE_, .Lfunc_end1612-_ZN7rocprim17ROCPRIM_400000_NS6detail17trampoline_kernelINS0_14default_configENS1_35radix_sort_onesweep_config_selectorIdlEEZNS1_34radix_sort_onesweep_global_offsetsIS3_Lb0EPdN6thrust23THRUST_200600_302600_NS10device_ptrIlEEjNS0_19identity_decomposerEEE10hipError_tT1_T2_PT3_SG_jT4_jjP12ihipStream_tbEUlT_E0_NS1_11comp_targetILNS1_3genE3ELNS1_11target_archE908ELNS1_3gpuE7ELNS1_3repE0EEENS1_52radix_sort_onesweep_histogram_config_static_selectorELNS0_4arch9wavefront6targetE1EEEvSE_
                                        ; -- End function
	.section	.AMDGPU.csdata,"",@progbits
; Kernel info:
; codeLenInByte = 0
; NumSgprs: 4
; NumVgprs: 0
; NumAgprs: 0
; TotalNumVgprs: 0
; ScratchSize: 0
; MemoryBound: 0
; FloatMode: 240
; IeeeMode: 1
; LDSByteSize: 0 bytes/workgroup (compile time only)
; SGPRBlocks: 0
; VGPRBlocks: 0
; NumSGPRsForWavesPerEU: 4
; NumVGPRsForWavesPerEU: 1
; AccumOffset: 4
; Occupancy: 8
; WaveLimiterHint : 0
; COMPUTE_PGM_RSRC2:SCRATCH_EN: 0
; COMPUTE_PGM_RSRC2:USER_SGPR: 6
; COMPUTE_PGM_RSRC2:TRAP_HANDLER: 0
; COMPUTE_PGM_RSRC2:TGID_X_EN: 1
; COMPUTE_PGM_RSRC2:TGID_Y_EN: 0
; COMPUTE_PGM_RSRC2:TGID_Z_EN: 0
; COMPUTE_PGM_RSRC2:TIDIG_COMP_CNT: 0
; COMPUTE_PGM_RSRC3_GFX90A:ACCUM_OFFSET: 0
; COMPUTE_PGM_RSRC3_GFX90A:TG_SPLIT: 0
	.section	.text._ZN7rocprim17ROCPRIM_400000_NS6detail17trampoline_kernelINS0_14default_configENS1_35radix_sort_onesweep_config_selectorIdlEEZNS1_34radix_sort_onesweep_global_offsetsIS3_Lb0EPdN6thrust23THRUST_200600_302600_NS10device_ptrIlEEjNS0_19identity_decomposerEEE10hipError_tT1_T2_PT3_SG_jT4_jjP12ihipStream_tbEUlT_E0_NS1_11comp_targetILNS1_3genE10ELNS1_11target_archE1201ELNS1_3gpuE5ELNS1_3repE0EEENS1_52radix_sort_onesweep_histogram_config_static_selectorELNS0_4arch9wavefront6targetE1EEEvSE_,"axG",@progbits,_ZN7rocprim17ROCPRIM_400000_NS6detail17trampoline_kernelINS0_14default_configENS1_35radix_sort_onesweep_config_selectorIdlEEZNS1_34radix_sort_onesweep_global_offsetsIS3_Lb0EPdN6thrust23THRUST_200600_302600_NS10device_ptrIlEEjNS0_19identity_decomposerEEE10hipError_tT1_T2_PT3_SG_jT4_jjP12ihipStream_tbEUlT_E0_NS1_11comp_targetILNS1_3genE10ELNS1_11target_archE1201ELNS1_3gpuE5ELNS1_3repE0EEENS1_52radix_sort_onesweep_histogram_config_static_selectorELNS0_4arch9wavefront6targetE1EEEvSE_,comdat
	.protected	_ZN7rocprim17ROCPRIM_400000_NS6detail17trampoline_kernelINS0_14default_configENS1_35radix_sort_onesweep_config_selectorIdlEEZNS1_34radix_sort_onesweep_global_offsetsIS3_Lb0EPdN6thrust23THRUST_200600_302600_NS10device_ptrIlEEjNS0_19identity_decomposerEEE10hipError_tT1_T2_PT3_SG_jT4_jjP12ihipStream_tbEUlT_E0_NS1_11comp_targetILNS1_3genE10ELNS1_11target_archE1201ELNS1_3gpuE5ELNS1_3repE0EEENS1_52radix_sort_onesweep_histogram_config_static_selectorELNS0_4arch9wavefront6targetE1EEEvSE_ ; -- Begin function _ZN7rocprim17ROCPRIM_400000_NS6detail17trampoline_kernelINS0_14default_configENS1_35radix_sort_onesweep_config_selectorIdlEEZNS1_34radix_sort_onesweep_global_offsetsIS3_Lb0EPdN6thrust23THRUST_200600_302600_NS10device_ptrIlEEjNS0_19identity_decomposerEEE10hipError_tT1_T2_PT3_SG_jT4_jjP12ihipStream_tbEUlT_E0_NS1_11comp_targetILNS1_3genE10ELNS1_11target_archE1201ELNS1_3gpuE5ELNS1_3repE0EEENS1_52radix_sort_onesweep_histogram_config_static_selectorELNS0_4arch9wavefront6targetE1EEEvSE_
	.globl	_ZN7rocprim17ROCPRIM_400000_NS6detail17trampoline_kernelINS0_14default_configENS1_35radix_sort_onesweep_config_selectorIdlEEZNS1_34radix_sort_onesweep_global_offsetsIS3_Lb0EPdN6thrust23THRUST_200600_302600_NS10device_ptrIlEEjNS0_19identity_decomposerEEE10hipError_tT1_T2_PT3_SG_jT4_jjP12ihipStream_tbEUlT_E0_NS1_11comp_targetILNS1_3genE10ELNS1_11target_archE1201ELNS1_3gpuE5ELNS1_3repE0EEENS1_52radix_sort_onesweep_histogram_config_static_selectorELNS0_4arch9wavefront6targetE1EEEvSE_
	.p2align	8
	.type	_ZN7rocprim17ROCPRIM_400000_NS6detail17trampoline_kernelINS0_14default_configENS1_35radix_sort_onesweep_config_selectorIdlEEZNS1_34radix_sort_onesweep_global_offsetsIS3_Lb0EPdN6thrust23THRUST_200600_302600_NS10device_ptrIlEEjNS0_19identity_decomposerEEE10hipError_tT1_T2_PT3_SG_jT4_jjP12ihipStream_tbEUlT_E0_NS1_11comp_targetILNS1_3genE10ELNS1_11target_archE1201ELNS1_3gpuE5ELNS1_3repE0EEENS1_52radix_sort_onesweep_histogram_config_static_selectorELNS0_4arch9wavefront6targetE1EEEvSE_,@function
_ZN7rocprim17ROCPRIM_400000_NS6detail17trampoline_kernelINS0_14default_configENS1_35radix_sort_onesweep_config_selectorIdlEEZNS1_34radix_sort_onesweep_global_offsetsIS3_Lb0EPdN6thrust23THRUST_200600_302600_NS10device_ptrIlEEjNS0_19identity_decomposerEEE10hipError_tT1_T2_PT3_SG_jT4_jjP12ihipStream_tbEUlT_E0_NS1_11comp_targetILNS1_3genE10ELNS1_11target_archE1201ELNS1_3gpuE5ELNS1_3repE0EEENS1_52radix_sort_onesweep_histogram_config_static_selectorELNS0_4arch9wavefront6targetE1EEEvSE_: ; @_ZN7rocprim17ROCPRIM_400000_NS6detail17trampoline_kernelINS0_14default_configENS1_35radix_sort_onesweep_config_selectorIdlEEZNS1_34radix_sort_onesweep_global_offsetsIS3_Lb0EPdN6thrust23THRUST_200600_302600_NS10device_ptrIlEEjNS0_19identity_decomposerEEE10hipError_tT1_T2_PT3_SG_jT4_jjP12ihipStream_tbEUlT_E0_NS1_11comp_targetILNS1_3genE10ELNS1_11target_archE1201ELNS1_3gpuE5ELNS1_3repE0EEENS1_52radix_sort_onesweep_histogram_config_static_selectorELNS0_4arch9wavefront6targetE1EEEvSE_
; %bb.0:
	.section	.rodata,"a",@progbits
	.p2align	6, 0x0
	.amdhsa_kernel _ZN7rocprim17ROCPRIM_400000_NS6detail17trampoline_kernelINS0_14default_configENS1_35radix_sort_onesweep_config_selectorIdlEEZNS1_34radix_sort_onesweep_global_offsetsIS3_Lb0EPdN6thrust23THRUST_200600_302600_NS10device_ptrIlEEjNS0_19identity_decomposerEEE10hipError_tT1_T2_PT3_SG_jT4_jjP12ihipStream_tbEUlT_E0_NS1_11comp_targetILNS1_3genE10ELNS1_11target_archE1201ELNS1_3gpuE5ELNS1_3repE0EEENS1_52radix_sort_onesweep_histogram_config_static_selectorELNS0_4arch9wavefront6targetE1EEEvSE_
		.amdhsa_group_segment_fixed_size 0
		.amdhsa_private_segment_fixed_size 0
		.amdhsa_kernarg_size 8
		.amdhsa_user_sgpr_count 6
		.amdhsa_user_sgpr_private_segment_buffer 1
		.amdhsa_user_sgpr_dispatch_ptr 0
		.amdhsa_user_sgpr_queue_ptr 0
		.amdhsa_user_sgpr_kernarg_segment_ptr 1
		.amdhsa_user_sgpr_dispatch_id 0
		.amdhsa_user_sgpr_flat_scratch_init 0
		.amdhsa_user_sgpr_kernarg_preload_length 0
		.amdhsa_user_sgpr_kernarg_preload_offset 0
		.amdhsa_user_sgpr_private_segment_size 0
		.amdhsa_uses_dynamic_stack 0
		.amdhsa_system_sgpr_private_segment_wavefront_offset 0
		.amdhsa_system_sgpr_workgroup_id_x 1
		.amdhsa_system_sgpr_workgroup_id_y 0
		.amdhsa_system_sgpr_workgroup_id_z 0
		.amdhsa_system_sgpr_workgroup_info 0
		.amdhsa_system_vgpr_workitem_id 0
		.amdhsa_next_free_vgpr 1
		.amdhsa_next_free_sgpr 0
		.amdhsa_accum_offset 4
		.amdhsa_reserve_vcc 0
		.amdhsa_reserve_flat_scratch 0
		.amdhsa_float_round_mode_32 0
		.amdhsa_float_round_mode_16_64 0
		.amdhsa_float_denorm_mode_32 3
		.amdhsa_float_denorm_mode_16_64 3
		.amdhsa_dx10_clamp 1
		.amdhsa_ieee_mode 1
		.amdhsa_fp16_overflow 0
		.amdhsa_tg_split 0
		.amdhsa_exception_fp_ieee_invalid_op 0
		.amdhsa_exception_fp_denorm_src 0
		.amdhsa_exception_fp_ieee_div_zero 0
		.amdhsa_exception_fp_ieee_overflow 0
		.amdhsa_exception_fp_ieee_underflow 0
		.amdhsa_exception_fp_ieee_inexact 0
		.amdhsa_exception_int_div_zero 0
	.end_amdhsa_kernel
	.section	.text._ZN7rocprim17ROCPRIM_400000_NS6detail17trampoline_kernelINS0_14default_configENS1_35radix_sort_onesweep_config_selectorIdlEEZNS1_34radix_sort_onesweep_global_offsetsIS3_Lb0EPdN6thrust23THRUST_200600_302600_NS10device_ptrIlEEjNS0_19identity_decomposerEEE10hipError_tT1_T2_PT3_SG_jT4_jjP12ihipStream_tbEUlT_E0_NS1_11comp_targetILNS1_3genE10ELNS1_11target_archE1201ELNS1_3gpuE5ELNS1_3repE0EEENS1_52radix_sort_onesweep_histogram_config_static_selectorELNS0_4arch9wavefront6targetE1EEEvSE_,"axG",@progbits,_ZN7rocprim17ROCPRIM_400000_NS6detail17trampoline_kernelINS0_14default_configENS1_35radix_sort_onesweep_config_selectorIdlEEZNS1_34radix_sort_onesweep_global_offsetsIS3_Lb0EPdN6thrust23THRUST_200600_302600_NS10device_ptrIlEEjNS0_19identity_decomposerEEE10hipError_tT1_T2_PT3_SG_jT4_jjP12ihipStream_tbEUlT_E0_NS1_11comp_targetILNS1_3genE10ELNS1_11target_archE1201ELNS1_3gpuE5ELNS1_3repE0EEENS1_52radix_sort_onesweep_histogram_config_static_selectorELNS0_4arch9wavefront6targetE1EEEvSE_,comdat
.Lfunc_end1613:
	.size	_ZN7rocprim17ROCPRIM_400000_NS6detail17trampoline_kernelINS0_14default_configENS1_35radix_sort_onesweep_config_selectorIdlEEZNS1_34radix_sort_onesweep_global_offsetsIS3_Lb0EPdN6thrust23THRUST_200600_302600_NS10device_ptrIlEEjNS0_19identity_decomposerEEE10hipError_tT1_T2_PT3_SG_jT4_jjP12ihipStream_tbEUlT_E0_NS1_11comp_targetILNS1_3genE10ELNS1_11target_archE1201ELNS1_3gpuE5ELNS1_3repE0EEENS1_52radix_sort_onesweep_histogram_config_static_selectorELNS0_4arch9wavefront6targetE1EEEvSE_, .Lfunc_end1613-_ZN7rocprim17ROCPRIM_400000_NS6detail17trampoline_kernelINS0_14default_configENS1_35radix_sort_onesweep_config_selectorIdlEEZNS1_34radix_sort_onesweep_global_offsetsIS3_Lb0EPdN6thrust23THRUST_200600_302600_NS10device_ptrIlEEjNS0_19identity_decomposerEEE10hipError_tT1_T2_PT3_SG_jT4_jjP12ihipStream_tbEUlT_E0_NS1_11comp_targetILNS1_3genE10ELNS1_11target_archE1201ELNS1_3gpuE5ELNS1_3repE0EEENS1_52radix_sort_onesweep_histogram_config_static_selectorELNS0_4arch9wavefront6targetE1EEEvSE_
                                        ; -- End function
	.section	.AMDGPU.csdata,"",@progbits
; Kernel info:
; codeLenInByte = 0
; NumSgprs: 4
; NumVgprs: 0
; NumAgprs: 0
; TotalNumVgprs: 0
; ScratchSize: 0
; MemoryBound: 0
; FloatMode: 240
; IeeeMode: 1
; LDSByteSize: 0 bytes/workgroup (compile time only)
; SGPRBlocks: 0
; VGPRBlocks: 0
; NumSGPRsForWavesPerEU: 4
; NumVGPRsForWavesPerEU: 1
; AccumOffset: 4
; Occupancy: 8
; WaveLimiterHint : 0
; COMPUTE_PGM_RSRC2:SCRATCH_EN: 0
; COMPUTE_PGM_RSRC2:USER_SGPR: 6
; COMPUTE_PGM_RSRC2:TRAP_HANDLER: 0
; COMPUTE_PGM_RSRC2:TGID_X_EN: 1
; COMPUTE_PGM_RSRC2:TGID_Y_EN: 0
; COMPUTE_PGM_RSRC2:TGID_Z_EN: 0
; COMPUTE_PGM_RSRC2:TIDIG_COMP_CNT: 0
; COMPUTE_PGM_RSRC3_GFX90A:ACCUM_OFFSET: 0
; COMPUTE_PGM_RSRC3_GFX90A:TG_SPLIT: 0
	.section	.text._ZN7rocprim17ROCPRIM_400000_NS6detail17trampoline_kernelINS0_14default_configENS1_35radix_sort_onesweep_config_selectorIdlEEZNS1_34radix_sort_onesweep_global_offsetsIS3_Lb0EPdN6thrust23THRUST_200600_302600_NS10device_ptrIlEEjNS0_19identity_decomposerEEE10hipError_tT1_T2_PT3_SG_jT4_jjP12ihipStream_tbEUlT_E0_NS1_11comp_targetILNS1_3genE9ELNS1_11target_archE1100ELNS1_3gpuE3ELNS1_3repE0EEENS1_52radix_sort_onesweep_histogram_config_static_selectorELNS0_4arch9wavefront6targetE1EEEvSE_,"axG",@progbits,_ZN7rocprim17ROCPRIM_400000_NS6detail17trampoline_kernelINS0_14default_configENS1_35radix_sort_onesweep_config_selectorIdlEEZNS1_34radix_sort_onesweep_global_offsetsIS3_Lb0EPdN6thrust23THRUST_200600_302600_NS10device_ptrIlEEjNS0_19identity_decomposerEEE10hipError_tT1_T2_PT3_SG_jT4_jjP12ihipStream_tbEUlT_E0_NS1_11comp_targetILNS1_3genE9ELNS1_11target_archE1100ELNS1_3gpuE3ELNS1_3repE0EEENS1_52radix_sort_onesweep_histogram_config_static_selectorELNS0_4arch9wavefront6targetE1EEEvSE_,comdat
	.protected	_ZN7rocprim17ROCPRIM_400000_NS6detail17trampoline_kernelINS0_14default_configENS1_35radix_sort_onesweep_config_selectorIdlEEZNS1_34radix_sort_onesweep_global_offsetsIS3_Lb0EPdN6thrust23THRUST_200600_302600_NS10device_ptrIlEEjNS0_19identity_decomposerEEE10hipError_tT1_T2_PT3_SG_jT4_jjP12ihipStream_tbEUlT_E0_NS1_11comp_targetILNS1_3genE9ELNS1_11target_archE1100ELNS1_3gpuE3ELNS1_3repE0EEENS1_52radix_sort_onesweep_histogram_config_static_selectorELNS0_4arch9wavefront6targetE1EEEvSE_ ; -- Begin function _ZN7rocprim17ROCPRIM_400000_NS6detail17trampoline_kernelINS0_14default_configENS1_35radix_sort_onesweep_config_selectorIdlEEZNS1_34radix_sort_onesweep_global_offsetsIS3_Lb0EPdN6thrust23THRUST_200600_302600_NS10device_ptrIlEEjNS0_19identity_decomposerEEE10hipError_tT1_T2_PT3_SG_jT4_jjP12ihipStream_tbEUlT_E0_NS1_11comp_targetILNS1_3genE9ELNS1_11target_archE1100ELNS1_3gpuE3ELNS1_3repE0EEENS1_52radix_sort_onesweep_histogram_config_static_selectorELNS0_4arch9wavefront6targetE1EEEvSE_
	.globl	_ZN7rocprim17ROCPRIM_400000_NS6detail17trampoline_kernelINS0_14default_configENS1_35radix_sort_onesweep_config_selectorIdlEEZNS1_34radix_sort_onesweep_global_offsetsIS3_Lb0EPdN6thrust23THRUST_200600_302600_NS10device_ptrIlEEjNS0_19identity_decomposerEEE10hipError_tT1_T2_PT3_SG_jT4_jjP12ihipStream_tbEUlT_E0_NS1_11comp_targetILNS1_3genE9ELNS1_11target_archE1100ELNS1_3gpuE3ELNS1_3repE0EEENS1_52radix_sort_onesweep_histogram_config_static_selectorELNS0_4arch9wavefront6targetE1EEEvSE_
	.p2align	8
	.type	_ZN7rocprim17ROCPRIM_400000_NS6detail17trampoline_kernelINS0_14default_configENS1_35radix_sort_onesweep_config_selectorIdlEEZNS1_34radix_sort_onesweep_global_offsetsIS3_Lb0EPdN6thrust23THRUST_200600_302600_NS10device_ptrIlEEjNS0_19identity_decomposerEEE10hipError_tT1_T2_PT3_SG_jT4_jjP12ihipStream_tbEUlT_E0_NS1_11comp_targetILNS1_3genE9ELNS1_11target_archE1100ELNS1_3gpuE3ELNS1_3repE0EEENS1_52radix_sort_onesweep_histogram_config_static_selectorELNS0_4arch9wavefront6targetE1EEEvSE_,@function
_ZN7rocprim17ROCPRIM_400000_NS6detail17trampoline_kernelINS0_14default_configENS1_35radix_sort_onesweep_config_selectorIdlEEZNS1_34radix_sort_onesweep_global_offsetsIS3_Lb0EPdN6thrust23THRUST_200600_302600_NS10device_ptrIlEEjNS0_19identity_decomposerEEE10hipError_tT1_T2_PT3_SG_jT4_jjP12ihipStream_tbEUlT_E0_NS1_11comp_targetILNS1_3genE9ELNS1_11target_archE1100ELNS1_3gpuE3ELNS1_3repE0EEENS1_52radix_sort_onesweep_histogram_config_static_selectorELNS0_4arch9wavefront6targetE1EEEvSE_: ; @_ZN7rocprim17ROCPRIM_400000_NS6detail17trampoline_kernelINS0_14default_configENS1_35radix_sort_onesweep_config_selectorIdlEEZNS1_34radix_sort_onesweep_global_offsetsIS3_Lb0EPdN6thrust23THRUST_200600_302600_NS10device_ptrIlEEjNS0_19identity_decomposerEEE10hipError_tT1_T2_PT3_SG_jT4_jjP12ihipStream_tbEUlT_E0_NS1_11comp_targetILNS1_3genE9ELNS1_11target_archE1100ELNS1_3gpuE3ELNS1_3repE0EEENS1_52radix_sort_onesweep_histogram_config_static_selectorELNS0_4arch9wavefront6targetE1EEEvSE_
; %bb.0:
	.section	.rodata,"a",@progbits
	.p2align	6, 0x0
	.amdhsa_kernel _ZN7rocprim17ROCPRIM_400000_NS6detail17trampoline_kernelINS0_14default_configENS1_35radix_sort_onesweep_config_selectorIdlEEZNS1_34radix_sort_onesweep_global_offsetsIS3_Lb0EPdN6thrust23THRUST_200600_302600_NS10device_ptrIlEEjNS0_19identity_decomposerEEE10hipError_tT1_T2_PT3_SG_jT4_jjP12ihipStream_tbEUlT_E0_NS1_11comp_targetILNS1_3genE9ELNS1_11target_archE1100ELNS1_3gpuE3ELNS1_3repE0EEENS1_52radix_sort_onesweep_histogram_config_static_selectorELNS0_4arch9wavefront6targetE1EEEvSE_
		.amdhsa_group_segment_fixed_size 0
		.amdhsa_private_segment_fixed_size 0
		.amdhsa_kernarg_size 8
		.amdhsa_user_sgpr_count 6
		.amdhsa_user_sgpr_private_segment_buffer 1
		.amdhsa_user_sgpr_dispatch_ptr 0
		.amdhsa_user_sgpr_queue_ptr 0
		.amdhsa_user_sgpr_kernarg_segment_ptr 1
		.amdhsa_user_sgpr_dispatch_id 0
		.amdhsa_user_sgpr_flat_scratch_init 0
		.amdhsa_user_sgpr_kernarg_preload_length 0
		.amdhsa_user_sgpr_kernarg_preload_offset 0
		.amdhsa_user_sgpr_private_segment_size 0
		.amdhsa_uses_dynamic_stack 0
		.amdhsa_system_sgpr_private_segment_wavefront_offset 0
		.amdhsa_system_sgpr_workgroup_id_x 1
		.amdhsa_system_sgpr_workgroup_id_y 0
		.amdhsa_system_sgpr_workgroup_id_z 0
		.amdhsa_system_sgpr_workgroup_info 0
		.amdhsa_system_vgpr_workitem_id 0
		.amdhsa_next_free_vgpr 1
		.amdhsa_next_free_sgpr 0
		.amdhsa_accum_offset 4
		.amdhsa_reserve_vcc 0
		.amdhsa_reserve_flat_scratch 0
		.amdhsa_float_round_mode_32 0
		.amdhsa_float_round_mode_16_64 0
		.amdhsa_float_denorm_mode_32 3
		.amdhsa_float_denorm_mode_16_64 3
		.amdhsa_dx10_clamp 1
		.amdhsa_ieee_mode 1
		.amdhsa_fp16_overflow 0
		.amdhsa_tg_split 0
		.amdhsa_exception_fp_ieee_invalid_op 0
		.amdhsa_exception_fp_denorm_src 0
		.amdhsa_exception_fp_ieee_div_zero 0
		.amdhsa_exception_fp_ieee_overflow 0
		.amdhsa_exception_fp_ieee_underflow 0
		.amdhsa_exception_fp_ieee_inexact 0
		.amdhsa_exception_int_div_zero 0
	.end_amdhsa_kernel
	.section	.text._ZN7rocprim17ROCPRIM_400000_NS6detail17trampoline_kernelINS0_14default_configENS1_35radix_sort_onesweep_config_selectorIdlEEZNS1_34radix_sort_onesweep_global_offsetsIS3_Lb0EPdN6thrust23THRUST_200600_302600_NS10device_ptrIlEEjNS0_19identity_decomposerEEE10hipError_tT1_T2_PT3_SG_jT4_jjP12ihipStream_tbEUlT_E0_NS1_11comp_targetILNS1_3genE9ELNS1_11target_archE1100ELNS1_3gpuE3ELNS1_3repE0EEENS1_52radix_sort_onesweep_histogram_config_static_selectorELNS0_4arch9wavefront6targetE1EEEvSE_,"axG",@progbits,_ZN7rocprim17ROCPRIM_400000_NS6detail17trampoline_kernelINS0_14default_configENS1_35radix_sort_onesweep_config_selectorIdlEEZNS1_34radix_sort_onesweep_global_offsetsIS3_Lb0EPdN6thrust23THRUST_200600_302600_NS10device_ptrIlEEjNS0_19identity_decomposerEEE10hipError_tT1_T2_PT3_SG_jT4_jjP12ihipStream_tbEUlT_E0_NS1_11comp_targetILNS1_3genE9ELNS1_11target_archE1100ELNS1_3gpuE3ELNS1_3repE0EEENS1_52radix_sort_onesweep_histogram_config_static_selectorELNS0_4arch9wavefront6targetE1EEEvSE_,comdat
.Lfunc_end1614:
	.size	_ZN7rocprim17ROCPRIM_400000_NS6detail17trampoline_kernelINS0_14default_configENS1_35radix_sort_onesweep_config_selectorIdlEEZNS1_34radix_sort_onesweep_global_offsetsIS3_Lb0EPdN6thrust23THRUST_200600_302600_NS10device_ptrIlEEjNS0_19identity_decomposerEEE10hipError_tT1_T2_PT3_SG_jT4_jjP12ihipStream_tbEUlT_E0_NS1_11comp_targetILNS1_3genE9ELNS1_11target_archE1100ELNS1_3gpuE3ELNS1_3repE0EEENS1_52radix_sort_onesweep_histogram_config_static_selectorELNS0_4arch9wavefront6targetE1EEEvSE_, .Lfunc_end1614-_ZN7rocprim17ROCPRIM_400000_NS6detail17trampoline_kernelINS0_14default_configENS1_35radix_sort_onesweep_config_selectorIdlEEZNS1_34radix_sort_onesweep_global_offsetsIS3_Lb0EPdN6thrust23THRUST_200600_302600_NS10device_ptrIlEEjNS0_19identity_decomposerEEE10hipError_tT1_T2_PT3_SG_jT4_jjP12ihipStream_tbEUlT_E0_NS1_11comp_targetILNS1_3genE9ELNS1_11target_archE1100ELNS1_3gpuE3ELNS1_3repE0EEENS1_52radix_sort_onesweep_histogram_config_static_selectorELNS0_4arch9wavefront6targetE1EEEvSE_
                                        ; -- End function
	.section	.AMDGPU.csdata,"",@progbits
; Kernel info:
; codeLenInByte = 0
; NumSgprs: 4
; NumVgprs: 0
; NumAgprs: 0
; TotalNumVgprs: 0
; ScratchSize: 0
; MemoryBound: 0
; FloatMode: 240
; IeeeMode: 1
; LDSByteSize: 0 bytes/workgroup (compile time only)
; SGPRBlocks: 0
; VGPRBlocks: 0
; NumSGPRsForWavesPerEU: 4
; NumVGPRsForWavesPerEU: 1
; AccumOffset: 4
; Occupancy: 8
; WaveLimiterHint : 0
; COMPUTE_PGM_RSRC2:SCRATCH_EN: 0
; COMPUTE_PGM_RSRC2:USER_SGPR: 6
; COMPUTE_PGM_RSRC2:TRAP_HANDLER: 0
; COMPUTE_PGM_RSRC2:TGID_X_EN: 1
; COMPUTE_PGM_RSRC2:TGID_Y_EN: 0
; COMPUTE_PGM_RSRC2:TGID_Z_EN: 0
; COMPUTE_PGM_RSRC2:TIDIG_COMP_CNT: 0
; COMPUTE_PGM_RSRC3_GFX90A:ACCUM_OFFSET: 0
; COMPUTE_PGM_RSRC3_GFX90A:TG_SPLIT: 0
	.section	.text._ZN7rocprim17ROCPRIM_400000_NS6detail17trampoline_kernelINS0_14default_configENS1_35radix_sort_onesweep_config_selectorIdlEEZNS1_34radix_sort_onesweep_global_offsetsIS3_Lb0EPdN6thrust23THRUST_200600_302600_NS10device_ptrIlEEjNS0_19identity_decomposerEEE10hipError_tT1_T2_PT3_SG_jT4_jjP12ihipStream_tbEUlT_E0_NS1_11comp_targetILNS1_3genE8ELNS1_11target_archE1030ELNS1_3gpuE2ELNS1_3repE0EEENS1_52radix_sort_onesweep_histogram_config_static_selectorELNS0_4arch9wavefront6targetE1EEEvSE_,"axG",@progbits,_ZN7rocprim17ROCPRIM_400000_NS6detail17trampoline_kernelINS0_14default_configENS1_35radix_sort_onesweep_config_selectorIdlEEZNS1_34radix_sort_onesweep_global_offsetsIS3_Lb0EPdN6thrust23THRUST_200600_302600_NS10device_ptrIlEEjNS0_19identity_decomposerEEE10hipError_tT1_T2_PT3_SG_jT4_jjP12ihipStream_tbEUlT_E0_NS1_11comp_targetILNS1_3genE8ELNS1_11target_archE1030ELNS1_3gpuE2ELNS1_3repE0EEENS1_52radix_sort_onesweep_histogram_config_static_selectorELNS0_4arch9wavefront6targetE1EEEvSE_,comdat
	.protected	_ZN7rocprim17ROCPRIM_400000_NS6detail17trampoline_kernelINS0_14default_configENS1_35radix_sort_onesweep_config_selectorIdlEEZNS1_34radix_sort_onesweep_global_offsetsIS3_Lb0EPdN6thrust23THRUST_200600_302600_NS10device_ptrIlEEjNS0_19identity_decomposerEEE10hipError_tT1_T2_PT3_SG_jT4_jjP12ihipStream_tbEUlT_E0_NS1_11comp_targetILNS1_3genE8ELNS1_11target_archE1030ELNS1_3gpuE2ELNS1_3repE0EEENS1_52radix_sort_onesweep_histogram_config_static_selectorELNS0_4arch9wavefront6targetE1EEEvSE_ ; -- Begin function _ZN7rocprim17ROCPRIM_400000_NS6detail17trampoline_kernelINS0_14default_configENS1_35radix_sort_onesweep_config_selectorIdlEEZNS1_34radix_sort_onesweep_global_offsetsIS3_Lb0EPdN6thrust23THRUST_200600_302600_NS10device_ptrIlEEjNS0_19identity_decomposerEEE10hipError_tT1_T2_PT3_SG_jT4_jjP12ihipStream_tbEUlT_E0_NS1_11comp_targetILNS1_3genE8ELNS1_11target_archE1030ELNS1_3gpuE2ELNS1_3repE0EEENS1_52radix_sort_onesweep_histogram_config_static_selectorELNS0_4arch9wavefront6targetE1EEEvSE_
	.globl	_ZN7rocprim17ROCPRIM_400000_NS6detail17trampoline_kernelINS0_14default_configENS1_35radix_sort_onesweep_config_selectorIdlEEZNS1_34radix_sort_onesweep_global_offsetsIS3_Lb0EPdN6thrust23THRUST_200600_302600_NS10device_ptrIlEEjNS0_19identity_decomposerEEE10hipError_tT1_T2_PT3_SG_jT4_jjP12ihipStream_tbEUlT_E0_NS1_11comp_targetILNS1_3genE8ELNS1_11target_archE1030ELNS1_3gpuE2ELNS1_3repE0EEENS1_52radix_sort_onesweep_histogram_config_static_selectorELNS0_4arch9wavefront6targetE1EEEvSE_
	.p2align	8
	.type	_ZN7rocprim17ROCPRIM_400000_NS6detail17trampoline_kernelINS0_14default_configENS1_35radix_sort_onesweep_config_selectorIdlEEZNS1_34radix_sort_onesweep_global_offsetsIS3_Lb0EPdN6thrust23THRUST_200600_302600_NS10device_ptrIlEEjNS0_19identity_decomposerEEE10hipError_tT1_T2_PT3_SG_jT4_jjP12ihipStream_tbEUlT_E0_NS1_11comp_targetILNS1_3genE8ELNS1_11target_archE1030ELNS1_3gpuE2ELNS1_3repE0EEENS1_52radix_sort_onesweep_histogram_config_static_selectorELNS0_4arch9wavefront6targetE1EEEvSE_,@function
_ZN7rocprim17ROCPRIM_400000_NS6detail17trampoline_kernelINS0_14default_configENS1_35radix_sort_onesweep_config_selectorIdlEEZNS1_34radix_sort_onesweep_global_offsetsIS3_Lb0EPdN6thrust23THRUST_200600_302600_NS10device_ptrIlEEjNS0_19identity_decomposerEEE10hipError_tT1_T2_PT3_SG_jT4_jjP12ihipStream_tbEUlT_E0_NS1_11comp_targetILNS1_3genE8ELNS1_11target_archE1030ELNS1_3gpuE2ELNS1_3repE0EEENS1_52radix_sort_onesweep_histogram_config_static_selectorELNS0_4arch9wavefront6targetE1EEEvSE_: ; @_ZN7rocprim17ROCPRIM_400000_NS6detail17trampoline_kernelINS0_14default_configENS1_35radix_sort_onesweep_config_selectorIdlEEZNS1_34radix_sort_onesweep_global_offsetsIS3_Lb0EPdN6thrust23THRUST_200600_302600_NS10device_ptrIlEEjNS0_19identity_decomposerEEE10hipError_tT1_T2_PT3_SG_jT4_jjP12ihipStream_tbEUlT_E0_NS1_11comp_targetILNS1_3genE8ELNS1_11target_archE1030ELNS1_3gpuE2ELNS1_3repE0EEENS1_52radix_sort_onesweep_histogram_config_static_selectorELNS0_4arch9wavefront6targetE1EEEvSE_
; %bb.0:
	.section	.rodata,"a",@progbits
	.p2align	6, 0x0
	.amdhsa_kernel _ZN7rocprim17ROCPRIM_400000_NS6detail17trampoline_kernelINS0_14default_configENS1_35radix_sort_onesweep_config_selectorIdlEEZNS1_34radix_sort_onesweep_global_offsetsIS3_Lb0EPdN6thrust23THRUST_200600_302600_NS10device_ptrIlEEjNS0_19identity_decomposerEEE10hipError_tT1_T2_PT3_SG_jT4_jjP12ihipStream_tbEUlT_E0_NS1_11comp_targetILNS1_3genE8ELNS1_11target_archE1030ELNS1_3gpuE2ELNS1_3repE0EEENS1_52radix_sort_onesweep_histogram_config_static_selectorELNS0_4arch9wavefront6targetE1EEEvSE_
		.amdhsa_group_segment_fixed_size 0
		.amdhsa_private_segment_fixed_size 0
		.amdhsa_kernarg_size 8
		.amdhsa_user_sgpr_count 6
		.amdhsa_user_sgpr_private_segment_buffer 1
		.amdhsa_user_sgpr_dispatch_ptr 0
		.amdhsa_user_sgpr_queue_ptr 0
		.amdhsa_user_sgpr_kernarg_segment_ptr 1
		.amdhsa_user_sgpr_dispatch_id 0
		.amdhsa_user_sgpr_flat_scratch_init 0
		.amdhsa_user_sgpr_kernarg_preload_length 0
		.amdhsa_user_sgpr_kernarg_preload_offset 0
		.amdhsa_user_sgpr_private_segment_size 0
		.amdhsa_uses_dynamic_stack 0
		.amdhsa_system_sgpr_private_segment_wavefront_offset 0
		.amdhsa_system_sgpr_workgroup_id_x 1
		.amdhsa_system_sgpr_workgroup_id_y 0
		.amdhsa_system_sgpr_workgroup_id_z 0
		.amdhsa_system_sgpr_workgroup_info 0
		.amdhsa_system_vgpr_workitem_id 0
		.amdhsa_next_free_vgpr 1
		.amdhsa_next_free_sgpr 0
		.amdhsa_accum_offset 4
		.amdhsa_reserve_vcc 0
		.amdhsa_reserve_flat_scratch 0
		.amdhsa_float_round_mode_32 0
		.amdhsa_float_round_mode_16_64 0
		.amdhsa_float_denorm_mode_32 3
		.amdhsa_float_denorm_mode_16_64 3
		.amdhsa_dx10_clamp 1
		.amdhsa_ieee_mode 1
		.amdhsa_fp16_overflow 0
		.amdhsa_tg_split 0
		.amdhsa_exception_fp_ieee_invalid_op 0
		.amdhsa_exception_fp_denorm_src 0
		.amdhsa_exception_fp_ieee_div_zero 0
		.amdhsa_exception_fp_ieee_overflow 0
		.amdhsa_exception_fp_ieee_underflow 0
		.amdhsa_exception_fp_ieee_inexact 0
		.amdhsa_exception_int_div_zero 0
	.end_amdhsa_kernel
	.section	.text._ZN7rocprim17ROCPRIM_400000_NS6detail17trampoline_kernelINS0_14default_configENS1_35radix_sort_onesweep_config_selectorIdlEEZNS1_34radix_sort_onesweep_global_offsetsIS3_Lb0EPdN6thrust23THRUST_200600_302600_NS10device_ptrIlEEjNS0_19identity_decomposerEEE10hipError_tT1_T2_PT3_SG_jT4_jjP12ihipStream_tbEUlT_E0_NS1_11comp_targetILNS1_3genE8ELNS1_11target_archE1030ELNS1_3gpuE2ELNS1_3repE0EEENS1_52radix_sort_onesweep_histogram_config_static_selectorELNS0_4arch9wavefront6targetE1EEEvSE_,"axG",@progbits,_ZN7rocprim17ROCPRIM_400000_NS6detail17trampoline_kernelINS0_14default_configENS1_35radix_sort_onesweep_config_selectorIdlEEZNS1_34radix_sort_onesweep_global_offsetsIS3_Lb0EPdN6thrust23THRUST_200600_302600_NS10device_ptrIlEEjNS0_19identity_decomposerEEE10hipError_tT1_T2_PT3_SG_jT4_jjP12ihipStream_tbEUlT_E0_NS1_11comp_targetILNS1_3genE8ELNS1_11target_archE1030ELNS1_3gpuE2ELNS1_3repE0EEENS1_52radix_sort_onesweep_histogram_config_static_selectorELNS0_4arch9wavefront6targetE1EEEvSE_,comdat
.Lfunc_end1615:
	.size	_ZN7rocprim17ROCPRIM_400000_NS6detail17trampoline_kernelINS0_14default_configENS1_35radix_sort_onesweep_config_selectorIdlEEZNS1_34radix_sort_onesweep_global_offsetsIS3_Lb0EPdN6thrust23THRUST_200600_302600_NS10device_ptrIlEEjNS0_19identity_decomposerEEE10hipError_tT1_T2_PT3_SG_jT4_jjP12ihipStream_tbEUlT_E0_NS1_11comp_targetILNS1_3genE8ELNS1_11target_archE1030ELNS1_3gpuE2ELNS1_3repE0EEENS1_52radix_sort_onesweep_histogram_config_static_selectorELNS0_4arch9wavefront6targetE1EEEvSE_, .Lfunc_end1615-_ZN7rocprim17ROCPRIM_400000_NS6detail17trampoline_kernelINS0_14default_configENS1_35radix_sort_onesweep_config_selectorIdlEEZNS1_34radix_sort_onesweep_global_offsetsIS3_Lb0EPdN6thrust23THRUST_200600_302600_NS10device_ptrIlEEjNS0_19identity_decomposerEEE10hipError_tT1_T2_PT3_SG_jT4_jjP12ihipStream_tbEUlT_E0_NS1_11comp_targetILNS1_3genE8ELNS1_11target_archE1030ELNS1_3gpuE2ELNS1_3repE0EEENS1_52radix_sort_onesweep_histogram_config_static_selectorELNS0_4arch9wavefront6targetE1EEEvSE_
                                        ; -- End function
	.section	.AMDGPU.csdata,"",@progbits
; Kernel info:
; codeLenInByte = 0
; NumSgprs: 4
; NumVgprs: 0
; NumAgprs: 0
; TotalNumVgprs: 0
; ScratchSize: 0
; MemoryBound: 0
; FloatMode: 240
; IeeeMode: 1
; LDSByteSize: 0 bytes/workgroup (compile time only)
; SGPRBlocks: 0
; VGPRBlocks: 0
; NumSGPRsForWavesPerEU: 4
; NumVGPRsForWavesPerEU: 1
; AccumOffset: 4
; Occupancy: 8
; WaveLimiterHint : 0
; COMPUTE_PGM_RSRC2:SCRATCH_EN: 0
; COMPUTE_PGM_RSRC2:USER_SGPR: 6
; COMPUTE_PGM_RSRC2:TRAP_HANDLER: 0
; COMPUTE_PGM_RSRC2:TGID_X_EN: 1
; COMPUTE_PGM_RSRC2:TGID_Y_EN: 0
; COMPUTE_PGM_RSRC2:TGID_Z_EN: 0
; COMPUTE_PGM_RSRC2:TIDIG_COMP_CNT: 0
; COMPUTE_PGM_RSRC3_GFX90A:ACCUM_OFFSET: 0
; COMPUTE_PGM_RSRC3_GFX90A:TG_SPLIT: 0
	.section	.text._ZN7rocprim17ROCPRIM_400000_NS6detail17trampoline_kernelINS0_14default_configENS1_35radix_sort_onesweep_config_selectorIdlEEZZNS1_29radix_sort_onesweep_iterationIS3_Lb0EPdS7_N6thrust23THRUST_200600_302600_NS10device_ptrIlEESB_jNS0_19identity_decomposerENS1_16block_id_wrapperIjLb1EEEEE10hipError_tT1_PNSt15iterator_traitsISG_E10value_typeET2_T3_PNSH_ISM_E10value_typeET4_T5_PSR_SS_PNS1_23onesweep_lookback_stateEbbT6_jjT7_P12ihipStream_tbENKUlT_T0_SG_SL_E_clIS7_S7_SB_SB_EEDaSZ_S10_SG_SL_EUlSZ_E_NS1_11comp_targetILNS1_3genE0ELNS1_11target_archE4294967295ELNS1_3gpuE0ELNS1_3repE0EEENS1_47radix_sort_onesweep_sort_config_static_selectorELNS0_4arch9wavefront6targetE1EEEvSG_,"axG",@progbits,_ZN7rocprim17ROCPRIM_400000_NS6detail17trampoline_kernelINS0_14default_configENS1_35radix_sort_onesweep_config_selectorIdlEEZZNS1_29radix_sort_onesweep_iterationIS3_Lb0EPdS7_N6thrust23THRUST_200600_302600_NS10device_ptrIlEESB_jNS0_19identity_decomposerENS1_16block_id_wrapperIjLb1EEEEE10hipError_tT1_PNSt15iterator_traitsISG_E10value_typeET2_T3_PNSH_ISM_E10value_typeET4_T5_PSR_SS_PNS1_23onesweep_lookback_stateEbbT6_jjT7_P12ihipStream_tbENKUlT_T0_SG_SL_E_clIS7_S7_SB_SB_EEDaSZ_S10_SG_SL_EUlSZ_E_NS1_11comp_targetILNS1_3genE0ELNS1_11target_archE4294967295ELNS1_3gpuE0ELNS1_3repE0EEENS1_47radix_sort_onesweep_sort_config_static_selectorELNS0_4arch9wavefront6targetE1EEEvSG_,comdat
	.protected	_ZN7rocprim17ROCPRIM_400000_NS6detail17trampoline_kernelINS0_14default_configENS1_35radix_sort_onesweep_config_selectorIdlEEZZNS1_29radix_sort_onesweep_iterationIS3_Lb0EPdS7_N6thrust23THRUST_200600_302600_NS10device_ptrIlEESB_jNS0_19identity_decomposerENS1_16block_id_wrapperIjLb1EEEEE10hipError_tT1_PNSt15iterator_traitsISG_E10value_typeET2_T3_PNSH_ISM_E10value_typeET4_T5_PSR_SS_PNS1_23onesweep_lookback_stateEbbT6_jjT7_P12ihipStream_tbENKUlT_T0_SG_SL_E_clIS7_S7_SB_SB_EEDaSZ_S10_SG_SL_EUlSZ_E_NS1_11comp_targetILNS1_3genE0ELNS1_11target_archE4294967295ELNS1_3gpuE0ELNS1_3repE0EEENS1_47radix_sort_onesweep_sort_config_static_selectorELNS0_4arch9wavefront6targetE1EEEvSG_ ; -- Begin function _ZN7rocprim17ROCPRIM_400000_NS6detail17trampoline_kernelINS0_14default_configENS1_35radix_sort_onesweep_config_selectorIdlEEZZNS1_29radix_sort_onesweep_iterationIS3_Lb0EPdS7_N6thrust23THRUST_200600_302600_NS10device_ptrIlEESB_jNS0_19identity_decomposerENS1_16block_id_wrapperIjLb1EEEEE10hipError_tT1_PNSt15iterator_traitsISG_E10value_typeET2_T3_PNSH_ISM_E10value_typeET4_T5_PSR_SS_PNS1_23onesweep_lookback_stateEbbT6_jjT7_P12ihipStream_tbENKUlT_T0_SG_SL_E_clIS7_S7_SB_SB_EEDaSZ_S10_SG_SL_EUlSZ_E_NS1_11comp_targetILNS1_3genE0ELNS1_11target_archE4294967295ELNS1_3gpuE0ELNS1_3repE0EEENS1_47radix_sort_onesweep_sort_config_static_selectorELNS0_4arch9wavefront6targetE1EEEvSG_
	.globl	_ZN7rocprim17ROCPRIM_400000_NS6detail17trampoline_kernelINS0_14default_configENS1_35radix_sort_onesweep_config_selectorIdlEEZZNS1_29radix_sort_onesweep_iterationIS3_Lb0EPdS7_N6thrust23THRUST_200600_302600_NS10device_ptrIlEESB_jNS0_19identity_decomposerENS1_16block_id_wrapperIjLb1EEEEE10hipError_tT1_PNSt15iterator_traitsISG_E10value_typeET2_T3_PNSH_ISM_E10value_typeET4_T5_PSR_SS_PNS1_23onesweep_lookback_stateEbbT6_jjT7_P12ihipStream_tbENKUlT_T0_SG_SL_E_clIS7_S7_SB_SB_EEDaSZ_S10_SG_SL_EUlSZ_E_NS1_11comp_targetILNS1_3genE0ELNS1_11target_archE4294967295ELNS1_3gpuE0ELNS1_3repE0EEENS1_47radix_sort_onesweep_sort_config_static_selectorELNS0_4arch9wavefront6targetE1EEEvSG_
	.p2align	8
	.type	_ZN7rocprim17ROCPRIM_400000_NS6detail17trampoline_kernelINS0_14default_configENS1_35radix_sort_onesweep_config_selectorIdlEEZZNS1_29radix_sort_onesweep_iterationIS3_Lb0EPdS7_N6thrust23THRUST_200600_302600_NS10device_ptrIlEESB_jNS0_19identity_decomposerENS1_16block_id_wrapperIjLb1EEEEE10hipError_tT1_PNSt15iterator_traitsISG_E10value_typeET2_T3_PNSH_ISM_E10value_typeET4_T5_PSR_SS_PNS1_23onesweep_lookback_stateEbbT6_jjT7_P12ihipStream_tbENKUlT_T0_SG_SL_E_clIS7_S7_SB_SB_EEDaSZ_S10_SG_SL_EUlSZ_E_NS1_11comp_targetILNS1_3genE0ELNS1_11target_archE4294967295ELNS1_3gpuE0ELNS1_3repE0EEENS1_47radix_sort_onesweep_sort_config_static_selectorELNS0_4arch9wavefront6targetE1EEEvSG_,@function
_ZN7rocprim17ROCPRIM_400000_NS6detail17trampoline_kernelINS0_14default_configENS1_35radix_sort_onesweep_config_selectorIdlEEZZNS1_29radix_sort_onesweep_iterationIS3_Lb0EPdS7_N6thrust23THRUST_200600_302600_NS10device_ptrIlEESB_jNS0_19identity_decomposerENS1_16block_id_wrapperIjLb1EEEEE10hipError_tT1_PNSt15iterator_traitsISG_E10value_typeET2_T3_PNSH_ISM_E10value_typeET4_T5_PSR_SS_PNS1_23onesweep_lookback_stateEbbT6_jjT7_P12ihipStream_tbENKUlT_T0_SG_SL_E_clIS7_S7_SB_SB_EEDaSZ_S10_SG_SL_EUlSZ_E_NS1_11comp_targetILNS1_3genE0ELNS1_11target_archE4294967295ELNS1_3gpuE0ELNS1_3repE0EEENS1_47radix_sort_onesweep_sort_config_static_selectorELNS0_4arch9wavefront6targetE1EEEvSG_: ; @_ZN7rocprim17ROCPRIM_400000_NS6detail17trampoline_kernelINS0_14default_configENS1_35radix_sort_onesweep_config_selectorIdlEEZZNS1_29radix_sort_onesweep_iterationIS3_Lb0EPdS7_N6thrust23THRUST_200600_302600_NS10device_ptrIlEESB_jNS0_19identity_decomposerENS1_16block_id_wrapperIjLb1EEEEE10hipError_tT1_PNSt15iterator_traitsISG_E10value_typeET2_T3_PNSH_ISM_E10value_typeET4_T5_PSR_SS_PNS1_23onesweep_lookback_stateEbbT6_jjT7_P12ihipStream_tbENKUlT_T0_SG_SL_E_clIS7_S7_SB_SB_EEDaSZ_S10_SG_SL_EUlSZ_E_NS1_11comp_targetILNS1_3genE0ELNS1_11target_archE4294967295ELNS1_3gpuE0ELNS1_3repE0EEENS1_47radix_sort_onesweep_sort_config_static_selectorELNS0_4arch9wavefront6targetE1EEEvSG_
; %bb.0:
	.section	.rodata,"a",@progbits
	.p2align	6, 0x0
	.amdhsa_kernel _ZN7rocprim17ROCPRIM_400000_NS6detail17trampoline_kernelINS0_14default_configENS1_35radix_sort_onesweep_config_selectorIdlEEZZNS1_29radix_sort_onesweep_iterationIS3_Lb0EPdS7_N6thrust23THRUST_200600_302600_NS10device_ptrIlEESB_jNS0_19identity_decomposerENS1_16block_id_wrapperIjLb1EEEEE10hipError_tT1_PNSt15iterator_traitsISG_E10value_typeET2_T3_PNSH_ISM_E10value_typeET4_T5_PSR_SS_PNS1_23onesweep_lookback_stateEbbT6_jjT7_P12ihipStream_tbENKUlT_T0_SG_SL_E_clIS7_S7_SB_SB_EEDaSZ_S10_SG_SL_EUlSZ_E_NS1_11comp_targetILNS1_3genE0ELNS1_11target_archE4294967295ELNS1_3gpuE0ELNS1_3repE0EEENS1_47radix_sort_onesweep_sort_config_static_selectorELNS0_4arch9wavefront6targetE1EEEvSG_
		.amdhsa_group_segment_fixed_size 0
		.amdhsa_private_segment_fixed_size 0
		.amdhsa_kernarg_size 88
		.amdhsa_user_sgpr_count 6
		.amdhsa_user_sgpr_private_segment_buffer 1
		.amdhsa_user_sgpr_dispatch_ptr 0
		.amdhsa_user_sgpr_queue_ptr 0
		.amdhsa_user_sgpr_kernarg_segment_ptr 1
		.amdhsa_user_sgpr_dispatch_id 0
		.amdhsa_user_sgpr_flat_scratch_init 0
		.amdhsa_user_sgpr_kernarg_preload_length 0
		.amdhsa_user_sgpr_kernarg_preload_offset 0
		.amdhsa_user_sgpr_private_segment_size 0
		.amdhsa_uses_dynamic_stack 0
		.amdhsa_system_sgpr_private_segment_wavefront_offset 0
		.amdhsa_system_sgpr_workgroup_id_x 1
		.amdhsa_system_sgpr_workgroup_id_y 0
		.amdhsa_system_sgpr_workgroup_id_z 0
		.amdhsa_system_sgpr_workgroup_info 0
		.amdhsa_system_vgpr_workitem_id 0
		.amdhsa_next_free_vgpr 1
		.amdhsa_next_free_sgpr 0
		.amdhsa_accum_offset 4
		.amdhsa_reserve_vcc 0
		.amdhsa_reserve_flat_scratch 0
		.amdhsa_float_round_mode_32 0
		.amdhsa_float_round_mode_16_64 0
		.amdhsa_float_denorm_mode_32 3
		.amdhsa_float_denorm_mode_16_64 3
		.amdhsa_dx10_clamp 1
		.amdhsa_ieee_mode 1
		.amdhsa_fp16_overflow 0
		.amdhsa_tg_split 0
		.amdhsa_exception_fp_ieee_invalid_op 0
		.amdhsa_exception_fp_denorm_src 0
		.amdhsa_exception_fp_ieee_div_zero 0
		.amdhsa_exception_fp_ieee_overflow 0
		.amdhsa_exception_fp_ieee_underflow 0
		.amdhsa_exception_fp_ieee_inexact 0
		.amdhsa_exception_int_div_zero 0
	.end_amdhsa_kernel
	.section	.text._ZN7rocprim17ROCPRIM_400000_NS6detail17trampoline_kernelINS0_14default_configENS1_35radix_sort_onesweep_config_selectorIdlEEZZNS1_29radix_sort_onesweep_iterationIS3_Lb0EPdS7_N6thrust23THRUST_200600_302600_NS10device_ptrIlEESB_jNS0_19identity_decomposerENS1_16block_id_wrapperIjLb1EEEEE10hipError_tT1_PNSt15iterator_traitsISG_E10value_typeET2_T3_PNSH_ISM_E10value_typeET4_T5_PSR_SS_PNS1_23onesweep_lookback_stateEbbT6_jjT7_P12ihipStream_tbENKUlT_T0_SG_SL_E_clIS7_S7_SB_SB_EEDaSZ_S10_SG_SL_EUlSZ_E_NS1_11comp_targetILNS1_3genE0ELNS1_11target_archE4294967295ELNS1_3gpuE0ELNS1_3repE0EEENS1_47radix_sort_onesweep_sort_config_static_selectorELNS0_4arch9wavefront6targetE1EEEvSG_,"axG",@progbits,_ZN7rocprim17ROCPRIM_400000_NS6detail17trampoline_kernelINS0_14default_configENS1_35radix_sort_onesweep_config_selectorIdlEEZZNS1_29radix_sort_onesweep_iterationIS3_Lb0EPdS7_N6thrust23THRUST_200600_302600_NS10device_ptrIlEESB_jNS0_19identity_decomposerENS1_16block_id_wrapperIjLb1EEEEE10hipError_tT1_PNSt15iterator_traitsISG_E10value_typeET2_T3_PNSH_ISM_E10value_typeET4_T5_PSR_SS_PNS1_23onesweep_lookback_stateEbbT6_jjT7_P12ihipStream_tbENKUlT_T0_SG_SL_E_clIS7_S7_SB_SB_EEDaSZ_S10_SG_SL_EUlSZ_E_NS1_11comp_targetILNS1_3genE0ELNS1_11target_archE4294967295ELNS1_3gpuE0ELNS1_3repE0EEENS1_47radix_sort_onesweep_sort_config_static_selectorELNS0_4arch9wavefront6targetE1EEEvSG_,comdat
.Lfunc_end1616:
	.size	_ZN7rocprim17ROCPRIM_400000_NS6detail17trampoline_kernelINS0_14default_configENS1_35radix_sort_onesweep_config_selectorIdlEEZZNS1_29radix_sort_onesweep_iterationIS3_Lb0EPdS7_N6thrust23THRUST_200600_302600_NS10device_ptrIlEESB_jNS0_19identity_decomposerENS1_16block_id_wrapperIjLb1EEEEE10hipError_tT1_PNSt15iterator_traitsISG_E10value_typeET2_T3_PNSH_ISM_E10value_typeET4_T5_PSR_SS_PNS1_23onesweep_lookback_stateEbbT6_jjT7_P12ihipStream_tbENKUlT_T0_SG_SL_E_clIS7_S7_SB_SB_EEDaSZ_S10_SG_SL_EUlSZ_E_NS1_11comp_targetILNS1_3genE0ELNS1_11target_archE4294967295ELNS1_3gpuE0ELNS1_3repE0EEENS1_47radix_sort_onesweep_sort_config_static_selectorELNS0_4arch9wavefront6targetE1EEEvSG_, .Lfunc_end1616-_ZN7rocprim17ROCPRIM_400000_NS6detail17trampoline_kernelINS0_14default_configENS1_35radix_sort_onesweep_config_selectorIdlEEZZNS1_29radix_sort_onesweep_iterationIS3_Lb0EPdS7_N6thrust23THRUST_200600_302600_NS10device_ptrIlEESB_jNS0_19identity_decomposerENS1_16block_id_wrapperIjLb1EEEEE10hipError_tT1_PNSt15iterator_traitsISG_E10value_typeET2_T3_PNSH_ISM_E10value_typeET4_T5_PSR_SS_PNS1_23onesweep_lookback_stateEbbT6_jjT7_P12ihipStream_tbENKUlT_T0_SG_SL_E_clIS7_S7_SB_SB_EEDaSZ_S10_SG_SL_EUlSZ_E_NS1_11comp_targetILNS1_3genE0ELNS1_11target_archE4294967295ELNS1_3gpuE0ELNS1_3repE0EEENS1_47radix_sort_onesweep_sort_config_static_selectorELNS0_4arch9wavefront6targetE1EEEvSG_
                                        ; -- End function
	.section	.AMDGPU.csdata,"",@progbits
; Kernel info:
; codeLenInByte = 0
; NumSgprs: 4
; NumVgprs: 0
; NumAgprs: 0
; TotalNumVgprs: 0
; ScratchSize: 0
; MemoryBound: 0
; FloatMode: 240
; IeeeMode: 1
; LDSByteSize: 0 bytes/workgroup (compile time only)
; SGPRBlocks: 0
; VGPRBlocks: 0
; NumSGPRsForWavesPerEU: 4
; NumVGPRsForWavesPerEU: 1
; AccumOffset: 4
; Occupancy: 8
; WaveLimiterHint : 0
; COMPUTE_PGM_RSRC2:SCRATCH_EN: 0
; COMPUTE_PGM_RSRC2:USER_SGPR: 6
; COMPUTE_PGM_RSRC2:TRAP_HANDLER: 0
; COMPUTE_PGM_RSRC2:TGID_X_EN: 1
; COMPUTE_PGM_RSRC2:TGID_Y_EN: 0
; COMPUTE_PGM_RSRC2:TGID_Z_EN: 0
; COMPUTE_PGM_RSRC2:TIDIG_COMP_CNT: 0
; COMPUTE_PGM_RSRC3_GFX90A:ACCUM_OFFSET: 0
; COMPUTE_PGM_RSRC3_GFX90A:TG_SPLIT: 0
	.section	.text._ZN7rocprim17ROCPRIM_400000_NS6detail17trampoline_kernelINS0_14default_configENS1_35radix_sort_onesweep_config_selectorIdlEEZZNS1_29radix_sort_onesweep_iterationIS3_Lb0EPdS7_N6thrust23THRUST_200600_302600_NS10device_ptrIlEESB_jNS0_19identity_decomposerENS1_16block_id_wrapperIjLb1EEEEE10hipError_tT1_PNSt15iterator_traitsISG_E10value_typeET2_T3_PNSH_ISM_E10value_typeET4_T5_PSR_SS_PNS1_23onesweep_lookback_stateEbbT6_jjT7_P12ihipStream_tbENKUlT_T0_SG_SL_E_clIS7_S7_SB_SB_EEDaSZ_S10_SG_SL_EUlSZ_E_NS1_11comp_targetILNS1_3genE6ELNS1_11target_archE950ELNS1_3gpuE13ELNS1_3repE0EEENS1_47radix_sort_onesweep_sort_config_static_selectorELNS0_4arch9wavefront6targetE1EEEvSG_,"axG",@progbits,_ZN7rocprim17ROCPRIM_400000_NS6detail17trampoline_kernelINS0_14default_configENS1_35radix_sort_onesweep_config_selectorIdlEEZZNS1_29radix_sort_onesweep_iterationIS3_Lb0EPdS7_N6thrust23THRUST_200600_302600_NS10device_ptrIlEESB_jNS0_19identity_decomposerENS1_16block_id_wrapperIjLb1EEEEE10hipError_tT1_PNSt15iterator_traitsISG_E10value_typeET2_T3_PNSH_ISM_E10value_typeET4_T5_PSR_SS_PNS1_23onesweep_lookback_stateEbbT6_jjT7_P12ihipStream_tbENKUlT_T0_SG_SL_E_clIS7_S7_SB_SB_EEDaSZ_S10_SG_SL_EUlSZ_E_NS1_11comp_targetILNS1_3genE6ELNS1_11target_archE950ELNS1_3gpuE13ELNS1_3repE0EEENS1_47radix_sort_onesweep_sort_config_static_selectorELNS0_4arch9wavefront6targetE1EEEvSG_,comdat
	.protected	_ZN7rocprim17ROCPRIM_400000_NS6detail17trampoline_kernelINS0_14default_configENS1_35radix_sort_onesweep_config_selectorIdlEEZZNS1_29radix_sort_onesweep_iterationIS3_Lb0EPdS7_N6thrust23THRUST_200600_302600_NS10device_ptrIlEESB_jNS0_19identity_decomposerENS1_16block_id_wrapperIjLb1EEEEE10hipError_tT1_PNSt15iterator_traitsISG_E10value_typeET2_T3_PNSH_ISM_E10value_typeET4_T5_PSR_SS_PNS1_23onesweep_lookback_stateEbbT6_jjT7_P12ihipStream_tbENKUlT_T0_SG_SL_E_clIS7_S7_SB_SB_EEDaSZ_S10_SG_SL_EUlSZ_E_NS1_11comp_targetILNS1_3genE6ELNS1_11target_archE950ELNS1_3gpuE13ELNS1_3repE0EEENS1_47radix_sort_onesweep_sort_config_static_selectorELNS0_4arch9wavefront6targetE1EEEvSG_ ; -- Begin function _ZN7rocprim17ROCPRIM_400000_NS6detail17trampoline_kernelINS0_14default_configENS1_35radix_sort_onesweep_config_selectorIdlEEZZNS1_29radix_sort_onesweep_iterationIS3_Lb0EPdS7_N6thrust23THRUST_200600_302600_NS10device_ptrIlEESB_jNS0_19identity_decomposerENS1_16block_id_wrapperIjLb1EEEEE10hipError_tT1_PNSt15iterator_traitsISG_E10value_typeET2_T3_PNSH_ISM_E10value_typeET4_T5_PSR_SS_PNS1_23onesweep_lookback_stateEbbT6_jjT7_P12ihipStream_tbENKUlT_T0_SG_SL_E_clIS7_S7_SB_SB_EEDaSZ_S10_SG_SL_EUlSZ_E_NS1_11comp_targetILNS1_3genE6ELNS1_11target_archE950ELNS1_3gpuE13ELNS1_3repE0EEENS1_47radix_sort_onesweep_sort_config_static_selectorELNS0_4arch9wavefront6targetE1EEEvSG_
	.globl	_ZN7rocprim17ROCPRIM_400000_NS6detail17trampoline_kernelINS0_14default_configENS1_35radix_sort_onesweep_config_selectorIdlEEZZNS1_29radix_sort_onesweep_iterationIS3_Lb0EPdS7_N6thrust23THRUST_200600_302600_NS10device_ptrIlEESB_jNS0_19identity_decomposerENS1_16block_id_wrapperIjLb1EEEEE10hipError_tT1_PNSt15iterator_traitsISG_E10value_typeET2_T3_PNSH_ISM_E10value_typeET4_T5_PSR_SS_PNS1_23onesweep_lookback_stateEbbT6_jjT7_P12ihipStream_tbENKUlT_T0_SG_SL_E_clIS7_S7_SB_SB_EEDaSZ_S10_SG_SL_EUlSZ_E_NS1_11comp_targetILNS1_3genE6ELNS1_11target_archE950ELNS1_3gpuE13ELNS1_3repE0EEENS1_47radix_sort_onesweep_sort_config_static_selectorELNS0_4arch9wavefront6targetE1EEEvSG_
	.p2align	8
	.type	_ZN7rocprim17ROCPRIM_400000_NS6detail17trampoline_kernelINS0_14default_configENS1_35radix_sort_onesweep_config_selectorIdlEEZZNS1_29radix_sort_onesweep_iterationIS3_Lb0EPdS7_N6thrust23THRUST_200600_302600_NS10device_ptrIlEESB_jNS0_19identity_decomposerENS1_16block_id_wrapperIjLb1EEEEE10hipError_tT1_PNSt15iterator_traitsISG_E10value_typeET2_T3_PNSH_ISM_E10value_typeET4_T5_PSR_SS_PNS1_23onesweep_lookback_stateEbbT6_jjT7_P12ihipStream_tbENKUlT_T0_SG_SL_E_clIS7_S7_SB_SB_EEDaSZ_S10_SG_SL_EUlSZ_E_NS1_11comp_targetILNS1_3genE6ELNS1_11target_archE950ELNS1_3gpuE13ELNS1_3repE0EEENS1_47radix_sort_onesweep_sort_config_static_selectorELNS0_4arch9wavefront6targetE1EEEvSG_,@function
_ZN7rocprim17ROCPRIM_400000_NS6detail17trampoline_kernelINS0_14default_configENS1_35radix_sort_onesweep_config_selectorIdlEEZZNS1_29radix_sort_onesweep_iterationIS3_Lb0EPdS7_N6thrust23THRUST_200600_302600_NS10device_ptrIlEESB_jNS0_19identity_decomposerENS1_16block_id_wrapperIjLb1EEEEE10hipError_tT1_PNSt15iterator_traitsISG_E10value_typeET2_T3_PNSH_ISM_E10value_typeET4_T5_PSR_SS_PNS1_23onesweep_lookback_stateEbbT6_jjT7_P12ihipStream_tbENKUlT_T0_SG_SL_E_clIS7_S7_SB_SB_EEDaSZ_S10_SG_SL_EUlSZ_E_NS1_11comp_targetILNS1_3genE6ELNS1_11target_archE950ELNS1_3gpuE13ELNS1_3repE0EEENS1_47radix_sort_onesweep_sort_config_static_selectorELNS0_4arch9wavefront6targetE1EEEvSG_: ; @_ZN7rocprim17ROCPRIM_400000_NS6detail17trampoline_kernelINS0_14default_configENS1_35radix_sort_onesweep_config_selectorIdlEEZZNS1_29radix_sort_onesweep_iterationIS3_Lb0EPdS7_N6thrust23THRUST_200600_302600_NS10device_ptrIlEESB_jNS0_19identity_decomposerENS1_16block_id_wrapperIjLb1EEEEE10hipError_tT1_PNSt15iterator_traitsISG_E10value_typeET2_T3_PNSH_ISM_E10value_typeET4_T5_PSR_SS_PNS1_23onesweep_lookback_stateEbbT6_jjT7_P12ihipStream_tbENKUlT_T0_SG_SL_E_clIS7_S7_SB_SB_EEDaSZ_S10_SG_SL_EUlSZ_E_NS1_11comp_targetILNS1_3genE6ELNS1_11target_archE950ELNS1_3gpuE13ELNS1_3repE0EEENS1_47radix_sort_onesweep_sort_config_static_selectorELNS0_4arch9wavefront6targetE1EEEvSG_
; %bb.0:
	.section	.rodata,"a",@progbits
	.p2align	6, 0x0
	.amdhsa_kernel _ZN7rocprim17ROCPRIM_400000_NS6detail17trampoline_kernelINS0_14default_configENS1_35radix_sort_onesweep_config_selectorIdlEEZZNS1_29radix_sort_onesweep_iterationIS3_Lb0EPdS7_N6thrust23THRUST_200600_302600_NS10device_ptrIlEESB_jNS0_19identity_decomposerENS1_16block_id_wrapperIjLb1EEEEE10hipError_tT1_PNSt15iterator_traitsISG_E10value_typeET2_T3_PNSH_ISM_E10value_typeET4_T5_PSR_SS_PNS1_23onesweep_lookback_stateEbbT6_jjT7_P12ihipStream_tbENKUlT_T0_SG_SL_E_clIS7_S7_SB_SB_EEDaSZ_S10_SG_SL_EUlSZ_E_NS1_11comp_targetILNS1_3genE6ELNS1_11target_archE950ELNS1_3gpuE13ELNS1_3repE0EEENS1_47radix_sort_onesweep_sort_config_static_selectorELNS0_4arch9wavefront6targetE1EEEvSG_
		.amdhsa_group_segment_fixed_size 0
		.amdhsa_private_segment_fixed_size 0
		.amdhsa_kernarg_size 88
		.amdhsa_user_sgpr_count 6
		.amdhsa_user_sgpr_private_segment_buffer 1
		.amdhsa_user_sgpr_dispatch_ptr 0
		.amdhsa_user_sgpr_queue_ptr 0
		.amdhsa_user_sgpr_kernarg_segment_ptr 1
		.amdhsa_user_sgpr_dispatch_id 0
		.amdhsa_user_sgpr_flat_scratch_init 0
		.amdhsa_user_sgpr_kernarg_preload_length 0
		.amdhsa_user_sgpr_kernarg_preload_offset 0
		.amdhsa_user_sgpr_private_segment_size 0
		.amdhsa_uses_dynamic_stack 0
		.amdhsa_system_sgpr_private_segment_wavefront_offset 0
		.amdhsa_system_sgpr_workgroup_id_x 1
		.amdhsa_system_sgpr_workgroup_id_y 0
		.amdhsa_system_sgpr_workgroup_id_z 0
		.amdhsa_system_sgpr_workgroup_info 0
		.amdhsa_system_vgpr_workitem_id 0
		.amdhsa_next_free_vgpr 1
		.amdhsa_next_free_sgpr 0
		.amdhsa_accum_offset 4
		.amdhsa_reserve_vcc 0
		.amdhsa_reserve_flat_scratch 0
		.amdhsa_float_round_mode_32 0
		.amdhsa_float_round_mode_16_64 0
		.amdhsa_float_denorm_mode_32 3
		.amdhsa_float_denorm_mode_16_64 3
		.amdhsa_dx10_clamp 1
		.amdhsa_ieee_mode 1
		.amdhsa_fp16_overflow 0
		.amdhsa_tg_split 0
		.amdhsa_exception_fp_ieee_invalid_op 0
		.amdhsa_exception_fp_denorm_src 0
		.amdhsa_exception_fp_ieee_div_zero 0
		.amdhsa_exception_fp_ieee_overflow 0
		.amdhsa_exception_fp_ieee_underflow 0
		.amdhsa_exception_fp_ieee_inexact 0
		.amdhsa_exception_int_div_zero 0
	.end_amdhsa_kernel
	.section	.text._ZN7rocprim17ROCPRIM_400000_NS6detail17trampoline_kernelINS0_14default_configENS1_35radix_sort_onesweep_config_selectorIdlEEZZNS1_29radix_sort_onesweep_iterationIS3_Lb0EPdS7_N6thrust23THRUST_200600_302600_NS10device_ptrIlEESB_jNS0_19identity_decomposerENS1_16block_id_wrapperIjLb1EEEEE10hipError_tT1_PNSt15iterator_traitsISG_E10value_typeET2_T3_PNSH_ISM_E10value_typeET4_T5_PSR_SS_PNS1_23onesweep_lookback_stateEbbT6_jjT7_P12ihipStream_tbENKUlT_T0_SG_SL_E_clIS7_S7_SB_SB_EEDaSZ_S10_SG_SL_EUlSZ_E_NS1_11comp_targetILNS1_3genE6ELNS1_11target_archE950ELNS1_3gpuE13ELNS1_3repE0EEENS1_47radix_sort_onesweep_sort_config_static_selectorELNS0_4arch9wavefront6targetE1EEEvSG_,"axG",@progbits,_ZN7rocprim17ROCPRIM_400000_NS6detail17trampoline_kernelINS0_14default_configENS1_35radix_sort_onesweep_config_selectorIdlEEZZNS1_29radix_sort_onesweep_iterationIS3_Lb0EPdS7_N6thrust23THRUST_200600_302600_NS10device_ptrIlEESB_jNS0_19identity_decomposerENS1_16block_id_wrapperIjLb1EEEEE10hipError_tT1_PNSt15iterator_traitsISG_E10value_typeET2_T3_PNSH_ISM_E10value_typeET4_T5_PSR_SS_PNS1_23onesweep_lookback_stateEbbT6_jjT7_P12ihipStream_tbENKUlT_T0_SG_SL_E_clIS7_S7_SB_SB_EEDaSZ_S10_SG_SL_EUlSZ_E_NS1_11comp_targetILNS1_3genE6ELNS1_11target_archE950ELNS1_3gpuE13ELNS1_3repE0EEENS1_47radix_sort_onesweep_sort_config_static_selectorELNS0_4arch9wavefront6targetE1EEEvSG_,comdat
.Lfunc_end1617:
	.size	_ZN7rocprim17ROCPRIM_400000_NS6detail17trampoline_kernelINS0_14default_configENS1_35radix_sort_onesweep_config_selectorIdlEEZZNS1_29radix_sort_onesweep_iterationIS3_Lb0EPdS7_N6thrust23THRUST_200600_302600_NS10device_ptrIlEESB_jNS0_19identity_decomposerENS1_16block_id_wrapperIjLb1EEEEE10hipError_tT1_PNSt15iterator_traitsISG_E10value_typeET2_T3_PNSH_ISM_E10value_typeET4_T5_PSR_SS_PNS1_23onesweep_lookback_stateEbbT6_jjT7_P12ihipStream_tbENKUlT_T0_SG_SL_E_clIS7_S7_SB_SB_EEDaSZ_S10_SG_SL_EUlSZ_E_NS1_11comp_targetILNS1_3genE6ELNS1_11target_archE950ELNS1_3gpuE13ELNS1_3repE0EEENS1_47radix_sort_onesweep_sort_config_static_selectorELNS0_4arch9wavefront6targetE1EEEvSG_, .Lfunc_end1617-_ZN7rocprim17ROCPRIM_400000_NS6detail17trampoline_kernelINS0_14default_configENS1_35radix_sort_onesweep_config_selectorIdlEEZZNS1_29radix_sort_onesweep_iterationIS3_Lb0EPdS7_N6thrust23THRUST_200600_302600_NS10device_ptrIlEESB_jNS0_19identity_decomposerENS1_16block_id_wrapperIjLb1EEEEE10hipError_tT1_PNSt15iterator_traitsISG_E10value_typeET2_T3_PNSH_ISM_E10value_typeET4_T5_PSR_SS_PNS1_23onesweep_lookback_stateEbbT6_jjT7_P12ihipStream_tbENKUlT_T0_SG_SL_E_clIS7_S7_SB_SB_EEDaSZ_S10_SG_SL_EUlSZ_E_NS1_11comp_targetILNS1_3genE6ELNS1_11target_archE950ELNS1_3gpuE13ELNS1_3repE0EEENS1_47radix_sort_onesweep_sort_config_static_selectorELNS0_4arch9wavefront6targetE1EEEvSG_
                                        ; -- End function
	.section	.AMDGPU.csdata,"",@progbits
; Kernel info:
; codeLenInByte = 0
; NumSgprs: 4
; NumVgprs: 0
; NumAgprs: 0
; TotalNumVgprs: 0
; ScratchSize: 0
; MemoryBound: 0
; FloatMode: 240
; IeeeMode: 1
; LDSByteSize: 0 bytes/workgroup (compile time only)
; SGPRBlocks: 0
; VGPRBlocks: 0
; NumSGPRsForWavesPerEU: 4
; NumVGPRsForWavesPerEU: 1
; AccumOffset: 4
; Occupancy: 8
; WaveLimiterHint : 0
; COMPUTE_PGM_RSRC2:SCRATCH_EN: 0
; COMPUTE_PGM_RSRC2:USER_SGPR: 6
; COMPUTE_PGM_RSRC2:TRAP_HANDLER: 0
; COMPUTE_PGM_RSRC2:TGID_X_EN: 1
; COMPUTE_PGM_RSRC2:TGID_Y_EN: 0
; COMPUTE_PGM_RSRC2:TGID_Z_EN: 0
; COMPUTE_PGM_RSRC2:TIDIG_COMP_CNT: 0
; COMPUTE_PGM_RSRC3_GFX90A:ACCUM_OFFSET: 0
; COMPUTE_PGM_RSRC3_GFX90A:TG_SPLIT: 0
	.section	.text._ZN7rocprim17ROCPRIM_400000_NS6detail17trampoline_kernelINS0_14default_configENS1_35radix_sort_onesweep_config_selectorIdlEEZZNS1_29radix_sort_onesweep_iterationIS3_Lb0EPdS7_N6thrust23THRUST_200600_302600_NS10device_ptrIlEESB_jNS0_19identity_decomposerENS1_16block_id_wrapperIjLb1EEEEE10hipError_tT1_PNSt15iterator_traitsISG_E10value_typeET2_T3_PNSH_ISM_E10value_typeET4_T5_PSR_SS_PNS1_23onesweep_lookback_stateEbbT6_jjT7_P12ihipStream_tbENKUlT_T0_SG_SL_E_clIS7_S7_SB_SB_EEDaSZ_S10_SG_SL_EUlSZ_E_NS1_11comp_targetILNS1_3genE5ELNS1_11target_archE942ELNS1_3gpuE9ELNS1_3repE0EEENS1_47radix_sort_onesweep_sort_config_static_selectorELNS0_4arch9wavefront6targetE1EEEvSG_,"axG",@progbits,_ZN7rocprim17ROCPRIM_400000_NS6detail17trampoline_kernelINS0_14default_configENS1_35radix_sort_onesweep_config_selectorIdlEEZZNS1_29radix_sort_onesweep_iterationIS3_Lb0EPdS7_N6thrust23THRUST_200600_302600_NS10device_ptrIlEESB_jNS0_19identity_decomposerENS1_16block_id_wrapperIjLb1EEEEE10hipError_tT1_PNSt15iterator_traitsISG_E10value_typeET2_T3_PNSH_ISM_E10value_typeET4_T5_PSR_SS_PNS1_23onesweep_lookback_stateEbbT6_jjT7_P12ihipStream_tbENKUlT_T0_SG_SL_E_clIS7_S7_SB_SB_EEDaSZ_S10_SG_SL_EUlSZ_E_NS1_11comp_targetILNS1_3genE5ELNS1_11target_archE942ELNS1_3gpuE9ELNS1_3repE0EEENS1_47radix_sort_onesweep_sort_config_static_selectorELNS0_4arch9wavefront6targetE1EEEvSG_,comdat
	.protected	_ZN7rocprim17ROCPRIM_400000_NS6detail17trampoline_kernelINS0_14default_configENS1_35radix_sort_onesweep_config_selectorIdlEEZZNS1_29radix_sort_onesweep_iterationIS3_Lb0EPdS7_N6thrust23THRUST_200600_302600_NS10device_ptrIlEESB_jNS0_19identity_decomposerENS1_16block_id_wrapperIjLb1EEEEE10hipError_tT1_PNSt15iterator_traitsISG_E10value_typeET2_T3_PNSH_ISM_E10value_typeET4_T5_PSR_SS_PNS1_23onesweep_lookback_stateEbbT6_jjT7_P12ihipStream_tbENKUlT_T0_SG_SL_E_clIS7_S7_SB_SB_EEDaSZ_S10_SG_SL_EUlSZ_E_NS1_11comp_targetILNS1_3genE5ELNS1_11target_archE942ELNS1_3gpuE9ELNS1_3repE0EEENS1_47radix_sort_onesweep_sort_config_static_selectorELNS0_4arch9wavefront6targetE1EEEvSG_ ; -- Begin function _ZN7rocprim17ROCPRIM_400000_NS6detail17trampoline_kernelINS0_14default_configENS1_35radix_sort_onesweep_config_selectorIdlEEZZNS1_29radix_sort_onesweep_iterationIS3_Lb0EPdS7_N6thrust23THRUST_200600_302600_NS10device_ptrIlEESB_jNS0_19identity_decomposerENS1_16block_id_wrapperIjLb1EEEEE10hipError_tT1_PNSt15iterator_traitsISG_E10value_typeET2_T3_PNSH_ISM_E10value_typeET4_T5_PSR_SS_PNS1_23onesweep_lookback_stateEbbT6_jjT7_P12ihipStream_tbENKUlT_T0_SG_SL_E_clIS7_S7_SB_SB_EEDaSZ_S10_SG_SL_EUlSZ_E_NS1_11comp_targetILNS1_3genE5ELNS1_11target_archE942ELNS1_3gpuE9ELNS1_3repE0EEENS1_47radix_sort_onesweep_sort_config_static_selectorELNS0_4arch9wavefront6targetE1EEEvSG_
	.globl	_ZN7rocprim17ROCPRIM_400000_NS6detail17trampoline_kernelINS0_14default_configENS1_35radix_sort_onesweep_config_selectorIdlEEZZNS1_29radix_sort_onesweep_iterationIS3_Lb0EPdS7_N6thrust23THRUST_200600_302600_NS10device_ptrIlEESB_jNS0_19identity_decomposerENS1_16block_id_wrapperIjLb1EEEEE10hipError_tT1_PNSt15iterator_traitsISG_E10value_typeET2_T3_PNSH_ISM_E10value_typeET4_T5_PSR_SS_PNS1_23onesweep_lookback_stateEbbT6_jjT7_P12ihipStream_tbENKUlT_T0_SG_SL_E_clIS7_S7_SB_SB_EEDaSZ_S10_SG_SL_EUlSZ_E_NS1_11comp_targetILNS1_3genE5ELNS1_11target_archE942ELNS1_3gpuE9ELNS1_3repE0EEENS1_47radix_sort_onesweep_sort_config_static_selectorELNS0_4arch9wavefront6targetE1EEEvSG_
	.p2align	8
	.type	_ZN7rocprim17ROCPRIM_400000_NS6detail17trampoline_kernelINS0_14default_configENS1_35radix_sort_onesweep_config_selectorIdlEEZZNS1_29radix_sort_onesweep_iterationIS3_Lb0EPdS7_N6thrust23THRUST_200600_302600_NS10device_ptrIlEESB_jNS0_19identity_decomposerENS1_16block_id_wrapperIjLb1EEEEE10hipError_tT1_PNSt15iterator_traitsISG_E10value_typeET2_T3_PNSH_ISM_E10value_typeET4_T5_PSR_SS_PNS1_23onesweep_lookback_stateEbbT6_jjT7_P12ihipStream_tbENKUlT_T0_SG_SL_E_clIS7_S7_SB_SB_EEDaSZ_S10_SG_SL_EUlSZ_E_NS1_11comp_targetILNS1_3genE5ELNS1_11target_archE942ELNS1_3gpuE9ELNS1_3repE0EEENS1_47radix_sort_onesweep_sort_config_static_selectorELNS0_4arch9wavefront6targetE1EEEvSG_,@function
_ZN7rocprim17ROCPRIM_400000_NS6detail17trampoline_kernelINS0_14default_configENS1_35radix_sort_onesweep_config_selectorIdlEEZZNS1_29radix_sort_onesweep_iterationIS3_Lb0EPdS7_N6thrust23THRUST_200600_302600_NS10device_ptrIlEESB_jNS0_19identity_decomposerENS1_16block_id_wrapperIjLb1EEEEE10hipError_tT1_PNSt15iterator_traitsISG_E10value_typeET2_T3_PNSH_ISM_E10value_typeET4_T5_PSR_SS_PNS1_23onesweep_lookback_stateEbbT6_jjT7_P12ihipStream_tbENKUlT_T0_SG_SL_E_clIS7_S7_SB_SB_EEDaSZ_S10_SG_SL_EUlSZ_E_NS1_11comp_targetILNS1_3genE5ELNS1_11target_archE942ELNS1_3gpuE9ELNS1_3repE0EEENS1_47radix_sort_onesweep_sort_config_static_selectorELNS0_4arch9wavefront6targetE1EEEvSG_: ; @_ZN7rocprim17ROCPRIM_400000_NS6detail17trampoline_kernelINS0_14default_configENS1_35radix_sort_onesweep_config_selectorIdlEEZZNS1_29radix_sort_onesweep_iterationIS3_Lb0EPdS7_N6thrust23THRUST_200600_302600_NS10device_ptrIlEESB_jNS0_19identity_decomposerENS1_16block_id_wrapperIjLb1EEEEE10hipError_tT1_PNSt15iterator_traitsISG_E10value_typeET2_T3_PNSH_ISM_E10value_typeET4_T5_PSR_SS_PNS1_23onesweep_lookback_stateEbbT6_jjT7_P12ihipStream_tbENKUlT_T0_SG_SL_E_clIS7_S7_SB_SB_EEDaSZ_S10_SG_SL_EUlSZ_E_NS1_11comp_targetILNS1_3genE5ELNS1_11target_archE942ELNS1_3gpuE9ELNS1_3repE0EEENS1_47radix_sort_onesweep_sort_config_static_selectorELNS0_4arch9wavefront6targetE1EEEvSG_
; %bb.0:
	.section	.rodata,"a",@progbits
	.p2align	6, 0x0
	.amdhsa_kernel _ZN7rocprim17ROCPRIM_400000_NS6detail17trampoline_kernelINS0_14default_configENS1_35radix_sort_onesweep_config_selectorIdlEEZZNS1_29radix_sort_onesweep_iterationIS3_Lb0EPdS7_N6thrust23THRUST_200600_302600_NS10device_ptrIlEESB_jNS0_19identity_decomposerENS1_16block_id_wrapperIjLb1EEEEE10hipError_tT1_PNSt15iterator_traitsISG_E10value_typeET2_T3_PNSH_ISM_E10value_typeET4_T5_PSR_SS_PNS1_23onesweep_lookback_stateEbbT6_jjT7_P12ihipStream_tbENKUlT_T0_SG_SL_E_clIS7_S7_SB_SB_EEDaSZ_S10_SG_SL_EUlSZ_E_NS1_11comp_targetILNS1_3genE5ELNS1_11target_archE942ELNS1_3gpuE9ELNS1_3repE0EEENS1_47radix_sort_onesweep_sort_config_static_selectorELNS0_4arch9wavefront6targetE1EEEvSG_
		.amdhsa_group_segment_fixed_size 0
		.amdhsa_private_segment_fixed_size 0
		.amdhsa_kernarg_size 88
		.amdhsa_user_sgpr_count 6
		.amdhsa_user_sgpr_private_segment_buffer 1
		.amdhsa_user_sgpr_dispatch_ptr 0
		.amdhsa_user_sgpr_queue_ptr 0
		.amdhsa_user_sgpr_kernarg_segment_ptr 1
		.amdhsa_user_sgpr_dispatch_id 0
		.amdhsa_user_sgpr_flat_scratch_init 0
		.amdhsa_user_sgpr_kernarg_preload_length 0
		.amdhsa_user_sgpr_kernarg_preload_offset 0
		.amdhsa_user_sgpr_private_segment_size 0
		.amdhsa_uses_dynamic_stack 0
		.amdhsa_system_sgpr_private_segment_wavefront_offset 0
		.amdhsa_system_sgpr_workgroup_id_x 1
		.amdhsa_system_sgpr_workgroup_id_y 0
		.amdhsa_system_sgpr_workgroup_id_z 0
		.amdhsa_system_sgpr_workgroup_info 0
		.amdhsa_system_vgpr_workitem_id 0
		.amdhsa_next_free_vgpr 1
		.amdhsa_next_free_sgpr 0
		.amdhsa_accum_offset 4
		.amdhsa_reserve_vcc 0
		.amdhsa_reserve_flat_scratch 0
		.amdhsa_float_round_mode_32 0
		.amdhsa_float_round_mode_16_64 0
		.amdhsa_float_denorm_mode_32 3
		.amdhsa_float_denorm_mode_16_64 3
		.amdhsa_dx10_clamp 1
		.amdhsa_ieee_mode 1
		.amdhsa_fp16_overflow 0
		.amdhsa_tg_split 0
		.amdhsa_exception_fp_ieee_invalid_op 0
		.amdhsa_exception_fp_denorm_src 0
		.amdhsa_exception_fp_ieee_div_zero 0
		.amdhsa_exception_fp_ieee_overflow 0
		.amdhsa_exception_fp_ieee_underflow 0
		.amdhsa_exception_fp_ieee_inexact 0
		.amdhsa_exception_int_div_zero 0
	.end_amdhsa_kernel
	.section	.text._ZN7rocprim17ROCPRIM_400000_NS6detail17trampoline_kernelINS0_14default_configENS1_35radix_sort_onesweep_config_selectorIdlEEZZNS1_29radix_sort_onesweep_iterationIS3_Lb0EPdS7_N6thrust23THRUST_200600_302600_NS10device_ptrIlEESB_jNS0_19identity_decomposerENS1_16block_id_wrapperIjLb1EEEEE10hipError_tT1_PNSt15iterator_traitsISG_E10value_typeET2_T3_PNSH_ISM_E10value_typeET4_T5_PSR_SS_PNS1_23onesweep_lookback_stateEbbT6_jjT7_P12ihipStream_tbENKUlT_T0_SG_SL_E_clIS7_S7_SB_SB_EEDaSZ_S10_SG_SL_EUlSZ_E_NS1_11comp_targetILNS1_3genE5ELNS1_11target_archE942ELNS1_3gpuE9ELNS1_3repE0EEENS1_47radix_sort_onesweep_sort_config_static_selectorELNS0_4arch9wavefront6targetE1EEEvSG_,"axG",@progbits,_ZN7rocprim17ROCPRIM_400000_NS6detail17trampoline_kernelINS0_14default_configENS1_35radix_sort_onesweep_config_selectorIdlEEZZNS1_29radix_sort_onesweep_iterationIS3_Lb0EPdS7_N6thrust23THRUST_200600_302600_NS10device_ptrIlEESB_jNS0_19identity_decomposerENS1_16block_id_wrapperIjLb1EEEEE10hipError_tT1_PNSt15iterator_traitsISG_E10value_typeET2_T3_PNSH_ISM_E10value_typeET4_T5_PSR_SS_PNS1_23onesweep_lookback_stateEbbT6_jjT7_P12ihipStream_tbENKUlT_T0_SG_SL_E_clIS7_S7_SB_SB_EEDaSZ_S10_SG_SL_EUlSZ_E_NS1_11comp_targetILNS1_3genE5ELNS1_11target_archE942ELNS1_3gpuE9ELNS1_3repE0EEENS1_47radix_sort_onesweep_sort_config_static_selectorELNS0_4arch9wavefront6targetE1EEEvSG_,comdat
.Lfunc_end1618:
	.size	_ZN7rocprim17ROCPRIM_400000_NS6detail17trampoline_kernelINS0_14default_configENS1_35radix_sort_onesweep_config_selectorIdlEEZZNS1_29radix_sort_onesweep_iterationIS3_Lb0EPdS7_N6thrust23THRUST_200600_302600_NS10device_ptrIlEESB_jNS0_19identity_decomposerENS1_16block_id_wrapperIjLb1EEEEE10hipError_tT1_PNSt15iterator_traitsISG_E10value_typeET2_T3_PNSH_ISM_E10value_typeET4_T5_PSR_SS_PNS1_23onesweep_lookback_stateEbbT6_jjT7_P12ihipStream_tbENKUlT_T0_SG_SL_E_clIS7_S7_SB_SB_EEDaSZ_S10_SG_SL_EUlSZ_E_NS1_11comp_targetILNS1_3genE5ELNS1_11target_archE942ELNS1_3gpuE9ELNS1_3repE0EEENS1_47radix_sort_onesweep_sort_config_static_selectorELNS0_4arch9wavefront6targetE1EEEvSG_, .Lfunc_end1618-_ZN7rocprim17ROCPRIM_400000_NS6detail17trampoline_kernelINS0_14default_configENS1_35radix_sort_onesweep_config_selectorIdlEEZZNS1_29radix_sort_onesweep_iterationIS3_Lb0EPdS7_N6thrust23THRUST_200600_302600_NS10device_ptrIlEESB_jNS0_19identity_decomposerENS1_16block_id_wrapperIjLb1EEEEE10hipError_tT1_PNSt15iterator_traitsISG_E10value_typeET2_T3_PNSH_ISM_E10value_typeET4_T5_PSR_SS_PNS1_23onesweep_lookback_stateEbbT6_jjT7_P12ihipStream_tbENKUlT_T0_SG_SL_E_clIS7_S7_SB_SB_EEDaSZ_S10_SG_SL_EUlSZ_E_NS1_11comp_targetILNS1_3genE5ELNS1_11target_archE942ELNS1_3gpuE9ELNS1_3repE0EEENS1_47radix_sort_onesweep_sort_config_static_selectorELNS0_4arch9wavefront6targetE1EEEvSG_
                                        ; -- End function
	.section	.AMDGPU.csdata,"",@progbits
; Kernel info:
; codeLenInByte = 0
; NumSgprs: 4
; NumVgprs: 0
; NumAgprs: 0
; TotalNumVgprs: 0
; ScratchSize: 0
; MemoryBound: 0
; FloatMode: 240
; IeeeMode: 1
; LDSByteSize: 0 bytes/workgroup (compile time only)
; SGPRBlocks: 0
; VGPRBlocks: 0
; NumSGPRsForWavesPerEU: 4
; NumVGPRsForWavesPerEU: 1
; AccumOffset: 4
; Occupancy: 8
; WaveLimiterHint : 0
; COMPUTE_PGM_RSRC2:SCRATCH_EN: 0
; COMPUTE_PGM_RSRC2:USER_SGPR: 6
; COMPUTE_PGM_RSRC2:TRAP_HANDLER: 0
; COMPUTE_PGM_RSRC2:TGID_X_EN: 1
; COMPUTE_PGM_RSRC2:TGID_Y_EN: 0
; COMPUTE_PGM_RSRC2:TGID_Z_EN: 0
; COMPUTE_PGM_RSRC2:TIDIG_COMP_CNT: 0
; COMPUTE_PGM_RSRC3_GFX90A:ACCUM_OFFSET: 0
; COMPUTE_PGM_RSRC3_GFX90A:TG_SPLIT: 0
	.section	.text._ZN7rocprim17ROCPRIM_400000_NS6detail17trampoline_kernelINS0_14default_configENS1_35radix_sort_onesweep_config_selectorIdlEEZZNS1_29radix_sort_onesweep_iterationIS3_Lb0EPdS7_N6thrust23THRUST_200600_302600_NS10device_ptrIlEESB_jNS0_19identity_decomposerENS1_16block_id_wrapperIjLb1EEEEE10hipError_tT1_PNSt15iterator_traitsISG_E10value_typeET2_T3_PNSH_ISM_E10value_typeET4_T5_PSR_SS_PNS1_23onesweep_lookback_stateEbbT6_jjT7_P12ihipStream_tbENKUlT_T0_SG_SL_E_clIS7_S7_SB_SB_EEDaSZ_S10_SG_SL_EUlSZ_E_NS1_11comp_targetILNS1_3genE2ELNS1_11target_archE906ELNS1_3gpuE6ELNS1_3repE0EEENS1_47radix_sort_onesweep_sort_config_static_selectorELNS0_4arch9wavefront6targetE1EEEvSG_,"axG",@progbits,_ZN7rocprim17ROCPRIM_400000_NS6detail17trampoline_kernelINS0_14default_configENS1_35radix_sort_onesweep_config_selectorIdlEEZZNS1_29radix_sort_onesweep_iterationIS3_Lb0EPdS7_N6thrust23THRUST_200600_302600_NS10device_ptrIlEESB_jNS0_19identity_decomposerENS1_16block_id_wrapperIjLb1EEEEE10hipError_tT1_PNSt15iterator_traitsISG_E10value_typeET2_T3_PNSH_ISM_E10value_typeET4_T5_PSR_SS_PNS1_23onesweep_lookback_stateEbbT6_jjT7_P12ihipStream_tbENKUlT_T0_SG_SL_E_clIS7_S7_SB_SB_EEDaSZ_S10_SG_SL_EUlSZ_E_NS1_11comp_targetILNS1_3genE2ELNS1_11target_archE906ELNS1_3gpuE6ELNS1_3repE0EEENS1_47radix_sort_onesweep_sort_config_static_selectorELNS0_4arch9wavefront6targetE1EEEvSG_,comdat
	.protected	_ZN7rocprim17ROCPRIM_400000_NS6detail17trampoline_kernelINS0_14default_configENS1_35radix_sort_onesweep_config_selectorIdlEEZZNS1_29radix_sort_onesweep_iterationIS3_Lb0EPdS7_N6thrust23THRUST_200600_302600_NS10device_ptrIlEESB_jNS0_19identity_decomposerENS1_16block_id_wrapperIjLb1EEEEE10hipError_tT1_PNSt15iterator_traitsISG_E10value_typeET2_T3_PNSH_ISM_E10value_typeET4_T5_PSR_SS_PNS1_23onesweep_lookback_stateEbbT6_jjT7_P12ihipStream_tbENKUlT_T0_SG_SL_E_clIS7_S7_SB_SB_EEDaSZ_S10_SG_SL_EUlSZ_E_NS1_11comp_targetILNS1_3genE2ELNS1_11target_archE906ELNS1_3gpuE6ELNS1_3repE0EEENS1_47radix_sort_onesweep_sort_config_static_selectorELNS0_4arch9wavefront6targetE1EEEvSG_ ; -- Begin function _ZN7rocprim17ROCPRIM_400000_NS6detail17trampoline_kernelINS0_14default_configENS1_35radix_sort_onesweep_config_selectorIdlEEZZNS1_29radix_sort_onesweep_iterationIS3_Lb0EPdS7_N6thrust23THRUST_200600_302600_NS10device_ptrIlEESB_jNS0_19identity_decomposerENS1_16block_id_wrapperIjLb1EEEEE10hipError_tT1_PNSt15iterator_traitsISG_E10value_typeET2_T3_PNSH_ISM_E10value_typeET4_T5_PSR_SS_PNS1_23onesweep_lookback_stateEbbT6_jjT7_P12ihipStream_tbENKUlT_T0_SG_SL_E_clIS7_S7_SB_SB_EEDaSZ_S10_SG_SL_EUlSZ_E_NS1_11comp_targetILNS1_3genE2ELNS1_11target_archE906ELNS1_3gpuE6ELNS1_3repE0EEENS1_47radix_sort_onesweep_sort_config_static_selectorELNS0_4arch9wavefront6targetE1EEEvSG_
	.globl	_ZN7rocprim17ROCPRIM_400000_NS6detail17trampoline_kernelINS0_14default_configENS1_35radix_sort_onesweep_config_selectorIdlEEZZNS1_29radix_sort_onesweep_iterationIS3_Lb0EPdS7_N6thrust23THRUST_200600_302600_NS10device_ptrIlEESB_jNS0_19identity_decomposerENS1_16block_id_wrapperIjLb1EEEEE10hipError_tT1_PNSt15iterator_traitsISG_E10value_typeET2_T3_PNSH_ISM_E10value_typeET4_T5_PSR_SS_PNS1_23onesweep_lookback_stateEbbT6_jjT7_P12ihipStream_tbENKUlT_T0_SG_SL_E_clIS7_S7_SB_SB_EEDaSZ_S10_SG_SL_EUlSZ_E_NS1_11comp_targetILNS1_3genE2ELNS1_11target_archE906ELNS1_3gpuE6ELNS1_3repE0EEENS1_47radix_sort_onesweep_sort_config_static_selectorELNS0_4arch9wavefront6targetE1EEEvSG_
	.p2align	8
	.type	_ZN7rocprim17ROCPRIM_400000_NS6detail17trampoline_kernelINS0_14default_configENS1_35radix_sort_onesweep_config_selectorIdlEEZZNS1_29radix_sort_onesweep_iterationIS3_Lb0EPdS7_N6thrust23THRUST_200600_302600_NS10device_ptrIlEESB_jNS0_19identity_decomposerENS1_16block_id_wrapperIjLb1EEEEE10hipError_tT1_PNSt15iterator_traitsISG_E10value_typeET2_T3_PNSH_ISM_E10value_typeET4_T5_PSR_SS_PNS1_23onesweep_lookback_stateEbbT6_jjT7_P12ihipStream_tbENKUlT_T0_SG_SL_E_clIS7_S7_SB_SB_EEDaSZ_S10_SG_SL_EUlSZ_E_NS1_11comp_targetILNS1_3genE2ELNS1_11target_archE906ELNS1_3gpuE6ELNS1_3repE0EEENS1_47radix_sort_onesweep_sort_config_static_selectorELNS0_4arch9wavefront6targetE1EEEvSG_,@function
_ZN7rocprim17ROCPRIM_400000_NS6detail17trampoline_kernelINS0_14default_configENS1_35radix_sort_onesweep_config_selectorIdlEEZZNS1_29radix_sort_onesweep_iterationIS3_Lb0EPdS7_N6thrust23THRUST_200600_302600_NS10device_ptrIlEESB_jNS0_19identity_decomposerENS1_16block_id_wrapperIjLb1EEEEE10hipError_tT1_PNSt15iterator_traitsISG_E10value_typeET2_T3_PNSH_ISM_E10value_typeET4_T5_PSR_SS_PNS1_23onesweep_lookback_stateEbbT6_jjT7_P12ihipStream_tbENKUlT_T0_SG_SL_E_clIS7_S7_SB_SB_EEDaSZ_S10_SG_SL_EUlSZ_E_NS1_11comp_targetILNS1_3genE2ELNS1_11target_archE906ELNS1_3gpuE6ELNS1_3repE0EEENS1_47radix_sort_onesweep_sort_config_static_selectorELNS0_4arch9wavefront6targetE1EEEvSG_: ; @_ZN7rocprim17ROCPRIM_400000_NS6detail17trampoline_kernelINS0_14default_configENS1_35radix_sort_onesweep_config_selectorIdlEEZZNS1_29radix_sort_onesweep_iterationIS3_Lb0EPdS7_N6thrust23THRUST_200600_302600_NS10device_ptrIlEESB_jNS0_19identity_decomposerENS1_16block_id_wrapperIjLb1EEEEE10hipError_tT1_PNSt15iterator_traitsISG_E10value_typeET2_T3_PNSH_ISM_E10value_typeET4_T5_PSR_SS_PNS1_23onesweep_lookback_stateEbbT6_jjT7_P12ihipStream_tbENKUlT_T0_SG_SL_E_clIS7_S7_SB_SB_EEDaSZ_S10_SG_SL_EUlSZ_E_NS1_11comp_targetILNS1_3genE2ELNS1_11target_archE906ELNS1_3gpuE6ELNS1_3repE0EEENS1_47radix_sort_onesweep_sort_config_static_selectorELNS0_4arch9wavefront6targetE1EEEvSG_
; %bb.0:
	.section	.rodata,"a",@progbits
	.p2align	6, 0x0
	.amdhsa_kernel _ZN7rocprim17ROCPRIM_400000_NS6detail17trampoline_kernelINS0_14default_configENS1_35radix_sort_onesweep_config_selectorIdlEEZZNS1_29radix_sort_onesweep_iterationIS3_Lb0EPdS7_N6thrust23THRUST_200600_302600_NS10device_ptrIlEESB_jNS0_19identity_decomposerENS1_16block_id_wrapperIjLb1EEEEE10hipError_tT1_PNSt15iterator_traitsISG_E10value_typeET2_T3_PNSH_ISM_E10value_typeET4_T5_PSR_SS_PNS1_23onesweep_lookback_stateEbbT6_jjT7_P12ihipStream_tbENKUlT_T0_SG_SL_E_clIS7_S7_SB_SB_EEDaSZ_S10_SG_SL_EUlSZ_E_NS1_11comp_targetILNS1_3genE2ELNS1_11target_archE906ELNS1_3gpuE6ELNS1_3repE0EEENS1_47radix_sort_onesweep_sort_config_static_selectorELNS0_4arch9wavefront6targetE1EEEvSG_
		.amdhsa_group_segment_fixed_size 0
		.amdhsa_private_segment_fixed_size 0
		.amdhsa_kernarg_size 88
		.amdhsa_user_sgpr_count 6
		.amdhsa_user_sgpr_private_segment_buffer 1
		.amdhsa_user_sgpr_dispatch_ptr 0
		.amdhsa_user_sgpr_queue_ptr 0
		.amdhsa_user_sgpr_kernarg_segment_ptr 1
		.amdhsa_user_sgpr_dispatch_id 0
		.amdhsa_user_sgpr_flat_scratch_init 0
		.amdhsa_user_sgpr_kernarg_preload_length 0
		.amdhsa_user_sgpr_kernarg_preload_offset 0
		.amdhsa_user_sgpr_private_segment_size 0
		.amdhsa_uses_dynamic_stack 0
		.amdhsa_system_sgpr_private_segment_wavefront_offset 0
		.amdhsa_system_sgpr_workgroup_id_x 1
		.amdhsa_system_sgpr_workgroup_id_y 0
		.amdhsa_system_sgpr_workgroup_id_z 0
		.amdhsa_system_sgpr_workgroup_info 0
		.amdhsa_system_vgpr_workitem_id 0
		.amdhsa_next_free_vgpr 1
		.amdhsa_next_free_sgpr 0
		.amdhsa_accum_offset 4
		.amdhsa_reserve_vcc 0
		.amdhsa_reserve_flat_scratch 0
		.amdhsa_float_round_mode_32 0
		.amdhsa_float_round_mode_16_64 0
		.amdhsa_float_denorm_mode_32 3
		.amdhsa_float_denorm_mode_16_64 3
		.amdhsa_dx10_clamp 1
		.amdhsa_ieee_mode 1
		.amdhsa_fp16_overflow 0
		.amdhsa_tg_split 0
		.amdhsa_exception_fp_ieee_invalid_op 0
		.amdhsa_exception_fp_denorm_src 0
		.amdhsa_exception_fp_ieee_div_zero 0
		.amdhsa_exception_fp_ieee_overflow 0
		.amdhsa_exception_fp_ieee_underflow 0
		.amdhsa_exception_fp_ieee_inexact 0
		.amdhsa_exception_int_div_zero 0
	.end_amdhsa_kernel
	.section	.text._ZN7rocprim17ROCPRIM_400000_NS6detail17trampoline_kernelINS0_14default_configENS1_35radix_sort_onesweep_config_selectorIdlEEZZNS1_29radix_sort_onesweep_iterationIS3_Lb0EPdS7_N6thrust23THRUST_200600_302600_NS10device_ptrIlEESB_jNS0_19identity_decomposerENS1_16block_id_wrapperIjLb1EEEEE10hipError_tT1_PNSt15iterator_traitsISG_E10value_typeET2_T3_PNSH_ISM_E10value_typeET4_T5_PSR_SS_PNS1_23onesweep_lookback_stateEbbT6_jjT7_P12ihipStream_tbENKUlT_T0_SG_SL_E_clIS7_S7_SB_SB_EEDaSZ_S10_SG_SL_EUlSZ_E_NS1_11comp_targetILNS1_3genE2ELNS1_11target_archE906ELNS1_3gpuE6ELNS1_3repE0EEENS1_47radix_sort_onesweep_sort_config_static_selectorELNS0_4arch9wavefront6targetE1EEEvSG_,"axG",@progbits,_ZN7rocprim17ROCPRIM_400000_NS6detail17trampoline_kernelINS0_14default_configENS1_35radix_sort_onesweep_config_selectorIdlEEZZNS1_29radix_sort_onesweep_iterationIS3_Lb0EPdS7_N6thrust23THRUST_200600_302600_NS10device_ptrIlEESB_jNS0_19identity_decomposerENS1_16block_id_wrapperIjLb1EEEEE10hipError_tT1_PNSt15iterator_traitsISG_E10value_typeET2_T3_PNSH_ISM_E10value_typeET4_T5_PSR_SS_PNS1_23onesweep_lookback_stateEbbT6_jjT7_P12ihipStream_tbENKUlT_T0_SG_SL_E_clIS7_S7_SB_SB_EEDaSZ_S10_SG_SL_EUlSZ_E_NS1_11comp_targetILNS1_3genE2ELNS1_11target_archE906ELNS1_3gpuE6ELNS1_3repE0EEENS1_47radix_sort_onesweep_sort_config_static_selectorELNS0_4arch9wavefront6targetE1EEEvSG_,comdat
.Lfunc_end1619:
	.size	_ZN7rocprim17ROCPRIM_400000_NS6detail17trampoline_kernelINS0_14default_configENS1_35radix_sort_onesweep_config_selectorIdlEEZZNS1_29radix_sort_onesweep_iterationIS3_Lb0EPdS7_N6thrust23THRUST_200600_302600_NS10device_ptrIlEESB_jNS0_19identity_decomposerENS1_16block_id_wrapperIjLb1EEEEE10hipError_tT1_PNSt15iterator_traitsISG_E10value_typeET2_T3_PNSH_ISM_E10value_typeET4_T5_PSR_SS_PNS1_23onesweep_lookback_stateEbbT6_jjT7_P12ihipStream_tbENKUlT_T0_SG_SL_E_clIS7_S7_SB_SB_EEDaSZ_S10_SG_SL_EUlSZ_E_NS1_11comp_targetILNS1_3genE2ELNS1_11target_archE906ELNS1_3gpuE6ELNS1_3repE0EEENS1_47radix_sort_onesweep_sort_config_static_selectorELNS0_4arch9wavefront6targetE1EEEvSG_, .Lfunc_end1619-_ZN7rocprim17ROCPRIM_400000_NS6detail17trampoline_kernelINS0_14default_configENS1_35radix_sort_onesweep_config_selectorIdlEEZZNS1_29radix_sort_onesweep_iterationIS3_Lb0EPdS7_N6thrust23THRUST_200600_302600_NS10device_ptrIlEESB_jNS0_19identity_decomposerENS1_16block_id_wrapperIjLb1EEEEE10hipError_tT1_PNSt15iterator_traitsISG_E10value_typeET2_T3_PNSH_ISM_E10value_typeET4_T5_PSR_SS_PNS1_23onesweep_lookback_stateEbbT6_jjT7_P12ihipStream_tbENKUlT_T0_SG_SL_E_clIS7_S7_SB_SB_EEDaSZ_S10_SG_SL_EUlSZ_E_NS1_11comp_targetILNS1_3genE2ELNS1_11target_archE906ELNS1_3gpuE6ELNS1_3repE0EEENS1_47radix_sort_onesweep_sort_config_static_selectorELNS0_4arch9wavefront6targetE1EEEvSG_
                                        ; -- End function
	.section	.AMDGPU.csdata,"",@progbits
; Kernel info:
; codeLenInByte = 0
; NumSgprs: 4
; NumVgprs: 0
; NumAgprs: 0
; TotalNumVgprs: 0
; ScratchSize: 0
; MemoryBound: 0
; FloatMode: 240
; IeeeMode: 1
; LDSByteSize: 0 bytes/workgroup (compile time only)
; SGPRBlocks: 0
; VGPRBlocks: 0
; NumSGPRsForWavesPerEU: 4
; NumVGPRsForWavesPerEU: 1
; AccumOffset: 4
; Occupancy: 8
; WaveLimiterHint : 0
; COMPUTE_PGM_RSRC2:SCRATCH_EN: 0
; COMPUTE_PGM_RSRC2:USER_SGPR: 6
; COMPUTE_PGM_RSRC2:TRAP_HANDLER: 0
; COMPUTE_PGM_RSRC2:TGID_X_EN: 1
; COMPUTE_PGM_RSRC2:TGID_Y_EN: 0
; COMPUTE_PGM_RSRC2:TGID_Z_EN: 0
; COMPUTE_PGM_RSRC2:TIDIG_COMP_CNT: 0
; COMPUTE_PGM_RSRC3_GFX90A:ACCUM_OFFSET: 0
; COMPUTE_PGM_RSRC3_GFX90A:TG_SPLIT: 0
	.section	.text._ZN7rocprim17ROCPRIM_400000_NS6detail17trampoline_kernelINS0_14default_configENS1_35radix_sort_onesweep_config_selectorIdlEEZZNS1_29radix_sort_onesweep_iterationIS3_Lb0EPdS7_N6thrust23THRUST_200600_302600_NS10device_ptrIlEESB_jNS0_19identity_decomposerENS1_16block_id_wrapperIjLb1EEEEE10hipError_tT1_PNSt15iterator_traitsISG_E10value_typeET2_T3_PNSH_ISM_E10value_typeET4_T5_PSR_SS_PNS1_23onesweep_lookback_stateEbbT6_jjT7_P12ihipStream_tbENKUlT_T0_SG_SL_E_clIS7_S7_SB_SB_EEDaSZ_S10_SG_SL_EUlSZ_E_NS1_11comp_targetILNS1_3genE4ELNS1_11target_archE910ELNS1_3gpuE8ELNS1_3repE0EEENS1_47radix_sort_onesweep_sort_config_static_selectorELNS0_4arch9wavefront6targetE1EEEvSG_,"axG",@progbits,_ZN7rocprim17ROCPRIM_400000_NS6detail17trampoline_kernelINS0_14default_configENS1_35radix_sort_onesweep_config_selectorIdlEEZZNS1_29radix_sort_onesweep_iterationIS3_Lb0EPdS7_N6thrust23THRUST_200600_302600_NS10device_ptrIlEESB_jNS0_19identity_decomposerENS1_16block_id_wrapperIjLb1EEEEE10hipError_tT1_PNSt15iterator_traitsISG_E10value_typeET2_T3_PNSH_ISM_E10value_typeET4_T5_PSR_SS_PNS1_23onesweep_lookback_stateEbbT6_jjT7_P12ihipStream_tbENKUlT_T0_SG_SL_E_clIS7_S7_SB_SB_EEDaSZ_S10_SG_SL_EUlSZ_E_NS1_11comp_targetILNS1_3genE4ELNS1_11target_archE910ELNS1_3gpuE8ELNS1_3repE0EEENS1_47radix_sort_onesweep_sort_config_static_selectorELNS0_4arch9wavefront6targetE1EEEvSG_,comdat
	.protected	_ZN7rocprim17ROCPRIM_400000_NS6detail17trampoline_kernelINS0_14default_configENS1_35radix_sort_onesweep_config_selectorIdlEEZZNS1_29radix_sort_onesweep_iterationIS3_Lb0EPdS7_N6thrust23THRUST_200600_302600_NS10device_ptrIlEESB_jNS0_19identity_decomposerENS1_16block_id_wrapperIjLb1EEEEE10hipError_tT1_PNSt15iterator_traitsISG_E10value_typeET2_T3_PNSH_ISM_E10value_typeET4_T5_PSR_SS_PNS1_23onesweep_lookback_stateEbbT6_jjT7_P12ihipStream_tbENKUlT_T0_SG_SL_E_clIS7_S7_SB_SB_EEDaSZ_S10_SG_SL_EUlSZ_E_NS1_11comp_targetILNS1_3genE4ELNS1_11target_archE910ELNS1_3gpuE8ELNS1_3repE0EEENS1_47radix_sort_onesweep_sort_config_static_selectorELNS0_4arch9wavefront6targetE1EEEvSG_ ; -- Begin function _ZN7rocprim17ROCPRIM_400000_NS6detail17trampoline_kernelINS0_14default_configENS1_35radix_sort_onesweep_config_selectorIdlEEZZNS1_29radix_sort_onesweep_iterationIS3_Lb0EPdS7_N6thrust23THRUST_200600_302600_NS10device_ptrIlEESB_jNS0_19identity_decomposerENS1_16block_id_wrapperIjLb1EEEEE10hipError_tT1_PNSt15iterator_traitsISG_E10value_typeET2_T3_PNSH_ISM_E10value_typeET4_T5_PSR_SS_PNS1_23onesweep_lookback_stateEbbT6_jjT7_P12ihipStream_tbENKUlT_T0_SG_SL_E_clIS7_S7_SB_SB_EEDaSZ_S10_SG_SL_EUlSZ_E_NS1_11comp_targetILNS1_3genE4ELNS1_11target_archE910ELNS1_3gpuE8ELNS1_3repE0EEENS1_47radix_sort_onesweep_sort_config_static_selectorELNS0_4arch9wavefront6targetE1EEEvSG_
	.globl	_ZN7rocprim17ROCPRIM_400000_NS6detail17trampoline_kernelINS0_14default_configENS1_35radix_sort_onesweep_config_selectorIdlEEZZNS1_29radix_sort_onesweep_iterationIS3_Lb0EPdS7_N6thrust23THRUST_200600_302600_NS10device_ptrIlEESB_jNS0_19identity_decomposerENS1_16block_id_wrapperIjLb1EEEEE10hipError_tT1_PNSt15iterator_traitsISG_E10value_typeET2_T3_PNSH_ISM_E10value_typeET4_T5_PSR_SS_PNS1_23onesweep_lookback_stateEbbT6_jjT7_P12ihipStream_tbENKUlT_T0_SG_SL_E_clIS7_S7_SB_SB_EEDaSZ_S10_SG_SL_EUlSZ_E_NS1_11comp_targetILNS1_3genE4ELNS1_11target_archE910ELNS1_3gpuE8ELNS1_3repE0EEENS1_47radix_sort_onesweep_sort_config_static_selectorELNS0_4arch9wavefront6targetE1EEEvSG_
	.p2align	8
	.type	_ZN7rocprim17ROCPRIM_400000_NS6detail17trampoline_kernelINS0_14default_configENS1_35radix_sort_onesweep_config_selectorIdlEEZZNS1_29radix_sort_onesweep_iterationIS3_Lb0EPdS7_N6thrust23THRUST_200600_302600_NS10device_ptrIlEESB_jNS0_19identity_decomposerENS1_16block_id_wrapperIjLb1EEEEE10hipError_tT1_PNSt15iterator_traitsISG_E10value_typeET2_T3_PNSH_ISM_E10value_typeET4_T5_PSR_SS_PNS1_23onesweep_lookback_stateEbbT6_jjT7_P12ihipStream_tbENKUlT_T0_SG_SL_E_clIS7_S7_SB_SB_EEDaSZ_S10_SG_SL_EUlSZ_E_NS1_11comp_targetILNS1_3genE4ELNS1_11target_archE910ELNS1_3gpuE8ELNS1_3repE0EEENS1_47radix_sort_onesweep_sort_config_static_selectorELNS0_4arch9wavefront6targetE1EEEvSG_,@function
_ZN7rocprim17ROCPRIM_400000_NS6detail17trampoline_kernelINS0_14default_configENS1_35radix_sort_onesweep_config_selectorIdlEEZZNS1_29radix_sort_onesweep_iterationIS3_Lb0EPdS7_N6thrust23THRUST_200600_302600_NS10device_ptrIlEESB_jNS0_19identity_decomposerENS1_16block_id_wrapperIjLb1EEEEE10hipError_tT1_PNSt15iterator_traitsISG_E10value_typeET2_T3_PNSH_ISM_E10value_typeET4_T5_PSR_SS_PNS1_23onesweep_lookback_stateEbbT6_jjT7_P12ihipStream_tbENKUlT_T0_SG_SL_E_clIS7_S7_SB_SB_EEDaSZ_S10_SG_SL_EUlSZ_E_NS1_11comp_targetILNS1_3genE4ELNS1_11target_archE910ELNS1_3gpuE8ELNS1_3repE0EEENS1_47radix_sort_onesweep_sort_config_static_selectorELNS0_4arch9wavefront6targetE1EEEvSG_: ; @_ZN7rocprim17ROCPRIM_400000_NS6detail17trampoline_kernelINS0_14default_configENS1_35radix_sort_onesweep_config_selectorIdlEEZZNS1_29radix_sort_onesweep_iterationIS3_Lb0EPdS7_N6thrust23THRUST_200600_302600_NS10device_ptrIlEESB_jNS0_19identity_decomposerENS1_16block_id_wrapperIjLb1EEEEE10hipError_tT1_PNSt15iterator_traitsISG_E10value_typeET2_T3_PNSH_ISM_E10value_typeET4_T5_PSR_SS_PNS1_23onesweep_lookback_stateEbbT6_jjT7_P12ihipStream_tbENKUlT_T0_SG_SL_E_clIS7_S7_SB_SB_EEDaSZ_S10_SG_SL_EUlSZ_E_NS1_11comp_targetILNS1_3genE4ELNS1_11target_archE910ELNS1_3gpuE8ELNS1_3repE0EEENS1_47radix_sort_onesweep_sort_config_static_selectorELNS0_4arch9wavefront6targetE1EEEvSG_
; %bb.0:
	s_load_dwordx4 s[44:47], s[4:5], 0x28
	s_load_dwordx2 s[30:31], s[4:5], 0x38
	s_load_dwordx4 s[48:51], s[4:5], 0x44
	v_and_b32_e32 v10, 0x3ff, v0
	v_cmp_eq_u32_e64 s[0:1], 0, v10
	s_and_saveexec_b64 s[2:3], s[0:1]
	s_cbranch_execz .LBB1620_4
; %bb.1:
	s_mov_b64 s[10:11], exec
	v_mbcnt_lo_u32_b32 v1, s10, 0
	v_mbcnt_hi_u32_b32 v1, s11, v1
	v_cmp_eq_u32_e32 vcc, 0, v1
                                        ; implicit-def: $vgpr2
	s_and_saveexec_b64 s[8:9], vcc
	s_cbranch_execz .LBB1620_3
; %bb.2:
	s_load_dwordx2 s[12:13], s[4:5], 0x50
	s_bcnt1_i32_b64 s7, s[10:11]
	v_mov_b32_e32 v2, 0
	v_mov_b32_e32 v3, s7
	s_waitcnt lgkmcnt(0)
	global_atomic_add v2, v2, v3, s[12:13] glc
.LBB1620_3:
	s_or_b64 exec, exec, s[8:9]
	s_waitcnt vmcnt(0)
	v_readfirstlane_b32 s7, v2
	v_add_u32_e32 v1, s7, v1
	v_mov_b32_e32 v2, 0
	ds_write_b32 v2, v1 offset:20544
.LBB1620_4:
	s_or_b64 exec, exec, s[2:3]
	v_mov_b32_e32 v1, 0
	s_load_dwordx8 s[36:43], s[4:5], 0x0
	s_load_dword s2, s[4:5], 0x20
	s_waitcnt lgkmcnt(0)
	s_barrier
	ds_read_b32 v1, v1 offset:20544
	v_lshlrev_b32_e32 v11, 3, v10
	s_waitcnt lgkmcnt(0)
	s_barrier
	v_cmp_le_u32_e32 vcc, s50, v1
	v_readfirstlane_b32 s33, v1
	v_mbcnt_lo_u32_b32 v1, -1, 0
	s_cbranch_vccz .LBB1620_63
; %bb.5:
	s_lshl_b32 s3, s50, 13
	s_sub_i32 s7, s2, s3
	s_lshl_b32 s2, s33, 13
	s_mov_b32 s3, 0
	s_lshl_b64 s[34:35], s[2:3], 3
	v_mbcnt_hi_u32_b32 v28, -1, v1
	s_add_u32 s2, s36, s34
	v_and_b32_e32 v2, 63, v28
	s_addc_u32 s3, s37, s35
	v_lshlrev_b32_e32 v30, 3, v2
	v_and_b32_e32 v3, 0x1e00, v11
	v_mov_b32_e32 v4, s3
	v_add_co_u32_e32 v5, vcc, s2, v30
	v_addc_co_u32_e32 v4, vcc, 0, v4, vcc
	v_lshlrev_b32_e32 v31, 3, v3
	s_mov_b32 s8, -1
	v_add_co_u32_e32 v20, vcc, v5, v31
	s_brev_b32 s9, -2
	v_addc_co_u32_e32 v21, vcc, 0, v4, vcc
	v_or_b32_e32 v2, v2, v3
	v_cmp_gt_u32_e32 vcc, s7, v2
	v_pk_mov_b32 v[12:13], s[8:9], s[8:9] op_sel:[0,1]
	s_and_saveexec_b64 s[2:3], vcc
	s_cbranch_execz .LBB1620_7
; %bb.6:
	global_load_dwordx2 v[12:13], v[20:21], off
.LBB1620_7:
	s_or_b64 exec, exec, s[2:3]
	v_or_b32_e32 v3, 64, v2
	v_cmp_gt_u32_e64 s[2:3], s7, v3
	v_pk_mov_b32 v[14:15], s[8:9], s[8:9] op_sel:[0,1]
	s_and_saveexec_b64 s[8:9], s[2:3]
	s_cbranch_execz .LBB1620_9
; %bb.8:
	global_load_dwordx2 v[14:15], v[20:21], off offset:512
.LBB1620_9:
	s_or_b64 exec, exec, s[8:9]
	s_mov_b32 s10, -1
	v_or_b32_e32 v3, 0x80, v2
	s_brev_b32 s11, -2
	v_cmp_gt_u32_e64 s[26:27], s7, v3
	v_pk_mov_b32 v[16:17], s[10:11], s[10:11] op_sel:[0,1]
	s_and_saveexec_b64 s[8:9], s[26:27]
	s_cbranch_execz .LBB1620_11
; %bb.10:
	global_load_dwordx2 v[16:17], v[20:21], off offset:1024
.LBB1620_11:
	s_or_b64 exec, exec, s[8:9]
	v_or_b32_e32 v3, 0xc0, v2
	v_cmp_gt_u32_e64 s[8:9], s7, v3
	v_pk_mov_b32 v[18:19], s[10:11], s[10:11] op_sel:[0,1]
	s_and_saveexec_b64 s[10:11], s[8:9]
	s_cbranch_execz .LBB1620_13
; %bb.12:
	global_load_dwordx2 v[18:19], v[20:21], off offset:1536
.LBB1620_13:
	s_or_b64 exec, exec, s[10:11]
	s_mov_b32 s14, -1
	v_or_b32_e32 v3, 0x100, v2
	s_brev_b32 s15, -2
	v_cmp_gt_u32_e64 s[10:11], s7, v3
	v_pk_mov_b32 v[8:9], s[14:15], s[14:15] op_sel:[0,1]
	s_and_saveexec_b64 s[12:13], s[10:11]
	s_cbranch_execz .LBB1620_15
; %bb.14:
	global_load_dwordx2 v[8:9], v[20:21], off offset:2048
.LBB1620_15:
	;; [unrolled: 20-line block ×3, first 2 shown]
	s_or_b64 exec, exec, s[16:17]
	v_or_b32_e32 v2, 0x1c0, v2
	v_cmp_gt_u32_e64 s[16:17], s7, v2
	v_pk_mov_b32 v[2:3], s[18:19], s[18:19] op_sel:[0,1]
	s_and_saveexec_b64 s[18:19], s[16:17]
	s_cbranch_execz .LBB1620_21
; %bb.20:
	global_load_dwordx2 v[2:3], v[20:21], off offset:3584
.LBB1620_21:
	s_or_b64 exec, exec, s[18:19]
	s_load_dword s18, s[4:5], 0x64
	s_load_dword s52, s[4:5], 0x58
	s_add_u32 s19, s4, 0x58
	s_addc_u32 s20, s5, 0
	v_mov_b32_e32 v20, 0
	s_waitcnt lgkmcnt(0)
	s_lshr_b32 s21, s18, 16
	s_cmp_lt_u32 s6, s52
	s_cselect_b32 s18, 12, 18
	s_add_u32 s18, s19, s18
	s_addc_u32 s19, s20, 0
	global_load_ushort v25, v20, s[18:19]
	v_bfrev_b32_e32 v24, 1
	s_waitcnt vmcnt(1)
	v_cmp_lt_i64_e64 s[18:19], -1, v[12:13]
	s_mov_b32 s22, -1
	v_ashrrev_i32_e32 v21, 31, v13
	v_cndmask_b32_e64 v23, -1, v24, s[18:19]
	s_brev_b32 s23, -2
	v_xor_b32_e32 v12, v21, v12
	v_xor_b32_e32 v13, v23, v13
	v_mul_u32_u24_e32 v22, 5, v10
	v_cmp_ne_u64_e64 s[18:19], s[22:23], v[12:13]
	v_lshlrev_b32_e32 v33, 2, v22
	v_cndmask_b32_e64 v23, v24, v13, s[18:19]
	v_cndmask_b32_e64 v22, 0, v12, s[18:19]
	s_lshl_b32 s18, -1, s49
	v_bfe_u32 v26, v0, 10, 10
	v_bfe_u32 v27, v0, 20, 10
	v_lshrrev_b64 v[22:23], s48, v[22:23]
	s_not_b32 s53, s18
	v_mad_u32_u24 v23, v27, s21, v26
	v_and_b32_e32 v26, s53, v22
	v_and_b32_e32 v22, 1, v26
	v_add_co_u32_e64 v29, s[18:19], -1, v22
	v_lshlrev_b32_e32 v21, 30, v26
	v_addc_co_u32_e64 v32, s[18:19], 0, -1, s[18:19]
	v_cmp_ne_u32_e64 s[18:19], 0, v22
	v_cmp_gt_i64_e64 s[20:21], 0, v[20:21]
	v_not_b32_e32 v22, v21
	v_lshlrev_b32_e32 v21, 29, v26
	v_xor_b32_e32 v32, s19, v32
	v_xor_b32_e32 v29, s18, v29
	v_ashrrev_i32_e32 v22, 31, v22
	v_cmp_gt_i64_e64 s[18:19], 0, v[20:21]
	v_not_b32_e32 v34, v21
	v_lshlrev_b32_e32 v21, 28, v26
	v_and_b32_e32 v32, exec_hi, v32
	v_and_b32_e32 v29, exec_lo, v29
	v_xor_b32_e32 v35, s21, v22
	v_xor_b32_e32 v22, s20, v22
	v_ashrrev_i32_e32 v34, 31, v34
	v_cmp_gt_i64_e64 s[20:21], 0, v[20:21]
	v_not_b32_e32 v36, v21
	v_lshlrev_b32_e32 v21, 27, v26
	v_and_b32_e32 v32, v32, v35
	v_and_b32_e32 v22, v29, v22
	v_xor_b32_e32 v29, s19, v34
	v_xor_b32_e32 v34, s18, v34
	v_ashrrev_i32_e32 v35, 31, v36
	v_cmp_gt_i64_e64 s[18:19], 0, v[20:21]
	v_not_b32_e32 v36, v21
	v_lshlrev_b32_e32 v21, 26, v26
	v_and_b32_e32 v29, v32, v29
	v_and_b32_e32 v22, v22, v34
	v_xor_b32_e32 v32, s21, v35
	v_xor_b32_e32 v34, s20, v35
	v_ashrrev_i32_e32 v35, 31, v36
	v_not_b32_e32 v36, v21
	v_cmp_gt_i64_e64 s[20:21], 0, v[20:21]
	v_and_b32_e32 v29, v29, v32
	v_and_b32_e32 v22, v22, v34
	v_xor_b32_e32 v32, s19, v35
	v_xor_b32_e32 v34, s18, v35
	v_ashrrev_i32_e32 v35, 31, v36
	v_and_b32_e32 v29, v29, v32
	v_and_b32_e32 v22, v22, v34
	v_xor_b32_e32 v32, s21, v35
	v_xor_b32_e32 v34, s20, v35
	v_lshlrev_b32_e32 v21, 25, v26
	v_and_b32_e32 v29, v29, v32
	v_and_b32_e32 v32, v22, v34
	v_lshl_add_u32 v27, v26, 4, v26
	ds_write2_b32 v33, v20, v20 offset0:16 offset1:17
	ds_write2_b32 v33, v20, v20 offset0:18 offset1:19
	ds_write_b32 v33, v20 offset:80
	s_waitcnt lgkmcnt(0)
	s_barrier
	s_waitcnt lgkmcnt(0)
	; wave barrier
	s_waitcnt vmcnt(0)
	v_mad_u64_u32 v[22:23], s[18:19], v23, v25, v[10:11]
	v_cmp_gt_i64_e64 s[18:19], 0, v[20:21]
	v_not_b32_e32 v21, v21
	v_ashrrev_i32_e32 v21, 31, v21
	v_lshrrev_b32_e32 v41, 6, v22
	v_xor_b32_e32 v22, s19, v21
	v_xor_b32_e32 v21, s18, v21
	v_and_b32_e32 v25, v32, v21
	v_lshlrev_b32_e32 v21, 24, v26
	v_cmp_gt_i64_e64 s[18:19], 0, v[20:21]
	v_not_b32_e32 v21, v21
	v_ashrrev_i32_e32 v21, 31, v21
	v_and_b32_e32 v22, v29, v22
	v_xor_b32_e32 v23, s19, v21
	v_xor_b32_e32 v21, s18, v21
	v_and_b32_e32 v23, v22, v23
	v_and_b32_e32 v22, v25, v21
	v_mbcnt_lo_u32_b32 v21, v22, 0
	v_mbcnt_hi_u32_b32 v29, v23, v21
	v_cmp_eq_u32_e64 s[18:19], 0, v29
	v_cmp_ne_u64_e64 s[20:21], 0, v[22:23]
	v_add_lshl_u32 v35, v41, v27, 2
	s_and_b64 s[20:21], s[20:21], s[18:19]
	s_and_saveexec_b64 s[18:19], s[20:21]
	s_cbranch_execz .LBB1620_23
; %bb.22:
	v_bcnt_u32_b32 v21, v22, 0
	v_bcnt_u32_b32 v21, v23, v21
	ds_write_b32 v35, v21 offset:64
.LBB1620_23:
	s_or_b64 exec, exec, s[18:19]
	v_cmp_lt_i64_e64 s[18:19], -1, v[14:15]
	v_cndmask_b32_e64 v21, -1, v24, s[18:19]
	v_ashrrev_i32_e32 v22, 31, v15
	v_xor_b32_e32 v15, v21, v15
	v_xor_b32_e32 v14, v22, v14
	v_cmp_ne_u64_e64 s[18:19], s[22:23], v[14:15]
	v_cndmask_b32_e64 v23, v24, v15, s[18:19]
	v_cndmask_b32_e64 v22, 0, v14, s[18:19]
	v_lshrrev_b64 v[22:23], s48, v[22:23]
	v_and_b32_e32 v22, s53, v22
	v_lshl_add_u32 v21, v22, 4, v22
	v_add_lshl_u32 v37, v41, v21, 2
	v_and_b32_e32 v21, 1, v22
	v_add_co_u32_e64 v23, s[18:19], -1, v21
	v_addc_co_u32_e64 v24, s[18:19], 0, -1, s[18:19]
	v_cmp_ne_u32_e64 s[18:19], 0, v21
	v_xor_b32_e32 v21, s19, v24
	v_and_b32_e32 v24, exec_hi, v21
	v_lshlrev_b32_e32 v21, 30, v22
	v_xor_b32_e32 v23, s18, v23
	v_cmp_gt_i64_e64 s[18:19], 0, v[20:21]
	v_not_b32_e32 v21, v21
	v_ashrrev_i32_e32 v21, 31, v21
	v_and_b32_e32 v23, exec_lo, v23
	v_xor_b32_e32 v25, s19, v21
	v_xor_b32_e32 v21, s18, v21
	v_and_b32_e32 v23, v23, v21
	v_lshlrev_b32_e32 v21, 29, v22
	v_cmp_gt_i64_e64 s[18:19], 0, v[20:21]
	v_not_b32_e32 v21, v21
	v_ashrrev_i32_e32 v21, 31, v21
	v_and_b32_e32 v24, v24, v25
	v_xor_b32_e32 v25, s19, v21
	v_xor_b32_e32 v21, s18, v21
	v_and_b32_e32 v23, v23, v21
	v_lshlrev_b32_e32 v21, 28, v22
	v_cmp_gt_i64_e64 s[18:19], 0, v[20:21]
	v_not_b32_e32 v21, v21
	v_ashrrev_i32_e32 v21, 31, v21
	v_and_b32_e32 v24, v24, v25
	;; [unrolled: 8-line block ×5, first 2 shown]
	v_xor_b32_e32 v25, s19, v21
	v_xor_b32_e32 v21, s18, v21
	v_and_b32_e32 v23, v23, v21
	v_lshlrev_b32_e32 v21, 24, v22
	v_cmp_gt_i64_e64 s[18:19], 0, v[20:21]
	v_not_b32_e32 v20, v21
	v_ashrrev_i32_e32 v20, 31, v20
	v_xor_b32_e32 v21, s19, v20
	v_xor_b32_e32 v20, s18, v20
	; wave barrier
	ds_read_b32 v32, v37 offset:64
	v_and_b32_e32 v24, v24, v25
	v_and_b32_e32 v20, v23, v20
	;; [unrolled: 1-line block ×3, first 2 shown]
	v_mbcnt_lo_u32_b32 v22, v20, 0
	v_mbcnt_hi_u32_b32 v34, v21, v22
	v_cmp_eq_u32_e64 s[18:19], 0, v34
	v_cmp_ne_u64_e64 s[20:21], 0, v[20:21]
	s_and_b64 s[20:21], s[20:21], s[18:19]
	; wave barrier
	s_and_saveexec_b64 s[18:19], s[20:21]
	s_cbranch_execz .LBB1620_25
; %bb.24:
	v_bcnt_u32_b32 v20, v20, 0
	v_bcnt_u32_b32 v20, v21, v20
	s_waitcnt lgkmcnt(0)
	v_add_u32_e32 v20, v32, v20
	ds_write_b32 v37, v20 offset:64
.LBB1620_25:
	s_or_b64 exec, exec, s[18:19]
	v_bfrev_b32_e32 v24, 1
	v_cmp_lt_i64_e64 s[18:19], -1, v[16:17]
	v_cndmask_b32_e64 v20, -1, v24, s[18:19]
	v_ashrrev_i32_e32 v21, 31, v17
	v_xor_b32_e32 v17, v20, v17
	v_xor_b32_e32 v16, v21, v16
	v_cmp_ne_u64_e64 s[18:19], s[22:23], v[16:17]
	v_cndmask_b32_e64 v23, v24, v17, s[18:19]
	v_cndmask_b32_e64 v22, 0, v16, s[18:19]
	v_lshrrev_b64 v[22:23], s48, v[22:23]
	v_and_b32_e32 v22, s53, v22
	v_lshl_add_u32 v21, v22, 4, v22
	v_add_lshl_u32 v40, v41, v21, 2
	v_and_b32_e32 v21, 1, v22
	v_add_co_u32_e64 v23, s[18:19], -1, v21
	v_addc_co_u32_e64 v25, s[18:19], 0, -1, s[18:19]
	v_cmp_ne_u32_e64 s[18:19], 0, v21
	v_xor_b32_e32 v21, s19, v25
	v_mov_b32_e32 v20, 0
	v_and_b32_e32 v25, exec_hi, v21
	v_lshlrev_b32_e32 v21, 30, v22
	v_xor_b32_e32 v23, s18, v23
	v_cmp_gt_i64_e64 s[18:19], 0, v[20:21]
	v_not_b32_e32 v21, v21
	v_ashrrev_i32_e32 v21, 31, v21
	v_and_b32_e32 v23, exec_lo, v23
	v_xor_b32_e32 v26, s19, v21
	v_xor_b32_e32 v21, s18, v21
	v_and_b32_e32 v23, v23, v21
	v_lshlrev_b32_e32 v21, 29, v22
	v_cmp_gt_i64_e64 s[18:19], 0, v[20:21]
	v_not_b32_e32 v21, v21
	v_ashrrev_i32_e32 v21, 31, v21
	v_and_b32_e32 v25, v25, v26
	v_xor_b32_e32 v26, s19, v21
	v_xor_b32_e32 v21, s18, v21
	v_and_b32_e32 v23, v23, v21
	v_lshlrev_b32_e32 v21, 28, v22
	v_cmp_gt_i64_e64 s[18:19], 0, v[20:21]
	v_not_b32_e32 v21, v21
	v_ashrrev_i32_e32 v21, 31, v21
	v_and_b32_e32 v25, v25, v26
	;; [unrolled: 8-line block ×5, first 2 shown]
	v_xor_b32_e32 v26, s19, v21
	v_xor_b32_e32 v21, s18, v21
	v_and_b32_e32 v25, v25, v26
	v_and_b32_e32 v26, v23, v21
	v_lshlrev_b32_e32 v21, 24, v22
	v_cmp_gt_i64_e64 s[18:19], 0, v[20:21]
	v_not_b32_e32 v21, v21
	v_ashrrev_i32_e32 v21, 31, v21
	v_xor_b32_e32 v22, s19, v21
	v_xor_b32_e32 v21, s18, v21
	; wave barrier
	ds_read_b32 v36, v40 offset:64
	v_and_b32_e32 v23, v25, v22
	v_and_b32_e32 v22, v26, v21
	v_mbcnt_lo_u32_b32 v21, v22, 0
	v_mbcnt_hi_u32_b32 v38, v23, v21
	v_cmp_eq_u32_e64 s[18:19], 0, v38
	v_cmp_ne_u64_e64 s[20:21], 0, v[22:23]
	s_and_b64 s[20:21], s[20:21], s[18:19]
	; wave barrier
	s_and_saveexec_b64 s[18:19], s[20:21]
	s_cbranch_execz .LBB1620_27
; %bb.26:
	v_bcnt_u32_b32 v21, v22, 0
	v_bcnt_u32_b32 v21, v23, v21
	s_waitcnt lgkmcnt(0)
	v_add_u32_e32 v21, v36, v21
	ds_write_b32 v40, v21 offset:64
.LBB1620_27:
	s_or_b64 exec, exec, s[18:19]
	v_cmp_lt_i64_e64 s[18:19], -1, v[18:19]
	v_cndmask_b32_e64 v21, -1, v24, s[18:19]
	v_ashrrev_i32_e32 v22, 31, v19
	v_xor_b32_e32 v19, v21, v19
	v_xor_b32_e32 v18, v22, v18
	v_cmp_ne_u64_e64 s[18:19], s[22:23], v[18:19]
	v_cndmask_b32_e64 v23, v24, v19, s[18:19]
	v_cndmask_b32_e64 v22, 0, v18, s[18:19]
	v_lshrrev_b64 v[22:23], s48, v[22:23]
	v_and_b32_e32 v22, s53, v22
	v_lshl_add_u32 v21, v22, 4, v22
	v_add_lshl_u32 v44, v41, v21, 2
	v_and_b32_e32 v21, 1, v22
	v_add_co_u32_e64 v23, s[18:19], -1, v21
	v_addc_co_u32_e64 v24, s[18:19], 0, -1, s[18:19]
	v_cmp_ne_u32_e64 s[18:19], 0, v21
	v_xor_b32_e32 v21, s19, v24
	v_and_b32_e32 v24, exec_hi, v21
	v_lshlrev_b32_e32 v21, 30, v22
	v_xor_b32_e32 v23, s18, v23
	v_cmp_gt_i64_e64 s[18:19], 0, v[20:21]
	v_not_b32_e32 v21, v21
	v_ashrrev_i32_e32 v21, 31, v21
	v_and_b32_e32 v23, exec_lo, v23
	v_xor_b32_e32 v25, s19, v21
	v_xor_b32_e32 v21, s18, v21
	v_and_b32_e32 v23, v23, v21
	v_lshlrev_b32_e32 v21, 29, v22
	v_cmp_gt_i64_e64 s[18:19], 0, v[20:21]
	v_not_b32_e32 v21, v21
	v_ashrrev_i32_e32 v21, 31, v21
	v_and_b32_e32 v24, v24, v25
	v_xor_b32_e32 v25, s19, v21
	v_xor_b32_e32 v21, s18, v21
	v_and_b32_e32 v23, v23, v21
	v_lshlrev_b32_e32 v21, 28, v22
	v_cmp_gt_i64_e64 s[18:19], 0, v[20:21]
	v_not_b32_e32 v21, v21
	v_ashrrev_i32_e32 v21, 31, v21
	v_and_b32_e32 v24, v24, v25
	;; [unrolled: 8-line block ×5, first 2 shown]
	v_xor_b32_e32 v25, s19, v21
	v_xor_b32_e32 v21, s18, v21
	v_and_b32_e32 v23, v23, v21
	v_lshlrev_b32_e32 v21, 24, v22
	v_cmp_gt_i64_e64 s[18:19], 0, v[20:21]
	v_not_b32_e32 v20, v21
	v_ashrrev_i32_e32 v20, 31, v20
	v_xor_b32_e32 v21, s19, v20
	v_xor_b32_e32 v20, s18, v20
	; wave barrier
	ds_read_b32 v39, v44 offset:64
	v_and_b32_e32 v24, v24, v25
	v_and_b32_e32 v20, v23, v20
	;; [unrolled: 1-line block ×3, first 2 shown]
	v_mbcnt_lo_u32_b32 v22, v20, 0
	v_mbcnt_hi_u32_b32 v42, v21, v22
	v_cmp_eq_u32_e64 s[18:19], 0, v42
	v_cmp_ne_u64_e64 s[20:21], 0, v[20:21]
	s_and_b64 s[20:21], s[20:21], s[18:19]
	; wave barrier
	s_and_saveexec_b64 s[18:19], s[20:21]
	s_cbranch_execz .LBB1620_29
; %bb.28:
	v_bcnt_u32_b32 v20, v20, 0
	v_bcnt_u32_b32 v20, v21, v20
	s_waitcnt lgkmcnt(0)
	v_add_u32_e32 v20, v39, v20
	ds_write_b32 v44, v20 offset:64
.LBB1620_29:
	s_or_b64 exec, exec, s[18:19]
	v_bfrev_b32_e32 v24, 1
	v_cmp_lt_i64_e64 s[18:19], -1, v[8:9]
	v_cndmask_b32_e64 v20, -1, v24, s[18:19]
	v_ashrrev_i32_e32 v22, 31, v9
	v_xor_b32_e32 v21, v20, v9
	v_xor_b32_e32 v20, v22, v8
	v_cmp_ne_u64_e64 s[18:19], s[22:23], v[20:21]
	v_cndmask_b32_e64 v23, v24, v21, s[18:19]
	v_cndmask_b32_e64 v22, 0, v20, s[18:19]
	v_lshrrev_b64 v[22:23], s48, v[22:23]
	v_and_b32_e32 v22, s53, v22
	v_lshl_add_u32 v9, v22, 4, v22
	v_add_lshl_u32 v47, v41, v9, 2
	v_and_b32_e32 v9, 1, v22
	v_add_co_u32_e64 v23, s[18:19], -1, v9
	v_addc_co_u32_e64 v25, s[18:19], 0, -1, s[18:19]
	v_cmp_ne_u32_e64 s[18:19], 0, v9
	v_xor_b32_e32 v9, s19, v25
	v_mov_b32_e32 v8, 0
	v_and_b32_e32 v25, exec_hi, v9
	v_lshlrev_b32_e32 v9, 30, v22
	v_xor_b32_e32 v23, s18, v23
	v_cmp_gt_i64_e64 s[18:19], 0, v[8:9]
	v_not_b32_e32 v9, v9
	v_ashrrev_i32_e32 v9, 31, v9
	v_and_b32_e32 v23, exec_lo, v23
	v_xor_b32_e32 v26, s19, v9
	v_xor_b32_e32 v9, s18, v9
	v_and_b32_e32 v23, v23, v9
	v_lshlrev_b32_e32 v9, 29, v22
	v_cmp_gt_i64_e64 s[18:19], 0, v[8:9]
	v_not_b32_e32 v9, v9
	v_ashrrev_i32_e32 v9, 31, v9
	v_and_b32_e32 v25, v25, v26
	v_xor_b32_e32 v26, s19, v9
	v_xor_b32_e32 v9, s18, v9
	v_and_b32_e32 v23, v23, v9
	v_lshlrev_b32_e32 v9, 28, v22
	v_cmp_gt_i64_e64 s[18:19], 0, v[8:9]
	v_not_b32_e32 v9, v9
	v_ashrrev_i32_e32 v9, 31, v9
	v_and_b32_e32 v25, v25, v26
	;; [unrolled: 8-line block ×5, first 2 shown]
	v_xor_b32_e32 v26, s19, v9
	v_xor_b32_e32 v9, s18, v9
	v_and_b32_e32 v25, v25, v26
	v_and_b32_e32 v26, v23, v9
	v_lshlrev_b32_e32 v9, 24, v22
	v_cmp_gt_i64_e64 s[18:19], 0, v[8:9]
	v_not_b32_e32 v9, v9
	v_ashrrev_i32_e32 v9, 31, v9
	v_xor_b32_e32 v22, s19, v9
	v_xor_b32_e32 v9, s18, v9
	; wave barrier
	ds_read_b32 v43, v47 offset:64
	v_and_b32_e32 v23, v25, v22
	v_and_b32_e32 v22, v26, v9
	v_mbcnt_lo_u32_b32 v9, v22, 0
	v_mbcnt_hi_u32_b32 v45, v23, v9
	v_cmp_eq_u32_e64 s[18:19], 0, v45
	v_cmp_ne_u64_e64 s[20:21], 0, v[22:23]
	s_and_b64 s[20:21], s[20:21], s[18:19]
	; wave barrier
	s_and_saveexec_b64 s[18:19], s[20:21]
	s_cbranch_execz .LBB1620_31
; %bb.30:
	v_bcnt_u32_b32 v9, v22, 0
	v_bcnt_u32_b32 v9, v23, v9
	s_waitcnt lgkmcnt(0)
	v_add_u32_e32 v9, v43, v9
	ds_write_b32 v47, v9 offset:64
.LBB1620_31:
	s_or_b64 exec, exec, s[18:19]
	v_cmp_lt_i64_e64 s[18:19], -1, v[6:7]
	v_cndmask_b32_e64 v9, -1, v24, s[18:19]
	v_ashrrev_i32_e32 v22, 31, v7
	v_xor_b32_e32 v23, v9, v7
	v_xor_b32_e32 v22, v22, v6
	v_cmp_ne_u64_e64 s[18:19], s[22:23], v[22:23]
	v_cndmask_b32_e64 v7, v24, v23, s[18:19]
	v_cndmask_b32_e64 v6, 0, v22, s[18:19]
	v_lshrrev_b64 v[6:7], s48, v[6:7]
	v_and_b32_e32 v6, s53, v6
	v_lshl_add_u32 v7, v6, 4, v6
	v_add_lshl_u32 v48, v41, v7, 2
	v_and_b32_e32 v7, 1, v6
	v_add_co_u32_e64 v9, s[18:19], -1, v7
	v_addc_co_u32_e64 v24, s[18:19], 0, -1, s[18:19]
	v_cmp_ne_u32_e64 s[18:19], 0, v7
	v_xor_b32_e32 v9, s18, v9
	v_xor_b32_e32 v7, s19, v24
	v_and_b32_e32 v24, exec_lo, v9
	v_lshlrev_b32_e32 v9, 30, v6
	v_cmp_gt_i64_e64 s[18:19], 0, v[8:9]
	v_not_b32_e32 v9, v9
	v_ashrrev_i32_e32 v9, 31, v9
	v_xor_b32_e32 v25, s19, v9
	v_xor_b32_e32 v9, s18, v9
	v_and_b32_e32 v24, v24, v9
	v_lshlrev_b32_e32 v9, 29, v6
	v_cmp_gt_i64_e64 s[18:19], 0, v[8:9]
	v_not_b32_e32 v9, v9
	v_and_b32_e32 v7, exec_hi, v7
	v_ashrrev_i32_e32 v9, 31, v9
	v_and_b32_e32 v7, v7, v25
	v_xor_b32_e32 v25, s19, v9
	v_xor_b32_e32 v9, s18, v9
	v_and_b32_e32 v24, v24, v9
	v_lshlrev_b32_e32 v9, 28, v6
	v_cmp_gt_i64_e64 s[18:19], 0, v[8:9]
	v_not_b32_e32 v9, v9
	v_ashrrev_i32_e32 v9, 31, v9
	v_and_b32_e32 v7, v7, v25
	v_xor_b32_e32 v25, s19, v9
	v_xor_b32_e32 v9, s18, v9
	v_and_b32_e32 v24, v24, v9
	v_lshlrev_b32_e32 v9, 27, v6
	v_cmp_gt_i64_e64 s[18:19], 0, v[8:9]
	v_not_b32_e32 v9, v9
	;; [unrolled: 8-line block ×4, first 2 shown]
	v_ashrrev_i32_e32 v9, 31, v9
	v_and_b32_e32 v7, v7, v25
	v_xor_b32_e32 v25, s19, v9
	v_xor_b32_e32 v9, s18, v9
	v_and_b32_e32 v24, v24, v9
	v_lshlrev_b32_e32 v9, 24, v6
	v_not_b32_e32 v6, v9
	v_cmp_gt_i64_e64 s[18:19], 0, v[8:9]
	v_ashrrev_i32_e32 v6, 31, v6
	v_xor_b32_e32 v8, s19, v6
	v_xor_b32_e32 v6, s18, v6
	; wave barrier
	ds_read_b32 v46, v48 offset:64
	v_and_b32_e32 v7, v7, v25
	v_and_b32_e32 v6, v24, v6
	;; [unrolled: 1-line block ×3, first 2 shown]
	v_mbcnt_lo_u32_b32 v8, v6, 0
	v_mbcnt_hi_u32_b32 v8, v7, v8
	v_cmp_eq_u32_e64 s[18:19], 0, v8
	v_cmp_ne_u64_e64 s[20:21], 0, v[6:7]
	s_and_b64 s[20:21], s[20:21], s[18:19]
	; wave barrier
	s_and_saveexec_b64 s[18:19], s[20:21]
	s_cbranch_execz .LBB1620_33
; %bb.32:
	v_bcnt_u32_b32 v6, v6, 0
	v_bcnt_u32_b32 v6, v7, v6
	s_waitcnt lgkmcnt(0)
	v_add_u32_e32 v6, v46, v6
	ds_write_b32 v48, v6 offset:64
.LBB1620_33:
	s_or_b64 exec, exec, s[18:19]
	v_bfrev_b32_e32 v51, 1
	v_cmp_lt_i64_e64 s[18:19], -1, v[4:5]
	v_cndmask_b32_e64 v6, -1, v51, s[18:19]
	v_ashrrev_i32_e32 v7, 31, v5
	v_xor_b32_e32 v25, v6, v5
	v_xor_b32_e32 v24, v7, v4
	v_cmp_ne_u64_e64 s[18:19], s[22:23], v[24:25]
	v_cndmask_b32_e64 v7, v51, v25, s[18:19]
	v_cndmask_b32_e64 v6, 0, v24, s[18:19]
	v_lshrrev_b64 v[6:7], s48, v[6:7]
	v_and_b32_e32 v6, s53, v6
	v_lshl_add_u32 v5, v6, 4, v6
	v_add_lshl_u32 v50, v41, v5, 2
	v_and_b32_e32 v5, 1, v6
	v_add_co_u32_e64 v7, s[18:19], -1, v5
	v_addc_co_u32_e64 v26, s[18:19], 0, -1, s[18:19]
	v_cmp_ne_u32_e64 s[18:19], 0, v5
	v_xor_b32_e32 v5, s19, v26
	v_mov_b32_e32 v4, 0
	v_and_b32_e32 v26, exec_hi, v5
	v_lshlrev_b32_e32 v5, 30, v6
	v_xor_b32_e32 v7, s18, v7
	v_cmp_gt_i64_e64 s[18:19], 0, v[4:5]
	v_not_b32_e32 v5, v5
	v_ashrrev_i32_e32 v5, 31, v5
	v_and_b32_e32 v7, exec_lo, v7
	v_xor_b32_e32 v27, s19, v5
	v_xor_b32_e32 v5, s18, v5
	v_and_b32_e32 v7, v7, v5
	v_lshlrev_b32_e32 v5, 29, v6
	v_cmp_gt_i64_e64 s[18:19], 0, v[4:5]
	v_not_b32_e32 v5, v5
	v_ashrrev_i32_e32 v5, 31, v5
	v_and_b32_e32 v26, v26, v27
	v_xor_b32_e32 v27, s19, v5
	v_xor_b32_e32 v5, s18, v5
	v_and_b32_e32 v7, v7, v5
	v_lshlrev_b32_e32 v5, 28, v6
	v_cmp_gt_i64_e64 s[18:19], 0, v[4:5]
	v_not_b32_e32 v5, v5
	v_ashrrev_i32_e32 v5, 31, v5
	v_and_b32_e32 v26, v26, v27
	;; [unrolled: 8-line block ×5, first 2 shown]
	v_xor_b32_e32 v27, s19, v5
	v_xor_b32_e32 v5, s18, v5
	v_and_b32_e32 v26, v26, v27
	v_and_b32_e32 v27, v7, v5
	v_lshlrev_b32_e32 v5, 24, v6
	v_cmp_gt_i64_e64 s[18:19], 0, v[4:5]
	v_not_b32_e32 v5, v5
	v_ashrrev_i32_e32 v5, 31, v5
	v_xor_b32_e32 v6, s19, v5
	v_xor_b32_e32 v5, s18, v5
	; wave barrier
	ds_read_b32 v9, v50 offset:64
	v_and_b32_e32 v7, v26, v6
	v_and_b32_e32 v6, v27, v5
	v_mbcnt_lo_u32_b32 v5, v6, 0
	v_mbcnt_hi_u32_b32 v49, v7, v5
	v_cmp_eq_u32_e64 s[18:19], 0, v49
	v_cmp_ne_u64_e64 s[20:21], 0, v[6:7]
	s_and_b64 s[20:21], s[20:21], s[18:19]
	; wave barrier
	s_and_saveexec_b64 s[18:19], s[20:21]
	s_cbranch_execz .LBB1620_35
; %bb.34:
	v_bcnt_u32_b32 v5, v6, 0
	v_bcnt_u32_b32 v5, v7, v5
	s_waitcnt lgkmcnt(0)
	v_add_u32_e32 v5, v9, v5
	ds_write_b32 v50, v5 offset:64
.LBB1620_35:
	s_or_b64 exec, exec, s[18:19]
	v_cmp_lt_i64_e64 s[18:19], -1, v[2:3]
	v_cndmask_b32_e64 v5, -1, v51, s[18:19]
	v_ashrrev_i32_e32 v7, 31, v3
	v_xor_b32_e32 v27, v5, v3
	v_xor_b32_e32 v26, v7, v2
	v_cmp_ne_u64_e64 s[18:19], s[22:23], v[26:27]
	v_cndmask_b32_e64 v3, v51, v27, s[18:19]
	v_cndmask_b32_e64 v2, 0, v26, s[18:19]
	v_lshrrev_b64 v[2:3], s48, v[2:3]
	v_and_b32_e32 v2, s53, v2
	v_lshl_add_u32 v3, v2, 4, v2
	v_add_lshl_u32 v7, v3, v41, 2
	v_and_b32_e32 v3, 1, v2
	v_add_co_u32_e64 v5, s[18:19], -1, v3
	v_addc_co_u32_e64 v51, s[18:19], 0, -1, s[18:19]
	v_cmp_ne_u32_e64 s[18:19], 0, v3
	v_xor_b32_e32 v5, s18, v5
	v_xor_b32_e32 v3, s19, v51
	v_and_b32_e32 v51, exec_lo, v5
	v_lshlrev_b32_e32 v5, 30, v2
	v_cmp_gt_i64_e64 s[18:19], 0, v[4:5]
	v_not_b32_e32 v5, v5
	v_ashrrev_i32_e32 v5, 31, v5
	v_xor_b32_e32 v52, s19, v5
	v_xor_b32_e32 v5, s18, v5
	v_and_b32_e32 v51, v51, v5
	v_lshlrev_b32_e32 v5, 29, v2
	v_cmp_gt_i64_e64 s[18:19], 0, v[4:5]
	v_not_b32_e32 v5, v5
	v_and_b32_e32 v3, exec_hi, v3
	v_ashrrev_i32_e32 v5, 31, v5
	v_and_b32_e32 v3, v3, v52
	v_xor_b32_e32 v52, s19, v5
	v_xor_b32_e32 v5, s18, v5
	v_and_b32_e32 v51, v51, v5
	v_lshlrev_b32_e32 v5, 28, v2
	v_cmp_gt_i64_e64 s[18:19], 0, v[4:5]
	v_not_b32_e32 v5, v5
	v_ashrrev_i32_e32 v5, 31, v5
	v_and_b32_e32 v3, v3, v52
	v_xor_b32_e32 v52, s19, v5
	v_xor_b32_e32 v5, s18, v5
	v_and_b32_e32 v51, v51, v5
	v_lshlrev_b32_e32 v5, 27, v2
	v_cmp_gt_i64_e64 s[18:19], 0, v[4:5]
	v_not_b32_e32 v5, v5
	v_ashrrev_i32_e32 v5, 31, v5
	v_and_b32_e32 v3, v3, v52
	v_xor_b32_e32 v52, s19, v5
	v_xor_b32_e32 v5, s18, v5
	v_and_b32_e32 v51, v51, v5
	v_lshlrev_b32_e32 v5, 26, v2
	v_cmp_gt_i64_e64 s[18:19], 0, v[4:5]
	v_not_b32_e32 v5, v5
	v_ashrrev_i32_e32 v5, 31, v5
	v_and_b32_e32 v3, v3, v52
	v_xor_b32_e32 v52, s19, v5
	v_xor_b32_e32 v5, s18, v5
	v_and_b32_e32 v51, v51, v5
	v_lshlrev_b32_e32 v5, 25, v2
	v_cmp_gt_i64_e64 s[18:19], 0, v[4:5]
	v_not_b32_e32 v5, v5
	v_ashrrev_i32_e32 v5, 31, v5
	v_and_b32_e32 v3, v3, v52
	v_xor_b32_e32 v52, s19, v5
	v_xor_b32_e32 v5, s18, v5
	v_and_b32_e32 v51, v51, v5
	v_lshlrev_b32_e32 v5, 24, v2
	v_not_b32_e32 v2, v5
	v_cmp_gt_i64_e64 s[18:19], 0, v[4:5]
	v_ashrrev_i32_e32 v2, 31, v2
	v_xor_b32_e32 v4, s19, v2
	v_xor_b32_e32 v2, s18, v2
	; wave barrier
	ds_read_b32 v41, v7 offset:64
	v_and_b32_e32 v3, v3, v52
	v_and_b32_e32 v2, v51, v2
	;; [unrolled: 1-line block ×3, first 2 shown]
	v_mbcnt_lo_u32_b32 v4, v2, 0
	v_mbcnt_hi_u32_b32 v51, v3, v4
	v_cmp_eq_u32_e64 s[18:19], 0, v51
	v_cmp_ne_u64_e64 s[20:21], 0, v[2:3]
	v_add_u32_e32 v6, 64, v33
	s_and_b64 s[20:21], s[20:21], s[18:19]
	; wave barrier
	s_and_saveexec_b64 s[18:19], s[20:21]
	s_cbranch_execz .LBB1620_37
; %bb.36:
	v_bcnt_u32_b32 v2, v2, 0
	v_bcnt_u32_b32 v2, v3, v2
	s_waitcnt lgkmcnt(0)
	v_add_u32_e32 v2, v41, v2
	ds_write_b32 v7, v2 offset:64
.LBB1620_37:
	s_or_b64 exec, exec, s[18:19]
	; wave barrier
	s_waitcnt lgkmcnt(0)
	s_barrier
	ds_read2_b32 v[4:5], v33 offset0:16 offset1:17
	ds_read2_b32 v[2:3], v6 offset0:2 offset1:3
	ds_read_b32 v52, v6 offset:16
	v_cmp_lt_u32_e64 s[28:29], 31, v28
	s_waitcnt lgkmcnt(1)
	v_add3_u32 v53, v5, v4, v2
	s_waitcnt lgkmcnt(0)
	v_add3_u32 v52, v53, v3, v52
	v_and_b32_e32 v53, 15, v28
	v_cmp_eq_u32_e64 s[18:19], 0, v53
	v_mov_b32_dpp v54, v52 row_shr:1 row_mask:0xf bank_mask:0xf
	v_cndmask_b32_e64 v54, v54, 0, s[18:19]
	v_add_u32_e32 v52, v54, v52
	v_cmp_lt_u32_e64 s[20:21], 1, v53
	v_cmp_lt_u32_e64 s[22:23], 3, v53
	v_mov_b32_dpp v54, v52 row_shr:2 row_mask:0xf bank_mask:0xf
	v_cndmask_b32_e64 v54, 0, v54, s[20:21]
	v_add_u32_e32 v52, v52, v54
	v_cmp_lt_u32_e64 s[24:25], 7, v53
	s_nop 0
	v_mov_b32_dpp v54, v52 row_shr:4 row_mask:0xf bank_mask:0xf
	v_cndmask_b32_e64 v54, 0, v54, s[22:23]
	v_add_u32_e32 v52, v52, v54
	s_nop 1
	v_mov_b32_dpp v54, v52 row_shr:8 row_mask:0xf bank_mask:0xf
	v_cndmask_b32_e64 v53, 0, v54, s[24:25]
	v_add_u32_e32 v52, v52, v53
	v_bfe_i32 v54, v28, 4, 1
	s_nop 0
	v_mov_b32_dpp v53, v52 row_bcast:15 row_mask:0xf bank_mask:0xf
	v_and_b32_e32 v53, v54, v53
	v_add_u32_e32 v52, v52, v53
	v_and_b32_e32 v54, 63, v10
	s_nop 0
	v_mov_b32_dpp v53, v52 row_bcast:31 row_mask:0xf bank_mask:0xf
	v_cndmask_b32_e64 v53, 0, v53, s[28:29]
	v_add_u32_e32 v52, v52, v53
	v_lshrrev_b32_e32 v53, 6, v10
	v_cmp_eq_u32_e64 s[28:29], 63, v54
	s_and_saveexec_b64 s[50:51], s[28:29]
	s_cbranch_execz .LBB1620_39
; %bb.38:
	v_lshlrev_b32_e32 v54, 2, v53
	ds_write_b32 v54, v52
.LBB1620_39:
	s_or_b64 exec, exec, s[50:51]
	v_cmp_gt_u32_e64 s[28:29], 16, v10
	s_waitcnt lgkmcnt(0)
	s_barrier
	s_and_saveexec_b64 s[50:51], s[28:29]
	s_cbranch_execz .LBB1620_41
; %bb.40:
	v_lshlrev_b32_e32 v54, 2, v10
	ds_read_b32 v55, v54
	s_waitcnt lgkmcnt(0)
	s_nop 0
	v_mov_b32_dpp v56, v55 row_shr:1 row_mask:0xf bank_mask:0xf
	v_cndmask_b32_e64 v56, v56, 0, s[18:19]
	v_add_u32_e32 v55, v56, v55
	s_nop 1
	v_mov_b32_dpp v56, v55 row_shr:2 row_mask:0xf bank_mask:0xf
	v_cndmask_b32_e64 v56, 0, v56, s[20:21]
	v_add_u32_e32 v55, v55, v56
	;; [unrolled: 4-line block ×4, first 2 shown]
	ds_write_b32 v54, v55
.LBB1620_41:
	s_or_b64 exec, exec, s[50:51]
	v_cmp_lt_u32_e64 s[18:19], 63, v10
	v_mov_b32_e32 v54, 0
	s_waitcnt lgkmcnt(0)
	s_barrier
	s_and_saveexec_b64 s[20:21], s[18:19]
	s_cbranch_execz .LBB1620_43
; %bb.42:
	v_lshl_add_u32 v53, v53, 2, -4
	ds_read_b32 v54, v53
.LBB1620_43:
	s_or_b64 exec, exec, s[20:21]
	v_add_u32_e32 v53, -1, v28
	v_and_b32_e32 v55, 64, v28
	v_cmp_lt_i32_e64 s[18:19], v53, v55
	v_cndmask_b32_e64 v53, v53, v28, s[18:19]
	s_waitcnt lgkmcnt(0)
	v_add_u32_e32 v52, v54, v52
	v_lshlrev_b32_e32 v53, 2, v53
	ds_bpermute_b32 v52, v53, v52
	v_cmp_eq_u32_e64 s[18:19], 0, v28
	s_waitcnt lgkmcnt(0)
	v_cndmask_b32_e64 v28, v52, v54, s[18:19]
	v_cndmask_b32_e64 v28, v28, 0, s[0:1]
	v_add_u32_e32 v4, v28, v4
	v_add_u32_e32 v5, v4, v5
	v_add_u32_e32 v2, v5, v2
	v_add_u32_e32 v3, v2, v3
	ds_write2_b32 v33, v28, v4 offset0:16 offset1:17
	ds_write2_b32 v6, v5, v2 offset0:2 offset1:3
	ds_write_b32 v6, v3 offset:16
	s_waitcnt lgkmcnt(0)
	s_barrier
	ds_read_b32 v54, v35 offset:64
	ds_read_b32 v28, v37 offset:64
	;; [unrolled: 1-line block ×8, first 2 shown]
	s_movk_i32 s18, 0x100
	v_cmp_gt_u32_e64 s[18:19], s18, v10
                                        ; implicit-def: $vgpr33
                                        ; implicit-def: $vgpr35
	s_and_saveexec_b64 s[22:23], s[18:19]
	s_cbranch_execz .LBB1620_47
; %bb.44:
	v_mul_u32_u24_e32 v2, 17, v10
	v_lshlrev_b32_e32 v3, 2, v2
	ds_read_b32 v33, v3 offset:64
	s_movk_i32 s20, 0xff
	v_cmp_ne_u32_e64 s[20:21], s20, v10
	v_mov_b32_e32 v2, 0x2000
	s_and_saveexec_b64 s[24:25], s[20:21]
	s_cbranch_execz .LBB1620_46
; %bb.45:
	ds_read_b32 v2, v3 offset:132
.LBB1620_46:
	s_or_b64 exec, exec, s[24:25]
	s_waitcnt lgkmcnt(0)
	v_sub_u32_e32 v35, v2, v33
.LBB1620_47:
	s_or_b64 exec, exec, s[22:23]
	s_waitcnt lgkmcnt(0)
	s_barrier
	s_and_saveexec_b64 s[22:23], s[18:19]
	s_cbranch_execz .LBB1620_57
; %bb.48:
	v_lshl_or_b32 v2, s33, 8, v10
	v_mov_b32_e32 v3, 0
	v_lshlrev_b64 v[4:5], 2, v[2:3]
	v_mov_b32_e32 v37, s31
	v_add_co_u32_e64 v4, s[20:21], s30, v4
	v_addc_co_u32_e64 v5, s[20:21], v37, v5, s[20:21]
	v_or_b32_e32 v2, 2.0, v35
	s_mov_b64 s[24:25], 0
	s_brev_b32 s54, 1
	s_mov_b32 s55, s33
	v_mov_b32_e32 v40, 0
	global_store_dword v[4:5], v2, off
                                        ; implicit-def: $sgpr20_sgpr21
	s_branch .LBB1620_50
.LBB1620_49:                            ;   in Loop: Header=BB1620_50 Depth=1
	s_or_b64 exec, exec, s[28:29]
	v_and_b32_e32 v6, 0x3fffffff, v55
	v_add_u32_e32 v40, v6, v40
	v_cmp_eq_u32_e64 s[20:21], s54, v2
	s_and_b64 s[28:29], exec, s[20:21]
	s_or_b64 s[24:25], s[28:29], s[24:25]
	s_andn2_b64 exec, exec, s[24:25]
	s_cbranch_execz .LBB1620_56
.LBB1620_50:                            ; =>This Loop Header: Depth=1
                                        ;     Child Loop BB1620_53 Depth 2
	s_or_b64 s[20:21], s[20:21], exec
	s_cmp_eq_u32 s55, 0
	s_cbranch_scc1 .LBB1620_55
; %bb.51:                               ;   in Loop: Header=BB1620_50 Depth=1
	s_add_i32 s55, s55, -1
	v_lshl_or_b32 v2, s55, 8, v10
	v_lshlrev_b64 v[6:7], 2, v[2:3]
	v_add_co_u32_e64 v6, s[20:21], s30, v6
	v_addc_co_u32_e64 v7, s[20:21], v37, v7, s[20:21]
	global_load_dword v55, v[6:7], off glc
	s_waitcnt vmcnt(0)
	v_and_b32_e32 v2, -2.0, v55
	v_cmp_eq_u32_e64 s[20:21], 0, v2
	s_and_saveexec_b64 s[28:29], s[20:21]
	s_cbranch_execz .LBB1620_49
; %bb.52:                               ;   in Loop: Header=BB1620_50 Depth=1
	s_mov_b64 s[50:51], 0
.LBB1620_53:                            ;   Parent Loop BB1620_50 Depth=1
                                        ; =>  This Inner Loop Header: Depth=2
	global_load_dword v55, v[6:7], off glc
	s_waitcnt vmcnt(0)
	v_and_b32_e32 v2, -2.0, v55
	v_cmp_ne_u32_e64 s[20:21], 0, v2
	s_or_b64 s[50:51], s[20:21], s[50:51]
	s_andn2_b64 exec, exec, s[50:51]
	s_cbranch_execnz .LBB1620_53
; %bb.54:                               ;   in Loop: Header=BB1620_50 Depth=1
	s_or_b64 exec, exec, s[50:51]
	s_branch .LBB1620_49
.LBB1620_55:                            ;   in Loop: Header=BB1620_50 Depth=1
                                        ; implicit-def: $sgpr55
	s_and_b64 s[28:29], exec, s[20:21]
	s_or_b64 s[24:25], s[28:29], s[24:25]
	s_andn2_b64 exec, exec, s[24:25]
	s_cbranch_execnz .LBB1620_50
.LBB1620_56:
	s_or_b64 exec, exec, s[24:25]
	v_add_u32_e32 v2, v40, v35
	v_or_b32_e32 v2, 0x80000000, v2
	global_store_dword v[4:5], v2, off
	v_lshlrev_b32_e32 v2, 2, v10
	global_load_dword v3, v2, s[44:45]
	v_sub_u32_e32 v4, v40, v33
	s_waitcnt vmcnt(0)
	v_add_u32_e32 v3, v4, v3
	ds_write_b32 v2, v3
.LBB1620_57:
	s_or_b64 exec, exec, s[22:23]
	s_mov_b32 s24, -1
	v_add_u32_e32 v37, v54, v29
	s_movk_i32 s50, 0x400
	v_add_u32_e32 v40, 0x400, v11
	v_add3_u32 v41, v51, v50, v41
	v_add3_u32 v44, v49, v44, v9
	v_add3_u32 v46, v8, v48, v46
	v_add3_u32 v43, v45, v47, v43
	v_add3_u32 v39, v42, v53, v39
	v_add3_u32 v36, v38, v52, v36
	v_add3_u32 v32, v34, v28, v32
	s_mov_b32 s51, 0
	s_brev_b32 s25, -2
	v_mov_b32_e32 v29, 0
	v_bfrev_b32_e32 v34, 1
	v_mov_b32_e32 v38, v10
	s_mov_b32 s54, 0
                                        ; implicit-def: $vgpr2_vgpr3_vgpr4_vgpr5_vgpr6_vgpr7_vgpr8_vgpr9
	s_branch .LBB1620_59
.LBB1620_58:                            ;   in Loop: Header=BB1620_59 Depth=1
	s_or_b64 exec, exec, s[28:29]
	s_addk_i32 s54, 0xf800
	s_add_i32 s51, s51, 2
	s_cmpk_eq_i32 s54, 0xe000
	v_add_u32_e32 v38, 0x800, v38
	s_barrier
	s_cbranch_scc1 .LBB1620_64
.LBB1620_59:                            ; =>This Inner Loop Header: Depth=1
	v_add_u32_e32 v28, s54, v37
	v_min_u32_e32 v28, 0x800, v28
	v_lshlrev_b32_e32 v28, 3, v28
	ds_write_b64 v28, v[12:13] offset:1024
	v_add_u32_e32 v28, s54, v32
	v_min_u32_e32 v28, 0x800, v28
	v_lshlrev_b32_e32 v28, 3, v28
	ds_write_b64 v28, v[14:15] offset:1024
	;; [unrolled: 4-line block ×7, first 2 shown]
	v_add_u32_e32 v28, s54, v41
	v_min_u32_e32 v28, 0x800, v28
	v_lshlrev_b32_e32 v28, 3, v28
	v_cmp_gt_u32_e64 s[20:21], s7, v38
	ds_write_b64 v28, v[26:27] offset:1024
	s_waitcnt lgkmcnt(0)
	s_barrier
	s_and_saveexec_b64 s[28:29], s[20:21]
	s_cbranch_execz .LBB1620_61
; %bb.60:                               ;   in Loop: Header=BB1620_59 Depth=1
	ds_read_b64 v[48:49], v11 offset:1024
	v_mov_b32_e32 v42, s39
	s_cmp_eq_u32 s51, 7
	s_waitcnt lgkmcnt(0)
	v_cmp_ne_u64_e64 s[20:21], s[24:25], v[48:49]
	v_cndmask_b32_e64 v51, v34, v49, s[20:21]
	v_cndmask_b32_e64 v50, 0, v48, s[20:21]
	v_lshrrev_b64 v[50:51], s48, v[50:51]
	v_and_b32_e32 v45, s53, v50
	v_lshlrev_b32_e32 v47, 2, v45
	ds_read_b32 v47, v47
	v_cmp_lt_i64_e64 s[22:23], -1, v[48:49]
	v_cndmask_b32_e64 v28, v34, -1, s[22:23]
	v_ashrrev_i32_e32 v50, 31, v49
	v_not_b32_e32 v50, v50
	v_xor_b32_e32 v49, v28, v49
	s_waitcnt lgkmcnt(0)
	v_add_u32_e32 v28, v38, v47
	v_xor_b32_e32 v48, v50, v48
	v_lshlrev_b64 v[50:51], 3, v[28:29]
	v_add_co_u32_e64 v50, s[20:21], s38, v50
	v_addc_co_u32_e64 v51, s[20:21], v42, v51, s[20:21]
	s_cselect_b64 s[20:21], -1, 0
	s_cmp_eq_u32 s51, 6
	v_cndmask_b32_e64 v9, v9, v45, s[20:21]
	s_cselect_b64 s[20:21], -1, 0
	s_cmp_eq_u32 s51, 5
	v_cndmask_b32_e64 v8, v8, v45, s[20:21]
	;; [unrolled: 3-line block ×7, first 2 shown]
	s_cselect_b64 s[20:21], -1, 0
	v_cndmask_b32_e64 v2, v2, v45, s[20:21]
	global_store_dwordx2 v[50:51], v[48:49], off
.LBB1620_61:                            ;   in Loop: Header=BB1620_59 Depth=1
	s_or_b64 exec, exec, s[28:29]
	v_add_u32_e32 v28, 0x400, v38
	v_cmp_gt_u32_e64 s[20:21], s7, v28
	s_and_saveexec_b64 s[28:29], s[20:21]
	s_cbranch_execz .LBB1620_58
; %bb.62:                               ;   in Loop: Header=BB1620_59 Depth=1
	ds_read_b64 v[48:49], v40 offset:8192
	v_mov_b32_e32 v42, s39
	s_waitcnt lgkmcnt(0)
	v_cmp_ne_u64_e64 s[20:21], s[24:25], v[48:49]
	v_cndmask_b32_e64 v51, v34, v49, s[20:21]
	v_cndmask_b32_e64 v50, 0, v48, s[20:21]
	v_lshrrev_b64 v[50:51], s48, v[50:51]
	v_and_b32_e32 v45, s53, v50
	v_lshlrev_b32_e32 v47, 2, v45
	ds_read_b32 v47, v47
	v_cmp_lt_i64_e64 s[22:23], -1, v[48:49]
	v_cndmask_b32_e64 v28, v34, -1, s[22:23]
	v_ashrrev_i32_e32 v50, 31, v49
	v_not_b32_e32 v50, v50
	v_xor_b32_e32 v49, v28, v49
	s_waitcnt lgkmcnt(0)
	v_add3_u32 v28, v38, v47, s50
	v_xor_b32_e32 v48, v50, v48
	v_lshlrev_b64 v[50:51], 3, v[28:29]
	v_add_co_u32_e64 v50, s[20:21], s38, v50
	s_add_i32 s22, s51, 1
	v_addc_co_u32_e64 v51, s[20:21], v42, v51, s[20:21]
	s_cmp_eq_u32 s22, 7
	s_cselect_b64 s[20:21], -1, 0
	s_cmp_eq_u32 s22, 6
	v_cndmask_b32_e64 v9, v9, v45, s[20:21]
	s_cselect_b64 s[20:21], -1, 0
	s_cmp_eq_u32 s22, 5
	v_cndmask_b32_e64 v8, v8, v45, s[20:21]
	;; [unrolled: 3-line block ×7, first 2 shown]
	s_cselect_b64 s[20:21], -1, 0
	v_cndmask_b32_e64 v2, v2, v45, s[20:21]
	global_store_dwordx2 v[50:51], v[48:49], off
	s_branch .LBB1620_58
.LBB1620_63:
	s_mov_b64 s[10:11], 0
                                        ; implicit-def: $vgpr2
	s_cbranch_execnz .LBB1620_82
	s_branch .LBB1620_125
.LBB1620_64:
	s_add_u32 s20, s40, s34
	s_addc_u32 s21, s41, s35
	v_mov_b32_e32 v12, s21
	v_add_co_u32_e64 v13, s[20:21], s20, v30
	v_addc_co_u32_e64 v12, s[20:21], 0, v12, s[20:21]
	v_add_co_u32_e64 v28, s[20:21], v13, v31
	v_addc_co_u32_e64 v29, s[20:21], 0, v12, s[20:21]
                                        ; implicit-def: $vgpr12_vgpr13
	s_and_saveexec_b64 s[20:21], vcc
	s_cbranch_execnz .LBB1620_128
; %bb.65:
	s_or_b64 exec, exec, s[20:21]
                                        ; implicit-def: $vgpr14_vgpr15
	s_and_saveexec_b64 s[20:21], s[2:3]
	s_cbranch_execnz .LBB1620_129
.LBB1620_66:
	s_or_b64 exec, exec, s[20:21]
                                        ; implicit-def: $vgpr16_vgpr17
	s_and_saveexec_b64 s[2:3], s[26:27]
	s_cbranch_execnz .LBB1620_130
.LBB1620_67:
	s_or_b64 exec, exec, s[2:3]
                                        ; implicit-def: $vgpr18_vgpr19
	s_and_saveexec_b64 s[2:3], s[8:9]
	s_cbranch_execnz .LBB1620_131
.LBB1620_68:
	s_or_b64 exec, exec, s[2:3]
                                        ; implicit-def: $vgpr20_vgpr21
	s_and_saveexec_b64 s[2:3], s[10:11]
	s_cbranch_execnz .LBB1620_132
.LBB1620_69:
	s_or_b64 exec, exec, s[2:3]
                                        ; implicit-def: $vgpr22_vgpr23
	s_and_saveexec_b64 s[2:3], s[12:13]
	s_cbranch_execnz .LBB1620_133
.LBB1620_70:
	s_or_b64 exec, exec, s[2:3]
                                        ; implicit-def: $vgpr24_vgpr25
	s_and_saveexec_b64 s[2:3], s[14:15]
	s_cbranch_execnz .LBB1620_134
.LBB1620_71:
	s_or_b64 exec, exec, s[2:3]
                                        ; implicit-def: $vgpr26_vgpr27
	s_and_saveexec_b64 s[2:3], s[16:17]
	s_cbranch_execz .LBB1620_73
.LBB1620_72:
	global_load_dwordx2 v[26:27], v[28:29], off offset:3584
.LBB1620_73:
	s_or_b64 exec, exec, s[2:3]
	s_mov_b32 s8, 0
	v_mov_b32_e32 v29, 0
	s_movk_i32 s9, 0x400
	s_mov_b32 s10, 0
	v_mov_b32_e32 v30, v10
	s_waitcnt vmcnt(0)
	s_branch .LBB1620_75
.LBB1620_74:                            ;   in Loop: Header=BB1620_75 Depth=1
	s_or_b64 exec, exec, s[2:3]
	s_addk_i32 s10, 0xf800
	s_add_i32 s8, s8, 2
	s_cmpk_eq_i32 s10, 0xe000
	v_add_u32_e32 v30, 0x800, v30
	s_barrier
	s_cbranch_scc1 .LBB1620_79
.LBB1620_75:                            ; =>This Inner Loop Header: Depth=1
	v_add_u32_e32 v28, s10, v37
	v_min_u32_e32 v28, 0x800, v28
	v_lshlrev_b32_e32 v28, 3, v28
	ds_write_b64 v28, v[12:13] offset:1024
	v_add_u32_e32 v28, s10, v32
	v_min_u32_e32 v28, 0x800, v28
	v_lshlrev_b32_e32 v28, 3, v28
	ds_write_b64 v28, v[14:15] offset:1024
	v_add_u32_e32 v28, s10, v36
	v_min_u32_e32 v28, 0x800, v28
	v_lshlrev_b32_e32 v28, 3, v28
	ds_write_b64 v28, v[16:17] offset:1024
	v_add_u32_e32 v28, s10, v39
	v_min_u32_e32 v28, 0x800, v28
	v_lshlrev_b32_e32 v28, 3, v28
	ds_write_b64 v28, v[18:19] offset:1024
	v_add_u32_e32 v28, s10, v43
	v_min_u32_e32 v28, 0x800, v28
	v_lshlrev_b32_e32 v28, 3, v28
	ds_write_b64 v28, v[20:21] offset:1024
	v_add_u32_e32 v28, s10, v46
	v_min_u32_e32 v28, 0x800, v28
	v_lshlrev_b32_e32 v28, 3, v28
	ds_write_b64 v28, v[22:23] offset:1024
	v_add_u32_e32 v28, s10, v44
	v_min_u32_e32 v28, 0x800, v28
	v_lshlrev_b32_e32 v28, 3, v28
	ds_write_b64 v28, v[24:25] offset:1024
	v_add_u32_e32 v28, s10, v41
	v_min_u32_e32 v28, 0x800, v28
	v_lshlrev_b32_e32 v28, 3, v28
	v_cmp_gt_u32_e32 vcc, s7, v30
	ds_write_b64 v28, v[26:27] offset:1024
	s_waitcnt lgkmcnt(0)
	s_barrier
	s_and_saveexec_b64 s[2:3], vcc
	s_cbranch_execz .LBB1620_77
; %bb.76:                               ;   in Loop: Header=BB1620_75 Depth=1
	s_cmp_eq_u32 s8, 1
	s_cselect_b64 vcc, -1, 0
	s_cmp_eq_u32 s8, 2
	v_cndmask_b32_e32 v28, v2, v3, vcc
	s_cselect_b64 vcc, -1, 0
	s_cmp_eq_u32 s8, 3
	v_cndmask_b32_e32 v28, v28, v4, vcc
	;; [unrolled: 3-line block ×6, first 2 shown]
	s_cselect_b64 vcc, -1, 0
	v_cndmask_b32_e32 v28, v28, v9, vcc
	v_lshlrev_b32_e32 v28, 2, v28
	ds_read_b32 v28, v28
	ds_read_b64 v[48:49], v11 offset:1024
	s_waitcnt lgkmcnt(1)
	v_add_u32_e32 v28, v30, v28
	v_lshlrev_b64 v[50:51], 3, v[28:29]
	v_mov_b32_e32 v28, s43
	v_add_co_u32_e32 v50, vcc, s42, v50
	v_addc_co_u32_e32 v51, vcc, v28, v51, vcc
	s_waitcnt lgkmcnt(0)
	global_store_dwordx2 v[50:51], v[48:49], off
.LBB1620_77:                            ;   in Loop: Header=BB1620_75 Depth=1
	s_or_b64 exec, exec, s[2:3]
	v_add_u32_e32 v28, 0x400, v30
	v_cmp_gt_u32_e32 vcc, s7, v28
	s_and_saveexec_b64 s[2:3], vcc
	s_cbranch_execz .LBB1620_74
; %bb.78:                               ;   in Loop: Header=BB1620_75 Depth=1
	s_add_i32 s11, s8, 1
	s_cmp_eq_u32 s11, 1
	s_cselect_b64 vcc, -1, 0
	s_cmp_eq_u32 s11, 2
	v_cndmask_b32_e32 v28, v2, v3, vcc
	s_cselect_b64 vcc, -1, 0
	s_cmp_eq_u32 s11, 3
	v_cndmask_b32_e32 v28, v28, v4, vcc
	;; [unrolled: 3-line block ×6, first 2 shown]
	s_cselect_b64 vcc, -1, 0
	v_cndmask_b32_e32 v28, v28, v9, vcc
	v_lshlrev_b32_e32 v28, 2, v28
	ds_read_b32 v28, v28
	ds_read_b64 v[48:49], v40 offset:8192
	s_waitcnt lgkmcnt(1)
	v_add3_u32 v28, v30, v28, s9
	v_lshlrev_b64 v[50:51], 3, v[28:29]
	v_mov_b32_e32 v28, s43
	v_add_co_u32_e32 v50, vcc, s42, v50
	v_addc_co_u32_e32 v51, vcc, v28, v51, vcc
	s_waitcnt lgkmcnt(0)
	global_store_dwordx2 v[50:51], v[48:49], off
	s_branch .LBB1620_74
.LBB1620_79:
	s_add_i32 s52, s52, -1
	s_cmp_eq_u32 s52, s33
	s_cselect_b64 s[2:3], -1, 0
	s_and_b64 s[8:9], s[18:19], s[2:3]
	s_mov_b64 s[2:3], 0
	s_mov_b64 s[10:11], 0
                                        ; implicit-def: $vgpr2
	s_and_saveexec_b64 s[12:13], s[8:9]
	s_xor_b64 s[8:9], exec, s[12:13]
; %bb.80:
	s_mov_b64 s[10:11], exec
	v_add_u32_e32 v2, v33, v35
; %bb.81:
	s_or_b64 exec, exec, s[8:9]
	s_and_b64 vcc, exec, s[2:3]
	s_cbranch_vccz .LBB1620_125
.LBB1620_82:
	s_lshl_b32 s2, s33, 13
	s_mov_b32 s3, 0
	s_lshl_b64 s[12:13], s[2:3], 3
	v_mbcnt_hi_u32_b32 v22, -1, v1
	s_add_u32 s2, s36, s12
	v_and_b32_e32 v1, 63, v22
	s_addc_u32 s3, s37, s13
	v_lshlrev_b32_e32 v24, 3, v1
	v_and_b32_e32 v2, 0x1e00, v11
	v_mov_b32_e32 v1, s3
	v_add_co_u32_e32 v3, vcc, s2, v24
	s_load_dword s16, s[4:5], 0x58
	s_load_dword s2, s[4:5], 0x64
	v_addc_co_u32_e32 v1, vcc, 0, v1, vcc
	v_lshlrev_b32_e32 v25, 3, v2
	v_add_co_u32_e32 v20, vcc, v3, v25
	v_addc_co_u32_e32 v21, vcc, 0, v1, vcc
	global_load_dwordx2 v[28:29], v[20:21], off
	s_add_u32 s3, s4, 0x58
	s_addc_u32 s4, s5, 0
	s_waitcnt lgkmcnt(0)
	s_lshr_b32 s7, s2, 16
	s_cmp_lt_u32 s6, s16
	s_cselect_b32 s2, 12, 18
	s_add_u32 s2, s3, s2
	v_mov_b32_e32 v4, 0
	s_addc_u32 s3, s4, 0
	global_load_ushort v5, v4, s[2:3]
	v_mul_u32_u24_e32 v2, 5, v10
	v_lshlrev_b32_e32 v23, 2, v2
	ds_write2_b32 v23, v4, v4 offset0:16 offset1:17
	ds_write2_b32 v23, v4, v4 offset0:18 offset1:19
	ds_write_b32 v23, v4 offset:80
	global_load_dwordx2 v[2:3], v[20:21], off offset:512
	global_load_dwordx2 v[18:19], v[20:21], off offset:1024
	;; [unrolled: 1-line block ×7, first 2 shown]
	v_bfrev_b32_e32 v27, 1
	v_bfe_u32 v1, v0, 10, 10
	v_bfe_u32 v0, v0, 20, 10
	s_mov_b32 s4, -1
	v_mad_u32_u24 v26, v0, s7, v1
	s_brev_b32 s5, -2
	s_lshl_b32 s2, -1, s49
	s_not_b32 s17, s2
	s_waitcnt lgkmcnt(0)
	s_barrier
	s_waitcnt lgkmcnt(0)
	; wave barrier
	s_waitcnt vmcnt(8)
	v_cmp_lt_i64_e32 vcc, -1, v[28:29]
	v_cndmask_b32_e32 v0, -1, v27, vcc
	v_ashrrev_i32_e32 v20, 31, v29
	v_xor_b32_e32 v1, v0, v29
	v_xor_b32_e32 v0, v20, v28
	v_cmp_ne_u64_e32 vcc, s[4:5], v[0:1]
	v_cndmask_b32_e32 v21, v27, v1, vcc
	v_cndmask_b32_e32 v20, 0, v0, vcc
	v_lshrrev_b64 v[20:21], s48, v[20:21]
	s_waitcnt vmcnt(7)
	v_mad_u64_u32 v[28:29], s[2:3], v26, v5, v[10:11]
	v_and_b32_e32 v20, s17, v20
	v_lshrrev_b32_e32 v34, 6, v28
	v_lshl_add_u32 v21, v20, 4, v20
	v_and_b32_e32 v26, 1, v20
	v_add_lshl_u32 v28, v34, v21, 2
	v_add_co_u32_e32 v21, vcc, -1, v26
	v_lshlrev_b32_e32 v5, 30, v20
	v_addc_co_u32_e64 v29, s[2:3], 0, -1, vcc
	v_cmp_ne_u32_e32 vcc, 0, v26
	v_cmp_gt_i64_e64 s[2:3], 0, v[4:5]
	v_not_b32_e32 v26, v5
	v_lshlrev_b32_e32 v5, 29, v20
	v_xor_b32_e32 v29, vcc_hi, v29
	v_xor_b32_e32 v21, vcc_lo, v21
	v_ashrrev_i32_e32 v26, 31, v26
	v_cmp_gt_i64_e32 vcc, 0, v[4:5]
	v_not_b32_e32 v30, v5
	v_lshlrev_b32_e32 v5, 28, v20
	v_and_b32_e32 v29, exec_hi, v29
	v_and_b32_e32 v21, exec_lo, v21
	v_xor_b32_e32 v31, s3, v26
	v_xor_b32_e32 v26, s2, v26
	v_ashrrev_i32_e32 v30, 31, v30
	v_cmp_gt_i64_e64 s[2:3], 0, v[4:5]
	v_not_b32_e32 v5, v5
	v_and_b32_e32 v29, v29, v31
	v_and_b32_e32 v21, v21, v26
	v_xor_b32_e32 v26, vcc_hi, v30
	v_xor_b32_e32 v30, vcc_lo, v30
	v_ashrrev_i32_e32 v5, 31, v5
	v_and_b32_e32 v26, v29, v26
	v_and_b32_e32 v21, v21, v30
	v_xor_b32_e32 v29, s3, v5
	v_xor_b32_e32 v5, s2, v5
	v_and_b32_e32 v21, v21, v5
	v_lshlrev_b32_e32 v5, 27, v20
	v_cmp_gt_i64_e32 vcc, 0, v[4:5]
	v_not_b32_e32 v5, v5
	v_ashrrev_i32_e32 v5, 31, v5
	v_and_b32_e32 v26, v26, v29
	v_xor_b32_e32 v29, vcc_hi, v5
	v_xor_b32_e32 v5, vcc_lo, v5
	v_and_b32_e32 v21, v21, v5
	v_lshlrev_b32_e32 v5, 26, v20
	v_cmp_gt_i64_e32 vcc, 0, v[4:5]
	v_not_b32_e32 v5, v5
	v_ashrrev_i32_e32 v5, 31, v5
	v_and_b32_e32 v26, v26, v29
	v_xor_b32_e32 v29, vcc_hi, v5
	v_xor_b32_e32 v5, vcc_lo, v5
	;; [unrolled: 8-line block ×3, first 2 shown]
	v_and_b32_e32 v26, v26, v29
	v_and_b32_e32 v29, v21, v5
	v_lshlrev_b32_e32 v5, 24, v20
	v_cmp_gt_i64_e32 vcc, 0, v[4:5]
	v_not_b32_e32 v5, v5
	v_ashrrev_i32_e32 v5, 31, v5
	v_xor_b32_e32 v20, vcc_hi, v5
	v_xor_b32_e32 v5, vcc_lo, v5
	v_and_b32_e32 v21, v26, v20
	v_and_b32_e32 v20, v29, v5
	v_mbcnt_lo_u32_b32 v5, v20, 0
	v_mbcnt_hi_u32_b32 v26, v21, v5
	v_cmp_eq_u32_e32 vcc, 0, v26
	v_cmp_ne_u64_e64 s[2:3], 0, v[20:21]
	s_and_b64 s[6:7], s[2:3], vcc
	s_and_saveexec_b64 s[2:3], s[6:7]
	s_cbranch_execz .LBB1620_84
; %bb.83:
	v_bcnt_u32_b32 v5, v20, 0
	v_bcnt_u32_b32 v5, v21, v5
	ds_write_b32 v28, v5 offset:64
.LBB1620_84:
	s_or_b64 exec, exec, s[2:3]
	s_waitcnt vmcnt(6)
	v_cmp_lt_i64_e32 vcc, -1, v[2:3]
	v_cndmask_b32_e32 v5, -1, v27, vcc
	v_ashrrev_i32_e32 v20, 31, v3
	v_xor_b32_e32 v3, v5, v3
	v_xor_b32_e32 v2, v20, v2
	v_cmp_ne_u64_e32 vcc, s[4:5], v[2:3]
	v_cndmask_b32_e32 v21, v27, v3, vcc
	v_cndmask_b32_e32 v20, 0, v2, vcc
	v_lshrrev_b64 v[20:21], s48, v[20:21]
	v_and_b32_e32 v20, s17, v20
	v_lshl_add_u32 v5, v20, 4, v20
	v_add_lshl_u32 v31, v34, v5, 2
	v_and_b32_e32 v5, 1, v20
	v_add_co_u32_e32 v21, vcc, -1, v5
	v_addc_co_u32_e64 v29, s[2:3], 0, -1, vcc
	v_cmp_ne_u32_e32 vcc, 0, v5
	v_xor_b32_e32 v5, vcc_hi, v29
	v_and_b32_e32 v29, exec_hi, v5
	v_lshlrev_b32_e32 v5, 30, v20
	v_xor_b32_e32 v21, vcc_lo, v21
	v_cmp_gt_i64_e32 vcc, 0, v[4:5]
	v_not_b32_e32 v5, v5
	v_ashrrev_i32_e32 v5, 31, v5
	v_and_b32_e32 v21, exec_lo, v21
	v_xor_b32_e32 v30, vcc_hi, v5
	v_xor_b32_e32 v5, vcc_lo, v5
	v_and_b32_e32 v21, v21, v5
	v_lshlrev_b32_e32 v5, 29, v20
	v_cmp_gt_i64_e32 vcc, 0, v[4:5]
	v_not_b32_e32 v5, v5
	v_ashrrev_i32_e32 v5, 31, v5
	v_and_b32_e32 v29, v29, v30
	v_xor_b32_e32 v30, vcc_hi, v5
	v_xor_b32_e32 v5, vcc_lo, v5
	v_and_b32_e32 v21, v21, v5
	v_lshlrev_b32_e32 v5, 28, v20
	v_cmp_gt_i64_e32 vcc, 0, v[4:5]
	v_not_b32_e32 v5, v5
	v_ashrrev_i32_e32 v5, 31, v5
	v_and_b32_e32 v29, v29, v30
	;; [unrolled: 8-line block ×5, first 2 shown]
	v_xor_b32_e32 v30, vcc_hi, v5
	v_xor_b32_e32 v5, vcc_lo, v5
	v_and_b32_e32 v21, v21, v5
	v_lshlrev_b32_e32 v5, 24, v20
	v_cmp_gt_i64_e32 vcc, 0, v[4:5]
	v_not_b32_e32 v4, v5
	v_ashrrev_i32_e32 v4, 31, v4
	v_xor_b32_e32 v5, vcc_hi, v4
	v_xor_b32_e32 v4, vcc_lo, v4
	; wave barrier
	ds_read_b32 v27, v31 offset:64
	v_and_b32_e32 v29, v29, v30
	v_and_b32_e32 v4, v21, v4
	;; [unrolled: 1-line block ×3, first 2 shown]
	v_mbcnt_lo_u32_b32 v20, v4, 0
	v_mbcnt_hi_u32_b32 v29, v5, v20
	v_cmp_eq_u32_e32 vcc, 0, v29
	v_cmp_ne_u64_e64 s[2:3], 0, v[4:5]
	s_and_b64 s[4:5], s[2:3], vcc
	; wave barrier
	s_and_saveexec_b64 s[2:3], s[4:5]
	s_cbranch_execz .LBB1620_86
; %bb.85:
	v_bcnt_u32_b32 v4, v4, 0
	v_bcnt_u32_b32 v4, v5, v4
	s_waitcnt lgkmcnt(0)
	v_add_u32_e32 v4, v27, v4
	ds_write_b32 v31, v4 offset:64
.LBB1620_86:
	s_or_b64 exec, exec, s[2:3]
	v_bfrev_b32_e32 v33, 1
	s_waitcnt vmcnt(5)
	v_cmp_lt_i64_e32 vcc, -1, v[18:19]
	s_mov_b32 s4, -1
	v_cndmask_b32_e32 v4, -1, v33, vcc
	v_ashrrev_i32_e32 v20, 31, v19
	s_brev_b32 s5, -2
	v_xor_b32_e32 v5, v4, v19
	v_xor_b32_e32 v4, v20, v18
	v_cmp_ne_u64_e32 vcc, s[4:5], v[4:5]
	v_cndmask_b32_e32 v21, v33, v5, vcc
	v_cndmask_b32_e32 v20, 0, v4, vcc
	v_lshrrev_b64 v[20:21], s48, v[20:21]
	v_and_b32_e32 v20, s17, v20
	v_lshl_add_u32 v19, v20, 4, v20
	v_add_lshl_u32 v35, v34, v19, 2
	v_and_b32_e32 v19, 1, v20
	v_add_co_u32_e32 v21, vcc, -1, v19
	v_addc_co_u32_e64 v32, s[2:3], 0, -1, vcc
	v_cmp_ne_u32_e32 vcc, 0, v19
	v_xor_b32_e32 v19, vcc_hi, v32
	v_mov_b32_e32 v18, 0
	v_and_b32_e32 v32, exec_hi, v19
	v_lshlrev_b32_e32 v19, 30, v20
	v_xor_b32_e32 v21, vcc_lo, v21
	v_cmp_gt_i64_e32 vcc, 0, v[18:19]
	v_not_b32_e32 v19, v19
	v_ashrrev_i32_e32 v19, 31, v19
	v_and_b32_e32 v21, exec_lo, v21
	v_xor_b32_e32 v36, vcc_hi, v19
	v_xor_b32_e32 v19, vcc_lo, v19
	v_and_b32_e32 v21, v21, v19
	v_lshlrev_b32_e32 v19, 29, v20
	v_cmp_gt_i64_e32 vcc, 0, v[18:19]
	v_not_b32_e32 v19, v19
	v_ashrrev_i32_e32 v19, 31, v19
	v_and_b32_e32 v32, v32, v36
	v_xor_b32_e32 v36, vcc_hi, v19
	v_xor_b32_e32 v19, vcc_lo, v19
	v_and_b32_e32 v21, v21, v19
	v_lshlrev_b32_e32 v19, 28, v20
	v_cmp_gt_i64_e32 vcc, 0, v[18:19]
	v_not_b32_e32 v19, v19
	v_ashrrev_i32_e32 v19, 31, v19
	v_and_b32_e32 v32, v32, v36
	;; [unrolled: 8-line block ×5, first 2 shown]
	v_xor_b32_e32 v36, vcc_hi, v19
	v_xor_b32_e32 v19, vcc_lo, v19
	v_and_b32_e32 v32, v32, v36
	v_and_b32_e32 v36, v21, v19
	v_lshlrev_b32_e32 v19, 24, v20
	v_cmp_gt_i64_e32 vcc, 0, v[18:19]
	v_not_b32_e32 v19, v19
	v_ashrrev_i32_e32 v19, 31, v19
	v_xor_b32_e32 v20, vcc_hi, v19
	v_xor_b32_e32 v19, vcc_lo, v19
	; wave barrier
	ds_read_b32 v30, v35 offset:64
	v_and_b32_e32 v21, v32, v20
	v_and_b32_e32 v20, v36, v19
	v_mbcnt_lo_u32_b32 v19, v20, 0
	v_mbcnt_hi_u32_b32 v32, v21, v19
	v_cmp_eq_u32_e32 vcc, 0, v32
	v_cmp_ne_u64_e64 s[2:3], 0, v[20:21]
	s_and_b64 s[6:7], s[2:3], vcc
	; wave barrier
	s_and_saveexec_b64 s[2:3], s[6:7]
	s_cbranch_execz .LBB1620_88
; %bb.87:
	v_bcnt_u32_b32 v19, v20, 0
	v_bcnt_u32_b32 v19, v21, v19
	s_waitcnt lgkmcnt(0)
	v_add_u32_e32 v19, v30, v19
	ds_write_b32 v35, v19 offset:64
.LBB1620_88:
	s_or_b64 exec, exec, s[2:3]
	s_waitcnt vmcnt(4)
	v_cmp_lt_i64_e32 vcc, -1, v[6:7]
	v_cndmask_b32_e32 v19, -1, v33, vcc
	v_ashrrev_i32_e32 v20, 31, v7
	v_xor_b32_e32 v7, v19, v7
	v_xor_b32_e32 v6, v20, v6
	v_cmp_ne_u64_e32 vcc, s[4:5], v[6:7]
	v_cndmask_b32_e32 v21, v33, v7, vcc
	v_cndmask_b32_e32 v20, 0, v6, vcc
	v_lshrrev_b64 v[20:21], s48, v[20:21]
	v_and_b32_e32 v20, s17, v20
	v_lshl_add_u32 v19, v20, 4, v20
	v_add_lshl_u32 v38, v34, v19, 2
	v_and_b32_e32 v19, 1, v20
	v_add_co_u32_e32 v21, vcc, -1, v19
	v_addc_co_u32_e64 v36, s[2:3], 0, -1, vcc
	v_cmp_ne_u32_e32 vcc, 0, v19
	v_xor_b32_e32 v19, vcc_hi, v36
	v_and_b32_e32 v36, exec_hi, v19
	v_lshlrev_b32_e32 v19, 30, v20
	v_xor_b32_e32 v21, vcc_lo, v21
	v_cmp_gt_i64_e32 vcc, 0, v[18:19]
	v_not_b32_e32 v19, v19
	v_ashrrev_i32_e32 v19, 31, v19
	v_and_b32_e32 v21, exec_lo, v21
	v_xor_b32_e32 v37, vcc_hi, v19
	v_xor_b32_e32 v19, vcc_lo, v19
	v_and_b32_e32 v21, v21, v19
	v_lshlrev_b32_e32 v19, 29, v20
	v_cmp_gt_i64_e32 vcc, 0, v[18:19]
	v_not_b32_e32 v19, v19
	v_ashrrev_i32_e32 v19, 31, v19
	v_and_b32_e32 v36, v36, v37
	v_xor_b32_e32 v37, vcc_hi, v19
	v_xor_b32_e32 v19, vcc_lo, v19
	v_and_b32_e32 v21, v21, v19
	v_lshlrev_b32_e32 v19, 28, v20
	v_cmp_gt_i64_e32 vcc, 0, v[18:19]
	v_not_b32_e32 v19, v19
	v_ashrrev_i32_e32 v19, 31, v19
	v_and_b32_e32 v36, v36, v37
	;; [unrolled: 8-line block ×5, first 2 shown]
	v_xor_b32_e32 v37, vcc_hi, v19
	v_xor_b32_e32 v19, vcc_lo, v19
	v_and_b32_e32 v21, v21, v19
	v_lshlrev_b32_e32 v19, 24, v20
	v_cmp_gt_i64_e32 vcc, 0, v[18:19]
	v_not_b32_e32 v18, v19
	v_ashrrev_i32_e32 v18, 31, v18
	v_xor_b32_e32 v19, vcc_hi, v18
	v_xor_b32_e32 v18, vcc_lo, v18
	; wave barrier
	ds_read_b32 v33, v38 offset:64
	v_and_b32_e32 v36, v36, v37
	v_and_b32_e32 v18, v21, v18
	;; [unrolled: 1-line block ×3, first 2 shown]
	v_mbcnt_lo_u32_b32 v20, v18, 0
	v_mbcnt_hi_u32_b32 v36, v19, v20
	v_cmp_eq_u32_e32 vcc, 0, v36
	v_cmp_ne_u64_e64 s[2:3], 0, v[18:19]
	s_and_b64 s[4:5], s[2:3], vcc
	; wave barrier
	s_and_saveexec_b64 s[2:3], s[4:5]
	s_cbranch_execz .LBB1620_90
; %bb.89:
	v_bcnt_u32_b32 v18, v18, 0
	v_bcnt_u32_b32 v18, v19, v18
	s_waitcnt lgkmcnt(0)
	v_add_u32_e32 v18, v33, v18
	ds_write_b32 v38, v18 offset:64
.LBB1620_90:
	s_or_b64 exec, exec, s[2:3]
	v_bfrev_b32_e32 v40, 1
	s_waitcnt vmcnt(3)
	v_cmp_lt_i64_e32 vcc, -1, v[8:9]
	s_mov_b32 s4, -1
	v_cndmask_b32_e32 v18, -1, v40, vcc
	v_ashrrev_i32_e32 v19, 31, v9
	s_brev_b32 s5, -2
	v_xor_b32_e32 v9, v18, v9
	v_xor_b32_e32 v8, v19, v8
	v_cmp_ne_u64_e32 vcc, s[4:5], v[8:9]
	v_cndmask_b32_e32 v21, v40, v9, vcc
	v_cndmask_b32_e32 v20, 0, v8, vcc
	v_lshrrev_b64 v[20:21], s48, v[20:21]
	v_and_b32_e32 v20, s17, v20
	v_lshl_add_u32 v19, v20, 4, v20
	v_add_lshl_u32 v41, v34, v19, 2
	v_and_b32_e32 v19, 1, v20
	v_add_co_u32_e32 v21, vcc, -1, v19
	v_addc_co_u32_e64 v39, s[2:3], 0, -1, vcc
	v_cmp_ne_u32_e32 vcc, 0, v19
	v_xor_b32_e32 v19, vcc_hi, v39
	v_mov_b32_e32 v18, 0
	v_and_b32_e32 v39, exec_hi, v19
	v_lshlrev_b32_e32 v19, 30, v20
	v_xor_b32_e32 v21, vcc_lo, v21
	v_cmp_gt_i64_e32 vcc, 0, v[18:19]
	v_not_b32_e32 v19, v19
	v_ashrrev_i32_e32 v19, 31, v19
	v_and_b32_e32 v21, exec_lo, v21
	v_xor_b32_e32 v42, vcc_hi, v19
	v_xor_b32_e32 v19, vcc_lo, v19
	v_and_b32_e32 v21, v21, v19
	v_lshlrev_b32_e32 v19, 29, v20
	v_cmp_gt_i64_e32 vcc, 0, v[18:19]
	v_not_b32_e32 v19, v19
	v_ashrrev_i32_e32 v19, 31, v19
	v_and_b32_e32 v39, v39, v42
	v_xor_b32_e32 v42, vcc_hi, v19
	v_xor_b32_e32 v19, vcc_lo, v19
	v_and_b32_e32 v21, v21, v19
	v_lshlrev_b32_e32 v19, 28, v20
	v_cmp_gt_i64_e32 vcc, 0, v[18:19]
	v_not_b32_e32 v19, v19
	v_ashrrev_i32_e32 v19, 31, v19
	v_and_b32_e32 v39, v39, v42
	;; [unrolled: 8-line block ×5, first 2 shown]
	v_xor_b32_e32 v42, vcc_hi, v19
	v_xor_b32_e32 v19, vcc_lo, v19
	v_and_b32_e32 v39, v39, v42
	v_and_b32_e32 v42, v21, v19
	v_lshlrev_b32_e32 v19, 24, v20
	v_cmp_gt_i64_e32 vcc, 0, v[18:19]
	v_not_b32_e32 v19, v19
	v_ashrrev_i32_e32 v19, 31, v19
	v_xor_b32_e32 v20, vcc_hi, v19
	v_xor_b32_e32 v19, vcc_lo, v19
	; wave barrier
	ds_read_b32 v37, v41 offset:64
	v_and_b32_e32 v21, v39, v20
	v_and_b32_e32 v20, v42, v19
	v_mbcnt_lo_u32_b32 v19, v20, 0
	v_mbcnt_hi_u32_b32 v39, v21, v19
	v_cmp_eq_u32_e32 vcc, 0, v39
	v_cmp_ne_u64_e64 s[2:3], 0, v[20:21]
	s_and_b64 s[6:7], s[2:3], vcc
	; wave barrier
	s_and_saveexec_b64 s[2:3], s[6:7]
	s_cbranch_execz .LBB1620_92
; %bb.91:
	v_bcnt_u32_b32 v19, v20, 0
	v_bcnt_u32_b32 v19, v21, v19
	s_waitcnt lgkmcnt(0)
	v_add_u32_e32 v19, v37, v19
	ds_write_b32 v41, v19 offset:64
.LBB1620_92:
	s_or_b64 exec, exec, s[2:3]
	s_waitcnt vmcnt(2)
	v_cmp_lt_i64_e32 vcc, -1, v[12:13]
	v_cndmask_b32_e32 v19, -1, v40, vcc
	v_ashrrev_i32_e32 v20, 31, v13
	v_xor_b32_e32 v13, v19, v13
	v_xor_b32_e32 v12, v20, v12
	v_cmp_ne_u64_e32 vcc, s[4:5], v[12:13]
	v_cndmask_b32_e32 v21, v40, v13, vcc
	v_cndmask_b32_e32 v20, 0, v12, vcc
	v_lshrrev_b64 v[20:21], s48, v[20:21]
	v_and_b32_e32 v20, s17, v20
	v_lshl_add_u32 v19, v20, 4, v20
	v_add_lshl_u32 v44, v34, v19, 2
	v_and_b32_e32 v19, 1, v20
	v_add_co_u32_e32 v21, vcc, -1, v19
	v_addc_co_u32_e64 v42, s[2:3], 0, -1, vcc
	v_cmp_ne_u32_e32 vcc, 0, v19
	v_xor_b32_e32 v19, vcc_hi, v42
	v_and_b32_e32 v42, exec_hi, v19
	v_lshlrev_b32_e32 v19, 30, v20
	v_xor_b32_e32 v21, vcc_lo, v21
	v_cmp_gt_i64_e32 vcc, 0, v[18:19]
	v_not_b32_e32 v19, v19
	v_ashrrev_i32_e32 v19, 31, v19
	v_and_b32_e32 v21, exec_lo, v21
	v_xor_b32_e32 v43, vcc_hi, v19
	v_xor_b32_e32 v19, vcc_lo, v19
	v_and_b32_e32 v21, v21, v19
	v_lshlrev_b32_e32 v19, 29, v20
	v_cmp_gt_i64_e32 vcc, 0, v[18:19]
	v_not_b32_e32 v19, v19
	v_ashrrev_i32_e32 v19, 31, v19
	v_and_b32_e32 v42, v42, v43
	v_xor_b32_e32 v43, vcc_hi, v19
	v_xor_b32_e32 v19, vcc_lo, v19
	v_and_b32_e32 v21, v21, v19
	v_lshlrev_b32_e32 v19, 28, v20
	v_cmp_gt_i64_e32 vcc, 0, v[18:19]
	v_not_b32_e32 v19, v19
	v_ashrrev_i32_e32 v19, 31, v19
	v_and_b32_e32 v42, v42, v43
	;; [unrolled: 8-line block ×5, first 2 shown]
	v_xor_b32_e32 v43, vcc_hi, v19
	v_xor_b32_e32 v19, vcc_lo, v19
	v_and_b32_e32 v21, v21, v19
	v_lshlrev_b32_e32 v19, 24, v20
	v_cmp_gt_i64_e32 vcc, 0, v[18:19]
	v_not_b32_e32 v18, v19
	v_ashrrev_i32_e32 v18, 31, v18
	v_xor_b32_e32 v19, vcc_hi, v18
	v_xor_b32_e32 v18, vcc_lo, v18
	; wave barrier
	ds_read_b32 v40, v44 offset:64
	v_and_b32_e32 v42, v42, v43
	v_and_b32_e32 v18, v21, v18
	;; [unrolled: 1-line block ×3, first 2 shown]
	v_mbcnt_lo_u32_b32 v20, v18, 0
	v_mbcnt_hi_u32_b32 v42, v19, v20
	v_cmp_eq_u32_e32 vcc, 0, v42
	v_cmp_ne_u64_e64 s[2:3], 0, v[18:19]
	s_and_b64 s[4:5], s[2:3], vcc
	; wave barrier
	s_and_saveexec_b64 s[2:3], s[4:5]
	s_cbranch_execz .LBB1620_94
; %bb.93:
	v_bcnt_u32_b32 v18, v18, 0
	v_bcnt_u32_b32 v18, v19, v18
	s_waitcnt lgkmcnt(0)
	v_add_u32_e32 v18, v40, v18
	ds_write_b32 v44, v18 offset:64
.LBB1620_94:
	s_or_b64 exec, exec, s[2:3]
	v_bfrev_b32_e32 v47, 1
	s_waitcnt vmcnt(1)
	v_cmp_lt_i64_e32 vcc, -1, v[16:17]
	s_mov_b32 s4, -1
	v_cndmask_b32_e32 v18, -1, v47, vcc
	v_ashrrev_i32_e32 v19, 31, v17
	s_brev_b32 s5, -2
	v_xor_b32_e32 v17, v18, v17
	v_xor_b32_e32 v16, v19, v16
	v_cmp_ne_u64_e32 vcc, s[4:5], v[16:17]
	v_cndmask_b32_e32 v21, v47, v17, vcc
	v_cndmask_b32_e32 v20, 0, v16, vcc
	v_lshrrev_b64 v[20:21], s48, v[20:21]
	v_and_b32_e32 v20, s17, v20
	v_lshl_add_u32 v19, v20, 4, v20
	v_add_lshl_u32 v46, v19, v34, 2
	v_and_b32_e32 v19, 1, v20
	v_add_co_u32_e32 v21, vcc, -1, v19
	v_addc_co_u32_e64 v45, s[2:3], 0, -1, vcc
	v_cmp_ne_u32_e32 vcc, 0, v19
	v_xor_b32_e32 v19, vcc_hi, v45
	v_mov_b32_e32 v18, 0
	v_and_b32_e32 v45, exec_hi, v19
	v_lshlrev_b32_e32 v19, 30, v20
	v_xor_b32_e32 v21, vcc_lo, v21
	v_cmp_gt_i64_e32 vcc, 0, v[18:19]
	v_not_b32_e32 v19, v19
	v_ashrrev_i32_e32 v19, 31, v19
	v_and_b32_e32 v21, exec_lo, v21
	v_xor_b32_e32 v48, vcc_hi, v19
	v_xor_b32_e32 v19, vcc_lo, v19
	v_and_b32_e32 v21, v21, v19
	v_lshlrev_b32_e32 v19, 29, v20
	v_cmp_gt_i64_e32 vcc, 0, v[18:19]
	v_not_b32_e32 v19, v19
	v_ashrrev_i32_e32 v19, 31, v19
	v_and_b32_e32 v45, v45, v48
	v_xor_b32_e32 v48, vcc_hi, v19
	v_xor_b32_e32 v19, vcc_lo, v19
	v_and_b32_e32 v21, v21, v19
	v_lshlrev_b32_e32 v19, 28, v20
	v_cmp_gt_i64_e32 vcc, 0, v[18:19]
	v_not_b32_e32 v19, v19
	v_ashrrev_i32_e32 v19, 31, v19
	v_and_b32_e32 v45, v45, v48
	;; [unrolled: 8-line block ×5, first 2 shown]
	v_xor_b32_e32 v48, vcc_hi, v19
	v_xor_b32_e32 v19, vcc_lo, v19
	v_and_b32_e32 v45, v45, v48
	v_and_b32_e32 v48, v21, v19
	v_lshlrev_b32_e32 v19, 24, v20
	v_cmp_gt_i64_e32 vcc, 0, v[18:19]
	v_not_b32_e32 v19, v19
	v_ashrrev_i32_e32 v19, 31, v19
	v_xor_b32_e32 v20, vcc_hi, v19
	v_xor_b32_e32 v19, vcc_lo, v19
	; wave barrier
	ds_read_b32 v43, v46 offset:64
	v_and_b32_e32 v21, v45, v20
	v_and_b32_e32 v20, v48, v19
	v_mbcnt_lo_u32_b32 v19, v20, 0
	v_mbcnt_hi_u32_b32 v45, v21, v19
	v_cmp_eq_u32_e32 vcc, 0, v45
	v_cmp_ne_u64_e64 s[2:3], 0, v[20:21]
	s_and_b64 s[6:7], s[2:3], vcc
	; wave barrier
	s_and_saveexec_b64 s[2:3], s[6:7]
	s_cbranch_execz .LBB1620_96
; %bb.95:
	v_bcnt_u32_b32 v19, v20, 0
	v_bcnt_u32_b32 v19, v21, v19
	s_waitcnt lgkmcnt(0)
	v_add_u32_e32 v19, v43, v19
	ds_write_b32 v46, v19 offset:64
.LBB1620_96:
	s_or_b64 exec, exec, s[2:3]
	s_waitcnt vmcnt(0)
	v_cmp_lt_i64_e32 vcc, -1, v[14:15]
	v_cndmask_b32_e32 v19, -1, v47, vcc
	v_ashrrev_i32_e32 v20, 31, v15
	v_xor_b32_e32 v15, v19, v15
	v_xor_b32_e32 v14, v20, v14
	v_cmp_ne_u64_e32 vcc, s[4:5], v[14:15]
	v_cndmask_b32_e32 v21, v47, v15, vcc
	v_cndmask_b32_e32 v20, 0, v14, vcc
	v_lshrrev_b64 v[20:21], s48, v[20:21]
	v_and_b32_e32 v20, s17, v20
	v_lshl_add_u32 v19, v20, 4, v20
	v_add_lshl_u32 v49, v19, v34, 2
	v_and_b32_e32 v19, 1, v20
	v_add_co_u32_e32 v21, vcc, -1, v19
	v_addc_co_u32_e64 v47, s[2:3], 0, -1, vcc
	v_cmp_ne_u32_e32 vcc, 0, v19
	v_xor_b32_e32 v19, vcc_hi, v47
	v_and_b32_e32 v47, exec_hi, v19
	v_lshlrev_b32_e32 v19, 30, v20
	v_xor_b32_e32 v21, vcc_lo, v21
	v_cmp_gt_i64_e32 vcc, 0, v[18:19]
	v_not_b32_e32 v19, v19
	v_ashrrev_i32_e32 v19, 31, v19
	v_and_b32_e32 v21, exec_lo, v21
	v_xor_b32_e32 v50, vcc_hi, v19
	v_xor_b32_e32 v19, vcc_lo, v19
	v_and_b32_e32 v21, v21, v19
	v_lshlrev_b32_e32 v19, 29, v20
	v_cmp_gt_i64_e32 vcc, 0, v[18:19]
	v_not_b32_e32 v19, v19
	v_ashrrev_i32_e32 v19, 31, v19
	v_and_b32_e32 v47, v47, v50
	v_xor_b32_e32 v50, vcc_hi, v19
	v_xor_b32_e32 v19, vcc_lo, v19
	v_and_b32_e32 v21, v21, v19
	v_lshlrev_b32_e32 v19, 28, v20
	v_cmp_gt_i64_e32 vcc, 0, v[18:19]
	v_not_b32_e32 v19, v19
	v_ashrrev_i32_e32 v19, 31, v19
	v_and_b32_e32 v47, v47, v50
	;; [unrolled: 8-line block ×5, first 2 shown]
	v_xor_b32_e32 v50, vcc_hi, v19
	v_xor_b32_e32 v19, vcc_lo, v19
	v_and_b32_e32 v21, v21, v19
	v_lshlrev_b32_e32 v19, 24, v20
	v_cmp_gt_i64_e32 vcc, 0, v[18:19]
	v_not_b32_e32 v18, v19
	v_ashrrev_i32_e32 v18, 31, v18
	v_xor_b32_e32 v19, vcc_hi, v18
	v_xor_b32_e32 v18, vcc_lo, v18
	; wave barrier
	ds_read_b32 v34, v49 offset:64
	v_and_b32_e32 v47, v47, v50
	v_and_b32_e32 v18, v21, v18
	;; [unrolled: 1-line block ×3, first 2 shown]
	v_mbcnt_lo_u32_b32 v20, v18, 0
	v_mbcnt_hi_u32_b32 v47, v19, v20
	v_cmp_eq_u32_e32 vcc, 0, v47
	v_cmp_ne_u64_e64 s[2:3], 0, v[18:19]
	v_add_u32_e32 v48, 64, v23
	s_and_b64 s[4:5], s[2:3], vcc
	; wave barrier
	s_and_saveexec_b64 s[2:3], s[4:5]
	s_cbranch_execz .LBB1620_98
; %bb.97:
	v_bcnt_u32_b32 v18, v18, 0
	v_bcnt_u32_b32 v18, v19, v18
	s_waitcnt lgkmcnt(0)
	v_add_u32_e32 v18, v34, v18
	ds_write_b32 v49, v18 offset:64
.LBB1620_98:
	s_or_b64 exec, exec, s[2:3]
	; wave barrier
	s_waitcnt lgkmcnt(0)
	s_barrier
	ds_read2_b32 v[20:21], v23 offset0:16 offset1:17
	ds_read2_b32 v[18:19], v48 offset0:2 offset1:3
	ds_read_b32 v50, v48 offset:16
	v_cmp_lt_u32_e64 s[8:9], 31, v22
	s_waitcnt lgkmcnt(1)
	v_add3_u32 v51, v21, v20, v18
	s_waitcnt lgkmcnt(0)
	v_add3_u32 v50, v51, v19, v50
	v_and_b32_e32 v51, 15, v22
	v_cmp_eq_u32_e32 vcc, 0, v51
	v_mov_b32_dpp v52, v50 row_shr:1 row_mask:0xf bank_mask:0xf
	v_cndmask_b32_e64 v52, v52, 0, vcc
	v_add_u32_e32 v50, v52, v50
	v_cmp_lt_u32_e64 s[2:3], 1, v51
	v_cmp_lt_u32_e64 s[4:5], 3, v51
	v_mov_b32_dpp v52, v50 row_shr:2 row_mask:0xf bank_mask:0xf
	v_cndmask_b32_e64 v52, 0, v52, s[2:3]
	v_add_u32_e32 v50, v50, v52
	v_cmp_lt_u32_e64 s[6:7], 7, v51
	s_nop 0
	v_mov_b32_dpp v52, v50 row_shr:4 row_mask:0xf bank_mask:0xf
	v_cndmask_b32_e64 v52, 0, v52, s[4:5]
	v_add_u32_e32 v50, v50, v52
	s_nop 1
	v_mov_b32_dpp v52, v50 row_shr:8 row_mask:0xf bank_mask:0xf
	v_cndmask_b32_e64 v51, 0, v52, s[6:7]
	v_add_u32_e32 v50, v50, v51
	v_bfe_i32 v52, v22, 4, 1
	s_nop 0
	v_mov_b32_dpp v51, v50 row_bcast:15 row_mask:0xf bank_mask:0xf
	v_and_b32_e32 v51, v52, v51
	v_add_u32_e32 v50, v50, v51
	v_and_b32_e32 v52, 63, v10
	s_nop 0
	v_mov_b32_dpp v51, v50 row_bcast:31 row_mask:0xf bank_mask:0xf
	v_cndmask_b32_e64 v51, 0, v51, s[8:9]
	v_add_u32_e32 v50, v50, v51
	v_lshrrev_b32_e32 v51, 6, v10
	v_cmp_eq_u32_e64 s[8:9], 63, v52
	s_and_saveexec_b64 s[14:15], s[8:9]
	s_cbranch_execz .LBB1620_100
; %bb.99:
	v_lshlrev_b32_e32 v52, 2, v51
	ds_write_b32 v52, v50
.LBB1620_100:
	s_or_b64 exec, exec, s[14:15]
	v_cmp_gt_u32_e64 s[8:9], 16, v10
	s_waitcnt lgkmcnt(0)
	s_barrier
	s_and_saveexec_b64 s[14:15], s[8:9]
	s_cbranch_execz .LBB1620_102
; %bb.101:
	v_lshlrev_b32_e32 v52, 2, v10
	ds_read_b32 v53, v52
	s_waitcnt lgkmcnt(0)
	s_nop 0
	v_mov_b32_dpp v54, v53 row_shr:1 row_mask:0xf bank_mask:0xf
	v_cndmask_b32_e64 v54, v54, 0, vcc
	v_add_u32_e32 v53, v54, v53
	s_nop 1
	v_mov_b32_dpp v54, v53 row_shr:2 row_mask:0xf bank_mask:0xf
	v_cndmask_b32_e64 v54, 0, v54, s[2:3]
	v_add_u32_e32 v53, v53, v54
	s_nop 1
	v_mov_b32_dpp v54, v53 row_shr:4 row_mask:0xf bank_mask:0xf
	v_cndmask_b32_e64 v54, 0, v54, s[4:5]
	;; [unrolled: 4-line block ×3, first 2 shown]
	v_add_u32_e32 v53, v53, v54
	ds_write_b32 v52, v53
.LBB1620_102:
	s_or_b64 exec, exec, s[14:15]
	v_cmp_lt_u32_e32 vcc, 63, v10
	v_mov_b32_e32 v52, 0
	s_waitcnt lgkmcnt(0)
	s_barrier
	s_and_saveexec_b64 s[2:3], vcc
	s_cbranch_execz .LBB1620_104
; %bb.103:
	v_lshl_add_u32 v51, v51, 2, -4
	ds_read_b32 v52, v51
.LBB1620_104:
	s_or_b64 exec, exec, s[2:3]
	v_add_u32_e32 v51, -1, v22
	v_and_b32_e32 v53, 64, v22
	v_cmp_lt_i32_e32 vcc, v51, v53
	v_cndmask_b32_e32 v51, v51, v22, vcc
	s_waitcnt lgkmcnt(0)
	v_add_u32_e32 v50, v52, v50
	v_lshlrev_b32_e32 v51, 2, v51
	ds_bpermute_b32 v50, v51, v50
	v_cmp_eq_u32_e32 vcc, 0, v22
	s_waitcnt lgkmcnt(0)
	v_cndmask_b32_e32 v22, v50, v52, vcc
	v_cndmask_b32_e64 v22, v22, 0, s[0:1]
	v_add_u32_e32 v20, v22, v20
	v_add_u32_e32 v21, v20, v21
	;; [unrolled: 1-line block ×4, first 2 shown]
	ds_write2_b32 v23, v22, v20 offset0:16 offset1:17
	ds_write2_b32 v48, v21, v18 offset0:2 offset1:3
	ds_write_b32 v48, v19 offset:16
	s_waitcnt lgkmcnt(0)
	s_barrier
	ds_read_b32 v50, v28 offset:64
	ds_read_b32 v48, v31 offset:64
	ds_read_b32 v35, v35 offset:64
	ds_read_b32 v38, v38 offset:64
	ds_read_b32 v41, v41 offset:64
	ds_read_b32 v44, v44 offset:64
	ds_read_b32 v46, v46 offset:64
	ds_read_b32 v49, v49 offset:64
	s_movk_i32 s0, 0x100
	v_cmp_gt_u32_e32 vcc, s0, v10
                                        ; implicit-def: $vgpr28
                                        ; implicit-def: $vgpr31
	s_and_saveexec_b64 s[2:3], vcc
	s_cbranch_execz .LBB1620_108
; %bb.105:
	v_mul_u32_u24_e32 v18, 17, v10
	v_lshlrev_b32_e32 v19, 2, v18
	ds_read_b32 v28, v19 offset:64
	s_movk_i32 s0, 0xff
	v_cmp_ne_u32_e64 s[0:1], s0, v10
	v_mov_b32_e32 v18, 0x2000
	s_and_saveexec_b64 s[4:5], s[0:1]
	s_cbranch_execz .LBB1620_107
; %bb.106:
	ds_read_b32 v18, v19 offset:132
.LBB1620_107:
	s_or_b64 exec, exec, s[4:5]
	s_waitcnt lgkmcnt(0)
	v_sub_u32_e32 v31, v18, v28
.LBB1620_108:
	s_or_b64 exec, exec, s[2:3]
	s_waitcnt lgkmcnt(0)
	s_barrier
	s_and_saveexec_b64 s[2:3], vcc
	s_cbranch_execz .LBB1620_118
; %bb.109:
	v_lshl_or_b32 v18, s33, 8, v10
	v_mov_b32_e32 v19, 0
	v_lshlrev_b64 v[20:21], 2, v[18:19]
	v_mov_b32_e32 v51, s31
	v_add_co_u32_e64 v20, s[0:1], s30, v20
	v_addc_co_u32_e64 v21, s[0:1], v51, v21, s[0:1]
	v_or_b32_e32 v18, 2.0, v31
	s_mov_b64 s[4:5], 0
	s_brev_b32 s14, 1
	s_mov_b32 s15, s33
	v_mov_b32_e32 v52, 0
	global_store_dword v[20:21], v18, off
                                        ; implicit-def: $sgpr0_sgpr1
	s_branch .LBB1620_112
.LBB1620_110:                           ;   in Loop: Header=BB1620_112 Depth=1
	s_or_b64 exec, exec, s[8:9]
.LBB1620_111:                           ;   in Loop: Header=BB1620_112 Depth=1
	s_or_b64 exec, exec, s[6:7]
	v_and_b32_e32 v22, 0x3fffffff, v53
	v_add_u32_e32 v52, v22, v52
	v_cmp_eq_u32_e64 s[0:1], s14, v18
	s_and_b64 s[6:7], exec, s[0:1]
	s_or_b64 s[4:5], s[6:7], s[4:5]
	s_andn2_b64 exec, exec, s[4:5]
	s_cbranch_execz .LBB1620_117
.LBB1620_112:                           ; =>This Loop Header: Depth=1
                                        ;     Child Loop BB1620_115 Depth 2
	s_or_b64 s[0:1], s[0:1], exec
	s_cmp_eq_u32 s15, 0
	s_cbranch_scc1 .LBB1620_116
; %bb.113:                              ;   in Loop: Header=BB1620_112 Depth=1
	s_add_i32 s15, s15, -1
	v_lshl_or_b32 v18, s15, 8, v10
	v_lshlrev_b64 v[22:23], 2, v[18:19]
	v_add_co_u32_e64 v22, s[0:1], s30, v22
	v_addc_co_u32_e64 v23, s[0:1], v51, v23, s[0:1]
	global_load_dword v53, v[22:23], off glc
	s_waitcnt vmcnt(0)
	v_and_b32_e32 v18, -2.0, v53
	v_cmp_eq_u32_e64 s[0:1], 0, v18
	s_and_saveexec_b64 s[6:7], s[0:1]
	s_cbranch_execz .LBB1620_111
; %bb.114:                              ;   in Loop: Header=BB1620_112 Depth=1
	s_mov_b64 s[8:9], 0
.LBB1620_115:                           ;   Parent Loop BB1620_112 Depth=1
                                        ; =>  This Inner Loop Header: Depth=2
	global_load_dword v53, v[22:23], off glc
	s_waitcnt vmcnt(0)
	v_and_b32_e32 v18, -2.0, v53
	v_cmp_ne_u32_e64 s[0:1], 0, v18
	s_or_b64 s[8:9], s[0:1], s[8:9]
	s_andn2_b64 exec, exec, s[8:9]
	s_cbranch_execnz .LBB1620_115
	s_branch .LBB1620_110
.LBB1620_116:                           ;   in Loop: Header=BB1620_112 Depth=1
                                        ; implicit-def: $sgpr15
	s_and_b64 s[6:7], exec, s[0:1]
	s_or_b64 s[4:5], s[6:7], s[4:5]
	s_andn2_b64 exec, exec, s[4:5]
	s_cbranch_execnz .LBB1620_112
.LBB1620_117:
	s_or_b64 exec, exec, s[4:5]
	v_add_u32_e32 v18, v52, v31
	v_or_b32_e32 v18, 0x80000000, v18
	global_store_dword v[20:21], v18, off
	v_lshlrev_b32_e32 v18, 2, v10
	global_load_dword v19, v18, s[44:45]
	v_sub_u32_e32 v20, v52, v28
	s_waitcnt vmcnt(0)
	v_add_u32_e32 v19, v20, v19
	ds_write_b32 v18, v19
.LBB1620_118:
	s_or_b64 exec, exec, s[2:3]
	s_mov_b32 s4, -1
	v_add_u32_e32 v20, v50, v26
	s_movk_i32 s6, 0x400
	v_add_u32_e32 v21, 0x400, v11
	v_add3_u32 v22, v47, v49, v34
	v_add3_u32 v23, v45, v46, v43
	;; [unrolled: 1-line block ×7, first 2 shown]
	s_mov_b32 s7, 0
	s_mov_b32 s8, 1
	s_brev_b32 s5, -2
	v_bfrev_b32_e32 v41, 1
	v_mov_b32_e32 v42, s39
	v_mov_b32_e32 v19, 0
	;; [unrolled: 1-line block ×3, first 2 shown]
                                        ; implicit-def: $vgpr40
                                        ; implicit-def: $vgpr39
                                        ; implicit-def: $vgpr38
                                        ; implicit-def: $vgpr37
                                        ; implicit-def: $vgpr36
                                        ; implicit-def: $vgpr35
                                        ; implicit-def: $vgpr32
                                        ; implicit-def: $vgpr29
.LBB1620_119:                           ; =>This Inner Loop Header: Depth=1
	v_add_u32_e32 v18, s7, v20
	v_add_u32_e32 v44, s7, v27
	;; [unrolled: 1-line block ×8, first 2 shown]
	v_min_u32_e32 v18, 0x800, v18
	v_min_u32_e32 v44, 0x800, v44
	;; [unrolled: 1-line block ×8, first 2 shown]
	v_lshlrev_b32_e32 v18, 3, v18
	v_lshlrev_b32_e32 v44, 3, v44
	;; [unrolled: 1-line block ×8, first 2 shown]
	ds_write_b64 v18, v[0:1] offset:1024
	ds_write_b64 v44, v[2:3] offset:1024
	ds_write_b64 v45, v[4:5] offset:1024
	ds_write_b64 v46, v[6:7] offset:1024
	ds_write_b64 v47, v[8:9] offset:1024
	ds_write_b64 v48, v[12:13] offset:1024
	ds_write_b64 v49, v[16:17] offset:1024
	ds_write_b64 v50, v[14:15] offset:1024
	s_waitcnt lgkmcnt(0)
	s_barrier
	ds_read_b64 v[44:45], v11 offset:1024
	s_add_i32 s9, s8, -1
	s_cmp_eq_u32 s9, 0
	s_waitcnt lgkmcnt(0)
	v_cmp_ne_u64_e64 s[0:1], s[4:5], v[44:45]
	v_cndmask_b32_e64 v47, v41, v45, s[0:1]
	v_cndmask_b32_e64 v46, 0, v44, s[0:1]
	v_lshrrev_b64 v[46:47], s48, v[46:47]
	v_cmp_lt_i64_e64 s[2:3], -1, v[44:45]
	v_and_b32_e32 v46, s17, v46
	s_cselect_b64 s[0:1], -1, 0
	s_cmp_eq_u32 s9, 1
	v_cndmask_b32_e64 v18, v41, -1, s[2:3]
	v_cndmask_b32_e64 v40, v40, v46, s[0:1]
	s_cselect_b64 s[0:1], -1, 0
	s_cmp_eq_u32 s9, 2
	v_ashrrev_i32_e32 v48, 31, v45
	v_xor_b32_e32 v45, v18, v45
	v_lshlrev_b32_e32 v18, 2, v46
	v_cndmask_b32_e64 v50, v39, v46, s[0:1]
	s_cselect_b64 s[0:1], -1, 0
	s_cmp_eq_u32 s9, 3
	v_cndmask_b32_e64 v51, v38, v46, s[0:1]
	ds_read_b32 v18, v18
	ds_read_b64 v[38:39], v21 offset:8192
	s_cselect_b64 s[0:1], -1, 0
	s_cmp_eq_u32 s9, 4
	v_cndmask_b32_e64 v52, v37, v46, s[0:1]
	s_cselect_b64 s[0:1], -1, 0
	s_cmp_eq_u32 s9, 5
	v_cndmask_b32_e64 v53, v36, v46, s[0:1]
	;; [unrolled: 3-line block ×4, first 2 shown]
	s_waitcnt lgkmcnt(1)
	v_add_u32_e32 v18, v43, v18
	s_cselect_b64 s[0:1], -1, 0
	v_cndmask_b32_e64 v29, v29, v46, s[0:1]
	s_waitcnt lgkmcnt(0)
	v_cmp_ne_u64_e64 s[0:1], s[4:5], v[38:39]
	v_lshlrev_b64 v[46:47], 3, v[18:19]
	v_not_b32_e32 v48, v48
	v_cndmask_b32_e64 v37, v41, v39, s[0:1]
	v_cndmask_b32_e64 v36, 0, v38, s[0:1]
	v_add_co_u32_e64 v46, s[0:1], s38, v46
	v_xor_b32_e32 v44, v48, v44
	v_cmp_lt_i64_e64 s[2:3], -1, v[38:39]
	v_ashrrev_i32_e32 v49, 31, v39
	s_cmp_eq_u32 s8, 7
	v_addc_co_u32_e64 v47, s[0:1], v42, v47, s[0:1]
	v_lshrrev_b64 v[36:37], s48, v[36:37]
	v_cndmask_b32_e64 v48, v41, -1, s[2:3]
	v_not_b32_e32 v18, v49
	global_store_dwordx2 v[46:47], v[44:45], off
	v_and_b32_e32 v44, s17, v36
	s_cselect_b64 s[0:1], -1, 0
	s_cmp_eq_u32 s8, 6
	v_xor_b32_e32 v49, v48, v39
	v_xor_b32_e32 v48, v18, v38
	v_lshlrev_b32_e32 v18, 2, v44
	v_cndmask_b32_e64 v29, v29, v44, s[0:1]
	s_cselect_b64 s[0:1], -1, 0
	s_cmp_eq_u32 s8, 5
	v_cndmask_b32_e64 v32, v32, v44, s[0:1]
	ds_read_b32 v18, v18
	s_cselect_b64 s[0:1], -1, 0
	s_cmp_eq_u32 s8, 4
	v_cndmask_b32_e64 v35, v35, v44, s[0:1]
	s_cselect_b64 s[0:1], -1, 0
	s_cmp_eq_u32 s8, 3
	v_cndmask_b32_e64 v36, v53, v44, s[0:1]
	;; [unrolled: 3-line block ×5, first 2 shown]
	s_waitcnt lgkmcnt(0)
	v_add3_u32 v18, v43, v18, s6
	s_cselect_b64 s[0:1], -1, 0
	v_cndmask_b32_e64 v40, v40, v44, s[0:1]
	v_lshlrev_b64 v[44:45], 3, v[18:19]
	s_addk_i32 s7, 0xf800
	s_add_i32 s8, s8, 2
	v_add_co_u32_e64 v44, s[0:1], s38, v44
	v_add_u32_e32 v43, 0x800, v43
	s_cmpk_lg_i32 s7, 0xe000
	v_addc_co_u32_e64 v45, s[0:1], v42, v45, s[0:1]
	global_store_dwordx2 v[44:45], v[48:49], off
	s_barrier
	s_cbranch_scc1 .LBB1620_119
; %bb.120:
	s_add_u32 s0, s40, s12
	s_addc_u32 s1, s41, s13
	v_mov_b32_e32 v0, s1
	v_add_co_u32_e64 v1, s[0:1], s0, v24
	v_addc_co_u32_e64 v0, s[0:1], 0, v0, s[0:1]
	v_add_co_u32_e64 v18, s[0:1], v1, v25
	v_addc_co_u32_e64 v19, s[0:1], 0, v0, s[0:1]
	global_load_dwordx2 v[0:1], v[18:19], off
	global_load_dwordx2 v[2:3], v[18:19], off offset:512
	global_load_dwordx2 v[4:5], v[18:19], off offset:1024
	;; [unrolled: 1-line block ×7, first 2 shown]
	s_mov_b32 s2, 0
	s_mov_b32 s3, 1
	s_movk_i32 s4, 0x400
	v_mov_b32_e32 v19, 0
	v_mov_b32_e32 v24, v10
	s_waitcnt vmcnt(0)
.LBB1620_121:                           ; =>This Inner Loop Header: Depth=1
	s_add_i32 s5, s3, -1
	v_add_u32_e32 v18, s2, v20
	s_cmp_eq_u32 s5, 1
	v_add_u32_e32 v25, s2, v27
	v_add_u32_e32 v41, s2, v30
	;; [unrolled: 1-line block ×7, first 2 shown]
	v_min_u32_e32 v18, 0x800, v18
	s_cselect_b64 s[0:1], -1, 0
	s_cmp_eq_u32 s5, 2
	v_min_u32_e32 v25, 0x800, v25
	v_min_u32_e32 v41, 0x800, v41
	v_min_u32_e32 v42, 0x800, v42
	v_min_u32_e32 v43, 0x800, v43
	v_min_u32_e32 v44, 0x800, v44
	v_min_u32_e32 v45, 0x800, v45
	v_min_u32_e32 v46, 0x800, v46
	v_lshlrev_b32_e32 v18, 3, v18
	v_cndmask_b32_e64 v47, v40, v39, s[0:1]
	s_cselect_b64 s[0:1], -1, 0
	s_cmp_eq_u32 s5, 3
	v_lshlrev_b32_e32 v25, 3, v25
	v_lshlrev_b32_e32 v41, 3, v41
	;; [unrolled: 1-line block ×7, first 2 shown]
	ds_write_b64 v18, v[0:1] offset:1024
	ds_write_b64 v25, v[2:3] offset:1024
	;; [unrolled: 1-line block ×8, first 2 shown]
	v_cndmask_b32_e64 v18, v47, v38, s[0:1]
	s_cselect_b64 s[0:1], -1, 0
	s_cmp_eq_u32 s5, 4
	v_cndmask_b32_e64 v18, v18, v37, s[0:1]
	s_cselect_b64 s[0:1], -1, 0
	s_cmp_eq_u32 s5, 5
	;; [unrolled: 3-line block ×9, first 2 shown]
	v_lshlrev_b32_e32 v18, 2, v18
	v_cndmask_b32_e64 v25, v25, v36, s[0:1]
	s_cselect_b64 s[0:1], -1, 0
	s_cmp_eq_u32 s3, 6
	s_waitcnt lgkmcnt(0)
	s_barrier
	ds_read_b64 v[42:43], v11 offset:1024
	ds_read_b32 v18, v18
	v_cndmask_b32_e64 v25, v25, v35, s[0:1]
	s_cselect_b64 s[0:1], -1, 0
	s_cmp_eq_u32 s3, 7
	v_cndmask_b32_e64 v25, v25, v32, s[0:1]
	s_cselect_b64 s[0:1], -1, 0
	v_cndmask_b32_e64 v25, v25, v29, s[0:1]
	v_lshlrev_b32_e32 v25, 2, v25
	ds_read_b32 v25, v25
	ds_read_b64 v[44:45], v21 offset:8192
	s_waitcnt lgkmcnt(2)
	v_add_u32_e32 v18, v24, v18
	v_lshlrev_b64 v[46:47], 3, v[18:19]
	v_mov_b32_e32 v48, s43
	v_add_co_u32_e64 v46, s[0:1], s42, v46
	v_addc_co_u32_e64 v47, s[0:1], v48, v47, s[0:1]
	s_waitcnt lgkmcnt(1)
	v_add3_u32 v18, v24, v25, s4
	global_store_dwordx2 v[46:47], v[42:43], off
	v_lshlrev_b64 v[42:43], 3, v[18:19]
	s_addk_i32 s2, 0xf800
	s_add_i32 s3, s3, 2
	v_add_co_u32_e64 v42, s[0:1], s42, v42
	s_cmpk_lg_i32 s2, 0xe000
	v_add_u32_e32 v24, 0x800, v24
	v_addc_co_u32_e64 v43, s[0:1], v48, v43, s[0:1]
	s_waitcnt lgkmcnt(0)
	global_store_dwordx2 v[42:43], v[44:45], off
	s_barrier
	s_cbranch_scc1 .LBB1620_121
; %bb.122:
	s_add_i32 s16, s16, -1
	s_cmp_eq_u32 s16, s33
	s_cselect_b64 s[0:1], -1, 0
	s_and_b64 s[2:3], vcc, s[0:1]
                                        ; implicit-def: $vgpr2
	s_and_saveexec_b64 s[0:1], s[2:3]
; %bb.123:
	v_add_u32_e32 v2, v28, v31
	s_or_b64 s[10:11], s[10:11], exec
; %bb.124:
	s_or_b64 exec, exec, s[0:1]
.LBB1620_125:
	s_and_saveexec_b64 s[0:1], s[10:11]
	s_cbranch_execnz .LBB1620_127
; %bb.126:
	s_endpgm
.LBB1620_127:
	v_lshlrev_b32_e32 v0, 2, v10
	ds_read_b32 v1, v0
	s_waitcnt lgkmcnt(0)
	v_add_u32_e32 v1, v1, v2
	global_store_dword v0, v1, s[46:47]
	s_endpgm
.LBB1620_128:
	global_load_dwordx2 v[12:13], v[28:29], off
	s_or_b64 exec, exec, s[20:21]
                                        ; implicit-def: $vgpr14_vgpr15
	s_and_saveexec_b64 s[20:21], s[2:3]
	s_cbranch_execz .LBB1620_66
.LBB1620_129:
	global_load_dwordx2 v[14:15], v[28:29], off offset:512
	s_or_b64 exec, exec, s[20:21]
                                        ; implicit-def: $vgpr16_vgpr17
	s_and_saveexec_b64 s[2:3], s[26:27]
	s_cbranch_execz .LBB1620_67
.LBB1620_130:
	global_load_dwordx2 v[16:17], v[28:29], off offset:1024
	s_or_b64 exec, exec, s[2:3]
                                        ; implicit-def: $vgpr18_vgpr19
	s_and_saveexec_b64 s[2:3], s[8:9]
	s_cbranch_execz .LBB1620_68
.LBB1620_131:
	global_load_dwordx2 v[18:19], v[28:29], off offset:1536
	s_or_b64 exec, exec, s[2:3]
                                        ; implicit-def: $vgpr20_vgpr21
	s_and_saveexec_b64 s[2:3], s[10:11]
	s_cbranch_execz .LBB1620_69
.LBB1620_132:
	global_load_dwordx2 v[20:21], v[28:29], off offset:2048
	s_or_b64 exec, exec, s[2:3]
                                        ; implicit-def: $vgpr22_vgpr23
	s_and_saveexec_b64 s[2:3], s[12:13]
	s_cbranch_execz .LBB1620_70
.LBB1620_133:
	global_load_dwordx2 v[22:23], v[28:29], off offset:2560
	s_or_b64 exec, exec, s[2:3]
                                        ; implicit-def: $vgpr24_vgpr25
	s_and_saveexec_b64 s[2:3], s[14:15]
	s_cbranch_execz .LBB1620_71
.LBB1620_134:
	global_load_dwordx2 v[24:25], v[28:29], off offset:3072
	s_or_b64 exec, exec, s[2:3]
                                        ; implicit-def: $vgpr26_vgpr27
	s_and_saveexec_b64 s[2:3], s[16:17]
	s_cbranch_execnz .LBB1620_72
	s_branch .LBB1620_73
	.section	.rodata,"a",@progbits
	.p2align	6, 0x0
	.amdhsa_kernel _ZN7rocprim17ROCPRIM_400000_NS6detail17trampoline_kernelINS0_14default_configENS1_35radix_sort_onesweep_config_selectorIdlEEZZNS1_29radix_sort_onesweep_iterationIS3_Lb0EPdS7_N6thrust23THRUST_200600_302600_NS10device_ptrIlEESB_jNS0_19identity_decomposerENS1_16block_id_wrapperIjLb1EEEEE10hipError_tT1_PNSt15iterator_traitsISG_E10value_typeET2_T3_PNSH_ISM_E10value_typeET4_T5_PSR_SS_PNS1_23onesweep_lookback_stateEbbT6_jjT7_P12ihipStream_tbENKUlT_T0_SG_SL_E_clIS7_S7_SB_SB_EEDaSZ_S10_SG_SL_EUlSZ_E_NS1_11comp_targetILNS1_3genE4ELNS1_11target_archE910ELNS1_3gpuE8ELNS1_3repE0EEENS1_47radix_sort_onesweep_sort_config_static_selectorELNS0_4arch9wavefront6targetE1EEEvSG_
		.amdhsa_group_segment_fixed_size 20552
		.amdhsa_private_segment_fixed_size 0
		.amdhsa_kernarg_size 344
		.amdhsa_user_sgpr_count 6
		.amdhsa_user_sgpr_private_segment_buffer 1
		.amdhsa_user_sgpr_dispatch_ptr 0
		.amdhsa_user_sgpr_queue_ptr 0
		.amdhsa_user_sgpr_kernarg_segment_ptr 1
		.amdhsa_user_sgpr_dispatch_id 0
		.amdhsa_user_sgpr_flat_scratch_init 0
		.amdhsa_user_sgpr_kernarg_preload_length 0
		.amdhsa_user_sgpr_kernarg_preload_offset 0
		.amdhsa_user_sgpr_private_segment_size 0
		.amdhsa_uses_dynamic_stack 0
		.amdhsa_system_sgpr_private_segment_wavefront_offset 0
		.amdhsa_system_sgpr_workgroup_id_x 1
		.amdhsa_system_sgpr_workgroup_id_y 0
		.amdhsa_system_sgpr_workgroup_id_z 0
		.amdhsa_system_sgpr_workgroup_info 0
		.amdhsa_system_vgpr_workitem_id 2
		.amdhsa_next_free_vgpr 57
		.amdhsa_next_free_sgpr 56
		.amdhsa_accum_offset 60
		.amdhsa_reserve_vcc 1
		.amdhsa_reserve_flat_scratch 0
		.amdhsa_float_round_mode_32 0
		.amdhsa_float_round_mode_16_64 0
		.amdhsa_float_denorm_mode_32 3
		.amdhsa_float_denorm_mode_16_64 3
		.amdhsa_dx10_clamp 1
		.amdhsa_ieee_mode 1
		.amdhsa_fp16_overflow 0
		.amdhsa_tg_split 0
		.amdhsa_exception_fp_ieee_invalid_op 0
		.amdhsa_exception_fp_denorm_src 0
		.amdhsa_exception_fp_ieee_div_zero 0
		.amdhsa_exception_fp_ieee_overflow 0
		.amdhsa_exception_fp_ieee_underflow 0
		.amdhsa_exception_fp_ieee_inexact 0
		.amdhsa_exception_int_div_zero 0
	.end_amdhsa_kernel
	.section	.text._ZN7rocprim17ROCPRIM_400000_NS6detail17trampoline_kernelINS0_14default_configENS1_35radix_sort_onesweep_config_selectorIdlEEZZNS1_29radix_sort_onesweep_iterationIS3_Lb0EPdS7_N6thrust23THRUST_200600_302600_NS10device_ptrIlEESB_jNS0_19identity_decomposerENS1_16block_id_wrapperIjLb1EEEEE10hipError_tT1_PNSt15iterator_traitsISG_E10value_typeET2_T3_PNSH_ISM_E10value_typeET4_T5_PSR_SS_PNS1_23onesweep_lookback_stateEbbT6_jjT7_P12ihipStream_tbENKUlT_T0_SG_SL_E_clIS7_S7_SB_SB_EEDaSZ_S10_SG_SL_EUlSZ_E_NS1_11comp_targetILNS1_3genE4ELNS1_11target_archE910ELNS1_3gpuE8ELNS1_3repE0EEENS1_47radix_sort_onesweep_sort_config_static_selectorELNS0_4arch9wavefront6targetE1EEEvSG_,"axG",@progbits,_ZN7rocprim17ROCPRIM_400000_NS6detail17trampoline_kernelINS0_14default_configENS1_35radix_sort_onesweep_config_selectorIdlEEZZNS1_29radix_sort_onesweep_iterationIS3_Lb0EPdS7_N6thrust23THRUST_200600_302600_NS10device_ptrIlEESB_jNS0_19identity_decomposerENS1_16block_id_wrapperIjLb1EEEEE10hipError_tT1_PNSt15iterator_traitsISG_E10value_typeET2_T3_PNSH_ISM_E10value_typeET4_T5_PSR_SS_PNS1_23onesweep_lookback_stateEbbT6_jjT7_P12ihipStream_tbENKUlT_T0_SG_SL_E_clIS7_S7_SB_SB_EEDaSZ_S10_SG_SL_EUlSZ_E_NS1_11comp_targetILNS1_3genE4ELNS1_11target_archE910ELNS1_3gpuE8ELNS1_3repE0EEENS1_47radix_sort_onesweep_sort_config_static_selectorELNS0_4arch9wavefront6targetE1EEEvSG_,comdat
.Lfunc_end1620:
	.size	_ZN7rocprim17ROCPRIM_400000_NS6detail17trampoline_kernelINS0_14default_configENS1_35radix_sort_onesweep_config_selectorIdlEEZZNS1_29radix_sort_onesweep_iterationIS3_Lb0EPdS7_N6thrust23THRUST_200600_302600_NS10device_ptrIlEESB_jNS0_19identity_decomposerENS1_16block_id_wrapperIjLb1EEEEE10hipError_tT1_PNSt15iterator_traitsISG_E10value_typeET2_T3_PNSH_ISM_E10value_typeET4_T5_PSR_SS_PNS1_23onesweep_lookback_stateEbbT6_jjT7_P12ihipStream_tbENKUlT_T0_SG_SL_E_clIS7_S7_SB_SB_EEDaSZ_S10_SG_SL_EUlSZ_E_NS1_11comp_targetILNS1_3genE4ELNS1_11target_archE910ELNS1_3gpuE8ELNS1_3repE0EEENS1_47radix_sort_onesweep_sort_config_static_selectorELNS0_4arch9wavefront6targetE1EEEvSG_, .Lfunc_end1620-_ZN7rocprim17ROCPRIM_400000_NS6detail17trampoline_kernelINS0_14default_configENS1_35radix_sort_onesweep_config_selectorIdlEEZZNS1_29radix_sort_onesweep_iterationIS3_Lb0EPdS7_N6thrust23THRUST_200600_302600_NS10device_ptrIlEESB_jNS0_19identity_decomposerENS1_16block_id_wrapperIjLb1EEEEE10hipError_tT1_PNSt15iterator_traitsISG_E10value_typeET2_T3_PNSH_ISM_E10value_typeET4_T5_PSR_SS_PNS1_23onesweep_lookback_stateEbbT6_jjT7_P12ihipStream_tbENKUlT_T0_SG_SL_E_clIS7_S7_SB_SB_EEDaSZ_S10_SG_SL_EUlSZ_E_NS1_11comp_targetILNS1_3genE4ELNS1_11target_archE910ELNS1_3gpuE8ELNS1_3repE0EEENS1_47radix_sort_onesweep_sort_config_static_selectorELNS0_4arch9wavefront6targetE1EEEvSG_
                                        ; -- End function
	.section	.AMDGPU.csdata,"",@progbits
; Kernel info:
; codeLenInByte = 13824
; NumSgprs: 60
; NumVgprs: 57
; NumAgprs: 0
; TotalNumVgprs: 57
; ScratchSize: 0
; MemoryBound: 0
; FloatMode: 240
; IeeeMode: 1
; LDSByteSize: 20552 bytes/workgroup (compile time only)
; SGPRBlocks: 7
; VGPRBlocks: 7
; NumSGPRsForWavesPerEU: 60
; NumVGPRsForWavesPerEU: 57
; AccumOffset: 60
; Occupancy: 8
; WaveLimiterHint : 1
; COMPUTE_PGM_RSRC2:SCRATCH_EN: 0
; COMPUTE_PGM_RSRC2:USER_SGPR: 6
; COMPUTE_PGM_RSRC2:TRAP_HANDLER: 0
; COMPUTE_PGM_RSRC2:TGID_X_EN: 1
; COMPUTE_PGM_RSRC2:TGID_Y_EN: 0
; COMPUTE_PGM_RSRC2:TGID_Z_EN: 0
; COMPUTE_PGM_RSRC2:TIDIG_COMP_CNT: 2
; COMPUTE_PGM_RSRC3_GFX90A:ACCUM_OFFSET: 14
; COMPUTE_PGM_RSRC3_GFX90A:TG_SPLIT: 0
	.section	.text._ZN7rocprim17ROCPRIM_400000_NS6detail17trampoline_kernelINS0_14default_configENS1_35radix_sort_onesweep_config_selectorIdlEEZZNS1_29radix_sort_onesweep_iterationIS3_Lb0EPdS7_N6thrust23THRUST_200600_302600_NS10device_ptrIlEESB_jNS0_19identity_decomposerENS1_16block_id_wrapperIjLb1EEEEE10hipError_tT1_PNSt15iterator_traitsISG_E10value_typeET2_T3_PNSH_ISM_E10value_typeET4_T5_PSR_SS_PNS1_23onesweep_lookback_stateEbbT6_jjT7_P12ihipStream_tbENKUlT_T0_SG_SL_E_clIS7_S7_SB_SB_EEDaSZ_S10_SG_SL_EUlSZ_E_NS1_11comp_targetILNS1_3genE3ELNS1_11target_archE908ELNS1_3gpuE7ELNS1_3repE0EEENS1_47radix_sort_onesweep_sort_config_static_selectorELNS0_4arch9wavefront6targetE1EEEvSG_,"axG",@progbits,_ZN7rocprim17ROCPRIM_400000_NS6detail17trampoline_kernelINS0_14default_configENS1_35radix_sort_onesweep_config_selectorIdlEEZZNS1_29radix_sort_onesweep_iterationIS3_Lb0EPdS7_N6thrust23THRUST_200600_302600_NS10device_ptrIlEESB_jNS0_19identity_decomposerENS1_16block_id_wrapperIjLb1EEEEE10hipError_tT1_PNSt15iterator_traitsISG_E10value_typeET2_T3_PNSH_ISM_E10value_typeET4_T5_PSR_SS_PNS1_23onesweep_lookback_stateEbbT6_jjT7_P12ihipStream_tbENKUlT_T0_SG_SL_E_clIS7_S7_SB_SB_EEDaSZ_S10_SG_SL_EUlSZ_E_NS1_11comp_targetILNS1_3genE3ELNS1_11target_archE908ELNS1_3gpuE7ELNS1_3repE0EEENS1_47radix_sort_onesweep_sort_config_static_selectorELNS0_4arch9wavefront6targetE1EEEvSG_,comdat
	.protected	_ZN7rocprim17ROCPRIM_400000_NS6detail17trampoline_kernelINS0_14default_configENS1_35radix_sort_onesweep_config_selectorIdlEEZZNS1_29radix_sort_onesweep_iterationIS3_Lb0EPdS7_N6thrust23THRUST_200600_302600_NS10device_ptrIlEESB_jNS0_19identity_decomposerENS1_16block_id_wrapperIjLb1EEEEE10hipError_tT1_PNSt15iterator_traitsISG_E10value_typeET2_T3_PNSH_ISM_E10value_typeET4_T5_PSR_SS_PNS1_23onesweep_lookback_stateEbbT6_jjT7_P12ihipStream_tbENKUlT_T0_SG_SL_E_clIS7_S7_SB_SB_EEDaSZ_S10_SG_SL_EUlSZ_E_NS1_11comp_targetILNS1_3genE3ELNS1_11target_archE908ELNS1_3gpuE7ELNS1_3repE0EEENS1_47radix_sort_onesweep_sort_config_static_selectorELNS0_4arch9wavefront6targetE1EEEvSG_ ; -- Begin function _ZN7rocprim17ROCPRIM_400000_NS6detail17trampoline_kernelINS0_14default_configENS1_35radix_sort_onesweep_config_selectorIdlEEZZNS1_29radix_sort_onesweep_iterationIS3_Lb0EPdS7_N6thrust23THRUST_200600_302600_NS10device_ptrIlEESB_jNS0_19identity_decomposerENS1_16block_id_wrapperIjLb1EEEEE10hipError_tT1_PNSt15iterator_traitsISG_E10value_typeET2_T3_PNSH_ISM_E10value_typeET4_T5_PSR_SS_PNS1_23onesweep_lookback_stateEbbT6_jjT7_P12ihipStream_tbENKUlT_T0_SG_SL_E_clIS7_S7_SB_SB_EEDaSZ_S10_SG_SL_EUlSZ_E_NS1_11comp_targetILNS1_3genE3ELNS1_11target_archE908ELNS1_3gpuE7ELNS1_3repE0EEENS1_47radix_sort_onesweep_sort_config_static_selectorELNS0_4arch9wavefront6targetE1EEEvSG_
	.globl	_ZN7rocprim17ROCPRIM_400000_NS6detail17trampoline_kernelINS0_14default_configENS1_35radix_sort_onesweep_config_selectorIdlEEZZNS1_29radix_sort_onesweep_iterationIS3_Lb0EPdS7_N6thrust23THRUST_200600_302600_NS10device_ptrIlEESB_jNS0_19identity_decomposerENS1_16block_id_wrapperIjLb1EEEEE10hipError_tT1_PNSt15iterator_traitsISG_E10value_typeET2_T3_PNSH_ISM_E10value_typeET4_T5_PSR_SS_PNS1_23onesweep_lookback_stateEbbT6_jjT7_P12ihipStream_tbENKUlT_T0_SG_SL_E_clIS7_S7_SB_SB_EEDaSZ_S10_SG_SL_EUlSZ_E_NS1_11comp_targetILNS1_3genE3ELNS1_11target_archE908ELNS1_3gpuE7ELNS1_3repE0EEENS1_47radix_sort_onesweep_sort_config_static_selectorELNS0_4arch9wavefront6targetE1EEEvSG_
	.p2align	8
	.type	_ZN7rocprim17ROCPRIM_400000_NS6detail17trampoline_kernelINS0_14default_configENS1_35radix_sort_onesweep_config_selectorIdlEEZZNS1_29radix_sort_onesweep_iterationIS3_Lb0EPdS7_N6thrust23THRUST_200600_302600_NS10device_ptrIlEESB_jNS0_19identity_decomposerENS1_16block_id_wrapperIjLb1EEEEE10hipError_tT1_PNSt15iterator_traitsISG_E10value_typeET2_T3_PNSH_ISM_E10value_typeET4_T5_PSR_SS_PNS1_23onesweep_lookback_stateEbbT6_jjT7_P12ihipStream_tbENKUlT_T0_SG_SL_E_clIS7_S7_SB_SB_EEDaSZ_S10_SG_SL_EUlSZ_E_NS1_11comp_targetILNS1_3genE3ELNS1_11target_archE908ELNS1_3gpuE7ELNS1_3repE0EEENS1_47radix_sort_onesweep_sort_config_static_selectorELNS0_4arch9wavefront6targetE1EEEvSG_,@function
_ZN7rocprim17ROCPRIM_400000_NS6detail17trampoline_kernelINS0_14default_configENS1_35radix_sort_onesweep_config_selectorIdlEEZZNS1_29radix_sort_onesweep_iterationIS3_Lb0EPdS7_N6thrust23THRUST_200600_302600_NS10device_ptrIlEESB_jNS0_19identity_decomposerENS1_16block_id_wrapperIjLb1EEEEE10hipError_tT1_PNSt15iterator_traitsISG_E10value_typeET2_T3_PNSH_ISM_E10value_typeET4_T5_PSR_SS_PNS1_23onesweep_lookback_stateEbbT6_jjT7_P12ihipStream_tbENKUlT_T0_SG_SL_E_clIS7_S7_SB_SB_EEDaSZ_S10_SG_SL_EUlSZ_E_NS1_11comp_targetILNS1_3genE3ELNS1_11target_archE908ELNS1_3gpuE7ELNS1_3repE0EEENS1_47radix_sort_onesweep_sort_config_static_selectorELNS0_4arch9wavefront6targetE1EEEvSG_: ; @_ZN7rocprim17ROCPRIM_400000_NS6detail17trampoline_kernelINS0_14default_configENS1_35radix_sort_onesweep_config_selectorIdlEEZZNS1_29radix_sort_onesweep_iterationIS3_Lb0EPdS7_N6thrust23THRUST_200600_302600_NS10device_ptrIlEESB_jNS0_19identity_decomposerENS1_16block_id_wrapperIjLb1EEEEE10hipError_tT1_PNSt15iterator_traitsISG_E10value_typeET2_T3_PNSH_ISM_E10value_typeET4_T5_PSR_SS_PNS1_23onesweep_lookback_stateEbbT6_jjT7_P12ihipStream_tbENKUlT_T0_SG_SL_E_clIS7_S7_SB_SB_EEDaSZ_S10_SG_SL_EUlSZ_E_NS1_11comp_targetILNS1_3genE3ELNS1_11target_archE908ELNS1_3gpuE7ELNS1_3repE0EEENS1_47radix_sort_onesweep_sort_config_static_selectorELNS0_4arch9wavefront6targetE1EEEvSG_
; %bb.0:
	.section	.rodata,"a",@progbits
	.p2align	6, 0x0
	.amdhsa_kernel _ZN7rocprim17ROCPRIM_400000_NS6detail17trampoline_kernelINS0_14default_configENS1_35radix_sort_onesweep_config_selectorIdlEEZZNS1_29radix_sort_onesweep_iterationIS3_Lb0EPdS7_N6thrust23THRUST_200600_302600_NS10device_ptrIlEESB_jNS0_19identity_decomposerENS1_16block_id_wrapperIjLb1EEEEE10hipError_tT1_PNSt15iterator_traitsISG_E10value_typeET2_T3_PNSH_ISM_E10value_typeET4_T5_PSR_SS_PNS1_23onesweep_lookback_stateEbbT6_jjT7_P12ihipStream_tbENKUlT_T0_SG_SL_E_clIS7_S7_SB_SB_EEDaSZ_S10_SG_SL_EUlSZ_E_NS1_11comp_targetILNS1_3genE3ELNS1_11target_archE908ELNS1_3gpuE7ELNS1_3repE0EEENS1_47radix_sort_onesweep_sort_config_static_selectorELNS0_4arch9wavefront6targetE1EEEvSG_
		.amdhsa_group_segment_fixed_size 0
		.amdhsa_private_segment_fixed_size 0
		.amdhsa_kernarg_size 88
		.amdhsa_user_sgpr_count 6
		.amdhsa_user_sgpr_private_segment_buffer 1
		.amdhsa_user_sgpr_dispatch_ptr 0
		.amdhsa_user_sgpr_queue_ptr 0
		.amdhsa_user_sgpr_kernarg_segment_ptr 1
		.amdhsa_user_sgpr_dispatch_id 0
		.amdhsa_user_sgpr_flat_scratch_init 0
		.amdhsa_user_sgpr_kernarg_preload_length 0
		.amdhsa_user_sgpr_kernarg_preload_offset 0
		.amdhsa_user_sgpr_private_segment_size 0
		.amdhsa_uses_dynamic_stack 0
		.amdhsa_system_sgpr_private_segment_wavefront_offset 0
		.amdhsa_system_sgpr_workgroup_id_x 1
		.amdhsa_system_sgpr_workgroup_id_y 0
		.amdhsa_system_sgpr_workgroup_id_z 0
		.amdhsa_system_sgpr_workgroup_info 0
		.amdhsa_system_vgpr_workitem_id 0
		.amdhsa_next_free_vgpr 1
		.amdhsa_next_free_sgpr 0
		.amdhsa_accum_offset 4
		.amdhsa_reserve_vcc 0
		.amdhsa_reserve_flat_scratch 0
		.amdhsa_float_round_mode_32 0
		.amdhsa_float_round_mode_16_64 0
		.amdhsa_float_denorm_mode_32 3
		.amdhsa_float_denorm_mode_16_64 3
		.amdhsa_dx10_clamp 1
		.amdhsa_ieee_mode 1
		.amdhsa_fp16_overflow 0
		.amdhsa_tg_split 0
		.amdhsa_exception_fp_ieee_invalid_op 0
		.amdhsa_exception_fp_denorm_src 0
		.amdhsa_exception_fp_ieee_div_zero 0
		.amdhsa_exception_fp_ieee_overflow 0
		.amdhsa_exception_fp_ieee_underflow 0
		.amdhsa_exception_fp_ieee_inexact 0
		.amdhsa_exception_int_div_zero 0
	.end_amdhsa_kernel
	.section	.text._ZN7rocprim17ROCPRIM_400000_NS6detail17trampoline_kernelINS0_14default_configENS1_35radix_sort_onesweep_config_selectorIdlEEZZNS1_29radix_sort_onesweep_iterationIS3_Lb0EPdS7_N6thrust23THRUST_200600_302600_NS10device_ptrIlEESB_jNS0_19identity_decomposerENS1_16block_id_wrapperIjLb1EEEEE10hipError_tT1_PNSt15iterator_traitsISG_E10value_typeET2_T3_PNSH_ISM_E10value_typeET4_T5_PSR_SS_PNS1_23onesweep_lookback_stateEbbT6_jjT7_P12ihipStream_tbENKUlT_T0_SG_SL_E_clIS7_S7_SB_SB_EEDaSZ_S10_SG_SL_EUlSZ_E_NS1_11comp_targetILNS1_3genE3ELNS1_11target_archE908ELNS1_3gpuE7ELNS1_3repE0EEENS1_47radix_sort_onesweep_sort_config_static_selectorELNS0_4arch9wavefront6targetE1EEEvSG_,"axG",@progbits,_ZN7rocprim17ROCPRIM_400000_NS6detail17trampoline_kernelINS0_14default_configENS1_35radix_sort_onesweep_config_selectorIdlEEZZNS1_29radix_sort_onesweep_iterationIS3_Lb0EPdS7_N6thrust23THRUST_200600_302600_NS10device_ptrIlEESB_jNS0_19identity_decomposerENS1_16block_id_wrapperIjLb1EEEEE10hipError_tT1_PNSt15iterator_traitsISG_E10value_typeET2_T3_PNSH_ISM_E10value_typeET4_T5_PSR_SS_PNS1_23onesweep_lookback_stateEbbT6_jjT7_P12ihipStream_tbENKUlT_T0_SG_SL_E_clIS7_S7_SB_SB_EEDaSZ_S10_SG_SL_EUlSZ_E_NS1_11comp_targetILNS1_3genE3ELNS1_11target_archE908ELNS1_3gpuE7ELNS1_3repE0EEENS1_47radix_sort_onesweep_sort_config_static_selectorELNS0_4arch9wavefront6targetE1EEEvSG_,comdat
.Lfunc_end1621:
	.size	_ZN7rocprim17ROCPRIM_400000_NS6detail17trampoline_kernelINS0_14default_configENS1_35radix_sort_onesweep_config_selectorIdlEEZZNS1_29radix_sort_onesweep_iterationIS3_Lb0EPdS7_N6thrust23THRUST_200600_302600_NS10device_ptrIlEESB_jNS0_19identity_decomposerENS1_16block_id_wrapperIjLb1EEEEE10hipError_tT1_PNSt15iterator_traitsISG_E10value_typeET2_T3_PNSH_ISM_E10value_typeET4_T5_PSR_SS_PNS1_23onesweep_lookback_stateEbbT6_jjT7_P12ihipStream_tbENKUlT_T0_SG_SL_E_clIS7_S7_SB_SB_EEDaSZ_S10_SG_SL_EUlSZ_E_NS1_11comp_targetILNS1_3genE3ELNS1_11target_archE908ELNS1_3gpuE7ELNS1_3repE0EEENS1_47radix_sort_onesweep_sort_config_static_selectorELNS0_4arch9wavefront6targetE1EEEvSG_, .Lfunc_end1621-_ZN7rocprim17ROCPRIM_400000_NS6detail17trampoline_kernelINS0_14default_configENS1_35radix_sort_onesweep_config_selectorIdlEEZZNS1_29radix_sort_onesweep_iterationIS3_Lb0EPdS7_N6thrust23THRUST_200600_302600_NS10device_ptrIlEESB_jNS0_19identity_decomposerENS1_16block_id_wrapperIjLb1EEEEE10hipError_tT1_PNSt15iterator_traitsISG_E10value_typeET2_T3_PNSH_ISM_E10value_typeET4_T5_PSR_SS_PNS1_23onesweep_lookback_stateEbbT6_jjT7_P12ihipStream_tbENKUlT_T0_SG_SL_E_clIS7_S7_SB_SB_EEDaSZ_S10_SG_SL_EUlSZ_E_NS1_11comp_targetILNS1_3genE3ELNS1_11target_archE908ELNS1_3gpuE7ELNS1_3repE0EEENS1_47radix_sort_onesweep_sort_config_static_selectorELNS0_4arch9wavefront6targetE1EEEvSG_
                                        ; -- End function
	.section	.AMDGPU.csdata,"",@progbits
; Kernel info:
; codeLenInByte = 0
; NumSgprs: 4
; NumVgprs: 0
; NumAgprs: 0
; TotalNumVgprs: 0
; ScratchSize: 0
; MemoryBound: 0
; FloatMode: 240
; IeeeMode: 1
; LDSByteSize: 0 bytes/workgroup (compile time only)
; SGPRBlocks: 0
; VGPRBlocks: 0
; NumSGPRsForWavesPerEU: 4
; NumVGPRsForWavesPerEU: 1
; AccumOffset: 4
; Occupancy: 8
; WaveLimiterHint : 0
; COMPUTE_PGM_RSRC2:SCRATCH_EN: 0
; COMPUTE_PGM_RSRC2:USER_SGPR: 6
; COMPUTE_PGM_RSRC2:TRAP_HANDLER: 0
; COMPUTE_PGM_RSRC2:TGID_X_EN: 1
; COMPUTE_PGM_RSRC2:TGID_Y_EN: 0
; COMPUTE_PGM_RSRC2:TGID_Z_EN: 0
; COMPUTE_PGM_RSRC2:TIDIG_COMP_CNT: 0
; COMPUTE_PGM_RSRC3_GFX90A:ACCUM_OFFSET: 0
; COMPUTE_PGM_RSRC3_GFX90A:TG_SPLIT: 0
	.section	.text._ZN7rocprim17ROCPRIM_400000_NS6detail17trampoline_kernelINS0_14default_configENS1_35radix_sort_onesweep_config_selectorIdlEEZZNS1_29radix_sort_onesweep_iterationIS3_Lb0EPdS7_N6thrust23THRUST_200600_302600_NS10device_ptrIlEESB_jNS0_19identity_decomposerENS1_16block_id_wrapperIjLb1EEEEE10hipError_tT1_PNSt15iterator_traitsISG_E10value_typeET2_T3_PNSH_ISM_E10value_typeET4_T5_PSR_SS_PNS1_23onesweep_lookback_stateEbbT6_jjT7_P12ihipStream_tbENKUlT_T0_SG_SL_E_clIS7_S7_SB_SB_EEDaSZ_S10_SG_SL_EUlSZ_E_NS1_11comp_targetILNS1_3genE10ELNS1_11target_archE1201ELNS1_3gpuE5ELNS1_3repE0EEENS1_47radix_sort_onesweep_sort_config_static_selectorELNS0_4arch9wavefront6targetE1EEEvSG_,"axG",@progbits,_ZN7rocprim17ROCPRIM_400000_NS6detail17trampoline_kernelINS0_14default_configENS1_35radix_sort_onesweep_config_selectorIdlEEZZNS1_29radix_sort_onesweep_iterationIS3_Lb0EPdS7_N6thrust23THRUST_200600_302600_NS10device_ptrIlEESB_jNS0_19identity_decomposerENS1_16block_id_wrapperIjLb1EEEEE10hipError_tT1_PNSt15iterator_traitsISG_E10value_typeET2_T3_PNSH_ISM_E10value_typeET4_T5_PSR_SS_PNS1_23onesweep_lookback_stateEbbT6_jjT7_P12ihipStream_tbENKUlT_T0_SG_SL_E_clIS7_S7_SB_SB_EEDaSZ_S10_SG_SL_EUlSZ_E_NS1_11comp_targetILNS1_3genE10ELNS1_11target_archE1201ELNS1_3gpuE5ELNS1_3repE0EEENS1_47radix_sort_onesweep_sort_config_static_selectorELNS0_4arch9wavefront6targetE1EEEvSG_,comdat
	.protected	_ZN7rocprim17ROCPRIM_400000_NS6detail17trampoline_kernelINS0_14default_configENS1_35radix_sort_onesweep_config_selectorIdlEEZZNS1_29radix_sort_onesweep_iterationIS3_Lb0EPdS7_N6thrust23THRUST_200600_302600_NS10device_ptrIlEESB_jNS0_19identity_decomposerENS1_16block_id_wrapperIjLb1EEEEE10hipError_tT1_PNSt15iterator_traitsISG_E10value_typeET2_T3_PNSH_ISM_E10value_typeET4_T5_PSR_SS_PNS1_23onesweep_lookback_stateEbbT6_jjT7_P12ihipStream_tbENKUlT_T0_SG_SL_E_clIS7_S7_SB_SB_EEDaSZ_S10_SG_SL_EUlSZ_E_NS1_11comp_targetILNS1_3genE10ELNS1_11target_archE1201ELNS1_3gpuE5ELNS1_3repE0EEENS1_47radix_sort_onesweep_sort_config_static_selectorELNS0_4arch9wavefront6targetE1EEEvSG_ ; -- Begin function _ZN7rocprim17ROCPRIM_400000_NS6detail17trampoline_kernelINS0_14default_configENS1_35radix_sort_onesweep_config_selectorIdlEEZZNS1_29radix_sort_onesweep_iterationIS3_Lb0EPdS7_N6thrust23THRUST_200600_302600_NS10device_ptrIlEESB_jNS0_19identity_decomposerENS1_16block_id_wrapperIjLb1EEEEE10hipError_tT1_PNSt15iterator_traitsISG_E10value_typeET2_T3_PNSH_ISM_E10value_typeET4_T5_PSR_SS_PNS1_23onesweep_lookback_stateEbbT6_jjT7_P12ihipStream_tbENKUlT_T0_SG_SL_E_clIS7_S7_SB_SB_EEDaSZ_S10_SG_SL_EUlSZ_E_NS1_11comp_targetILNS1_3genE10ELNS1_11target_archE1201ELNS1_3gpuE5ELNS1_3repE0EEENS1_47radix_sort_onesweep_sort_config_static_selectorELNS0_4arch9wavefront6targetE1EEEvSG_
	.globl	_ZN7rocprim17ROCPRIM_400000_NS6detail17trampoline_kernelINS0_14default_configENS1_35radix_sort_onesweep_config_selectorIdlEEZZNS1_29radix_sort_onesweep_iterationIS3_Lb0EPdS7_N6thrust23THRUST_200600_302600_NS10device_ptrIlEESB_jNS0_19identity_decomposerENS1_16block_id_wrapperIjLb1EEEEE10hipError_tT1_PNSt15iterator_traitsISG_E10value_typeET2_T3_PNSH_ISM_E10value_typeET4_T5_PSR_SS_PNS1_23onesweep_lookback_stateEbbT6_jjT7_P12ihipStream_tbENKUlT_T0_SG_SL_E_clIS7_S7_SB_SB_EEDaSZ_S10_SG_SL_EUlSZ_E_NS1_11comp_targetILNS1_3genE10ELNS1_11target_archE1201ELNS1_3gpuE5ELNS1_3repE0EEENS1_47radix_sort_onesweep_sort_config_static_selectorELNS0_4arch9wavefront6targetE1EEEvSG_
	.p2align	8
	.type	_ZN7rocprim17ROCPRIM_400000_NS6detail17trampoline_kernelINS0_14default_configENS1_35radix_sort_onesweep_config_selectorIdlEEZZNS1_29radix_sort_onesweep_iterationIS3_Lb0EPdS7_N6thrust23THRUST_200600_302600_NS10device_ptrIlEESB_jNS0_19identity_decomposerENS1_16block_id_wrapperIjLb1EEEEE10hipError_tT1_PNSt15iterator_traitsISG_E10value_typeET2_T3_PNSH_ISM_E10value_typeET4_T5_PSR_SS_PNS1_23onesweep_lookback_stateEbbT6_jjT7_P12ihipStream_tbENKUlT_T0_SG_SL_E_clIS7_S7_SB_SB_EEDaSZ_S10_SG_SL_EUlSZ_E_NS1_11comp_targetILNS1_3genE10ELNS1_11target_archE1201ELNS1_3gpuE5ELNS1_3repE0EEENS1_47radix_sort_onesweep_sort_config_static_selectorELNS0_4arch9wavefront6targetE1EEEvSG_,@function
_ZN7rocprim17ROCPRIM_400000_NS6detail17trampoline_kernelINS0_14default_configENS1_35radix_sort_onesweep_config_selectorIdlEEZZNS1_29radix_sort_onesweep_iterationIS3_Lb0EPdS7_N6thrust23THRUST_200600_302600_NS10device_ptrIlEESB_jNS0_19identity_decomposerENS1_16block_id_wrapperIjLb1EEEEE10hipError_tT1_PNSt15iterator_traitsISG_E10value_typeET2_T3_PNSH_ISM_E10value_typeET4_T5_PSR_SS_PNS1_23onesweep_lookback_stateEbbT6_jjT7_P12ihipStream_tbENKUlT_T0_SG_SL_E_clIS7_S7_SB_SB_EEDaSZ_S10_SG_SL_EUlSZ_E_NS1_11comp_targetILNS1_3genE10ELNS1_11target_archE1201ELNS1_3gpuE5ELNS1_3repE0EEENS1_47radix_sort_onesweep_sort_config_static_selectorELNS0_4arch9wavefront6targetE1EEEvSG_: ; @_ZN7rocprim17ROCPRIM_400000_NS6detail17trampoline_kernelINS0_14default_configENS1_35radix_sort_onesweep_config_selectorIdlEEZZNS1_29radix_sort_onesweep_iterationIS3_Lb0EPdS7_N6thrust23THRUST_200600_302600_NS10device_ptrIlEESB_jNS0_19identity_decomposerENS1_16block_id_wrapperIjLb1EEEEE10hipError_tT1_PNSt15iterator_traitsISG_E10value_typeET2_T3_PNSH_ISM_E10value_typeET4_T5_PSR_SS_PNS1_23onesweep_lookback_stateEbbT6_jjT7_P12ihipStream_tbENKUlT_T0_SG_SL_E_clIS7_S7_SB_SB_EEDaSZ_S10_SG_SL_EUlSZ_E_NS1_11comp_targetILNS1_3genE10ELNS1_11target_archE1201ELNS1_3gpuE5ELNS1_3repE0EEENS1_47radix_sort_onesweep_sort_config_static_selectorELNS0_4arch9wavefront6targetE1EEEvSG_
; %bb.0:
	.section	.rodata,"a",@progbits
	.p2align	6, 0x0
	.amdhsa_kernel _ZN7rocprim17ROCPRIM_400000_NS6detail17trampoline_kernelINS0_14default_configENS1_35radix_sort_onesweep_config_selectorIdlEEZZNS1_29radix_sort_onesweep_iterationIS3_Lb0EPdS7_N6thrust23THRUST_200600_302600_NS10device_ptrIlEESB_jNS0_19identity_decomposerENS1_16block_id_wrapperIjLb1EEEEE10hipError_tT1_PNSt15iterator_traitsISG_E10value_typeET2_T3_PNSH_ISM_E10value_typeET4_T5_PSR_SS_PNS1_23onesweep_lookback_stateEbbT6_jjT7_P12ihipStream_tbENKUlT_T0_SG_SL_E_clIS7_S7_SB_SB_EEDaSZ_S10_SG_SL_EUlSZ_E_NS1_11comp_targetILNS1_3genE10ELNS1_11target_archE1201ELNS1_3gpuE5ELNS1_3repE0EEENS1_47radix_sort_onesweep_sort_config_static_selectorELNS0_4arch9wavefront6targetE1EEEvSG_
		.amdhsa_group_segment_fixed_size 0
		.amdhsa_private_segment_fixed_size 0
		.amdhsa_kernarg_size 88
		.amdhsa_user_sgpr_count 6
		.amdhsa_user_sgpr_private_segment_buffer 1
		.amdhsa_user_sgpr_dispatch_ptr 0
		.amdhsa_user_sgpr_queue_ptr 0
		.amdhsa_user_sgpr_kernarg_segment_ptr 1
		.amdhsa_user_sgpr_dispatch_id 0
		.amdhsa_user_sgpr_flat_scratch_init 0
		.amdhsa_user_sgpr_kernarg_preload_length 0
		.amdhsa_user_sgpr_kernarg_preload_offset 0
		.amdhsa_user_sgpr_private_segment_size 0
		.amdhsa_uses_dynamic_stack 0
		.amdhsa_system_sgpr_private_segment_wavefront_offset 0
		.amdhsa_system_sgpr_workgroup_id_x 1
		.amdhsa_system_sgpr_workgroup_id_y 0
		.amdhsa_system_sgpr_workgroup_id_z 0
		.amdhsa_system_sgpr_workgroup_info 0
		.amdhsa_system_vgpr_workitem_id 0
		.amdhsa_next_free_vgpr 1
		.amdhsa_next_free_sgpr 0
		.amdhsa_accum_offset 4
		.amdhsa_reserve_vcc 0
		.amdhsa_reserve_flat_scratch 0
		.amdhsa_float_round_mode_32 0
		.amdhsa_float_round_mode_16_64 0
		.amdhsa_float_denorm_mode_32 3
		.amdhsa_float_denorm_mode_16_64 3
		.amdhsa_dx10_clamp 1
		.amdhsa_ieee_mode 1
		.amdhsa_fp16_overflow 0
		.amdhsa_tg_split 0
		.amdhsa_exception_fp_ieee_invalid_op 0
		.amdhsa_exception_fp_denorm_src 0
		.amdhsa_exception_fp_ieee_div_zero 0
		.amdhsa_exception_fp_ieee_overflow 0
		.amdhsa_exception_fp_ieee_underflow 0
		.amdhsa_exception_fp_ieee_inexact 0
		.amdhsa_exception_int_div_zero 0
	.end_amdhsa_kernel
	.section	.text._ZN7rocprim17ROCPRIM_400000_NS6detail17trampoline_kernelINS0_14default_configENS1_35radix_sort_onesweep_config_selectorIdlEEZZNS1_29radix_sort_onesweep_iterationIS3_Lb0EPdS7_N6thrust23THRUST_200600_302600_NS10device_ptrIlEESB_jNS0_19identity_decomposerENS1_16block_id_wrapperIjLb1EEEEE10hipError_tT1_PNSt15iterator_traitsISG_E10value_typeET2_T3_PNSH_ISM_E10value_typeET4_T5_PSR_SS_PNS1_23onesweep_lookback_stateEbbT6_jjT7_P12ihipStream_tbENKUlT_T0_SG_SL_E_clIS7_S7_SB_SB_EEDaSZ_S10_SG_SL_EUlSZ_E_NS1_11comp_targetILNS1_3genE10ELNS1_11target_archE1201ELNS1_3gpuE5ELNS1_3repE0EEENS1_47radix_sort_onesweep_sort_config_static_selectorELNS0_4arch9wavefront6targetE1EEEvSG_,"axG",@progbits,_ZN7rocprim17ROCPRIM_400000_NS6detail17trampoline_kernelINS0_14default_configENS1_35radix_sort_onesweep_config_selectorIdlEEZZNS1_29radix_sort_onesweep_iterationIS3_Lb0EPdS7_N6thrust23THRUST_200600_302600_NS10device_ptrIlEESB_jNS0_19identity_decomposerENS1_16block_id_wrapperIjLb1EEEEE10hipError_tT1_PNSt15iterator_traitsISG_E10value_typeET2_T3_PNSH_ISM_E10value_typeET4_T5_PSR_SS_PNS1_23onesweep_lookback_stateEbbT6_jjT7_P12ihipStream_tbENKUlT_T0_SG_SL_E_clIS7_S7_SB_SB_EEDaSZ_S10_SG_SL_EUlSZ_E_NS1_11comp_targetILNS1_3genE10ELNS1_11target_archE1201ELNS1_3gpuE5ELNS1_3repE0EEENS1_47radix_sort_onesweep_sort_config_static_selectorELNS0_4arch9wavefront6targetE1EEEvSG_,comdat
.Lfunc_end1622:
	.size	_ZN7rocprim17ROCPRIM_400000_NS6detail17trampoline_kernelINS0_14default_configENS1_35radix_sort_onesweep_config_selectorIdlEEZZNS1_29radix_sort_onesweep_iterationIS3_Lb0EPdS7_N6thrust23THRUST_200600_302600_NS10device_ptrIlEESB_jNS0_19identity_decomposerENS1_16block_id_wrapperIjLb1EEEEE10hipError_tT1_PNSt15iterator_traitsISG_E10value_typeET2_T3_PNSH_ISM_E10value_typeET4_T5_PSR_SS_PNS1_23onesweep_lookback_stateEbbT6_jjT7_P12ihipStream_tbENKUlT_T0_SG_SL_E_clIS7_S7_SB_SB_EEDaSZ_S10_SG_SL_EUlSZ_E_NS1_11comp_targetILNS1_3genE10ELNS1_11target_archE1201ELNS1_3gpuE5ELNS1_3repE0EEENS1_47radix_sort_onesweep_sort_config_static_selectorELNS0_4arch9wavefront6targetE1EEEvSG_, .Lfunc_end1622-_ZN7rocprim17ROCPRIM_400000_NS6detail17trampoline_kernelINS0_14default_configENS1_35radix_sort_onesweep_config_selectorIdlEEZZNS1_29radix_sort_onesweep_iterationIS3_Lb0EPdS7_N6thrust23THRUST_200600_302600_NS10device_ptrIlEESB_jNS0_19identity_decomposerENS1_16block_id_wrapperIjLb1EEEEE10hipError_tT1_PNSt15iterator_traitsISG_E10value_typeET2_T3_PNSH_ISM_E10value_typeET4_T5_PSR_SS_PNS1_23onesweep_lookback_stateEbbT6_jjT7_P12ihipStream_tbENKUlT_T0_SG_SL_E_clIS7_S7_SB_SB_EEDaSZ_S10_SG_SL_EUlSZ_E_NS1_11comp_targetILNS1_3genE10ELNS1_11target_archE1201ELNS1_3gpuE5ELNS1_3repE0EEENS1_47radix_sort_onesweep_sort_config_static_selectorELNS0_4arch9wavefront6targetE1EEEvSG_
                                        ; -- End function
	.section	.AMDGPU.csdata,"",@progbits
; Kernel info:
; codeLenInByte = 0
; NumSgprs: 4
; NumVgprs: 0
; NumAgprs: 0
; TotalNumVgprs: 0
; ScratchSize: 0
; MemoryBound: 0
; FloatMode: 240
; IeeeMode: 1
; LDSByteSize: 0 bytes/workgroup (compile time only)
; SGPRBlocks: 0
; VGPRBlocks: 0
; NumSGPRsForWavesPerEU: 4
; NumVGPRsForWavesPerEU: 1
; AccumOffset: 4
; Occupancy: 8
; WaveLimiterHint : 0
; COMPUTE_PGM_RSRC2:SCRATCH_EN: 0
; COMPUTE_PGM_RSRC2:USER_SGPR: 6
; COMPUTE_PGM_RSRC2:TRAP_HANDLER: 0
; COMPUTE_PGM_RSRC2:TGID_X_EN: 1
; COMPUTE_PGM_RSRC2:TGID_Y_EN: 0
; COMPUTE_PGM_RSRC2:TGID_Z_EN: 0
; COMPUTE_PGM_RSRC2:TIDIG_COMP_CNT: 0
; COMPUTE_PGM_RSRC3_GFX90A:ACCUM_OFFSET: 0
; COMPUTE_PGM_RSRC3_GFX90A:TG_SPLIT: 0
	.section	.text._ZN7rocprim17ROCPRIM_400000_NS6detail17trampoline_kernelINS0_14default_configENS1_35radix_sort_onesweep_config_selectorIdlEEZZNS1_29radix_sort_onesweep_iterationIS3_Lb0EPdS7_N6thrust23THRUST_200600_302600_NS10device_ptrIlEESB_jNS0_19identity_decomposerENS1_16block_id_wrapperIjLb1EEEEE10hipError_tT1_PNSt15iterator_traitsISG_E10value_typeET2_T3_PNSH_ISM_E10value_typeET4_T5_PSR_SS_PNS1_23onesweep_lookback_stateEbbT6_jjT7_P12ihipStream_tbENKUlT_T0_SG_SL_E_clIS7_S7_SB_SB_EEDaSZ_S10_SG_SL_EUlSZ_E_NS1_11comp_targetILNS1_3genE9ELNS1_11target_archE1100ELNS1_3gpuE3ELNS1_3repE0EEENS1_47radix_sort_onesweep_sort_config_static_selectorELNS0_4arch9wavefront6targetE1EEEvSG_,"axG",@progbits,_ZN7rocprim17ROCPRIM_400000_NS6detail17trampoline_kernelINS0_14default_configENS1_35radix_sort_onesweep_config_selectorIdlEEZZNS1_29radix_sort_onesweep_iterationIS3_Lb0EPdS7_N6thrust23THRUST_200600_302600_NS10device_ptrIlEESB_jNS0_19identity_decomposerENS1_16block_id_wrapperIjLb1EEEEE10hipError_tT1_PNSt15iterator_traitsISG_E10value_typeET2_T3_PNSH_ISM_E10value_typeET4_T5_PSR_SS_PNS1_23onesweep_lookback_stateEbbT6_jjT7_P12ihipStream_tbENKUlT_T0_SG_SL_E_clIS7_S7_SB_SB_EEDaSZ_S10_SG_SL_EUlSZ_E_NS1_11comp_targetILNS1_3genE9ELNS1_11target_archE1100ELNS1_3gpuE3ELNS1_3repE0EEENS1_47radix_sort_onesweep_sort_config_static_selectorELNS0_4arch9wavefront6targetE1EEEvSG_,comdat
	.protected	_ZN7rocprim17ROCPRIM_400000_NS6detail17trampoline_kernelINS0_14default_configENS1_35radix_sort_onesweep_config_selectorIdlEEZZNS1_29radix_sort_onesweep_iterationIS3_Lb0EPdS7_N6thrust23THRUST_200600_302600_NS10device_ptrIlEESB_jNS0_19identity_decomposerENS1_16block_id_wrapperIjLb1EEEEE10hipError_tT1_PNSt15iterator_traitsISG_E10value_typeET2_T3_PNSH_ISM_E10value_typeET4_T5_PSR_SS_PNS1_23onesweep_lookback_stateEbbT6_jjT7_P12ihipStream_tbENKUlT_T0_SG_SL_E_clIS7_S7_SB_SB_EEDaSZ_S10_SG_SL_EUlSZ_E_NS1_11comp_targetILNS1_3genE9ELNS1_11target_archE1100ELNS1_3gpuE3ELNS1_3repE0EEENS1_47radix_sort_onesweep_sort_config_static_selectorELNS0_4arch9wavefront6targetE1EEEvSG_ ; -- Begin function _ZN7rocprim17ROCPRIM_400000_NS6detail17trampoline_kernelINS0_14default_configENS1_35radix_sort_onesweep_config_selectorIdlEEZZNS1_29radix_sort_onesweep_iterationIS3_Lb0EPdS7_N6thrust23THRUST_200600_302600_NS10device_ptrIlEESB_jNS0_19identity_decomposerENS1_16block_id_wrapperIjLb1EEEEE10hipError_tT1_PNSt15iterator_traitsISG_E10value_typeET2_T3_PNSH_ISM_E10value_typeET4_T5_PSR_SS_PNS1_23onesweep_lookback_stateEbbT6_jjT7_P12ihipStream_tbENKUlT_T0_SG_SL_E_clIS7_S7_SB_SB_EEDaSZ_S10_SG_SL_EUlSZ_E_NS1_11comp_targetILNS1_3genE9ELNS1_11target_archE1100ELNS1_3gpuE3ELNS1_3repE0EEENS1_47radix_sort_onesweep_sort_config_static_selectorELNS0_4arch9wavefront6targetE1EEEvSG_
	.globl	_ZN7rocprim17ROCPRIM_400000_NS6detail17trampoline_kernelINS0_14default_configENS1_35radix_sort_onesweep_config_selectorIdlEEZZNS1_29radix_sort_onesweep_iterationIS3_Lb0EPdS7_N6thrust23THRUST_200600_302600_NS10device_ptrIlEESB_jNS0_19identity_decomposerENS1_16block_id_wrapperIjLb1EEEEE10hipError_tT1_PNSt15iterator_traitsISG_E10value_typeET2_T3_PNSH_ISM_E10value_typeET4_T5_PSR_SS_PNS1_23onesweep_lookback_stateEbbT6_jjT7_P12ihipStream_tbENKUlT_T0_SG_SL_E_clIS7_S7_SB_SB_EEDaSZ_S10_SG_SL_EUlSZ_E_NS1_11comp_targetILNS1_3genE9ELNS1_11target_archE1100ELNS1_3gpuE3ELNS1_3repE0EEENS1_47radix_sort_onesweep_sort_config_static_selectorELNS0_4arch9wavefront6targetE1EEEvSG_
	.p2align	8
	.type	_ZN7rocprim17ROCPRIM_400000_NS6detail17trampoline_kernelINS0_14default_configENS1_35radix_sort_onesweep_config_selectorIdlEEZZNS1_29radix_sort_onesweep_iterationIS3_Lb0EPdS7_N6thrust23THRUST_200600_302600_NS10device_ptrIlEESB_jNS0_19identity_decomposerENS1_16block_id_wrapperIjLb1EEEEE10hipError_tT1_PNSt15iterator_traitsISG_E10value_typeET2_T3_PNSH_ISM_E10value_typeET4_T5_PSR_SS_PNS1_23onesweep_lookback_stateEbbT6_jjT7_P12ihipStream_tbENKUlT_T0_SG_SL_E_clIS7_S7_SB_SB_EEDaSZ_S10_SG_SL_EUlSZ_E_NS1_11comp_targetILNS1_3genE9ELNS1_11target_archE1100ELNS1_3gpuE3ELNS1_3repE0EEENS1_47radix_sort_onesweep_sort_config_static_selectorELNS0_4arch9wavefront6targetE1EEEvSG_,@function
_ZN7rocprim17ROCPRIM_400000_NS6detail17trampoline_kernelINS0_14default_configENS1_35radix_sort_onesweep_config_selectorIdlEEZZNS1_29radix_sort_onesweep_iterationIS3_Lb0EPdS7_N6thrust23THRUST_200600_302600_NS10device_ptrIlEESB_jNS0_19identity_decomposerENS1_16block_id_wrapperIjLb1EEEEE10hipError_tT1_PNSt15iterator_traitsISG_E10value_typeET2_T3_PNSH_ISM_E10value_typeET4_T5_PSR_SS_PNS1_23onesweep_lookback_stateEbbT6_jjT7_P12ihipStream_tbENKUlT_T0_SG_SL_E_clIS7_S7_SB_SB_EEDaSZ_S10_SG_SL_EUlSZ_E_NS1_11comp_targetILNS1_3genE9ELNS1_11target_archE1100ELNS1_3gpuE3ELNS1_3repE0EEENS1_47radix_sort_onesweep_sort_config_static_selectorELNS0_4arch9wavefront6targetE1EEEvSG_: ; @_ZN7rocprim17ROCPRIM_400000_NS6detail17trampoline_kernelINS0_14default_configENS1_35radix_sort_onesweep_config_selectorIdlEEZZNS1_29radix_sort_onesweep_iterationIS3_Lb0EPdS7_N6thrust23THRUST_200600_302600_NS10device_ptrIlEESB_jNS0_19identity_decomposerENS1_16block_id_wrapperIjLb1EEEEE10hipError_tT1_PNSt15iterator_traitsISG_E10value_typeET2_T3_PNSH_ISM_E10value_typeET4_T5_PSR_SS_PNS1_23onesweep_lookback_stateEbbT6_jjT7_P12ihipStream_tbENKUlT_T0_SG_SL_E_clIS7_S7_SB_SB_EEDaSZ_S10_SG_SL_EUlSZ_E_NS1_11comp_targetILNS1_3genE9ELNS1_11target_archE1100ELNS1_3gpuE3ELNS1_3repE0EEENS1_47radix_sort_onesweep_sort_config_static_selectorELNS0_4arch9wavefront6targetE1EEEvSG_
; %bb.0:
	.section	.rodata,"a",@progbits
	.p2align	6, 0x0
	.amdhsa_kernel _ZN7rocprim17ROCPRIM_400000_NS6detail17trampoline_kernelINS0_14default_configENS1_35radix_sort_onesweep_config_selectorIdlEEZZNS1_29radix_sort_onesweep_iterationIS3_Lb0EPdS7_N6thrust23THRUST_200600_302600_NS10device_ptrIlEESB_jNS0_19identity_decomposerENS1_16block_id_wrapperIjLb1EEEEE10hipError_tT1_PNSt15iterator_traitsISG_E10value_typeET2_T3_PNSH_ISM_E10value_typeET4_T5_PSR_SS_PNS1_23onesweep_lookback_stateEbbT6_jjT7_P12ihipStream_tbENKUlT_T0_SG_SL_E_clIS7_S7_SB_SB_EEDaSZ_S10_SG_SL_EUlSZ_E_NS1_11comp_targetILNS1_3genE9ELNS1_11target_archE1100ELNS1_3gpuE3ELNS1_3repE0EEENS1_47radix_sort_onesweep_sort_config_static_selectorELNS0_4arch9wavefront6targetE1EEEvSG_
		.amdhsa_group_segment_fixed_size 0
		.amdhsa_private_segment_fixed_size 0
		.amdhsa_kernarg_size 88
		.amdhsa_user_sgpr_count 6
		.amdhsa_user_sgpr_private_segment_buffer 1
		.amdhsa_user_sgpr_dispatch_ptr 0
		.amdhsa_user_sgpr_queue_ptr 0
		.amdhsa_user_sgpr_kernarg_segment_ptr 1
		.amdhsa_user_sgpr_dispatch_id 0
		.amdhsa_user_sgpr_flat_scratch_init 0
		.amdhsa_user_sgpr_kernarg_preload_length 0
		.amdhsa_user_sgpr_kernarg_preload_offset 0
		.amdhsa_user_sgpr_private_segment_size 0
		.amdhsa_uses_dynamic_stack 0
		.amdhsa_system_sgpr_private_segment_wavefront_offset 0
		.amdhsa_system_sgpr_workgroup_id_x 1
		.amdhsa_system_sgpr_workgroup_id_y 0
		.amdhsa_system_sgpr_workgroup_id_z 0
		.amdhsa_system_sgpr_workgroup_info 0
		.amdhsa_system_vgpr_workitem_id 0
		.amdhsa_next_free_vgpr 1
		.amdhsa_next_free_sgpr 0
		.amdhsa_accum_offset 4
		.amdhsa_reserve_vcc 0
		.amdhsa_reserve_flat_scratch 0
		.amdhsa_float_round_mode_32 0
		.amdhsa_float_round_mode_16_64 0
		.amdhsa_float_denorm_mode_32 3
		.amdhsa_float_denorm_mode_16_64 3
		.amdhsa_dx10_clamp 1
		.amdhsa_ieee_mode 1
		.amdhsa_fp16_overflow 0
		.amdhsa_tg_split 0
		.amdhsa_exception_fp_ieee_invalid_op 0
		.amdhsa_exception_fp_denorm_src 0
		.amdhsa_exception_fp_ieee_div_zero 0
		.amdhsa_exception_fp_ieee_overflow 0
		.amdhsa_exception_fp_ieee_underflow 0
		.amdhsa_exception_fp_ieee_inexact 0
		.amdhsa_exception_int_div_zero 0
	.end_amdhsa_kernel
	.section	.text._ZN7rocprim17ROCPRIM_400000_NS6detail17trampoline_kernelINS0_14default_configENS1_35radix_sort_onesweep_config_selectorIdlEEZZNS1_29radix_sort_onesweep_iterationIS3_Lb0EPdS7_N6thrust23THRUST_200600_302600_NS10device_ptrIlEESB_jNS0_19identity_decomposerENS1_16block_id_wrapperIjLb1EEEEE10hipError_tT1_PNSt15iterator_traitsISG_E10value_typeET2_T3_PNSH_ISM_E10value_typeET4_T5_PSR_SS_PNS1_23onesweep_lookback_stateEbbT6_jjT7_P12ihipStream_tbENKUlT_T0_SG_SL_E_clIS7_S7_SB_SB_EEDaSZ_S10_SG_SL_EUlSZ_E_NS1_11comp_targetILNS1_3genE9ELNS1_11target_archE1100ELNS1_3gpuE3ELNS1_3repE0EEENS1_47radix_sort_onesweep_sort_config_static_selectorELNS0_4arch9wavefront6targetE1EEEvSG_,"axG",@progbits,_ZN7rocprim17ROCPRIM_400000_NS6detail17trampoline_kernelINS0_14default_configENS1_35radix_sort_onesweep_config_selectorIdlEEZZNS1_29radix_sort_onesweep_iterationIS3_Lb0EPdS7_N6thrust23THRUST_200600_302600_NS10device_ptrIlEESB_jNS0_19identity_decomposerENS1_16block_id_wrapperIjLb1EEEEE10hipError_tT1_PNSt15iterator_traitsISG_E10value_typeET2_T3_PNSH_ISM_E10value_typeET4_T5_PSR_SS_PNS1_23onesweep_lookback_stateEbbT6_jjT7_P12ihipStream_tbENKUlT_T0_SG_SL_E_clIS7_S7_SB_SB_EEDaSZ_S10_SG_SL_EUlSZ_E_NS1_11comp_targetILNS1_3genE9ELNS1_11target_archE1100ELNS1_3gpuE3ELNS1_3repE0EEENS1_47radix_sort_onesweep_sort_config_static_selectorELNS0_4arch9wavefront6targetE1EEEvSG_,comdat
.Lfunc_end1623:
	.size	_ZN7rocprim17ROCPRIM_400000_NS6detail17trampoline_kernelINS0_14default_configENS1_35radix_sort_onesweep_config_selectorIdlEEZZNS1_29radix_sort_onesweep_iterationIS3_Lb0EPdS7_N6thrust23THRUST_200600_302600_NS10device_ptrIlEESB_jNS0_19identity_decomposerENS1_16block_id_wrapperIjLb1EEEEE10hipError_tT1_PNSt15iterator_traitsISG_E10value_typeET2_T3_PNSH_ISM_E10value_typeET4_T5_PSR_SS_PNS1_23onesweep_lookback_stateEbbT6_jjT7_P12ihipStream_tbENKUlT_T0_SG_SL_E_clIS7_S7_SB_SB_EEDaSZ_S10_SG_SL_EUlSZ_E_NS1_11comp_targetILNS1_3genE9ELNS1_11target_archE1100ELNS1_3gpuE3ELNS1_3repE0EEENS1_47radix_sort_onesweep_sort_config_static_selectorELNS0_4arch9wavefront6targetE1EEEvSG_, .Lfunc_end1623-_ZN7rocprim17ROCPRIM_400000_NS6detail17trampoline_kernelINS0_14default_configENS1_35radix_sort_onesweep_config_selectorIdlEEZZNS1_29radix_sort_onesweep_iterationIS3_Lb0EPdS7_N6thrust23THRUST_200600_302600_NS10device_ptrIlEESB_jNS0_19identity_decomposerENS1_16block_id_wrapperIjLb1EEEEE10hipError_tT1_PNSt15iterator_traitsISG_E10value_typeET2_T3_PNSH_ISM_E10value_typeET4_T5_PSR_SS_PNS1_23onesweep_lookback_stateEbbT6_jjT7_P12ihipStream_tbENKUlT_T0_SG_SL_E_clIS7_S7_SB_SB_EEDaSZ_S10_SG_SL_EUlSZ_E_NS1_11comp_targetILNS1_3genE9ELNS1_11target_archE1100ELNS1_3gpuE3ELNS1_3repE0EEENS1_47radix_sort_onesweep_sort_config_static_selectorELNS0_4arch9wavefront6targetE1EEEvSG_
                                        ; -- End function
	.section	.AMDGPU.csdata,"",@progbits
; Kernel info:
; codeLenInByte = 0
; NumSgprs: 4
; NumVgprs: 0
; NumAgprs: 0
; TotalNumVgprs: 0
; ScratchSize: 0
; MemoryBound: 0
; FloatMode: 240
; IeeeMode: 1
; LDSByteSize: 0 bytes/workgroup (compile time only)
; SGPRBlocks: 0
; VGPRBlocks: 0
; NumSGPRsForWavesPerEU: 4
; NumVGPRsForWavesPerEU: 1
; AccumOffset: 4
; Occupancy: 8
; WaveLimiterHint : 0
; COMPUTE_PGM_RSRC2:SCRATCH_EN: 0
; COMPUTE_PGM_RSRC2:USER_SGPR: 6
; COMPUTE_PGM_RSRC2:TRAP_HANDLER: 0
; COMPUTE_PGM_RSRC2:TGID_X_EN: 1
; COMPUTE_PGM_RSRC2:TGID_Y_EN: 0
; COMPUTE_PGM_RSRC2:TGID_Z_EN: 0
; COMPUTE_PGM_RSRC2:TIDIG_COMP_CNT: 0
; COMPUTE_PGM_RSRC3_GFX90A:ACCUM_OFFSET: 0
; COMPUTE_PGM_RSRC3_GFX90A:TG_SPLIT: 0
	.section	.text._ZN7rocprim17ROCPRIM_400000_NS6detail17trampoline_kernelINS0_14default_configENS1_35radix_sort_onesweep_config_selectorIdlEEZZNS1_29radix_sort_onesweep_iterationIS3_Lb0EPdS7_N6thrust23THRUST_200600_302600_NS10device_ptrIlEESB_jNS0_19identity_decomposerENS1_16block_id_wrapperIjLb1EEEEE10hipError_tT1_PNSt15iterator_traitsISG_E10value_typeET2_T3_PNSH_ISM_E10value_typeET4_T5_PSR_SS_PNS1_23onesweep_lookback_stateEbbT6_jjT7_P12ihipStream_tbENKUlT_T0_SG_SL_E_clIS7_S7_SB_SB_EEDaSZ_S10_SG_SL_EUlSZ_E_NS1_11comp_targetILNS1_3genE8ELNS1_11target_archE1030ELNS1_3gpuE2ELNS1_3repE0EEENS1_47radix_sort_onesweep_sort_config_static_selectorELNS0_4arch9wavefront6targetE1EEEvSG_,"axG",@progbits,_ZN7rocprim17ROCPRIM_400000_NS6detail17trampoline_kernelINS0_14default_configENS1_35radix_sort_onesweep_config_selectorIdlEEZZNS1_29radix_sort_onesweep_iterationIS3_Lb0EPdS7_N6thrust23THRUST_200600_302600_NS10device_ptrIlEESB_jNS0_19identity_decomposerENS1_16block_id_wrapperIjLb1EEEEE10hipError_tT1_PNSt15iterator_traitsISG_E10value_typeET2_T3_PNSH_ISM_E10value_typeET4_T5_PSR_SS_PNS1_23onesweep_lookback_stateEbbT6_jjT7_P12ihipStream_tbENKUlT_T0_SG_SL_E_clIS7_S7_SB_SB_EEDaSZ_S10_SG_SL_EUlSZ_E_NS1_11comp_targetILNS1_3genE8ELNS1_11target_archE1030ELNS1_3gpuE2ELNS1_3repE0EEENS1_47radix_sort_onesweep_sort_config_static_selectorELNS0_4arch9wavefront6targetE1EEEvSG_,comdat
	.protected	_ZN7rocprim17ROCPRIM_400000_NS6detail17trampoline_kernelINS0_14default_configENS1_35radix_sort_onesweep_config_selectorIdlEEZZNS1_29radix_sort_onesweep_iterationIS3_Lb0EPdS7_N6thrust23THRUST_200600_302600_NS10device_ptrIlEESB_jNS0_19identity_decomposerENS1_16block_id_wrapperIjLb1EEEEE10hipError_tT1_PNSt15iterator_traitsISG_E10value_typeET2_T3_PNSH_ISM_E10value_typeET4_T5_PSR_SS_PNS1_23onesweep_lookback_stateEbbT6_jjT7_P12ihipStream_tbENKUlT_T0_SG_SL_E_clIS7_S7_SB_SB_EEDaSZ_S10_SG_SL_EUlSZ_E_NS1_11comp_targetILNS1_3genE8ELNS1_11target_archE1030ELNS1_3gpuE2ELNS1_3repE0EEENS1_47radix_sort_onesweep_sort_config_static_selectorELNS0_4arch9wavefront6targetE1EEEvSG_ ; -- Begin function _ZN7rocprim17ROCPRIM_400000_NS6detail17trampoline_kernelINS0_14default_configENS1_35radix_sort_onesweep_config_selectorIdlEEZZNS1_29radix_sort_onesweep_iterationIS3_Lb0EPdS7_N6thrust23THRUST_200600_302600_NS10device_ptrIlEESB_jNS0_19identity_decomposerENS1_16block_id_wrapperIjLb1EEEEE10hipError_tT1_PNSt15iterator_traitsISG_E10value_typeET2_T3_PNSH_ISM_E10value_typeET4_T5_PSR_SS_PNS1_23onesweep_lookback_stateEbbT6_jjT7_P12ihipStream_tbENKUlT_T0_SG_SL_E_clIS7_S7_SB_SB_EEDaSZ_S10_SG_SL_EUlSZ_E_NS1_11comp_targetILNS1_3genE8ELNS1_11target_archE1030ELNS1_3gpuE2ELNS1_3repE0EEENS1_47radix_sort_onesweep_sort_config_static_selectorELNS0_4arch9wavefront6targetE1EEEvSG_
	.globl	_ZN7rocprim17ROCPRIM_400000_NS6detail17trampoline_kernelINS0_14default_configENS1_35radix_sort_onesweep_config_selectorIdlEEZZNS1_29radix_sort_onesweep_iterationIS3_Lb0EPdS7_N6thrust23THRUST_200600_302600_NS10device_ptrIlEESB_jNS0_19identity_decomposerENS1_16block_id_wrapperIjLb1EEEEE10hipError_tT1_PNSt15iterator_traitsISG_E10value_typeET2_T3_PNSH_ISM_E10value_typeET4_T5_PSR_SS_PNS1_23onesweep_lookback_stateEbbT6_jjT7_P12ihipStream_tbENKUlT_T0_SG_SL_E_clIS7_S7_SB_SB_EEDaSZ_S10_SG_SL_EUlSZ_E_NS1_11comp_targetILNS1_3genE8ELNS1_11target_archE1030ELNS1_3gpuE2ELNS1_3repE0EEENS1_47radix_sort_onesweep_sort_config_static_selectorELNS0_4arch9wavefront6targetE1EEEvSG_
	.p2align	8
	.type	_ZN7rocprim17ROCPRIM_400000_NS6detail17trampoline_kernelINS0_14default_configENS1_35radix_sort_onesweep_config_selectorIdlEEZZNS1_29radix_sort_onesweep_iterationIS3_Lb0EPdS7_N6thrust23THRUST_200600_302600_NS10device_ptrIlEESB_jNS0_19identity_decomposerENS1_16block_id_wrapperIjLb1EEEEE10hipError_tT1_PNSt15iterator_traitsISG_E10value_typeET2_T3_PNSH_ISM_E10value_typeET4_T5_PSR_SS_PNS1_23onesweep_lookback_stateEbbT6_jjT7_P12ihipStream_tbENKUlT_T0_SG_SL_E_clIS7_S7_SB_SB_EEDaSZ_S10_SG_SL_EUlSZ_E_NS1_11comp_targetILNS1_3genE8ELNS1_11target_archE1030ELNS1_3gpuE2ELNS1_3repE0EEENS1_47radix_sort_onesweep_sort_config_static_selectorELNS0_4arch9wavefront6targetE1EEEvSG_,@function
_ZN7rocprim17ROCPRIM_400000_NS6detail17trampoline_kernelINS0_14default_configENS1_35radix_sort_onesweep_config_selectorIdlEEZZNS1_29radix_sort_onesweep_iterationIS3_Lb0EPdS7_N6thrust23THRUST_200600_302600_NS10device_ptrIlEESB_jNS0_19identity_decomposerENS1_16block_id_wrapperIjLb1EEEEE10hipError_tT1_PNSt15iterator_traitsISG_E10value_typeET2_T3_PNSH_ISM_E10value_typeET4_T5_PSR_SS_PNS1_23onesweep_lookback_stateEbbT6_jjT7_P12ihipStream_tbENKUlT_T0_SG_SL_E_clIS7_S7_SB_SB_EEDaSZ_S10_SG_SL_EUlSZ_E_NS1_11comp_targetILNS1_3genE8ELNS1_11target_archE1030ELNS1_3gpuE2ELNS1_3repE0EEENS1_47radix_sort_onesweep_sort_config_static_selectorELNS0_4arch9wavefront6targetE1EEEvSG_: ; @_ZN7rocprim17ROCPRIM_400000_NS6detail17trampoline_kernelINS0_14default_configENS1_35radix_sort_onesweep_config_selectorIdlEEZZNS1_29radix_sort_onesweep_iterationIS3_Lb0EPdS7_N6thrust23THRUST_200600_302600_NS10device_ptrIlEESB_jNS0_19identity_decomposerENS1_16block_id_wrapperIjLb1EEEEE10hipError_tT1_PNSt15iterator_traitsISG_E10value_typeET2_T3_PNSH_ISM_E10value_typeET4_T5_PSR_SS_PNS1_23onesweep_lookback_stateEbbT6_jjT7_P12ihipStream_tbENKUlT_T0_SG_SL_E_clIS7_S7_SB_SB_EEDaSZ_S10_SG_SL_EUlSZ_E_NS1_11comp_targetILNS1_3genE8ELNS1_11target_archE1030ELNS1_3gpuE2ELNS1_3repE0EEENS1_47radix_sort_onesweep_sort_config_static_selectorELNS0_4arch9wavefront6targetE1EEEvSG_
; %bb.0:
	.section	.rodata,"a",@progbits
	.p2align	6, 0x0
	.amdhsa_kernel _ZN7rocprim17ROCPRIM_400000_NS6detail17trampoline_kernelINS0_14default_configENS1_35radix_sort_onesweep_config_selectorIdlEEZZNS1_29radix_sort_onesweep_iterationIS3_Lb0EPdS7_N6thrust23THRUST_200600_302600_NS10device_ptrIlEESB_jNS0_19identity_decomposerENS1_16block_id_wrapperIjLb1EEEEE10hipError_tT1_PNSt15iterator_traitsISG_E10value_typeET2_T3_PNSH_ISM_E10value_typeET4_T5_PSR_SS_PNS1_23onesweep_lookback_stateEbbT6_jjT7_P12ihipStream_tbENKUlT_T0_SG_SL_E_clIS7_S7_SB_SB_EEDaSZ_S10_SG_SL_EUlSZ_E_NS1_11comp_targetILNS1_3genE8ELNS1_11target_archE1030ELNS1_3gpuE2ELNS1_3repE0EEENS1_47radix_sort_onesweep_sort_config_static_selectorELNS0_4arch9wavefront6targetE1EEEvSG_
		.amdhsa_group_segment_fixed_size 0
		.amdhsa_private_segment_fixed_size 0
		.amdhsa_kernarg_size 88
		.amdhsa_user_sgpr_count 6
		.amdhsa_user_sgpr_private_segment_buffer 1
		.amdhsa_user_sgpr_dispatch_ptr 0
		.amdhsa_user_sgpr_queue_ptr 0
		.amdhsa_user_sgpr_kernarg_segment_ptr 1
		.amdhsa_user_sgpr_dispatch_id 0
		.amdhsa_user_sgpr_flat_scratch_init 0
		.amdhsa_user_sgpr_kernarg_preload_length 0
		.amdhsa_user_sgpr_kernarg_preload_offset 0
		.amdhsa_user_sgpr_private_segment_size 0
		.amdhsa_uses_dynamic_stack 0
		.amdhsa_system_sgpr_private_segment_wavefront_offset 0
		.amdhsa_system_sgpr_workgroup_id_x 1
		.amdhsa_system_sgpr_workgroup_id_y 0
		.amdhsa_system_sgpr_workgroup_id_z 0
		.amdhsa_system_sgpr_workgroup_info 0
		.amdhsa_system_vgpr_workitem_id 0
		.amdhsa_next_free_vgpr 1
		.amdhsa_next_free_sgpr 0
		.amdhsa_accum_offset 4
		.amdhsa_reserve_vcc 0
		.amdhsa_reserve_flat_scratch 0
		.amdhsa_float_round_mode_32 0
		.amdhsa_float_round_mode_16_64 0
		.amdhsa_float_denorm_mode_32 3
		.amdhsa_float_denorm_mode_16_64 3
		.amdhsa_dx10_clamp 1
		.amdhsa_ieee_mode 1
		.amdhsa_fp16_overflow 0
		.amdhsa_tg_split 0
		.amdhsa_exception_fp_ieee_invalid_op 0
		.amdhsa_exception_fp_denorm_src 0
		.amdhsa_exception_fp_ieee_div_zero 0
		.amdhsa_exception_fp_ieee_overflow 0
		.amdhsa_exception_fp_ieee_underflow 0
		.amdhsa_exception_fp_ieee_inexact 0
		.amdhsa_exception_int_div_zero 0
	.end_amdhsa_kernel
	.section	.text._ZN7rocprim17ROCPRIM_400000_NS6detail17trampoline_kernelINS0_14default_configENS1_35radix_sort_onesweep_config_selectorIdlEEZZNS1_29radix_sort_onesweep_iterationIS3_Lb0EPdS7_N6thrust23THRUST_200600_302600_NS10device_ptrIlEESB_jNS0_19identity_decomposerENS1_16block_id_wrapperIjLb1EEEEE10hipError_tT1_PNSt15iterator_traitsISG_E10value_typeET2_T3_PNSH_ISM_E10value_typeET4_T5_PSR_SS_PNS1_23onesweep_lookback_stateEbbT6_jjT7_P12ihipStream_tbENKUlT_T0_SG_SL_E_clIS7_S7_SB_SB_EEDaSZ_S10_SG_SL_EUlSZ_E_NS1_11comp_targetILNS1_3genE8ELNS1_11target_archE1030ELNS1_3gpuE2ELNS1_3repE0EEENS1_47radix_sort_onesweep_sort_config_static_selectorELNS0_4arch9wavefront6targetE1EEEvSG_,"axG",@progbits,_ZN7rocprim17ROCPRIM_400000_NS6detail17trampoline_kernelINS0_14default_configENS1_35radix_sort_onesweep_config_selectorIdlEEZZNS1_29radix_sort_onesweep_iterationIS3_Lb0EPdS7_N6thrust23THRUST_200600_302600_NS10device_ptrIlEESB_jNS0_19identity_decomposerENS1_16block_id_wrapperIjLb1EEEEE10hipError_tT1_PNSt15iterator_traitsISG_E10value_typeET2_T3_PNSH_ISM_E10value_typeET4_T5_PSR_SS_PNS1_23onesweep_lookback_stateEbbT6_jjT7_P12ihipStream_tbENKUlT_T0_SG_SL_E_clIS7_S7_SB_SB_EEDaSZ_S10_SG_SL_EUlSZ_E_NS1_11comp_targetILNS1_3genE8ELNS1_11target_archE1030ELNS1_3gpuE2ELNS1_3repE0EEENS1_47radix_sort_onesweep_sort_config_static_selectorELNS0_4arch9wavefront6targetE1EEEvSG_,comdat
.Lfunc_end1624:
	.size	_ZN7rocprim17ROCPRIM_400000_NS6detail17trampoline_kernelINS0_14default_configENS1_35radix_sort_onesweep_config_selectorIdlEEZZNS1_29radix_sort_onesweep_iterationIS3_Lb0EPdS7_N6thrust23THRUST_200600_302600_NS10device_ptrIlEESB_jNS0_19identity_decomposerENS1_16block_id_wrapperIjLb1EEEEE10hipError_tT1_PNSt15iterator_traitsISG_E10value_typeET2_T3_PNSH_ISM_E10value_typeET4_T5_PSR_SS_PNS1_23onesweep_lookback_stateEbbT6_jjT7_P12ihipStream_tbENKUlT_T0_SG_SL_E_clIS7_S7_SB_SB_EEDaSZ_S10_SG_SL_EUlSZ_E_NS1_11comp_targetILNS1_3genE8ELNS1_11target_archE1030ELNS1_3gpuE2ELNS1_3repE0EEENS1_47radix_sort_onesweep_sort_config_static_selectorELNS0_4arch9wavefront6targetE1EEEvSG_, .Lfunc_end1624-_ZN7rocprim17ROCPRIM_400000_NS6detail17trampoline_kernelINS0_14default_configENS1_35radix_sort_onesweep_config_selectorIdlEEZZNS1_29radix_sort_onesweep_iterationIS3_Lb0EPdS7_N6thrust23THRUST_200600_302600_NS10device_ptrIlEESB_jNS0_19identity_decomposerENS1_16block_id_wrapperIjLb1EEEEE10hipError_tT1_PNSt15iterator_traitsISG_E10value_typeET2_T3_PNSH_ISM_E10value_typeET4_T5_PSR_SS_PNS1_23onesweep_lookback_stateEbbT6_jjT7_P12ihipStream_tbENKUlT_T0_SG_SL_E_clIS7_S7_SB_SB_EEDaSZ_S10_SG_SL_EUlSZ_E_NS1_11comp_targetILNS1_3genE8ELNS1_11target_archE1030ELNS1_3gpuE2ELNS1_3repE0EEENS1_47radix_sort_onesweep_sort_config_static_selectorELNS0_4arch9wavefront6targetE1EEEvSG_
                                        ; -- End function
	.section	.AMDGPU.csdata,"",@progbits
; Kernel info:
; codeLenInByte = 0
; NumSgprs: 4
; NumVgprs: 0
; NumAgprs: 0
; TotalNumVgprs: 0
; ScratchSize: 0
; MemoryBound: 0
; FloatMode: 240
; IeeeMode: 1
; LDSByteSize: 0 bytes/workgroup (compile time only)
; SGPRBlocks: 0
; VGPRBlocks: 0
; NumSGPRsForWavesPerEU: 4
; NumVGPRsForWavesPerEU: 1
; AccumOffset: 4
; Occupancy: 8
; WaveLimiterHint : 0
; COMPUTE_PGM_RSRC2:SCRATCH_EN: 0
; COMPUTE_PGM_RSRC2:USER_SGPR: 6
; COMPUTE_PGM_RSRC2:TRAP_HANDLER: 0
; COMPUTE_PGM_RSRC2:TGID_X_EN: 1
; COMPUTE_PGM_RSRC2:TGID_Y_EN: 0
; COMPUTE_PGM_RSRC2:TGID_Z_EN: 0
; COMPUTE_PGM_RSRC2:TIDIG_COMP_CNT: 0
; COMPUTE_PGM_RSRC3_GFX90A:ACCUM_OFFSET: 0
; COMPUTE_PGM_RSRC3_GFX90A:TG_SPLIT: 0
	.section	.text._ZN7rocprim17ROCPRIM_400000_NS6detail17trampoline_kernelINS0_14default_configENS1_35radix_sort_onesweep_config_selectorIdlEEZZNS1_29radix_sort_onesweep_iterationIS3_Lb0EPdS7_N6thrust23THRUST_200600_302600_NS10device_ptrIlEESB_jNS0_19identity_decomposerENS1_16block_id_wrapperIjLb1EEEEE10hipError_tT1_PNSt15iterator_traitsISG_E10value_typeET2_T3_PNSH_ISM_E10value_typeET4_T5_PSR_SS_PNS1_23onesweep_lookback_stateEbbT6_jjT7_P12ihipStream_tbENKUlT_T0_SG_SL_E_clIS7_S7_SB_PlEEDaSZ_S10_SG_SL_EUlSZ_E_NS1_11comp_targetILNS1_3genE0ELNS1_11target_archE4294967295ELNS1_3gpuE0ELNS1_3repE0EEENS1_47radix_sort_onesweep_sort_config_static_selectorELNS0_4arch9wavefront6targetE1EEEvSG_,"axG",@progbits,_ZN7rocprim17ROCPRIM_400000_NS6detail17trampoline_kernelINS0_14default_configENS1_35radix_sort_onesweep_config_selectorIdlEEZZNS1_29radix_sort_onesweep_iterationIS3_Lb0EPdS7_N6thrust23THRUST_200600_302600_NS10device_ptrIlEESB_jNS0_19identity_decomposerENS1_16block_id_wrapperIjLb1EEEEE10hipError_tT1_PNSt15iterator_traitsISG_E10value_typeET2_T3_PNSH_ISM_E10value_typeET4_T5_PSR_SS_PNS1_23onesweep_lookback_stateEbbT6_jjT7_P12ihipStream_tbENKUlT_T0_SG_SL_E_clIS7_S7_SB_PlEEDaSZ_S10_SG_SL_EUlSZ_E_NS1_11comp_targetILNS1_3genE0ELNS1_11target_archE4294967295ELNS1_3gpuE0ELNS1_3repE0EEENS1_47radix_sort_onesweep_sort_config_static_selectorELNS0_4arch9wavefront6targetE1EEEvSG_,comdat
	.protected	_ZN7rocprim17ROCPRIM_400000_NS6detail17trampoline_kernelINS0_14default_configENS1_35radix_sort_onesweep_config_selectorIdlEEZZNS1_29radix_sort_onesweep_iterationIS3_Lb0EPdS7_N6thrust23THRUST_200600_302600_NS10device_ptrIlEESB_jNS0_19identity_decomposerENS1_16block_id_wrapperIjLb1EEEEE10hipError_tT1_PNSt15iterator_traitsISG_E10value_typeET2_T3_PNSH_ISM_E10value_typeET4_T5_PSR_SS_PNS1_23onesweep_lookback_stateEbbT6_jjT7_P12ihipStream_tbENKUlT_T0_SG_SL_E_clIS7_S7_SB_PlEEDaSZ_S10_SG_SL_EUlSZ_E_NS1_11comp_targetILNS1_3genE0ELNS1_11target_archE4294967295ELNS1_3gpuE0ELNS1_3repE0EEENS1_47radix_sort_onesweep_sort_config_static_selectorELNS0_4arch9wavefront6targetE1EEEvSG_ ; -- Begin function _ZN7rocprim17ROCPRIM_400000_NS6detail17trampoline_kernelINS0_14default_configENS1_35radix_sort_onesweep_config_selectorIdlEEZZNS1_29radix_sort_onesweep_iterationIS3_Lb0EPdS7_N6thrust23THRUST_200600_302600_NS10device_ptrIlEESB_jNS0_19identity_decomposerENS1_16block_id_wrapperIjLb1EEEEE10hipError_tT1_PNSt15iterator_traitsISG_E10value_typeET2_T3_PNSH_ISM_E10value_typeET4_T5_PSR_SS_PNS1_23onesweep_lookback_stateEbbT6_jjT7_P12ihipStream_tbENKUlT_T0_SG_SL_E_clIS7_S7_SB_PlEEDaSZ_S10_SG_SL_EUlSZ_E_NS1_11comp_targetILNS1_3genE0ELNS1_11target_archE4294967295ELNS1_3gpuE0ELNS1_3repE0EEENS1_47radix_sort_onesweep_sort_config_static_selectorELNS0_4arch9wavefront6targetE1EEEvSG_
	.globl	_ZN7rocprim17ROCPRIM_400000_NS6detail17trampoline_kernelINS0_14default_configENS1_35radix_sort_onesweep_config_selectorIdlEEZZNS1_29radix_sort_onesweep_iterationIS3_Lb0EPdS7_N6thrust23THRUST_200600_302600_NS10device_ptrIlEESB_jNS0_19identity_decomposerENS1_16block_id_wrapperIjLb1EEEEE10hipError_tT1_PNSt15iterator_traitsISG_E10value_typeET2_T3_PNSH_ISM_E10value_typeET4_T5_PSR_SS_PNS1_23onesweep_lookback_stateEbbT6_jjT7_P12ihipStream_tbENKUlT_T0_SG_SL_E_clIS7_S7_SB_PlEEDaSZ_S10_SG_SL_EUlSZ_E_NS1_11comp_targetILNS1_3genE0ELNS1_11target_archE4294967295ELNS1_3gpuE0ELNS1_3repE0EEENS1_47radix_sort_onesweep_sort_config_static_selectorELNS0_4arch9wavefront6targetE1EEEvSG_
	.p2align	8
	.type	_ZN7rocprim17ROCPRIM_400000_NS6detail17trampoline_kernelINS0_14default_configENS1_35radix_sort_onesweep_config_selectorIdlEEZZNS1_29radix_sort_onesweep_iterationIS3_Lb0EPdS7_N6thrust23THRUST_200600_302600_NS10device_ptrIlEESB_jNS0_19identity_decomposerENS1_16block_id_wrapperIjLb1EEEEE10hipError_tT1_PNSt15iterator_traitsISG_E10value_typeET2_T3_PNSH_ISM_E10value_typeET4_T5_PSR_SS_PNS1_23onesweep_lookback_stateEbbT6_jjT7_P12ihipStream_tbENKUlT_T0_SG_SL_E_clIS7_S7_SB_PlEEDaSZ_S10_SG_SL_EUlSZ_E_NS1_11comp_targetILNS1_3genE0ELNS1_11target_archE4294967295ELNS1_3gpuE0ELNS1_3repE0EEENS1_47radix_sort_onesweep_sort_config_static_selectorELNS0_4arch9wavefront6targetE1EEEvSG_,@function
_ZN7rocprim17ROCPRIM_400000_NS6detail17trampoline_kernelINS0_14default_configENS1_35radix_sort_onesweep_config_selectorIdlEEZZNS1_29radix_sort_onesweep_iterationIS3_Lb0EPdS7_N6thrust23THRUST_200600_302600_NS10device_ptrIlEESB_jNS0_19identity_decomposerENS1_16block_id_wrapperIjLb1EEEEE10hipError_tT1_PNSt15iterator_traitsISG_E10value_typeET2_T3_PNSH_ISM_E10value_typeET4_T5_PSR_SS_PNS1_23onesweep_lookback_stateEbbT6_jjT7_P12ihipStream_tbENKUlT_T0_SG_SL_E_clIS7_S7_SB_PlEEDaSZ_S10_SG_SL_EUlSZ_E_NS1_11comp_targetILNS1_3genE0ELNS1_11target_archE4294967295ELNS1_3gpuE0ELNS1_3repE0EEENS1_47radix_sort_onesweep_sort_config_static_selectorELNS0_4arch9wavefront6targetE1EEEvSG_: ; @_ZN7rocprim17ROCPRIM_400000_NS6detail17trampoline_kernelINS0_14default_configENS1_35radix_sort_onesweep_config_selectorIdlEEZZNS1_29radix_sort_onesweep_iterationIS3_Lb0EPdS7_N6thrust23THRUST_200600_302600_NS10device_ptrIlEESB_jNS0_19identity_decomposerENS1_16block_id_wrapperIjLb1EEEEE10hipError_tT1_PNSt15iterator_traitsISG_E10value_typeET2_T3_PNSH_ISM_E10value_typeET4_T5_PSR_SS_PNS1_23onesweep_lookback_stateEbbT6_jjT7_P12ihipStream_tbENKUlT_T0_SG_SL_E_clIS7_S7_SB_PlEEDaSZ_S10_SG_SL_EUlSZ_E_NS1_11comp_targetILNS1_3genE0ELNS1_11target_archE4294967295ELNS1_3gpuE0ELNS1_3repE0EEENS1_47radix_sort_onesweep_sort_config_static_selectorELNS0_4arch9wavefront6targetE1EEEvSG_
; %bb.0:
	.section	.rodata,"a",@progbits
	.p2align	6, 0x0
	.amdhsa_kernel _ZN7rocprim17ROCPRIM_400000_NS6detail17trampoline_kernelINS0_14default_configENS1_35radix_sort_onesweep_config_selectorIdlEEZZNS1_29radix_sort_onesweep_iterationIS3_Lb0EPdS7_N6thrust23THRUST_200600_302600_NS10device_ptrIlEESB_jNS0_19identity_decomposerENS1_16block_id_wrapperIjLb1EEEEE10hipError_tT1_PNSt15iterator_traitsISG_E10value_typeET2_T3_PNSH_ISM_E10value_typeET4_T5_PSR_SS_PNS1_23onesweep_lookback_stateEbbT6_jjT7_P12ihipStream_tbENKUlT_T0_SG_SL_E_clIS7_S7_SB_PlEEDaSZ_S10_SG_SL_EUlSZ_E_NS1_11comp_targetILNS1_3genE0ELNS1_11target_archE4294967295ELNS1_3gpuE0ELNS1_3repE0EEENS1_47radix_sort_onesweep_sort_config_static_selectorELNS0_4arch9wavefront6targetE1EEEvSG_
		.amdhsa_group_segment_fixed_size 0
		.amdhsa_private_segment_fixed_size 0
		.amdhsa_kernarg_size 88
		.amdhsa_user_sgpr_count 6
		.amdhsa_user_sgpr_private_segment_buffer 1
		.amdhsa_user_sgpr_dispatch_ptr 0
		.amdhsa_user_sgpr_queue_ptr 0
		.amdhsa_user_sgpr_kernarg_segment_ptr 1
		.amdhsa_user_sgpr_dispatch_id 0
		.amdhsa_user_sgpr_flat_scratch_init 0
		.amdhsa_user_sgpr_kernarg_preload_length 0
		.amdhsa_user_sgpr_kernarg_preload_offset 0
		.amdhsa_user_sgpr_private_segment_size 0
		.amdhsa_uses_dynamic_stack 0
		.amdhsa_system_sgpr_private_segment_wavefront_offset 0
		.amdhsa_system_sgpr_workgroup_id_x 1
		.amdhsa_system_sgpr_workgroup_id_y 0
		.amdhsa_system_sgpr_workgroup_id_z 0
		.amdhsa_system_sgpr_workgroup_info 0
		.amdhsa_system_vgpr_workitem_id 0
		.amdhsa_next_free_vgpr 1
		.amdhsa_next_free_sgpr 0
		.amdhsa_accum_offset 4
		.amdhsa_reserve_vcc 0
		.amdhsa_reserve_flat_scratch 0
		.amdhsa_float_round_mode_32 0
		.amdhsa_float_round_mode_16_64 0
		.amdhsa_float_denorm_mode_32 3
		.amdhsa_float_denorm_mode_16_64 3
		.amdhsa_dx10_clamp 1
		.amdhsa_ieee_mode 1
		.amdhsa_fp16_overflow 0
		.amdhsa_tg_split 0
		.amdhsa_exception_fp_ieee_invalid_op 0
		.amdhsa_exception_fp_denorm_src 0
		.amdhsa_exception_fp_ieee_div_zero 0
		.amdhsa_exception_fp_ieee_overflow 0
		.amdhsa_exception_fp_ieee_underflow 0
		.amdhsa_exception_fp_ieee_inexact 0
		.amdhsa_exception_int_div_zero 0
	.end_amdhsa_kernel
	.section	.text._ZN7rocprim17ROCPRIM_400000_NS6detail17trampoline_kernelINS0_14default_configENS1_35radix_sort_onesweep_config_selectorIdlEEZZNS1_29radix_sort_onesweep_iterationIS3_Lb0EPdS7_N6thrust23THRUST_200600_302600_NS10device_ptrIlEESB_jNS0_19identity_decomposerENS1_16block_id_wrapperIjLb1EEEEE10hipError_tT1_PNSt15iterator_traitsISG_E10value_typeET2_T3_PNSH_ISM_E10value_typeET4_T5_PSR_SS_PNS1_23onesweep_lookback_stateEbbT6_jjT7_P12ihipStream_tbENKUlT_T0_SG_SL_E_clIS7_S7_SB_PlEEDaSZ_S10_SG_SL_EUlSZ_E_NS1_11comp_targetILNS1_3genE0ELNS1_11target_archE4294967295ELNS1_3gpuE0ELNS1_3repE0EEENS1_47radix_sort_onesweep_sort_config_static_selectorELNS0_4arch9wavefront6targetE1EEEvSG_,"axG",@progbits,_ZN7rocprim17ROCPRIM_400000_NS6detail17trampoline_kernelINS0_14default_configENS1_35radix_sort_onesweep_config_selectorIdlEEZZNS1_29radix_sort_onesweep_iterationIS3_Lb0EPdS7_N6thrust23THRUST_200600_302600_NS10device_ptrIlEESB_jNS0_19identity_decomposerENS1_16block_id_wrapperIjLb1EEEEE10hipError_tT1_PNSt15iterator_traitsISG_E10value_typeET2_T3_PNSH_ISM_E10value_typeET4_T5_PSR_SS_PNS1_23onesweep_lookback_stateEbbT6_jjT7_P12ihipStream_tbENKUlT_T0_SG_SL_E_clIS7_S7_SB_PlEEDaSZ_S10_SG_SL_EUlSZ_E_NS1_11comp_targetILNS1_3genE0ELNS1_11target_archE4294967295ELNS1_3gpuE0ELNS1_3repE0EEENS1_47radix_sort_onesweep_sort_config_static_selectorELNS0_4arch9wavefront6targetE1EEEvSG_,comdat
.Lfunc_end1625:
	.size	_ZN7rocprim17ROCPRIM_400000_NS6detail17trampoline_kernelINS0_14default_configENS1_35radix_sort_onesweep_config_selectorIdlEEZZNS1_29radix_sort_onesweep_iterationIS3_Lb0EPdS7_N6thrust23THRUST_200600_302600_NS10device_ptrIlEESB_jNS0_19identity_decomposerENS1_16block_id_wrapperIjLb1EEEEE10hipError_tT1_PNSt15iterator_traitsISG_E10value_typeET2_T3_PNSH_ISM_E10value_typeET4_T5_PSR_SS_PNS1_23onesweep_lookback_stateEbbT6_jjT7_P12ihipStream_tbENKUlT_T0_SG_SL_E_clIS7_S7_SB_PlEEDaSZ_S10_SG_SL_EUlSZ_E_NS1_11comp_targetILNS1_3genE0ELNS1_11target_archE4294967295ELNS1_3gpuE0ELNS1_3repE0EEENS1_47radix_sort_onesweep_sort_config_static_selectorELNS0_4arch9wavefront6targetE1EEEvSG_, .Lfunc_end1625-_ZN7rocprim17ROCPRIM_400000_NS6detail17trampoline_kernelINS0_14default_configENS1_35radix_sort_onesweep_config_selectorIdlEEZZNS1_29radix_sort_onesweep_iterationIS3_Lb0EPdS7_N6thrust23THRUST_200600_302600_NS10device_ptrIlEESB_jNS0_19identity_decomposerENS1_16block_id_wrapperIjLb1EEEEE10hipError_tT1_PNSt15iterator_traitsISG_E10value_typeET2_T3_PNSH_ISM_E10value_typeET4_T5_PSR_SS_PNS1_23onesweep_lookback_stateEbbT6_jjT7_P12ihipStream_tbENKUlT_T0_SG_SL_E_clIS7_S7_SB_PlEEDaSZ_S10_SG_SL_EUlSZ_E_NS1_11comp_targetILNS1_3genE0ELNS1_11target_archE4294967295ELNS1_3gpuE0ELNS1_3repE0EEENS1_47radix_sort_onesweep_sort_config_static_selectorELNS0_4arch9wavefront6targetE1EEEvSG_
                                        ; -- End function
	.section	.AMDGPU.csdata,"",@progbits
; Kernel info:
; codeLenInByte = 0
; NumSgprs: 4
; NumVgprs: 0
; NumAgprs: 0
; TotalNumVgprs: 0
; ScratchSize: 0
; MemoryBound: 0
; FloatMode: 240
; IeeeMode: 1
; LDSByteSize: 0 bytes/workgroup (compile time only)
; SGPRBlocks: 0
; VGPRBlocks: 0
; NumSGPRsForWavesPerEU: 4
; NumVGPRsForWavesPerEU: 1
; AccumOffset: 4
; Occupancy: 8
; WaveLimiterHint : 0
; COMPUTE_PGM_RSRC2:SCRATCH_EN: 0
; COMPUTE_PGM_RSRC2:USER_SGPR: 6
; COMPUTE_PGM_RSRC2:TRAP_HANDLER: 0
; COMPUTE_PGM_RSRC2:TGID_X_EN: 1
; COMPUTE_PGM_RSRC2:TGID_Y_EN: 0
; COMPUTE_PGM_RSRC2:TGID_Z_EN: 0
; COMPUTE_PGM_RSRC2:TIDIG_COMP_CNT: 0
; COMPUTE_PGM_RSRC3_GFX90A:ACCUM_OFFSET: 0
; COMPUTE_PGM_RSRC3_GFX90A:TG_SPLIT: 0
	.section	.text._ZN7rocprim17ROCPRIM_400000_NS6detail17trampoline_kernelINS0_14default_configENS1_35radix_sort_onesweep_config_selectorIdlEEZZNS1_29radix_sort_onesweep_iterationIS3_Lb0EPdS7_N6thrust23THRUST_200600_302600_NS10device_ptrIlEESB_jNS0_19identity_decomposerENS1_16block_id_wrapperIjLb1EEEEE10hipError_tT1_PNSt15iterator_traitsISG_E10value_typeET2_T3_PNSH_ISM_E10value_typeET4_T5_PSR_SS_PNS1_23onesweep_lookback_stateEbbT6_jjT7_P12ihipStream_tbENKUlT_T0_SG_SL_E_clIS7_S7_SB_PlEEDaSZ_S10_SG_SL_EUlSZ_E_NS1_11comp_targetILNS1_3genE6ELNS1_11target_archE950ELNS1_3gpuE13ELNS1_3repE0EEENS1_47radix_sort_onesweep_sort_config_static_selectorELNS0_4arch9wavefront6targetE1EEEvSG_,"axG",@progbits,_ZN7rocprim17ROCPRIM_400000_NS6detail17trampoline_kernelINS0_14default_configENS1_35radix_sort_onesweep_config_selectorIdlEEZZNS1_29radix_sort_onesweep_iterationIS3_Lb0EPdS7_N6thrust23THRUST_200600_302600_NS10device_ptrIlEESB_jNS0_19identity_decomposerENS1_16block_id_wrapperIjLb1EEEEE10hipError_tT1_PNSt15iterator_traitsISG_E10value_typeET2_T3_PNSH_ISM_E10value_typeET4_T5_PSR_SS_PNS1_23onesweep_lookback_stateEbbT6_jjT7_P12ihipStream_tbENKUlT_T0_SG_SL_E_clIS7_S7_SB_PlEEDaSZ_S10_SG_SL_EUlSZ_E_NS1_11comp_targetILNS1_3genE6ELNS1_11target_archE950ELNS1_3gpuE13ELNS1_3repE0EEENS1_47radix_sort_onesweep_sort_config_static_selectorELNS0_4arch9wavefront6targetE1EEEvSG_,comdat
	.protected	_ZN7rocprim17ROCPRIM_400000_NS6detail17trampoline_kernelINS0_14default_configENS1_35radix_sort_onesweep_config_selectorIdlEEZZNS1_29radix_sort_onesweep_iterationIS3_Lb0EPdS7_N6thrust23THRUST_200600_302600_NS10device_ptrIlEESB_jNS0_19identity_decomposerENS1_16block_id_wrapperIjLb1EEEEE10hipError_tT1_PNSt15iterator_traitsISG_E10value_typeET2_T3_PNSH_ISM_E10value_typeET4_T5_PSR_SS_PNS1_23onesweep_lookback_stateEbbT6_jjT7_P12ihipStream_tbENKUlT_T0_SG_SL_E_clIS7_S7_SB_PlEEDaSZ_S10_SG_SL_EUlSZ_E_NS1_11comp_targetILNS1_3genE6ELNS1_11target_archE950ELNS1_3gpuE13ELNS1_3repE0EEENS1_47radix_sort_onesweep_sort_config_static_selectorELNS0_4arch9wavefront6targetE1EEEvSG_ ; -- Begin function _ZN7rocprim17ROCPRIM_400000_NS6detail17trampoline_kernelINS0_14default_configENS1_35radix_sort_onesweep_config_selectorIdlEEZZNS1_29radix_sort_onesweep_iterationIS3_Lb0EPdS7_N6thrust23THRUST_200600_302600_NS10device_ptrIlEESB_jNS0_19identity_decomposerENS1_16block_id_wrapperIjLb1EEEEE10hipError_tT1_PNSt15iterator_traitsISG_E10value_typeET2_T3_PNSH_ISM_E10value_typeET4_T5_PSR_SS_PNS1_23onesweep_lookback_stateEbbT6_jjT7_P12ihipStream_tbENKUlT_T0_SG_SL_E_clIS7_S7_SB_PlEEDaSZ_S10_SG_SL_EUlSZ_E_NS1_11comp_targetILNS1_3genE6ELNS1_11target_archE950ELNS1_3gpuE13ELNS1_3repE0EEENS1_47radix_sort_onesweep_sort_config_static_selectorELNS0_4arch9wavefront6targetE1EEEvSG_
	.globl	_ZN7rocprim17ROCPRIM_400000_NS6detail17trampoline_kernelINS0_14default_configENS1_35radix_sort_onesweep_config_selectorIdlEEZZNS1_29radix_sort_onesweep_iterationIS3_Lb0EPdS7_N6thrust23THRUST_200600_302600_NS10device_ptrIlEESB_jNS0_19identity_decomposerENS1_16block_id_wrapperIjLb1EEEEE10hipError_tT1_PNSt15iterator_traitsISG_E10value_typeET2_T3_PNSH_ISM_E10value_typeET4_T5_PSR_SS_PNS1_23onesweep_lookback_stateEbbT6_jjT7_P12ihipStream_tbENKUlT_T0_SG_SL_E_clIS7_S7_SB_PlEEDaSZ_S10_SG_SL_EUlSZ_E_NS1_11comp_targetILNS1_3genE6ELNS1_11target_archE950ELNS1_3gpuE13ELNS1_3repE0EEENS1_47radix_sort_onesweep_sort_config_static_selectorELNS0_4arch9wavefront6targetE1EEEvSG_
	.p2align	8
	.type	_ZN7rocprim17ROCPRIM_400000_NS6detail17trampoline_kernelINS0_14default_configENS1_35radix_sort_onesweep_config_selectorIdlEEZZNS1_29radix_sort_onesweep_iterationIS3_Lb0EPdS7_N6thrust23THRUST_200600_302600_NS10device_ptrIlEESB_jNS0_19identity_decomposerENS1_16block_id_wrapperIjLb1EEEEE10hipError_tT1_PNSt15iterator_traitsISG_E10value_typeET2_T3_PNSH_ISM_E10value_typeET4_T5_PSR_SS_PNS1_23onesweep_lookback_stateEbbT6_jjT7_P12ihipStream_tbENKUlT_T0_SG_SL_E_clIS7_S7_SB_PlEEDaSZ_S10_SG_SL_EUlSZ_E_NS1_11comp_targetILNS1_3genE6ELNS1_11target_archE950ELNS1_3gpuE13ELNS1_3repE0EEENS1_47radix_sort_onesweep_sort_config_static_selectorELNS0_4arch9wavefront6targetE1EEEvSG_,@function
_ZN7rocprim17ROCPRIM_400000_NS6detail17trampoline_kernelINS0_14default_configENS1_35radix_sort_onesweep_config_selectorIdlEEZZNS1_29radix_sort_onesweep_iterationIS3_Lb0EPdS7_N6thrust23THRUST_200600_302600_NS10device_ptrIlEESB_jNS0_19identity_decomposerENS1_16block_id_wrapperIjLb1EEEEE10hipError_tT1_PNSt15iterator_traitsISG_E10value_typeET2_T3_PNSH_ISM_E10value_typeET4_T5_PSR_SS_PNS1_23onesweep_lookback_stateEbbT6_jjT7_P12ihipStream_tbENKUlT_T0_SG_SL_E_clIS7_S7_SB_PlEEDaSZ_S10_SG_SL_EUlSZ_E_NS1_11comp_targetILNS1_3genE6ELNS1_11target_archE950ELNS1_3gpuE13ELNS1_3repE0EEENS1_47radix_sort_onesweep_sort_config_static_selectorELNS0_4arch9wavefront6targetE1EEEvSG_: ; @_ZN7rocprim17ROCPRIM_400000_NS6detail17trampoline_kernelINS0_14default_configENS1_35radix_sort_onesweep_config_selectorIdlEEZZNS1_29radix_sort_onesweep_iterationIS3_Lb0EPdS7_N6thrust23THRUST_200600_302600_NS10device_ptrIlEESB_jNS0_19identity_decomposerENS1_16block_id_wrapperIjLb1EEEEE10hipError_tT1_PNSt15iterator_traitsISG_E10value_typeET2_T3_PNSH_ISM_E10value_typeET4_T5_PSR_SS_PNS1_23onesweep_lookback_stateEbbT6_jjT7_P12ihipStream_tbENKUlT_T0_SG_SL_E_clIS7_S7_SB_PlEEDaSZ_S10_SG_SL_EUlSZ_E_NS1_11comp_targetILNS1_3genE6ELNS1_11target_archE950ELNS1_3gpuE13ELNS1_3repE0EEENS1_47radix_sort_onesweep_sort_config_static_selectorELNS0_4arch9wavefront6targetE1EEEvSG_
; %bb.0:
	.section	.rodata,"a",@progbits
	.p2align	6, 0x0
	.amdhsa_kernel _ZN7rocprim17ROCPRIM_400000_NS6detail17trampoline_kernelINS0_14default_configENS1_35radix_sort_onesweep_config_selectorIdlEEZZNS1_29radix_sort_onesweep_iterationIS3_Lb0EPdS7_N6thrust23THRUST_200600_302600_NS10device_ptrIlEESB_jNS0_19identity_decomposerENS1_16block_id_wrapperIjLb1EEEEE10hipError_tT1_PNSt15iterator_traitsISG_E10value_typeET2_T3_PNSH_ISM_E10value_typeET4_T5_PSR_SS_PNS1_23onesweep_lookback_stateEbbT6_jjT7_P12ihipStream_tbENKUlT_T0_SG_SL_E_clIS7_S7_SB_PlEEDaSZ_S10_SG_SL_EUlSZ_E_NS1_11comp_targetILNS1_3genE6ELNS1_11target_archE950ELNS1_3gpuE13ELNS1_3repE0EEENS1_47radix_sort_onesweep_sort_config_static_selectorELNS0_4arch9wavefront6targetE1EEEvSG_
		.amdhsa_group_segment_fixed_size 0
		.amdhsa_private_segment_fixed_size 0
		.amdhsa_kernarg_size 88
		.amdhsa_user_sgpr_count 6
		.amdhsa_user_sgpr_private_segment_buffer 1
		.amdhsa_user_sgpr_dispatch_ptr 0
		.amdhsa_user_sgpr_queue_ptr 0
		.amdhsa_user_sgpr_kernarg_segment_ptr 1
		.amdhsa_user_sgpr_dispatch_id 0
		.amdhsa_user_sgpr_flat_scratch_init 0
		.amdhsa_user_sgpr_kernarg_preload_length 0
		.amdhsa_user_sgpr_kernarg_preload_offset 0
		.amdhsa_user_sgpr_private_segment_size 0
		.amdhsa_uses_dynamic_stack 0
		.amdhsa_system_sgpr_private_segment_wavefront_offset 0
		.amdhsa_system_sgpr_workgroup_id_x 1
		.amdhsa_system_sgpr_workgroup_id_y 0
		.amdhsa_system_sgpr_workgroup_id_z 0
		.amdhsa_system_sgpr_workgroup_info 0
		.amdhsa_system_vgpr_workitem_id 0
		.amdhsa_next_free_vgpr 1
		.amdhsa_next_free_sgpr 0
		.amdhsa_accum_offset 4
		.amdhsa_reserve_vcc 0
		.amdhsa_reserve_flat_scratch 0
		.amdhsa_float_round_mode_32 0
		.amdhsa_float_round_mode_16_64 0
		.amdhsa_float_denorm_mode_32 3
		.amdhsa_float_denorm_mode_16_64 3
		.amdhsa_dx10_clamp 1
		.amdhsa_ieee_mode 1
		.amdhsa_fp16_overflow 0
		.amdhsa_tg_split 0
		.amdhsa_exception_fp_ieee_invalid_op 0
		.amdhsa_exception_fp_denorm_src 0
		.amdhsa_exception_fp_ieee_div_zero 0
		.amdhsa_exception_fp_ieee_overflow 0
		.amdhsa_exception_fp_ieee_underflow 0
		.amdhsa_exception_fp_ieee_inexact 0
		.amdhsa_exception_int_div_zero 0
	.end_amdhsa_kernel
	.section	.text._ZN7rocprim17ROCPRIM_400000_NS6detail17trampoline_kernelINS0_14default_configENS1_35radix_sort_onesweep_config_selectorIdlEEZZNS1_29radix_sort_onesweep_iterationIS3_Lb0EPdS7_N6thrust23THRUST_200600_302600_NS10device_ptrIlEESB_jNS0_19identity_decomposerENS1_16block_id_wrapperIjLb1EEEEE10hipError_tT1_PNSt15iterator_traitsISG_E10value_typeET2_T3_PNSH_ISM_E10value_typeET4_T5_PSR_SS_PNS1_23onesweep_lookback_stateEbbT6_jjT7_P12ihipStream_tbENKUlT_T0_SG_SL_E_clIS7_S7_SB_PlEEDaSZ_S10_SG_SL_EUlSZ_E_NS1_11comp_targetILNS1_3genE6ELNS1_11target_archE950ELNS1_3gpuE13ELNS1_3repE0EEENS1_47radix_sort_onesweep_sort_config_static_selectorELNS0_4arch9wavefront6targetE1EEEvSG_,"axG",@progbits,_ZN7rocprim17ROCPRIM_400000_NS6detail17trampoline_kernelINS0_14default_configENS1_35radix_sort_onesweep_config_selectorIdlEEZZNS1_29radix_sort_onesweep_iterationIS3_Lb0EPdS7_N6thrust23THRUST_200600_302600_NS10device_ptrIlEESB_jNS0_19identity_decomposerENS1_16block_id_wrapperIjLb1EEEEE10hipError_tT1_PNSt15iterator_traitsISG_E10value_typeET2_T3_PNSH_ISM_E10value_typeET4_T5_PSR_SS_PNS1_23onesweep_lookback_stateEbbT6_jjT7_P12ihipStream_tbENKUlT_T0_SG_SL_E_clIS7_S7_SB_PlEEDaSZ_S10_SG_SL_EUlSZ_E_NS1_11comp_targetILNS1_3genE6ELNS1_11target_archE950ELNS1_3gpuE13ELNS1_3repE0EEENS1_47radix_sort_onesweep_sort_config_static_selectorELNS0_4arch9wavefront6targetE1EEEvSG_,comdat
.Lfunc_end1626:
	.size	_ZN7rocprim17ROCPRIM_400000_NS6detail17trampoline_kernelINS0_14default_configENS1_35radix_sort_onesweep_config_selectorIdlEEZZNS1_29radix_sort_onesweep_iterationIS3_Lb0EPdS7_N6thrust23THRUST_200600_302600_NS10device_ptrIlEESB_jNS0_19identity_decomposerENS1_16block_id_wrapperIjLb1EEEEE10hipError_tT1_PNSt15iterator_traitsISG_E10value_typeET2_T3_PNSH_ISM_E10value_typeET4_T5_PSR_SS_PNS1_23onesweep_lookback_stateEbbT6_jjT7_P12ihipStream_tbENKUlT_T0_SG_SL_E_clIS7_S7_SB_PlEEDaSZ_S10_SG_SL_EUlSZ_E_NS1_11comp_targetILNS1_3genE6ELNS1_11target_archE950ELNS1_3gpuE13ELNS1_3repE0EEENS1_47radix_sort_onesweep_sort_config_static_selectorELNS0_4arch9wavefront6targetE1EEEvSG_, .Lfunc_end1626-_ZN7rocprim17ROCPRIM_400000_NS6detail17trampoline_kernelINS0_14default_configENS1_35radix_sort_onesweep_config_selectorIdlEEZZNS1_29radix_sort_onesweep_iterationIS3_Lb0EPdS7_N6thrust23THRUST_200600_302600_NS10device_ptrIlEESB_jNS0_19identity_decomposerENS1_16block_id_wrapperIjLb1EEEEE10hipError_tT1_PNSt15iterator_traitsISG_E10value_typeET2_T3_PNSH_ISM_E10value_typeET4_T5_PSR_SS_PNS1_23onesweep_lookback_stateEbbT6_jjT7_P12ihipStream_tbENKUlT_T0_SG_SL_E_clIS7_S7_SB_PlEEDaSZ_S10_SG_SL_EUlSZ_E_NS1_11comp_targetILNS1_3genE6ELNS1_11target_archE950ELNS1_3gpuE13ELNS1_3repE0EEENS1_47radix_sort_onesweep_sort_config_static_selectorELNS0_4arch9wavefront6targetE1EEEvSG_
                                        ; -- End function
	.section	.AMDGPU.csdata,"",@progbits
; Kernel info:
; codeLenInByte = 0
; NumSgprs: 4
; NumVgprs: 0
; NumAgprs: 0
; TotalNumVgprs: 0
; ScratchSize: 0
; MemoryBound: 0
; FloatMode: 240
; IeeeMode: 1
; LDSByteSize: 0 bytes/workgroup (compile time only)
; SGPRBlocks: 0
; VGPRBlocks: 0
; NumSGPRsForWavesPerEU: 4
; NumVGPRsForWavesPerEU: 1
; AccumOffset: 4
; Occupancy: 8
; WaveLimiterHint : 0
; COMPUTE_PGM_RSRC2:SCRATCH_EN: 0
; COMPUTE_PGM_RSRC2:USER_SGPR: 6
; COMPUTE_PGM_RSRC2:TRAP_HANDLER: 0
; COMPUTE_PGM_RSRC2:TGID_X_EN: 1
; COMPUTE_PGM_RSRC2:TGID_Y_EN: 0
; COMPUTE_PGM_RSRC2:TGID_Z_EN: 0
; COMPUTE_PGM_RSRC2:TIDIG_COMP_CNT: 0
; COMPUTE_PGM_RSRC3_GFX90A:ACCUM_OFFSET: 0
; COMPUTE_PGM_RSRC3_GFX90A:TG_SPLIT: 0
	.section	.text._ZN7rocprim17ROCPRIM_400000_NS6detail17trampoline_kernelINS0_14default_configENS1_35radix_sort_onesweep_config_selectorIdlEEZZNS1_29radix_sort_onesweep_iterationIS3_Lb0EPdS7_N6thrust23THRUST_200600_302600_NS10device_ptrIlEESB_jNS0_19identity_decomposerENS1_16block_id_wrapperIjLb1EEEEE10hipError_tT1_PNSt15iterator_traitsISG_E10value_typeET2_T3_PNSH_ISM_E10value_typeET4_T5_PSR_SS_PNS1_23onesweep_lookback_stateEbbT6_jjT7_P12ihipStream_tbENKUlT_T0_SG_SL_E_clIS7_S7_SB_PlEEDaSZ_S10_SG_SL_EUlSZ_E_NS1_11comp_targetILNS1_3genE5ELNS1_11target_archE942ELNS1_3gpuE9ELNS1_3repE0EEENS1_47radix_sort_onesweep_sort_config_static_selectorELNS0_4arch9wavefront6targetE1EEEvSG_,"axG",@progbits,_ZN7rocprim17ROCPRIM_400000_NS6detail17trampoline_kernelINS0_14default_configENS1_35radix_sort_onesweep_config_selectorIdlEEZZNS1_29radix_sort_onesweep_iterationIS3_Lb0EPdS7_N6thrust23THRUST_200600_302600_NS10device_ptrIlEESB_jNS0_19identity_decomposerENS1_16block_id_wrapperIjLb1EEEEE10hipError_tT1_PNSt15iterator_traitsISG_E10value_typeET2_T3_PNSH_ISM_E10value_typeET4_T5_PSR_SS_PNS1_23onesweep_lookback_stateEbbT6_jjT7_P12ihipStream_tbENKUlT_T0_SG_SL_E_clIS7_S7_SB_PlEEDaSZ_S10_SG_SL_EUlSZ_E_NS1_11comp_targetILNS1_3genE5ELNS1_11target_archE942ELNS1_3gpuE9ELNS1_3repE0EEENS1_47radix_sort_onesweep_sort_config_static_selectorELNS0_4arch9wavefront6targetE1EEEvSG_,comdat
	.protected	_ZN7rocprim17ROCPRIM_400000_NS6detail17trampoline_kernelINS0_14default_configENS1_35radix_sort_onesweep_config_selectorIdlEEZZNS1_29radix_sort_onesweep_iterationIS3_Lb0EPdS7_N6thrust23THRUST_200600_302600_NS10device_ptrIlEESB_jNS0_19identity_decomposerENS1_16block_id_wrapperIjLb1EEEEE10hipError_tT1_PNSt15iterator_traitsISG_E10value_typeET2_T3_PNSH_ISM_E10value_typeET4_T5_PSR_SS_PNS1_23onesweep_lookback_stateEbbT6_jjT7_P12ihipStream_tbENKUlT_T0_SG_SL_E_clIS7_S7_SB_PlEEDaSZ_S10_SG_SL_EUlSZ_E_NS1_11comp_targetILNS1_3genE5ELNS1_11target_archE942ELNS1_3gpuE9ELNS1_3repE0EEENS1_47radix_sort_onesweep_sort_config_static_selectorELNS0_4arch9wavefront6targetE1EEEvSG_ ; -- Begin function _ZN7rocprim17ROCPRIM_400000_NS6detail17trampoline_kernelINS0_14default_configENS1_35radix_sort_onesweep_config_selectorIdlEEZZNS1_29radix_sort_onesweep_iterationIS3_Lb0EPdS7_N6thrust23THRUST_200600_302600_NS10device_ptrIlEESB_jNS0_19identity_decomposerENS1_16block_id_wrapperIjLb1EEEEE10hipError_tT1_PNSt15iterator_traitsISG_E10value_typeET2_T3_PNSH_ISM_E10value_typeET4_T5_PSR_SS_PNS1_23onesweep_lookback_stateEbbT6_jjT7_P12ihipStream_tbENKUlT_T0_SG_SL_E_clIS7_S7_SB_PlEEDaSZ_S10_SG_SL_EUlSZ_E_NS1_11comp_targetILNS1_3genE5ELNS1_11target_archE942ELNS1_3gpuE9ELNS1_3repE0EEENS1_47radix_sort_onesweep_sort_config_static_selectorELNS0_4arch9wavefront6targetE1EEEvSG_
	.globl	_ZN7rocprim17ROCPRIM_400000_NS6detail17trampoline_kernelINS0_14default_configENS1_35radix_sort_onesweep_config_selectorIdlEEZZNS1_29radix_sort_onesweep_iterationIS3_Lb0EPdS7_N6thrust23THRUST_200600_302600_NS10device_ptrIlEESB_jNS0_19identity_decomposerENS1_16block_id_wrapperIjLb1EEEEE10hipError_tT1_PNSt15iterator_traitsISG_E10value_typeET2_T3_PNSH_ISM_E10value_typeET4_T5_PSR_SS_PNS1_23onesweep_lookback_stateEbbT6_jjT7_P12ihipStream_tbENKUlT_T0_SG_SL_E_clIS7_S7_SB_PlEEDaSZ_S10_SG_SL_EUlSZ_E_NS1_11comp_targetILNS1_3genE5ELNS1_11target_archE942ELNS1_3gpuE9ELNS1_3repE0EEENS1_47radix_sort_onesweep_sort_config_static_selectorELNS0_4arch9wavefront6targetE1EEEvSG_
	.p2align	8
	.type	_ZN7rocprim17ROCPRIM_400000_NS6detail17trampoline_kernelINS0_14default_configENS1_35radix_sort_onesweep_config_selectorIdlEEZZNS1_29radix_sort_onesweep_iterationIS3_Lb0EPdS7_N6thrust23THRUST_200600_302600_NS10device_ptrIlEESB_jNS0_19identity_decomposerENS1_16block_id_wrapperIjLb1EEEEE10hipError_tT1_PNSt15iterator_traitsISG_E10value_typeET2_T3_PNSH_ISM_E10value_typeET4_T5_PSR_SS_PNS1_23onesweep_lookback_stateEbbT6_jjT7_P12ihipStream_tbENKUlT_T0_SG_SL_E_clIS7_S7_SB_PlEEDaSZ_S10_SG_SL_EUlSZ_E_NS1_11comp_targetILNS1_3genE5ELNS1_11target_archE942ELNS1_3gpuE9ELNS1_3repE0EEENS1_47radix_sort_onesweep_sort_config_static_selectorELNS0_4arch9wavefront6targetE1EEEvSG_,@function
_ZN7rocprim17ROCPRIM_400000_NS6detail17trampoline_kernelINS0_14default_configENS1_35radix_sort_onesweep_config_selectorIdlEEZZNS1_29radix_sort_onesweep_iterationIS3_Lb0EPdS7_N6thrust23THRUST_200600_302600_NS10device_ptrIlEESB_jNS0_19identity_decomposerENS1_16block_id_wrapperIjLb1EEEEE10hipError_tT1_PNSt15iterator_traitsISG_E10value_typeET2_T3_PNSH_ISM_E10value_typeET4_T5_PSR_SS_PNS1_23onesweep_lookback_stateEbbT6_jjT7_P12ihipStream_tbENKUlT_T0_SG_SL_E_clIS7_S7_SB_PlEEDaSZ_S10_SG_SL_EUlSZ_E_NS1_11comp_targetILNS1_3genE5ELNS1_11target_archE942ELNS1_3gpuE9ELNS1_3repE0EEENS1_47radix_sort_onesweep_sort_config_static_selectorELNS0_4arch9wavefront6targetE1EEEvSG_: ; @_ZN7rocprim17ROCPRIM_400000_NS6detail17trampoline_kernelINS0_14default_configENS1_35radix_sort_onesweep_config_selectorIdlEEZZNS1_29radix_sort_onesweep_iterationIS3_Lb0EPdS7_N6thrust23THRUST_200600_302600_NS10device_ptrIlEESB_jNS0_19identity_decomposerENS1_16block_id_wrapperIjLb1EEEEE10hipError_tT1_PNSt15iterator_traitsISG_E10value_typeET2_T3_PNSH_ISM_E10value_typeET4_T5_PSR_SS_PNS1_23onesweep_lookback_stateEbbT6_jjT7_P12ihipStream_tbENKUlT_T0_SG_SL_E_clIS7_S7_SB_PlEEDaSZ_S10_SG_SL_EUlSZ_E_NS1_11comp_targetILNS1_3genE5ELNS1_11target_archE942ELNS1_3gpuE9ELNS1_3repE0EEENS1_47radix_sort_onesweep_sort_config_static_selectorELNS0_4arch9wavefront6targetE1EEEvSG_
; %bb.0:
	.section	.rodata,"a",@progbits
	.p2align	6, 0x0
	.amdhsa_kernel _ZN7rocprim17ROCPRIM_400000_NS6detail17trampoline_kernelINS0_14default_configENS1_35radix_sort_onesweep_config_selectorIdlEEZZNS1_29radix_sort_onesweep_iterationIS3_Lb0EPdS7_N6thrust23THRUST_200600_302600_NS10device_ptrIlEESB_jNS0_19identity_decomposerENS1_16block_id_wrapperIjLb1EEEEE10hipError_tT1_PNSt15iterator_traitsISG_E10value_typeET2_T3_PNSH_ISM_E10value_typeET4_T5_PSR_SS_PNS1_23onesweep_lookback_stateEbbT6_jjT7_P12ihipStream_tbENKUlT_T0_SG_SL_E_clIS7_S7_SB_PlEEDaSZ_S10_SG_SL_EUlSZ_E_NS1_11comp_targetILNS1_3genE5ELNS1_11target_archE942ELNS1_3gpuE9ELNS1_3repE0EEENS1_47radix_sort_onesweep_sort_config_static_selectorELNS0_4arch9wavefront6targetE1EEEvSG_
		.amdhsa_group_segment_fixed_size 0
		.amdhsa_private_segment_fixed_size 0
		.amdhsa_kernarg_size 88
		.amdhsa_user_sgpr_count 6
		.amdhsa_user_sgpr_private_segment_buffer 1
		.amdhsa_user_sgpr_dispatch_ptr 0
		.amdhsa_user_sgpr_queue_ptr 0
		.amdhsa_user_sgpr_kernarg_segment_ptr 1
		.amdhsa_user_sgpr_dispatch_id 0
		.amdhsa_user_sgpr_flat_scratch_init 0
		.amdhsa_user_sgpr_kernarg_preload_length 0
		.amdhsa_user_sgpr_kernarg_preload_offset 0
		.amdhsa_user_sgpr_private_segment_size 0
		.amdhsa_uses_dynamic_stack 0
		.amdhsa_system_sgpr_private_segment_wavefront_offset 0
		.amdhsa_system_sgpr_workgroup_id_x 1
		.amdhsa_system_sgpr_workgroup_id_y 0
		.amdhsa_system_sgpr_workgroup_id_z 0
		.amdhsa_system_sgpr_workgroup_info 0
		.amdhsa_system_vgpr_workitem_id 0
		.amdhsa_next_free_vgpr 1
		.amdhsa_next_free_sgpr 0
		.amdhsa_accum_offset 4
		.amdhsa_reserve_vcc 0
		.amdhsa_reserve_flat_scratch 0
		.amdhsa_float_round_mode_32 0
		.amdhsa_float_round_mode_16_64 0
		.amdhsa_float_denorm_mode_32 3
		.amdhsa_float_denorm_mode_16_64 3
		.amdhsa_dx10_clamp 1
		.amdhsa_ieee_mode 1
		.amdhsa_fp16_overflow 0
		.amdhsa_tg_split 0
		.amdhsa_exception_fp_ieee_invalid_op 0
		.amdhsa_exception_fp_denorm_src 0
		.amdhsa_exception_fp_ieee_div_zero 0
		.amdhsa_exception_fp_ieee_overflow 0
		.amdhsa_exception_fp_ieee_underflow 0
		.amdhsa_exception_fp_ieee_inexact 0
		.amdhsa_exception_int_div_zero 0
	.end_amdhsa_kernel
	.section	.text._ZN7rocprim17ROCPRIM_400000_NS6detail17trampoline_kernelINS0_14default_configENS1_35radix_sort_onesweep_config_selectorIdlEEZZNS1_29radix_sort_onesweep_iterationIS3_Lb0EPdS7_N6thrust23THRUST_200600_302600_NS10device_ptrIlEESB_jNS0_19identity_decomposerENS1_16block_id_wrapperIjLb1EEEEE10hipError_tT1_PNSt15iterator_traitsISG_E10value_typeET2_T3_PNSH_ISM_E10value_typeET4_T5_PSR_SS_PNS1_23onesweep_lookback_stateEbbT6_jjT7_P12ihipStream_tbENKUlT_T0_SG_SL_E_clIS7_S7_SB_PlEEDaSZ_S10_SG_SL_EUlSZ_E_NS1_11comp_targetILNS1_3genE5ELNS1_11target_archE942ELNS1_3gpuE9ELNS1_3repE0EEENS1_47radix_sort_onesweep_sort_config_static_selectorELNS0_4arch9wavefront6targetE1EEEvSG_,"axG",@progbits,_ZN7rocprim17ROCPRIM_400000_NS6detail17trampoline_kernelINS0_14default_configENS1_35radix_sort_onesweep_config_selectorIdlEEZZNS1_29radix_sort_onesweep_iterationIS3_Lb0EPdS7_N6thrust23THRUST_200600_302600_NS10device_ptrIlEESB_jNS0_19identity_decomposerENS1_16block_id_wrapperIjLb1EEEEE10hipError_tT1_PNSt15iterator_traitsISG_E10value_typeET2_T3_PNSH_ISM_E10value_typeET4_T5_PSR_SS_PNS1_23onesweep_lookback_stateEbbT6_jjT7_P12ihipStream_tbENKUlT_T0_SG_SL_E_clIS7_S7_SB_PlEEDaSZ_S10_SG_SL_EUlSZ_E_NS1_11comp_targetILNS1_3genE5ELNS1_11target_archE942ELNS1_3gpuE9ELNS1_3repE0EEENS1_47radix_sort_onesweep_sort_config_static_selectorELNS0_4arch9wavefront6targetE1EEEvSG_,comdat
.Lfunc_end1627:
	.size	_ZN7rocprim17ROCPRIM_400000_NS6detail17trampoline_kernelINS0_14default_configENS1_35radix_sort_onesweep_config_selectorIdlEEZZNS1_29radix_sort_onesweep_iterationIS3_Lb0EPdS7_N6thrust23THRUST_200600_302600_NS10device_ptrIlEESB_jNS0_19identity_decomposerENS1_16block_id_wrapperIjLb1EEEEE10hipError_tT1_PNSt15iterator_traitsISG_E10value_typeET2_T3_PNSH_ISM_E10value_typeET4_T5_PSR_SS_PNS1_23onesweep_lookback_stateEbbT6_jjT7_P12ihipStream_tbENKUlT_T0_SG_SL_E_clIS7_S7_SB_PlEEDaSZ_S10_SG_SL_EUlSZ_E_NS1_11comp_targetILNS1_3genE5ELNS1_11target_archE942ELNS1_3gpuE9ELNS1_3repE0EEENS1_47radix_sort_onesweep_sort_config_static_selectorELNS0_4arch9wavefront6targetE1EEEvSG_, .Lfunc_end1627-_ZN7rocprim17ROCPRIM_400000_NS6detail17trampoline_kernelINS0_14default_configENS1_35radix_sort_onesweep_config_selectorIdlEEZZNS1_29radix_sort_onesweep_iterationIS3_Lb0EPdS7_N6thrust23THRUST_200600_302600_NS10device_ptrIlEESB_jNS0_19identity_decomposerENS1_16block_id_wrapperIjLb1EEEEE10hipError_tT1_PNSt15iterator_traitsISG_E10value_typeET2_T3_PNSH_ISM_E10value_typeET4_T5_PSR_SS_PNS1_23onesweep_lookback_stateEbbT6_jjT7_P12ihipStream_tbENKUlT_T0_SG_SL_E_clIS7_S7_SB_PlEEDaSZ_S10_SG_SL_EUlSZ_E_NS1_11comp_targetILNS1_3genE5ELNS1_11target_archE942ELNS1_3gpuE9ELNS1_3repE0EEENS1_47radix_sort_onesweep_sort_config_static_selectorELNS0_4arch9wavefront6targetE1EEEvSG_
                                        ; -- End function
	.section	.AMDGPU.csdata,"",@progbits
; Kernel info:
; codeLenInByte = 0
; NumSgprs: 4
; NumVgprs: 0
; NumAgprs: 0
; TotalNumVgprs: 0
; ScratchSize: 0
; MemoryBound: 0
; FloatMode: 240
; IeeeMode: 1
; LDSByteSize: 0 bytes/workgroup (compile time only)
; SGPRBlocks: 0
; VGPRBlocks: 0
; NumSGPRsForWavesPerEU: 4
; NumVGPRsForWavesPerEU: 1
; AccumOffset: 4
; Occupancy: 8
; WaveLimiterHint : 0
; COMPUTE_PGM_RSRC2:SCRATCH_EN: 0
; COMPUTE_PGM_RSRC2:USER_SGPR: 6
; COMPUTE_PGM_RSRC2:TRAP_HANDLER: 0
; COMPUTE_PGM_RSRC2:TGID_X_EN: 1
; COMPUTE_PGM_RSRC2:TGID_Y_EN: 0
; COMPUTE_PGM_RSRC2:TGID_Z_EN: 0
; COMPUTE_PGM_RSRC2:TIDIG_COMP_CNT: 0
; COMPUTE_PGM_RSRC3_GFX90A:ACCUM_OFFSET: 0
; COMPUTE_PGM_RSRC3_GFX90A:TG_SPLIT: 0
	.section	.text._ZN7rocprim17ROCPRIM_400000_NS6detail17trampoline_kernelINS0_14default_configENS1_35radix_sort_onesweep_config_selectorIdlEEZZNS1_29radix_sort_onesweep_iterationIS3_Lb0EPdS7_N6thrust23THRUST_200600_302600_NS10device_ptrIlEESB_jNS0_19identity_decomposerENS1_16block_id_wrapperIjLb1EEEEE10hipError_tT1_PNSt15iterator_traitsISG_E10value_typeET2_T3_PNSH_ISM_E10value_typeET4_T5_PSR_SS_PNS1_23onesweep_lookback_stateEbbT6_jjT7_P12ihipStream_tbENKUlT_T0_SG_SL_E_clIS7_S7_SB_PlEEDaSZ_S10_SG_SL_EUlSZ_E_NS1_11comp_targetILNS1_3genE2ELNS1_11target_archE906ELNS1_3gpuE6ELNS1_3repE0EEENS1_47radix_sort_onesweep_sort_config_static_selectorELNS0_4arch9wavefront6targetE1EEEvSG_,"axG",@progbits,_ZN7rocprim17ROCPRIM_400000_NS6detail17trampoline_kernelINS0_14default_configENS1_35radix_sort_onesweep_config_selectorIdlEEZZNS1_29radix_sort_onesweep_iterationIS3_Lb0EPdS7_N6thrust23THRUST_200600_302600_NS10device_ptrIlEESB_jNS0_19identity_decomposerENS1_16block_id_wrapperIjLb1EEEEE10hipError_tT1_PNSt15iterator_traitsISG_E10value_typeET2_T3_PNSH_ISM_E10value_typeET4_T5_PSR_SS_PNS1_23onesweep_lookback_stateEbbT6_jjT7_P12ihipStream_tbENKUlT_T0_SG_SL_E_clIS7_S7_SB_PlEEDaSZ_S10_SG_SL_EUlSZ_E_NS1_11comp_targetILNS1_3genE2ELNS1_11target_archE906ELNS1_3gpuE6ELNS1_3repE0EEENS1_47radix_sort_onesweep_sort_config_static_selectorELNS0_4arch9wavefront6targetE1EEEvSG_,comdat
	.protected	_ZN7rocprim17ROCPRIM_400000_NS6detail17trampoline_kernelINS0_14default_configENS1_35radix_sort_onesweep_config_selectorIdlEEZZNS1_29radix_sort_onesweep_iterationIS3_Lb0EPdS7_N6thrust23THRUST_200600_302600_NS10device_ptrIlEESB_jNS0_19identity_decomposerENS1_16block_id_wrapperIjLb1EEEEE10hipError_tT1_PNSt15iterator_traitsISG_E10value_typeET2_T3_PNSH_ISM_E10value_typeET4_T5_PSR_SS_PNS1_23onesweep_lookback_stateEbbT6_jjT7_P12ihipStream_tbENKUlT_T0_SG_SL_E_clIS7_S7_SB_PlEEDaSZ_S10_SG_SL_EUlSZ_E_NS1_11comp_targetILNS1_3genE2ELNS1_11target_archE906ELNS1_3gpuE6ELNS1_3repE0EEENS1_47radix_sort_onesweep_sort_config_static_selectorELNS0_4arch9wavefront6targetE1EEEvSG_ ; -- Begin function _ZN7rocprim17ROCPRIM_400000_NS6detail17trampoline_kernelINS0_14default_configENS1_35radix_sort_onesweep_config_selectorIdlEEZZNS1_29radix_sort_onesweep_iterationIS3_Lb0EPdS7_N6thrust23THRUST_200600_302600_NS10device_ptrIlEESB_jNS0_19identity_decomposerENS1_16block_id_wrapperIjLb1EEEEE10hipError_tT1_PNSt15iterator_traitsISG_E10value_typeET2_T3_PNSH_ISM_E10value_typeET4_T5_PSR_SS_PNS1_23onesweep_lookback_stateEbbT6_jjT7_P12ihipStream_tbENKUlT_T0_SG_SL_E_clIS7_S7_SB_PlEEDaSZ_S10_SG_SL_EUlSZ_E_NS1_11comp_targetILNS1_3genE2ELNS1_11target_archE906ELNS1_3gpuE6ELNS1_3repE0EEENS1_47radix_sort_onesweep_sort_config_static_selectorELNS0_4arch9wavefront6targetE1EEEvSG_
	.globl	_ZN7rocprim17ROCPRIM_400000_NS6detail17trampoline_kernelINS0_14default_configENS1_35radix_sort_onesweep_config_selectorIdlEEZZNS1_29radix_sort_onesweep_iterationIS3_Lb0EPdS7_N6thrust23THRUST_200600_302600_NS10device_ptrIlEESB_jNS0_19identity_decomposerENS1_16block_id_wrapperIjLb1EEEEE10hipError_tT1_PNSt15iterator_traitsISG_E10value_typeET2_T3_PNSH_ISM_E10value_typeET4_T5_PSR_SS_PNS1_23onesweep_lookback_stateEbbT6_jjT7_P12ihipStream_tbENKUlT_T0_SG_SL_E_clIS7_S7_SB_PlEEDaSZ_S10_SG_SL_EUlSZ_E_NS1_11comp_targetILNS1_3genE2ELNS1_11target_archE906ELNS1_3gpuE6ELNS1_3repE0EEENS1_47radix_sort_onesweep_sort_config_static_selectorELNS0_4arch9wavefront6targetE1EEEvSG_
	.p2align	8
	.type	_ZN7rocprim17ROCPRIM_400000_NS6detail17trampoline_kernelINS0_14default_configENS1_35radix_sort_onesweep_config_selectorIdlEEZZNS1_29radix_sort_onesweep_iterationIS3_Lb0EPdS7_N6thrust23THRUST_200600_302600_NS10device_ptrIlEESB_jNS0_19identity_decomposerENS1_16block_id_wrapperIjLb1EEEEE10hipError_tT1_PNSt15iterator_traitsISG_E10value_typeET2_T3_PNSH_ISM_E10value_typeET4_T5_PSR_SS_PNS1_23onesweep_lookback_stateEbbT6_jjT7_P12ihipStream_tbENKUlT_T0_SG_SL_E_clIS7_S7_SB_PlEEDaSZ_S10_SG_SL_EUlSZ_E_NS1_11comp_targetILNS1_3genE2ELNS1_11target_archE906ELNS1_3gpuE6ELNS1_3repE0EEENS1_47radix_sort_onesweep_sort_config_static_selectorELNS0_4arch9wavefront6targetE1EEEvSG_,@function
_ZN7rocprim17ROCPRIM_400000_NS6detail17trampoline_kernelINS0_14default_configENS1_35radix_sort_onesweep_config_selectorIdlEEZZNS1_29radix_sort_onesweep_iterationIS3_Lb0EPdS7_N6thrust23THRUST_200600_302600_NS10device_ptrIlEESB_jNS0_19identity_decomposerENS1_16block_id_wrapperIjLb1EEEEE10hipError_tT1_PNSt15iterator_traitsISG_E10value_typeET2_T3_PNSH_ISM_E10value_typeET4_T5_PSR_SS_PNS1_23onesweep_lookback_stateEbbT6_jjT7_P12ihipStream_tbENKUlT_T0_SG_SL_E_clIS7_S7_SB_PlEEDaSZ_S10_SG_SL_EUlSZ_E_NS1_11comp_targetILNS1_3genE2ELNS1_11target_archE906ELNS1_3gpuE6ELNS1_3repE0EEENS1_47radix_sort_onesweep_sort_config_static_selectorELNS0_4arch9wavefront6targetE1EEEvSG_: ; @_ZN7rocprim17ROCPRIM_400000_NS6detail17trampoline_kernelINS0_14default_configENS1_35radix_sort_onesweep_config_selectorIdlEEZZNS1_29radix_sort_onesweep_iterationIS3_Lb0EPdS7_N6thrust23THRUST_200600_302600_NS10device_ptrIlEESB_jNS0_19identity_decomposerENS1_16block_id_wrapperIjLb1EEEEE10hipError_tT1_PNSt15iterator_traitsISG_E10value_typeET2_T3_PNSH_ISM_E10value_typeET4_T5_PSR_SS_PNS1_23onesweep_lookback_stateEbbT6_jjT7_P12ihipStream_tbENKUlT_T0_SG_SL_E_clIS7_S7_SB_PlEEDaSZ_S10_SG_SL_EUlSZ_E_NS1_11comp_targetILNS1_3genE2ELNS1_11target_archE906ELNS1_3gpuE6ELNS1_3repE0EEENS1_47radix_sort_onesweep_sort_config_static_selectorELNS0_4arch9wavefront6targetE1EEEvSG_
; %bb.0:
	.section	.rodata,"a",@progbits
	.p2align	6, 0x0
	.amdhsa_kernel _ZN7rocprim17ROCPRIM_400000_NS6detail17trampoline_kernelINS0_14default_configENS1_35radix_sort_onesweep_config_selectorIdlEEZZNS1_29radix_sort_onesweep_iterationIS3_Lb0EPdS7_N6thrust23THRUST_200600_302600_NS10device_ptrIlEESB_jNS0_19identity_decomposerENS1_16block_id_wrapperIjLb1EEEEE10hipError_tT1_PNSt15iterator_traitsISG_E10value_typeET2_T3_PNSH_ISM_E10value_typeET4_T5_PSR_SS_PNS1_23onesweep_lookback_stateEbbT6_jjT7_P12ihipStream_tbENKUlT_T0_SG_SL_E_clIS7_S7_SB_PlEEDaSZ_S10_SG_SL_EUlSZ_E_NS1_11comp_targetILNS1_3genE2ELNS1_11target_archE906ELNS1_3gpuE6ELNS1_3repE0EEENS1_47radix_sort_onesweep_sort_config_static_selectorELNS0_4arch9wavefront6targetE1EEEvSG_
		.amdhsa_group_segment_fixed_size 0
		.amdhsa_private_segment_fixed_size 0
		.amdhsa_kernarg_size 88
		.amdhsa_user_sgpr_count 6
		.amdhsa_user_sgpr_private_segment_buffer 1
		.amdhsa_user_sgpr_dispatch_ptr 0
		.amdhsa_user_sgpr_queue_ptr 0
		.amdhsa_user_sgpr_kernarg_segment_ptr 1
		.amdhsa_user_sgpr_dispatch_id 0
		.amdhsa_user_sgpr_flat_scratch_init 0
		.amdhsa_user_sgpr_kernarg_preload_length 0
		.amdhsa_user_sgpr_kernarg_preload_offset 0
		.amdhsa_user_sgpr_private_segment_size 0
		.amdhsa_uses_dynamic_stack 0
		.amdhsa_system_sgpr_private_segment_wavefront_offset 0
		.amdhsa_system_sgpr_workgroup_id_x 1
		.amdhsa_system_sgpr_workgroup_id_y 0
		.amdhsa_system_sgpr_workgroup_id_z 0
		.amdhsa_system_sgpr_workgroup_info 0
		.amdhsa_system_vgpr_workitem_id 0
		.amdhsa_next_free_vgpr 1
		.amdhsa_next_free_sgpr 0
		.amdhsa_accum_offset 4
		.amdhsa_reserve_vcc 0
		.amdhsa_reserve_flat_scratch 0
		.amdhsa_float_round_mode_32 0
		.amdhsa_float_round_mode_16_64 0
		.amdhsa_float_denorm_mode_32 3
		.amdhsa_float_denorm_mode_16_64 3
		.amdhsa_dx10_clamp 1
		.amdhsa_ieee_mode 1
		.amdhsa_fp16_overflow 0
		.amdhsa_tg_split 0
		.amdhsa_exception_fp_ieee_invalid_op 0
		.amdhsa_exception_fp_denorm_src 0
		.amdhsa_exception_fp_ieee_div_zero 0
		.amdhsa_exception_fp_ieee_overflow 0
		.amdhsa_exception_fp_ieee_underflow 0
		.amdhsa_exception_fp_ieee_inexact 0
		.amdhsa_exception_int_div_zero 0
	.end_amdhsa_kernel
	.section	.text._ZN7rocprim17ROCPRIM_400000_NS6detail17trampoline_kernelINS0_14default_configENS1_35radix_sort_onesweep_config_selectorIdlEEZZNS1_29radix_sort_onesweep_iterationIS3_Lb0EPdS7_N6thrust23THRUST_200600_302600_NS10device_ptrIlEESB_jNS0_19identity_decomposerENS1_16block_id_wrapperIjLb1EEEEE10hipError_tT1_PNSt15iterator_traitsISG_E10value_typeET2_T3_PNSH_ISM_E10value_typeET4_T5_PSR_SS_PNS1_23onesweep_lookback_stateEbbT6_jjT7_P12ihipStream_tbENKUlT_T0_SG_SL_E_clIS7_S7_SB_PlEEDaSZ_S10_SG_SL_EUlSZ_E_NS1_11comp_targetILNS1_3genE2ELNS1_11target_archE906ELNS1_3gpuE6ELNS1_3repE0EEENS1_47radix_sort_onesweep_sort_config_static_selectorELNS0_4arch9wavefront6targetE1EEEvSG_,"axG",@progbits,_ZN7rocprim17ROCPRIM_400000_NS6detail17trampoline_kernelINS0_14default_configENS1_35radix_sort_onesweep_config_selectorIdlEEZZNS1_29radix_sort_onesweep_iterationIS3_Lb0EPdS7_N6thrust23THRUST_200600_302600_NS10device_ptrIlEESB_jNS0_19identity_decomposerENS1_16block_id_wrapperIjLb1EEEEE10hipError_tT1_PNSt15iterator_traitsISG_E10value_typeET2_T3_PNSH_ISM_E10value_typeET4_T5_PSR_SS_PNS1_23onesweep_lookback_stateEbbT6_jjT7_P12ihipStream_tbENKUlT_T0_SG_SL_E_clIS7_S7_SB_PlEEDaSZ_S10_SG_SL_EUlSZ_E_NS1_11comp_targetILNS1_3genE2ELNS1_11target_archE906ELNS1_3gpuE6ELNS1_3repE0EEENS1_47radix_sort_onesweep_sort_config_static_selectorELNS0_4arch9wavefront6targetE1EEEvSG_,comdat
.Lfunc_end1628:
	.size	_ZN7rocprim17ROCPRIM_400000_NS6detail17trampoline_kernelINS0_14default_configENS1_35radix_sort_onesweep_config_selectorIdlEEZZNS1_29radix_sort_onesweep_iterationIS3_Lb0EPdS7_N6thrust23THRUST_200600_302600_NS10device_ptrIlEESB_jNS0_19identity_decomposerENS1_16block_id_wrapperIjLb1EEEEE10hipError_tT1_PNSt15iterator_traitsISG_E10value_typeET2_T3_PNSH_ISM_E10value_typeET4_T5_PSR_SS_PNS1_23onesweep_lookback_stateEbbT6_jjT7_P12ihipStream_tbENKUlT_T0_SG_SL_E_clIS7_S7_SB_PlEEDaSZ_S10_SG_SL_EUlSZ_E_NS1_11comp_targetILNS1_3genE2ELNS1_11target_archE906ELNS1_3gpuE6ELNS1_3repE0EEENS1_47radix_sort_onesweep_sort_config_static_selectorELNS0_4arch9wavefront6targetE1EEEvSG_, .Lfunc_end1628-_ZN7rocprim17ROCPRIM_400000_NS6detail17trampoline_kernelINS0_14default_configENS1_35radix_sort_onesweep_config_selectorIdlEEZZNS1_29radix_sort_onesweep_iterationIS3_Lb0EPdS7_N6thrust23THRUST_200600_302600_NS10device_ptrIlEESB_jNS0_19identity_decomposerENS1_16block_id_wrapperIjLb1EEEEE10hipError_tT1_PNSt15iterator_traitsISG_E10value_typeET2_T3_PNSH_ISM_E10value_typeET4_T5_PSR_SS_PNS1_23onesweep_lookback_stateEbbT6_jjT7_P12ihipStream_tbENKUlT_T0_SG_SL_E_clIS7_S7_SB_PlEEDaSZ_S10_SG_SL_EUlSZ_E_NS1_11comp_targetILNS1_3genE2ELNS1_11target_archE906ELNS1_3gpuE6ELNS1_3repE0EEENS1_47radix_sort_onesweep_sort_config_static_selectorELNS0_4arch9wavefront6targetE1EEEvSG_
                                        ; -- End function
	.section	.AMDGPU.csdata,"",@progbits
; Kernel info:
; codeLenInByte = 0
; NumSgprs: 4
; NumVgprs: 0
; NumAgprs: 0
; TotalNumVgprs: 0
; ScratchSize: 0
; MemoryBound: 0
; FloatMode: 240
; IeeeMode: 1
; LDSByteSize: 0 bytes/workgroup (compile time only)
; SGPRBlocks: 0
; VGPRBlocks: 0
; NumSGPRsForWavesPerEU: 4
; NumVGPRsForWavesPerEU: 1
; AccumOffset: 4
; Occupancy: 8
; WaveLimiterHint : 0
; COMPUTE_PGM_RSRC2:SCRATCH_EN: 0
; COMPUTE_PGM_RSRC2:USER_SGPR: 6
; COMPUTE_PGM_RSRC2:TRAP_HANDLER: 0
; COMPUTE_PGM_RSRC2:TGID_X_EN: 1
; COMPUTE_PGM_RSRC2:TGID_Y_EN: 0
; COMPUTE_PGM_RSRC2:TGID_Z_EN: 0
; COMPUTE_PGM_RSRC2:TIDIG_COMP_CNT: 0
; COMPUTE_PGM_RSRC3_GFX90A:ACCUM_OFFSET: 0
; COMPUTE_PGM_RSRC3_GFX90A:TG_SPLIT: 0
	.section	.text._ZN7rocprim17ROCPRIM_400000_NS6detail17trampoline_kernelINS0_14default_configENS1_35radix_sort_onesweep_config_selectorIdlEEZZNS1_29radix_sort_onesweep_iterationIS3_Lb0EPdS7_N6thrust23THRUST_200600_302600_NS10device_ptrIlEESB_jNS0_19identity_decomposerENS1_16block_id_wrapperIjLb1EEEEE10hipError_tT1_PNSt15iterator_traitsISG_E10value_typeET2_T3_PNSH_ISM_E10value_typeET4_T5_PSR_SS_PNS1_23onesweep_lookback_stateEbbT6_jjT7_P12ihipStream_tbENKUlT_T0_SG_SL_E_clIS7_S7_SB_PlEEDaSZ_S10_SG_SL_EUlSZ_E_NS1_11comp_targetILNS1_3genE4ELNS1_11target_archE910ELNS1_3gpuE8ELNS1_3repE0EEENS1_47radix_sort_onesweep_sort_config_static_selectorELNS0_4arch9wavefront6targetE1EEEvSG_,"axG",@progbits,_ZN7rocprim17ROCPRIM_400000_NS6detail17trampoline_kernelINS0_14default_configENS1_35radix_sort_onesweep_config_selectorIdlEEZZNS1_29radix_sort_onesweep_iterationIS3_Lb0EPdS7_N6thrust23THRUST_200600_302600_NS10device_ptrIlEESB_jNS0_19identity_decomposerENS1_16block_id_wrapperIjLb1EEEEE10hipError_tT1_PNSt15iterator_traitsISG_E10value_typeET2_T3_PNSH_ISM_E10value_typeET4_T5_PSR_SS_PNS1_23onesweep_lookback_stateEbbT6_jjT7_P12ihipStream_tbENKUlT_T0_SG_SL_E_clIS7_S7_SB_PlEEDaSZ_S10_SG_SL_EUlSZ_E_NS1_11comp_targetILNS1_3genE4ELNS1_11target_archE910ELNS1_3gpuE8ELNS1_3repE0EEENS1_47radix_sort_onesweep_sort_config_static_selectorELNS0_4arch9wavefront6targetE1EEEvSG_,comdat
	.protected	_ZN7rocprim17ROCPRIM_400000_NS6detail17trampoline_kernelINS0_14default_configENS1_35radix_sort_onesweep_config_selectorIdlEEZZNS1_29radix_sort_onesweep_iterationIS3_Lb0EPdS7_N6thrust23THRUST_200600_302600_NS10device_ptrIlEESB_jNS0_19identity_decomposerENS1_16block_id_wrapperIjLb1EEEEE10hipError_tT1_PNSt15iterator_traitsISG_E10value_typeET2_T3_PNSH_ISM_E10value_typeET4_T5_PSR_SS_PNS1_23onesweep_lookback_stateEbbT6_jjT7_P12ihipStream_tbENKUlT_T0_SG_SL_E_clIS7_S7_SB_PlEEDaSZ_S10_SG_SL_EUlSZ_E_NS1_11comp_targetILNS1_3genE4ELNS1_11target_archE910ELNS1_3gpuE8ELNS1_3repE0EEENS1_47radix_sort_onesweep_sort_config_static_selectorELNS0_4arch9wavefront6targetE1EEEvSG_ ; -- Begin function _ZN7rocprim17ROCPRIM_400000_NS6detail17trampoline_kernelINS0_14default_configENS1_35radix_sort_onesweep_config_selectorIdlEEZZNS1_29radix_sort_onesweep_iterationIS3_Lb0EPdS7_N6thrust23THRUST_200600_302600_NS10device_ptrIlEESB_jNS0_19identity_decomposerENS1_16block_id_wrapperIjLb1EEEEE10hipError_tT1_PNSt15iterator_traitsISG_E10value_typeET2_T3_PNSH_ISM_E10value_typeET4_T5_PSR_SS_PNS1_23onesweep_lookback_stateEbbT6_jjT7_P12ihipStream_tbENKUlT_T0_SG_SL_E_clIS7_S7_SB_PlEEDaSZ_S10_SG_SL_EUlSZ_E_NS1_11comp_targetILNS1_3genE4ELNS1_11target_archE910ELNS1_3gpuE8ELNS1_3repE0EEENS1_47radix_sort_onesweep_sort_config_static_selectorELNS0_4arch9wavefront6targetE1EEEvSG_
	.globl	_ZN7rocprim17ROCPRIM_400000_NS6detail17trampoline_kernelINS0_14default_configENS1_35radix_sort_onesweep_config_selectorIdlEEZZNS1_29radix_sort_onesweep_iterationIS3_Lb0EPdS7_N6thrust23THRUST_200600_302600_NS10device_ptrIlEESB_jNS0_19identity_decomposerENS1_16block_id_wrapperIjLb1EEEEE10hipError_tT1_PNSt15iterator_traitsISG_E10value_typeET2_T3_PNSH_ISM_E10value_typeET4_T5_PSR_SS_PNS1_23onesweep_lookback_stateEbbT6_jjT7_P12ihipStream_tbENKUlT_T0_SG_SL_E_clIS7_S7_SB_PlEEDaSZ_S10_SG_SL_EUlSZ_E_NS1_11comp_targetILNS1_3genE4ELNS1_11target_archE910ELNS1_3gpuE8ELNS1_3repE0EEENS1_47radix_sort_onesweep_sort_config_static_selectorELNS0_4arch9wavefront6targetE1EEEvSG_
	.p2align	8
	.type	_ZN7rocprim17ROCPRIM_400000_NS6detail17trampoline_kernelINS0_14default_configENS1_35radix_sort_onesweep_config_selectorIdlEEZZNS1_29radix_sort_onesweep_iterationIS3_Lb0EPdS7_N6thrust23THRUST_200600_302600_NS10device_ptrIlEESB_jNS0_19identity_decomposerENS1_16block_id_wrapperIjLb1EEEEE10hipError_tT1_PNSt15iterator_traitsISG_E10value_typeET2_T3_PNSH_ISM_E10value_typeET4_T5_PSR_SS_PNS1_23onesweep_lookback_stateEbbT6_jjT7_P12ihipStream_tbENKUlT_T0_SG_SL_E_clIS7_S7_SB_PlEEDaSZ_S10_SG_SL_EUlSZ_E_NS1_11comp_targetILNS1_3genE4ELNS1_11target_archE910ELNS1_3gpuE8ELNS1_3repE0EEENS1_47radix_sort_onesweep_sort_config_static_selectorELNS0_4arch9wavefront6targetE1EEEvSG_,@function
_ZN7rocprim17ROCPRIM_400000_NS6detail17trampoline_kernelINS0_14default_configENS1_35radix_sort_onesweep_config_selectorIdlEEZZNS1_29radix_sort_onesweep_iterationIS3_Lb0EPdS7_N6thrust23THRUST_200600_302600_NS10device_ptrIlEESB_jNS0_19identity_decomposerENS1_16block_id_wrapperIjLb1EEEEE10hipError_tT1_PNSt15iterator_traitsISG_E10value_typeET2_T3_PNSH_ISM_E10value_typeET4_T5_PSR_SS_PNS1_23onesweep_lookback_stateEbbT6_jjT7_P12ihipStream_tbENKUlT_T0_SG_SL_E_clIS7_S7_SB_PlEEDaSZ_S10_SG_SL_EUlSZ_E_NS1_11comp_targetILNS1_3genE4ELNS1_11target_archE910ELNS1_3gpuE8ELNS1_3repE0EEENS1_47radix_sort_onesweep_sort_config_static_selectorELNS0_4arch9wavefront6targetE1EEEvSG_: ; @_ZN7rocprim17ROCPRIM_400000_NS6detail17trampoline_kernelINS0_14default_configENS1_35radix_sort_onesweep_config_selectorIdlEEZZNS1_29radix_sort_onesweep_iterationIS3_Lb0EPdS7_N6thrust23THRUST_200600_302600_NS10device_ptrIlEESB_jNS0_19identity_decomposerENS1_16block_id_wrapperIjLb1EEEEE10hipError_tT1_PNSt15iterator_traitsISG_E10value_typeET2_T3_PNSH_ISM_E10value_typeET4_T5_PSR_SS_PNS1_23onesweep_lookback_stateEbbT6_jjT7_P12ihipStream_tbENKUlT_T0_SG_SL_E_clIS7_S7_SB_PlEEDaSZ_S10_SG_SL_EUlSZ_E_NS1_11comp_targetILNS1_3genE4ELNS1_11target_archE910ELNS1_3gpuE8ELNS1_3repE0EEENS1_47radix_sort_onesweep_sort_config_static_selectorELNS0_4arch9wavefront6targetE1EEEvSG_
; %bb.0:
	s_load_dwordx4 s[44:47], s[4:5], 0x28
	s_load_dwordx2 s[30:31], s[4:5], 0x38
	s_load_dwordx4 s[48:51], s[4:5], 0x44
	v_and_b32_e32 v10, 0x3ff, v0
	v_cmp_eq_u32_e64 s[0:1], 0, v10
	s_and_saveexec_b64 s[2:3], s[0:1]
	s_cbranch_execz .LBB1629_4
; %bb.1:
	s_mov_b64 s[10:11], exec
	v_mbcnt_lo_u32_b32 v1, s10, 0
	v_mbcnt_hi_u32_b32 v1, s11, v1
	v_cmp_eq_u32_e32 vcc, 0, v1
                                        ; implicit-def: $vgpr2
	s_and_saveexec_b64 s[8:9], vcc
	s_cbranch_execz .LBB1629_3
; %bb.2:
	s_load_dwordx2 s[12:13], s[4:5], 0x50
	s_bcnt1_i32_b64 s7, s[10:11]
	v_mov_b32_e32 v2, 0
	v_mov_b32_e32 v3, s7
	s_waitcnt lgkmcnt(0)
	global_atomic_add v2, v2, v3, s[12:13] glc
.LBB1629_3:
	s_or_b64 exec, exec, s[8:9]
	s_waitcnt vmcnt(0)
	v_readfirstlane_b32 s7, v2
	v_add_u32_e32 v1, s7, v1
	v_mov_b32_e32 v2, 0
	ds_write_b32 v2, v1 offset:20544
.LBB1629_4:
	s_or_b64 exec, exec, s[2:3]
	v_mov_b32_e32 v1, 0
	s_load_dwordx8 s[36:43], s[4:5], 0x0
	s_load_dword s2, s[4:5], 0x20
	s_waitcnt lgkmcnt(0)
	s_barrier
	ds_read_b32 v1, v1 offset:20544
	v_lshlrev_b32_e32 v11, 3, v10
	s_waitcnt lgkmcnt(0)
	s_barrier
	v_cmp_le_u32_e32 vcc, s50, v1
	v_readfirstlane_b32 s33, v1
	v_mbcnt_lo_u32_b32 v1, -1, 0
	s_cbranch_vccz .LBB1629_63
; %bb.5:
	s_lshl_b32 s3, s50, 13
	s_sub_i32 s7, s2, s3
	s_lshl_b32 s2, s33, 13
	s_mov_b32 s3, 0
	s_lshl_b64 s[34:35], s[2:3], 3
	v_mbcnt_hi_u32_b32 v28, -1, v1
	s_add_u32 s2, s36, s34
	v_and_b32_e32 v2, 63, v28
	s_addc_u32 s3, s37, s35
	v_lshlrev_b32_e32 v30, 3, v2
	v_and_b32_e32 v3, 0x1e00, v11
	v_mov_b32_e32 v4, s3
	v_add_co_u32_e32 v5, vcc, s2, v30
	v_addc_co_u32_e32 v4, vcc, 0, v4, vcc
	v_lshlrev_b32_e32 v31, 3, v3
	s_mov_b32 s8, -1
	v_add_co_u32_e32 v20, vcc, v5, v31
	s_brev_b32 s9, -2
	v_addc_co_u32_e32 v21, vcc, 0, v4, vcc
	v_or_b32_e32 v2, v2, v3
	v_cmp_gt_u32_e32 vcc, s7, v2
	v_pk_mov_b32 v[12:13], s[8:9], s[8:9] op_sel:[0,1]
	s_and_saveexec_b64 s[2:3], vcc
	s_cbranch_execz .LBB1629_7
; %bb.6:
	global_load_dwordx2 v[12:13], v[20:21], off
.LBB1629_7:
	s_or_b64 exec, exec, s[2:3]
	v_or_b32_e32 v3, 64, v2
	v_cmp_gt_u32_e64 s[2:3], s7, v3
	v_pk_mov_b32 v[14:15], s[8:9], s[8:9] op_sel:[0,1]
	s_and_saveexec_b64 s[8:9], s[2:3]
	s_cbranch_execz .LBB1629_9
; %bb.8:
	global_load_dwordx2 v[14:15], v[20:21], off offset:512
.LBB1629_9:
	s_or_b64 exec, exec, s[8:9]
	s_mov_b32 s10, -1
	v_or_b32_e32 v3, 0x80, v2
	s_brev_b32 s11, -2
	v_cmp_gt_u32_e64 s[26:27], s7, v3
	v_pk_mov_b32 v[16:17], s[10:11], s[10:11] op_sel:[0,1]
	s_and_saveexec_b64 s[8:9], s[26:27]
	s_cbranch_execz .LBB1629_11
; %bb.10:
	global_load_dwordx2 v[16:17], v[20:21], off offset:1024
.LBB1629_11:
	s_or_b64 exec, exec, s[8:9]
	v_or_b32_e32 v3, 0xc0, v2
	v_cmp_gt_u32_e64 s[8:9], s7, v3
	v_pk_mov_b32 v[18:19], s[10:11], s[10:11] op_sel:[0,1]
	s_and_saveexec_b64 s[10:11], s[8:9]
	s_cbranch_execz .LBB1629_13
; %bb.12:
	global_load_dwordx2 v[18:19], v[20:21], off offset:1536
.LBB1629_13:
	s_or_b64 exec, exec, s[10:11]
	s_mov_b32 s14, -1
	v_or_b32_e32 v3, 0x100, v2
	s_brev_b32 s15, -2
	v_cmp_gt_u32_e64 s[10:11], s7, v3
	v_pk_mov_b32 v[8:9], s[14:15], s[14:15] op_sel:[0,1]
	s_and_saveexec_b64 s[12:13], s[10:11]
	s_cbranch_execz .LBB1629_15
; %bb.14:
	global_load_dwordx2 v[8:9], v[20:21], off offset:2048
.LBB1629_15:
	;; [unrolled: 20-line block ×3, first 2 shown]
	s_or_b64 exec, exec, s[16:17]
	v_or_b32_e32 v2, 0x1c0, v2
	v_cmp_gt_u32_e64 s[16:17], s7, v2
	v_pk_mov_b32 v[2:3], s[18:19], s[18:19] op_sel:[0,1]
	s_and_saveexec_b64 s[18:19], s[16:17]
	s_cbranch_execz .LBB1629_21
; %bb.20:
	global_load_dwordx2 v[2:3], v[20:21], off offset:3584
.LBB1629_21:
	s_or_b64 exec, exec, s[18:19]
	s_load_dword s18, s[4:5], 0x64
	s_load_dword s52, s[4:5], 0x58
	s_add_u32 s19, s4, 0x58
	s_addc_u32 s20, s5, 0
	v_mov_b32_e32 v20, 0
	s_waitcnt lgkmcnt(0)
	s_lshr_b32 s21, s18, 16
	s_cmp_lt_u32 s6, s52
	s_cselect_b32 s18, 12, 18
	s_add_u32 s18, s19, s18
	s_addc_u32 s19, s20, 0
	global_load_ushort v25, v20, s[18:19]
	v_bfrev_b32_e32 v24, 1
	s_waitcnt vmcnt(1)
	v_cmp_lt_i64_e64 s[18:19], -1, v[12:13]
	s_mov_b32 s22, -1
	v_ashrrev_i32_e32 v21, 31, v13
	v_cndmask_b32_e64 v23, -1, v24, s[18:19]
	s_brev_b32 s23, -2
	v_xor_b32_e32 v12, v21, v12
	v_xor_b32_e32 v13, v23, v13
	v_mul_u32_u24_e32 v22, 5, v10
	v_cmp_ne_u64_e64 s[18:19], s[22:23], v[12:13]
	v_lshlrev_b32_e32 v33, 2, v22
	v_cndmask_b32_e64 v23, v24, v13, s[18:19]
	v_cndmask_b32_e64 v22, 0, v12, s[18:19]
	s_lshl_b32 s18, -1, s49
	v_bfe_u32 v26, v0, 10, 10
	v_bfe_u32 v27, v0, 20, 10
	v_lshrrev_b64 v[22:23], s48, v[22:23]
	s_not_b32 s53, s18
	v_mad_u32_u24 v23, v27, s21, v26
	v_and_b32_e32 v26, s53, v22
	v_and_b32_e32 v22, 1, v26
	v_add_co_u32_e64 v29, s[18:19], -1, v22
	v_lshlrev_b32_e32 v21, 30, v26
	v_addc_co_u32_e64 v32, s[18:19], 0, -1, s[18:19]
	v_cmp_ne_u32_e64 s[18:19], 0, v22
	v_cmp_gt_i64_e64 s[20:21], 0, v[20:21]
	v_not_b32_e32 v22, v21
	v_lshlrev_b32_e32 v21, 29, v26
	v_xor_b32_e32 v32, s19, v32
	v_xor_b32_e32 v29, s18, v29
	v_ashrrev_i32_e32 v22, 31, v22
	v_cmp_gt_i64_e64 s[18:19], 0, v[20:21]
	v_not_b32_e32 v34, v21
	v_lshlrev_b32_e32 v21, 28, v26
	v_and_b32_e32 v32, exec_hi, v32
	v_and_b32_e32 v29, exec_lo, v29
	v_xor_b32_e32 v35, s21, v22
	v_xor_b32_e32 v22, s20, v22
	v_ashrrev_i32_e32 v34, 31, v34
	v_cmp_gt_i64_e64 s[20:21], 0, v[20:21]
	v_not_b32_e32 v36, v21
	v_lshlrev_b32_e32 v21, 27, v26
	v_and_b32_e32 v32, v32, v35
	v_and_b32_e32 v22, v29, v22
	v_xor_b32_e32 v29, s19, v34
	v_xor_b32_e32 v34, s18, v34
	v_ashrrev_i32_e32 v35, 31, v36
	v_cmp_gt_i64_e64 s[18:19], 0, v[20:21]
	v_not_b32_e32 v36, v21
	v_lshlrev_b32_e32 v21, 26, v26
	v_and_b32_e32 v29, v32, v29
	v_and_b32_e32 v22, v22, v34
	v_xor_b32_e32 v32, s21, v35
	v_xor_b32_e32 v34, s20, v35
	v_ashrrev_i32_e32 v35, 31, v36
	v_not_b32_e32 v36, v21
	v_cmp_gt_i64_e64 s[20:21], 0, v[20:21]
	v_and_b32_e32 v29, v29, v32
	v_and_b32_e32 v22, v22, v34
	v_xor_b32_e32 v32, s19, v35
	v_xor_b32_e32 v34, s18, v35
	v_ashrrev_i32_e32 v35, 31, v36
	v_and_b32_e32 v29, v29, v32
	v_and_b32_e32 v22, v22, v34
	v_xor_b32_e32 v32, s21, v35
	v_xor_b32_e32 v34, s20, v35
	v_lshlrev_b32_e32 v21, 25, v26
	v_and_b32_e32 v29, v29, v32
	v_and_b32_e32 v32, v22, v34
	v_lshl_add_u32 v27, v26, 4, v26
	ds_write2_b32 v33, v20, v20 offset0:16 offset1:17
	ds_write2_b32 v33, v20, v20 offset0:18 offset1:19
	ds_write_b32 v33, v20 offset:80
	s_waitcnt lgkmcnt(0)
	s_barrier
	s_waitcnt lgkmcnt(0)
	; wave barrier
	s_waitcnt vmcnt(0)
	v_mad_u64_u32 v[22:23], s[18:19], v23, v25, v[10:11]
	v_cmp_gt_i64_e64 s[18:19], 0, v[20:21]
	v_not_b32_e32 v21, v21
	v_ashrrev_i32_e32 v21, 31, v21
	v_lshrrev_b32_e32 v41, 6, v22
	v_xor_b32_e32 v22, s19, v21
	v_xor_b32_e32 v21, s18, v21
	v_and_b32_e32 v25, v32, v21
	v_lshlrev_b32_e32 v21, 24, v26
	v_cmp_gt_i64_e64 s[18:19], 0, v[20:21]
	v_not_b32_e32 v21, v21
	v_ashrrev_i32_e32 v21, 31, v21
	v_and_b32_e32 v22, v29, v22
	v_xor_b32_e32 v23, s19, v21
	v_xor_b32_e32 v21, s18, v21
	v_and_b32_e32 v23, v22, v23
	v_and_b32_e32 v22, v25, v21
	v_mbcnt_lo_u32_b32 v21, v22, 0
	v_mbcnt_hi_u32_b32 v29, v23, v21
	v_cmp_eq_u32_e64 s[18:19], 0, v29
	v_cmp_ne_u64_e64 s[20:21], 0, v[22:23]
	v_add_lshl_u32 v35, v41, v27, 2
	s_and_b64 s[20:21], s[20:21], s[18:19]
	s_and_saveexec_b64 s[18:19], s[20:21]
	s_cbranch_execz .LBB1629_23
; %bb.22:
	v_bcnt_u32_b32 v21, v22, 0
	v_bcnt_u32_b32 v21, v23, v21
	ds_write_b32 v35, v21 offset:64
.LBB1629_23:
	s_or_b64 exec, exec, s[18:19]
	v_cmp_lt_i64_e64 s[18:19], -1, v[14:15]
	v_cndmask_b32_e64 v21, -1, v24, s[18:19]
	v_ashrrev_i32_e32 v22, 31, v15
	v_xor_b32_e32 v15, v21, v15
	v_xor_b32_e32 v14, v22, v14
	v_cmp_ne_u64_e64 s[18:19], s[22:23], v[14:15]
	v_cndmask_b32_e64 v23, v24, v15, s[18:19]
	v_cndmask_b32_e64 v22, 0, v14, s[18:19]
	v_lshrrev_b64 v[22:23], s48, v[22:23]
	v_and_b32_e32 v22, s53, v22
	v_lshl_add_u32 v21, v22, 4, v22
	v_add_lshl_u32 v37, v41, v21, 2
	v_and_b32_e32 v21, 1, v22
	v_add_co_u32_e64 v23, s[18:19], -1, v21
	v_addc_co_u32_e64 v24, s[18:19], 0, -1, s[18:19]
	v_cmp_ne_u32_e64 s[18:19], 0, v21
	v_xor_b32_e32 v21, s19, v24
	v_and_b32_e32 v24, exec_hi, v21
	v_lshlrev_b32_e32 v21, 30, v22
	v_xor_b32_e32 v23, s18, v23
	v_cmp_gt_i64_e64 s[18:19], 0, v[20:21]
	v_not_b32_e32 v21, v21
	v_ashrrev_i32_e32 v21, 31, v21
	v_and_b32_e32 v23, exec_lo, v23
	v_xor_b32_e32 v25, s19, v21
	v_xor_b32_e32 v21, s18, v21
	v_and_b32_e32 v23, v23, v21
	v_lshlrev_b32_e32 v21, 29, v22
	v_cmp_gt_i64_e64 s[18:19], 0, v[20:21]
	v_not_b32_e32 v21, v21
	v_ashrrev_i32_e32 v21, 31, v21
	v_and_b32_e32 v24, v24, v25
	v_xor_b32_e32 v25, s19, v21
	v_xor_b32_e32 v21, s18, v21
	v_and_b32_e32 v23, v23, v21
	v_lshlrev_b32_e32 v21, 28, v22
	v_cmp_gt_i64_e64 s[18:19], 0, v[20:21]
	v_not_b32_e32 v21, v21
	v_ashrrev_i32_e32 v21, 31, v21
	v_and_b32_e32 v24, v24, v25
	;; [unrolled: 8-line block ×5, first 2 shown]
	v_xor_b32_e32 v25, s19, v21
	v_xor_b32_e32 v21, s18, v21
	v_and_b32_e32 v23, v23, v21
	v_lshlrev_b32_e32 v21, 24, v22
	v_cmp_gt_i64_e64 s[18:19], 0, v[20:21]
	v_not_b32_e32 v20, v21
	v_ashrrev_i32_e32 v20, 31, v20
	v_xor_b32_e32 v21, s19, v20
	v_xor_b32_e32 v20, s18, v20
	; wave barrier
	ds_read_b32 v32, v37 offset:64
	v_and_b32_e32 v24, v24, v25
	v_and_b32_e32 v20, v23, v20
	;; [unrolled: 1-line block ×3, first 2 shown]
	v_mbcnt_lo_u32_b32 v22, v20, 0
	v_mbcnt_hi_u32_b32 v34, v21, v22
	v_cmp_eq_u32_e64 s[18:19], 0, v34
	v_cmp_ne_u64_e64 s[20:21], 0, v[20:21]
	s_and_b64 s[20:21], s[20:21], s[18:19]
	; wave barrier
	s_and_saveexec_b64 s[18:19], s[20:21]
	s_cbranch_execz .LBB1629_25
; %bb.24:
	v_bcnt_u32_b32 v20, v20, 0
	v_bcnt_u32_b32 v20, v21, v20
	s_waitcnt lgkmcnt(0)
	v_add_u32_e32 v20, v32, v20
	ds_write_b32 v37, v20 offset:64
.LBB1629_25:
	s_or_b64 exec, exec, s[18:19]
	v_bfrev_b32_e32 v24, 1
	v_cmp_lt_i64_e64 s[18:19], -1, v[16:17]
	v_cndmask_b32_e64 v20, -1, v24, s[18:19]
	v_ashrrev_i32_e32 v21, 31, v17
	v_xor_b32_e32 v17, v20, v17
	v_xor_b32_e32 v16, v21, v16
	v_cmp_ne_u64_e64 s[18:19], s[22:23], v[16:17]
	v_cndmask_b32_e64 v23, v24, v17, s[18:19]
	v_cndmask_b32_e64 v22, 0, v16, s[18:19]
	v_lshrrev_b64 v[22:23], s48, v[22:23]
	v_and_b32_e32 v22, s53, v22
	v_lshl_add_u32 v21, v22, 4, v22
	v_add_lshl_u32 v40, v41, v21, 2
	v_and_b32_e32 v21, 1, v22
	v_add_co_u32_e64 v23, s[18:19], -1, v21
	v_addc_co_u32_e64 v25, s[18:19], 0, -1, s[18:19]
	v_cmp_ne_u32_e64 s[18:19], 0, v21
	v_xor_b32_e32 v21, s19, v25
	v_mov_b32_e32 v20, 0
	v_and_b32_e32 v25, exec_hi, v21
	v_lshlrev_b32_e32 v21, 30, v22
	v_xor_b32_e32 v23, s18, v23
	v_cmp_gt_i64_e64 s[18:19], 0, v[20:21]
	v_not_b32_e32 v21, v21
	v_ashrrev_i32_e32 v21, 31, v21
	v_and_b32_e32 v23, exec_lo, v23
	v_xor_b32_e32 v26, s19, v21
	v_xor_b32_e32 v21, s18, v21
	v_and_b32_e32 v23, v23, v21
	v_lshlrev_b32_e32 v21, 29, v22
	v_cmp_gt_i64_e64 s[18:19], 0, v[20:21]
	v_not_b32_e32 v21, v21
	v_ashrrev_i32_e32 v21, 31, v21
	v_and_b32_e32 v25, v25, v26
	v_xor_b32_e32 v26, s19, v21
	v_xor_b32_e32 v21, s18, v21
	v_and_b32_e32 v23, v23, v21
	v_lshlrev_b32_e32 v21, 28, v22
	v_cmp_gt_i64_e64 s[18:19], 0, v[20:21]
	v_not_b32_e32 v21, v21
	v_ashrrev_i32_e32 v21, 31, v21
	v_and_b32_e32 v25, v25, v26
	;; [unrolled: 8-line block ×5, first 2 shown]
	v_xor_b32_e32 v26, s19, v21
	v_xor_b32_e32 v21, s18, v21
	v_and_b32_e32 v25, v25, v26
	v_and_b32_e32 v26, v23, v21
	v_lshlrev_b32_e32 v21, 24, v22
	v_cmp_gt_i64_e64 s[18:19], 0, v[20:21]
	v_not_b32_e32 v21, v21
	v_ashrrev_i32_e32 v21, 31, v21
	v_xor_b32_e32 v22, s19, v21
	v_xor_b32_e32 v21, s18, v21
	; wave barrier
	ds_read_b32 v36, v40 offset:64
	v_and_b32_e32 v23, v25, v22
	v_and_b32_e32 v22, v26, v21
	v_mbcnt_lo_u32_b32 v21, v22, 0
	v_mbcnt_hi_u32_b32 v38, v23, v21
	v_cmp_eq_u32_e64 s[18:19], 0, v38
	v_cmp_ne_u64_e64 s[20:21], 0, v[22:23]
	s_and_b64 s[20:21], s[20:21], s[18:19]
	; wave barrier
	s_and_saveexec_b64 s[18:19], s[20:21]
	s_cbranch_execz .LBB1629_27
; %bb.26:
	v_bcnt_u32_b32 v21, v22, 0
	v_bcnt_u32_b32 v21, v23, v21
	s_waitcnt lgkmcnt(0)
	v_add_u32_e32 v21, v36, v21
	ds_write_b32 v40, v21 offset:64
.LBB1629_27:
	s_or_b64 exec, exec, s[18:19]
	v_cmp_lt_i64_e64 s[18:19], -1, v[18:19]
	v_cndmask_b32_e64 v21, -1, v24, s[18:19]
	v_ashrrev_i32_e32 v22, 31, v19
	v_xor_b32_e32 v19, v21, v19
	v_xor_b32_e32 v18, v22, v18
	v_cmp_ne_u64_e64 s[18:19], s[22:23], v[18:19]
	v_cndmask_b32_e64 v23, v24, v19, s[18:19]
	v_cndmask_b32_e64 v22, 0, v18, s[18:19]
	v_lshrrev_b64 v[22:23], s48, v[22:23]
	v_and_b32_e32 v22, s53, v22
	v_lshl_add_u32 v21, v22, 4, v22
	v_add_lshl_u32 v44, v41, v21, 2
	v_and_b32_e32 v21, 1, v22
	v_add_co_u32_e64 v23, s[18:19], -1, v21
	v_addc_co_u32_e64 v24, s[18:19], 0, -1, s[18:19]
	v_cmp_ne_u32_e64 s[18:19], 0, v21
	v_xor_b32_e32 v21, s19, v24
	v_and_b32_e32 v24, exec_hi, v21
	v_lshlrev_b32_e32 v21, 30, v22
	v_xor_b32_e32 v23, s18, v23
	v_cmp_gt_i64_e64 s[18:19], 0, v[20:21]
	v_not_b32_e32 v21, v21
	v_ashrrev_i32_e32 v21, 31, v21
	v_and_b32_e32 v23, exec_lo, v23
	v_xor_b32_e32 v25, s19, v21
	v_xor_b32_e32 v21, s18, v21
	v_and_b32_e32 v23, v23, v21
	v_lshlrev_b32_e32 v21, 29, v22
	v_cmp_gt_i64_e64 s[18:19], 0, v[20:21]
	v_not_b32_e32 v21, v21
	v_ashrrev_i32_e32 v21, 31, v21
	v_and_b32_e32 v24, v24, v25
	v_xor_b32_e32 v25, s19, v21
	v_xor_b32_e32 v21, s18, v21
	v_and_b32_e32 v23, v23, v21
	v_lshlrev_b32_e32 v21, 28, v22
	v_cmp_gt_i64_e64 s[18:19], 0, v[20:21]
	v_not_b32_e32 v21, v21
	v_ashrrev_i32_e32 v21, 31, v21
	v_and_b32_e32 v24, v24, v25
	;; [unrolled: 8-line block ×5, first 2 shown]
	v_xor_b32_e32 v25, s19, v21
	v_xor_b32_e32 v21, s18, v21
	v_and_b32_e32 v23, v23, v21
	v_lshlrev_b32_e32 v21, 24, v22
	v_cmp_gt_i64_e64 s[18:19], 0, v[20:21]
	v_not_b32_e32 v20, v21
	v_ashrrev_i32_e32 v20, 31, v20
	v_xor_b32_e32 v21, s19, v20
	v_xor_b32_e32 v20, s18, v20
	; wave barrier
	ds_read_b32 v39, v44 offset:64
	v_and_b32_e32 v24, v24, v25
	v_and_b32_e32 v20, v23, v20
	;; [unrolled: 1-line block ×3, first 2 shown]
	v_mbcnt_lo_u32_b32 v22, v20, 0
	v_mbcnt_hi_u32_b32 v42, v21, v22
	v_cmp_eq_u32_e64 s[18:19], 0, v42
	v_cmp_ne_u64_e64 s[20:21], 0, v[20:21]
	s_and_b64 s[20:21], s[20:21], s[18:19]
	; wave barrier
	s_and_saveexec_b64 s[18:19], s[20:21]
	s_cbranch_execz .LBB1629_29
; %bb.28:
	v_bcnt_u32_b32 v20, v20, 0
	v_bcnt_u32_b32 v20, v21, v20
	s_waitcnt lgkmcnt(0)
	v_add_u32_e32 v20, v39, v20
	ds_write_b32 v44, v20 offset:64
.LBB1629_29:
	s_or_b64 exec, exec, s[18:19]
	v_bfrev_b32_e32 v24, 1
	v_cmp_lt_i64_e64 s[18:19], -1, v[8:9]
	v_cndmask_b32_e64 v20, -1, v24, s[18:19]
	v_ashrrev_i32_e32 v22, 31, v9
	v_xor_b32_e32 v21, v20, v9
	v_xor_b32_e32 v20, v22, v8
	v_cmp_ne_u64_e64 s[18:19], s[22:23], v[20:21]
	v_cndmask_b32_e64 v23, v24, v21, s[18:19]
	v_cndmask_b32_e64 v22, 0, v20, s[18:19]
	v_lshrrev_b64 v[22:23], s48, v[22:23]
	v_and_b32_e32 v22, s53, v22
	v_lshl_add_u32 v9, v22, 4, v22
	v_add_lshl_u32 v47, v41, v9, 2
	v_and_b32_e32 v9, 1, v22
	v_add_co_u32_e64 v23, s[18:19], -1, v9
	v_addc_co_u32_e64 v25, s[18:19], 0, -1, s[18:19]
	v_cmp_ne_u32_e64 s[18:19], 0, v9
	v_xor_b32_e32 v9, s19, v25
	v_mov_b32_e32 v8, 0
	v_and_b32_e32 v25, exec_hi, v9
	v_lshlrev_b32_e32 v9, 30, v22
	v_xor_b32_e32 v23, s18, v23
	v_cmp_gt_i64_e64 s[18:19], 0, v[8:9]
	v_not_b32_e32 v9, v9
	v_ashrrev_i32_e32 v9, 31, v9
	v_and_b32_e32 v23, exec_lo, v23
	v_xor_b32_e32 v26, s19, v9
	v_xor_b32_e32 v9, s18, v9
	v_and_b32_e32 v23, v23, v9
	v_lshlrev_b32_e32 v9, 29, v22
	v_cmp_gt_i64_e64 s[18:19], 0, v[8:9]
	v_not_b32_e32 v9, v9
	v_ashrrev_i32_e32 v9, 31, v9
	v_and_b32_e32 v25, v25, v26
	v_xor_b32_e32 v26, s19, v9
	v_xor_b32_e32 v9, s18, v9
	v_and_b32_e32 v23, v23, v9
	v_lshlrev_b32_e32 v9, 28, v22
	v_cmp_gt_i64_e64 s[18:19], 0, v[8:9]
	v_not_b32_e32 v9, v9
	v_ashrrev_i32_e32 v9, 31, v9
	v_and_b32_e32 v25, v25, v26
	;; [unrolled: 8-line block ×5, first 2 shown]
	v_xor_b32_e32 v26, s19, v9
	v_xor_b32_e32 v9, s18, v9
	v_and_b32_e32 v25, v25, v26
	v_and_b32_e32 v26, v23, v9
	v_lshlrev_b32_e32 v9, 24, v22
	v_cmp_gt_i64_e64 s[18:19], 0, v[8:9]
	v_not_b32_e32 v9, v9
	v_ashrrev_i32_e32 v9, 31, v9
	v_xor_b32_e32 v22, s19, v9
	v_xor_b32_e32 v9, s18, v9
	; wave barrier
	ds_read_b32 v43, v47 offset:64
	v_and_b32_e32 v23, v25, v22
	v_and_b32_e32 v22, v26, v9
	v_mbcnt_lo_u32_b32 v9, v22, 0
	v_mbcnt_hi_u32_b32 v45, v23, v9
	v_cmp_eq_u32_e64 s[18:19], 0, v45
	v_cmp_ne_u64_e64 s[20:21], 0, v[22:23]
	s_and_b64 s[20:21], s[20:21], s[18:19]
	; wave barrier
	s_and_saveexec_b64 s[18:19], s[20:21]
	s_cbranch_execz .LBB1629_31
; %bb.30:
	v_bcnt_u32_b32 v9, v22, 0
	v_bcnt_u32_b32 v9, v23, v9
	s_waitcnt lgkmcnt(0)
	v_add_u32_e32 v9, v43, v9
	ds_write_b32 v47, v9 offset:64
.LBB1629_31:
	s_or_b64 exec, exec, s[18:19]
	v_cmp_lt_i64_e64 s[18:19], -1, v[6:7]
	v_cndmask_b32_e64 v9, -1, v24, s[18:19]
	v_ashrrev_i32_e32 v22, 31, v7
	v_xor_b32_e32 v23, v9, v7
	v_xor_b32_e32 v22, v22, v6
	v_cmp_ne_u64_e64 s[18:19], s[22:23], v[22:23]
	v_cndmask_b32_e64 v7, v24, v23, s[18:19]
	v_cndmask_b32_e64 v6, 0, v22, s[18:19]
	v_lshrrev_b64 v[6:7], s48, v[6:7]
	v_and_b32_e32 v6, s53, v6
	v_lshl_add_u32 v7, v6, 4, v6
	v_add_lshl_u32 v48, v41, v7, 2
	v_and_b32_e32 v7, 1, v6
	v_add_co_u32_e64 v9, s[18:19], -1, v7
	v_addc_co_u32_e64 v24, s[18:19], 0, -1, s[18:19]
	v_cmp_ne_u32_e64 s[18:19], 0, v7
	v_xor_b32_e32 v9, s18, v9
	v_xor_b32_e32 v7, s19, v24
	v_and_b32_e32 v24, exec_lo, v9
	v_lshlrev_b32_e32 v9, 30, v6
	v_cmp_gt_i64_e64 s[18:19], 0, v[8:9]
	v_not_b32_e32 v9, v9
	v_ashrrev_i32_e32 v9, 31, v9
	v_xor_b32_e32 v25, s19, v9
	v_xor_b32_e32 v9, s18, v9
	v_and_b32_e32 v24, v24, v9
	v_lshlrev_b32_e32 v9, 29, v6
	v_cmp_gt_i64_e64 s[18:19], 0, v[8:9]
	v_not_b32_e32 v9, v9
	v_and_b32_e32 v7, exec_hi, v7
	v_ashrrev_i32_e32 v9, 31, v9
	v_and_b32_e32 v7, v7, v25
	v_xor_b32_e32 v25, s19, v9
	v_xor_b32_e32 v9, s18, v9
	v_and_b32_e32 v24, v24, v9
	v_lshlrev_b32_e32 v9, 28, v6
	v_cmp_gt_i64_e64 s[18:19], 0, v[8:9]
	v_not_b32_e32 v9, v9
	v_ashrrev_i32_e32 v9, 31, v9
	v_and_b32_e32 v7, v7, v25
	v_xor_b32_e32 v25, s19, v9
	v_xor_b32_e32 v9, s18, v9
	v_and_b32_e32 v24, v24, v9
	v_lshlrev_b32_e32 v9, 27, v6
	v_cmp_gt_i64_e64 s[18:19], 0, v[8:9]
	v_not_b32_e32 v9, v9
	;; [unrolled: 8-line block ×4, first 2 shown]
	v_ashrrev_i32_e32 v9, 31, v9
	v_and_b32_e32 v7, v7, v25
	v_xor_b32_e32 v25, s19, v9
	v_xor_b32_e32 v9, s18, v9
	v_and_b32_e32 v24, v24, v9
	v_lshlrev_b32_e32 v9, 24, v6
	v_not_b32_e32 v6, v9
	v_cmp_gt_i64_e64 s[18:19], 0, v[8:9]
	v_ashrrev_i32_e32 v6, 31, v6
	v_xor_b32_e32 v8, s19, v6
	v_xor_b32_e32 v6, s18, v6
	; wave barrier
	ds_read_b32 v46, v48 offset:64
	v_and_b32_e32 v7, v7, v25
	v_and_b32_e32 v6, v24, v6
	;; [unrolled: 1-line block ×3, first 2 shown]
	v_mbcnt_lo_u32_b32 v8, v6, 0
	v_mbcnt_hi_u32_b32 v8, v7, v8
	v_cmp_eq_u32_e64 s[18:19], 0, v8
	v_cmp_ne_u64_e64 s[20:21], 0, v[6:7]
	s_and_b64 s[20:21], s[20:21], s[18:19]
	; wave barrier
	s_and_saveexec_b64 s[18:19], s[20:21]
	s_cbranch_execz .LBB1629_33
; %bb.32:
	v_bcnt_u32_b32 v6, v6, 0
	v_bcnt_u32_b32 v6, v7, v6
	s_waitcnt lgkmcnt(0)
	v_add_u32_e32 v6, v46, v6
	ds_write_b32 v48, v6 offset:64
.LBB1629_33:
	s_or_b64 exec, exec, s[18:19]
	v_bfrev_b32_e32 v51, 1
	v_cmp_lt_i64_e64 s[18:19], -1, v[4:5]
	v_cndmask_b32_e64 v6, -1, v51, s[18:19]
	v_ashrrev_i32_e32 v7, 31, v5
	v_xor_b32_e32 v25, v6, v5
	v_xor_b32_e32 v24, v7, v4
	v_cmp_ne_u64_e64 s[18:19], s[22:23], v[24:25]
	v_cndmask_b32_e64 v7, v51, v25, s[18:19]
	v_cndmask_b32_e64 v6, 0, v24, s[18:19]
	v_lshrrev_b64 v[6:7], s48, v[6:7]
	v_and_b32_e32 v6, s53, v6
	v_lshl_add_u32 v5, v6, 4, v6
	v_add_lshl_u32 v50, v41, v5, 2
	v_and_b32_e32 v5, 1, v6
	v_add_co_u32_e64 v7, s[18:19], -1, v5
	v_addc_co_u32_e64 v26, s[18:19], 0, -1, s[18:19]
	v_cmp_ne_u32_e64 s[18:19], 0, v5
	v_xor_b32_e32 v5, s19, v26
	v_mov_b32_e32 v4, 0
	v_and_b32_e32 v26, exec_hi, v5
	v_lshlrev_b32_e32 v5, 30, v6
	v_xor_b32_e32 v7, s18, v7
	v_cmp_gt_i64_e64 s[18:19], 0, v[4:5]
	v_not_b32_e32 v5, v5
	v_ashrrev_i32_e32 v5, 31, v5
	v_and_b32_e32 v7, exec_lo, v7
	v_xor_b32_e32 v27, s19, v5
	v_xor_b32_e32 v5, s18, v5
	v_and_b32_e32 v7, v7, v5
	v_lshlrev_b32_e32 v5, 29, v6
	v_cmp_gt_i64_e64 s[18:19], 0, v[4:5]
	v_not_b32_e32 v5, v5
	v_ashrrev_i32_e32 v5, 31, v5
	v_and_b32_e32 v26, v26, v27
	v_xor_b32_e32 v27, s19, v5
	v_xor_b32_e32 v5, s18, v5
	v_and_b32_e32 v7, v7, v5
	v_lshlrev_b32_e32 v5, 28, v6
	v_cmp_gt_i64_e64 s[18:19], 0, v[4:5]
	v_not_b32_e32 v5, v5
	v_ashrrev_i32_e32 v5, 31, v5
	v_and_b32_e32 v26, v26, v27
	;; [unrolled: 8-line block ×5, first 2 shown]
	v_xor_b32_e32 v27, s19, v5
	v_xor_b32_e32 v5, s18, v5
	v_and_b32_e32 v26, v26, v27
	v_and_b32_e32 v27, v7, v5
	v_lshlrev_b32_e32 v5, 24, v6
	v_cmp_gt_i64_e64 s[18:19], 0, v[4:5]
	v_not_b32_e32 v5, v5
	v_ashrrev_i32_e32 v5, 31, v5
	v_xor_b32_e32 v6, s19, v5
	v_xor_b32_e32 v5, s18, v5
	; wave barrier
	ds_read_b32 v9, v50 offset:64
	v_and_b32_e32 v7, v26, v6
	v_and_b32_e32 v6, v27, v5
	v_mbcnt_lo_u32_b32 v5, v6, 0
	v_mbcnt_hi_u32_b32 v49, v7, v5
	v_cmp_eq_u32_e64 s[18:19], 0, v49
	v_cmp_ne_u64_e64 s[20:21], 0, v[6:7]
	s_and_b64 s[20:21], s[20:21], s[18:19]
	; wave barrier
	s_and_saveexec_b64 s[18:19], s[20:21]
	s_cbranch_execz .LBB1629_35
; %bb.34:
	v_bcnt_u32_b32 v5, v6, 0
	v_bcnt_u32_b32 v5, v7, v5
	s_waitcnt lgkmcnt(0)
	v_add_u32_e32 v5, v9, v5
	ds_write_b32 v50, v5 offset:64
.LBB1629_35:
	s_or_b64 exec, exec, s[18:19]
	v_cmp_lt_i64_e64 s[18:19], -1, v[2:3]
	v_cndmask_b32_e64 v5, -1, v51, s[18:19]
	v_ashrrev_i32_e32 v7, 31, v3
	v_xor_b32_e32 v27, v5, v3
	v_xor_b32_e32 v26, v7, v2
	v_cmp_ne_u64_e64 s[18:19], s[22:23], v[26:27]
	v_cndmask_b32_e64 v3, v51, v27, s[18:19]
	v_cndmask_b32_e64 v2, 0, v26, s[18:19]
	v_lshrrev_b64 v[2:3], s48, v[2:3]
	v_and_b32_e32 v2, s53, v2
	v_lshl_add_u32 v3, v2, 4, v2
	v_add_lshl_u32 v7, v3, v41, 2
	v_and_b32_e32 v3, 1, v2
	v_add_co_u32_e64 v5, s[18:19], -1, v3
	v_addc_co_u32_e64 v51, s[18:19], 0, -1, s[18:19]
	v_cmp_ne_u32_e64 s[18:19], 0, v3
	v_xor_b32_e32 v5, s18, v5
	v_xor_b32_e32 v3, s19, v51
	v_and_b32_e32 v51, exec_lo, v5
	v_lshlrev_b32_e32 v5, 30, v2
	v_cmp_gt_i64_e64 s[18:19], 0, v[4:5]
	v_not_b32_e32 v5, v5
	v_ashrrev_i32_e32 v5, 31, v5
	v_xor_b32_e32 v52, s19, v5
	v_xor_b32_e32 v5, s18, v5
	v_and_b32_e32 v51, v51, v5
	v_lshlrev_b32_e32 v5, 29, v2
	v_cmp_gt_i64_e64 s[18:19], 0, v[4:5]
	v_not_b32_e32 v5, v5
	v_and_b32_e32 v3, exec_hi, v3
	v_ashrrev_i32_e32 v5, 31, v5
	v_and_b32_e32 v3, v3, v52
	v_xor_b32_e32 v52, s19, v5
	v_xor_b32_e32 v5, s18, v5
	v_and_b32_e32 v51, v51, v5
	v_lshlrev_b32_e32 v5, 28, v2
	v_cmp_gt_i64_e64 s[18:19], 0, v[4:5]
	v_not_b32_e32 v5, v5
	v_ashrrev_i32_e32 v5, 31, v5
	v_and_b32_e32 v3, v3, v52
	v_xor_b32_e32 v52, s19, v5
	v_xor_b32_e32 v5, s18, v5
	v_and_b32_e32 v51, v51, v5
	v_lshlrev_b32_e32 v5, 27, v2
	v_cmp_gt_i64_e64 s[18:19], 0, v[4:5]
	v_not_b32_e32 v5, v5
	;; [unrolled: 8-line block ×4, first 2 shown]
	v_ashrrev_i32_e32 v5, 31, v5
	v_and_b32_e32 v3, v3, v52
	v_xor_b32_e32 v52, s19, v5
	v_xor_b32_e32 v5, s18, v5
	v_and_b32_e32 v51, v51, v5
	v_lshlrev_b32_e32 v5, 24, v2
	v_not_b32_e32 v2, v5
	v_cmp_gt_i64_e64 s[18:19], 0, v[4:5]
	v_ashrrev_i32_e32 v2, 31, v2
	v_xor_b32_e32 v4, s19, v2
	v_xor_b32_e32 v2, s18, v2
	; wave barrier
	ds_read_b32 v41, v7 offset:64
	v_and_b32_e32 v3, v3, v52
	v_and_b32_e32 v2, v51, v2
	;; [unrolled: 1-line block ×3, first 2 shown]
	v_mbcnt_lo_u32_b32 v4, v2, 0
	v_mbcnt_hi_u32_b32 v51, v3, v4
	v_cmp_eq_u32_e64 s[18:19], 0, v51
	v_cmp_ne_u64_e64 s[20:21], 0, v[2:3]
	v_add_u32_e32 v6, 64, v33
	s_and_b64 s[20:21], s[20:21], s[18:19]
	; wave barrier
	s_and_saveexec_b64 s[18:19], s[20:21]
	s_cbranch_execz .LBB1629_37
; %bb.36:
	v_bcnt_u32_b32 v2, v2, 0
	v_bcnt_u32_b32 v2, v3, v2
	s_waitcnt lgkmcnt(0)
	v_add_u32_e32 v2, v41, v2
	ds_write_b32 v7, v2 offset:64
.LBB1629_37:
	s_or_b64 exec, exec, s[18:19]
	; wave barrier
	s_waitcnt lgkmcnt(0)
	s_barrier
	ds_read2_b32 v[4:5], v33 offset0:16 offset1:17
	ds_read2_b32 v[2:3], v6 offset0:2 offset1:3
	ds_read_b32 v52, v6 offset:16
	v_cmp_lt_u32_e64 s[28:29], 31, v28
	s_waitcnt lgkmcnt(1)
	v_add3_u32 v53, v5, v4, v2
	s_waitcnt lgkmcnt(0)
	v_add3_u32 v52, v53, v3, v52
	v_and_b32_e32 v53, 15, v28
	v_cmp_eq_u32_e64 s[18:19], 0, v53
	v_mov_b32_dpp v54, v52 row_shr:1 row_mask:0xf bank_mask:0xf
	v_cndmask_b32_e64 v54, v54, 0, s[18:19]
	v_add_u32_e32 v52, v54, v52
	v_cmp_lt_u32_e64 s[20:21], 1, v53
	v_cmp_lt_u32_e64 s[22:23], 3, v53
	v_mov_b32_dpp v54, v52 row_shr:2 row_mask:0xf bank_mask:0xf
	v_cndmask_b32_e64 v54, 0, v54, s[20:21]
	v_add_u32_e32 v52, v52, v54
	v_cmp_lt_u32_e64 s[24:25], 7, v53
	s_nop 0
	v_mov_b32_dpp v54, v52 row_shr:4 row_mask:0xf bank_mask:0xf
	v_cndmask_b32_e64 v54, 0, v54, s[22:23]
	v_add_u32_e32 v52, v52, v54
	s_nop 1
	v_mov_b32_dpp v54, v52 row_shr:8 row_mask:0xf bank_mask:0xf
	v_cndmask_b32_e64 v53, 0, v54, s[24:25]
	v_add_u32_e32 v52, v52, v53
	v_bfe_i32 v54, v28, 4, 1
	s_nop 0
	v_mov_b32_dpp v53, v52 row_bcast:15 row_mask:0xf bank_mask:0xf
	v_and_b32_e32 v53, v54, v53
	v_add_u32_e32 v52, v52, v53
	v_and_b32_e32 v54, 63, v10
	s_nop 0
	v_mov_b32_dpp v53, v52 row_bcast:31 row_mask:0xf bank_mask:0xf
	v_cndmask_b32_e64 v53, 0, v53, s[28:29]
	v_add_u32_e32 v52, v52, v53
	v_lshrrev_b32_e32 v53, 6, v10
	v_cmp_eq_u32_e64 s[28:29], 63, v54
	s_and_saveexec_b64 s[50:51], s[28:29]
	s_cbranch_execz .LBB1629_39
; %bb.38:
	v_lshlrev_b32_e32 v54, 2, v53
	ds_write_b32 v54, v52
.LBB1629_39:
	s_or_b64 exec, exec, s[50:51]
	v_cmp_gt_u32_e64 s[28:29], 16, v10
	s_waitcnt lgkmcnt(0)
	s_barrier
	s_and_saveexec_b64 s[50:51], s[28:29]
	s_cbranch_execz .LBB1629_41
; %bb.40:
	v_lshlrev_b32_e32 v54, 2, v10
	ds_read_b32 v55, v54
	s_waitcnt lgkmcnt(0)
	s_nop 0
	v_mov_b32_dpp v56, v55 row_shr:1 row_mask:0xf bank_mask:0xf
	v_cndmask_b32_e64 v56, v56, 0, s[18:19]
	v_add_u32_e32 v55, v56, v55
	s_nop 1
	v_mov_b32_dpp v56, v55 row_shr:2 row_mask:0xf bank_mask:0xf
	v_cndmask_b32_e64 v56, 0, v56, s[20:21]
	v_add_u32_e32 v55, v55, v56
	;; [unrolled: 4-line block ×4, first 2 shown]
	ds_write_b32 v54, v55
.LBB1629_41:
	s_or_b64 exec, exec, s[50:51]
	v_cmp_lt_u32_e64 s[18:19], 63, v10
	v_mov_b32_e32 v54, 0
	s_waitcnt lgkmcnt(0)
	s_barrier
	s_and_saveexec_b64 s[20:21], s[18:19]
	s_cbranch_execz .LBB1629_43
; %bb.42:
	v_lshl_add_u32 v53, v53, 2, -4
	ds_read_b32 v54, v53
.LBB1629_43:
	s_or_b64 exec, exec, s[20:21]
	v_add_u32_e32 v53, -1, v28
	v_and_b32_e32 v55, 64, v28
	v_cmp_lt_i32_e64 s[18:19], v53, v55
	v_cndmask_b32_e64 v53, v53, v28, s[18:19]
	s_waitcnt lgkmcnt(0)
	v_add_u32_e32 v52, v54, v52
	v_lshlrev_b32_e32 v53, 2, v53
	ds_bpermute_b32 v52, v53, v52
	v_cmp_eq_u32_e64 s[18:19], 0, v28
	s_waitcnt lgkmcnt(0)
	v_cndmask_b32_e64 v28, v52, v54, s[18:19]
	v_cndmask_b32_e64 v28, v28, 0, s[0:1]
	v_add_u32_e32 v4, v28, v4
	v_add_u32_e32 v5, v4, v5
	;; [unrolled: 1-line block ×4, first 2 shown]
	ds_write2_b32 v33, v28, v4 offset0:16 offset1:17
	ds_write2_b32 v6, v5, v2 offset0:2 offset1:3
	ds_write_b32 v6, v3 offset:16
	s_waitcnt lgkmcnt(0)
	s_barrier
	ds_read_b32 v54, v35 offset:64
	ds_read_b32 v28, v37 offset:64
	;; [unrolled: 1-line block ×8, first 2 shown]
	s_movk_i32 s18, 0x100
	v_cmp_gt_u32_e64 s[18:19], s18, v10
                                        ; implicit-def: $vgpr33
                                        ; implicit-def: $vgpr35
	s_and_saveexec_b64 s[22:23], s[18:19]
	s_cbranch_execz .LBB1629_47
; %bb.44:
	v_mul_u32_u24_e32 v2, 17, v10
	v_lshlrev_b32_e32 v3, 2, v2
	ds_read_b32 v33, v3 offset:64
	s_movk_i32 s20, 0xff
	v_cmp_ne_u32_e64 s[20:21], s20, v10
	v_mov_b32_e32 v2, 0x2000
	s_and_saveexec_b64 s[24:25], s[20:21]
	s_cbranch_execz .LBB1629_46
; %bb.45:
	ds_read_b32 v2, v3 offset:132
.LBB1629_46:
	s_or_b64 exec, exec, s[24:25]
	s_waitcnt lgkmcnt(0)
	v_sub_u32_e32 v35, v2, v33
.LBB1629_47:
	s_or_b64 exec, exec, s[22:23]
	s_waitcnt lgkmcnt(0)
	s_barrier
	s_and_saveexec_b64 s[22:23], s[18:19]
	s_cbranch_execz .LBB1629_57
; %bb.48:
	v_lshl_or_b32 v2, s33, 8, v10
	v_mov_b32_e32 v3, 0
	v_lshlrev_b64 v[4:5], 2, v[2:3]
	v_mov_b32_e32 v37, s31
	v_add_co_u32_e64 v4, s[20:21], s30, v4
	v_addc_co_u32_e64 v5, s[20:21], v37, v5, s[20:21]
	v_or_b32_e32 v2, 2.0, v35
	s_mov_b64 s[24:25], 0
	s_brev_b32 s54, 1
	s_mov_b32 s55, s33
	v_mov_b32_e32 v40, 0
	global_store_dword v[4:5], v2, off
                                        ; implicit-def: $sgpr20_sgpr21
	s_branch .LBB1629_50
.LBB1629_49:                            ;   in Loop: Header=BB1629_50 Depth=1
	s_or_b64 exec, exec, s[28:29]
	v_and_b32_e32 v6, 0x3fffffff, v55
	v_add_u32_e32 v40, v6, v40
	v_cmp_eq_u32_e64 s[20:21], s54, v2
	s_and_b64 s[28:29], exec, s[20:21]
	s_or_b64 s[24:25], s[28:29], s[24:25]
	s_andn2_b64 exec, exec, s[24:25]
	s_cbranch_execz .LBB1629_56
.LBB1629_50:                            ; =>This Loop Header: Depth=1
                                        ;     Child Loop BB1629_53 Depth 2
	s_or_b64 s[20:21], s[20:21], exec
	s_cmp_eq_u32 s55, 0
	s_cbranch_scc1 .LBB1629_55
; %bb.51:                               ;   in Loop: Header=BB1629_50 Depth=1
	s_add_i32 s55, s55, -1
	v_lshl_or_b32 v2, s55, 8, v10
	v_lshlrev_b64 v[6:7], 2, v[2:3]
	v_add_co_u32_e64 v6, s[20:21], s30, v6
	v_addc_co_u32_e64 v7, s[20:21], v37, v7, s[20:21]
	global_load_dword v55, v[6:7], off glc
	s_waitcnt vmcnt(0)
	v_and_b32_e32 v2, -2.0, v55
	v_cmp_eq_u32_e64 s[20:21], 0, v2
	s_and_saveexec_b64 s[28:29], s[20:21]
	s_cbranch_execz .LBB1629_49
; %bb.52:                               ;   in Loop: Header=BB1629_50 Depth=1
	s_mov_b64 s[50:51], 0
.LBB1629_53:                            ;   Parent Loop BB1629_50 Depth=1
                                        ; =>  This Inner Loop Header: Depth=2
	global_load_dword v55, v[6:7], off glc
	s_waitcnt vmcnt(0)
	v_and_b32_e32 v2, -2.0, v55
	v_cmp_ne_u32_e64 s[20:21], 0, v2
	s_or_b64 s[50:51], s[20:21], s[50:51]
	s_andn2_b64 exec, exec, s[50:51]
	s_cbranch_execnz .LBB1629_53
; %bb.54:                               ;   in Loop: Header=BB1629_50 Depth=1
	s_or_b64 exec, exec, s[50:51]
	s_branch .LBB1629_49
.LBB1629_55:                            ;   in Loop: Header=BB1629_50 Depth=1
                                        ; implicit-def: $sgpr55
	s_and_b64 s[28:29], exec, s[20:21]
	s_or_b64 s[24:25], s[28:29], s[24:25]
	s_andn2_b64 exec, exec, s[24:25]
	s_cbranch_execnz .LBB1629_50
.LBB1629_56:
	s_or_b64 exec, exec, s[24:25]
	v_add_u32_e32 v2, v40, v35
	v_or_b32_e32 v2, 0x80000000, v2
	global_store_dword v[4:5], v2, off
	v_lshlrev_b32_e32 v2, 2, v10
	global_load_dword v3, v2, s[44:45]
	v_sub_u32_e32 v4, v40, v33
	s_waitcnt vmcnt(0)
	v_add_u32_e32 v3, v4, v3
	ds_write_b32 v2, v3
.LBB1629_57:
	s_or_b64 exec, exec, s[22:23]
	s_mov_b32 s24, -1
	v_add_u32_e32 v37, v54, v29
	s_movk_i32 s50, 0x400
	v_add_u32_e32 v40, 0x400, v11
	v_add3_u32 v41, v51, v50, v41
	v_add3_u32 v44, v49, v44, v9
	;; [unrolled: 1-line block ×7, first 2 shown]
	s_mov_b32 s51, 0
	s_brev_b32 s25, -2
	v_mov_b32_e32 v29, 0
	v_bfrev_b32_e32 v34, 1
	v_mov_b32_e32 v38, v10
	s_mov_b32 s54, 0
                                        ; implicit-def: $vgpr2_vgpr3_vgpr4_vgpr5_vgpr6_vgpr7_vgpr8_vgpr9
	s_branch .LBB1629_59
.LBB1629_58:                            ;   in Loop: Header=BB1629_59 Depth=1
	s_or_b64 exec, exec, s[28:29]
	s_addk_i32 s54, 0xf800
	s_add_i32 s51, s51, 2
	s_cmpk_eq_i32 s54, 0xe000
	v_add_u32_e32 v38, 0x800, v38
	s_barrier
	s_cbranch_scc1 .LBB1629_64
.LBB1629_59:                            ; =>This Inner Loop Header: Depth=1
	v_add_u32_e32 v28, s54, v37
	v_min_u32_e32 v28, 0x800, v28
	v_lshlrev_b32_e32 v28, 3, v28
	ds_write_b64 v28, v[12:13] offset:1024
	v_add_u32_e32 v28, s54, v32
	v_min_u32_e32 v28, 0x800, v28
	v_lshlrev_b32_e32 v28, 3, v28
	ds_write_b64 v28, v[14:15] offset:1024
	;; [unrolled: 4-line block ×7, first 2 shown]
	v_add_u32_e32 v28, s54, v41
	v_min_u32_e32 v28, 0x800, v28
	v_lshlrev_b32_e32 v28, 3, v28
	v_cmp_gt_u32_e64 s[20:21], s7, v38
	ds_write_b64 v28, v[26:27] offset:1024
	s_waitcnt lgkmcnt(0)
	s_barrier
	s_and_saveexec_b64 s[28:29], s[20:21]
	s_cbranch_execz .LBB1629_61
; %bb.60:                               ;   in Loop: Header=BB1629_59 Depth=1
	ds_read_b64 v[48:49], v11 offset:1024
	v_mov_b32_e32 v42, s39
	s_cmp_eq_u32 s51, 7
	s_waitcnt lgkmcnt(0)
	v_cmp_ne_u64_e64 s[20:21], s[24:25], v[48:49]
	v_cndmask_b32_e64 v51, v34, v49, s[20:21]
	v_cndmask_b32_e64 v50, 0, v48, s[20:21]
	v_lshrrev_b64 v[50:51], s48, v[50:51]
	v_and_b32_e32 v45, s53, v50
	v_lshlrev_b32_e32 v47, 2, v45
	ds_read_b32 v47, v47
	v_cmp_lt_i64_e64 s[22:23], -1, v[48:49]
	v_cndmask_b32_e64 v28, v34, -1, s[22:23]
	v_ashrrev_i32_e32 v50, 31, v49
	v_not_b32_e32 v50, v50
	v_xor_b32_e32 v49, v28, v49
	s_waitcnt lgkmcnt(0)
	v_add_u32_e32 v28, v38, v47
	v_xor_b32_e32 v48, v50, v48
	v_lshlrev_b64 v[50:51], 3, v[28:29]
	v_add_co_u32_e64 v50, s[20:21], s38, v50
	v_addc_co_u32_e64 v51, s[20:21], v42, v51, s[20:21]
	s_cselect_b64 s[20:21], -1, 0
	s_cmp_eq_u32 s51, 6
	v_cndmask_b32_e64 v9, v9, v45, s[20:21]
	s_cselect_b64 s[20:21], -1, 0
	s_cmp_eq_u32 s51, 5
	v_cndmask_b32_e64 v8, v8, v45, s[20:21]
	;; [unrolled: 3-line block ×7, first 2 shown]
	s_cselect_b64 s[20:21], -1, 0
	v_cndmask_b32_e64 v2, v2, v45, s[20:21]
	global_store_dwordx2 v[50:51], v[48:49], off
.LBB1629_61:                            ;   in Loop: Header=BB1629_59 Depth=1
	s_or_b64 exec, exec, s[28:29]
	v_add_u32_e32 v28, 0x400, v38
	v_cmp_gt_u32_e64 s[20:21], s7, v28
	s_and_saveexec_b64 s[28:29], s[20:21]
	s_cbranch_execz .LBB1629_58
; %bb.62:                               ;   in Loop: Header=BB1629_59 Depth=1
	ds_read_b64 v[48:49], v40 offset:8192
	v_mov_b32_e32 v42, s39
	s_waitcnt lgkmcnt(0)
	v_cmp_ne_u64_e64 s[20:21], s[24:25], v[48:49]
	v_cndmask_b32_e64 v51, v34, v49, s[20:21]
	v_cndmask_b32_e64 v50, 0, v48, s[20:21]
	v_lshrrev_b64 v[50:51], s48, v[50:51]
	v_and_b32_e32 v45, s53, v50
	v_lshlrev_b32_e32 v47, 2, v45
	ds_read_b32 v47, v47
	v_cmp_lt_i64_e64 s[22:23], -1, v[48:49]
	v_cndmask_b32_e64 v28, v34, -1, s[22:23]
	v_ashrrev_i32_e32 v50, 31, v49
	v_not_b32_e32 v50, v50
	v_xor_b32_e32 v49, v28, v49
	s_waitcnt lgkmcnt(0)
	v_add3_u32 v28, v38, v47, s50
	v_xor_b32_e32 v48, v50, v48
	v_lshlrev_b64 v[50:51], 3, v[28:29]
	v_add_co_u32_e64 v50, s[20:21], s38, v50
	s_add_i32 s22, s51, 1
	v_addc_co_u32_e64 v51, s[20:21], v42, v51, s[20:21]
	s_cmp_eq_u32 s22, 7
	s_cselect_b64 s[20:21], -1, 0
	s_cmp_eq_u32 s22, 6
	v_cndmask_b32_e64 v9, v9, v45, s[20:21]
	s_cselect_b64 s[20:21], -1, 0
	s_cmp_eq_u32 s22, 5
	v_cndmask_b32_e64 v8, v8, v45, s[20:21]
	;; [unrolled: 3-line block ×7, first 2 shown]
	s_cselect_b64 s[20:21], -1, 0
	v_cndmask_b32_e64 v2, v2, v45, s[20:21]
	global_store_dwordx2 v[50:51], v[48:49], off
	s_branch .LBB1629_58
.LBB1629_63:
	s_mov_b64 s[10:11], 0
                                        ; implicit-def: $vgpr2
	s_cbranch_execnz .LBB1629_82
	s_branch .LBB1629_125
.LBB1629_64:
	s_add_u32 s20, s40, s34
	s_addc_u32 s21, s41, s35
	v_mov_b32_e32 v12, s21
	v_add_co_u32_e64 v13, s[20:21], s20, v30
	v_addc_co_u32_e64 v12, s[20:21], 0, v12, s[20:21]
	v_add_co_u32_e64 v28, s[20:21], v13, v31
	v_addc_co_u32_e64 v29, s[20:21], 0, v12, s[20:21]
                                        ; implicit-def: $vgpr12_vgpr13
	s_and_saveexec_b64 s[20:21], vcc
	s_cbranch_execnz .LBB1629_128
; %bb.65:
	s_or_b64 exec, exec, s[20:21]
                                        ; implicit-def: $vgpr14_vgpr15
	s_and_saveexec_b64 s[20:21], s[2:3]
	s_cbranch_execnz .LBB1629_129
.LBB1629_66:
	s_or_b64 exec, exec, s[20:21]
                                        ; implicit-def: $vgpr16_vgpr17
	s_and_saveexec_b64 s[2:3], s[26:27]
	s_cbranch_execnz .LBB1629_130
.LBB1629_67:
	s_or_b64 exec, exec, s[2:3]
                                        ; implicit-def: $vgpr18_vgpr19
	s_and_saveexec_b64 s[2:3], s[8:9]
	s_cbranch_execnz .LBB1629_131
.LBB1629_68:
	s_or_b64 exec, exec, s[2:3]
                                        ; implicit-def: $vgpr20_vgpr21
	s_and_saveexec_b64 s[2:3], s[10:11]
	s_cbranch_execnz .LBB1629_132
.LBB1629_69:
	s_or_b64 exec, exec, s[2:3]
                                        ; implicit-def: $vgpr22_vgpr23
	s_and_saveexec_b64 s[2:3], s[12:13]
	s_cbranch_execnz .LBB1629_133
.LBB1629_70:
	s_or_b64 exec, exec, s[2:3]
                                        ; implicit-def: $vgpr24_vgpr25
	s_and_saveexec_b64 s[2:3], s[14:15]
	s_cbranch_execnz .LBB1629_134
.LBB1629_71:
	s_or_b64 exec, exec, s[2:3]
                                        ; implicit-def: $vgpr26_vgpr27
	s_and_saveexec_b64 s[2:3], s[16:17]
	s_cbranch_execz .LBB1629_73
.LBB1629_72:
	global_load_dwordx2 v[26:27], v[28:29], off offset:3584
.LBB1629_73:
	s_or_b64 exec, exec, s[2:3]
	s_mov_b32 s8, 0
	v_mov_b32_e32 v29, 0
	s_movk_i32 s9, 0x400
	s_mov_b32 s10, 0
	v_mov_b32_e32 v30, v10
	s_waitcnt vmcnt(0)
	s_branch .LBB1629_75
.LBB1629_74:                            ;   in Loop: Header=BB1629_75 Depth=1
	s_or_b64 exec, exec, s[2:3]
	s_addk_i32 s10, 0xf800
	s_add_i32 s8, s8, 2
	s_cmpk_eq_i32 s10, 0xe000
	v_add_u32_e32 v30, 0x800, v30
	s_barrier
	s_cbranch_scc1 .LBB1629_79
.LBB1629_75:                            ; =>This Inner Loop Header: Depth=1
	v_add_u32_e32 v28, s10, v37
	v_min_u32_e32 v28, 0x800, v28
	v_lshlrev_b32_e32 v28, 3, v28
	ds_write_b64 v28, v[12:13] offset:1024
	v_add_u32_e32 v28, s10, v32
	v_min_u32_e32 v28, 0x800, v28
	v_lshlrev_b32_e32 v28, 3, v28
	ds_write_b64 v28, v[14:15] offset:1024
	;; [unrolled: 4-line block ×7, first 2 shown]
	v_add_u32_e32 v28, s10, v41
	v_min_u32_e32 v28, 0x800, v28
	v_lshlrev_b32_e32 v28, 3, v28
	v_cmp_gt_u32_e32 vcc, s7, v30
	ds_write_b64 v28, v[26:27] offset:1024
	s_waitcnt lgkmcnt(0)
	s_barrier
	s_and_saveexec_b64 s[2:3], vcc
	s_cbranch_execz .LBB1629_77
; %bb.76:                               ;   in Loop: Header=BB1629_75 Depth=1
	s_cmp_eq_u32 s8, 1
	s_cselect_b64 vcc, -1, 0
	s_cmp_eq_u32 s8, 2
	v_cndmask_b32_e32 v28, v2, v3, vcc
	s_cselect_b64 vcc, -1, 0
	s_cmp_eq_u32 s8, 3
	v_cndmask_b32_e32 v28, v28, v4, vcc
	;; [unrolled: 3-line block ×6, first 2 shown]
	s_cselect_b64 vcc, -1, 0
	v_cndmask_b32_e32 v28, v28, v9, vcc
	v_lshlrev_b32_e32 v28, 2, v28
	ds_read_b32 v28, v28
	ds_read_b64 v[48:49], v11 offset:1024
	s_waitcnt lgkmcnt(1)
	v_add_u32_e32 v28, v30, v28
	v_lshlrev_b64 v[50:51], 3, v[28:29]
	v_mov_b32_e32 v28, s43
	v_add_co_u32_e32 v50, vcc, s42, v50
	v_addc_co_u32_e32 v51, vcc, v28, v51, vcc
	s_waitcnt lgkmcnt(0)
	global_store_dwordx2 v[50:51], v[48:49], off
.LBB1629_77:                            ;   in Loop: Header=BB1629_75 Depth=1
	s_or_b64 exec, exec, s[2:3]
	v_add_u32_e32 v28, 0x400, v30
	v_cmp_gt_u32_e32 vcc, s7, v28
	s_and_saveexec_b64 s[2:3], vcc
	s_cbranch_execz .LBB1629_74
; %bb.78:                               ;   in Loop: Header=BB1629_75 Depth=1
	s_add_i32 s11, s8, 1
	s_cmp_eq_u32 s11, 1
	s_cselect_b64 vcc, -1, 0
	s_cmp_eq_u32 s11, 2
	v_cndmask_b32_e32 v28, v2, v3, vcc
	s_cselect_b64 vcc, -1, 0
	s_cmp_eq_u32 s11, 3
	v_cndmask_b32_e32 v28, v28, v4, vcc
	;; [unrolled: 3-line block ×6, first 2 shown]
	s_cselect_b64 vcc, -1, 0
	v_cndmask_b32_e32 v28, v28, v9, vcc
	v_lshlrev_b32_e32 v28, 2, v28
	ds_read_b32 v28, v28
	ds_read_b64 v[48:49], v40 offset:8192
	s_waitcnt lgkmcnt(1)
	v_add3_u32 v28, v30, v28, s9
	v_lshlrev_b64 v[50:51], 3, v[28:29]
	v_mov_b32_e32 v28, s43
	v_add_co_u32_e32 v50, vcc, s42, v50
	v_addc_co_u32_e32 v51, vcc, v28, v51, vcc
	s_waitcnt lgkmcnt(0)
	global_store_dwordx2 v[50:51], v[48:49], off
	s_branch .LBB1629_74
.LBB1629_79:
	s_add_i32 s52, s52, -1
	s_cmp_eq_u32 s52, s33
	s_cselect_b64 s[2:3], -1, 0
	s_and_b64 s[8:9], s[18:19], s[2:3]
	s_mov_b64 s[2:3], 0
	s_mov_b64 s[10:11], 0
                                        ; implicit-def: $vgpr2
	s_and_saveexec_b64 s[12:13], s[8:9]
	s_xor_b64 s[8:9], exec, s[12:13]
; %bb.80:
	s_mov_b64 s[10:11], exec
	v_add_u32_e32 v2, v33, v35
; %bb.81:
	s_or_b64 exec, exec, s[8:9]
	s_and_b64 vcc, exec, s[2:3]
	s_cbranch_vccz .LBB1629_125
.LBB1629_82:
	s_lshl_b32 s2, s33, 13
	s_mov_b32 s3, 0
	s_lshl_b64 s[12:13], s[2:3], 3
	v_mbcnt_hi_u32_b32 v22, -1, v1
	s_add_u32 s2, s36, s12
	v_and_b32_e32 v1, 63, v22
	s_addc_u32 s3, s37, s13
	v_lshlrev_b32_e32 v24, 3, v1
	v_and_b32_e32 v2, 0x1e00, v11
	v_mov_b32_e32 v1, s3
	v_add_co_u32_e32 v3, vcc, s2, v24
	s_load_dword s16, s[4:5], 0x58
	s_load_dword s2, s[4:5], 0x64
	v_addc_co_u32_e32 v1, vcc, 0, v1, vcc
	v_lshlrev_b32_e32 v25, 3, v2
	v_add_co_u32_e32 v20, vcc, v3, v25
	v_addc_co_u32_e32 v21, vcc, 0, v1, vcc
	global_load_dwordx2 v[28:29], v[20:21], off
	s_add_u32 s3, s4, 0x58
	s_addc_u32 s4, s5, 0
	s_waitcnt lgkmcnt(0)
	s_lshr_b32 s7, s2, 16
	s_cmp_lt_u32 s6, s16
	s_cselect_b32 s2, 12, 18
	s_add_u32 s2, s3, s2
	v_mov_b32_e32 v4, 0
	s_addc_u32 s3, s4, 0
	global_load_ushort v5, v4, s[2:3]
	v_mul_u32_u24_e32 v2, 5, v10
	v_lshlrev_b32_e32 v23, 2, v2
	ds_write2_b32 v23, v4, v4 offset0:16 offset1:17
	ds_write2_b32 v23, v4, v4 offset0:18 offset1:19
	ds_write_b32 v23, v4 offset:80
	global_load_dwordx2 v[2:3], v[20:21], off offset:512
	global_load_dwordx2 v[18:19], v[20:21], off offset:1024
	;; [unrolled: 1-line block ×7, first 2 shown]
	v_bfrev_b32_e32 v27, 1
	v_bfe_u32 v1, v0, 10, 10
	v_bfe_u32 v0, v0, 20, 10
	s_mov_b32 s4, -1
	v_mad_u32_u24 v26, v0, s7, v1
	s_brev_b32 s5, -2
	s_lshl_b32 s2, -1, s49
	s_not_b32 s17, s2
	s_waitcnt lgkmcnt(0)
	s_barrier
	s_waitcnt lgkmcnt(0)
	; wave barrier
	s_waitcnt vmcnt(8)
	v_cmp_lt_i64_e32 vcc, -1, v[28:29]
	v_cndmask_b32_e32 v0, -1, v27, vcc
	v_ashrrev_i32_e32 v20, 31, v29
	v_xor_b32_e32 v1, v0, v29
	v_xor_b32_e32 v0, v20, v28
	v_cmp_ne_u64_e32 vcc, s[4:5], v[0:1]
	v_cndmask_b32_e32 v21, v27, v1, vcc
	v_cndmask_b32_e32 v20, 0, v0, vcc
	v_lshrrev_b64 v[20:21], s48, v[20:21]
	s_waitcnt vmcnt(7)
	v_mad_u64_u32 v[28:29], s[2:3], v26, v5, v[10:11]
	v_and_b32_e32 v20, s17, v20
	v_lshrrev_b32_e32 v34, 6, v28
	v_lshl_add_u32 v21, v20, 4, v20
	v_and_b32_e32 v26, 1, v20
	v_add_lshl_u32 v28, v34, v21, 2
	v_add_co_u32_e32 v21, vcc, -1, v26
	v_lshlrev_b32_e32 v5, 30, v20
	v_addc_co_u32_e64 v29, s[2:3], 0, -1, vcc
	v_cmp_ne_u32_e32 vcc, 0, v26
	v_cmp_gt_i64_e64 s[2:3], 0, v[4:5]
	v_not_b32_e32 v26, v5
	v_lshlrev_b32_e32 v5, 29, v20
	v_xor_b32_e32 v29, vcc_hi, v29
	v_xor_b32_e32 v21, vcc_lo, v21
	v_ashrrev_i32_e32 v26, 31, v26
	v_cmp_gt_i64_e32 vcc, 0, v[4:5]
	v_not_b32_e32 v30, v5
	v_lshlrev_b32_e32 v5, 28, v20
	v_and_b32_e32 v29, exec_hi, v29
	v_and_b32_e32 v21, exec_lo, v21
	v_xor_b32_e32 v31, s3, v26
	v_xor_b32_e32 v26, s2, v26
	v_ashrrev_i32_e32 v30, 31, v30
	v_cmp_gt_i64_e64 s[2:3], 0, v[4:5]
	v_not_b32_e32 v5, v5
	v_and_b32_e32 v29, v29, v31
	v_and_b32_e32 v21, v21, v26
	v_xor_b32_e32 v26, vcc_hi, v30
	v_xor_b32_e32 v30, vcc_lo, v30
	v_ashrrev_i32_e32 v5, 31, v5
	v_and_b32_e32 v26, v29, v26
	v_and_b32_e32 v21, v21, v30
	v_xor_b32_e32 v29, s3, v5
	v_xor_b32_e32 v5, s2, v5
	v_and_b32_e32 v21, v21, v5
	v_lshlrev_b32_e32 v5, 27, v20
	v_cmp_gt_i64_e32 vcc, 0, v[4:5]
	v_not_b32_e32 v5, v5
	v_ashrrev_i32_e32 v5, 31, v5
	v_and_b32_e32 v26, v26, v29
	v_xor_b32_e32 v29, vcc_hi, v5
	v_xor_b32_e32 v5, vcc_lo, v5
	v_and_b32_e32 v21, v21, v5
	v_lshlrev_b32_e32 v5, 26, v20
	v_cmp_gt_i64_e32 vcc, 0, v[4:5]
	v_not_b32_e32 v5, v5
	v_ashrrev_i32_e32 v5, 31, v5
	v_and_b32_e32 v26, v26, v29
	v_xor_b32_e32 v29, vcc_hi, v5
	v_xor_b32_e32 v5, vcc_lo, v5
	;; [unrolled: 8-line block ×3, first 2 shown]
	v_and_b32_e32 v26, v26, v29
	v_and_b32_e32 v29, v21, v5
	v_lshlrev_b32_e32 v5, 24, v20
	v_cmp_gt_i64_e32 vcc, 0, v[4:5]
	v_not_b32_e32 v5, v5
	v_ashrrev_i32_e32 v5, 31, v5
	v_xor_b32_e32 v20, vcc_hi, v5
	v_xor_b32_e32 v5, vcc_lo, v5
	v_and_b32_e32 v21, v26, v20
	v_and_b32_e32 v20, v29, v5
	v_mbcnt_lo_u32_b32 v5, v20, 0
	v_mbcnt_hi_u32_b32 v26, v21, v5
	v_cmp_eq_u32_e32 vcc, 0, v26
	v_cmp_ne_u64_e64 s[2:3], 0, v[20:21]
	s_and_b64 s[6:7], s[2:3], vcc
	s_and_saveexec_b64 s[2:3], s[6:7]
	s_cbranch_execz .LBB1629_84
; %bb.83:
	v_bcnt_u32_b32 v5, v20, 0
	v_bcnt_u32_b32 v5, v21, v5
	ds_write_b32 v28, v5 offset:64
.LBB1629_84:
	s_or_b64 exec, exec, s[2:3]
	s_waitcnt vmcnt(6)
	v_cmp_lt_i64_e32 vcc, -1, v[2:3]
	v_cndmask_b32_e32 v5, -1, v27, vcc
	v_ashrrev_i32_e32 v20, 31, v3
	v_xor_b32_e32 v3, v5, v3
	v_xor_b32_e32 v2, v20, v2
	v_cmp_ne_u64_e32 vcc, s[4:5], v[2:3]
	v_cndmask_b32_e32 v21, v27, v3, vcc
	v_cndmask_b32_e32 v20, 0, v2, vcc
	v_lshrrev_b64 v[20:21], s48, v[20:21]
	v_and_b32_e32 v20, s17, v20
	v_lshl_add_u32 v5, v20, 4, v20
	v_add_lshl_u32 v31, v34, v5, 2
	v_and_b32_e32 v5, 1, v20
	v_add_co_u32_e32 v21, vcc, -1, v5
	v_addc_co_u32_e64 v29, s[2:3], 0, -1, vcc
	v_cmp_ne_u32_e32 vcc, 0, v5
	v_xor_b32_e32 v5, vcc_hi, v29
	v_and_b32_e32 v29, exec_hi, v5
	v_lshlrev_b32_e32 v5, 30, v20
	v_xor_b32_e32 v21, vcc_lo, v21
	v_cmp_gt_i64_e32 vcc, 0, v[4:5]
	v_not_b32_e32 v5, v5
	v_ashrrev_i32_e32 v5, 31, v5
	v_and_b32_e32 v21, exec_lo, v21
	v_xor_b32_e32 v30, vcc_hi, v5
	v_xor_b32_e32 v5, vcc_lo, v5
	v_and_b32_e32 v21, v21, v5
	v_lshlrev_b32_e32 v5, 29, v20
	v_cmp_gt_i64_e32 vcc, 0, v[4:5]
	v_not_b32_e32 v5, v5
	v_ashrrev_i32_e32 v5, 31, v5
	v_and_b32_e32 v29, v29, v30
	v_xor_b32_e32 v30, vcc_hi, v5
	v_xor_b32_e32 v5, vcc_lo, v5
	v_and_b32_e32 v21, v21, v5
	v_lshlrev_b32_e32 v5, 28, v20
	v_cmp_gt_i64_e32 vcc, 0, v[4:5]
	v_not_b32_e32 v5, v5
	v_ashrrev_i32_e32 v5, 31, v5
	v_and_b32_e32 v29, v29, v30
	;; [unrolled: 8-line block ×5, first 2 shown]
	v_xor_b32_e32 v30, vcc_hi, v5
	v_xor_b32_e32 v5, vcc_lo, v5
	v_and_b32_e32 v21, v21, v5
	v_lshlrev_b32_e32 v5, 24, v20
	v_cmp_gt_i64_e32 vcc, 0, v[4:5]
	v_not_b32_e32 v4, v5
	v_ashrrev_i32_e32 v4, 31, v4
	v_xor_b32_e32 v5, vcc_hi, v4
	v_xor_b32_e32 v4, vcc_lo, v4
	; wave barrier
	ds_read_b32 v27, v31 offset:64
	v_and_b32_e32 v29, v29, v30
	v_and_b32_e32 v4, v21, v4
	;; [unrolled: 1-line block ×3, first 2 shown]
	v_mbcnt_lo_u32_b32 v20, v4, 0
	v_mbcnt_hi_u32_b32 v29, v5, v20
	v_cmp_eq_u32_e32 vcc, 0, v29
	v_cmp_ne_u64_e64 s[2:3], 0, v[4:5]
	s_and_b64 s[4:5], s[2:3], vcc
	; wave barrier
	s_and_saveexec_b64 s[2:3], s[4:5]
	s_cbranch_execz .LBB1629_86
; %bb.85:
	v_bcnt_u32_b32 v4, v4, 0
	v_bcnt_u32_b32 v4, v5, v4
	s_waitcnt lgkmcnt(0)
	v_add_u32_e32 v4, v27, v4
	ds_write_b32 v31, v4 offset:64
.LBB1629_86:
	s_or_b64 exec, exec, s[2:3]
	v_bfrev_b32_e32 v33, 1
	s_waitcnt vmcnt(5)
	v_cmp_lt_i64_e32 vcc, -1, v[18:19]
	s_mov_b32 s4, -1
	v_cndmask_b32_e32 v4, -1, v33, vcc
	v_ashrrev_i32_e32 v20, 31, v19
	s_brev_b32 s5, -2
	v_xor_b32_e32 v5, v4, v19
	v_xor_b32_e32 v4, v20, v18
	v_cmp_ne_u64_e32 vcc, s[4:5], v[4:5]
	v_cndmask_b32_e32 v21, v33, v5, vcc
	v_cndmask_b32_e32 v20, 0, v4, vcc
	v_lshrrev_b64 v[20:21], s48, v[20:21]
	v_and_b32_e32 v20, s17, v20
	v_lshl_add_u32 v19, v20, 4, v20
	v_add_lshl_u32 v35, v34, v19, 2
	v_and_b32_e32 v19, 1, v20
	v_add_co_u32_e32 v21, vcc, -1, v19
	v_addc_co_u32_e64 v32, s[2:3], 0, -1, vcc
	v_cmp_ne_u32_e32 vcc, 0, v19
	v_xor_b32_e32 v19, vcc_hi, v32
	v_mov_b32_e32 v18, 0
	v_and_b32_e32 v32, exec_hi, v19
	v_lshlrev_b32_e32 v19, 30, v20
	v_xor_b32_e32 v21, vcc_lo, v21
	v_cmp_gt_i64_e32 vcc, 0, v[18:19]
	v_not_b32_e32 v19, v19
	v_ashrrev_i32_e32 v19, 31, v19
	v_and_b32_e32 v21, exec_lo, v21
	v_xor_b32_e32 v36, vcc_hi, v19
	v_xor_b32_e32 v19, vcc_lo, v19
	v_and_b32_e32 v21, v21, v19
	v_lshlrev_b32_e32 v19, 29, v20
	v_cmp_gt_i64_e32 vcc, 0, v[18:19]
	v_not_b32_e32 v19, v19
	v_ashrrev_i32_e32 v19, 31, v19
	v_and_b32_e32 v32, v32, v36
	v_xor_b32_e32 v36, vcc_hi, v19
	v_xor_b32_e32 v19, vcc_lo, v19
	v_and_b32_e32 v21, v21, v19
	v_lshlrev_b32_e32 v19, 28, v20
	v_cmp_gt_i64_e32 vcc, 0, v[18:19]
	v_not_b32_e32 v19, v19
	v_ashrrev_i32_e32 v19, 31, v19
	v_and_b32_e32 v32, v32, v36
	;; [unrolled: 8-line block ×5, first 2 shown]
	v_xor_b32_e32 v36, vcc_hi, v19
	v_xor_b32_e32 v19, vcc_lo, v19
	v_and_b32_e32 v32, v32, v36
	v_and_b32_e32 v36, v21, v19
	v_lshlrev_b32_e32 v19, 24, v20
	v_cmp_gt_i64_e32 vcc, 0, v[18:19]
	v_not_b32_e32 v19, v19
	v_ashrrev_i32_e32 v19, 31, v19
	v_xor_b32_e32 v20, vcc_hi, v19
	v_xor_b32_e32 v19, vcc_lo, v19
	; wave barrier
	ds_read_b32 v30, v35 offset:64
	v_and_b32_e32 v21, v32, v20
	v_and_b32_e32 v20, v36, v19
	v_mbcnt_lo_u32_b32 v19, v20, 0
	v_mbcnt_hi_u32_b32 v32, v21, v19
	v_cmp_eq_u32_e32 vcc, 0, v32
	v_cmp_ne_u64_e64 s[2:3], 0, v[20:21]
	s_and_b64 s[6:7], s[2:3], vcc
	; wave barrier
	s_and_saveexec_b64 s[2:3], s[6:7]
	s_cbranch_execz .LBB1629_88
; %bb.87:
	v_bcnt_u32_b32 v19, v20, 0
	v_bcnt_u32_b32 v19, v21, v19
	s_waitcnt lgkmcnt(0)
	v_add_u32_e32 v19, v30, v19
	ds_write_b32 v35, v19 offset:64
.LBB1629_88:
	s_or_b64 exec, exec, s[2:3]
	s_waitcnt vmcnt(4)
	v_cmp_lt_i64_e32 vcc, -1, v[6:7]
	v_cndmask_b32_e32 v19, -1, v33, vcc
	v_ashrrev_i32_e32 v20, 31, v7
	v_xor_b32_e32 v7, v19, v7
	v_xor_b32_e32 v6, v20, v6
	v_cmp_ne_u64_e32 vcc, s[4:5], v[6:7]
	v_cndmask_b32_e32 v21, v33, v7, vcc
	v_cndmask_b32_e32 v20, 0, v6, vcc
	v_lshrrev_b64 v[20:21], s48, v[20:21]
	v_and_b32_e32 v20, s17, v20
	v_lshl_add_u32 v19, v20, 4, v20
	v_add_lshl_u32 v38, v34, v19, 2
	v_and_b32_e32 v19, 1, v20
	v_add_co_u32_e32 v21, vcc, -1, v19
	v_addc_co_u32_e64 v36, s[2:3], 0, -1, vcc
	v_cmp_ne_u32_e32 vcc, 0, v19
	v_xor_b32_e32 v19, vcc_hi, v36
	v_and_b32_e32 v36, exec_hi, v19
	v_lshlrev_b32_e32 v19, 30, v20
	v_xor_b32_e32 v21, vcc_lo, v21
	v_cmp_gt_i64_e32 vcc, 0, v[18:19]
	v_not_b32_e32 v19, v19
	v_ashrrev_i32_e32 v19, 31, v19
	v_and_b32_e32 v21, exec_lo, v21
	v_xor_b32_e32 v37, vcc_hi, v19
	v_xor_b32_e32 v19, vcc_lo, v19
	v_and_b32_e32 v21, v21, v19
	v_lshlrev_b32_e32 v19, 29, v20
	v_cmp_gt_i64_e32 vcc, 0, v[18:19]
	v_not_b32_e32 v19, v19
	v_ashrrev_i32_e32 v19, 31, v19
	v_and_b32_e32 v36, v36, v37
	v_xor_b32_e32 v37, vcc_hi, v19
	v_xor_b32_e32 v19, vcc_lo, v19
	v_and_b32_e32 v21, v21, v19
	v_lshlrev_b32_e32 v19, 28, v20
	v_cmp_gt_i64_e32 vcc, 0, v[18:19]
	v_not_b32_e32 v19, v19
	v_ashrrev_i32_e32 v19, 31, v19
	v_and_b32_e32 v36, v36, v37
	;; [unrolled: 8-line block ×5, first 2 shown]
	v_xor_b32_e32 v37, vcc_hi, v19
	v_xor_b32_e32 v19, vcc_lo, v19
	v_and_b32_e32 v21, v21, v19
	v_lshlrev_b32_e32 v19, 24, v20
	v_cmp_gt_i64_e32 vcc, 0, v[18:19]
	v_not_b32_e32 v18, v19
	v_ashrrev_i32_e32 v18, 31, v18
	v_xor_b32_e32 v19, vcc_hi, v18
	v_xor_b32_e32 v18, vcc_lo, v18
	; wave barrier
	ds_read_b32 v33, v38 offset:64
	v_and_b32_e32 v36, v36, v37
	v_and_b32_e32 v18, v21, v18
	;; [unrolled: 1-line block ×3, first 2 shown]
	v_mbcnt_lo_u32_b32 v20, v18, 0
	v_mbcnt_hi_u32_b32 v36, v19, v20
	v_cmp_eq_u32_e32 vcc, 0, v36
	v_cmp_ne_u64_e64 s[2:3], 0, v[18:19]
	s_and_b64 s[4:5], s[2:3], vcc
	; wave barrier
	s_and_saveexec_b64 s[2:3], s[4:5]
	s_cbranch_execz .LBB1629_90
; %bb.89:
	v_bcnt_u32_b32 v18, v18, 0
	v_bcnt_u32_b32 v18, v19, v18
	s_waitcnt lgkmcnt(0)
	v_add_u32_e32 v18, v33, v18
	ds_write_b32 v38, v18 offset:64
.LBB1629_90:
	s_or_b64 exec, exec, s[2:3]
	v_bfrev_b32_e32 v40, 1
	s_waitcnt vmcnt(3)
	v_cmp_lt_i64_e32 vcc, -1, v[8:9]
	s_mov_b32 s4, -1
	v_cndmask_b32_e32 v18, -1, v40, vcc
	v_ashrrev_i32_e32 v19, 31, v9
	s_brev_b32 s5, -2
	v_xor_b32_e32 v9, v18, v9
	v_xor_b32_e32 v8, v19, v8
	v_cmp_ne_u64_e32 vcc, s[4:5], v[8:9]
	v_cndmask_b32_e32 v21, v40, v9, vcc
	v_cndmask_b32_e32 v20, 0, v8, vcc
	v_lshrrev_b64 v[20:21], s48, v[20:21]
	v_and_b32_e32 v20, s17, v20
	v_lshl_add_u32 v19, v20, 4, v20
	v_add_lshl_u32 v41, v34, v19, 2
	v_and_b32_e32 v19, 1, v20
	v_add_co_u32_e32 v21, vcc, -1, v19
	v_addc_co_u32_e64 v39, s[2:3], 0, -1, vcc
	v_cmp_ne_u32_e32 vcc, 0, v19
	v_xor_b32_e32 v19, vcc_hi, v39
	v_mov_b32_e32 v18, 0
	v_and_b32_e32 v39, exec_hi, v19
	v_lshlrev_b32_e32 v19, 30, v20
	v_xor_b32_e32 v21, vcc_lo, v21
	v_cmp_gt_i64_e32 vcc, 0, v[18:19]
	v_not_b32_e32 v19, v19
	v_ashrrev_i32_e32 v19, 31, v19
	v_and_b32_e32 v21, exec_lo, v21
	v_xor_b32_e32 v42, vcc_hi, v19
	v_xor_b32_e32 v19, vcc_lo, v19
	v_and_b32_e32 v21, v21, v19
	v_lshlrev_b32_e32 v19, 29, v20
	v_cmp_gt_i64_e32 vcc, 0, v[18:19]
	v_not_b32_e32 v19, v19
	v_ashrrev_i32_e32 v19, 31, v19
	v_and_b32_e32 v39, v39, v42
	v_xor_b32_e32 v42, vcc_hi, v19
	v_xor_b32_e32 v19, vcc_lo, v19
	v_and_b32_e32 v21, v21, v19
	v_lshlrev_b32_e32 v19, 28, v20
	v_cmp_gt_i64_e32 vcc, 0, v[18:19]
	v_not_b32_e32 v19, v19
	v_ashrrev_i32_e32 v19, 31, v19
	v_and_b32_e32 v39, v39, v42
	;; [unrolled: 8-line block ×5, first 2 shown]
	v_xor_b32_e32 v42, vcc_hi, v19
	v_xor_b32_e32 v19, vcc_lo, v19
	v_and_b32_e32 v39, v39, v42
	v_and_b32_e32 v42, v21, v19
	v_lshlrev_b32_e32 v19, 24, v20
	v_cmp_gt_i64_e32 vcc, 0, v[18:19]
	v_not_b32_e32 v19, v19
	v_ashrrev_i32_e32 v19, 31, v19
	v_xor_b32_e32 v20, vcc_hi, v19
	v_xor_b32_e32 v19, vcc_lo, v19
	; wave barrier
	ds_read_b32 v37, v41 offset:64
	v_and_b32_e32 v21, v39, v20
	v_and_b32_e32 v20, v42, v19
	v_mbcnt_lo_u32_b32 v19, v20, 0
	v_mbcnt_hi_u32_b32 v39, v21, v19
	v_cmp_eq_u32_e32 vcc, 0, v39
	v_cmp_ne_u64_e64 s[2:3], 0, v[20:21]
	s_and_b64 s[6:7], s[2:3], vcc
	; wave barrier
	s_and_saveexec_b64 s[2:3], s[6:7]
	s_cbranch_execz .LBB1629_92
; %bb.91:
	v_bcnt_u32_b32 v19, v20, 0
	v_bcnt_u32_b32 v19, v21, v19
	s_waitcnt lgkmcnt(0)
	v_add_u32_e32 v19, v37, v19
	ds_write_b32 v41, v19 offset:64
.LBB1629_92:
	s_or_b64 exec, exec, s[2:3]
	s_waitcnt vmcnt(2)
	v_cmp_lt_i64_e32 vcc, -1, v[12:13]
	v_cndmask_b32_e32 v19, -1, v40, vcc
	v_ashrrev_i32_e32 v20, 31, v13
	v_xor_b32_e32 v13, v19, v13
	v_xor_b32_e32 v12, v20, v12
	v_cmp_ne_u64_e32 vcc, s[4:5], v[12:13]
	v_cndmask_b32_e32 v21, v40, v13, vcc
	v_cndmask_b32_e32 v20, 0, v12, vcc
	v_lshrrev_b64 v[20:21], s48, v[20:21]
	v_and_b32_e32 v20, s17, v20
	v_lshl_add_u32 v19, v20, 4, v20
	v_add_lshl_u32 v44, v34, v19, 2
	v_and_b32_e32 v19, 1, v20
	v_add_co_u32_e32 v21, vcc, -1, v19
	v_addc_co_u32_e64 v42, s[2:3], 0, -1, vcc
	v_cmp_ne_u32_e32 vcc, 0, v19
	v_xor_b32_e32 v19, vcc_hi, v42
	v_and_b32_e32 v42, exec_hi, v19
	v_lshlrev_b32_e32 v19, 30, v20
	v_xor_b32_e32 v21, vcc_lo, v21
	v_cmp_gt_i64_e32 vcc, 0, v[18:19]
	v_not_b32_e32 v19, v19
	v_ashrrev_i32_e32 v19, 31, v19
	v_and_b32_e32 v21, exec_lo, v21
	v_xor_b32_e32 v43, vcc_hi, v19
	v_xor_b32_e32 v19, vcc_lo, v19
	v_and_b32_e32 v21, v21, v19
	v_lshlrev_b32_e32 v19, 29, v20
	v_cmp_gt_i64_e32 vcc, 0, v[18:19]
	v_not_b32_e32 v19, v19
	v_ashrrev_i32_e32 v19, 31, v19
	v_and_b32_e32 v42, v42, v43
	v_xor_b32_e32 v43, vcc_hi, v19
	v_xor_b32_e32 v19, vcc_lo, v19
	v_and_b32_e32 v21, v21, v19
	v_lshlrev_b32_e32 v19, 28, v20
	v_cmp_gt_i64_e32 vcc, 0, v[18:19]
	v_not_b32_e32 v19, v19
	v_ashrrev_i32_e32 v19, 31, v19
	v_and_b32_e32 v42, v42, v43
	;; [unrolled: 8-line block ×5, first 2 shown]
	v_xor_b32_e32 v43, vcc_hi, v19
	v_xor_b32_e32 v19, vcc_lo, v19
	v_and_b32_e32 v21, v21, v19
	v_lshlrev_b32_e32 v19, 24, v20
	v_cmp_gt_i64_e32 vcc, 0, v[18:19]
	v_not_b32_e32 v18, v19
	v_ashrrev_i32_e32 v18, 31, v18
	v_xor_b32_e32 v19, vcc_hi, v18
	v_xor_b32_e32 v18, vcc_lo, v18
	; wave barrier
	ds_read_b32 v40, v44 offset:64
	v_and_b32_e32 v42, v42, v43
	v_and_b32_e32 v18, v21, v18
	;; [unrolled: 1-line block ×3, first 2 shown]
	v_mbcnt_lo_u32_b32 v20, v18, 0
	v_mbcnt_hi_u32_b32 v42, v19, v20
	v_cmp_eq_u32_e32 vcc, 0, v42
	v_cmp_ne_u64_e64 s[2:3], 0, v[18:19]
	s_and_b64 s[4:5], s[2:3], vcc
	; wave barrier
	s_and_saveexec_b64 s[2:3], s[4:5]
	s_cbranch_execz .LBB1629_94
; %bb.93:
	v_bcnt_u32_b32 v18, v18, 0
	v_bcnt_u32_b32 v18, v19, v18
	s_waitcnt lgkmcnt(0)
	v_add_u32_e32 v18, v40, v18
	ds_write_b32 v44, v18 offset:64
.LBB1629_94:
	s_or_b64 exec, exec, s[2:3]
	v_bfrev_b32_e32 v47, 1
	s_waitcnt vmcnt(1)
	v_cmp_lt_i64_e32 vcc, -1, v[16:17]
	s_mov_b32 s4, -1
	v_cndmask_b32_e32 v18, -1, v47, vcc
	v_ashrrev_i32_e32 v19, 31, v17
	s_brev_b32 s5, -2
	v_xor_b32_e32 v17, v18, v17
	v_xor_b32_e32 v16, v19, v16
	v_cmp_ne_u64_e32 vcc, s[4:5], v[16:17]
	v_cndmask_b32_e32 v21, v47, v17, vcc
	v_cndmask_b32_e32 v20, 0, v16, vcc
	v_lshrrev_b64 v[20:21], s48, v[20:21]
	v_and_b32_e32 v20, s17, v20
	v_lshl_add_u32 v19, v20, 4, v20
	v_add_lshl_u32 v46, v19, v34, 2
	v_and_b32_e32 v19, 1, v20
	v_add_co_u32_e32 v21, vcc, -1, v19
	v_addc_co_u32_e64 v45, s[2:3], 0, -1, vcc
	v_cmp_ne_u32_e32 vcc, 0, v19
	v_xor_b32_e32 v19, vcc_hi, v45
	v_mov_b32_e32 v18, 0
	v_and_b32_e32 v45, exec_hi, v19
	v_lshlrev_b32_e32 v19, 30, v20
	v_xor_b32_e32 v21, vcc_lo, v21
	v_cmp_gt_i64_e32 vcc, 0, v[18:19]
	v_not_b32_e32 v19, v19
	v_ashrrev_i32_e32 v19, 31, v19
	v_and_b32_e32 v21, exec_lo, v21
	v_xor_b32_e32 v48, vcc_hi, v19
	v_xor_b32_e32 v19, vcc_lo, v19
	v_and_b32_e32 v21, v21, v19
	v_lshlrev_b32_e32 v19, 29, v20
	v_cmp_gt_i64_e32 vcc, 0, v[18:19]
	v_not_b32_e32 v19, v19
	v_ashrrev_i32_e32 v19, 31, v19
	v_and_b32_e32 v45, v45, v48
	v_xor_b32_e32 v48, vcc_hi, v19
	v_xor_b32_e32 v19, vcc_lo, v19
	v_and_b32_e32 v21, v21, v19
	v_lshlrev_b32_e32 v19, 28, v20
	v_cmp_gt_i64_e32 vcc, 0, v[18:19]
	v_not_b32_e32 v19, v19
	v_ashrrev_i32_e32 v19, 31, v19
	v_and_b32_e32 v45, v45, v48
	;; [unrolled: 8-line block ×5, first 2 shown]
	v_xor_b32_e32 v48, vcc_hi, v19
	v_xor_b32_e32 v19, vcc_lo, v19
	v_and_b32_e32 v45, v45, v48
	v_and_b32_e32 v48, v21, v19
	v_lshlrev_b32_e32 v19, 24, v20
	v_cmp_gt_i64_e32 vcc, 0, v[18:19]
	v_not_b32_e32 v19, v19
	v_ashrrev_i32_e32 v19, 31, v19
	v_xor_b32_e32 v20, vcc_hi, v19
	v_xor_b32_e32 v19, vcc_lo, v19
	; wave barrier
	ds_read_b32 v43, v46 offset:64
	v_and_b32_e32 v21, v45, v20
	v_and_b32_e32 v20, v48, v19
	v_mbcnt_lo_u32_b32 v19, v20, 0
	v_mbcnt_hi_u32_b32 v45, v21, v19
	v_cmp_eq_u32_e32 vcc, 0, v45
	v_cmp_ne_u64_e64 s[2:3], 0, v[20:21]
	s_and_b64 s[6:7], s[2:3], vcc
	; wave barrier
	s_and_saveexec_b64 s[2:3], s[6:7]
	s_cbranch_execz .LBB1629_96
; %bb.95:
	v_bcnt_u32_b32 v19, v20, 0
	v_bcnt_u32_b32 v19, v21, v19
	s_waitcnt lgkmcnt(0)
	v_add_u32_e32 v19, v43, v19
	ds_write_b32 v46, v19 offset:64
.LBB1629_96:
	s_or_b64 exec, exec, s[2:3]
	s_waitcnt vmcnt(0)
	v_cmp_lt_i64_e32 vcc, -1, v[14:15]
	v_cndmask_b32_e32 v19, -1, v47, vcc
	v_ashrrev_i32_e32 v20, 31, v15
	v_xor_b32_e32 v15, v19, v15
	v_xor_b32_e32 v14, v20, v14
	v_cmp_ne_u64_e32 vcc, s[4:5], v[14:15]
	v_cndmask_b32_e32 v21, v47, v15, vcc
	v_cndmask_b32_e32 v20, 0, v14, vcc
	v_lshrrev_b64 v[20:21], s48, v[20:21]
	v_and_b32_e32 v20, s17, v20
	v_lshl_add_u32 v19, v20, 4, v20
	v_add_lshl_u32 v49, v19, v34, 2
	v_and_b32_e32 v19, 1, v20
	v_add_co_u32_e32 v21, vcc, -1, v19
	v_addc_co_u32_e64 v47, s[2:3], 0, -1, vcc
	v_cmp_ne_u32_e32 vcc, 0, v19
	v_xor_b32_e32 v19, vcc_hi, v47
	v_and_b32_e32 v47, exec_hi, v19
	v_lshlrev_b32_e32 v19, 30, v20
	v_xor_b32_e32 v21, vcc_lo, v21
	v_cmp_gt_i64_e32 vcc, 0, v[18:19]
	v_not_b32_e32 v19, v19
	v_ashrrev_i32_e32 v19, 31, v19
	v_and_b32_e32 v21, exec_lo, v21
	v_xor_b32_e32 v50, vcc_hi, v19
	v_xor_b32_e32 v19, vcc_lo, v19
	v_and_b32_e32 v21, v21, v19
	v_lshlrev_b32_e32 v19, 29, v20
	v_cmp_gt_i64_e32 vcc, 0, v[18:19]
	v_not_b32_e32 v19, v19
	v_ashrrev_i32_e32 v19, 31, v19
	v_and_b32_e32 v47, v47, v50
	v_xor_b32_e32 v50, vcc_hi, v19
	v_xor_b32_e32 v19, vcc_lo, v19
	v_and_b32_e32 v21, v21, v19
	v_lshlrev_b32_e32 v19, 28, v20
	v_cmp_gt_i64_e32 vcc, 0, v[18:19]
	v_not_b32_e32 v19, v19
	v_ashrrev_i32_e32 v19, 31, v19
	v_and_b32_e32 v47, v47, v50
	;; [unrolled: 8-line block ×5, first 2 shown]
	v_xor_b32_e32 v50, vcc_hi, v19
	v_xor_b32_e32 v19, vcc_lo, v19
	v_and_b32_e32 v21, v21, v19
	v_lshlrev_b32_e32 v19, 24, v20
	v_cmp_gt_i64_e32 vcc, 0, v[18:19]
	v_not_b32_e32 v18, v19
	v_ashrrev_i32_e32 v18, 31, v18
	v_xor_b32_e32 v19, vcc_hi, v18
	v_xor_b32_e32 v18, vcc_lo, v18
	; wave barrier
	ds_read_b32 v34, v49 offset:64
	v_and_b32_e32 v47, v47, v50
	v_and_b32_e32 v18, v21, v18
	;; [unrolled: 1-line block ×3, first 2 shown]
	v_mbcnt_lo_u32_b32 v20, v18, 0
	v_mbcnt_hi_u32_b32 v47, v19, v20
	v_cmp_eq_u32_e32 vcc, 0, v47
	v_cmp_ne_u64_e64 s[2:3], 0, v[18:19]
	v_add_u32_e32 v48, 64, v23
	s_and_b64 s[4:5], s[2:3], vcc
	; wave barrier
	s_and_saveexec_b64 s[2:3], s[4:5]
	s_cbranch_execz .LBB1629_98
; %bb.97:
	v_bcnt_u32_b32 v18, v18, 0
	v_bcnt_u32_b32 v18, v19, v18
	s_waitcnt lgkmcnt(0)
	v_add_u32_e32 v18, v34, v18
	ds_write_b32 v49, v18 offset:64
.LBB1629_98:
	s_or_b64 exec, exec, s[2:3]
	; wave barrier
	s_waitcnt lgkmcnt(0)
	s_barrier
	ds_read2_b32 v[20:21], v23 offset0:16 offset1:17
	ds_read2_b32 v[18:19], v48 offset0:2 offset1:3
	ds_read_b32 v50, v48 offset:16
	v_cmp_lt_u32_e64 s[8:9], 31, v22
	s_waitcnt lgkmcnt(1)
	v_add3_u32 v51, v21, v20, v18
	s_waitcnt lgkmcnt(0)
	v_add3_u32 v50, v51, v19, v50
	v_and_b32_e32 v51, 15, v22
	v_cmp_eq_u32_e32 vcc, 0, v51
	v_mov_b32_dpp v52, v50 row_shr:1 row_mask:0xf bank_mask:0xf
	v_cndmask_b32_e64 v52, v52, 0, vcc
	v_add_u32_e32 v50, v52, v50
	v_cmp_lt_u32_e64 s[2:3], 1, v51
	v_cmp_lt_u32_e64 s[4:5], 3, v51
	v_mov_b32_dpp v52, v50 row_shr:2 row_mask:0xf bank_mask:0xf
	v_cndmask_b32_e64 v52, 0, v52, s[2:3]
	v_add_u32_e32 v50, v50, v52
	v_cmp_lt_u32_e64 s[6:7], 7, v51
	s_nop 0
	v_mov_b32_dpp v52, v50 row_shr:4 row_mask:0xf bank_mask:0xf
	v_cndmask_b32_e64 v52, 0, v52, s[4:5]
	v_add_u32_e32 v50, v50, v52
	s_nop 1
	v_mov_b32_dpp v52, v50 row_shr:8 row_mask:0xf bank_mask:0xf
	v_cndmask_b32_e64 v51, 0, v52, s[6:7]
	v_add_u32_e32 v50, v50, v51
	v_bfe_i32 v52, v22, 4, 1
	s_nop 0
	v_mov_b32_dpp v51, v50 row_bcast:15 row_mask:0xf bank_mask:0xf
	v_and_b32_e32 v51, v52, v51
	v_add_u32_e32 v50, v50, v51
	v_and_b32_e32 v52, 63, v10
	s_nop 0
	v_mov_b32_dpp v51, v50 row_bcast:31 row_mask:0xf bank_mask:0xf
	v_cndmask_b32_e64 v51, 0, v51, s[8:9]
	v_add_u32_e32 v50, v50, v51
	v_lshrrev_b32_e32 v51, 6, v10
	v_cmp_eq_u32_e64 s[8:9], 63, v52
	s_and_saveexec_b64 s[14:15], s[8:9]
	s_cbranch_execz .LBB1629_100
; %bb.99:
	v_lshlrev_b32_e32 v52, 2, v51
	ds_write_b32 v52, v50
.LBB1629_100:
	s_or_b64 exec, exec, s[14:15]
	v_cmp_gt_u32_e64 s[8:9], 16, v10
	s_waitcnt lgkmcnt(0)
	s_barrier
	s_and_saveexec_b64 s[14:15], s[8:9]
	s_cbranch_execz .LBB1629_102
; %bb.101:
	v_lshlrev_b32_e32 v52, 2, v10
	ds_read_b32 v53, v52
	s_waitcnt lgkmcnt(0)
	s_nop 0
	v_mov_b32_dpp v54, v53 row_shr:1 row_mask:0xf bank_mask:0xf
	v_cndmask_b32_e64 v54, v54, 0, vcc
	v_add_u32_e32 v53, v54, v53
	s_nop 1
	v_mov_b32_dpp v54, v53 row_shr:2 row_mask:0xf bank_mask:0xf
	v_cndmask_b32_e64 v54, 0, v54, s[2:3]
	v_add_u32_e32 v53, v53, v54
	s_nop 1
	v_mov_b32_dpp v54, v53 row_shr:4 row_mask:0xf bank_mask:0xf
	v_cndmask_b32_e64 v54, 0, v54, s[4:5]
	;; [unrolled: 4-line block ×3, first 2 shown]
	v_add_u32_e32 v53, v53, v54
	ds_write_b32 v52, v53
.LBB1629_102:
	s_or_b64 exec, exec, s[14:15]
	v_cmp_lt_u32_e32 vcc, 63, v10
	v_mov_b32_e32 v52, 0
	s_waitcnt lgkmcnt(0)
	s_barrier
	s_and_saveexec_b64 s[2:3], vcc
	s_cbranch_execz .LBB1629_104
; %bb.103:
	v_lshl_add_u32 v51, v51, 2, -4
	ds_read_b32 v52, v51
.LBB1629_104:
	s_or_b64 exec, exec, s[2:3]
	v_add_u32_e32 v51, -1, v22
	v_and_b32_e32 v53, 64, v22
	v_cmp_lt_i32_e32 vcc, v51, v53
	v_cndmask_b32_e32 v51, v51, v22, vcc
	s_waitcnt lgkmcnt(0)
	v_add_u32_e32 v50, v52, v50
	v_lshlrev_b32_e32 v51, 2, v51
	ds_bpermute_b32 v50, v51, v50
	v_cmp_eq_u32_e32 vcc, 0, v22
	s_waitcnt lgkmcnt(0)
	v_cndmask_b32_e32 v22, v50, v52, vcc
	v_cndmask_b32_e64 v22, v22, 0, s[0:1]
	v_add_u32_e32 v20, v22, v20
	v_add_u32_e32 v21, v20, v21
	;; [unrolled: 1-line block ×4, first 2 shown]
	ds_write2_b32 v23, v22, v20 offset0:16 offset1:17
	ds_write2_b32 v48, v21, v18 offset0:2 offset1:3
	ds_write_b32 v48, v19 offset:16
	s_waitcnt lgkmcnt(0)
	s_barrier
	ds_read_b32 v50, v28 offset:64
	ds_read_b32 v48, v31 offset:64
	;; [unrolled: 1-line block ×8, first 2 shown]
	s_movk_i32 s0, 0x100
	v_cmp_gt_u32_e32 vcc, s0, v10
                                        ; implicit-def: $vgpr28
                                        ; implicit-def: $vgpr31
	s_and_saveexec_b64 s[2:3], vcc
	s_cbranch_execz .LBB1629_108
; %bb.105:
	v_mul_u32_u24_e32 v18, 17, v10
	v_lshlrev_b32_e32 v19, 2, v18
	ds_read_b32 v28, v19 offset:64
	s_movk_i32 s0, 0xff
	v_cmp_ne_u32_e64 s[0:1], s0, v10
	v_mov_b32_e32 v18, 0x2000
	s_and_saveexec_b64 s[4:5], s[0:1]
	s_cbranch_execz .LBB1629_107
; %bb.106:
	ds_read_b32 v18, v19 offset:132
.LBB1629_107:
	s_or_b64 exec, exec, s[4:5]
	s_waitcnt lgkmcnt(0)
	v_sub_u32_e32 v31, v18, v28
.LBB1629_108:
	s_or_b64 exec, exec, s[2:3]
	s_waitcnt lgkmcnt(0)
	s_barrier
	s_and_saveexec_b64 s[2:3], vcc
	s_cbranch_execz .LBB1629_118
; %bb.109:
	v_lshl_or_b32 v18, s33, 8, v10
	v_mov_b32_e32 v19, 0
	v_lshlrev_b64 v[20:21], 2, v[18:19]
	v_mov_b32_e32 v51, s31
	v_add_co_u32_e64 v20, s[0:1], s30, v20
	v_addc_co_u32_e64 v21, s[0:1], v51, v21, s[0:1]
	v_or_b32_e32 v18, 2.0, v31
	s_mov_b64 s[4:5], 0
	s_brev_b32 s14, 1
	s_mov_b32 s15, s33
	v_mov_b32_e32 v52, 0
	global_store_dword v[20:21], v18, off
                                        ; implicit-def: $sgpr0_sgpr1
	s_branch .LBB1629_112
.LBB1629_110:                           ;   in Loop: Header=BB1629_112 Depth=1
	s_or_b64 exec, exec, s[8:9]
.LBB1629_111:                           ;   in Loop: Header=BB1629_112 Depth=1
	s_or_b64 exec, exec, s[6:7]
	v_and_b32_e32 v22, 0x3fffffff, v53
	v_add_u32_e32 v52, v22, v52
	v_cmp_eq_u32_e64 s[0:1], s14, v18
	s_and_b64 s[6:7], exec, s[0:1]
	s_or_b64 s[4:5], s[6:7], s[4:5]
	s_andn2_b64 exec, exec, s[4:5]
	s_cbranch_execz .LBB1629_117
.LBB1629_112:                           ; =>This Loop Header: Depth=1
                                        ;     Child Loop BB1629_115 Depth 2
	s_or_b64 s[0:1], s[0:1], exec
	s_cmp_eq_u32 s15, 0
	s_cbranch_scc1 .LBB1629_116
; %bb.113:                              ;   in Loop: Header=BB1629_112 Depth=1
	s_add_i32 s15, s15, -1
	v_lshl_or_b32 v18, s15, 8, v10
	v_lshlrev_b64 v[22:23], 2, v[18:19]
	v_add_co_u32_e64 v22, s[0:1], s30, v22
	v_addc_co_u32_e64 v23, s[0:1], v51, v23, s[0:1]
	global_load_dword v53, v[22:23], off glc
	s_waitcnt vmcnt(0)
	v_and_b32_e32 v18, -2.0, v53
	v_cmp_eq_u32_e64 s[0:1], 0, v18
	s_and_saveexec_b64 s[6:7], s[0:1]
	s_cbranch_execz .LBB1629_111
; %bb.114:                              ;   in Loop: Header=BB1629_112 Depth=1
	s_mov_b64 s[8:9], 0
.LBB1629_115:                           ;   Parent Loop BB1629_112 Depth=1
                                        ; =>  This Inner Loop Header: Depth=2
	global_load_dword v53, v[22:23], off glc
	s_waitcnt vmcnt(0)
	v_and_b32_e32 v18, -2.0, v53
	v_cmp_ne_u32_e64 s[0:1], 0, v18
	s_or_b64 s[8:9], s[0:1], s[8:9]
	s_andn2_b64 exec, exec, s[8:9]
	s_cbranch_execnz .LBB1629_115
	s_branch .LBB1629_110
.LBB1629_116:                           ;   in Loop: Header=BB1629_112 Depth=1
                                        ; implicit-def: $sgpr15
	s_and_b64 s[6:7], exec, s[0:1]
	s_or_b64 s[4:5], s[6:7], s[4:5]
	s_andn2_b64 exec, exec, s[4:5]
	s_cbranch_execnz .LBB1629_112
.LBB1629_117:
	s_or_b64 exec, exec, s[4:5]
	v_add_u32_e32 v18, v52, v31
	v_or_b32_e32 v18, 0x80000000, v18
	global_store_dword v[20:21], v18, off
	v_lshlrev_b32_e32 v18, 2, v10
	global_load_dword v19, v18, s[44:45]
	v_sub_u32_e32 v20, v52, v28
	s_waitcnt vmcnt(0)
	v_add_u32_e32 v19, v20, v19
	ds_write_b32 v18, v19
.LBB1629_118:
	s_or_b64 exec, exec, s[2:3]
	s_mov_b32 s4, -1
	v_add_u32_e32 v20, v50, v26
	s_movk_i32 s6, 0x400
	v_add_u32_e32 v21, 0x400, v11
	v_add3_u32 v22, v47, v49, v34
	v_add3_u32 v23, v45, v46, v43
	;; [unrolled: 1-line block ×7, first 2 shown]
	s_mov_b32 s7, 0
	s_mov_b32 s8, 1
	s_brev_b32 s5, -2
	v_bfrev_b32_e32 v41, 1
	v_mov_b32_e32 v42, s39
	v_mov_b32_e32 v19, 0
	;; [unrolled: 1-line block ×3, first 2 shown]
                                        ; implicit-def: $vgpr40
                                        ; implicit-def: $vgpr39
                                        ; implicit-def: $vgpr38
                                        ; implicit-def: $vgpr37
                                        ; implicit-def: $vgpr36
                                        ; implicit-def: $vgpr35
                                        ; implicit-def: $vgpr32
                                        ; implicit-def: $vgpr29
.LBB1629_119:                           ; =>This Inner Loop Header: Depth=1
	v_add_u32_e32 v18, s7, v20
	v_add_u32_e32 v44, s7, v27
	;; [unrolled: 1-line block ×8, first 2 shown]
	v_min_u32_e32 v18, 0x800, v18
	v_min_u32_e32 v44, 0x800, v44
	;; [unrolled: 1-line block ×8, first 2 shown]
	v_lshlrev_b32_e32 v18, 3, v18
	v_lshlrev_b32_e32 v44, 3, v44
	;; [unrolled: 1-line block ×8, first 2 shown]
	ds_write_b64 v18, v[0:1] offset:1024
	ds_write_b64 v44, v[2:3] offset:1024
	;; [unrolled: 1-line block ×8, first 2 shown]
	s_waitcnt lgkmcnt(0)
	s_barrier
	ds_read_b64 v[44:45], v11 offset:1024
	s_add_i32 s9, s8, -1
	s_cmp_eq_u32 s9, 0
	s_waitcnt lgkmcnt(0)
	v_cmp_ne_u64_e64 s[0:1], s[4:5], v[44:45]
	v_cndmask_b32_e64 v47, v41, v45, s[0:1]
	v_cndmask_b32_e64 v46, 0, v44, s[0:1]
	v_lshrrev_b64 v[46:47], s48, v[46:47]
	v_cmp_lt_i64_e64 s[2:3], -1, v[44:45]
	v_and_b32_e32 v46, s17, v46
	s_cselect_b64 s[0:1], -1, 0
	s_cmp_eq_u32 s9, 1
	v_cndmask_b32_e64 v18, v41, -1, s[2:3]
	v_cndmask_b32_e64 v40, v40, v46, s[0:1]
	s_cselect_b64 s[0:1], -1, 0
	s_cmp_eq_u32 s9, 2
	v_ashrrev_i32_e32 v48, 31, v45
	v_xor_b32_e32 v45, v18, v45
	v_lshlrev_b32_e32 v18, 2, v46
	v_cndmask_b32_e64 v50, v39, v46, s[0:1]
	s_cselect_b64 s[0:1], -1, 0
	s_cmp_eq_u32 s9, 3
	v_cndmask_b32_e64 v51, v38, v46, s[0:1]
	ds_read_b32 v18, v18
	ds_read_b64 v[38:39], v21 offset:8192
	s_cselect_b64 s[0:1], -1, 0
	s_cmp_eq_u32 s9, 4
	v_cndmask_b32_e64 v52, v37, v46, s[0:1]
	s_cselect_b64 s[0:1], -1, 0
	s_cmp_eq_u32 s9, 5
	v_cndmask_b32_e64 v53, v36, v46, s[0:1]
	;; [unrolled: 3-line block ×4, first 2 shown]
	s_waitcnt lgkmcnt(1)
	v_add_u32_e32 v18, v43, v18
	s_cselect_b64 s[0:1], -1, 0
	v_cndmask_b32_e64 v29, v29, v46, s[0:1]
	s_waitcnt lgkmcnt(0)
	v_cmp_ne_u64_e64 s[0:1], s[4:5], v[38:39]
	v_lshlrev_b64 v[46:47], 3, v[18:19]
	v_not_b32_e32 v48, v48
	v_cndmask_b32_e64 v37, v41, v39, s[0:1]
	v_cndmask_b32_e64 v36, 0, v38, s[0:1]
	v_add_co_u32_e64 v46, s[0:1], s38, v46
	v_xor_b32_e32 v44, v48, v44
	v_cmp_lt_i64_e64 s[2:3], -1, v[38:39]
	v_ashrrev_i32_e32 v49, 31, v39
	s_cmp_eq_u32 s8, 7
	v_addc_co_u32_e64 v47, s[0:1], v42, v47, s[0:1]
	v_lshrrev_b64 v[36:37], s48, v[36:37]
	v_cndmask_b32_e64 v48, v41, -1, s[2:3]
	v_not_b32_e32 v18, v49
	global_store_dwordx2 v[46:47], v[44:45], off
	v_and_b32_e32 v44, s17, v36
	s_cselect_b64 s[0:1], -1, 0
	s_cmp_eq_u32 s8, 6
	v_xor_b32_e32 v49, v48, v39
	v_xor_b32_e32 v48, v18, v38
	v_lshlrev_b32_e32 v18, 2, v44
	v_cndmask_b32_e64 v29, v29, v44, s[0:1]
	s_cselect_b64 s[0:1], -1, 0
	s_cmp_eq_u32 s8, 5
	v_cndmask_b32_e64 v32, v32, v44, s[0:1]
	ds_read_b32 v18, v18
	s_cselect_b64 s[0:1], -1, 0
	s_cmp_eq_u32 s8, 4
	v_cndmask_b32_e64 v35, v35, v44, s[0:1]
	s_cselect_b64 s[0:1], -1, 0
	s_cmp_eq_u32 s8, 3
	v_cndmask_b32_e64 v36, v53, v44, s[0:1]
	;; [unrolled: 3-line block ×5, first 2 shown]
	s_waitcnt lgkmcnt(0)
	v_add3_u32 v18, v43, v18, s6
	s_cselect_b64 s[0:1], -1, 0
	v_cndmask_b32_e64 v40, v40, v44, s[0:1]
	v_lshlrev_b64 v[44:45], 3, v[18:19]
	s_addk_i32 s7, 0xf800
	s_add_i32 s8, s8, 2
	v_add_co_u32_e64 v44, s[0:1], s38, v44
	v_add_u32_e32 v43, 0x800, v43
	s_cmpk_lg_i32 s7, 0xe000
	v_addc_co_u32_e64 v45, s[0:1], v42, v45, s[0:1]
	global_store_dwordx2 v[44:45], v[48:49], off
	s_barrier
	s_cbranch_scc1 .LBB1629_119
; %bb.120:
	s_add_u32 s0, s40, s12
	s_addc_u32 s1, s41, s13
	v_mov_b32_e32 v0, s1
	v_add_co_u32_e64 v1, s[0:1], s0, v24
	v_addc_co_u32_e64 v0, s[0:1], 0, v0, s[0:1]
	v_add_co_u32_e64 v18, s[0:1], v1, v25
	v_addc_co_u32_e64 v19, s[0:1], 0, v0, s[0:1]
	global_load_dwordx2 v[0:1], v[18:19], off
	global_load_dwordx2 v[2:3], v[18:19], off offset:512
	global_load_dwordx2 v[4:5], v[18:19], off offset:1024
	global_load_dwordx2 v[6:7], v[18:19], off offset:1536
	global_load_dwordx2 v[8:9], v[18:19], off offset:2048
	global_load_dwordx2 v[12:13], v[18:19], off offset:2560
	global_load_dwordx2 v[14:15], v[18:19], off offset:3072
	global_load_dwordx2 v[16:17], v[18:19], off offset:3584
	s_mov_b32 s2, 0
	s_mov_b32 s3, 1
	s_movk_i32 s4, 0x400
	v_mov_b32_e32 v19, 0
	v_mov_b32_e32 v24, v10
	s_waitcnt vmcnt(0)
.LBB1629_121:                           ; =>This Inner Loop Header: Depth=1
	s_add_i32 s5, s3, -1
	v_add_u32_e32 v18, s2, v20
	s_cmp_eq_u32 s5, 1
	v_add_u32_e32 v25, s2, v27
	v_add_u32_e32 v41, s2, v30
	;; [unrolled: 1-line block ×7, first 2 shown]
	v_min_u32_e32 v18, 0x800, v18
	s_cselect_b64 s[0:1], -1, 0
	s_cmp_eq_u32 s5, 2
	v_min_u32_e32 v25, 0x800, v25
	v_min_u32_e32 v41, 0x800, v41
	;; [unrolled: 1-line block ×7, first 2 shown]
	v_lshlrev_b32_e32 v18, 3, v18
	v_cndmask_b32_e64 v47, v40, v39, s[0:1]
	s_cselect_b64 s[0:1], -1, 0
	s_cmp_eq_u32 s5, 3
	v_lshlrev_b32_e32 v25, 3, v25
	v_lshlrev_b32_e32 v41, 3, v41
	;; [unrolled: 1-line block ×7, first 2 shown]
	ds_write_b64 v18, v[0:1] offset:1024
	ds_write_b64 v25, v[2:3] offset:1024
	;; [unrolled: 1-line block ×8, first 2 shown]
	v_cndmask_b32_e64 v18, v47, v38, s[0:1]
	s_cselect_b64 s[0:1], -1, 0
	s_cmp_eq_u32 s5, 4
	v_cndmask_b32_e64 v18, v18, v37, s[0:1]
	s_cselect_b64 s[0:1], -1, 0
	s_cmp_eq_u32 s5, 5
	;; [unrolled: 3-line block ×9, first 2 shown]
	v_lshlrev_b32_e32 v18, 2, v18
	v_cndmask_b32_e64 v25, v25, v36, s[0:1]
	s_cselect_b64 s[0:1], -1, 0
	s_cmp_eq_u32 s3, 6
	s_waitcnt lgkmcnt(0)
	s_barrier
	ds_read_b64 v[42:43], v11 offset:1024
	ds_read_b32 v18, v18
	v_cndmask_b32_e64 v25, v25, v35, s[0:1]
	s_cselect_b64 s[0:1], -1, 0
	s_cmp_eq_u32 s3, 7
	v_cndmask_b32_e64 v25, v25, v32, s[0:1]
	s_cselect_b64 s[0:1], -1, 0
	v_cndmask_b32_e64 v25, v25, v29, s[0:1]
	v_lshlrev_b32_e32 v25, 2, v25
	ds_read_b32 v25, v25
	ds_read_b64 v[44:45], v21 offset:8192
	s_waitcnt lgkmcnt(2)
	v_add_u32_e32 v18, v24, v18
	v_lshlrev_b64 v[46:47], 3, v[18:19]
	v_mov_b32_e32 v48, s43
	v_add_co_u32_e64 v46, s[0:1], s42, v46
	v_addc_co_u32_e64 v47, s[0:1], v48, v47, s[0:1]
	s_waitcnt lgkmcnt(1)
	v_add3_u32 v18, v24, v25, s4
	global_store_dwordx2 v[46:47], v[42:43], off
	v_lshlrev_b64 v[42:43], 3, v[18:19]
	s_addk_i32 s2, 0xf800
	s_add_i32 s3, s3, 2
	v_add_co_u32_e64 v42, s[0:1], s42, v42
	s_cmpk_lg_i32 s2, 0xe000
	v_add_u32_e32 v24, 0x800, v24
	v_addc_co_u32_e64 v43, s[0:1], v48, v43, s[0:1]
	s_waitcnt lgkmcnt(0)
	global_store_dwordx2 v[42:43], v[44:45], off
	s_barrier
	s_cbranch_scc1 .LBB1629_121
; %bb.122:
	s_add_i32 s16, s16, -1
	s_cmp_eq_u32 s16, s33
	s_cselect_b64 s[0:1], -1, 0
	s_and_b64 s[2:3], vcc, s[0:1]
                                        ; implicit-def: $vgpr2
	s_and_saveexec_b64 s[0:1], s[2:3]
; %bb.123:
	v_add_u32_e32 v2, v28, v31
	s_or_b64 s[10:11], s[10:11], exec
; %bb.124:
	s_or_b64 exec, exec, s[0:1]
.LBB1629_125:
	s_and_saveexec_b64 s[0:1], s[10:11]
	s_cbranch_execnz .LBB1629_127
; %bb.126:
	s_endpgm
.LBB1629_127:
	v_lshlrev_b32_e32 v0, 2, v10
	ds_read_b32 v1, v0
	s_waitcnt lgkmcnt(0)
	v_add_u32_e32 v1, v1, v2
	global_store_dword v0, v1, s[46:47]
	s_endpgm
.LBB1629_128:
	global_load_dwordx2 v[12:13], v[28:29], off
	s_or_b64 exec, exec, s[20:21]
                                        ; implicit-def: $vgpr14_vgpr15
	s_and_saveexec_b64 s[20:21], s[2:3]
	s_cbranch_execz .LBB1629_66
.LBB1629_129:
	global_load_dwordx2 v[14:15], v[28:29], off offset:512
	s_or_b64 exec, exec, s[20:21]
                                        ; implicit-def: $vgpr16_vgpr17
	s_and_saveexec_b64 s[2:3], s[26:27]
	s_cbranch_execz .LBB1629_67
.LBB1629_130:
	global_load_dwordx2 v[16:17], v[28:29], off offset:1024
	s_or_b64 exec, exec, s[2:3]
                                        ; implicit-def: $vgpr18_vgpr19
	s_and_saveexec_b64 s[2:3], s[8:9]
	s_cbranch_execz .LBB1629_68
.LBB1629_131:
	global_load_dwordx2 v[18:19], v[28:29], off offset:1536
	s_or_b64 exec, exec, s[2:3]
                                        ; implicit-def: $vgpr20_vgpr21
	s_and_saveexec_b64 s[2:3], s[10:11]
	s_cbranch_execz .LBB1629_69
.LBB1629_132:
	global_load_dwordx2 v[20:21], v[28:29], off offset:2048
	s_or_b64 exec, exec, s[2:3]
                                        ; implicit-def: $vgpr22_vgpr23
	s_and_saveexec_b64 s[2:3], s[12:13]
	s_cbranch_execz .LBB1629_70
.LBB1629_133:
	global_load_dwordx2 v[22:23], v[28:29], off offset:2560
	s_or_b64 exec, exec, s[2:3]
                                        ; implicit-def: $vgpr24_vgpr25
	s_and_saveexec_b64 s[2:3], s[14:15]
	s_cbranch_execz .LBB1629_71
.LBB1629_134:
	global_load_dwordx2 v[24:25], v[28:29], off offset:3072
	s_or_b64 exec, exec, s[2:3]
                                        ; implicit-def: $vgpr26_vgpr27
	s_and_saveexec_b64 s[2:3], s[16:17]
	s_cbranch_execnz .LBB1629_72
	s_branch .LBB1629_73
	.section	.rodata,"a",@progbits
	.p2align	6, 0x0
	.amdhsa_kernel _ZN7rocprim17ROCPRIM_400000_NS6detail17trampoline_kernelINS0_14default_configENS1_35radix_sort_onesweep_config_selectorIdlEEZZNS1_29radix_sort_onesweep_iterationIS3_Lb0EPdS7_N6thrust23THRUST_200600_302600_NS10device_ptrIlEESB_jNS0_19identity_decomposerENS1_16block_id_wrapperIjLb1EEEEE10hipError_tT1_PNSt15iterator_traitsISG_E10value_typeET2_T3_PNSH_ISM_E10value_typeET4_T5_PSR_SS_PNS1_23onesweep_lookback_stateEbbT6_jjT7_P12ihipStream_tbENKUlT_T0_SG_SL_E_clIS7_S7_SB_PlEEDaSZ_S10_SG_SL_EUlSZ_E_NS1_11comp_targetILNS1_3genE4ELNS1_11target_archE910ELNS1_3gpuE8ELNS1_3repE0EEENS1_47radix_sort_onesweep_sort_config_static_selectorELNS0_4arch9wavefront6targetE1EEEvSG_
		.amdhsa_group_segment_fixed_size 20552
		.amdhsa_private_segment_fixed_size 0
		.amdhsa_kernarg_size 344
		.amdhsa_user_sgpr_count 6
		.amdhsa_user_sgpr_private_segment_buffer 1
		.amdhsa_user_sgpr_dispatch_ptr 0
		.amdhsa_user_sgpr_queue_ptr 0
		.amdhsa_user_sgpr_kernarg_segment_ptr 1
		.amdhsa_user_sgpr_dispatch_id 0
		.amdhsa_user_sgpr_flat_scratch_init 0
		.amdhsa_user_sgpr_kernarg_preload_length 0
		.amdhsa_user_sgpr_kernarg_preload_offset 0
		.amdhsa_user_sgpr_private_segment_size 0
		.amdhsa_uses_dynamic_stack 0
		.amdhsa_system_sgpr_private_segment_wavefront_offset 0
		.amdhsa_system_sgpr_workgroup_id_x 1
		.amdhsa_system_sgpr_workgroup_id_y 0
		.amdhsa_system_sgpr_workgroup_id_z 0
		.amdhsa_system_sgpr_workgroup_info 0
		.amdhsa_system_vgpr_workitem_id 2
		.amdhsa_next_free_vgpr 57
		.amdhsa_next_free_sgpr 56
		.amdhsa_accum_offset 60
		.amdhsa_reserve_vcc 1
		.amdhsa_reserve_flat_scratch 0
		.amdhsa_float_round_mode_32 0
		.amdhsa_float_round_mode_16_64 0
		.amdhsa_float_denorm_mode_32 3
		.amdhsa_float_denorm_mode_16_64 3
		.amdhsa_dx10_clamp 1
		.amdhsa_ieee_mode 1
		.amdhsa_fp16_overflow 0
		.amdhsa_tg_split 0
		.amdhsa_exception_fp_ieee_invalid_op 0
		.amdhsa_exception_fp_denorm_src 0
		.amdhsa_exception_fp_ieee_div_zero 0
		.amdhsa_exception_fp_ieee_overflow 0
		.amdhsa_exception_fp_ieee_underflow 0
		.amdhsa_exception_fp_ieee_inexact 0
		.amdhsa_exception_int_div_zero 0
	.end_amdhsa_kernel
	.section	.text._ZN7rocprim17ROCPRIM_400000_NS6detail17trampoline_kernelINS0_14default_configENS1_35radix_sort_onesweep_config_selectorIdlEEZZNS1_29radix_sort_onesweep_iterationIS3_Lb0EPdS7_N6thrust23THRUST_200600_302600_NS10device_ptrIlEESB_jNS0_19identity_decomposerENS1_16block_id_wrapperIjLb1EEEEE10hipError_tT1_PNSt15iterator_traitsISG_E10value_typeET2_T3_PNSH_ISM_E10value_typeET4_T5_PSR_SS_PNS1_23onesweep_lookback_stateEbbT6_jjT7_P12ihipStream_tbENKUlT_T0_SG_SL_E_clIS7_S7_SB_PlEEDaSZ_S10_SG_SL_EUlSZ_E_NS1_11comp_targetILNS1_3genE4ELNS1_11target_archE910ELNS1_3gpuE8ELNS1_3repE0EEENS1_47radix_sort_onesweep_sort_config_static_selectorELNS0_4arch9wavefront6targetE1EEEvSG_,"axG",@progbits,_ZN7rocprim17ROCPRIM_400000_NS6detail17trampoline_kernelINS0_14default_configENS1_35radix_sort_onesweep_config_selectorIdlEEZZNS1_29radix_sort_onesweep_iterationIS3_Lb0EPdS7_N6thrust23THRUST_200600_302600_NS10device_ptrIlEESB_jNS0_19identity_decomposerENS1_16block_id_wrapperIjLb1EEEEE10hipError_tT1_PNSt15iterator_traitsISG_E10value_typeET2_T3_PNSH_ISM_E10value_typeET4_T5_PSR_SS_PNS1_23onesweep_lookback_stateEbbT6_jjT7_P12ihipStream_tbENKUlT_T0_SG_SL_E_clIS7_S7_SB_PlEEDaSZ_S10_SG_SL_EUlSZ_E_NS1_11comp_targetILNS1_3genE4ELNS1_11target_archE910ELNS1_3gpuE8ELNS1_3repE0EEENS1_47radix_sort_onesweep_sort_config_static_selectorELNS0_4arch9wavefront6targetE1EEEvSG_,comdat
.Lfunc_end1629:
	.size	_ZN7rocprim17ROCPRIM_400000_NS6detail17trampoline_kernelINS0_14default_configENS1_35radix_sort_onesweep_config_selectorIdlEEZZNS1_29radix_sort_onesweep_iterationIS3_Lb0EPdS7_N6thrust23THRUST_200600_302600_NS10device_ptrIlEESB_jNS0_19identity_decomposerENS1_16block_id_wrapperIjLb1EEEEE10hipError_tT1_PNSt15iterator_traitsISG_E10value_typeET2_T3_PNSH_ISM_E10value_typeET4_T5_PSR_SS_PNS1_23onesweep_lookback_stateEbbT6_jjT7_P12ihipStream_tbENKUlT_T0_SG_SL_E_clIS7_S7_SB_PlEEDaSZ_S10_SG_SL_EUlSZ_E_NS1_11comp_targetILNS1_3genE4ELNS1_11target_archE910ELNS1_3gpuE8ELNS1_3repE0EEENS1_47radix_sort_onesweep_sort_config_static_selectorELNS0_4arch9wavefront6targetE1EEEvSG_, .Lfunc_end1629-_ZN7rocprim17ROCPRIM_400000_NS6detail17trampoline_kernelINS0_14default_configENS1_35radix_sort_onesweep_config_selectorIdlEEZZNS1_29radix_sort_onesweep_iterationIS3_Lb0EPdS7_N6thrust23THRUST_200600_302600_NS10device_ptrIlEESB_jNS0_19identity_decomposerENS1_16block_id_wrapperIjLb1EEEEE10hipError_tT1_PNSt15iterator_traitsISG_E10value_typeET2_T3_PNSH_ISM_E10value_typeET4_T5_PSR_SS_PNS1_23onesweep_lookback_stateEbbT6_jjT7_P12ihipStream_tbENKUlT_T0_SG_SL_E_clIS7_S7_SB_PlEEDaSZ_S10_SG_SL_EUlSZ_E_NS1_11comp_targetILNS1_3genE4ELNS1_11target_archE910ELNS1_3gpuE8ELNS1_3repE0EEENS1_47radix_sort_onesweep_sort_config_static_selectorELNS0_4arch9wavefront6targetE1EEEvSG_
                                        ; -- End function
	.section	.AMDGPU.csdata,"",@progbits
; Kernel info:
; codeLenInByte = 13824
; NumSgprs: 60
; NumVgprs: 57
; NumAgprs: 0
; TotalNumVgprs: 57
; ScratchSize: 0
; MemoryBound: 0
; FloatMode: 240
; IeeeMode: 1
; LDSByteSize: 20552 bytes/workgroup (compile time only)
; SGPRBlocks: 7
; VGPRBlocks: 7
; NumSGPRsForWavesPerEU: 60
; NumVGPRsForWavesPerEU: 57
; AccumOffset: 60
; Occupancy: 8
; WaveLimiterHint : 1
; COMPUTE_PGM_RSRC2:SCRATCH_EN: 0
; COMPUTE_PGM_RSRC2:USER_SGPR: 6
; COMPUTE_PGM_RSRC2:TRAP_HANDLER: 0
; COMPUTE_PGM_RSRC2:TGID_X_EN: 1
; COMPUTE_PGM_RSRC2:TGID_Y_EN: 0
; COMPUTE_PGM_RSRC2:TGID_Z_EN: 0
; COMPUTE_PGM_RSRC2:TIDIG_COMP_CNT: 2
; COMPUTE_PGM_RSRC3_GFX90A:ACCUM_OFFSET: 14
; COMPUTE_PGM_RSRC3_GFX90A:TG_SPLIT: 0
	.section	.text._ZN7rocprim17ROCPRIM_400000_NS6detail17trampoline_kernelINS0_14default_configENS1_35radix_sort_onesweep_config_selectorIdlEEZZNS1_29radix_sort_onesweep_iterationIS3_Lb0EPdS7_N6thrust23THRUST_200600_302600_NS10device_ptrIlEESB_jNS0_19identity_decomposerENS1_16block_id_wrapperIjLb1EEEEE10hipError_tT1_PNSt15iterator_traitsISG_E10value_typeET2_T3_PNSH_ISM_E10value_typeET4_T5_PSR_SS_PNS1_23onesweep_lookback_stateEbbT6_jjT7_P12ihipStream_tbENKUlT_T0_SG_SL_E_clIS7_S7_SB_PlEEDaSZ_S10_SG_SL_EUlSZ_E_NS1_11comp_targetILNS1_3genE3ELNS1_11target_archE908ELNS1_3gpuE7ELNS1_3repE0EEENS1_47radix_sort_onesweep_sort_config_static_selectorELNS0_4arch9wavefront6targetE1EEEvSG_,"axG",@progbits,_ZN7rocprim17ROCPRIM_400000_NS6detail17trampoline_kernelINS0_14default_configENS1_35radix_sort_onesweep_config_selectorIdlEEZZNS1_29radix_sort_onesweep_iterationIS3_Lb0EPdS7_N6thrust23THRUST_200600_302600_NS10device_ptrIlEESB_jNS0_19identity_decomposerENS1_16block_id_wrapperIjLb1EEEEE10hipError_tT1_PNSt15iterator_traitsISG_E10value_typeET2_T3_PNSH_ISM_E10value_typeET4_T5_PSR_SS_PNS1_23onesweep_lookback_stateEbbT6_jjT7_P12ihipStream_tbENKUlT_T0_SG_SL_E_clIS7_S7_SB_PlEEDaSZ_S10_SG_SL_EUlSZ_E_NS1_11comp_targetILNS1_3genE3ELNS1_11target_archE908ELNS1_3gpuE7ELNS1_3repE0EEENS1_47radix_sort_onesweep_sort_config_static_selectorELNS0_4arch9wavefront6targetE1EEEvSG_,comdat
	.protected	_ZN7rocprim17ROCPRIM_400000_NS6detail17trampoline_kernelINS0_14default_configENS1_35radix_sort_onesweep_config_selectorIdlEEZZNS1_29radix_sort_onesweep_iterationIS3_Lb0EPdS7_N6thrust23THRUST_200600_302600_NS10device_ptrIlEESB_jNS0_19identity_decomposerENS1_16block_id_wrapperIjLb1EEEEE10hipError_tT1_PNSt15iterator_traitsISG_E10value_typeET2_T3_PNSH_ISM_E10value_typeET4_T5_PSR_SS_PNS1_23onesweep_lookback_stateEbbT6_jjT7_P12ihipStream_tbENKUlT_T0_SG_SL_E_clIS7_S7_SB_PlEEDaSZ_S10_SG_SL_EUlSZ_E_NS1_11comp_targetILNS1_3genE3ELNS1_11target_archE908ELNS1_3gpuE7ELNS1_3repE0EEENS1_47radix_sort_onesweep_sort_config_static_selectorELNS0_4arch9wavefront6targetE1EEEvSG_ ; -- Begin function _ZN7rocprim17ROCPRIM_400000_NS6detail17trampoline_kernelINS0_14default_configENS1_35radix_sort_onesweep_config_selectorIdlEEZZNS1_29radix_sort_onesweep_iterationIS3_Lb0EPdS7_N6thrust23THRUST_200600_302600_NS10device_ptrIlEESB_jNS0_19identity_decomposerENS1_16block_id_wrapperIjLb1EEEEE10hipError_tT1_PNSt15iterator_traitsISG_E10value_typeET2_T3_PNSH_ISM_E10value_typeET4_T5_PSR_SS_PNS1_23onesweep_lookback_stateEbbT6_jjT7_P12ihipStream_tbENKUlT_T0_SG_SL_E_clIS7_S7_SB_PlEEDaSZ_S10_SG_SL_EUlSZ_E_NS1_11comp_targetILNS1_3genE3ELNS1_11target_archE908ELNS1_3gpuE7ELNS1_3repE0EEENS1_47radix_sort_onesweep_sort_config_static_selectorELNS0_4arch9wavefront6targetE1EEEvSG_
	.globl	_ZN7rocprim17ROCPRIM_400000_NS6detail17trampoline_kernelINS0_14default_configENS1_35radix_sort_onesweep_config_selectorIdlEEZZNS1_29radix_sort_onesweep_iterationIS3_Lb0EPdS7_N6thrust23THRUST_200600_302600_NS10device_ptrIlEESB_jNS0_19identity_decomposerENS1_16block_id_wrapperIjLb1EEEEE10hipError_tT1_PNSt15iterator_traitsISG_E10value_typeET2_T3_PNSH_ISM_E10value_typeET4_T5_PSR_SS_PNS1_23onesweep_lookback_stateEbbT6_jjT7_P12ihipStream_tbENKUlT_T0_SG_SL_E_clIS7_S7_SB_PlEEDaSZ_S10_SG_SL_EUlSZ_E_NS1_11comp_targetILNS1_3genE3ELNS1_11target_archE908ELNS1_3gpuE7ELNS1_3repE0EEENS1_47radix_sort_onesweep_sort_config_static_selectorELNS0_4arch9wavefront6targetE1EEEvSG_
	.p2align	8
	.type	_ZN7rocprim17ROCPRIM_400000_NS6detail17trampoline_kernelINS0_14default_configENS1_35radix_sort_onesweep_config_selectorIdlEEZZNS1_29radix_sort_onesweep_iterationIS3_Lb0EPdS7_N6thrust23THRUST_200600_302600_NS10device_ptrIlEESB_jNS0_19identity_decomposerENS1_16block_id_wrapperIjLb1EEEEE10hipError_tT1_PNSt15iterator_traitsISG_E10value_typeET2_T3_PNSH_ISM_E10value_typeET4_T5_PSR_SS_PNS1_23onesweep_lookback_stateEbbT6_jjT7_P12ihipStream_tbENKUlT_T0_SG_SL_E_clIS7_S7_SB_PlEEDaSZ_S10_SG_SL_EUlSZ_E_NS1_11comp_targetILNS1_3genE3ELNS1_11target_archE908ELNS1_3gpuE7ELNS1_3repE0EEENS1_47radix_sort_onesweep_sort_config_static_selectorELNS0_4arch9wavefront6targetE1EEEvSG_,@function
_ZN7rocprim17ROCPRIM_400000_NS6detail17trampoline_kernelINS0_14default_configENS1_35radix_sort_onesweep_config_selectorIdlEEZZNS1_29radix_sort_onesweep_iterationIS3_Lb0EPdS7_N6thrust23THRUST_200600_302600_NS10device_ptrIlEESB_jNS0_19identity_decomposerENS1_16block_id_wrapperIjLb1EEEEE10hipError_tT1_PNSt15iterator_traitsISG_E10value_typeET2_T3_PNSH_ISM_E10value_typeET4_T5_PSR_SS_PNS1_23onesweep_lookback_stateEbbT6_jjT7_P12ihipStream_tbENKUlT_T0_SG_SL_E_clIS7_S7_SB_PlEEDaSZ_S10_SG_SL_EUlSZ_E_NS1_11comp_targetILNS1_3genE3ELNS1_11target_archE908ELNS1_3gpuE7ELNS1_3repE0EEENS1_47radix_sort_onesweep_sort_config_static_selectorELNS0_4arch9wavefront6targetE1EEEvSG_: ; @_ZN7rocprim17ROCPRIM_400000_NS6detail17trampoline_kernelINS0_14default_configENS1_35radix_sort_onesweep_config_selectorIdlEEZZNS1_29radix_sort_onesweep_iterationIS3_Lb0EPdS7_N6thrust23THRUST_200600_302600_NS10device_ptrIlEESB_jNS0_19identity_decomposerENS1_16block_id_wrapperIjLb1EEEEE10hipError_tT1_PNSt15iterator_traitsISG_E10value_typeET2_T3_PNSH_ISM_E10value_typeET4_T5_PSR_SS_PNS1_23onesweep_lookback_stateEbbT6_jjT7_P12ihipStream_tbENKUlT_T0_SG_SL_E_clIS7_S7_SB_PlEEDaSZ_S10_SG_SL_EUlSZ_E_NS1_11comp_targetILNS1_3genE3ELNS1_11target_archE908ELNS1_3gpuE7ELNS1_3repE0EEENS1_47radix_sort_onesweep_sort_config_static_selectorELNS0_4arch9wavefront6targetE1EEEvSG_
; %bb.0:
	.section	.rodata,"a",@progbits
	.p2align	6, 0x0
	.amdhsa_kernel _ZN7rocprim17ROCPRIM_400000_NS6detail17trampoline_kernelINS0_14default_configENS1_35radix_sort_onesweep_config_selectorIdlEEZZNS1_29radix_sort_onesweep_iterationIS3_Lb0EPdS7_N6thrust23THRUST_200600_302600_NS10device_ptrIlEESB_jNS0_19identity_decomposerENS1_16block_id_wrapperIjLb1EEEEE10hipError_tT1_PNSt15iterator_traitsISG_E10value_typeET2_T3_PNSH_ISM_E10value_typeET4_T5_PSR_SS_PNS1_23onesweep_lookback_stateEbbT6_jjT7_P12ihipStream_tbENKUlT_T0_SG_SL_E_clIS7_S7_SB_PlEEDaSZ_S10_SG_SL_EUlSZ_E_NS1_11comp_targetILNS1_3genE3ELNS1_11target_archE908ELNS1_3gpuE7ELNS1_3repE0EEENS1_47radix_sort_onesweep_sort_config_static_selectorELNS0_4arch9wavefront6targetE1EEEvSG_
		.amdhsa_group_segment_fixed_size 0
		.amdhsa_private_segment_fixed_size 0
		.amdhsa_kernarg_size 88
		.amdhsa_user_sgpr_count 6
		.amdhsa_user_sgpr_private_segment_buffer 1
		.amdhsa_user_sgpr_dispatch_ptr 0
		.amdhsa_user_sgpr_queue_ptr 0
		.amdhsa_user_sgpr_kernarg_segment_ptr 1
		.amdhsa_user_sgpr_dispatch_id 0
		.amdhsa_user_sgpr_flat_scratch_init 0
		.amdhsa_user_sgpr_kernarg_preload_length 0
		.amdhsa_user_sgpr_kernarg_preload_offset 0
		.amdhsa_user_sgpr_private_segment_size 0
		.amdhsa_uses_dynamic_stack 0
		.amdhsa_system_sgpr_private_segment_wavefront_offset 0
		.amdhsa_system_sgpr_workgroup_id_x 1
		.amdhsa_system_sgpr_workgroup_id_y 0
		.amdhsa_system_sgpr_workgroup_id_z 0
		.amdhsa_system_sgpr_workgroup_info 0
		.amdhsa_system_vgpr_workitem_id 0
		.amdhsa_next_free_vgpr 1
		.amdhsa_next_free_sgpr 0
		.amdhsa_accum_offset 4
		.amdhsa_reserve_vcc 0
		.amdhsa_reserve_flat_scratch 0
		.amdhsa_float_round_mode_32 0
		.amdhsa_float_round_mode_16_64 0
		.amdhsa_float_denorm_mode_32 3
		.amdhsa_float_denorm_mode_16_64 3
		.amdhsa_dx10_clamp 1
		.amdhsa_ieee_mode 1
		.amdhsa_fp16_overflow 0
		.amdhsa_tg_split 0
		.amdhsa_exception_fp_ieee_invalid_op 0
		.amdhsa_exception_fp_denorm_src 0
		.amdhsa_exception_fp_ieee_div_zero 0
		.amdhsa_exception_fp_ieee_overflow 0
		.amdhsa_exception_fp_ieee_underflow 0
		.amdhsa_exception_fp_ieee_inexact 0
		.amdhsa_exception_int_div_zero 0
	.end_amdhsa_kernel
	.section	.text._ZN7rocprim17ROCPRIM_400000_NS6detail17trampoline_kernelINS0_14default_configENS1_35radix_sort_onesweep_config_selectorIdlEEZZNS1_29radix_sort_onesweep_iterationIS3_Lb0EPdS7_N6thrust23THRUST_200600_302600_NS10device_ptrIlEESB_jNS0_19identity_decomposerENS1_16block_id_wrapperIjLb1EEEEE10hipError_tT1_PNSt15iterator_traitsISG_E10value_typeET2_T3_PNSH_ISM_E10value_typeET4_T5_PSR_SS_PNS1_23onesweep_lookback_stateEbbT6_jjT7_P12ihipStream_tbENKUlT_T0_SG_SL_E_clIS7_S7_SB_PlEEDaSZ_S10_SG_SL_EUlSZ_E_NS1_11comp_targetILNS1_3genE3ELNS1_11target_archE908ELNS1_3gpuE7ELNS1_3repE0EEENS1_47radix_sort_onesweep_sort_config_static_selectorELNS0_4arch9wavefront6targetE1EEEvSG_,"axG",@progbits,_ZN7rocprim17ROCPRIM_400000_NS6detail17trampoline_kernelINS0_14default_configENS1_35radix_sort_onesweep_config_selectorIdlEEZZNS1_29radix_sort_onesweep_iterationIS3_Lb0EPdS7_N6thrust23THRUST_200600_302600_NS10device_ptrIlEESB_jNS0_19identity_decomposerENS1_16block_id_wrapperIjLb1EEEEE10hipError_tT1_PNSt15iterator_traitsISG_E10value_typeET2_T3_PNSH_ISM_E10value_typeET4_T5_PSR_SS_PNS1_23onesweep_lookback_stateEbbT6_jjT7_P12ihipStream_tbENKUlT_T0_SG_SL_E_clIS7_S7_SB_PlEEDaSZ_S10_SG_SL_EUlSZ_E_NS1_11comp_targetILNS1_3genE3ELNS1_11target_archE908ELNS1_3gpuE7ELNS1_3repE0EEENS1_47radix_sort_onesweep_sort_config_static_selectorELNS0_4arch9wavefront6targetE1EEEvSG_,comdat
.Lfunc_end1630:
	.size	_ZN7rocprim17ROCPRIM_400000_NS6detail17trampoline_kernelINS0_14default_configENS1_35radix_sort_onesweep_config_selectorIdlEEZZNS1_29radix_sort_onesweep_iterationIS3_Lb0EPdS7_N6thrust23THRUST_200600_302600_NS10device_ptrIlEESB_jNS0_19identity_decomposerENS1_16block_id_wrapperIjLb1EEEEE10hipError_tT1_PNSt15iterator_traitsISG_E10value_typeET2_T3_PNSH_ISM_E10value_typeET4_T5_PSR_SS_PNS1_23onesweep_lookback_stateEbbT6_jjT7_P12ihipStream_tbENKUlT_T0_SG_SL_E_clIS7_S7_SB_PlEEDaSZ_S10_SG_SL_EUlSZ_E_NS1_11comp_targetILNS1_3genE3ELNS1_11target_archE908ELNS1_3gpuE7ELNS1_3repE0EEENS1_47radix_sort_onesweep_sort_config_static_selectorELNS0_4arch9wavefront6targetE1EEEvSG_, .Lfunc_end1630-_ZN7rocprim17ROCPRIM_400000_NS6detail17trampoline_kernelINS0_14default_configENS1_35radix_sort_onesweep_config_selectorIdlEEZZNS1_29radix_sort_onesweep_iterationIS3_Lb0EPdS7_N6thrust23THRUST_200600_302600_NS10device_ptrIlEESB_jNS0_19identity_decomposerENS1_16block_id_wrapperIjLb1EEEEE10hipError_tT1_PNSt15iterator_traitsISG_E10value_typeET2_T3_PNSH_ISM_E10value_typeET4_T5_PSR_SS_PNS1_23onesweep_lookback_stateEbbT6_jjT7_P12ihipStream_tbENKUlT_T0_SG_SL_E_clIS7_S7_SB_PlEEDaSZ_S10_SG_SL_EUlSZ_E_NS1_11comp_targetILNS1_3genE3ELNS1_11target_archE908ELNS1_3gpuE7ELNS1_3repE0EEENS1_47radix_sort_onesweep_sort_config_static_selectorELNS0_4arch9wavefront6targetE1EEEvSG_
                                        ; -- End function
	.section	.AMDGPU.csdata,"",@progbits
; Kernel info:
; codeLenInByte = 0
; NumSgprs: 4
; NumVgprs: 0
; NumAgprs: 0
; TotalNumVgprs: 0
; ScratchSize: 0
; MemoryBound: 0
; FloatMode: 240
; IeeeMode: 1
; LDSByteSize: 0 bytes/workgroup (compile time only)
; SGPRBlocks: 0
; VGPRBlocks: 0
; NumSGPRsForWavesPerEU: 4
; NumVGPRsForWavesPerEU: 1
; AccumOffset: 4
; Occupancy: 8
; WaveLimiterHint : 0
; COMPUTE_PGM_RSRC2:SCRATCH_EN: 0
; COMPUTE_PGM_RSRC2:USER_SGPR: 6
; COMPUTE_PGM_RSRC2:TRAP_HANDLER: 0
; COMPUTE_PGM_RSRC2:TGID_X_EN: 1
; COMPUTE_PGM_RSRC2:TGID_Y_EN: 0
; COMPUTE_PGM_RSRC2:TGID_Z_EN: 0
; COMPUTE_PGM_RSRC2:TIDIG_COMP_CNT: 0
; COMPUTE_PGM_RSRC3_GFX90A:ACCUM_OFFSET: 0
; COMPUTE_PGM_RSRC3_GFX90A:TG_SPLIT: 0
	.section	.text._ZN7rocprim17ROCPRIM_400000_NS6detail17trampoline_kernelINS0_14default_configENS1_35radix_sort_onesweep_config_selectorIdlEEZZNS1_29radix_sort_onesweep_iterationIS3_Lb0EPdS7_N6thrust23THRUST_200600_302600_NS10device_ptrIlEESB_jNS0_19identity_decomposerENS1_16block_id_wrapperIjLb1EEEEE10hipError_tT1_PNSt15iterator_traitsISG_E10value_typeET2_T3_PNSH_ISM_E10value_typeET4_T5_PSR_SS_PNS1_23onesweep_lookback_stateEbbT6_jjT7_P12ihipStream_tbENKUlT_T0_SG_SL_E_clIS7_S7_SB_PlEEDaSZ_S10_SG_SL_EUlSZ_E_NS1_11comp_targetILNS1_3genE10ELNS1_11target_archE1201ELNS1_3gpuE5ELNS1_3repE0EEENS1_47radix_sort_onesweep_sort_config_static_selectorELNS0_4arch9wavefront6targetE1EEEvSG_,"axG",@progbits,_ZN7rocprim17ROCPRIM_400000_NS6detail17trampoline_kernelINS0_14default_configENS1_35radix_sort_onesweep_config_selectorIdlEEZZNS1_29radix_sort_onesweep_iterationIS3_Lb0EPdS7_N6thrust23THRUST_200600_302600_NS10device_ptrIlEESB_jNS0_19identity_decomposerENS1_16block_id_wrapperIjLb1EEEEE10hipError_tT1_PNSt15iterator_traitsISG_E10value_typeET2_T3_PNSH_ISM_E10value_typeET4_T5_PSR_SS_PNS1_23onesweep_lookback_stateEbbT6_jjT7_P12ihipStream_tbENKUlT_T0_SG_SL_E_clIS7_S7_SB_PlEEDaSZ_S10_SG_SL_EUlSZ_E_NS1_11comp_targetILNS1_3genE10ELNS1_11target_archE1201ELNS1_3gpuE5ELNS1_3repE0EEENS1_47radix_sort_onesweep_sort_config_static_selectorELNS0_4arch9wavefront6targetE1EEEvSG_,comdat
	.protected	_ZN7rocprim17ROCPRIM_400000_NS6detail17trampoline_kernelINS0_14default_configENS1_35radix_sort_onesweep_config_selectorIdlEEZZNS1_29radix_sort_onesweep_iterationIS3_Lb0EPdS7_N6thrust23THRUST_200600_302600_NS10device_ptrIlEESB_jNS0_19identity_decomposerENS1_16block_id_wrapperIjLb1EEEEE10hipError_tT1_PNSt15iterator_traitsISG_E10value_typeET2_T3_PNSH_ISM_E10value_typeET4_T5_PSR_SS_PNS1_23onesweep_lookback_stateEbbT6_jjT7_P12ihipStream_tbENKUlT_T0_SG_SL_E_clIS7_S7_SB_PlEEDaSZ_S10_SG_SL_EUlSZ_E_NS1_11comp_targetILNS1_3genE10ELNS1_11target_archE1201ELNS1_3gpuE5ELNS1_3repE0EEENS1_47radix_sort_onesweep_sort_config_static_selectorELNS0_4arch9wavefront6targetE1EEEvSG_ ; -- Begin function _ZN7rocprim17ROCPRIM_400000_NS6detail17trampoline_kernelINS0_14default_configENS1_35radix_sort_onesweep_config_selectorIdlEEZZNS1_29radix_sort_onesweep_iterationIS3_Lb0EPdS7_N6thrust23THRUST_200600_302600_NS10device_ptrIlEESB_jNS0_19identity_decomposerENS1_16block_id_wrapperIjLb1EEEEE10hipError_tT1_PNSt15iterator_traitsISG_E10value_typeET2_T3_PNSH_ISM_E10value_typeET4_T5_PSR_SS_PNS1_23onesweep_lookback_stateEbbT6_jjT7_P12ihipStream_tbENKUlT_T0_SG_SL_E_clIS7_S7_SB_PlEEDaSZ_S10_SG_SL_EUlSZ_E_NS1_11comp_targetILNS1_3genE10ELNS1_11target_archE1201ELNS1_3gpuE5ELNS1_3repE0EEENS1_47radix_sort_onesweep_sort_config_static_selectorELNS0_4arch9wavefront6targetE1EEEvSG_
	.globl	_ZN7rocprim17ROCPRIM_400000_NS6detail17trampoline_kernelINS0_14default_configENS1_35radix_sort_onesweep_config_selectorIdlEEZZNS1_29radix_sort_onesweep_iterationIS3_Lb0EPdS7_N6thrust23THRUST_200600_302600_NS10device_ptrIlEESB_jNS0_19identity_decomposerENS1_16block_id_wrapperIjLb1EEEEE10hipError_tT1_PNSt15iterator_traitsISG_E10value_typeET2_T3_PNSH_ISM_E10value_typeET4_T5_PSR_SS_PNS1_23onesweep_lookback_stateEbbT6_jjT7_P12ihipStream_tbENKUlT_T0_SG_SL_E_clIS7_S7_SB_PlEEDaSZ_S10_SG_SL_EUlSZ_E_NS1_11comp_targetILNS1_3genE10ELNS1_11target_archE1201ELNS1_3gpuE5ELNS1_3repE0EEENS1_47radix_sort_onesweep_sort_config_static_selectorELNS0_4arch9wavefront6targetE1EEEvSG_
	.p2align	8
	.type	_ZN7rocprim17ROCPRIM_400000_NS6detail17trampoline_kernelINS0_14default_configENS1_35radix_sort_onesweep_config_selectorIdlEEZZNS1_29radix_sort_onesweep_iterationIS3_Lb0EPdS7_N6thrust23THRUST_200600_302600_NS10device_ptrIlEESB_jNS0_19identity_decomposerENS1_16block_id_wrapperIjLb1EEEEE10hipError_tT1_PNSt15iterator_traitsISG_E10value_typeET2_T3_PNSH_ISM_E10value_typeET4_T5_PSR_SS_PNS1_23onesweep_lookback_stateEbbT6_jjT7_P12ihipStream_tbENKUlT_T0_SG_SL_E_clIS7_S7_SB_PlEEDaSZ_S10_SG_SL_EUlSZ_E_NS1_11comp_targetILNS1_3genE10ELNS1_11target_archE1201ELNS1_3gpuE5ELNS1_3repE0EEENS1_47radix_sort_onesweep_sort_config_static_selectorELNS0_4arch9wavefront6targetE1EEEvSG_,@function
_ZN7rocprim17ROCPRIM_400000_NS6detail17trampoline_kernelINS0_14default_configENS1_35radix_sort_onesweep_config_selectorIdlEEZZNS1_29radix_sort_onesweep_iterationIS3_Lb0EPdS7_N6thrust23THRUST_200600_302600_NS10device_ptrIlEESB_jNS0_19identity_decomposerENS1_16block_id_wrapperIjLb1EEEEE10hipError_tT1_PNSt15iterator_traitsISG_E10value_typeET2_T3_PNSH_ISM_E10value_typeET4_T5_PSR_SS_PNS1_23onesweep_lookback_stateEbbT6_jjT7_P12ihipStream_tbENKUlT_T0_SG_SL_E_clIS7_S7_SB_PlEEDaSZ_S10_SG_SL_EUlSZ_E_NS1_11comp_targetILNS1_3genE10ELNS1_11target_archE1201ELNS1_3gpuE5ELNS1_3repE0EEENS1_47radix_sort_onesweep_sort_config_static_selectorELNS0_4arch9wavefront6targetE1EEEvSG_: ; @_ZN7rocprim17ROCPRIM_400000_NS6detail17trampoline_kernelINS0_14default_configENS1_35radix_sort_onesweep_config_selectorIdlEEZZNS1_29radix_sort_onesweep_iterationIS3_Lb0EPdS7_N6thrust23THRUST_200600_302600_NS10device_ptrIlEESB_jNS0_19identity_decomposerENS1_16block_id_wrapperIjLb1EEEEE10hipError_tT1_PNSt15iterator_traitsISG_E10value_typeET2_T3_PNSH_ISM_E10value_typeET4_T5_PSR_SS_PNS1_23onesweep_lookback_stateEbbT6_jjT7_P12ihipStream_tbENKUlT_T0_SG_SL_E_clIS7_S7_SB_PlEEDaSZ_S10_SG_SL_EUlSZ_E_NS1_11comp_targetILNS1_3genE10ELNS1_11target_archE1201ELNS1_3gpuE5ELNS1_3repE0EEENS1_47radix_sort_onesweep_sort_config_static_selectorELNS0_4arch9wavefront6targetE1EEEvSG_
; %bb.0:
	.section	.rodata,"a",@progbits
	.p2align	6, 0x0
	.amdhsa_kernel _ZN7rocprim17ROCPRIM_400000_NS6detail17trampoline_kernelINS0_14default_configENS1_35radix_sort_onesweep_config_selectorIdlEEZZNS1_29radix_sort_onesweep_iterationIS3_Lb0EPdS7_N6thrust23THRUST_200600_302600_NS10device_ptrIlEESB_jNS0_19identity_decomposerENS1_16block_id_wrapperIjLb1EEEEE10hipError_tT1_PNSt15iterator_traitsISG_E10value_typeET2_T3_PNSH_ISM_E10value_typeET4_T5_PSR_SS_PNS1_23onesweep_lookback_stateEbbT6_jjT7_P12ihipStream_tbENKUlT_T0_SG_SL_E_clIS7_S7_SB_PlEEDaSZ_S10_SG_SL_EUlSZ_E_NS1_11comp_targetILNS1_3genE10ELNS1_11target_archE1201ELNS1_3gpuE5ELNS1_3repE0EEENS1_47radix_sort_onesweep_sort_config_static_selectorELNS0_4arch9wavefront6targetE1EEEvSG_
		.amdhsa_group_segment_fixed_size 0
		.amdhsa_private_segment_fixed_size 0
		.amdhsa_kernarg_size 88
		.amdhsa_user_sgpr_count 6
		.amdhsa_user_sgpr_private_segment_buffer 1
		.amdhsa_user_sgpr_dispatch_ptr 0
		.amdhsa_user_sgpr_queue_ptr 0
		.amdhsa_user_sgpr_kernarg_segment_ptr 1
		.amdhsa_user_sgpr_dispatch_id 0
		.amdhsa_user_sgpr_flat_scratch_init 0
		.amdhsa_user_sgpr_kernarg_preload_length 0
		.amdhsa_user_sgpr_kernarg_preload_offset 0
		.amdhsa_user_sgpr_private_segment_size 0
		.amdhsa_uses_dynamic_stack 0
		.amdhsa_system_sgpr_private_segment_wavefront_offset 0
		.amdhsa_system_sgpr_workgroup_id_x 1
		.amdhsa_system_sgpr_workgroup_id_y 0
		.amdhsa_system_sgpr_workgroup_id_z 0
		.amdhsa_system_sgpr_workgroup_info 0
		.amdhsa_system_vgpr_workitem_id 0
		.amdhsa_next_free_vgpr 1
		.amdhsa_next_free_sgpr 0
		.amdhsa_accum_offset 4
		.amdhsa_reserve_vcc 0
		.amdhsa_reserve_flat_scratch 0
		.amdhsa_float_round_mode_32 0
		.amdhsa_float_round_mode_16_64 0
		.amdhsa_float_denorm_mode_32 3
		.amdhsa_float_denorm_mode_16_64 3
		.amdhsa_dx10_clamp 1
		.amdhsa_ieee_mode 1
		.amdhsa_fp16_overflow 0
		.amdhsa_tg_split 0
		.amdhsa_exception_fp_ieee_invalid_op 0
		.amdhsa_exception_fp_denorm_src 0
		.amdhsa_exception_fp_ieee_div_zero 0
		.amdhsa_exception_fp_ieee_overflow 0
		.amdhsa_exception_fp_ieee_underflow 0
		.amdhsa_exception_fp_ieee_inexact 0
		.amdhsa_exception_int_div_zero 0
	.end_amdhsa_kernel
	.section	.text._ZN7rocprim17ROCPRIM_400000_NS6detail17trampoline_kernelINS0_14default_configENS1_35radix_sort_onesweep_config_selectorIdlEEZZNS1_29radix_sort_onesweep_iterationIS3_Lb0EPdS7_N6thrust23THRUST_200600_302600_NS10device_ptrIlEESB_jNS0_19identity_decomposerENS1_16block_id_wrapperIjLb1EEEEE10hipError_tT1_PNSt15iterator_traitsISG_E10value_typeET2_T3_PNSH_ISM_E10value_typeET4_T5_PSR_SS_PNS1_23onesweep_lookback_stateEbbT6_jjT7_P12ihipStream_tbENKUlT_T0_SG_SL_E_clIS7_S7_SB_PlEEDaSZ_S10_SG_SL_EUlSZ_E_NS1_11comp_targetILNS1_3genE10ELNS1_11target_archE1201ELNS1_3gpuE5ELNS1_3repE0EEENS1_47radix_sort_onesweep_sort_config_static_selectorELNS0_4arch9wavefront6targetE1EEEvSG_,"axG",@progbits,_ZN7rocprim17ROCPRIM_400000_NS6detail17trampoline_kernelINS0_14default_configENS1_35radix_sort_onesweep_config_selectorIdlEEZZNS1_29radix_sort_onesweep_iterationIS3_Lb0EPdS7_N6thrust23THRUST_200600_302600_NS10device_ptrIlEESB_jNS0_19identity_decomposerENS1_16block_id_wrapperIjLb1EEEEE10hipError_tT1_PNSt15iterator_traitsISG_E10value_typeET2_T3_PNSH_ISM_E10value_typeET4_T5_PSR_SS_PNS1_23onesweep_lookback_stateEbbT6_jjT7_P12ihipStream_tbENKUlT_T0_SG_SL_E_clIS7_S7_SB_PlEEDaSZ_S10_SG_SL_EUlSZ_E_NS1_11comp_targetILNS1_3genE10ELNS1_11target_archE1201ELNS1_3gpuE5ELNS1_3repE0EEENS1_47radix_sort_onesweep_sort_config_static_selectorELNS0_4arch9wavefront6targetE1EEEvSG_,comdat
.Lfunc_end1631:
	.size	_ZN7rocprim17ROCPRIM_400000_NS6detail17trampoline_kernelINS0_14default_configENS1_35radix_sort_onesweep_config_selectorIdlEEZZNS1_29radix_sort_onesweep_iterationIS3_Lb0EPdS7_N6thrust23THRUST_200600_302600_NS10device_ptrIlEESB_jNS0_19identity_decomposerENS1_16block_id_wrapperIjLb1EEEEE10hipError_tT1_PNSt15iterator_traitsISG_E10value_typeET2_T3_PNSH_ISM_E10value_typeET4_T5_PSR_SS_PNS1_23onesweep_lookback_stateEbbT6_jjT7_P12ihipStream_tbENKUlT_T0_SG_SL_E_clIS7_S7_SB_PlEEDaSZ_S10_SG_SL_EUlSZ_E_NS1_11comp_targetILNS1_3genE10ELNS1_11target_archE1201ELNS1_3gpuE5ELNS1_3repE0EEENS1_47radix_sort_onesweep_sort_config_static_selectorELNS0_4arch9wavefront6targetE1EEEvSG_, .Lfunc_end1631-_ZN7rocprim17ROCPRIM_400000_NS6detail17trampoline_kernelINS0_14default_configENS1_35radix_sort_onesweep_config_selectorIdlEEZZNS1_29radix_sort_onesweep_iterationIS3_Lb0EPdS7_N6thrust23THRUST_200600_302600_NS10device_ptrIlEESB_jNS0_19identity_decomposerENS1_16block_id_wrapperIjLb1EEEEE10hipError_tT1_PNSt15iterator_traitsISG_E10value_typeET2_T3_PNSH_ISM_E10value_typeET4_T5_PSR_SS_PNS1_23onesweep_lookback_stateEbbT6_jjT7_P12ihipStream_tbENKUlT_T0_SG_SL_E_clIS7_S7_SB_PlEEDaSZ_S10_SG_SL_EUlSZ_E_NS1_11comp_targetILNS1_3genE10ELNS1_11target_archE1201ELNS1_3gpuE5ELNS1_3repE0EEENS1_47radix_sort_onesweep_sort_config_static_selectorELNS0_4arch9wavefront6targetE1EEEvSG_
                                        ; -- End function
	.section	.AMDGPU.csdata,"",@progbits
; Kernel info:
; codeLenInByte = 0
; NumSgprs: 4
; NumVgprs: 0
; NumAgprs: 0
; TotalNumVgprs: 0
; ScratchSize: 0
; MemoryBound: 0
; FloatMode: 240
; IeeeMode: 1
; LDSByteSize: 0 bytes/workgroup (compile time only)
; SGPRBlocks: 0
; VGPRBlocks: 0
; NumSGPRsForWavesPerEU: 4
; NumVGPRsForWavesPerEU: 1
; AccumOffset: 4
; Occupancy: 8
; WaveLimiterHint : 0
; COMPUTE_PGM_RSRC2:SCRATCH_EN: 0
; COMPUTE_PGM_RSRC2:USER_SGPR: 6
; COMPUTE_PGM_RSRC2:TRAP_HANDLER: 0
; COMPUTE_PGM_RSRC2:TGID_X_EN: 1
; COMPUTE_PGM_RSRC2:TGID_Y_EN: 0
; COMPUTE_PGM_RSRC2:TGID_Z_EN: 0
; COMPUTE_PGM_RSRC2:TIDIG_COMP_CNT: 0
; COMPUTE_PGM_RSRC3_GFX90A:ACCUM_OFFSET: 0
; COMPUTE_PGM_RSRC3_GFX90A:TG_SPLIT: 0
	.section	.text._ZN7rocprim17ROCPRIM_400000_NS6detail17trampoline_kernelINS0_14default_configENS1_35radix_sort_onesweep_config_selectorIdlEEZZNS1_29radix_sort_onesweep_iterationIS3_Lb0EPdS7_N6thrust23THRUST_200600_302600_NS10device_ptrIlEESB_jNS0_19identity_decomposerENS1_16block_id_wrapperIjLb1EEEEE10hipError_tT1_PNSt15iterator_traitsISG_E10value_typeET2_T3_PNSH_ISM_E10value_typeET4_T5_PSR_SS_PNS1_23onesweep_lookback_stateEbbT6_jjT7_P12ihipStream_tbENKUlT_T0_SG_SL_E_clIS7_S7_SB_PlEEDaSZ_S10_SG_SL_EUlSZ_E_NS1_11comp_targetILNS1_3genE9ELNS1_11target_archE1100ELNS1_3gpuE3ELNS1_3repE0EEENS1_47radix_sort_onesweep_sort_config_static_selectorELNS0_4arch9wavefront6targetE1EEEvSG_,"axG",@progbits,_ZN7rocprim17ROCPRIM_400000_NS6detail17trampoline_kernelINS0_14default_configENS1_35radix_sort_onesweep_config_selectorIdlEEZZNS1_29radix_sort_onesweep_iterationIS3_Lb0EPdS7_N6thrust23THRUST_200600_302600_NS10device_ptrIlEESB_jNS0_19identity_decomposerENS1_16block_id_wrapperIjLb1EEEEE10hipError_tT1_PNSt15iterator_traitsISG_E10value_typeET2_T3_PNSH_ISM_E10value_typeET4_T5_PSR_SS_PNS1_23onesweep_lookback_stateEbbT6_jjT7_P12ihipStream_tbENKUlT_T0_SG_SL_E_clIS7_S7_SB_PlEEDaSZ_S10_SG_SL_EUlSZ_E_NS1_11comp_targetILNS1_3genE9ELNS1_11target_archE1100ELNS1_3gpuE3ELNS1_3repE0EEENS1_47radix_sort_onesweep_sort_config_static_selectorELNS0_4arch9wavefront6targetE1EEEvSG_,comdat
	.protected	_ZN7rocprim17ROCPRIM_400000_NS6detail17trampoline_kernelINS0_14default_configENS1_35radix_sort_onesweep_config_selectorIdlEEZZNS1_29radix_sort_onesweep_iterationIS3_Lb0EPdS7_N6thrust23THRUST_200600_302600_NS10device_ptrIlEESB_jNS0_19identity_decomposerENS1_16block_id_wrapperIjLb1EEEEE10hipError_tT1_PNSt15iterator_traitsISG_E10value_typeET2_T3_PNSH_ISM_E10value_typeET4_T5_PSR_SS_PNS1_23onesweep_lookback_stateEbbT6_jjT7_P12ihipStream_tbENKUlT_T0_SG_SL_E_clIS7_S7_SB_PlEEDaSZ_S10_SG_SL_EUlSZ_E_NS1_11comp_targetILNS1_3genE9ELNS1_11target_archE1100ELNS1_3gpuE3ELNS1_3repE0EEENS1_47radix_sort_onesweep_sort_config_static_selectorELNS0_4arch9wavefront6targetE1EEEvSG_ ; -- Begin function _ZN7rocprim17ROCPRIM_400000_NS6detail17trampoline_kernelINS0_14default_configENS1_35radix_sort_onesweep_config_selectorIdlEEZZNS1_29radix_sort_onesweep_iterationIS3_Lb0EPdS7_N6thrust23THRUST_200600_302600_NS10device_ptrIlEESB_jNS0_19identity_decomposerENS1_16block_id_wrapperIjLb1EEEEE10hipError_tT1_PNSt15iterator_traitsISG_E10value_typeET2_T3_PNSH_ISM_E10value_typeET4_T5_PSR_SS_PNS1_23onesweep_lookback_stateEbbT6_jjT7_P12ihipStream_tbENKUlT_T0_SG_SL_E_clIS7_S7_SB_PlEEDaSZ_S10_SG_SL_EUlSZ_E_NS1_11comp_targetILNS1_3genE9ELNS1_11target_archE1100ELNS1_3gpuE3ELNS1_3repE0EEENS1_47radix_sort_onesweep_sort_config_static_selectorELNS0_4arch9wavefront6targetE1EEEvSG_
	.globl	_ZN7rocprim17ROCPRIM_400000_NS6detail17trampoline_kernelINS0_14default_configENS1_35radix_sort_onesweep_config_selectorIdlEEZZNS1_29radix_sort_onesweep_iterationIS3_Lb0EPdS7_N6thrust23THRUST_200600_302600_NS10device_ptrIlEESB_jNS0_19identity_decomposerENS1_16block_id_wrapperIjLb1EEEEE10hipError_tT1_PNSt15iterator_traitsISG_E10value_typeET2_T3_PNSH_ISM_E10value_typeET4_T5_PSR_SS_PNS1_23onesweep_lookback_stateEbbT6_jjT7_P12ihipStream_tbENKUlT_T0_SG_SL_E_clIS7_S7_SB_PlEEDaSZ_S10_SG_SL_EUlSZ_E_NS1_11comp_targetILNS1_3genE9ELNS1_11target_archE1100ELNS1_3gpuE3ELNS1_3repE0EEENS1_47radix_sort_onesweep_sort_config_static_selectorELNS0_4arch9wavefront6targetE1EEEvSG_
	.p2align	8
	.type	_ZN7rocprim17ROCPRIM_400000_NS6detail17trampoline_kernelINS0_14default_configENS1_35radix_sort_onesweep_config_selectorIdlEEZZNS1_29radix_sort_onesweep_iterationIS3_Lb0EPdS7_N6thrust23THRUST_200600_302600_NS10device_ptrIlEESB_jNS0_19identity_decomposerENS1_16block_id_wrapperIjLb1EEEEE10hipError_tT1_PNSt15iterator_traitsISG_E10value_typeET2_T3_PNSH_ISM_E10value_typeET4_T5_PSR_SS_PNS1_23onesweep_lookback_stateEbbT6_jjT7_P12ihipStream_tbENKUlT_T0_SG_SL_E_clIS7_S7_SB_PlEEDaSZ_S10_SG_SL_EUlSZ_E_NS1_11comp_targetILNS1_3genE9ELNS1_11target_archE1100ELNS1_3gpuE3ELNS1_3repE0EEENS1_47radix_sort_onesweep_sort_config_static_selectorELNS0_4arch9wavefront6targetE1EEEvSG_,@function
_ZN7rocprim17ROCPRIM_400000_NS6detail17trampoline_kernelINS0_14default_configENS1_35radix_sort_onesweep_config_selectorIdlEEZZNS1_29radix_sort_onesweep_iterationIS3_Lb0EPdS7_N6thrust23THRUST_200600_302600_NS10device_ptrIlEESB_jNS0_19identity_decomposerENS1_16block_id_wrapperIjLb1EEEEE10hipError_tT1_PNSt15iterator_traitsISG_E10value_typeET2_T3_PNSH_ISM_E10value_typeET4_T5_PSR_SS_PNS1_23onesweep_lookback_stateEbbT6_jjT7_P12ihipStream_tbENKUlT_T0_SG_SL_E_clIS7_S7_SB_PlEEDaSZ_S10_SG_SL_EUlSZ_E_NS1_11comp_targetILNS1_3genE9ELNS1_11target_archE1100ELNS1_3gpuE3ELNS1_3repE0EEENS1_47radix_sort_onesweep_sort_config_static_selectorELNS0_4arch9wavefront6targetE1EEEvSG_: ; @_ZN7rocprim17ROCPRIM_400000_NS6detail17trampoline_kernelINS0_14default_configENS1_35radix_sort_onesweep_config_selectorIdlEEZZNS1_29radix_sort_onesweep_iterationIS3_Lb0EPdS7_N6thrust23THRUST_200600_302600_NS10device_ptrIlEESB_jNS0_19identity_decomposerENS1_16block_id_wrapperIjLb1EEEEE10hipError_tT1_PNSt15iterator_traitsISG_E10value_typeET2_T3_PNSH_ISM_E10value_typeET4_T5_PSR_SS_PNS1_23onesweep_lookback_stateEbbT6_jjT7_P12ihipStream_tbENKUlT_T0_SG_SL_E_clIS7_S7_SB_PlEEDaSZ_S10_SG_SL_EUlSZ_E_NS1_11comp_targetILNS1_3genE9ELNS1_11target_archE1100ELNS1_3gpuE3ELNS1_3repE0EEENS1_47radix_sort_onesweep_sort_config_static_selectorELNS0_4arch9wavefront6targetE1EEEvSG_
; %bb.0:
	.section	.rodata,"a",@progbits
	.p2align	6, 0x0
	.amdhsa_kernel _ZN7rocprim17ROCPRIM_400000_NS6detail17trampoline_kernelINS0_14default_configENS1_35radix_sort_onesweep_config_selectorIdlEEZZNS1_29radix_sort_onesweep_iterationIS3_Lb0EPdS7_N6thrust23THRUST_200600_302600_NS10device_ptrIlEESB_jNS0_19identity_decomposerENS1_16block_id_wrapperIjLb1EEEEE10hipError_tT1_PNSt15iterator_traitsISG_E10value_typeET2_T3_PNSH_ISM_E10value_typeET4_T5_PSR_SS_PNS1_23onesweep_lookback_stateEbbT6_jjT7_P12ihipStream_tbENKUlT_T0_SG_SL_E_clIS7_S7_SB_PlEEDaSZ_S10_SG_SL_EUlSZ_E_NS1_11comp_targetILNS1_3genE9ELNS1_11target_archE1100ELNS1_3gpuE3ELNS1_3repE0EEENS1_47radix_sort_onesweep_sort_config_static_selectorELNS0_4arch9wavefront6targetE1EEEvSG_
		.amdhsa_group_segment_fixed_size 0
		.amdhsa_private_segment_fixed_size 0
		.amdhsa_kernarg_size 88
		.amdhsa_user_sgpr_count 6
		.amdhsa_user_sgpr_private_segment_buffer 1
		.amdhsa_user_sgpr_dispatch_ptr 0
		.amdhsa_user_sgpr_queue_ptr 0
		.amdhsa_user_sgpr_kernarg_segment_ptr 1
		.amdhsa_user_sgpr_dispatch_id 0
		.amdhsa_user_sgpr_flat_scratch_init 0
		.amdhsa_user_sgpr_kernarg_preload_length 0
		.amdhsa_user_sgpr_kernarg_preload_offset 0
		.amdhsa_user_sgpr_private_segment_size 0
		.amdhsa_uses_dynamic_stack 0
		.amdhsa_system_sgpr_private_segment_wavefront_offset 0
		.amdhsa_system_sgpr_workgroup_id_x 1
		.amdhsa_system_sgpr_workgroup_id_y 0
		.amdhsa_system_sgpr_workgroup_id_z 0
		.amdhsa_system_sgpr_workgroup_info 0
		.amdhsa_system_vgpr_workitem_id 0
		.amdhsa_next_free_vgpr 1
		.amdhsa_next_free_sgpr 0
		.amdhsa_accum_offset 4
		.amdhsa_reserve_vcc 0
		.amdhsa_reserve_flat_scratch 0
		.amdhsa_float_round_mode_32 0
		.amdhsa_float_round_mode_16_64 0
		.amdhsa_float_denorm_mode_32 3
		.amdhsa_float_denorm_mode_16_64 3
		.amdhsa_dx10_clamp 1
		.amdhsa_ieee_mode 1
		.amdhsa_fp16_overflow 0
		.amdhsa_tg_split 0
		.amdhsa_exception_fp_ieee_invalid_op 0
		.amdhsa_exception_fp_denorm_src 0
		.amdhsa_exception_fp_ieee_div_zero 0
		.amdhsa_exception_fp_ieee_overflow 0
		.amdhsa_exception_fp_ieee_underflow 0
		.amdhsa_exception_fp_ieee_inexact 0
		.amdhsa_exception_int_div_zero 0
	.end_amdhsa_kernel
	.section	.text._ZN7rocprim17ROCPRIM_400000_NS6detail17trampoline_kernelINS0_14default_configENS1_35radix_sort_onesweep_config_selectorIdlEEZZNS1_29radix_sort_onesweep_iterationIS3_Lb0EPdS7_N6thrust23THRUST_200600_302600_NS10device_ptrIlEESB_jNS0_19identity_decomposerENS1_16block_id_wrapperIjLb1EEEEE10hipError_tT1_PNSt15iterator_traitsISG_E10value_typeET2_T3_PNSH_ISM_E10value_typeET4_T5_PSR_SS_PNS1_23onesweep_lookback_stateEbbT6_jjT7_P12ihipStream_tbENKUlT_T0_SG_SL_E_clIS7_S7_SB_PlEEDaSZ_S10_SG_SL_EUlSZ_E_NS1_11comp_targetILNS1_3genE9ELNS1_11target_archE1100ELNS1_3gpuE3ELNS1_3repE0EEENS1_47radix_sort_onesweep_sort_config_static_selectorELNS0_4arch9wavefront6targetE1EEEvSG_,"axG",@progbits,_ZN7rocprim17ROCPRIM_400000_NS6detail17trampoline_kernelINS0_14default_configENS1_35radix_sort_onesweep_config_selectorIdlEEZZNS1_29radix_sort_onesweep_iterationIS3_Lb0EPdS7_N6thrust23THRUST_200600_302600_NS10device_ptrIlEESB_jNS0_19identity_decomposerENS1_16block_id_wrapperIjLb1EEEEE10hipError_tT1_PNSt15iterator_traitsISG_E10value_typeET2_T3_PNSH_ISM_E10value_typeET4_T5_PSR_SS_PNS1_23onesweep_lookback_stateEbbT6_jjT7_P12ihipStream_tbENKUlT_T0_SG_SL_E_clIS7_S7_SB_PlEEDaSZ_S10_SG_SL_EUlSZ_E_NS1_11comp_targetILNS1_3genE9ELNS1_11target_archE1100ELNS1_3gpuE3ELNS1_3repE0EEENS1_47radix_sort_onesweep_sort_config_static_selectorELNS0_4arch9wavefront6targetE1EEEvSG_,comdat
.Lfunc_end1632:
	.size	_ZN7rocprim17ROCPRIM_400000_NS6detail17trampoline_kernelINS0_14default_configENS1_35radix_sort_onesweep_config_selectorIdlEEZZNS1_29radix_sort_onesweep_iterationIS3_Lb0EPdS7_N6thrust23THRUST_200600_302600_NS10device_ptrIlEESB_jNS0_19identity_decomposerENS1_16block_id_wrapperIjLb1EEEEE10hipError_tT1_PNSt15iterator_traitsISG_E10value_typeET2_T3_PNSH_ISM_E10value_typeET4_T5_PSR_SS_PNS1_23onesweep_lookback_stateEbbT6_jjT7_P12ihipStream_tbENKUlT_T0_SG_SL_E_clIS7_S7_SB_PlEEDaSZ_S10_SG_SL_EUlSZ_E_NS1_11comp_targetILNS1_3genE9ELNS1_11target_archE1100ELNS1_3gpuE3ELNS1_3repE0EEENS1_47radix_sort_onesweep_sort_config_static_selectorELNS0_4arch9wavefront6targetE1EEEvSG_, .Lfunc_end1632-_ZN7rocprim17ROCPRIM_400000_NS6detail17trampoline_kernelINS0_14default_configENS1_35radix_sort_onesweep_config_selectorIdlEEZZNS1_29radix_sort_onesweep_iterationIS3_Lb0EPdS7_N6thrust23THRUST_200600_302600_NS10device_ptrIlEESB_jNS0_19identity_decomposerENS1_16block_id_wrapperIjLb1EEEEE10hipError_tT1_PNSt15iterator_traitsISG_E10value_typeET2_T3_PNSH_ISM_E10value_typeET4_T5_PSR_SS_PNS1_23onesweep_lookback_stateEbbT6_jjT7_P12ihipStream_tbENKUlT_T0_SG_SL_E_clIS7_S7_SB_PlEEDaSZ_S10_SG_SL_EUlSZ_E_NS1_11comp_targetILNS1_3genE9ELNS1_11target_archE1100ELNS1_3gpuE3ELNS1_3repE0EEENS1_47radix_sort_onesweep_sort_config_static_selectorELNS0_4arch9wavefront6targetE1EEEvSG_
                                        ; -- End function
	.section	.AMDGPU.csdata,"",@progbits
; Kernel info:
; codeLenInByte = 0
; NumSgprs: 4
; NumVgprs: 0
; NumAgprs: 0
; TotalNumVgprs: 0
; ScratchSize: 0
; MemoryBound: 0
; FloatMode: 240
; IeeeMode: 1
; LDSByteSize: 0 bytes/workgroup (compile time only)
; SGPRBlocks: 0
; VGPRBlocks: 0
; NumSGPRsForWavesPerEU: 4
; NumVGPRsForWavesPerEU: 1
; AccumOffset: 4
; Occupancy: 8
; WaveLimiterHint : 0
; COMPUTE_PGM_RSRC2:SCRATCH_EN: 0
; COMPUTE_PGM_RSRC2:USER_SGPR: 6
; COMPUTE_PGM_RSRC2:TRAP_HANDLER: 0
; COMPUTE_PGM_RSRC2:TGID_X_EN: 1
; COMPUTE_PGM_RSRC2:TGID_Y_EN: 0
; COMPUTE_PGM_RSRC2:TGID_Z_EN: 0
; COMPUTE_PGM_RSRC2:TIDIG_COMP_CNT: 0
; COMPUTE_PGM_RSRC3_GFX90A:ACCUM_OFFSET: 0
; COMPUTE_PGM_RSRC3_GFX90A:TG_SPLIT: 0
	.section	.text._ZN7rocprim17ROCPRIM_400000_NS6detail17trampoline_kernelINS0_14default_configENS1_35radix_sort_onesweep_config_selectorIdlEEZZNS1_29radix_sort_onesweep_iterationIS3_Lb0EPdS7_N6thrust23THRUST_200600_302600_NS10device_ptrIlEESB_jNS0_19identity_decomposerENS1_16block_id_wrapperIjLb1EEEEE10hipError_tT1_PNSt15iterator_traitsISG_E10value_typeET2_T3_PNSH_ISM_E10value_typeET4_T5_PSR_SS_PNS1_23onesweep_lookback_stateEbbT6_jjT7_P12ihipStream_tbENKUlT_T0_SG_SL_E_clIS7_S7_SB_PlEEDaSZ_S10_SG_SL_EUlSZ_E_NS1_11comp_targetILNS1_3genE8ELNS1_11target_archE1030ELNS1_3gpuE2ELNS1_3repE0EEENS1_47radix_sort_onesweep_sort_config_static_selectorELNS0_4arch9wavefront6targetE1EEEvSG_,"axG",@progbits,_ZN7rocprim17ROCPRIM_400000_NS6detail17trampoline_kernelINS0_14default_configENS1_35radix_sort_onesweep_config_selectorIdlEEZZNS1_29radix_sort_onesweep_iterationIS3_Lb0EPdS7_N6thrust23THRUST_200600_302600_NS10device_ptrIlEESB_jNS0_19identity_decomposerENS1_16block_id_wrapperIjLb1EEEEE10hipError_tT1_PNSt15iterator_traitsISG_E10value_typeET2_T3_PNSH_ISM_E10value_typeET4_T5_PSR_SS_PNS1_23onesweep_lookback_stateEbbT6_jjT7_P12ihipStream_tbENKUlT_T0_SG_SL_E_clIS7_S7_SB_PlEEDaSZ_S10_SG_SL_EUlSZ_E_NS1_11comp_targetILNS1_3genE8ELNS1_11target_archE1030ELNS1_3gpuE2ELNS1_3repE0EEENS1_47radix_sort_onesweep_sort_config_static_selectorELNS0_4arch9wavefront6targetE1EEEvSG_,comdat
	.protected	_ZN7rocprim17ROCPRIM_400000_NS6detail17trampoline_kernelINS0_14default_configENS1_35radix_sort_onesweep_config_selectorIdlEEZZNS1_29radix_sort_onesweep_iterationIS3_Lb0EPdS7_N6thrust23THRUST_200600_302600_NS10device_ptrIlEESB_jNS0_19identity_decomposerENS1_16block_id_wrapperIjLb1EEEEE10hipError_tT1_PNSt15iterator_traitsISG_E10value_typeET2_T3_PNSH_ISM_E10value_typeET4_T5_PSR_SS_PNS1_23onesweep_lookback_stateEbbT6_jjT7_P12ihipStream_tbENKUlT_T0_SG_SL_E_clIS7_S7_SB_PlEEDaSZ_S10_SG_SL_EUlSZ_E_NS1_11comp_targetILNS1_3genE8ELNS1_11target_archE1030ELNS1_3gpuE2ELNS1_3repE0EEENS1_47radix_sort_onesweep_sort_config_static_selectorELNS0_4arch9wavefront6targetE1EEEvSG_ ; -- Begin function _ZN7rocprim17ROCPRIM_400000_NS6detail17trampoline_kernelINS0_14default_configENS1_35radix_sort_onesweep_config_selectorIdlEEZZNS1_29radix_sort_onesweep_iterationIS3_Lb0EPdS7_N6thrust23THRUST_200600_302600_NS10device_ptrIlEESB_jNS0_19identity_decomposerENS1_16block_id_wrapperIjLb1EEEEE10hipError_tT1_PNSt15iterator_traitsISG_E10value_typeET2_T3_PNSH_ISM_E10value_typeET4_T5_PSR_SS_PNS1_23onesweep_lookback_stateEbbT6_jjT7_P12ihipStream_tbENKUlT_T0_SG_SL_E_clIS7_S7_SB_PlEEDaSZ_S10_SG_SL_EUlSZ_E_NS1_11comp_targetILNS1_3genE8ELNS1_11target_archE1030ELNS1_3gpuE2ELNS1_3repE0EEENS1_47radix_sort_onesweep_sort_config_static_selectorELNS0_4arch9wavefront6targetE1EEEvSG_
	.globl	_ZN7rocprim17ROCPRIM_400000_NS6detail17trampoline_kernelINS0_14default_configENS1_35radix_sort_onesweep_config_selectorIdlEEZZNS1_29radix_sort_onesweep_iterationIS3_Lb0EPdS7_N6thrust23THRUST_200600_302600_NS10device_ptrIlEESB_jNS0_19identity_decomposerENS1_16block_id_wrapperIjLb1EEEEE10hipError_tT1_PNSt15iterator_traitsISG_E10value_typeET2_T3_PNSH_ISM_E10value_typeET4_T5_PSR_SS_PNS1_23onesweep_lookback_stateEbbT6_jjT7_P12ihipStream_tbENKUlT_T0_SG_SL_E_clIS7_S7_SB_PlEEDaSZ_S10_SG_SL_EUlSZ_E_NS1_11comp_targetILNS1_3genE8ELNS1_11target_archE1030ELNS1_3gpuE2ELNS1_3repE0EEENS1_47radix_sort_onesweep_sort_config_static_selectorELNS0_4arch9wavefront6targetE1EEEvSG_
	.p2align	8
	.type	_ZN7rocprim17ROCPRIM_400000_NS6detail17trampoline_kernelINS0_14default_configENS1_35radix_sort_onesweep_config_selectorIdlEEZZNS1_29radix_sort_onesweep_iterationIS3_Lb0EPdS7_N6thrust23THRUST_200600_302600_NS10device_ptrIlEESB_jNS0_19identity_decomposerENS1_16block_id_wrapperIjLb1EEEEE10hipError_tT1_PNSt15iterator_traitsISG_E10value_typeET2_T3_PNSH_ISM_E10value_typeET4_T5_PSR_SS_PNS1_23onesweep_lookback_stateEbbT6_jjT7_P12ihipStream_tbENKUlT_T0_SG_SL_E_clIS7_S7_SB_PlEEDaSZ_S10_SG_SL_EUlSZ_E_NS1_11comp_targetILNS1_3genE8ELNS1_11target_archE1030ELNS1_3gpuE2ELNS1_3repE0EEENS1_47radix_sort_onesweep_sort_config_static_selectorELNS0_4arch9wavefront6targetE1EEEvSG_,@function
_ZN7rocprim17ROCPRIM_400000_NS6detail17trampoline_kernelINS0_14default_configENS1_35radix_sort_onesweep_config_selectorIdlEEZZNS1_29radix_sort_onesweep_iterationIS3_Lb0EPdS7_N6thrust23THRUST_200600_302600_NS10device_ptrIlEESB_jNS0_19identity_decomposerENS1_16block_id_wrapperIjLb1EEEEE10hipError_tT1_PNSt15iterator_traitsISG_E10value_typeET2_T3_PNSH_ISM_E10value_typeET4_T5_PSR_SS_PNS1_23onesweep_lookback_stateEbbT6_jjT7_P12ihipStream_tbENKUlT_T0_SG_SL_E_clIS7_S7_SB_PlEEDaSZ_S10_SG_SL_EUlSZ_E_NS1_11comp_targetILNS1_3genE8ELNS1_11target_archE1030ELNS1_3gpuE2ELNS1_3repE0EEENS1_47radix_sort_onesweep_sort_config_static_selectorELNS0_4arch9wavefront6targetE1EEEvSG_: ; @_ZN7rocprim17ROCPRIM_400000_NS6detail17trampoline_kernelINS0_14default_configENS1_35radix_sort_onesweep_config_selectorIdlEEZZNS1_29radix_sort_onesweep_iterationIS3_Lb0EPdS7_N6thrust23THRUST_200600_302600_NS10device_ptrIlEESB_jNS0_19identity_decomposerENS1_16block_id_wrapperIjLb1EEEEE10hipError_tT1_PNSt15iterator_traitsISG_E10value_typeET2_T3_PNSH_ISM_E10value_typeET4_T5_PSR_SS_PNS1_23onesweep_lookback_stateEbbT6_jjT7_P12ihipStream_tbENKUlT_T0_SG_SL_E_clIS7_S7_SB_PlEEDaSZ_S10_SG_SL_EUlSZ_E_NS1_11comp_targetILNS1_3genE8ELNS1_11target_archE1030ELNS1_3gpuE2ELNS1_3repE0EEENS1_47radix_sort_onesweep_sort_config_static_selectorELNS0_4arch9wavefront6targetE1EEEvSG_
; %bb.0:
	.section	.rodata,"a",@progbits
	.p2align	6, 0x0
	.amdhsa_kernel _ZN7rocprim17ROCPRIM_400000_NS6detail17trampoline_kernelINS0_14default_configENS1_35radix_sort_onesweep_config_selectorIdlEEZZNS1_29radix_sort_onesweep_iterationIS3_Lb0EPdS7_N6thrust23THRUST_200600_302600_NS10device_ptrIlEESB_jNS0_19identity_decomposerENS1_16block_id_wrapperIjLb1EEEEE10hipError_tT1_PNSt15iterator_traitsISG_E10value_typeET2_T3_PNSH_ISM_E10value_typeET4_T5_PSR_SS_PNS1_23onesweep_lookback_stateEbbT6_jjT7_P12ihipStream_tbENKUlT_T0_SG_SL_E_clIS7_S7_SB_PlEEDaSZ_S10_SG_SL_EUlSZ_E_NS1_11comp_targetILNS1_3genE8ELNS1_11target_archE1030ELNS1_3gpuE2ELNS1_3repE0EEENS1_47radix_sort_onesweep_sort_config_static_selectorELNS0_4arch9wavefront6targetE1EEEvSG_
		.amdhsa_group_segment_fixed_size 0
		.amdhsa_private_segment_fixed_size 0
		.amdhsa_kernarg_size 88
		.amdhsa_user_sgpr_count 6
		.amdhsa_user_sgpr_private_segment_buffer 1
		.amdhsa_user_sgpr_dispatch_ptr 0
		.amdhsa_user_sgpr_queue_ptr 0
		.amdhsa_user_sgpr_kernarg_segment_ptr 1
		.amdhsa_user_sgpr_dispatch_id 0
		.amdhsa_user_sgpr_flat_scratch_init 0
		.amdhsa_user_sgpr_kernarg_preload_length 0
		.amdhsa_user_sgpr_kernarg_preload_offset 0
		.amdhsa_user_sgpr_private_segment_size 0
		.amdhsa_uses_dynamic_stack 0
		.amdhsa_system_sgpr_private_segment_wavefront_offset 0
		.amdhsa_system_sgpr_workgroup_id_x 1
		.amdhsa_system_sgpr_workgroup_id_y 0
		.amdhsa_system_sgpr_workgroup_id_z 0
		.amdhsa_system_sgpr_workgroup_info 0
		.amdhsa_system_vgpr_workitem_id 0
		.amdhsa_next_free_vgpr 1
		.amdhsa_next_free_sgpr 0
		.amdhsa_accum_offset 4
		.amdhsa_reserve_vcc 0
		.amdhsa_reserve_flat_scratch 0
		.amdhsa_float_round_mode_32 0
		.amdhsa_float_round_mode_16_64 0
		.amdhsa_float_denorm_mode_32 3
		.amdhsa_float_denorm_mode_16_64 3
		.amdhsa_dx10_clamp 1
		.amdhsa_ieee_mode 1
		.amdhsa_fp16_overflow 0
		.amdhsa_tg_split 0
		.amdhsa_exception_fp_ieee_invalid_op 0
		.amdhsa_exception_fp_denorm_src 0
		.amdhsa_exception_fp_ieee_div_zero 0
		.amdhsa_exception_fp_ieee_overflow 0
		.amdhsa_exception_fp_ieee_underflow 0
		.amdhsa_exception_fp_ieee_inexact 0
		.amdhsa_exception_int_div_zero 0
	.end_amdhsa_kernel
	.section	.text._ZN7rocprim17ROCPRIM_400000_NS6detail17trampoline_kernelINS0_14default_configENS1_35radix_sort_onesweep_config_selectorIdlEEZZNS1_29radix_sort_onesweep_iterationIS3_Lb0EPdS7_N6thrust23THRUST_200600_302600_NS10device_ptrIlEESB_jNS0_19identity_decomposerENS1_16block_id_wrapperIjLb1EEEEE10hipError_tT1_PNSt15iterator_traitsISG_E10value_typeET2_T3_PNSH_ISM_E10value_typeET4_T5_PSR_SS_PNS1_23onesweep_lookback_stateEbbT6_jjT7_P12ihipStream_tbENKUlT_T0_SG_SL_E_clIS7_S7_SB_PlEEDaSZ_S10_SG_SL_EUlSZ_E_NS1_11comp_targetILNS1_3genE8ELNS1_11target_archE1030ELNS1_3gpuE2ELNS1_3repE0EEENS1_47radix_sort_onesweep_sort_config_static_selectorELNS0_4arch9wavefront6targetE1EEEvSG_,"axG",@progbits,_ZN7rocprim17ROCPRIM_400000_NS6detail17trampoline_kernelINS0_14default_configENS1_35radix_sort_onesweep_config_selectorIdlEEZZNS1_29radix_sort_onesweep_iterationIS3_Lb0EPdS7_N6thrust23THRUST_200600_302600_NS10device_ptrIlEESB_jNS0_19identity_decomposerENS1_16block_id_wrapperIjLb1EEEEE10hipError_tT1_PNSt15iterator_traitsISG_E10value_typeET2_T3_PNSH_ISM_E10value_typeET4_T5_PSR_SS_PNS1_23onesweep_lookback_stateEbbT6_jjT7_P12ihipStream_tbENKUlT_T0_SG_SL_E_clIS7_S7_SB_PlEEDaSZ_S10_SG_SL_EUlSZ_E_NS1_11comp_targetILNS1_3genE8ELNS1_11target_archE1030ELNS1_3gpuE2ELNS1_3repE0EEENS1_47radix_sort_onesweep_sort_config_static_selectorELNS0_4arch9wavefront6targetE1EEEvSG_,comdat
.Lfunc_end1633:
	.size	_ZN7rocprim17ROCPRIM_400000_NS6detail17trampoline_kernelINS0_14default_configENS1_35radix_sort_onesweep_config_selectorIdlEEZZNS1_29radix_sort_onesweep_iterationIS3_Lb0EPdS7_N6thrust23THRUST_200600_302600_NS10device_ptrIlEESB_jNS0_19identity_decomposerENS1_16block_id_wrapperIjLb1EEEEE10hipError_tT1_PNSt15iterator_traitsISG_E10value_typeET2_T3_PNSH_ISM_E10value_typeET4_T5_PSR_SS_PNS1_23onesweep_lookback_stateEbbT6_jjT7_P12ihipStream_tbENKUlT_T0_SG_SL_E_clIS7_S7_SB_PlEEDaSZ_S10_SG_SL_EUlSZ_E_NS1_11comp_targetILNS1_3genE8ELNS1_11target_archE1030ELNS1_3gpuE2ELNS1_3repE0EEENS1_47radix_sort_onesweep_sort_config_static_selectorELNS0_4arch9wavefront6targetE1EEEvSG_, .Lfunc_end1633-_ZN7rocprim17ROCPRIM_400000_NS6detail17trampoline_kernelINS0_14default_configENS1_35radix_sort_onesweep_config_selectorIdlEEZZNS1_29radix_sort_onesweep_iterationIS3_Lb0EPdS7_N6thrust23THRUST_200600_302600_NS10device_ptrIlEESB_jNS0_19identity_decomposerENS1_16block_id_wrapperIjLb1EEEEE10hipError_tT1_PNSt15iterator_traitsISG_E10value_typeET2_T3_PNSH_ISM_E10value_typeET4_T5_PSR_SS_PNS1_23onesweep_lookback_stateEbbT6_jjT7_P12ihipStream_tbENKUlT_T0_SG_SL_E_clIS7_S7_SB_PlEEDaSZ_S10_SG_SL_EUlSZ_E_NS1_11comp_targetILNS1_3genE8ELNS1_11target_archE1030ELNS1_3gpuE2ELNS1_3repE0EEENS1_47radix_sort_onesweep_sort_config_static_selectorELNS0_4arch9wavefront6targetE1EEEvSG_
                                        ; -- End function
	.section	.AMDGPU.csdata,"",@progbits
; Kernel info:
; codeLenInByte = 0
; NumSgprs: 4
; NumVgprs: 0
; NumAgprs: 0
; TotalNumVgprs: 0
; ScratchSize: 0
; MemoryBound: 0
; FloatMode: 240
; IeeeMode: 1
; LDSByteSize: 0 bytes/workgroup (compile time only)
; SGPRBlocks: 0
; VGPRBlocks: 0
; NumSGPRsForWavesPerEU: 4
; NumVGPRsForWavesPerEU: 1
; AccumOffset: 4
; Occupancy: 8
; WaveLimiterHint : 0
; COMPUTE_PGM_RSRC2:SCRATCH_EN: 0
; COMPUTE_PGM_RSRC2:USER_SGPR: 6
; COMPUTE_PGM_RSRC2:TRAP_HANDLER: 0
; COMPUTE_PGM_RSRC2:TGID_X_EN: 1
; COMPUTE_PGM_RSRC2:TGID_Y_EN: 0
; COMPUTE_PGM_RSRC2:TGID_Z_EN: 0
; COMPUTE_PGM_RSRC2:TIDIG_COMP_CNT: 0
; COMPUTE_PGM_RSRC3_GFX90A:ACCUM_OFFSET: 0
; COMPUTE_PGM_RSRC3_GFX90A:TG_SPLIT: 0
	.section	.text._ZN7rocprim17ROCPRIM_400000_NS6detail17trampoline_kernelINS0_14default_configENS1_35radix_sort_onesweep_config_selectorIdlEEZZNS1_29radix_sort_onesweep_iterationIS3_Lb0EPdS7_N6thrust23THRUST_200600_302600_NS10device_ptrIlEESB_jNS0_19identity_decomposerENS1_16block_id_wrapperIjLb1EEEEE10hipError_tT1_PNSt15iterator_traitsISG_E10value_typeET2_T3_PNSH_ISM_E10value_typeET4_T5_PSR_SS_PNS1_23onesweep_lookback_stateEbbT6_jjT7_P12ihipStream_tbENKUlT_T0_SG_SL_E_clIS7_S7_PlSB_EEDaSZ_S10_SG_SL_EUlSZ_E_NS1_11comp_targetILNS1_3genE0ELNS1_11target_archE4294967295ELNS1_3gpuE0ELNS1_3repE0EEENS1_47radix_sort_onesweep_sort_config_static_selectorELNS0_4arch9wavefront6targetE1EEEvSG_,"axG",@progbits,_ZN7rocprim17ROCPRIM_400000_NS6detail17trampoline_kernelINS0_14default_configENS1_35radix_sort_onesweep_config_selectorIdlEEZZNS1_29radix_sort_onesweep_iterationIS3_Lb0EPdS7_N6thrust23THRUST_200600_302600_NS10device_ptrIlEESB_jNS0_19identity_decomposerENS1_16block_id_wrapperIjLb1EEEEE10hipError_tT1_PNSt15iterator_traitsISG_E10value_typeET2_T3_PNSH_ISM_E10value_typeET4_T5_PSR_SS_PNS1_23onesweep_lookback_stateEbbT6_jjT7_P12ihipStream_tbENKUlT_T0_SG_SL_E_clIS7_S7_PlSB_EEDaSZ_S10_SG_SL_EUlSZ_E_NS1_11comp_targetILNS1_3genE0ELNS1_11target_archE4294967295ELNS1_3gpuE0ELNS1_3repE0EEENS1_47radix_sort_onesweep_sort_config_static_selectorELNS0_4arch9wavefront6targetE1EEEvSG_,comdat
	.protected	_ZN7rocprim17ROCPRIM_400000_NS6detail17trampoline_kernelINS0_14default_configENS1_35radix_sort_onesweep_config_selectorIdlEEZZNS1_29radix_sort_onesweep_iterationIS3_Lb0EPdS7_N6thrust23THRUST_200600_302600_NS10device_ptrIlEESB_jNS0_19identity_decomposerENS1_16block_id_wrapperIjLb1EEEEE10hipError_tT1_PNSt15iterator_traitsISG_E10value_typeET2_T3_PNSH_ISM_E10value_typeET4_T5_PSR_SS_PNS1_23onesweep_lookback_stateEbbT6_jjT7_P12ihipStream_tbENKUlT_T0_SG_SL_E_clIS7_S7_PlSB_EEDaSZ_S10_SG_SL_EUlSZ_E_NS1_11comp_targetILNS1_3genE0ELNS1_11target_archE4294967295ELNS1_3gpuE0ELNS1_3repE0EEENS1_47radix_sort_onesweep_sort_config_static_selectorELNS0_4arch9wavefront6targetE1EEEvSG_ ; -- Begin function _ZN7rocprim17ROCPRIM_400000_NS6detail17trampoline_kernelINS0_14default_configENS1_35radix_sort_onesweep_config_selectorIdlEEZZNS1_29radix_sort_onesweep_iterationIS3_Lb0EPdS7_N6thrust23THRUST_200600_302600_NS10device_ptrIlEESB_jNS0_19identity_decomposerENS1_16block_id_wrapperIjLb1EEEEE10hipError_tT1_PNSt15iterator_traitsISG_E10value_typeET2_T3_PNSH_ISM_E10value_typeET4_T5_PSR_SS_PNS1_23onesweep_lookback_stateEbbT6_jjT7_P12ihipStream_tbENKUlT_T0_SG_SL_E_clIS7_S7_PlSB_EEDaSZ_S10_SG_SL_EUlSZ_E_NS1_11comp_targetILNS1_3genE0ELNS1_11target_archE4294967295ELNS1_3gpuE0ELNS1_3repE0EEENS1_47radix_sort_onesweep_sort_config_static_selectorELNS0_4arch9wavefront6targetE1EEEvSG_
	.globl	_ZN7rocprim17ROCPRIM_400000_NS6detail17trampoline_kernelINS0_14default_configENS1_35radix_sort_onesweep_config_selectorIdlEEZZNS1_29radix_sort_onesweep_iterationIS3_Lb0EPdS7_N6thrust23THRUST_200600_302600_NS10device_ptrIlEESB_jNS0_19identity_decomposerENS1_16block_id_wrapperIjLb1EEEEE10hipError_tT1_PNSt15iterator_traitsISG_E10value_typeET2_T3_PNSH_ISM_E10value_typeET4_T5_PSR_SS_PNS1_23onesweep_lookback_stateEbbT6_jjT7_P12ihipStream_tbENKUlT_T0_SG_SL_E_clIS7_S7_PlSB_EEDaSZ_S10_SG_SL_EUlSZ_E_NS1_11comp_targetILNS1_3genE0ELNS1_11target_archE4294967295ELNS1_3gpuE0ELNS1_3repE0EEENS1_47radix_sort_onesweep_sort_config_static_selectorELNS0_4arch9wavefront6targetE1EEEvSG_
	.p2align	8
	.type	_ZN7rocprim17ROCPRIM_400000_NS6detail17trampoline_kernelINS0_14default_configENS1_35radix_sort_onesweep_config_selectorIdlEEZZNS1_29radix_sort_onesweep_iterationIS3_Lb0EPdS7_N6thrust23THRUST_200600_302600_NS10device_ptrIlEESB_jNS0_19identity_decomposerENS1_16block_id_wrapperIjLb1EEEEE10hipError_tT1_PNSt15iterator_traitsISG_E10value_typeET2_T3_PNSH_ISM_E10value_typeET4_T5_PSR_SS_PNS1_23onesweep_lookback_stateEbbT6_jjT7_P12ihipStream_tbENKUlT_T0_SG_SL_E_clIS7_S7_PlSB_EEDaSZ_S10_SG_SL_EUlSZ_E_NS1_11comp_targetILNS1_3genE0ELNS1_11target_archE4294967295ELNS1_3gpuE0ELNS1_3repE0EEENS1_47radix_sort_onesweep_sort_config_static_selectorELNS0_4arch9wavefront6targetE1EEEvSG_,@function
_ZN7rocprim17ROCPRIM_400000_NS6detail17trampoline_kernelINS0_14default_configENS1_35radix_sort_onesweep_config_selectorIdlEEZZNS1_29radix_sort_onesweep_iterationIS3_Lb0EPdS7_N6thrust23THRUST_200600_302600_NS10device_ptrIlEESB_jNS0_19identity_decomposerENS1_16block_id_wrapperIjLb1EEEEE10hipError_tT1_PNSt15iterator_traitsISG_E10value_typeET2_T3_PNSH_ISM_E10value_typeET4_T5_PSR_SS_PNS1_23onesweep_lookback_stateEbbT6_jjT7_P12ihipStream_tbENKUlT_T0_SG_SL_E_clIS7_S7_PlSB_EEDaSZ_S10_SG_SL_EUlSZ_E_NS1_11comp_targetILNS1_3genE0ELNS1_11target_archE4294967295ELNS1_3gpuE0ELNS1_3repE0EEENS1_47radix_sort_onesweep_sort_config_static_selectorELNS0_4arch9wavefront6targetE1EEEvSG_: ; @_ZN7rocprim17ROCPRIM_400000_NS6detail17trampoline_kernelINS0_14default_configENS1_35radix_sort_onesweep_config_selectorIdlEEZZNS1_29radix_sort_onesweep_iterationIS3_Lb0EPdS7_N6thrust23THRUST_200600_302600_NS10device_ptrIlEESB_jNS0_19identity_decomposerENS1_16block_id_wrapperIjLb1EEEEE10hipError_tT1_PNSt15iterator_traitsISG_E10value_typeET2_T3_PNSH_ISM_E10value_typeET4_T5_PSR_SS_PNS1_23onesweep_lookback_stateEbbT6_jjT7_P12ihipStream_tbENKUlT_T0_SG_SL_E_clIS7_S7_PlSB_EEDaSZ_S10_SG_SL_EUlSZ_E_NS1_11comp_targetILNS1_3genE0ELNS1_11target_archE4294967295ELNS1_3gpuE0ELNS1_3repE0EEENS1_47radix_sort_onesweep_sort_config_static_selectorELNS0_4arch9wavefront6targetE1EEEvSG_
; %bb.0:
	.section	.rodata,"a",@progbits
	.p2align	6, 0x0
	.amdhsa_kernel _ZN7rocprim17ROCPRIM_400000_NS6detail17trampoline_kernelINS0_14default_configENS1_35radix_sort_onesweep_config_selectorIdlEEZZNS1_29radix_sort_onesweep_iterationIS3_Lb0EPdS7_N6thrust23THRUST_200600_302600_NS10device_ptrIlEESB_jNS0_19identity_decomposerENS1_16block_id_wrapperIjLb1EEEEE10hipError_tT1_PNSt15iterator_traitsISG_E10value_typeET2_T3_PNSH_ISM_E10value_typeET4_T5_PSR_SS_PNS1_23onesweep_lookback_stateEbbT6_jjT7_P12ihipStream_tbENKUlT_T0_SG_SL_E_clIS7_S7_PlSB_EEDaSZ_S10_SG_SL_EUlSZ_E_NS1_11comp_targetILNS1_3genE0ELNS1_11target_archE4294967295ELNS1_3gpuE0ELNS1_3repE0EEENS1_47radix_sort_onesweep_sort_config_static_selectorELNS0_4arch9wavefront6targetE1EEEvSG_
		.amdhsa_group_segment_fixed_size 0
		.amdhsa_private_segment_fixed_size 0
		.amdhsa_kernarg_size 88
		.amdhsa_user_sgpr_count 6
		.amdhsa_user_sgpr_private_segment_buffer 1
		.amdhsa_user_sgpr_dispatch_ptr 0
		.amdhsa_user_sgpr_queue_ptr 0
		.amdhsa_user_sgpr_kernarg_segment_ptr 1
		.amdhsa_user_sgpr_dispatch_id 0
		.amdhsa_user_sgpr_flat_scratch_init 0
		.amdhsa_user_sgpr_kernarg_preload_length 0
		.amdhsa_user_sgpr_kernarg_preload_offset 0
		.amdhsa_user_sgpr_private_segment_size 0
		.amdhsa_uses_dynamic_stack 0
		.amdhsa_system_sgpr_private_segment_wavefront_offset 0
		.amdhsa_system_sgpr_workgroup_id_x 1
		.amdhsa_system_sgpr_workgroup_id_y 0
		.amdhsa_system_sgpr_workgroup_id_z 0
		.amdhsa_system_sgpr_workgroup_info 0
		.amdhsa_system_vgpr_workitem_id 0
		.amdhsa_next_free_vgpr 1
		.amdhsa_next_free_sgpr 0
		.amdhsa_accum_offset 4
		.amdhsa_reserve_vcc 0
		.amdhsa_reserve_flat_scratch 0
		.amdhsa_float_round_mode_32 0
		.amdhsa_float_round_mode_16_64 0
		.amdhsa_float_denorm_mode_32 3
		.amdhsa_float_denorm_mode_16_64 3
		.amdhsa_dx10_clamp 1
		.amdhsa_ieee_mode 1
		.amdhsa_fp16_overflow 0
		.amdhsa_tg_split 0
		.amdhsa_exception_fp_ieee_invalid_op 0
		.amdhsa_exception_fp_denorm_src 0
		.amdhsa_exception_fp_ieee_div_zero 0
		.amdhsa_exception_fp_ieee_overflow 0
		.amdhsa_exception_fp_ieee_underflow 0
		.amdhsa_exception_fp_ieee_inexact 0
		.amdhsa_exception_int_div_zero 0
	.end_amdhsa_kernel
	.section	.text._ZN7rocprim17ROCPRIM_400000_NS6detail17trampoline_kernelINS0_14default_configENS1_35radix_sort_onesweep_config_selectorIdlEEZZNS1_29radix_sort_onesweep_iterationIS3_Lb0EPdS7_N6thrust23THRUST_200600_302600_NS10device_ptrIlEESB_jNS0_19identity_decomposerENS1_16block_id_wrapperIjLb1EEEEE10hipError_tT1_PNSt15iterator_traitsISG_E10value_typeET2_T3_PNSH_ISM_E10value_typeET4_T5_PSR_SS_PNS1_23onesweep_lookback_stateEbbT6_jjT7_P12ihipStream_tbENKUlT_T0_SG_SL_E_clIS7_S7_PlSB_EEDaSZ_S10_SG_SL_EUlSZ_E_NS1_11comp_targetILNS1_3genE0ELNS1_11target_archE4294967295ELNS1_3gpuE0ELNS1_3repE0EEENS1_47radix_sort_onesweep_sort_config_static_selectorELNS0_4arch9wavefront6targetE1EEEvSG_,"axG",@progbits,_ZN7rocprim17ROCPRIM_400000_NS6detail17trampoline_kernelINS0_14default_configENS1_35radix_sort_onesweep_config_selectorIdlEEZZNS1_29radix_sort_onesweep_iterationIS3_Lb0EPdS7_N6thrust23THRUST_200600_302600_NS10device_ptrIlEESB_jNS0_19identity_decomposerENS1_16block_id_wrapperIjLb1EEEEE10hipError_tT1_PNSt15iterator_traitsISG_E10value_typeET2_T3_PNSH_ISM_E10value_typeET4_T5_PSR_SS_PNS1_23onesweep_lookback_stateEbbT6_jjT7_P12ihipStream_tbENKUlT_T0_SG_SL_E_clIS7_S7_PlSB_EEDaSZ_S10_SG_SL_EUlSZ_E_NS1_11comp_targetILNS1_3genE0ELNS1_11target_archE4294967295ELNS1_3gpuE0ELNS1_3repE0EEENS1_47radix_sort_onesweep_sort_config_static_selectorELNS0_4arch9wavefront6targetE1EEEvSG_,comdat
.Lfunc_end1634:
	.size	_ZN7rocprim17ROCPRIM_400000_NS6detail17trampoline_kernelINS0_14default_configENS1_35radix_sort_onesweep_config_selectorIdlEEZZNS1_29radix_sort_onesweep_iterationIS3_Lb0EPdS7_N6thrust23THRUST_200600_302600_NS10device_ptrIlEESB_jNS0_19identity_decomposerENS1_16block_id_wrapperIjLb1EEEEE10hipError_tT1_PNSt15iterator_traitsISG_E10value_typeET2_T3_PNSH_ISM_E10value_typeET4_T5_PSR_SS_PNS1_23onesweep_lookback_stateEbbT6_jjT7_P12ihipStream_tbENKUlT_T0_SG_SL_E_clIS7_S7_PlSB_EEDaSZ_S10_SG_SL_EUlSZ_E_NS1_11comp_targetILNS1_3genE0ELNS1_11target_archE4294967295ELNS1_3gpuE0ELNS1_3repE0EEENS1_47radix_sort_onesweep_sort_config_static_selectorELNS0_4arch9wavefront6targetE1EEEvSG_, .Lfunc_end1634-_ZN7rocprim17ROCPRIM_400000_NS6detail17trampoline_kernelINS0_14default_configENS1_35radix_sort_onesweep_config_selectorIdlEEZZNS1_29radix_sort_onesweep_iterationIS3_Lb0EPdS7_N6thrust23THRUST_200600_302600_NS10device_ptrIlEESB_jNS0_19identity_decomposerENS1_16block_id_wrapperIjLb1EEEEE10hipError_tT1_PNSt15iterator_traitsISG_E10value_typeET2_T3_PNSH_ISM_E10value_typeET4_T5_PSR_SS_PNS1_23onesweep_lookback_stateEbbT6_jjT7_P12ihipStream_tbENKUlT_T0_SG_SL_E_clIS7_S7_PlSB_EEDaSZ_S10_SG_SL_EUlSZ_E_NS1_11comp_targetILNS1_3genE0ELNS1_11target_archE4294967295ELNS1_3gpuE0ELNS1_3repE0EEENS1_47radix_sort_onesweep_sort_config_static_selectorELNS0_4arch9wavefront6targetE1EEEvSG_
                                        ; -- End function
	.section	.AMDGPU.csdata,"",@progbits
; Kernel info:
; codeLenInByte = 0
; NumSgprs: 4
; NumVgprs: 0
; NumAgprs: 0
; TotalNumVgprs: 0
; ScratchSize: 0
; MemoryBound: 0
; FloatMode: 240
; IeeeMode: 1
; LDSByteSize: 0 bytes/workgroup (compile time only)
; SGPRBlocks: 0
; VGPRBlocks: 0
; NumSGPRsForWavesPerEU: 4
; NumVGPRsForWavesPerEU: 1
; AccumOffset: 4
; Occupancy: 8
; WaveLimiterHint : 0
; COMPUTE_PGM_RSRC2:SCRATCH_EN: 0
; COMPUTE_PGM_RSRC2:USER_SGPR: 6
; COMPUTE_PGM_RSRC2:TRAP_HANDLER: 0
; COMPUTE_PGM_RSRC2:TGID_X_EN: 1
; COMPUTE_PGM_RSRC2:TGID_Y_EN: 0
; COMPUTE_PGM_RSRC2:TGID_Z_EN: 0
; COMPUTE_PGM_RSRC2:TIDIG_COMP_CNT: 0
; COMPUTE_PGM_RSRC3_GFX90A:ACCUM_OFFSET: 0
; COMPUTE_PGM_RSRC3_GFX90A:TG_SPLIT: 0
	.section	.text._ZN7rocprim17ROCPRIM_400000_NS6detail17trampoline_kernelINS0_14default_configENS1_35radix_sort_onesweep_config_selectorIdlEEZZNS1_29radix_sort_onesweep_iterationIS3_Lb0EPdS7_N6thrust23THRUST_200600_302600_NS10device_ptrIlEESB_jNS0_19identity_decomposerENS1_16block_id_wrapperIjLb1EEEEE10hipError_tT1_PNSt15iterator_traitsISG_E10value_typeET2_T3_PNSH_ISM_E10value_typeET4_T5_PSR_SS_PNS1_23onesweep_lookback_stateEbbT6_jjT7_P12ihipStream_tbENKUlT_T0_SG_SL_E_clIS7_S7_PlSB_EEDaSZ_S10_SG_SL_EUlSZ_E_NS1_11comp_targetILNS1_3genE6ELNS1_11target_archE950ELNS1_3gpuE13ELNS1_3repE0EEENS1_47radix_sort_onesweep_sort_config_static_selectorELNS0_4arch9wavefront6targetE1EEEvSG_,"axG",@progbits,_ZN7rocprim17ROCPRIM_400000_NS6detail17trampoline_kernelINS0_14default_configENS1_35radix_sort_onesweep_config_selectorIdlEEZZNS1_29radix_sort_onesweep_iterationIS3_Lb0EPdS7_N6thrust23THRUST_200600_302600_NS10device_ptrIlEESB_jNS0_19identity_decomposerENS1_16block_id_wrapperIjLb1EEEEE10hipError_tT1_PNSt15iterator_traitsISG_E10value_typeET2_T3_PNSH_ISM_E10value_typeET4_T5_PSR_SS_PNS1_23onesweep_lookback_stateEbbT6_jjT7_P12ihipStream_tbENKUlT_T0_SG_SL_E_clIS7_S7_PlSB_EEDaSZ_S10_SG_SL_EUlSZ_E_NS1_11comp_targetILNS1_3genE6ELNS1_11target_archE950ELNS1_3gpuE13ELNS1_3repE0EEENS1_47radix_sort_onesweep_sort_config_static_selectorELNS0_4arch9wavefront6targetE1EEEvSG_,comdat
	.protected	_ZN7rocprim17ROCPRIM_400000_NS6detail17trampoline_kernelINS0_14default_configENS1_35radix_sort_onesweep_config_selectorIdlEEZZNS1_29radix_sort_onesweep_iterationIS3_Lb0EPdS7_N6thrust23THRUST_200600_302600_NS10device_ptrIlEESB_jNS0_19identity_decomposerENS1_16block_id_wrapperIjLb1EEEEE10hipError_tT1_PNSt15iterator_traitsISG_E10value_typeET2_T3_PNSH_ISM_E10value_typeET4_T5_PSR_SS_PNS1_23onesweep_lookback_stateEbbT6_jjT7_P12ihipStream_tbENKUlT_T0_SG_SL_E_clIS7_S7_PlSB_EEDaSZ_S10_SG_SL_EUlSZ_E_NS1_11comp_targetILNS1_3genE6ELNS1_11target_archE950ELNS1_3gpuE13ELNS1_3repE0EEENS1_47radix_sort_onesweep_sort_config_static_selectorELNS0_4arch9wavefront6targetE1EEEvSG_ ; -- Begin function _ZN7rocprim17ROCPRIM_400000_NS6detail17trampoline_kernelINS0_14default_configENS1_35radix_sort_onesweep_config_selectorIdlEEZZNS1_29radix_sort_onesweep_iterationIS3_Lb0EPdS7_N6thrust23THRUST_200600_302600_NS10device_ptrIlEESB_jNS0_19identity_decomposerENS1_16block_id_wrapperIjLb1EEEEE10hipError_tT1_PNSt15iterator_traitsISG_E10value_typeET2_T3_PNSH_ISM_E10value_typeET4_T5_PSR_SS_PNS1_23onesweep_lookback_stateEbbT6_jjT7_P12ihipStream_tbENKUlT_T0_SG_SL_E_clIS7_S7_PlSB_EEDaSZ_S10_SG_SL_EUlSZ_E_NS1_11comp_targetILNS1_3genE6ELNS1_11target_archE950ELNS1_3gpuE13ELNS1_3repE0EEENS1_47radix_sort_onesweep_sort_config_static_selectorELNS0_4arch9wavefront6targetE1EEEvSG_
	.globl	_ZN7rocprim17ROCPRIM_400000_NS6detail17trampoline_kernelINS0_14default_configENS1_35radix_sort_onesweep_config_selectorIdlEEZZNS1_29radix_sort_onesweep_iterationIS3_Lb0EPdS7_N6thrust23THRUST_200600_302600_NS10device_ptrIlEESB_jNS0_19identity_decomposerENS1_16block_id_wrapperIjLb1EEEEE10hipError_tT1_PNSt15iterator_traitsISG_E10value_typeET2_T3_PNSH_ISM_E10value_typeET4_T5_PSR_SS_PNS1_23onesweep_lookback_stateEbbT6_jjT7_P12ihipStream_tbENKUlT_T0_SG_SL_E_clIS7_S7_PlSB_EEDaSZ_S10_SG_SL_EUlSZ_E_NS1_11comp_targetILNS1_3genE6ELNS1_11target_archE950ELNS1_3gpuE13ELNS1_3repE0EEENS1_47radix_sort_onesweep_sort_config_static_selectorELNS0_4arch9wavefront6targetE1EEEvSG_
	.p2align	8
	.type	_ZN7rocprim17ROCPRIM_400000_NS6detail17trampoline_kernelINS0_14default_configENS1_35radix_sort_onesweep_config_selectorIdlEEZZNS1_29radix_sort_onesweep_iterationIS3_Lb0EPdS7_N6thrust23THRUST_200600_302600_NS10device_ptrIlEESB_jNS0_19identity_decomposerENS1_16block_id_wrapperIjLb1EEEEE10hipError_tT1_PNSt15iterator_traitsISG_E10value_typeET2_T3_PNSH_ISM_E10value_typeET4_T5_PSR_SS_PNS1_23onesweep_lookback_stateEbbT6_jjT7_P12ihipStream_tbENKUlT_T0_SG_SL_E_clIS7_S7_PlSB_EEDaSZ_S10_SG_SL_EUlSZ_E_NS1_11comp_targetILNS1_3genE6ELNS1_11target_archE950ELNS1_3gpuE13ELNS1_3repE0EEENS1_47radix_sort_onesweep_sort_config_static_selectorELNS0_4arch9wavefront6targetE1EEEvSG_,@function
_ZN7rocprim17ROCPRIM_400000_NS6detail17trampoline_kernelINS0_14default_configENS1_35radix_sort_onesweep_config_selectorIdlEEZZNS1_29radix_sort_onesweep_iterationIS3_Lb0EPdS7_N6thrust23THRUST_200600_302600_NS10device_ptrIlEESB_jNS0_19identity_decomposerENS1_16block_id_wrapperIjLb1EEEEE10hipError_tT1_PNSt15iterator_traitsISG_E10value_typeET2_T3_PNSH_ISM_E10value_typeET4_T5_PSR_SS_PNS1_23onesweep_lookback_stateEbbT6_jjT7_P12ihipStream_tbENKUlT_T0_SG_SL_E_clIS7_S7_PlSB_EEDaSZ_S10_SG_SL_EUlSZ_E_NS1_11comp_targetILNS1_3genE6ELNS1_11target_archE950ELNS1_3gpuE13ELNS1_3repE0EEENS1_47radix_sort_onesweep_sort_config_static_selectorELNS0_4arch9wavefront6targetE1EEEvSG_: ; @_ZN7rocprim17ROCPRIM_400000_NS6detail17trampoline_kernelINS0_14default_configENS1_35radix_sort_onesweep_config_selectorIdlEEZZNS1_29radix_sort_onesweep_iterationIS3_Lb0EPdS7_N6thrust23THRUST_200600_302600_NS10device_ptrIlEESB_jNS0_19identity_decomposerENS1_16block_id_wrapperIjLb1EEEEE10hipError_tT1_PNSt15iterator_traitsISG_E10value_typeET2_T3_PNSH_ISM_E10value_typeET4_T5_PSR_SS_PNS1_23onesweep_lookback_stateEbbT6_jjT7_P12ihipStream_tbENKUlT_T0_SG_SL_E_clIS7_S7_PlSB_EEDaSZ_S10_SG_SL_EUlSZ_E_NS1_11comp_targetILNS1_3genE6ELNS1_11target_archE950ELNS1_3gpuE13ELNS1_3repE0EEENS1_47radix_sort_onesweep_sort_config_static_selectorELNS0_4arch9wavefront6targetE1EEEvSG_
; %bb.0:
	.section	.rodata,"a",@progbits
	.p2align	6, 0x0
	.amdhsa_kernel _ZN7rocprim17ROCPRIM_400000_NS6detail17trampoline_kernelINS0_14default_configENS1_35radix_sort_onesweep_config_selectorIdlEEZZNS1_29radix_sort_onesweep_iterationIS3_Lb0EPdS7_N6thrust23THRUST_200600_302600_NS10device_ptrIlEESB_jNS0_19identity_decomposerENS1_16block_id_wrapperIjLb1EEEEE10hipError_tT1_PNSt15iterator_traitsISG_E10value_typeET2_T3_PNSH_ISM_E10value_typeET4_T5_PSR_SS_PNS1_23onesweep_lookback_stateEbbT6_jjT7_P12ihipStream_tbENKUlT_T0_SG_SL_E_clIS7_S7_PlSB_EEDaSZ_S10_SG_SL_EUlSZ_E_NS1_11comp_targetILNS1_3genE6ELNS1_11target_archE950ELNS1_3gpuE13ELNS1_3repE0EEENS1_47radix_sort_onesweep_sort_config_static_selectorELNS0_4arch9wavefront6targetE1EEEvSG_
		.amdhsa_group_segment_fixed_size 0
		.amdhsa_private_segment_fixed_size 0
		.amdhsa_kernarg_size 88
		.amdhsa_user_sgpr_count 6
		.amdhsa_user_sgpr_private_segment_buffer 1
		.amdhsa_user_sgpr_dispatch_ptr 0
		.amdhsa_user_sgpr_queue_ptr 0
		.amdhsa_user_sgpr_kernarg_segment_ptr 1
		.amdhsa_user_sgpr_dispatch_id 0
		.amdhsa_user_sgpr_flat_scratch_init 0
		.amdhsa_user_sgpr_kernarg_preload_length 0
		.amdhsa_user_sgpr_kernarg_preload_offset 0
		.amdhsa_user_sgpr_private_segment_size 0
		.amdhsa_uses_dynamic_stack 0
		.amdhsa_system_sgpr_private_segment_wavefront_offset 0
		.amdhsa_system_sgpr_workgroup_id_x 1
		.amdhsa_system_sgpr_workgroup_id_y 0
		.amdhsa_system_sgpr_workgroup_id_z 0
		.amdhsa_system_sgpr_workgroup_info 0
		.amdhsa_system_vgpr_workitem_id 0
		.amdhsa_next_free_vgpr 1
		.amdhsa_next_free_sgpr 0
		.amdhsa_accum_offset 4
		.amdhsa_reserve_vcc 0
		.amdhsa_reserve_flat_scratch 0
		.amdhsa_float_round_mode_32 0
		.amdhsa_float_round_mode_16_64 0
		.amdhsa_float_denorm_mode_32 3
		.amdhsa_float_denorm_mode_16_64 3
		.amdhsa_dx10_clamp 1
		.amdhsa_ieee_mode 1
		.amdhsa_fp16_overflow 0
		.amdhsa_tg_split 0
		.amdhsa_exception_fp_ieee_invalid_op 0
		.amdhsa_exception_fp_denorm_src 0
		.amdhsa_exception_fp_ieee_div_zero 0
		.amdhsa_exception_fp_ieee_overflow 0
		.amdhsa_exception_fp_ieee_underflow 0
		.amdhsa_exception_fp_ieee_inexact 0
		.amdhsa_exception_int_div_zero 0
	.end_amdhsa_kernel
	.section	.text._ZN7rocprim17ROCPRIM_400000_NS6detail17trampoline_kernelINS0_14default_configENS1_35radix_sort_onesweep_config_selectorIdlEEZZNS1_29radix_sort_onesweep_iterationIS3_Lb0EPdS7_N6thrust23THRUST_200600_302600_NS10device_ptrIlEESB_jNS0_19identity_decomposerENS1_16block_id_wrapperIjLb1EEEEE10hipError_tT1_PNSt15iterator_traitsISG_E10value_typeET2_T3_PNSH_ISM_E10value_typeET4_T5_PSR_SS_PNS1_23onesweep_lookback_stateEbbT6_jjT7_P12ihipStream_tbENKUlT_T0_SG_SL_E_clIS7_S7_PlSB_EEDaSZ_S10_SG_SL_EUlSZ_E_NS1_11comp_targetILNS1_3genE6ELNS1_11target_archE950ELNS1_3gpuE13ELNS1_3repE0EEENS1_47radix_sort_onesweep_sort_config_static_selectorELNS0_4arch9wavefront6targetE1EEEvSG_,"axG",@progbits,_ZN7rocprim17ROCPRIM_400000_NS6detail17trampoline_kernelINS0_14default_configENS1_35radix_sort_onesweep_config_selectorIdlEEZZNS1_29radix_sort_onesweep_iterationIS3_Lb0EPdS7_N6thrust23THRUST_200600_302600_NS10device_ptrIlEESB_jNS0_19identity_decomposerENS1_16block_id_wrapperIjLb1EEEEE10hipError_tT1_PNSt15iterator_traitsISG_E10value_typeET2_T3_PNSH_ISM_E10value_typeET4_T5_PSR_SS_PNS1_23onesweep_lookback_stateEbbT6_jjT7_P12ihipStream_tbENKUlT_T0_SG_SL_E_clIS7_S7_PlSB_EEDaSZ_S10_SG_SL_EUlSZ_E_NS1_11comp_targetILNS1_3genE6ELNS1_11target_archE950ELNS1_3gpuE13ELNS1_3repE0EEENS1_47radix_sort_onesweep_sort_config_static_selectorELNS0_4arch9wavefront6targetE1EEEvSG_,comdat
.Lfunc_end1635:
	.size	_ZN7rocprim17ROCPRIM_400000_NS6detail17trampoline_kernelINS0_14default_configENS1_35radix_sort_onesweep_config_selectorIdlEEZZNS1_29radix_sort_onesweep_iterationIS3_Lb0EPdS7_N6thrust23THRUST_200600_302600_NS10device_ptrIlEESB_jNS0_19identity_decomposerENS1_16block_id_wrapperIjLb1EEEEE10hipError_tT1_PNSt15iterator_traitsISG_E10value_typeET2_T3_PNSH_ISM_E10value_typeET4_T5_PSR_SS_PNS1_23onesweep_lookback_stateEbbT6_jjT7_P12ihipStream_tbENKUlT_T0_SG_SL_E_clIS7_S7_PlSB_EEDaSZ_S10_SG_SL_EUlSZ_E_NS1_11comp_targetILNS1_3genE6ELNS1_11target_archE950ELNS1_3gpuE13ELNS1_3repE0EEENS1_47radix_sort_onesweep_sort_config_static_selectorELNS0_4arch9wavefront6targetE1EEEvSG_, .Lfunc_end1635-_ZN7rocprim17ROCPRIM_400000_NS6detail17trampoline_kernelINS0_14default_configENS1_35radix_sort_onesweep_config_selectorIdlEEZZNS1_29radix_sort_onesweep_iterationIS3_Lb0EPdS7_N6thrust23THRUST_200600_302600_NS10device_ptrIlEESB_jNS0_19identity_decomposerENS1_16block_id_wrapperIjLb1EEEEE10hipError_tT1_PNSt15iterator_traitsISG_E10value_typeET2_T3_PNSH_ISM_E10value_typeET4_T5_PSR_SS_PNS1_23onesweep_lookback_stateEbbT6_jjT7_P12ihipStream_tbENKUlT_T0_SG_SL_E_clIS7_S7_PlSB_EEDaSZ_S10_SG_SL_EUlSZ_E_NS1_11comp_targetILNS1_3genE6ELNS1_11target_archE950ELNS1_3gpuE13ELNS1_3repE0EEENS1_47radix_sort_onesweep_sort_config_static_selectorELNS0_4arch9wavefront6targetE1EEEvSG_
                                        ; -- End function
	.section	.AMDGPU.csdata,"",@progbits
; Kernel info:
; codeLenInByte = 0
; NumSgprs: 4
; NumVgprs: 0
; NumAgprs: 0
; TotalNumVgprs: 0
; ScratchSize: 0
; MemoryBound: 0
; FloatMode: 240
; IeeeMode: 1
; LDSByteSize: 0 bytes/workgroup (compile time only)
; SGPRBlocks: 0
; VGPRBlocks: 0
; NumSGPRsForWavesPerEU: 4
; NumVGPRsForWavesPerEU: 1
; AccumOffset: 4
; Occupancy: 8
; WaveLimiterHint : 0
; COMPUTE_PGM_RSRC2:SCRATCH_EN: 0
; COMPUTE_PGM_RSRC2:USER_SGPR: 6
; COMPUTE_PGM_RSRC2:TRAP_HANDLER: 0
; COMPUTE_PGM_RSRC2:TGID_X_EN: 1
; COMPUTE_PGM_RSRC2:TGID_Y_EN: 0
; COMPUTE_PGM_RSRC2:TGID_Z_EN: 0
; COMPUTE_PGM_RSRC2:TIDIG_COMP_CNT: 0
; COMPUTE_PGM_RSRC3_GFX90A:ACCUM_OFFSET: 0
; COMPUTE_PGM_RSRC3_GFX90A:TG_SPLIT: 0
	.section	.text._ZN7rocprim17ROCPRIM_400000_NS6detail17trampoline_kernelINS0_14default_configENS1_35radix_sort_onesweep_config_selectorIdlEEZZNS1_29radix_sort_onesweep_iterationIS3_Lb0EPdS7_N6thrust23THRUST_200600_302600_NS10device_ptrIlEESB_jNS0_19identity_decomposerENS1_16block_id_wrapperIjLb1EEEEE10hipError_tT1_PNSt15iterator_traitsISG_E10value_typeET2_T3_PNSH_ISM_E10value_typeET4_T5_PSR_SS_PNS1_23onesweep_lookback_stateEbbT6_jjT7_P12ihipStream_tbENKUlT_T0_SG_SL_E_clIS7_S7_PlSB_EEDaSZ_S10_SG_SL_EUlSZ_E_NS1_11comp_targetILNS1_3genE5ELNS1_11target_archE942ELNS1_3gpuE9ELNS1_3repE0EEENS1_47radix_sort_onesweep_sort_config_static_selectorELNS0_4arch9wavefront6targetE1EEEvSG_,"axG",@progbits,_ZN7rocprim17ROCPRIM_400000_NS6detail17trampoline_kernelINS0_14default_configENS1_35radix_sort_onesweep_config_selectorIdlEEZZNS1_29radix_sort_onesweep_iterationIS3_Lb0EPdS7_N6thrust23THRUST_200600_302600_NS10device_ptrIlEESB_jNS0_19identity_decomposerENS1_16block_id_wrapperIjLb1EEEEE10hipError_tT1_PNSt15iterator_traitsISG_E10value_typeET2_T3_PNSH_ISM_E10value_typeET4_T5_PSR_SS_PNS1_23onesweep_lookback_stateEbbT6_jjT7_P12ihipStream_tbENKUlT_T0_SG_SL_E_clIS7_S7_PlSB_EEDaSZ_S10_SG_SL_EUlSZ_E_NS1_11comp_targetILNS1_3genE5ELNS1_11target_archE942ELNS1_3gpuE9ELNS1_3repE0EEENS1_47radix_sort_onesweep_sort_config_static_selectorELNS0_4arch9wavefront6targetE1EEEvSG_,comdat
	.protected	_ZN7rocprim17ROCPRIM_400000_NS6detail17trampoline_kernelINS0_14default_configENS1_35radix_sort_onesweep_config_selectorIdlEEZZNS1_29radix_sort_onesweep_iterationIS3_Lb0EPdS7_N6thrust23THRUST_200600_302600_NS10device_ptrIlEESB_jNS0_19identity_decomposerENS1_16block_id_wrapperIjLb1EEEEE10hipError_tT1_PNSt15iterator_traitsISG_E10value_typeET2_T3_PNSH_ISM_E10value_typeET4_T5_PSR_SS_PNS1_23onesweep_lookback_stateEbbT6_jjT7_P12ihipStream_tbENKUlT_T0_SG_SL_E_clIS7_S7_PlSB_EEDaSZ_S10_SG_SL_EUlSZ_E_NS1_11comp_targetILNS1_3genE5ELNS1_11target_archE942ELNS1_3gpuE9ELNS1_3repE0EEENS1_47radix_sort_onesweep_sort_config_static_selectorELNS0_4arch9wavefront6targetE1EEEvSG_ ; -- Begin function _ZN7rocprim17ROCPRIM_400000_NS6detail17trampoline_kernelINS0_14default_configENS1_35radix_sort_onesweep_config_selectorIdlEEZZNS1_29radix_sort_onesweep_iterationIS3_Lb0EPdS7_N6thrust23THRUST_200600_302600_NS10device_ptrIlEESB_jNS0_19identity_decomposerENS1_16block_id_wrapperIjLb1EEEEE10hipError_tT1_PNSt15iterator_traitsISG_E10value_typeET2_T3_PNSH_ISM_E10value_typeET4_T5_PSR_SS_PNS1_23onesweep_lookback_stateEbbT6_jjT7_P12ihipStream_tbENKUlT_T0_SG_SL_E_clIS7_S7_PlSB_EEDaSZ_S10_SG_SL_EUlSZ_E_NS1_11comp_targetILNS1_3genE5ELNS1_11target_archE942ELNS1_3gpuE9ELNS1_3repE0EEENS1_47radix_sort_onesweep_sort_config_static_selectorELNS0_4arch9wavefront6targetE1EEEvSG_
	.globl	_ZN7rocprim17ROCPRIM_400000_NS6detail17trampoline_kernelINS0_14default_configENS1_35radix_sort_onesweep_config_selectorIdlEEZZNS1_29radix_sort_onesweep_iterationIS3_Lb0EPdS7_N6thrust23THRUST_200600_302600_NS10device_ptrIlEESB_jNS0_19identity_decomposerENS1_16block_id_wrapperIjLb1EEEEE10hipError_tT1_PNSt15iterator_traitsISG_E10value_typeET2_T3_PNSH_ISM_E10value_typeET4_T5_PSR_SS_PNS1_23onesweep_lookback_stateEbbT6_jjT7_P12ihipStream_tbENKUlT_T0_SG_SL_E_clIS7_S7_PlSB_EEDaSZ_S10_SG_SL_EUlSZ_E_NS1_11comp_targetILNS1_3genE5ELNS1_11target_archE942ELNS1_3gpuE9ELNS1_3repE0EEENS1_47radix_sort_onesweep_sort_config_static_selectorELNS0_4arch9wavefront6targetE1EEEvSG_
	.p2align	8
	.type	_ZN7rocprim17ROCPRIM_400000_NS6detail17trampoline_kernelINS0_14default_configENS1_35radix_sort_onesweep_config_selectorIdlEEZZNS1_29radix_sort_onesweep_iterationIS3_Lb0EPdS7_N6thrust23THRUST_200600_302600_NS10device_ptrIlEESB_jNS0_19identity_decomposerENS1_16block_id_wrapperIjLb1EEEEE10hipError_tT1_PNSt15iterator_traitsISG_E10value_typeET2_T3_PNSH_ISM_E10value_typeET4_T5_PSR_SS_PNS1_23onesweep_lookback_stateEbbT6_jjT7_P12ihipStream_tbENKUlT_T0_SG_SL_E_clIS7_S7_PlSB_EEDaSZ_S10_SG_SL_EUlSZ_E_NS1_11comp_targetILNS1_3genE5ELNS1_11target_archE942ELNS1_3gpuE9ELNS1_3repE0EEENS1_47radix_sort_onesweep_sort_config_static_selectorELNS0_4arch9wavefront6targetE1EEEvSG_,@function
_ZN7rocprim17ROCPRIM_400000_NS6detail17trampoline_kernelINS0_14default_configENS1_35radix_sort_onesweep_config_selectorIdlEEZZNS1_29radix_sort_onesweep_iterationIS3_Lb0EPdS7_N6thrust23THRUST_200600_302600_NS10device_ptrIlEESB_jNS0_19identity_decomposerENS1_16block_id_wrapperIjLb1EEEEE10hipError_tT1_PNSt15iterator_traitsISG_E10value_typeET2_T3_PNSH_ISM_E10value_typeET4_T5_PSR_SS_PNS1_23onesweep_lookback_stateEbbT6_jjT7_P12ihipStream_tbENKUlT_T0_SG_SL_E_clIS7_S7_PlSB_EEDaSZ_S10_SG_SL_EUlSZ_E_NS1_11comp_targetILNS1_3genE5ELNS1_11target_archE942ELNS1_3gpuE9ELNS1_3repE0EEENS1_47radix_sort_onesweep_sort_config_static_selectorELNS0_4arch9wavefront6targetE1EEEvSG_: ; @_ZN7rocprim17ROCPRIM_400000_NS6detail17trampoline_kernelINS0_14default_configENS1_35radix_sort_onesweep_config_selectorIdlEEZZNS1_29radix_sort_onesweep_iterationIS3_Lb0EPdS7_N6thrust23THRUST_200600_302600_NS10device_ptrIlEESB_jNS0_19identity_decomposerENS1_16block_id_wrapperIjLb1EEEEE10hipError_tT1_PNSt15iterator_traitsISG_E10value_typeET2_T3_PNSH_ISM_E10value_typeET4_T5_PSR_SS_PNS1_23onesweep_lookback_stateEbbT6_jjT7_P12ihipStream_tbENKUlT_T0_SG_SL_E_clIS7_S7_PlSB_EEDaSZ_S10_SG_SL_EUlSZ_E_NS1_11comp_targetILNS1_3genE5ELNS1_11target_archE942ELNS1_3gpuE9ELNS1_3repE0EEENS1_47radix_sort_onesweep_sort_config_static_selectorELNS0_4arch9wavefront6targetE1EEEvSG_
; %bb.0:
	.section	.rodata,"a",@progbits
	.p2align	6, 0x0
	.amdhsa_kernel _ZN7rocprim17ROCPRIM_400000_NS6detail17trampoline_kernelINS0_14default_configENS1_35radix_sort_onesweep_config_selectorIdlEEZZNS1_29radix_sort_onesweep_iterationIS3_Lb0EPdS7_N6thrust23THRUST_200600_302600_NS10device_ptrIlEESB_jNS0_19identity_decomposerENS1_16block_id_wrapperIjLb1EEEEE10hipError_tT1_PNSt15iterator_traitsISG_E10value_typeET2_T3_PNSH_ISM_E10value_typeET4_T5_PSR_SS_PNS1_23onesweep_lookback_stateEbbT6_jjT7_P12ihipStream_tbENKUlT_T0_SG_SL_E_clIS7_S7_PlSB_EEDaSZ_S10_SG_SL_EUlSZ_E_NS1_11comp_targetILNS1_3genE5ELNS1_11target_archE942ELNS1_3gpuE9ELNS1_3repE0EEENS1_47radix_sort_onesweep_sort_config_static_selectorELNS0_4arch9wavefront6targetE1EEEvSG_
		.amdhsa_group_segment_fixed_size 0
		.amdhsa_private_segment_fixed_size 0
		.amdhsa_kernarg_size 88
		.amdhsa_user_sgpr_count 6
		.amdhsa_user_sgpr_private_segment_buffer 1
		.amdhsa_user_sgpr_dispatch_ptr 0
		.amdhsa_user_sgpr_queue_ptr 0
		.amdhsa_user_sgpr_kernarg_segment_ptr 1
		.amdhsa_user_sgpr_dispatch_id 0
		.amdhsa_user_sgpr_flat_scratch_init 0
		.amdhsa_user_sgpr_kernarg_preload_length 0
		.amdhsa_user_sgpr_kernarg_preload_offset 0
		.amdhsa_user_sgpr_private_segment_size 0
		.amdhsa_uses_dynamic_stack 0
		.amdhsa_system_sgpr_private_segment_wavefront_offset 0
		.amdhsa_system_sgpr_workgroup_id_x 1
		.amdhsa_system_sgpr_workgroup_id_y 0
		.amdhsa_system_sgpr_workgroup_id_z 0
		.amdhsa_system_sgpr_workgroup_info 0
		.amdhsa_system_vgpr_workitem_id 0
		.amdhsa_next_free_vgpr 1
		.amdhsa_next_free_sgpr 0
		.amdhsa_accum_offset 4
		.amdhsa_reserve_vcc 0
		.amdhsa_reserve_flat_scratch 0
		.amdhsa_float_round_mode_32 0
		.amdhsa_float_round_mode_16_64 0
		.amdhsa_float_denorm_mode_32 3
		.amdhsa_float_denorm_mode_16_64 3
		.amdhsa_dx10_clamp 1
		.amdhsa_ieee_mode 1
		.amdhsa_fp16_overflow 0
		.amdhsa_tg_split 0
		.amdhsa_exception_fp_ieee_invalid_op 0
		.amdhsa_exception_fp_denorm_src 0
		.amdhsa_exception_fp_ieee_div_zero 0
		.amdhsa_exception_fp_ieee_overflow 0
		.amdhsa_exception_fp_ieee_underflow 0
		.amdhsa_exception_fp_ieee_inexact 0
		.amdhsa_exception_int_div_zero 0
	.end_amdhsa_kernel
	.section	.text._ZN7rocprim17ROCPRIM_400000_NS6detail17trampoline_kernelINS0_14default_configENS1_35radix_sort_onesweep_config_selectorIdlEEZZNS1_29radix_sort_onesweep_iterationIS3_Lb0EPdS7_N6thrust23THRUST_200600_302600_NS10device_ptrIlEESB_jNS0_19identity_decomposerENS1_16block_id_wrapperIjLb1EEEEE10hipError_tT1_PNSt15iterator_traitsISG_E10value_typeET2_T3_PNSH_ISM_E10value_typeET4_T5_PSR_SS_PNS1_23onesweep_lookback_stateEbbT6_jjT7_P12ihipStream_tbENKUlT_T0_SG_SL_E_clIS7_S7_PlSB_EEDaSZ_S10_SG_SL_EUlSZ_E_NS1_11comp_targetILNS1_3genE5ELNS1_11target_archE942ELNS1_3gpuE9ELNS1_3repE0EEENS1_47radix_sort_onesweep_sort_config_static_selectorELNS0_4arch9wavefront6targetE1EEEvSG_,"axG",@progbits,_ZN7rocprim17ROCPRIM_400000_NS6detail17trampoline_kernelINS0_14default_configENS1_35radix_sort_onesweep_config_selectorIdlEEZZNS1_29radix_sort_onesweep_iterationIS3_Lb0EPdS7_N6thrust23THRUST_200600_302600_NS10device_ptrIlEESB_jNS0_19identity_decomposerENS1_16block_id_wrapperIjLb1EEEEE10hipError_tT1_PNSt15iterator_traitsISG_E10value_typeET2_T3_PNSH_ISM_E10value_typeET4_T5_PSR_SS_PNS1_23onesweep_lookback_stateEbbT6_jjT7_P12ihipStream_tbENKUlT_T0_SG_SL_E_clIS7_S7_PlSB_EEDaSZ_S10_SG_SL_EUlSZ_E_NS1_11comp_targetILNS1_3genE5ELNS1_11target_archE942ELNS1_3gpuE9ELNS1_3repE0EEENS1_47radix_sort_onesweep_sort_config_static_selectorELNS0_4arch9wavefront6targetE1EEEvSG_,comdat
.Lfunc_end1636:
	.size	_ZN7rocprim17ROCPRIM_400000_NS6detail17trampoline_kernelINS0_14default_configENS1_35radix_sort_onesweep_config_selectorIdlEEZZNS1_29radix_sort_onesweep_iterationIS3_Lb0EPdS7_N6thrust23THRUST_200600_302600_NS10device_ptrIlEESB_jNS0_19identity_decomposerENS1_16block_id_wrapperIjLb1EEEEE10hipError_tT1_PNSt15iterator_traitsISG_E10value_typeET2_T3_PNSH_ISM_E10value_typeET4_T5_PSR_SS_PNS1_23onesweep_lookback_stateEbbT6_jjT7_P12ihipStream_tbENKUlT_T0_SG_SL_E_clIS7_S7_PlSB_EEDaSZ_S10_SG_SL_EUlSZ_E_NS1_11comp_targetILNS1_3genE5ELNS1_11target_archE942ELNS1_3gpuE9ELNS1_3repE0EEENS1_47radix_sort_onesweep_sort_config_static_selectorELNS0_4arch9wavefront6targetE1EEEvSG_, .Lfunc_end1636-_ZN7rocprim17ROCPRIM_400000_NS6detail17trampoline_kernelINS0_14default_configENS1_35radix_sort_onesweep_config_selectorIdlEEZZNS1_29radix_sort_onesweep_iterationIS3_Lb0EPdS7_N6thrust23THRUST_200600_302600_NS10device_ptrIlEESB_jNS0_19identity_decomposerENS1_16block_id_wrapperIjLb1EEEEE10hipError_tT1_PNSt15iterator_traitsISG_E10value_typeET2_T3_PNSH_ISM_E10value_typeET4_T5_PSR_SS_PNS1_23onesweep_lookback_stateEbbT6_jjT7_P12ihipStream_tbENKUlT_T0_SG_SL_E_clIS7_S7_PlSB_EEDaSZ_S10_SG_SL_EUlSZ_E_NS1_11comp_targetILNS1_3genE5ELNS1_11target_archE942ELNS1_3gpuE9ELNS1_3repE0EEENS1_47radix_sort_onesweep_sort_config_static_selectorELNS0_4arch9wavefront6targetE1EEEvSG_
                                        ; -- End function
	.section	.AMDGPU.csdata,"",@progbits
; Kernel info:
; codeLenInByte = 0
; NumSgprs: 4
; NumVgprs: 0
; NumAgprs: 0
; TotalNumVgprs: 0
; ScratchSize: 0
; MemoryBound: 0
; FloatMode: 240
; IeeeMode: 1
; LDSByteSize: 0 bytes/workgroup (compile time only)
; SGPRBlocks: 0
; VGPRBlocks: 0
; NumSGPRsForWavesPerEU: 4
; NumVGPRsForWavesPerEU: 1
; AccumOffset: 4
; Occupancy: 8
; WaveLimiterHint : 0
; COMPUTE_PGM_RSRC2:SCRATCH_EN: 0
; COMPUTE_PGM_RSRC2:USER_SGPR: 6
; COMPUTE_PGM_RSRC2:TRAP_HANDLER: 0
; COMPUTE_PGM_RSRC2:TGID_X_EN: 1
; COMPUTE_PGM_RSRC2:TGID_Y_EN: 0
; COMPUTE_PGM_RSRC2:TGID_Z_EN: 0
; COMPUTE_PGM_RSRC2:TIDIG_COMP_CNT: 0
; COMPUTE_PGM_RSRC3_GFX90A:ACCUM_OFFSET: 0
; COMPUTE_PGM_RSRC3_GFX90A:TG_SPLIT: 0
	.section	.text._ZN7rocprim17ROCPRIM_400000_NS6detail17trampoline_kernelINS0_14default_configENS1_35radix_sort_onesweep_config_selectorIdlEEZZNS1_29radix_sort_onesweep_iterationIS3_Lb0EPdS7_N6thrust23THRUST_200600_302600_NS10device_ptrIlEESB_jNS0_19identity_decomposerENS1_16block_id_wrapperIjLb1EEEEE10hipError_tT1_PNSt15iterator_traitsISG_E10value_typeET2_T3_PNSH_ISM_E10value_typeET4_T5_PSR_SS_PNS1_23onesweep_lookback_stateEbbT6_jjT7_P12ihipStream_tbENKUlT_T0_SG_SL_E_clIS7_S7_PlSB_EEDaSZ_S10_SG_SL_EUlSZ_E_NS1_11comp_targetILNS1_3genE2ELNS1_11target_archE906ELNS1_3gpuE6ELNS1_3repE0EEENS1_47radix_sort_onesweep_sort_config_static_selectorELNS0_4arch9wavefront6targetE1EEEvSG_,"axG",@progbits,_ZN7rocprim17ROCPRIM_400000_NS6detail17trampoline_kernelINS0_14default_configENS1_35radix_sort_onesweep_config_selectorIdlEEZZNS1_29radix_sort_onesweep_iterationIS3_Lb0EPdS7_N6thrust23THRUST_200600_302600_NS10device_ptrIlEESB_jNS0_19identity_decomposerENS1_16block_id_wrapperIjLb1EEEEE10hipError_tT1_PNSt15iterator_traitsISG_E10value_typeET2_T3_PNSH_ISM_E10value_typeET4_T5_PSR_SS_PNS1_23onesweep_lookback_stateEbbT6_jjT7_P12ihipStream_tbENKUlT_T0_SG_SL_E_clIS7_S7_PlSB_EEDaSZ_S10_SG_SL_EUlSZ_E_NS1_11comp_targetILNS1_3genE2ELNS1_11target_archE906ELNS1_3gpuE6ELNS1_3repE0EEENS1_47radix_sort_onesweep_sort_config_static_selectorELNS0_4arch9wavefront6targetE1EEEvSG_,comdat
	.protected	_ZN7rocprim17ROCPRIM_400000_NS6detail17trampoline_kernelINS0_14default_configENS1_35radix_sort_onesweep_config_selectorIdlEEZZNS1_29radix_sort_onesweep_iterationIS3_Lb0EPdS7_N6thrust23THRUST_200600_302600_NS10device_ptrIlEESB_jNS0_19identity_decomposerENS1_16block_id_wrapperIjLb1EEEEE10hipError_tT1_PNSt15iterator_traitsISG_E10value_typeET2_T3_PNSH_ISM_E10value_typeET4_T5_PSR_SS_PNS1_23onesweep_lookback_stateEbbT6_jjT7_P12ihipStream_tbENKUlT_T0_SG_SL_E_clIS7_S7_PlSB_EEDaSZ_S10_SG_SL_EUlSZ_E_NS1_11comp_targetILNS1_3genE2ELNS1_11target_archE906ELNS1_3gpuE6ELNS1_3repE0EEENS1_47radix_sort_onesweep_sort_config_static_selectorELNS0_4arch9wavefront6targetE1EEEvSG_ ; -- Begin function _ZN7rocprim17ROCPRIM_400000_NS6detail17trampoline_kernelINS0_14default_configENS1_35radix_sort_onesweep_config_selectorIdlEEZZNS1_29radix_sort_onesweep_iterationIS3_Lb0EPdS7_N6thrust23THRUST_200600_302600_NS10device_ptrIlEESB_jNS0_19identity_decomposerENS1_16block_id_wrapperIjLb1EEEEE10hipError_tT1_PNSt15iterator_traitsISG_E10value_typeET2_T3_PNSH_ISM_E10value_typeET4_T5_PSR_SS_PNS1_23onesweep_lookback_stateEbbT6_jjT7_P12ihipStream_tbENKUlT_T0_SG_SL_E_clIS7_S7_PlSB_EEDaSZ_S10_SG_SL_EUlSZ_E_NS1_11comp_targetILNS1_3genE2ELNS1_11target_archE906ELNS1_3gpuE6ELNS1_3repE0EEENS1_47radix_sort_onesweep_sort_config_static_selectorELNS0_4arch9wavefront6targetE1EEEvSG_
	.globl	_ZN7rocprim17ROCPRIM_400000_NS6detail17trampoline_kernelINS0_14default_configENS1_35radix_sort_onesweep_config_selectorIdlEEZZNS1_29radix_sort_onesweep_iterationIS3_Lb0EPdS7_N6thrust23THRUST_200600_302600_NS10device_ptrIlEESB_jNS0_19identity_decomposerENS1_16block_id_wrapperIjLb1EEEEE10hipError_tT1_PNSt15iterator_traitsISG_E10value_typeET2_T3_PNSH_ISM_E10value_typeET4_T5_PSR_SS_PNS1_23onesweep_lookback_stateEbbT6_jjT7_P12ihipStream_tbENKUlT_T0_SG_SL_E_clIS7_S7_PlSB_EEDaSZ_S10_SG_SL_EUlSZ_E_NS1_11comp_targetILNS1_3genE2ELNS1_11target_archE906ELNS1_3gpuE6ELNS1_3repE0EEENS1_47radix_sort_onesweep_sort_config_static_selectorELNS0_4arch9wavefront6targetE1EEEvSG_
	.p2align	8
	.type	_ZN7rocprim17ROCPRIM_400000_NS6detail17trampoline_kernelINS0_14default_configENS1_35radix_sort_onesweep_config_selectorIdlEEZZNS1_29radix_sort_onesweep_iterationIS3_Lb0EPdS7_N6thrust23THRUST_200600_302600_NS10device_ptrIlEESB_jNS0_19identity_decomposerENS1_16block_id_wrapperIjLb1EEEEE10hipError_tT1_PNSt15iterator_traitsISG_E10value_typeET2_T3_PNSH_ISM_E10value_typeET4_T5_PSR_SS_PNS1_23onesweep_lookback_stateEbbT6_jjT7_P12ihipStream_tbENKUlT_T0_SG_SL_E_clIS7_S7_PlSB_EEDaSZ_S10_SG_SL_EUlSZ_E_NS1_11comp_targetILNS1_3genE2ELNS1_11target_archE906ELNS1_3gpuE6ELNS1_3repE0EEENS1_47radix_sort_onesweep_sort_config_static_selectorELNS0_4arch9wavefront6targetE1EEEvSG_,@function
_ZN7rocprim17ROCPRIM_400000_NS6detail17trampoline_kernelINS0_14default_configENS1_35radix_sort_onesweep_config_selectorIdlEEZZNS1_29radix_sort_onesweep_iterationIS3_Lb0EPdS7_N6thrust23THRUST_200600_302600_NS10device_ptrIlEESB_jNS0_19identity_decomposerENS1_16block_id_wrapperIjLb1EEEEE10hipError_tT1_PNSt15iterator_traitsISG_E10value_typeET2_T3_PNSH_ISM_E10value_typeET4_T5_PSR_SS_PNS1_23onesweep_lookback_stateEbbT6_jjT7_P12ihipStream_tbENKUlT_T0_SG_SL_E_clIS7_S7_PlSB_EEDaSZ_S10_SG_SL_EUlSZ_E_NS1_11comp_targetILNS1_3genE2ELNS1_11target_archE906ELNS1_3gpuE6ELNS1_3repE0EEENS1_47radix_sort_onesweep_sort_config_static_selectorELNS0_4arch9wavefront6targetE1EEEvSG_: ; @_ZN7rocprim17ROCPRIM_400000_NS6detail17trampoline_kernelINS0_14default_configENS1_35radix_sort_onesweep_config_selectorIdlEEZZNS1_29radix_sort_onesweep_iterationIS3_Lb0EPdS7_N6thrust23THRUST_200600_302600_NS10device_ptrIlEESB_jNS0_19identity_decomposerENS1_16block_id_wrapperIjLb1EEEEE10hipError_tT1_PNSt15iterator_traitsISG_E10value_typeET2_T3_PNSH_ISM_E10value_typeET4_T5_PSR_SS_PNS1_23onesweep_lookback_stateEbbT6_jjT7_P12ihipStream_tbENKUlT_T0_SG_SL_E_clIS7_S7_PlSB_EEDaSZ_S10_SG_SL_EUlSZ_E_NS1_11comp_targetILNS1_3genE2ELNS1_11target_archE906ELNS1_3gpuE6ELNS1_3repE0EEENS1_47radix_sort_onesweep_sort_config_static_selectorELNS0_4arch9wavefront6targetE1EEEvSG_
; %bb.0:
	.section	.rodata,"a",@progbits
	.p2align	6, 0x0
	.amdhsa_kernel _ZN7rocprim17ROCPRIM_400000_NS6detail17trampoline_kernelINS0_14default_configENS1_35radix_sort_onesweep_config_selectorIdlEEZZNS1_29radix_sort_onesweep_iterationIS3_Lb0EPdS7_N6thrust23THRUST_200600_302600_NS10device_ptrIlEESB_jNS0_19identity_decomposerENS1_16block_id_wrapperIjLb1EEEEE10hipError_tT1_PNSt15iterator_traitsISG_E10value_typeET2_T3_PNSH_ISM_E10value_typeET4_T5_PSR_SS_PNS1_23onesweep_lookback_stateEbbT6_jjT7_P12ihipStream_tbENKUlT_T0_SG_SL_E_clIS7_S7_PlSB_EEDaSZ_S10_SG_SL_EUlSZ_E_NS1_11comp_targetILNS1_3genE2ELNS1_11target_archE906ELNS1_3gpuE6ELNS1_3repE0EEENS1_47radix_sort_onesweep_sort_config_static_selectorELNS0_4arch9wavefront6targetE1EEEvSG_
		.amdhsa_group_segment_fixed_size 0
		.amdhsa_private_segment_fixed_size 0
		.amdhsa_kernarg_size 88
		.amdhsa_user_sgpr_count 6
		.amdhsa_user_sgpr_private_segment_buffer 1
		.amdhsa_user_sgpr_dispatch_ptr 0
		.amdhsa_user_sgpr_queue_ptr 0
		.amdhsa_user_sgpr_kernarg_segment_ptr 1
		.amdhsa_user_sgpr_dispatch_id 0
		.amdhsa_user_sgpr_flat_scratch_init 0
		.amdhsa_user_sgpr_kernarg_preload_length 0
		.amdhsa_user_sgpr_kernarg_preload_offset 0
		.amdhsa_user_sgpr_private_segment_size 0
		.amdhsa_uses_dynamic_stack 0
		.amdhsa_system_sgpr_private_segment_wavefront_offset 0
		.amdhsa_system_sgpr_workgroup_id_x 1
		.amdhsa_system_sgpr_workgroup_id_y 0
		.amdhsa_system_sgpr_workgroup_id_z 0
		.amdhsa_system_sgpr_workgroup_info 0
		.amdhsa_system_vgpr_workitem_id 0
		.amdhsa_next_free_vgpr 1
		.amdhsa_next_free_sgpr 0
		.amdhsa_accum_offset 4
		.amdhsa_reserve_vcc 0
		.amdhsa_reserve_flat_scratch 0
		.amdhsa_float_round_mode_32 0
		.amdhsa_float_round_mode_16_64 0
		.amdhsa_float_denorm_mode_32 3
		.amdhsa_float_denorm_mode_16_64 3
		.amdhsa_dx10_clamp 1
		.amdhsa_ieee_mode 1
		.amdhsa_fp16_overflow 0
		.amdhsa_tg_split 0
		.amdhsa_exception_fp_ieee_invalid_op 0
		.amdhsa_exception_fp_denorm_src 0
		.amdhsa_exception_fp_ieee_div_zero 0
		.amdhsa_exception_fp_ieee_overflow 0
		.amdhsa_exception_fp_ieee_underflow 0
		.amdhsa_exception_fp_ieee_inexact 0
		.amdhsa_exception_int_div_zero 0
	.end_amdhsa_kernel
	.section	.text._ZN7rocprim17ROCPRIM_400000_NS6detail17trampoline_kernelINS0_14default_configENS1_35radix_sort_onesweep_config_selectorIdlEEZZNS1_29radix_sort_onesweep_iterationIS3_Lb0EPdS7_N6thrust23THRUST_200600_302600_NS10device_ptrIlEESB_jNS0_19identity_decomposerENS1_16block_id_wrapperIjLb1EEEEE10hipError_tT1_PNSt15iterator_traitsISG_E10value_typeET2_T3_PNSH_ISM_E10value_typeET4_T5_PSR_SS_PNS1_23onesweep_lookback_stateEbbT6_jjT7_P12ihipStream_tbENKUlT_T0_SG_SL_E_clIS7_S7_PlSB_EEDaSZ_S10_SG_SL_EUlSZ_E_NS1_11comp_targetILNS1_3genE2ELNS1_11target_archE906ELNS1_3gpuE6ELNS1_3repE0EEENS1_47radix_sort_onesweep_sort_config_static_selectorELNS0_4arch9wavefront6targetE1EEEvSG_,"axG",@progbits,_ZN7rocprim17ROCPRIM_400000_NS6detail17trampoline_kernelINS0_14default_configENS1_35radix_sort_onesweep_config_selectorIdlEEZZNS1_29radix_sort_onesweep_iterationIS3_Lb0EPdS7_N6thrust23THRUST_200600_302600_NS10device_ptrIlEESB_jNS0_19identity_decomposerENS1_16block_id_wrapperIjLb1EEEEE10hipError_tT1_PNSt15iterator_traitsISG_E10value_typeET2_T3_PNSH_ISM_E10value_typeET4_T5_PSR_SS_PNS1_23onesweep_lookback_stateEbbT6_jjT7_P12ihipStream_tbENKUlT_T0_SG_SL_E_clIS7_S7_PlSB_EEDaSZ_S10_SG_SL_EUlSZ_E_NS1_11comp_targetILNS1_3genE2ELNS1_11target_archE906ELNS1_3gpuE6ELNS1_3repE0EEENS1_47radix_sort_onesweep_sort_config_static_selectorELNS0_4arch9wavefront6targetE1EEEvSG_,comdat
.Lfunc_end1637:
	.size	_ZN7rocprim17ROCPRIM_400000_NS6detail17trampoline_kernelINS0_14default_configENS1_35radix_sort_onesweep_config_selectorIdlEEZZNS1_29radix_sort_onesweep_iterationIS3_Lb0EPdS7_N6thrust23THRUST_200600_302600_NS10device_ptrIlEESB_jNS0_19identity_decomposerENS1_16block_id_wrapperIjLb1EEEEE10hipError_tT1_PNSt15iterator_traitsISG_E10value_typeET2_T3_PNSH_ISM_E10value_typeET4_T5_PSR_SS_PNS1_23onesweep_lookback_stateEbbT6_jjT7_P12ihipStream_tbENKUlT_T0_SG_SL_E_clIS7_S7_PlSB_EEDaSZ_S10_SG_SL_EUlSZ_E_NS1_11comp_targetILNS1_3genE2ELNS1_11target_archE906ELNS1_3gpuE6ELNS1_3repE0EEENS1_47radix_sort_onesweep_sort_config_static_selectorELNS0_4arch9wavefront6targetE1EEEvSG_, .Lfunc_end1637-_ZN7rocprim17ROCPRIM_400000_NS6detail17trampoline_kernelINS0_14default_configENS1_35radix_sort_onesweep_config_selectorIdlEEZZNS1_29radix_sort_onesweep_iterationIS3_Lb0EPdS7_N6thrust23THRUST_200600_302600_NS10device_ptrIlEESB_jNS0_19identity_decomposerENS1_16block_id_wrapperIjLb1EEEEE10hipError_tT1_PNSt15iterator_traitsISG_E10value_typeET2_T3_PNSH_ISM_E10value_typeET4_T5_PSR_SS_PNS1_23onesweep_lookback_stateEbbT6_jjT7_P12ihipStream_tbENKUlT_T0_SG_SL_E_clIS7_S7_PlSB_EEDaSZ_S10_SG_SL_EUlSZ_E_NS1_11comp_targetILNS1_3genE2ELNS1_11target_archE906ELNS1_3gpuE6ELNS1_3repE0EEENS1_47radix_sort_onesweep_sort_config_static_selectorELNS0_4arch9wavefront6targetE1EEEvSG_
                                        ; -- End function
	.section	.AMDGPU.csdata,"",@progbits
; Kernel info:
; codeLenInByte = 0
; NumSgprs: 4
; NumVgprs: 0
; NumAgprs: 0
; TotalNumVgprs: 0
; ScratchSize: 0
; MemoryBound: 0
; FloatMode: 240
; IeeeMode: 1
; LDSByteSize: 0 bytes/workgroup (compile time only)
; SGPRBlocks: 0
; VGPRBlocks: 0
; NumSGPRsForWavesPerEU: 4
; NumVGPRsForWavesPerEU: 1
; AccumOffset: 4
; Occupancy: 8
; WaveLimiterHint : 0
; COMPUTE_PGM_RSRC2:SCRATCH_EN: 0
; COMPUTE_PGM_RSRC2:USER_SGPR: 6
; COMPUTE_PGM_RSRC2:TRAP_HANDLER: 0
; COMPUTE_PGM_RSRC2:TGID_X_EN: 1
; COMPUTE_PGM_RSRC2:TGID_Y_EN: 0
; COMPUTE_PGM_RSRC2:TGID_Z_EN: 0
; COMPUTE_PGM_RSRC2:TIDIG_COMP_CNT: 0
; COMPUTE_PGM_RSRC3_GFX90A:ACCUM_OFFSET: 0
; COMPUTE_PGM_RSRC3_GFX90A:TG_SPLIT: 0
	.section	.text._ZN7rocprim17ROCPRIM_400000_NS6detail17trampoline_kernelINS0_14default_configENS1_35radix_sort_onesweep_config_selectorIdlEEZZNS1_29radix_sort_onesweep_iterationIS3_Lb0EPdS7_N6thrust23THRUST_200600_302600_NS10device_ptrIlEESB_jNS0_19identity_decomposerENS1_16block_id_wrapperIjLb1EEEEE10hipError_tT1_PNSt15iterator_traitsISG_E10value_typeET2_T3_PNSH_ISM_E10value_typeET4_T5_PSR_SS_PNS1_23onesweep_lookback_stateEbbT6_jjT7_P12ihipStream_tbENKUlT_T0_SG_SL_E_clIS7_S7_PlSB_EEDaSZ_S10_SG_SL_EUlSZ_E_NS1_11comp_targetILNS1_3genE4ELNS1_11target_archE910ELNS1_3gpuE8ELNS1_3repE0EEENS1_47radix_sort_onesweep_sort_config_static_selectorELNS0_4arch9wavefront6targetE1EEEvSG_,"axG",@progbits,_ZN7rocprim17ROCPRIM_400000_NS6detail17trampoline_kernelINS0_14default_configENS1_35radix_sort_onesweep_config_selectorIdlEEZZNS1_29radix_sort_onesweep_iterationIS3_Lb0EPdS7_N6thrust23THRUST_200600_302600_NS10device_ptrIlEESB_jNS0_19identity_decomposerENS1_16block_id_wrapperIjLb1EEEEE10hipError_tT1_PNSt15iterator_traitsISG_E10value_typeET2_T3_PNSH_ISM_E10value_typeET4_T5_PSR_SS_PNS1_23onesweep_lookback_stateEbbT6_jjT7_P12ihipStream_tbENKUlT_T0_SG_SL_E_clIS7_S7_PlSB_EEDaSZ_S10_SG_SL_EUlSZ_E_NS1_11comp_targetILNS1_3genE4ELNS1_11target_archE910ELNS1_3gpuE8ELNS1_3repE0EEENS1_47radix_sort_onesweep_sort_config_static_selectorELNS0_4arch9wavefront6targetE1EEEvSG_,comdat
	.protected	_ZN7rocprim17ROCPRIM_400000_NS6detail17trampoline_kernelINS0_14default_configENS1_35radix_sort_onesweep_config_selectorIdlEEZZNS1_29radix_sort_onesweep_iterationIS3_Lb0EPdS7_N6thrust23THRUST_200600_302600_NS10device_ptrIlEESB_jNS0_19identity_decomposerENS1_16block_id_wrapperIjLb1EEEEE10hipError_tT1_PNSt15iterator_traitsISG_E10value_typeET2_T3_PNSH_ISM_E10value_typeET4_T5_PSR_SS_PNS1_23onesweep_lookback_stateEbbT6_jjT7_P12ihipStream_tbENKUlT_T0_SG_SL_E_clIS7_S7_PlSB_EEDaSZ_S10_SG_SL_EUlSZ_E_NS1_11comp_targetILNS1_3genE4ELNS1_11target_archE910ELNS1_3gpuE8ELNS1_3repE0EEENS1_47radix_sort_onesweep_sort_config_static_selectorELNS0_4arch9wavefront6targetE1EEEvSG_ ; -- Begin function _ZN7rocprim17ROCPRIM_400000_NS6detail17trampoline_kernelINS0_14default_configENS1_35radix_sort_onesweep_config_selectorIdlEEZZNS1_29radix_sort_onesweep_iterationIS3_Lb0EPdS7_N6thrust23THRUST_200600_302600_NS10device_ptrIlEESB_jNS0_19identity_decomposerENS1_16block_id_wrapperIjLb1EEEEE10hipError_tT1_PNSt15iterator_traitsISG_E10value_typeET2_T3_PNSH_ISM_E10value_typeET4_T5_PSR_SS_PNS1_23onesweep_lookback_stateEbbT6_jjT7_P12ihipStream_tbENKUlT_T0_SG_SL_E_clIS7_S7_PlSB_EEDaSZ_S10_SG_SL_EUlSZ_E_NS1_11comp_targetILNS1_3genE4ELNS1_11target_archE910ELNS1_3gpuE8ELNS1_3repE0EEENS1_47radix_sort_onesweep_sort_config_static_selectorELNS0_4arch9wavefront6targetE1EEEvSG_
	.globl	_ZN7rocprim17ROCPRIM_400000_NS6detail17trampoline_kernelINS0_14default_configENS1_35radix_sort_onesweep_config_selectorIdlEEZZNS1_29radix_sort_onesweep_iterationIS3_Lb0EPdS7_N6thrust23THRUST_200600_302600_NS10device_ptrIlEESB_jNS0_19identity_decomposerENS1_16block_id_wrapperIjLb1EEEEE10hipError_tT1_PNSt15iterator_traitsISG_E10value_typeET2_T3_PNSH_ISM_E10value_typeET4_T5_PSR_SS_PNS1_23onesweep_lookback_stateEbbT6_jjT7_P12ihipStream_tbENKUlT_T0_SG_SL_E_clIS7_S7_PlSB_EEDaSZ_S10_SG_SL_EUlSZ_E_NS1_11comp_targetILNS1_3genE4ELNS1_11target_archE910ELNS1_3gpuE8ELNS1_3repE0EEENS1_47radix_sort_onesweep_sort_config_static_selectorELNS0_4arch9wavefront6targetE1EEEvSG_
	.p2align	8
	.type	_ZN7rocprim17ROCPRIM_400000_NS6detail17trampoline_kernelINS0_14default_configENS1_35radix_sort_onesweep_config_selectorIdlEEZZNS1_29radix_sort_onesweep_iterationIS3_Lb0EPdS7_N6thrust23THRUST_200600_302600_NS10device_ptrIlEESB_jNS0_19identity_decomposerENS1_16block_id_wrapperIjLb1EEEEE10hipError_tT1_PNSt15iterator_traitsISG_E10value_typeET2_T3_PNSH_ISM_E10value_typeET4_T5_PSR_SS_PNS1_23onesweep_lookback_stateEbbT6_jjT7_P12ihipStream_tbENKUlT_T0_SG_SL_E_clIS7_S7_PlSB_EEDaSZ_S10_SG_SL_EUlSZ_E_NS1_11comp_targetILNS1_3genE4ELNS1_11target_archE910ELNS1_3gpuE8ELNS1_3repE0EEENS1_47radix_sort_onesweep_sort_config_static_selectorELNS0_4arch9wavefront6targetE1EEEvSG_,@function
_ZN7rocprim17ROCPRIM_400000_NS6detail17trampoline_kernelINS0_14default_configENS1_35radix_sort_onesweep_config_selectorIdlEEZZNS1_29radix_sort_onesweep_iterationIS3_Lb0EPdS7_N6thrust23THRUST_200600_302600_NS10device_ptrIlEESB_jNS0_19identity_decomposerENS1_16block_id_wrapperIjLb1EEEEE10hipError_tT1_PNSt15iterator_traitsISG_E10value_typeET2_T3_PNSH_ISM_E10value_typeET4_T5_PSR_SS_PNS1_23onesweep_lookback_stateEbbT6_jjT7_P12ihipStream_tbENKUlT_T0_SG_SL_E_clIS7_S7_PlSB_EEDaSZ_S10_SG_SL_EUlSZ_E_NS1_11comp_targetILNS1_3genE4ELNS1_11target_archE910ELNS1_3gpuE8ELNS1_3repE0EEENS1_47radix_sort_onesweep_sort_config_static_selectorELNS0_4arch9wavefront6targetE1EEEvSG_: ; @_ZN7rocprim17ROCPRIM_400000_NS6detail17trampoline_kernelINS0_14default_configENS1_35radix_sort_onesweep_config_selectorIdlEEZZNS1_29radix_sort_onesweep_iterationIS3_Lb0EPdS7_N6thrust23THRUST_200600_302600_NS10device_ptrIlEESB_jNS0_19identity_decomposerENS1_16block_id_wrapperIjLb1EEEEE10hipError_tT1_PNSt15iterator_traitsISG_E10value_typeET2_T3_PNSH_ISM_E10value_typeET4_T5_PSR_SS_PNS1_23onesweep_lookback_stateEbbT6_jjT7_P12ihipStream_tbENKUlT_T0_SG_SL_E_clIS7_S7_PlSB_EEDaSZ_S10_SG_SL_EUlSZ_E_NS1_11comp_targetILNS1_3genE4ELNS1_11target_archE910ELNS1_3gpuE8ELNS1_3repE0EEENS1_47radix_sort_onesweep_sort_config_static_selectorELNS0_4arch9wavefront6targetE1EEEvSG_
; %bb.0:
	s_load_dwordx4 s[44:47], s[4:5], 0x28
	s_load_dwordx2 s[30:31], s[4:5], 0x38
	s_load_dwordx4 s[48:51], s[4:5], 0x44
	v_and_b32_e32 v10, 0x3ff, v0
	v_cmp_eq_u32_e64 s[0:1], 0, v10
	s_and_saveexec_b64 s[2:3], s[0:1]
	s_cbranch_execz .LBB1638_4
; %bb.1:
	s_mov_b64 s[10:11], exec
	v_mbcnt_lo_u32_b32 v1, s10, 0
	v_mbcnt_hi_u32_b32 v1, s11, v1
	v_cmp_eq_u32_e32 vcc, 0, v1
                                        ; implicit-def: $vgpr2
	s_and_saveexec_b64 s[8:9], vcc
	s_cbranch_execz .LBB1638_3
; %bb.2:
	s_load_dwordx2 s[12:13], s[4:5], 0x50
	s_bcnt1_i32_b64 s7, s[10:11]
	v_mov_b32_e32 v2, 0
	v_mov_b32_e32 v3, s7
	s_waitcnt lgkmcnt(0)
	global_atomic_add v2, v2, v3, s[12:13] glc
.LBB1638_3:
	s_or_b64 exec, exec, s[8:9]
	s_waitcnt vmcnt(0)
	v_readfirstlane_b32 s7, v2
	v_add_u32_e32 v1, s7, v1
	v_mov_b32_e32 v2, 0
	ds_write_b32 v2, v1 offset:20544
.LBB1638_4:
	s_or_b64 exec, exec, s[2:3]
	v_mov_b32_e32 v1, 0
	s_load_dwordx8 s[36:43], s[4:5], 0x0
	s_load_dword s2, s[4:5], 0x20
	s_waitcnt lgkmcnt(0)
	s_barrier
	ds_read_b32 v1, v1 offset:20544
	v_lshlrev_b32_e32 v11, 3, v10
	s_waitcnt lgkmcnt(0)
	s_barrier
	v_cmp_le_u32_e32 vcc, s50, v1
	v_readfirstlane_b32 s33, v1
	v_mbcnt_lo_u32_b32 v1, -1, 0
	s_cbranch_vccz .LBB1638_63
; %bb.5:
	s_lshl_b32 s3, s50, 13
	s_sub_i32 s7, s2, s3
	s_lshl_b32 s2, s33, 13
	s_mov_b32 s3, 0
	s_lshl_b64 s[34:35], s[2:3], 3
	v_mbcnt_hi_u32_b32 v28, -1, v1
	s_add_u32 s2, s36, s34
	v_and_b32_e32 v2, 63, v28
	s_addc_u32 s3, s37, s35
	v_lshlrev_b32_e32 v30, 3, v2
	v_and_b32_e32 v3, 0x1e00, v11
	v_mov_b32_e32 v4, s3
	v_add_co_u32_e32 v5, vcc, s2, v30
	v_addc_co_u32_e32 v4, vcc, 0, v4, vcc
	v_lshlrev_b32_e32 v31, 3, v3
	s_mov_b32 s8, -1
	v_add_co_u32_e32 v20, vcc, v5, v31
	s_brev_b32 s9, -2
	v_addc_co_u32_e32 v21, vcc, 0, v4, vcc
	v_or_b32_e32 v2, v2, v3
	v_cmp_gt_u32_e32 vcc, s7, v2
	v_pk_mov_b32 v[12:13], s[8:9], s[8:9] op_sel:[0,1]
	s_and_saveexec_b64 s[2:3], vcc
	s_cbranch_execz .LBB1638_7
; %bb.6:
	global_load_dwordx2 v[12:13], v[20:21], off
.LBB1638_7:
	s_or_b64 exec, exec, s[2:3]
	v_or_b32_e32 v3, 64, v2
	v_cmp_gt_u32_e64 s[2:3], s7, v3
	v_pk_mov_b32 v[14:15], s[8:9], s[8:9] op_sel:[0,1]
	s_and_saveexec_b64 s[8:9], s[2:3]
	s_cbranch_execz .LBB1638_9
; %bb.8:
	global_load_dwordx2 v[14:15], v[20:21], off offset:512
.LBB1638_9:
	s_or_b64 exec, exec, s[8:9]
	s_mov_b32 s10, -1
	v_or_b32_e32 v3, 0x80, v2
	s_brev_b32 s11, -2
	v_cmp_gt_u32_e64 s[26:27], s7, v3
	v_pk_mov_b32 v[16:17], s[10:11], s[10:11] op_sel:[0,1]
	s_and_saveexec_b64 s[8:9], s[26:27]
	s_cbranch_execz .LBB1638_11
; %bb.10:
	global_load_dwordx2 v[16:17], v[20:21], off offset:1024
.LBB1638_11:
	s_or_b64 exec, exec, s[8:9]
	v_or_b32_e32 v3, 0xc0, v2
	v_cmp_gt_u32_e64 s[8:9], s7, v3
	v_pk_mov_b32 v[18:19], s[10:11], s[10:11] op_sel:[0,1]
	s_and_saveexec_b64 s[10:11], s[8:9]
	s_cbranch_execz .LBB1638_13
; %bb.12:
	global_load_dwordx2 v[18:19], v[20:21], off offset:1536
.LBB1638_13:
	s_or_b64 exec, exec, s[10:11]
	s_mov_b32 s14, -1
	v_or_b32_e32 v3, 0x100, v2
	s_brev_b32 s15, -2
	v_cmp_gt_u32_e64 s[10:11], s7, v3
	v_pk_mov_b32 v[8:9], s[14:15], s[14:15] op_sel:[0,1]
	s_and_saveexec_b64 s[12:13], s[10:11]
	s_cbranch_execz .LBB1638_15
; %bb.14:
	global_load_dwordx2 v[8:9], v[20:21], off offset:2048
.LBB1638_15:
	;; [unrolled: 20-line block ×3, first 2 shown]
	s_or_b64 exec, exec, s[16:17]
	v_or_b32_e32 v2, 0x1c0, v2
	v_cmp_gt_u32_e64 s[16:17], s7, v2
	v_pk_mov_b32 v[2:3], s[18:19], s[18:19] op_sel:[0,1]
	s_and_saveexec_b64 s[18:19], s[16:17]
	s_cbranch_execz .LBB1638_21
; %bb.20:
	global_load_dwordx2 v[2:3], v[20:21], off offset:3584
.LBB1638_21:
	s_or_b64 exec, exec, s[18:19]
	s_load_dword s18, s[4:5], 0x64
	s_load_dword s52, s[4:5], 0x58
	s_add_u32 s19, s4, 0x58
	s_addc_u32 s20, s5, 0
	v_mov_b32_e32 v20, 0
	s_waitcnt lgkmcnt(0)
	s_lshr_b32 s21, s18, 16
	s_cmp_lt_u32 s6, s52
	s_cselect_b32 s18, 12, 18
	s_add_u32 s18, s19, s18
	s_addc_u32 s19, s20, 0
	global_load_ushort v25, v20, s[18:19]
	v_bfrev_b32_e32 v24, 1
	s_waitcnt vmcnt(1)
	v_cmp_lt_i64_e64 s[18:19], -1, v[12:13]
	s_mov_b32 s22, -1
	v_ashrrev_i32_e32 v21, 31, v13
	v_cndmask_b32_e64 v23, -1, v24, s[18:19]
	s_brev_b32 s23, -2
	v_xor_b32_e32 v12, v21, v12
	v_xor_b32_e32 v13, v23, v13
	v_mul_u32_u24_e32 v22, 5, v10
	v_cmp_ne_u64_e64 s[18:19], s[22:23], v[12:13]
	v_lshlrev_b32_e32 v33, 2, v22
	v_cndmask_b32_e64 v23, v24, v13, s[18:19]
	v_cndmask_b32_e64 v22, 0, v12, s[18:19]
	s_lshl_b32 s18, -1, s49
	v_bfe_u32 v26, v0, 10, 10
	v_bfe_u32 v27, v0, 20, 10
	v_lshrrev_b64 v[22:23], s48, v[22:23]
	s_not_b32 s53, s18
	v_mad_u32_u24 v23, v27, s21, v26
	v_and_b32_e32 v26, s53, v22
	v_and_b32_e32 v22, 1, v26
	v_add_co_u32_e64 v29, s[18:19], -1, v22
	v_lshlrev_b32_e32 v21, 30, v26
	v_addc_co_u32_e64 v32, s[18:19], 0, -1, s[18:19]
	v_cmp_ne_u32_e64 s[18:19], 0, v22
	v_cmp_gt_i64_e64 s[20:21], 0, v[20:21]
	v_not_b32_e32 v22, v21
	v_lshlrev_b32_e32 v21, 29, v26
	v_xor_b32_e32 v32, s19, v32
	v_xor_b32_e32 v29, s18, v29
	v_ashrrev_i32_e32 v22, 31, v22
	v_cmp_gt_i64_e64 s[18:19], 0, v[20:21]
	v_not_b32_e32 v34, v21
	v_lshlrev_b32_e32 v21, 28, v26
	v_and_b32_e32 v32, exec_hi, v32
	v_and_b32_e32 v29, exec_lo, v29
	v_xor_b32_e32 v35, s21, v22
	v_xor_b32_e32 v22, s20, v22
	v_ashrrev_i32_e32 v34, 31, v34
	v_cmp_gt_i64_e64 s[20:21], 0, v[20:21]
	v_not_b32_e32 v36, v21
	v_lshlrev_b32_e32 v21, 27, v26
	v_and_b32_e32 v32, v32, v35
	v_and_b32_e32 v22, v29, v22
	v_xor_b32_e32 v29, s19, v34
	v_xor_b32_e32 v34, s18, v34
	v_ashrrev_i32_e32 v35, 31, v36
	v_cmp_gt_i64_e64 s[18:19], 0, v[20:21]
	v_not_b32_e32 v36, v21
	v_lshlrev_b32_e32 v21, 26, v26
	v_and_b32_e32 v29, v32, v29
	v_and_b32_e32 v22, v22, v34
	v_xor_b32_e32 v32, s21, v35
	v_xor_b32_e32 v34, s20, v35
	v_ashrrev_i32_e32 v35, 31, v36
	v_not_b32_e32 v36, v21
	v_cmp_gt_i64_e64 s[20:21], 0, v[20:21]
	v_and_b32_e32 v29, v29, v32
	v_and_b32_e32 v22, v22, v34
	v_xor_b32_e32 v32, s19, v35
	v_xor_b32_e32 v34, s18, v35
	v_ashrrev_i32_e32 v35, 31, v36
	v_and_b32_e32 v29, v29, v32
	v_and_b32_e32 v22, v22, v34
	v_xor_b32_e32 v32, s21, v35
	v_xor_b32_e32 v34, s20, v35
	v_lshlrev_b32_e32 v21, 25, v26
	v_and_b32_e32 v29, v29, v32
	v_and_b32_e32 v32, v22, v34
	v_lshl_add_u32 v27, v26, 4, v26
	ds_write2_b32 v33, v20, v20 offset0:16 offset1:17
	ds_write2_b32 v33, v20, v20 offset0:18 offset1:19
	ds_write_b32 v33, v20 offset:80
	s_waitcnt lgkmcnt(0)
	s_barrier
	s_waitcnt lgkmcnt(0)
	; wave barrier
	s_waitcnt vmcnt(0)
	v_mad_u64_u32 v[22:23], s[18:19], v23, v25, v[10:11]
	v_cmp_gt_i64_e64 s[18:19], 0, v[20:21]
	v_not_b32_e32 v21, v21
	v_ashrrev_i32_e32 v21, 31, v21
	v_lshrrev_b32_e32 v41, 6, v22
	v_xor_b32_e32 v22, s19, v21
	v_xor_b32_e32 v21, s18, v21
	v_and_b32_e32 v25, v32, v21
	v_lshlrev_b32_e32 v21, 24, v26
	v_cmp_gt_i64_e64 s[18:19], 0, v[20:21]
	v_not_b32_e32 v21, v21
	v_ashrrev_i32_e32 v21, 31, v21
	v_and_b32_e32 v22, v29, v22
	v_xor_b32_e32 v23, s19, v21
	v_xor_b32_e32 v21, s18, v21
	v_and_b32_e32 v23, v22, v23
	v_and_b32_e32 v22, v25, v21
	v_mbcnt_lo_u32_b32 v21, v22, 0
	v_mbcnt_hi_u32_b32 v29, v23, v21
	v_cmp_eq_u32_e64 s[18:19], 0, v29
	v_cmp_ne_u64_e64 s[20:21], 0, v[22:23]
	v_add_lshl_u32 v35, v41, v27, 2
	s_and_b64 s[20:21], s[20:21], s[18:19]
	s_and_saveexec_b64 s[18:19], s[20:21]
	s_cbranch_execz .LBB1638_23
; %bb.22:
	v_bcnt_u32_b32 v21, v22, 0
	v_bcnt_u32_b32 v21, v23, v21
	ds_write_b32 v35, v21 offset:64
.LBB1638_23:
	s_or_b64 exec, exec, s[18:19]
	v_cmp_lt_i64_e64 s[18:19], -1, v[14:15]
	v_cndmask_b32_e64 v21, -1, v24, s[18:19]
	v_ashrrev_i32_e32 v22, 31, v15
	v_xor_b32_e32 v15, v21, v15
	v_xor_b32_e32 v14, v22, v14
	v_cmp_ne_u64_e64 s[18:19], s[22:23], v[14:15]
	v_cndmask_b32_e64 v23, v24, v15, s[18:19]
	v_cndmask_b32_e64 v22, 0, v14, s[18:19]
	v_lshrrev_b64 v[22:23], s48, v[22:23]
	v_and_b32_e32 v22, s53, v22
	v_lshl_add_u32 v21, v22, 4, v22
	v_add_lshl_u32 v37, v41, v21, 2
	v_and_b32_e32 v21, 1, v22
	v_add_co_u32_e64 v23, s[18:19], -1, v21
	v_addc_co_u32_e64 v24, s[18:19], 0, -1, s[18:19]
	v_cmp_ne_u32_e64 s[18:19], 0, v21
	v_xor_b32_e32 v21, s19, v24
	v_and_b32_e32 v24, exec_hi, v21
	v_lshlrev_b32_e32 v21, 30, v22
	v_xor_b32_e32 v23, s18, v23
	v_cmp_gt_i64_e64 s[18:19], 0, v[20:21]
	v_not_b32_e32 v21, v21
	v_ashrrev_i32_e32 v21, 31, v21
	v_and_b32_e32 v23, exec_lo, v23
	v_xor_b32_e32 v25, s19, v21
	v_xor_b32_e32 v21, s18, v21
	v_and_b32_e32 v23, v23, v21
	v_lshlrev_b32_e32 v21, 29, v22
	v_cmp_gt_i64_e64 s[18:19], 0, v[20:21]
	v_not_b32_e32 v21, v21
	v_ashrrev_i32_e32 v21, 31, v21
	v_and_b32_e32 v24, v24, v25
	v_xor_b32_e32 v25, s19, v21
	v_xor_b32_e32 v21, s18, v21
	v_and_b32_e32 v23, v23, v21
	v_lshlrev_b32_e32 v21, 28, v22
	v_cmp_gt_i64_e64 s[18:19], 0, v[20:21]
	v_not_b32_e32 v21, v21
	v_ashrrev_i32_e32 v21, 31, v21
	v_and_b32_e32 v24, v24, v25
	;; [unrolled: 8-line block ×5, first 2 shown]
	v_xor_b32_e32 v25, s19, v21
	v_xor_b32_e32 v21, s18, v21
	v_and_b32_e32 v23, v23, v21
	v_lshlrev_b32_e32 v21, 24, v22
	v_cmp_gt_i64_e64 s[18:19], 0, v[20:21]
	v_not_b32_e32 v20, v21
	v_ashrrev_i32_e32 v20, 31, v20
	v_xor_b32_e32 v21, s19, v20
	v_xor_b32_e32 v20, s18, v20
	; wave barrier
	ds_read_b32 v32, v37 offset:64
	v_and_b32_e32 v24, v24, v25
	v_and_b32_e32 v20, v23, v20
	;; [unrolled: 1-line block ×3, first 2 shown]
	v_mbcnt_lo_u32_b32 v22, v20, 0
	v_mbcnt_hi_u32_b32 v34, v21, v22
	v_cmp_eq_u32_e64 s[18:19], 0, v34
	v_cmp_ne_u64_e64 s[20:21], 0, v[20:21]
	s_and_b64 s[20:21], s[20:21], s[18:19]
	; wave barrier
	s_and_saveexec_b64 s[18:19], s[20:21]
	s_cbranch_execz .LBB1638_25
; %bb.24:
	v_bcnt_u32_b32 v20, v20, 0
	v_bcnt_u32_b32 v20, v21, v20
	s_waitcnt lgkmcnt(0)
	v_add_u32_e32 v20, v32, v20
	ds_write_b32 v37, v20 offset:64
.LBB1638_25:
	s_or_b64 exec, exec, s[18:19]
	v_bfrev_b32_e32 v24, 1
	v_cmp_lt_i64_e64 s[18:19], -1, v[16:17]
	v_cndmask_b32_e64 v20, -1, v24, s[18:19]
	v_ashrrev_i32_e32 v21, 31, v17
	v_xor_b32_e32 v17, v20, v17
	v_xor_b32_e32 v16, v21, v16
	v_cmp_ne_u64_e64 s[18:19], s[22:23], v[16:17]
	v_cndmask_b32_e64 v23, v24, v17, s[18:19]
	v_cndmask_b32_e64 v22, 0, v16, s[18:19]
	v_lshrrev_b64 v[22:23], s48, v[22:23]
	v_and_b32_e32 v22, s53, v22
	v_lshl_add_u32 v21, v22, 4, v22
	v_add_lshl_u32 v40, v41, v21, 2
	v_and_b32_e32 v21, 1, v22
	v_add_co_u32_e64 v23, s[18:19], -1, v21
	v_addc_co_u32_e64 v25, s[18:19], 0, -1, s[18:19]
	v_cmp_ne_u32_e64 s[18:19], 0, v21
	v_xor_b32_e32 v21, s19, v25
	v_mov_b32_e32 v20, 0
	v_and_b32_e32 v25, exec_hi, v21
	v_lshlrev_b32_e32 v21, 30, v22
	v_xor_b32_e32 v23, s18, v23
	v_cmp_gt_i64_e64 s[18:19], 0, v[20:21]
	v_not_b32_e32 v21, v21
	v_ashrrev_i32_e32 v21, 31, v21
	v_and_b32_e32 v23, exec_lo, v23
	v_xor_b32_e32 v26, s19, v21
	v_xor_b32_e32 v21, s18, v21
	v_and_b32_e32 v23, v23, v21
	v_lshlrev_b32_e32 v21, 29, v22
	v_cmp_gt_i64_e64 s[18:19], 0, v[20:21]
	v_not_b32_e32 v21, v21
	v_ashrrev_i32_e32 v21, 31, v21
	v_and_b32_e32 v25, v25, v26
	v_xor_b32_e32 v26, s19, v21
	v_xor_b32_e32 v21, s18, v21
	v_and_b32_e32 v23, v23, v21
	v_lshlrev_b32_e32 v21, 28, v22
	v_cmp_gt_i64_e64 s[18:19], 0, v[20:21]
	v_not_b32_e32 v21, v21
	v_ashrrev_i32_e32 v21, 31, v21
	v_and_b32_e32 v25, v25, v26
	;; [unrolled: 8-line block ×5, first 2 shown]
	v_xor_b32_e32 v26, s19, v21
	v_xor_b32_e32 v21, s18, v21
	v_and_b32_e32 v25, v25, v26
	v_and_b32_e32 v26, v23, v21
	v_lshlrev_b32_e32 v21, 24, v22
	v_cmp_gt_i64_e64 s[18:19], 0, v[20:21]
	v_not_b32_e32 v21, v21
	v_ashrrev_i32_e32 v21, 31, v21
	v_xor_b32_e32 v22, s19, v21
	v_xor_b32_e32 v21, s18, v21
	; wave barrier
	ds_read_b32 v36, v40 offset:64
	v_and_b32_e32 v23, v25, v22
	v_and_b32_e32 v22, v26, v21
	v_mbcnt_lo_u32_b32 v21, v22, 0
	v_mbcnt_hi_u32_b32 v38, v23, v21
	v_cmp_eq_u32_e64 s[18:19], 0, v38
	v_cmp_ne_u64_e64 s[20:21], 0, v[22:23]
	s_and_b64 s[20:21], s[20:21], s[18:19]
	; wave barrier
	s_and_saveexec_b64 s[18:19], s[20:21]
	s_cbranch_execz .LBB1638_27
; %bb.26:
	v_bcnt_u32_b32 v21, v22, 0
	v_bcnt_u32_b32 v21, v23, v21
	s_waitcnt lgkmcnt(0)
	v_add_u32_e32 v21, v36, v21
	ds_write_b32 v40, v21 offset:64
.LBB1638_27:
	s_or_b64 exec, exec, s[18:19]
	v_cmp_lt_i64_e64 s[18:19], -1, v[18:19]
	v_cndmask_b32_e64 v21, -1, v24, s[18:19]
	v_ashrrev_i32_e32 v22, 31, v19
	v_xor_b32_e32 v19, v21, v19
	v_xor_b32_e32 v18, v22, v18
	v_cmp_ne_u64_e64 s[18:19], s[22:23], v[18:19]
	v_cndmask_b32_e64 v23, v24, v19, s[18:19]
	v_cndmask_b32_e64 v22, 0, v18, s[18:19]
	v_lshrrev_b64 v[22:23], s48, v[22:23]
	v_and_b32_e32 v22, s53, v22
	v_lshl_add_u32 v21, v22, 4, v22
	v_add_lshl_u32 v44, v41, v21, 2
	v_and_b32_e32 v21, 1, v22
	v_add_co_u32_e64 v23, s[18:19], -1, v21
	v_addc_co_u32_e64 v24, s[18:19], 0, -1, s[18:19]
	v_cmp_ne_u32_e64 s[18:19], 0, v21
	v_xor_b32_e32 v21, s19, v24
	v_and_b32_e32 v24, exec_hi, v21
	v_lshlrev_b32_e32 v21, 30, v22
	v_xor_b32_e32 v23, s18, v23
	v_cmp_gt_i64_e64 s[18:19], 0, v[20:21]
	v_not_b32_e32 v21, v21
	v_ashrrev_i32_e32 v21, 31, v21
	v_and_b32_e32 v23, exec_lo, v23
	v_xor_b32_e32 v25, s19, v21
	v_xor_b32_e32 v21, s18, v21
	v_and_b32_e32 v23, v23, v21
	v_lshlrev_b32_e32 v21, 29, v22
	v_cmp_gt_i64_e64 s[18:19], 0, v[20:21]
	v_not_b32_e32 v21, v21
	v_ashrrev_i32_e32 v21, 31, v21
	v_and_b32_e32 v24, v24, v25
	v_xor_b32_e32 v25, s19, v21
	v_xor_b32_e32 v21, s18, v21
	v_and_b32_e32 v23, v23, v21
	v_lshlrev_b32_e32 v21, 28, v22
	v_cmp_gt_i64_e64 s[18:19], 0, v[20:21]
	v_not_b32_e32 v21, v21
	v_ashrrev_i32_e32 v21, 31, v21
	v_and_b32_e32 v24, v24, v25
	;; [unrolled: 8-line block ×5, first 2 shown]
	v_xor_b32_e32 v25, s19, v21
	v_xor_b32_e32 v21, s18, v21
	v_and_b32_e32 v23, v23, v21
	v_lshlrev_b32_e32 v21, 24, v22
	v_cmp_gt_i64_e64 s[18:19], 0, v[20:21]
	v_not_b32_e32 v20, v21
	v_ashrrev_i32_e32 v20, 31, v20
	v_xor_b32_e32 v21, s19, v20
	v_xor_b32_e32 v20, s18, v20
	; wave barrier
	ds_read_b32 v39, v44 offset:64
	v_and_b32_e32 v24, v24, v25
	v_and_b32_e32 v20, v23, v20
	;; [unrolled: 1-line block ×3, first 2 shown]
	v_mbcnt_lo_u32_b32 v22, v20, 0
	v_mbcnt_hi_u32_b32 v42, v21, v22
	v_cmp_eq_u32_e64 s[18:19], 0, v42
	v_cmp_ne_u64_e64 s[20:21], 0, v[20:21]
	s_and_b64 s[20:21], s[20:21], s[18:19]
	; wave barrier
	s_and_saveexec_b64 s[18:19], s[20:21]
	s_cbranch_execz .LBB1638_29
; %bb.28:
	v_bcnt_u32_b32 v20, v20, 0
	v_bcnt_u32_b32 v20, v21, v20
	s_waitcnt lgkmcnt(0)
	v_add_u32_e32 v20, v39, v20
	ds_write_b32 v44, v20 offset:64
.LBB1638_29:
	s_or_b64 exec, exec, s[18:19]
	v_bfrev_b32_e32 v24, 1
	v_cmp_lt_i64_e64 s[18:19], -1, v[8:9]
	v_cndmask_b32_e64 v20, -1, v24, s[18:19]
	v_ashrrev_i32_e32 v22, 31, v9
	v_xor_b32_e32 v21, v20, v9
	v_xor_b32_e32 v20, v22, v8
	v_cmp_ne_u64_e64 s[18:19], s[22:23], v[20:21]
	v_cndmask_b32_e64 v23, v24, v21, s[18:19]
	v_cndmask_b32_e64 v22, 0, v20, s[18:19]
	v_lshrrev_b64 v[22:23], s48, v[22:23]
	v_and_b32_e32 v22, s53, v22
	v_lshl_add_u32 v9, v22, 4, v22
	v_add_lshl_u32 v47, v41, v9, 2
	v_and_b32_e32 v9, 1, v22
	v_add_co_u32_e64 v23, s[18:19], -1, v9
	v_addc_co_u32_e64 v25, s[18:19], 0, -1, s[18:19]
	v_cmp_ne_u32_e64 s[18:19], 0, v9
	v_xor_b32_e32 v9, s19, v25
	v_mov_b32_e32 v8, 0
	v_and_b32_e32 v25, exec_hi, v9
	v_lshlrev_b32_e32 v9, 30, v22
	v_xor_b32_e32 v23, s18, v23
	v_cmp_gt_i64_e64 s[18:19], 0, v[8:9]
	v_not_b32_e32 v9, v9
	v_ashrrev_i32_e32 v9, 31, v9
	v_and_b32_e32 v23, exec_lo, v23
	v_xor_b32_e32 v26, s19, v9
	v_xor_b32_e32 v9, s18, v9
	v_and_b32_e32 v23, v23, v9
	v_lshlrev_b32_e32 v9, 29, v22
	v_cmp_gt_i64_e64 s[18:19], 0, v[8:9]
	v_not_b32_e32 v9, v9
	v_ashrrev_i32_e32 v9, 31, v9
	v_and_b32_e32 v25, v25, v26
	v_xor_b32_e32 v26, s19, v9
	v_xor_b32_e32 v9, s18, v9
	v_and_b32_e32 v23, v23, v9
	v_lshlrev_b32_e32 v9, 28, v22
	v_cmp_gt_i64_e64 s[18:19], 0, v[8:9]
	v_not_b32_e32 v9, v9
	v_ashrrev_i32_e32 v9, 31, v9
	v_and_b32_e32 v25, v25, v26
	;; [unrolled: 8-line block ×5, first 2 shown]
	v_xor_b32_e32 v26, s19, v9
	v_xor_b32_e32 v9, s18, v9
	v_and_b32_e32 v25, v25, v26
	v_and_b32_e32 v26, v23, v9
	v_lshlrev_b32_e32 v9, 24, v22
	v_cmp_gt_i64_e64 s[18:19], 0, v[8:9]
	v_not_b32_e32 v9, v9
	v_ashrrev_i32_e32 v9, 31, v9
	v_xor_b32_e32 v22, s19, v9
	v_xor_b32_e32 v9, s18, v9
	; wave barrier
	ds_read_b32 v43, v47 offset:64
	v_and_b32_e32 v23, v25, v22
	v_and_b32_e32 v22, v26, v9
	v_mbcnt_lo_u32_b32 v9, v22, 0
	v_mbcnt_hi_u32_b32 v45, v23, v9
	v_cmp_eq_u32_e64 s[18:19], 0, v45
	v_cmp_ne_u64_e64 s[20:21], 0, v[22:23]
	s_and_b64 s[20:21], s[20:21], s[18:19]
	; wave barrier
	s_and_saveexec_b64 s[18:19], s[20:21]
	s_cbranch_execz .LBB1638_31
; %bb.30:
	v_bcnt_u32_b32 v9, v22, 0
	v_bcnt_u32_b32 v9, v23, v9
	s_waitcnt lgkmcnt(0)
	v_add_u32_e32 v9, v43, v9
	ds_write_b32 v47, v9 offset:64
.LBB1638_31:
	s_or_b64 exec, exec, s[18:19]
	v_cmp_lt_i64_e64 s[18:19], -1, v[6:7]
	v_cndmask_b32_e64 v9, -1, v24, s[18:19]
	v_ashrrev_i32_e32 v22, 31, v7
	v_xor_b32_e32 v23, v9, v7
	v_xor_b32_e32 v22, v22, v6
	v_cmp_ne_u64_e64 s[18:19], s[22:23], v[22:23]
	v_cndmask_b32_e64 v7, v24, v23, s[18:19]
	v_cndmask_b32_e64 v6, 0, v22, s[18:19]
	v_lshrrev_b64 v[6:7], s48, v[6:7]
	v_and_b32_e32 v6, s53, v6
	v_lshl_add_u32 v7, v6, 4, v6
	v_add_lshl_u32 v48, v41, v7, 2
	v_and_b32_e32 v7, 1, v6
	v_add_co_u32_e64 v9, s[18:19], -1, v7
	v_addc_co_u32_e64 v24, s[18:19], 0, -1, s[18:19]
	v_cmp_ne_u32_e64 s[18:19], 0, v7
	v_xor_b32_e32 v9, s18, v9
	v_xor_b32_e32 v7, s19, v24
	v_and_b32_e32 v24, exec_lo, v9
	v_lshlrev_b32_e32 v9, 30, v6
	v_cmp_gt_i64_e64 s[18:19], 0, v[8:9]
	v_not_b32_e32 v9, v9
	v_ashrrev_i32_e32 v9, 31, v9
	v_xor_b32_e32 v25, s19, v9
	v_xor_b32_e32 v9, s18, v9
	v_and_b32_e32 v24, v24, v9
	v_lshlrev_b32_e32 v9, 29, v6
	v_cmp_gt_i64_e64 s[18:19], 0, v[8:9]
	v_not_b32_e32 v9, v9
	v_and_b32_e32 v7, exec_hi, v7
	v_ashrrev_i32_e32 v9, 31, v9
	v_and_b32_e32 v7, v7, v25
	v_xor_b32_e32 v25, s19, v9
	v_xor_b32_e32 v9, s18, v9
	v_and_b32_e32 v24, v24, v9
	v_lshlrev_b32_e32 v9, 28, v6
	v_cmp_gt_i64_e64 s[18:19], 0, v[8:9]
	v_not_b32_e32 v9, v9
	v_ashrrev_i32_e32 v9, 31, v9
	v_and_b32_e32 v7, v7, v25
	v_xor_b32_e32 v25, s19, v9
	v_xor_b32_e32 v9, s18, v9
	v_and_b32_e32 v24, v24, v9
	v_lshlrev_b32_e32 v9, 27, v6
	v_cmp_gt_i64_e64 s[18:19], 0, v[8:9]
	v_not_b32_e32 v9, v9
	;; [unrolled: 8-line block ×4, first 2 shown]
	v_ashrrev_i32_e32 v9, 31, v9
	v_and_b32_e32 v7, v7, v25
	v_xor_b32_e32 v25, s19, v9
	v_xor_b32_e32 v9, s18, v9
	v_and_b32_e32 v24, v24, v9
	v_lshlrev_b32_e32 v9, 24, v6
	v_not_b32_e32 v6, v9
	v_cmp_gt_i64_e64 s[18:19], 0, v[8:9]
	v_ashrrev_i32_e32 v6, 31, v6
	v_xor_b32_e32 v8, s19, v6
	v_xor_b32_e32 v6, s18, v6
	; wave barrier
	ds_read_b32 v46, v48 offset:64
	v_and_b32_e32 v7, v7, v25
	v_and_b32_e32 v6, v24, v6
	v_and_b32_e32 v7, v7, v8
	v_mbcnt_lo_u32_b32 v8, v6, 0
	v_mbcnt_hi_u32_b32 v8, v7, v8
	v_cmp_eq_u32_e64 s[18:19], 0, v8
	v_cmp_ne_u64_e64 s[20:21], 0, v[6:7]
	s_and_b64 s[20:21], s[20:21], s[18:19]
	; wave barrier
	s_and_saveexec_b64 s[18:19], s[20:21]
	s_cbranch_execz .LBB1638_33
; %bb.32:
	v_bcnt_u32_b32 v6, v6, 0
	v_bcnt_u32_b32 v6, v7, v6
	s_waitcnt lgkmcnt(0)
	v_add_u32_e32 v6, v46, v6
	ds_write_b32 v48, v6 offset:64
.LBB1638_33:
	s_or_b64 exec, exec, s[18:19]
	v_bfrev_b32_e32 v51, 1
	v_cmp_lt_i64_e64 s[18:19], -1, v[4:5]
	v_cndmask_b32_e64 v6, -1, v51, s[18:19]
	v_ashrrev_i32_e32 v7, 31, v5
	v_xor_b32_e32 v25, v6, v5
	v_xor_b32_e32 v24, v7, v4
	v_cmp_ne_u64_e64 s[18:19], s[22:23], v[24:25]
	v_cndmask_b32_e64 v7, v51, v25, s[18:19]
	v_cndmask_b32_e64 v6, 0, v24, s[18:19]
	v_lshrrev_b64 v[6:7], s48, v[6:7]
	v_and_b32_e32 v6, s53, v6
	v_lshl_add_u32 v5, v6, 4, v6
	v_add_lshl_u32 v50, v41, v5, 2
	v_and_b32_e32 v5, 1, v6
	v_add_co_u32_e64 v7, s[18:19], -1, v5
	v_addc_co_u32_e64 v26, s[18:19], 0, -1, s[18:19]
	v_cmp_ne_u32_e64 s[18:19], 0, v5
	v_xor_b32_e32 v5, s19, v26
	v_mov_b32_e32 v4, 0
	v_and_b32_e32 v26, exec_hi, v5
	v_lshlrev_b32_e32 v5, 30, v6
	v_xor_b32_e32 v7, s18, v7
	v_cmp_gt_i64_e64 s[18:19], 0, v[4:5]
	v_not_b32_e32 v5, v5
	v_ashrrev_i32_e32 v5, 31, v5
	v_and_b32_e32 v7, exec_lo, v7
	v_xor_b32_e32 v27, s19, v5
	v_xor_b32_e32 v5, s18, v5
	v_and_b32_e32 v7, v7, v5
	v_lshlrev_b32_e32 v5, 29, v6
	v_cmp_gt_i64_e64 s[18:19], 0, v[4:5]
	v_not_b32_e32 v5, v5
	v_ashrrev_i32_e32 v5, 31, v5
	v_and_b32_e32 v26, v26, v27
	v_xor_b32_e32 v27, s19, v5
	v_xor_b32_e32 v5, s18, v5
	v_and_b32_e32 v7, v7, v5
	v_lshlrev_b32_e32 v5, 28, v6
	v_cmp_gt_i64_e64 s[18:19], 0, v[4:5]
	v_not_b32_e32 v5, v5
	v_ashrrev_i32_e32 v5, 31, v5
	v_and_b32_e32 v26, v26, v27
	;; [unrolled: 8-line block ×5, first 2 shown]
	v_xor_b32_e32 v27, s19, v5
	v_xor_b32_e32 v5, s18, v5
	v_and_b32_e32 v26, v26, v27
	v_and_b32_e32 v27, v7, v5
	v_lshlrev_b32_e32 v5, 24, v6
	v_cmp_gt_i64_e64 s[18:19], 0, v[4:5]
	v_not_b32_e32 v5, v5
	v_ashrrev_i32_e32 v5, 31, v5
	v_xor_b32_e32 v6, s19, v5
	v_xor_b32_e32 v5, s18, v5
	; wave barrier
	ds_read_b32 v9, v50 offset:64
	v_and_b32_e32 v7, v26, v6
	v_and_b32_e32 v6, v27, v5
	v_mbcnt_lo_u32_b32 v5, v6, 0
	v_mbcnt_hi_u32_b32 v49, v7, v5
	v_cmp_eq_u32_e64 s[18:19], 0, v49
	v_cmp_ne_u64_e64 s[20:21], 0, v[6:7]
	s_and_b64 s[20:21], s[20:21], s[18:19]
	; wave barrier
	s_and_saveexec_b64 s[18:19], s[20:21]
	s_cbranch_execz .LBB1638_35
; %bb.34:
	v_bcnt_u32_b32 v5, v6, 0
	v_bcnt_u32_b32 v5, v7, v5
	s_waitcnt lgkmcnt(0)
	v_add_u32_e32 v5, v9, v5
	ds_write_b32 v50, v5 offset:64
.LBB1638_35:
	s_or_b64 exec, exec, s[18:19]
	v_cmp_lt_i64_e64 s[18:19], -1, v[2:3]
	v_cndmask_b32_e64 v5, -1, v51, s[18:19]
	v_ashrrev_i32_e32 v7, 31, v3
	v_xor_b32_e32 v27, v5, v3
	v_xor_b32_e32 v26, v7, v2
	v_cmp_ne_u64_e64 s[18:19], s[22:23], v[26:27]
	v_cndmask_b32_e64 v3, v51, v27, s[18:19]
	v_cndmask_b32_e64 v2, 0, v26, s[18:19]
	v_lshrrev_b64 v[2:3], s48, v[2:3]
	v_and_b32_e32 v2, s53, v2
	v_lshl_add_u32 v3, v2, 4, v2
	v_add_lshl_u32 v7, v3, v41, 2
	v_and_b32_e32 v3, 1, v2
	v_add_co_u32_e64 v5, s[18:19], -1, v3
	v_addc_co_u32_e64 v51, s[18:19], 0, -1, s[18:19]
	v_cmp_ne_u32_e64 s[18:19], 0, v3
	v_xor_b32_e32 v5, s18, v5
	v_xor_b32_e32 v3, s19, v51
	v_and_b32_e32 v51, exec_lo, v5
	v_lshlrev_b32_e32 v5, 30, v2
	v_cmp_gt_i64_e64 s[18:19], 0, v[4:5]
	v_not_b32_e32 v5, v5
	v_ashrrev_i32_e32 v5, 31, v5
	v_xor_b32_e32 v52, s19, v5
	v_xor_b32_e32 v5, s18, v5
	v_and_b32_e32 v51, v51, v5
	v_lshlrev_b32_e32 v5, 29, v2
	v_cmp_gt_i64_e64 s[18:19], 0, v[4:5]
	v_not_b32_e32 v5, v5
	v_and_b32_e32 v3, exec_hi, v3
	v_ashrrev_i32_e32 v5, 31, v5
	v_and_b32_e32 v3, v3, v52
	v_xor_b32_e32 v52, s19, v5
	v_xor_b32_e32 v5, s18, v5
	v_and_b32_e32 v51, v51, v5
	v_lshlrev_b32_e32 v5, 28, v2
	v_cmp_gt_i64_e64 s[18:19], 0, v[4:5]
	v_not_b32_e32 v5, v5
	v_ashrrev_i32_e32 v5, 31, v5
	v_and_b32_e32 v3, v3, v52
	v_xor_b32_e32 v52, s19, v5
	v_xor_b32_e32 v5, s18, v5
	v_and_b32_e32 v51, v51, v5
	v_lshlrev_b32_e32 v5, 27, v2
	v_cmp_gt_i64_e64 s[18:19], 0, v[4:5]
	v_not_b32_e32 v5, v5
	;; [unrolled: 8-line block ×4, first 2 shown]
	v_ashrrev_i32_e32 v5, 31, v5
	v_and_b32_e32 v3, v3, v52
	v_xor_b32_e32 v52, s19, v5
	v_xor_b32_e32 v5, s18, v5
	v_and_b32_e32 v51, v51, v5
	v_lshlrev_b32_e32 v5, 24, v2
	v_not_b32_e32 v2, v5
	v_cmp_gt_i64_e64 s[18:19], 0, v[4:5]
	v_ashrrev_i32_e32 v2, 31, v2
	v_xor_b32_e32 v4, s19, v2
	v_xor_b32_e32 v2, s18, v2
	; wave barrier
	ds_read_b32 v41, v7 offset:64
	v_and_b32_e32 v3, v3, v52
	v_and_b32_e32 v2, v51, v2
	;; [unrolled: 1-line block ×3, first 2 shown]
	v_mbcnt_lo_u32_b32 v4, v2, 0
	v_mbcnt_hi_u32_b32 v51, v3, v4
	v_cmp_eq_u32_e64 s[18:19], 0, v51
	v_cmp_ne_u64_e64 s[20:21], 0, v[2:3]
	v_add_u32_e32 v6, 64, v33
	s_and_b64 s[20:21], s[20:21], s[18:19]
	; wave barrier
	s_and_saveexec_b64 s[18:19], s[20:21]
	s_cbranch_execz .LBB1638_37
; %bb.36:
	v_bcnt_u32_b32 v2, v2, 0
	v_bcnt_u32_b32 v2, v3, v2
	s_waitcnt lgkmcnt(0)
	v_add_u32_e32 v2, v41, v2
	ds_write_b32 v7, v2 offset:64
.LBB1638_37:
	s_or_b64 exec, exec, s[18:19]
	; wave barrier
	s_waitcnt lgkmcnt(0)
	s_barrier
	ds_read2_b32 v[4:5], v33 offset0:16 offset1:17
	ds_read2_b32 v[2:3], v6 offset0:2 offset1:3
	ds_read_b32 v52, v6 offset:16
	v_cmp_lt_u32_e64 s[28:29], 31, v28
	s_waitcnt lgkmcnt(1)
	v_add3_u32 v53, v5, v4, v2
	s_waitcnt lgkmcnt(0)
	v_add3_u32 v52, v53, v3, v52
	v_and_b32_e32 v53, 15, v28
	v_cmp_eq_u32_e64 s[18:19], 0, v53
	v_mov_b32_dpp v54, v52 row_shr:1 row_mask:0xf bank_mask:0xf
	v_cndmask_b32_e64 v54, v54, 0, s[18:19]
	v_add_u32_e32 v52, v54, v52
	v_cmp_lt_u32_e64 s[20:21], 1, v53
	v_cmp_lt_u32_e64 s[22:23], 3, v53
	v_mov_b32_dpp v54, v52 row_shr:2 row_mask:0xf bank_mask:0xf
	v_cndmask_b32_e64 v54, 0, v54, s[20:21]
	v_add_u32_e32 v52, v52, v54
	v_cmp_lt_u32_e64 s[24:25], 7, v53
	s_nop 0
	v_mov_b32_dpp v54, v52 row_shr:4 row_mask:0xf bank_mask:0xf
	v_cndmask_b32_e64 v54, 0, v54, s[22:23]
	v_add_u32_e32 v52, v52, v54
	s_nop 1
	v_mov_b32_dpp v54, v52 row_shr:8 row_mask:0xf bank_mask:0xf
	v_cndmask_b32_e64 v53, 0, v54, s[24:25]
	v_add_u32_e32 v52, v52, v53
	v_bfe_i32 v54, v28, 4, 1
	s_nop 0
	v_mov_b32_dpp v53, v52 row_bcast:15 row_mask:0xf bank_mask:0xf
	v_and_b32_e32 v53, v54, v53
	v_add_u32_e32 v52, v52, v53
	v_and_b32_e32 v54, 63, v10
	s_nop 0
	v_mov_b32_dpp v53, v52 row_bcast:31 row_mask:0xf bank_mask:0xf
	v_cndmask_b32_e64 v53, 0, v53, s[28:29]
	v_add_u32_e32 v52, v52, v53
	v_lshrrev_b32_e32 v53, 6, v10
	v_cmp_eq_u32_e64 s[28:29], 63, v54
	s_and_saveexec_b64 s[50:51], s[28:29]
	s_cbranch_execz .LBB1638_39
; %bb.38:
	v_lshlrev_b32_e32 v54, 2, v53
	ds_write_b32 v54, v52
.LBB1638_39:
	s_or_b64 exec, exec, s[50:51]
	v_cmp_gt_u32_e64 s[28:29], 16, v10
	s_waitcnt lgkmcnt(0)
	s_barrier
	s_and_saveexec_b64 s[50:51], s[28:29]
	s_cbranch_execz .LBB1638_41
; %bb.40:
	v_lshlrev_b32_e32 v54, 2, v10
	ds_read_b32 v55, v54
	s_waitcnt lgkmcnt(0)
	s_nop 0
	v_mov_b32_dpp v56, v55 row_shr:1 row_mask:0xf bank_mask:0xf
	v_cndmask_b32_e64 v56, v56, 0, s[18:19]
	v_add_u32_e32 v55, v56, v55
	s_nop 1
	v_mov_b32_dpp v56, v55 row_shr:2 row_mask:0xf bank_mask:0xf
	v_cndmask_b32_e64 v56, 0, v56, s[20:21]
	v_add_u32_e32 v55, v55, v56
	s_nop 1
	v_mov_b32_dpp v56, v55 row_shr:4 row_mask:0xf bank_mask:0xf
	v_cndmask_b32_e64 v56, 0, v56, s[22:23]
	v_add_u32_e32 v55, v55, v56
	s_nop 1
	v_mov_b32_dpp v56, v55 row_shr:8 row_mask:0xf bank_mask:0xf
	v_cndmask_b32_e64 v56, 0, v56, s[24:25]
	v_add_u32_e32 v55, v55, v56
	ds_write_b32 v54, v55
.LBB1638_41:
	s_or_b64 exec, exec, s[50:51]
	v_cmp_lt_u32_e64 s[18:19], 63, v10
	v_mov_b32_e32 v54, 0
	s_waitcnt lgkmcnt(0)
	s_barrier
	s_and_saveexec_b64 s[20:21], s[18:19]
	s_cbranch_execz .LBB1638_43
; %bb.42:
	v_lshl_add_u32 v53, v53, 2, -4
	ds_read_b32 v54, v53
.LBB1638_43:
	s_or_b64 exec, exec, s[20:21]
	v_add_u32_e32 v53, -1, v28
	v_and_b32_e32 v55, 64, v28
	v_cmp_lt_i32_e64 s[18:19], v53, v55
	v_cndmask_b32_e64 v53, v53, v28, s[18:19]
	s_waitcnt lgkmcnt(0)
	v_add_u32_e32 v52, v54, v52
	v_lshlrev_b32_e32 v53, 2, v53
	ds_bpermute_b32 v52, v53, v52
	v_cmp_eq_u32_e64 s[18:19], 0, v28
	s_waitcnt lgkmcnt(0)
	v_cndmask_b32_e64 v28, v52, v54, s[18:19]
	v_cndmask_b32_e64 v28, v28, 0, s[0:1]
	v_add_u32_e32 v4, v28, v4
	v_add_u32_e32 v5, v4, v5
	;; [unrolled: 1-line block ×4, first 2 shown]
	ds_write2_b32 v33, v28, v4 offset0:16 offset1:17
	ds_write2_b32 v6, v5, v2 offset0:2 offset1:3
	ds_write_b32 v6, v3 offset:16
	s_waitcnt lgkmcnt(0)
	s_barrier
	ds_read_b32 v54, v35 offset:64
	ds_read_b32 v28, v37 offset:64
	;; [unrolled: 1-line block ×8, first 2 shown]
	s_movk_i32 s18, 0x100
	v_cmp_gt_u32_e64 s[18:19], s18, v10
                                        ; implicit-def: $vgpr33
                                        ; implicit-def: $vgpr35
	s_and_saveexec_b64 s[22:23], s[18:19]
	s_cbranch_execz .LBB1638_47
; %bb.44:
	v_mul_u32_u24_e32 v2, 17, v10
	v_lshlrev_b32_e32 v3, 2, v2
	ds_read_b32 v33, v3 offset:64
	s_movk_i32 s20, 0xff
	v_cmp_ne_u32_e64 s[20:21], s20, v10
	v_mov_b32_e32 v2, 0x2000
	s_and_saveexec_b64 s[24:25], s[20:21]
	s_cbranch_execz .LBB1638_46
; %bb.45:
	ds_read_b32 v2, v3 offset:132
.LBB1638_46:
	s_or_b64 exec, exec, s[24:25]
	s_waitcnt lgkmcnt(0)
	v_sub_u32_e32 v35, v2, v33
.LBB1638_47:
	s_or_b64 exec, exec, s[22:23]
	s_waitcnt lgkmcnt(0)
	s_barrier
	s_and_saveexec_b64 s[22:23], s[18:19]
	s_cbranch_execz .LBB1638_57
; %bb.48:
	v_lshl_or_b32 v2, s33, 8, v10
	v_mov_b32_e32 v3, 0
	v_lshlrev_b64 v[4:5], 2, v[2:3]
	v_mov_b32_e32 v37, s31
	v_add_co_u32_e64 v4, s[20:21], s30, v4
	v_addc_co_u32_e64 v5, s[20:21], v37, v5, s[20:21]
	v_or_b32_e32 v2, 2.0, v35
	s_mov_b64 s[24:25], 0
	s_brev_b32 s54, 1
	s_mov_b32 s55, s33
	v_mov_b32_e32 v40, 0
	global_store_dword v[4:5], v2, off
                                        ; implicit-def: $sgpr20_sgpr21
	s_branch .LBB1638_50
.LBB1638_49:                            ;   in Loop: Header=BB1638_50 Depth=1
	s_or_b64 exec, exec, s[28:29]
	v_and_b32_e32 v6, 0x3fffffff, v55
	v_add_u32_e32 v40, v6, v40
	v_cmp_eq_u32_e64 s[20:21], s54, v2
	s_and_b64 s[28:29], exec, s[20:21]
	s_or_b64 s[24:25], s[28:29], s[24:25]
	s_andn2_b64 exec, exec, s[24:25]
	s_cbranch_execz .LBB1638_56
.LBB1638_50:                            ; =>This Loop Header: Depth=1
                                        ;     Child Loop BB1638_53 Depth 2
	s_or_b64 s[20:21], s[20:21], exec
	s_cmp_eq_u32 s55, 0
	s_cbranch_scc1 .LBB1638_55
; %bb.51:                               ;   in Loop: Header=BB1638_50 Depth=1
	s_add_i32 s55, s55, -1
	v_lshl_or_b32 v2, s55, 8, v10
	v_lshlrev_b64 v[6:7], 2, v[2:3]
	v_add_co_u32_e64 v6, s[20:21], s30, v6
	v_addc_co_u32_e64 v7, s[20:21], v37, v7, s[20:21]
	global_load_dword v55, v[6:7], off glc
	s_waitcnt vmcnt(0)
	v_and_b32_e32 v2, -2.0, v55
	v_cmp_eq_u32_e64 s[20:21], 0, v2
	s_and_saveexec_b64 s[28:29], s[20:21]
	s_cbranch_execz .LBB1638_49
; %bb.52:                               ;   in Loop: Header=BB1638_50 Depth=1
	s_mov_b64 s[50:51], 0
.LBB1638_53:                            ;   Parent Loop BB1638_50 Depth=1
                                        ; =>  This Inner Loop Header: Depth=2
	global_load_dword v55, v[6:7], off glc
	s_waitcnt vmcnt(0)
	v_and_b32_e32 v2, -2.0, v55
	v_cmp_ne_u32_e64 s[20:21], 0, v2
	s_or_b64 s[50:51], s[20:21], s[50:51]
	s_andn2_b64 exec, exec, s[50:51]
	s_cbranch_execnz .LBB1638_53
; %bb.54:                               ;   in Loop: Header=BB1638_50 Depth=1
	s_or_b64 exec, exec, s[50:51]
	s_branch .LBB1638_49
.LBB1638_55:                            ;   in Loop: Header=BB1638_50 Depth=1
                                        ; implicit-def: $sgpr55
	s_and_b64 s[28:29], exec, s[20:21]
	s_or_b64 s[24:25], s[28:29], s[24:25]
	s_andn2_b64 exec, exec, s[24:25]
	s_cbranch_execnz .LBB1638_50
.LBB1638_56:
	s_or_b64 exec, exec, s[24:25]
	v_add_u32_e32 v2, v40, v35
	v_or_b32_e32 v2, 0x80000000, v2
	global_store_dword v[4:5], v2, off
	v_lshlrev_b32_e32 v2, 2, v10
	global_load_dword v3, v2, s[44:45]
	v_sub_u32_e32 v4, v40, v33
	s_waitcnt vmcnt(0)
	v_add_u32_e32 v3, v4, v3
	ds_write_b32 v2, v3
.LBB1638_57:
	s_or_b64 exec, exec, s[22:23]
	s_mov_b32 s24, -1
	v_add_u32_e32 v37, v54, v29
	s_movk_i32 s50, 0x400
	v_add_u32_e32 v40, 0x400, v11
	v_add3_u32 v41, v51, v50, v41
	v_add3_u32 v44, v49, v44, v9
	;; [unrolled: 1-line block ×7, first 2 shown]
	s_mov_b32 s51, 0
	s_brev_b32 s25, -2
	v_mov_b32_e32 v29, 0
	v_bfrev_b32_e32 v34, 1
	v_mov_b32_e32 v38, v10
	s_mov_b32 s54, 0
                                        ; implicit-def: $vgpr2_vgpr3_vgpr4_vgpr5_vgpr6_vgpr7_vgpr8_vgpr9
	s_branch .LBB1638_59
.LBB1638_58:                            ;   in Loop: Header=BB1638_59 Depth=1
	s_or_b64 exec, exec, s[28:29]
	s_addk_i32 s54, 0xf800
	s_add_i32 s51, s51, 2
	s_cmpk_eq_i32 s54, 0xe000
	v_add_u32_e32 v38, 0x800, v38
	s_barrier
	s_cbranch_scc1 .LBB1638_64
.LBB1638_59:                            ; =>This Inner Loop Header: Depth=1
	v_add_u32_e32 v28, s54, v37
	v_min_u32_e32 v28, 0x800, v28
	v_lshlrev_b32_e32 v28, 3, v28
	ds_write_b64 v28, v[12:13] offset:1024
	v_add_u32_e32 v28, s54, v32
	v_min_u32_e32 v28, 0x800, v28
	v_lshlrev_b32_e32 v28, 3, v28
	ds_write_b64 v28, v[14:15] offset:1024
	;; [unrolled: 4-line block ×7, first 2 shown]
	v_add_u32_e32 v28, s54, v41
	v_min_u32_e32 v28, 0x800, v28
	v_lshlrev_b32_e32 v28, 3, v28
	v_cmp_gt_u32_e64 s[20:21], s7, v38
	ds_write_b64 v28, v[26:27] offset:1024
	s_waitcnt lgkmcnt(0)
	s_barrier
	s_and_saveexec_b64 s[28:29], s[20:21]
	s_cbranch_execz .LBB1638_61
; %bb.60:                               ;   in Loop: Header=BB1638_59 Depth=1
	ds_read_b64 v[48:49], v11 offset:1024
	v_mov_b32_e32 v42, s39
	s_cmp_eq_u32 s51, 7
	s_waitcnt lgkmcnt(0)
	v_cmp_ne_u64_e64 s[20:21], s[24:25], v[48:49]
	v_cndmask_b32_e64 v51, v34, v49, s[20:21]
	v_cndmask_b32_e64 v50, 0, v48, s[20:21]
	v_lshrrev_b64 v[50:51], s48, v[50:51]
	v_and_b32_e32 v45, s53, v50
	v_lshlrev_b32_e32 v47, 2, v45
	ds_read_b32 v47, v47
	v_cmp_lt_i64_e64 s[22:23], -1, v[48:49]
	v_cndmask_b32_e64 v28, v34, -1, s[22:23]
	v_ashrrev_i32_e32 v50, 31, v49
	v_not_b32_e32 v50, v50
	v_xor_b32_e32 v49, v28, v49
	s_waitcnt lgkmcnt(0)
	v_add_u32_e32 v28, v38, v47
	v_xor_b32_e32 v48, v50, v48
	v_lshlrev_b64 v[50:51], 3, v[28:29]
	v_add_co_u32_e64 v50, s[20:21], s38, v50
	v_addc_co_u32_e64 v51, s[20:21], v42, v51, s[20:21]
	s_cselect_b64 s[20:21], -1, 0
	s_cmp_eq_u32 s51, 6
	v_cndmask_b32_e64 v9, v9, v45, s[20:21]
	s_cselect_b64 s[20:21], -1, 0
	s_cmp_eq_u32 s51, 5
	v_cndmask_b32_e64 v8, v8, v45, s[20:21]
	;; [unrolled: 3-line block ×7, first 2 shown]
	s_cselect_b64 s[20:21], -1, 0
	v_cndmask_b32_e64 v2, v2, v45, s[20:21]
	global_store_dwordx2 v[50:51], v[48:49], off
.LBB1638_61:                            ;   in Loop: Header=BB1638_59 Depth=1
	s_or_b64 exec, exec, s[28:29]
	v_add_u32_e32 v28, 0x400, v38
	v_cmp_gt_u32_e64 s[20:21], s7, v28
	s_and_saveexec_b64 s[28:29], s[20:21]
	s_cbranch_execz .LBB1638_58
; %bb.62:                               ;   in Loop: Header=BB1638_59 Depth=1
	ds_read_b64 v[48:49], v40 offset:8192
	v_mov_b32_e32 v42, s39
	s_waitcnt lgkmcnt(0)
	v_cmp_ne_u64_e64 s[20:21], s[24:25], v[48:49]
	v_cndmask_b32_e64 v51, v34, v49, s[20:21]
	v_cndmask_b32_e64 v50, 0, v48, s[20:21]
	v_lshrrev_b64 v[50:51], s48, v[50:51]
	v_and_b32_e32 v45, s53, v50
	v_lshlrev_b32_e32 v47, 2, v45
	ds_read_b32 v47, v47
	v_cmp_lt_i64_e64 s[22:23], -1, v[48:49]
	v_cndmask_b32_e64 v28, v34, -1, s[22:23]
	v_ashrrev_i32_e32 v50, 31, v49
	v_not_b32_e32 v50, v50
	v_xor_b32_e32 v49, v28, v49
	s_waitcnt lgkmcnt(0)
	v_add3_u32 v28, v38, v47, s50
	v_xor_b32_e32 v48, v50, v48
	v_lshlrev_b64 v[50:51], 3, v[28:29]
	v_add_co_u32_e64 v50, s[20:21], s38, v50
	s_add_i32 s22, s51, 1
	v_addc_co_u32_e64 v51, s[20:21], v42, v51, s[20:21]
	s_cmp_eq_u32 s22, 7
	s_cselect_b64 s[20:21], -1, 0
	s_cmp_eq_u32 s22, 6
	v_cndmask_b32_e64 v9, v9, v45, s[20:21]
	s_cselect_b64 s[20:21], -1, 0
	s_cmp_eq_u32 s22, 5
	v_cndmask_b32_e64 v8, v8, v45, s[20:21]
	;; [unrolled: 3-line block ×7, first 2 shown]
	s_cselect_b64 s[20:21], -1, 0
	v_cndmask_b32_e64 v2, v2, v45, s[20:21]
	global_store_dwordx2 v[50:51], v[48:49], off
	s_branch .LBB1638_58
.LBB1638_63:
	s_mov_b64 s[10:11], 0
                                        ; implicit-def: $vgpr2
	s_cbranch_execnz .LBB1638_82
	s_branch .LBB1638_125
.LBB1638_64:
	s_add_u32 s20, s40, s34
	s_addc_u32 s21, s41, s35
	v_mov_b32_e32 v12, s21
	v_add_co_u32_e64 v13, s[20:21], s20, v30
	v_addc_co_u32_e64 v12, s[20:21], 0, v12, s[20:21]
	v_add_co_u32_e64 v28, s[20:21], v13, v31
	v_addc_co_u32_e64 v29, s[20:21], 0, v12, s[20:21]
                                        ; implicit-def: $vgpr12_vgpr13
	s_and_saveexec_b64 s[20:21], vcc
	s_cbranch_execnz .LBB1638_128
; %bb.65:
	s_or_b64 exec, exec, s[20:21]
                                        ; implicit-def: $vgpr14_vgpr15
	s_and_saveexec_b64 s[20:21], s[2:3]
	s_cbranch_execnz .LBB1638_129
.LBB1638_66:
	s_or_b64 exec, exec, s[20:21]
                                        ; implicit-def: $vgpr16_vgpr17
	s_and_saveexec_b64 s[2:3], s[26:27]
	s_cbranch_execnz .LBB1638_130
.LBB1638_67:
	s_or_b64 exec, exec, s[2:3]
                                        ; implicit-def: $vgpr18_vgpr19
	s_and_saveexec_b64 s[2:3], s[8:9]
	s_cbranch_execnz .LBB1638_131
.LBB1638_68:
	s_or_b64 exec, exec, s[2:3]
                                        ; implicit-def: $vgpr20_vgpr21
	s_and_saveexec_b64 s[2:3], s[10:11]
	s_cbranch_execnz .LBB1638_132
.LBB1638_69:
	s_or_b64 exec, exec, s[2:3]
                                        ; implicit-def: $vgpr22_vgpr23
	s_and_saveexec_b64 s[2:3], s[12:13]
	s_cbranch_execnz .LBB1638_133
.LBB1638_70:
	s_or_b64 exec, exec, s[2:3]
                                        ; implicit-def: $vgpr24_vgpr25
	s_and_saveexec_b64 s[2:3], s[14:15]
	s_cbranch_execnz .LBB1638_134
.LBB1638_71:
	s_or_b64 exec, exec, s[2:3]
                                        ; implicit-def: $vgpr26_vgpr27
	s_and_saveexec_b64 s[2:3], s[16:17]
	s_cbranch_execz .LBB1638_73
.LBB1638_72:
	global_load_dwordx2 v[26:27], v[28:29], off offset:3584
.LBB1638_73:
	s_or_b64 exec, exec, s[2:3]
	s_mov_b32 s8, 0
	v_mov_b32_e32 v29, 0
	s_movk_i32 s9, 0x400
	s_mov_b32 s10, 0
	v_mov_b32_e32 v30, v10
	s_waitcnt vmcnt(0)
	s_branch .LBB1638_75
.LBB1638_74:                            ;   in Loop: Header=BB1638_75 Depth=1
	s_or_b64 exec, exec, s[2:3]
	s_addk_i32 s10, 0xf800
	s_add_i32 s8, s8, 2
	s_cmpk_eq_i32 s10, 0xe000
	v_add_u32_e32 v30, 0x800, v30
	s_barrier
	s_cbranch_scc1 .LBB1638_79
.LBB1638_75:                            ; =>This Inner Loop Header: Depth=1
	v_add_u32_e32 v28, s10, v37
	v_min_u32_e32 v28, 0x800, v28
	v_lshlrev_b32_e32 v28, 3, v28
	ds_write_b64 v28, v[12:13] offset:1024
	v_add_u32_e32 v28, s10, v32
	v_min_u32_e32 v28, 0x800, v28
	v_lshlrev_b32_e32 v28, 3, v28
	ds_write_b64 v28, v[14:15] offset:1024
	v_add_u32_e32 v28, s10, v36
	v_min_u32_e32 v28, 0x800, v28
	v_lshlrev_b32_e32 v28, 3, v28
	ds_write_b64 v28, v[16:17] offset:1024
	v_add_u32_e32 v28, s10, v39
	v_min_u32_e32 v28, 0x800, v28
	v_lshlrev_b32_e32 v28, 3, v28
	ds_write_b64 v28, v[18:19] offset:1024
	v_add_u32_e32 v28, s10, v43
	v_min_u32_e32 v28, 0x800, v28
	v_lshlrev_b32_e32 v28, 3, v28
	ds_write_b64 v28, v[20:21] offset:1024
	v_add_u32_e32 v28, s10, v46
	v_min_u32_e32 v28, 0x800, v28
	v_lshlrev_b32_e32 v28, 3, v28
	ds_write_b64 v28, v[22:23] offset:1024
	v_add_u32_e32 v28, s10, v44
	v_min_u32_e32 v28, 0x800, v28
	v_lshlrev_b32_e32 v28, 3, v28
	ds_write_b64 v28, v[24:25] offset:1024
	v_add_u32_e32 v28, s10, v41
	v_min_u32_e32 v28, 0x800, v28
	v_lshlrev_b32_e32 v28, 3, v28
	v_cmp_gt_u32_e32 vcc, s7, v30
	ds_write_b64 v28, v[26:27] offset:1024
	s_waitcnt lgkmcnt(0)
	s_barrier
	s_and_saveexec_b64 s[2:3], vcc
	s_cbranch_execz .LBB1638_77
; %bb.76:                               ;   in Loop: Header=BB1638_75 Depth=1
	s_cmp_eq_u32 s8, 1
	s_cselect_b64 vcc, -1, 0
	s_cmp_eq_u32 s8, 2
	v_cndmask_b32_e32 v28, v2, v3, vcc
	s_cselect_b64 vcc, -1, 0
	s_cmp_eq_u32 s8, 3
	v_cndmask_b32_e32 v28, v28, v4, vcc
	;; [unrolled: 3-line block ×6, first 2 shown]
	s_cselect_b64 vcc, -1, 0
	v_cndmask_b32_e32 v28, v28, v9, vcc
	v_lshlrev_b32_e32 v28, 2, v28
	ds_read_b32 v28, v28
	ds_read_b64 v[48:49], v11 offset:1024
	s_waitcnt lgkmcnt(1)
	v_add_u32_e32 v28, v30, v28
	v_lshlrev_b64 v[50:51], 3, v[28:29]
	v_mov_b32_e32 v28, s43
	v_add_co_u32_e32 v50, vcc, s42, v50
	v_addc_co_u32_e32 v51, vcc, v28, v51, vcc
	s_waitcnt lgkmcnt(0)
	global_store_dwordx2 v[50:51], v[48:49], off
.LBB1638_77:                            ;   in Loop: Header=BB1638_75 Depth=1
	s_or_b64 exec, exec, s[2:3]
	v_add_u32_e32 v28, 0x400, v30
	v_cmp_gt_u32_e32 vcc, s7, v28
	s_and_saveexec_b64 s[2:3], vcc
	s_cbranch_execz .LBB1638_74
; %bb.78:                               ;   in Loop: Header=BB1638_75 Depth=1
	s_add_i32 s11, s8, 1
	s_cmp_eq_u32 s11, 1
	s_cselect_b64 vcc, -1, 0
	s_cmp_eq_u32 s11, 2
	v_cndmask_b32_e32 v28, v2, v3, vcc
	s_cselect_b64 vcc, -1, 0
	s_cmp_eq_u32 s11, 3
	v_cndmask_b32_e32 v28, v28, v4, vcc
	;; [unrolled: 3-line block ×6, first 2 shown]
	s_cselect_b64 vcc, -1, 0
	v_cndmask_b32_e32 v28, v28, v9, vcc
	v_lshlrev_b32_e32 v28, 2, v28
	ds_read_b32 v28, v28
	ds_read_b64 v[48:49], v40 offset:8192
	s_waitcnt lgkmcnt(1)
	v_add3_u32 v28, v30, v28, s9
	v_lshlrev_b64 v[50:51], 3, v[28:29]
	v_mov_b32_e32 v28, s43
	v_add_co_u32_e32 v50, vcc, s42, v50
	v_addc_co_u32_e32 v51, vcc, v28, v51, vcc
	s_waitcnt lgkmcnt(0)
	global_store_dwordx2 v[50:51], v[48:49], off
	s_branch .LBB1638_74
.LBB1638_79:
	s_add_i32 s52, s52, -1
	s_cmp_eq_u32 s52, s33
	s_cselect_b64 s[2:3], -1, 0
	s_and_b64 s[8:9], s[18:19], s[2:3]
	s_mov_b64 s[2:3], 0
	s_mov_b64 s[10:11], 0
                                        ; implicit-def: $vgpr2
	s_and_saveexec_b64 s[12:13], s[8:9]
	s_xor_b64 s[8:9], exec, s[12:13]
; %bb.80:
	s_mov_b64 s[10:11], exec
	v_add_u32_e32 v2, v33, v35
; %bb.81:
	s_or_b64 exec, exec, s[8:9]
	s_and_b64 vcc, exec, s[2:3]
	s_cbranch_vccz .LBB1638_125
.LBB1638_82:
	s_lshl_b32 s2, s33, 13
	s_mov_b32 s3, 0
	s_lshl_b64 s[12:13], s[2:3], 3
	v_mbcnt_hi_u32_b32 v22, -1, v1
	s_add_u32 s2, s36, s12
	v_and_b32_e32 v1, 63, v22
	s_addc_u32 s3, s37, s13
	v_lshlrev_b32_e32 v24, 3, v1
	v_and_b32_e32 v2, 0x1e00, v11
	v_mov_b32_e32 v1, s3
	v_add_co_u32_e32 v3, vcc, s2, v24
	s_load_dword s16, s[4:5], 0x58
	s_load_dword s2, s[4:5], 0x64
	v_addc_co_u32_e32 v1, vcc, 0, v1, vcc
	v_lshlrev_b32_e32 v25, 3, v2
	v_add_co_u32_e32 v20, vcc, v3, v25
	v_addc_co_u32_e32 v21, vcc, 0, v1, vcc
	global_load_dwordx2 v[28:29], v[20:21], off
	s_add_u32 s3, s4, 0x58
	s_addc_u32 s4, s5, 0
	s_waitcnt lgkmcnt(0)
	s_lshr_b32 s7, s2, 16
	s_cmp_lt_u32 s6, s16
	s_cselect_b32 s2, 12, 18
	s_add_u32 s2, s3, s2
	v_mov_b32_e32 v4, 0
	s_addc_u32 s3, s4, 0
	global_load_ushort v5, v4, s[2:3]
	v_mul_u32_u24_e32 v2, 5, v10
	v_lshlrev_b32_e32 v23, 2, v2
	ds_write2_b32 v23, v4, v4 offset0:16 offset1:17
	ds_write2_b32 v23, v4, v4 offset0:18 offset1:19
	ds_write_b32 v23, v4 offset:80
	global_load_dwordx2 v[2:3], v[20:21], off offset:512
	global_load_dwordx2 v[18:19], v[20:21], off offset:1024
	;; [unrolled: 1-line block ×7, first 2 shown]
	v_bfrev_b32_e32 v27, 1
	v_bfe_u32 v1, v0, 10, 10
	v_bfe_u32 v0, v0, 20, 10
	s_mov_b32 s4, -1
	v_mad_u32_u24 v26, v0, s7, v1
	s_brev_b32 s5, -2
	s_lshl_b32 s2, -1, s49
	s_not_b32 s17, s2
	s_waitcnt lgkmcnt(0)
	s_barrier
	s_waitcnt lgkmcnt(0)
	; wave barrier
	s_waitcnt vmcnt(8)
	v_cmp_lt_i64_e32 vcc, -1, v[28:29]
	v_cndmask_b32_e32 v0, -1, v27, vcc
	v_ashrrev_i32_e32 v20, 31, v29
	v_xor_b32_e32 v1, v0, v29
	v_xor_b32_e32 v0, v20, v28
	v_cmp_ne_u64_e32 vcc, s[4:5], v[0:1]
	v_cndmask_b32_e32 v21, v27, v1, vcc
	v_cndmask_b32_e32 v20, 0, v0, vcc
	v_lshrrev_b64 v[20:21], s48, v[20:21]
	s_waitcnt vmcnt(7)
	v_mad_u64_u32 v[28:29], s[2:3], v26, v5, v[10:11]
	v_and_b32_e32 v20, s17, v20
	v_lshrrev_b32_e32 v34, 6, v28
	v_lshl_add_u32 v21, v20, 4, v20
	v_and_b32_e32 v26, 1, v20
	v_add_lshl_u32 v28, v34, v21, 2
	v_add_co_u32_e32 v21, vcc, -1, v26
	v_lshlrev_b32_e32 v5, 30, v20
	v_addc_co_u32_e64 v29, s[2:3], 0, -1, vcc
	v_cmp_ne_u32_e32 vcc, 0, v26
	v_cmp_gt_i64_e64 s[2:3], 0, v[4:5]
	v_not_b32_e32 v26, v5
	v_lshlrev_b32_e32 v5, 29, v20
	v_xor_b32_e32 v29, vcc_hi, v29
	v_xor_b32_e32 v21, vcc_lo, v21
	v_ashrrev_i32_e32 v26, 31, v26
	v_cmp_gt_i64_e32 vcc, 0, v[4:5]
	v_not_b32_e32 v30, v5
	v_lshlrev_b32_e32 v5, 28, v20
	v_and_b32_e32 v29, exec_hi, v29
	v_and_b32_e32 v21, exec_lo, v21
	v_xor_b32_e32 v31, s3, v26
	v_xor_b32_e32 v26, s2, v26
	v_ashrrev_i32_e32 v30, 31, v30
	v_cmp_gt_i64_e64 s[2:3], 0, v[4:5]
	v_not_b32_e32 v5, v5
	v_and_b32_e32 v29, v29, v31
	v_and_b32_e32 v21, v21, v26
	v_xor_b32_e32 v26, vcc_hi, v30
	v_xor_b32_e32 v30, vcc_lo, v30
	v_ashrrev_i32_e32 v5, 31, v5
	v_and_b32_e32 v26, v29, v26
	v_and_b32_e32 v21, v21, v30
	v_xor_b32_e32 v29, s3, v5
	v_xor_b32_e32 v5, s2, v5
	v_and_b32_e32 v21, v21, v5
	v_lshlrev_b32_e32 v5, 27, v20
	v_cmp_gt_i64_e32 vcc, 0, v[4:5]
	v_not_b32_e32 v5, v5
	v_ashrrev_i32_e32 v5, 31, v5
	v_and_b32_e32 v26, v26, v29
	v_xor_b32_e32 v29, vcc_hi, v5
	v_xor_b32_e32 v5, vcc_lo, v5
	v_and_b32_e32 v21, v21, v5
	v_lshlrev_b32_e32 v5, 26, v20
	v_cmp_gt_i64_e32 vcc, 0, v[4:5]
	v_not_b32_e32 v5, v5
	v_ashrrev_i32_e32 v5, 31, v5
	v_and_b32_e32 v26, v26, v29
	v_xor_b32_e32 v29, vcc_hi, v5
	v_xor_b32_e32 v5, vcc_lo, v5
	;; [unrolled: 8-line block ×3, first 2 shown]
	v_and_b32_e32 v26, v26, v29
	v_and_b32_e32 v29, v21, v5
	v_lshlrev_b32_e32 v5, 24, v20
	v_cmp_gt_i64_e32 vcc, 0, v[4:5]
	v_not_b32_e32 v5, v5
	v_ashrrev_i32_e32 v5, 31, v5
	v_xor_b32_e32 v20, vcc_hi, v5
	v_xor_b32_e32 v5, vcc_lo, v5
	v_and_b32_e32 v21, v26, v20
	v_and_b32_e32 v20, v29, v5
	v_mbcnt_lo_u32_b32 v5, v20, 0
	v_mbcnt_hi_u32_b32 v26, v21, v5
	v_cmp_eq_u32_e32 vcc, 0, v26
	v_cmp_ne_u64_e64 s[2:3], 0, v[20:21]
	s_and_b64 s[6:7], s[2:3], vcc
	s_and_saveexec_b64 s[2:3], s[6:7]
	s_cbranch_execz .LBB1638_84
; %bb.83:
	v_bcnt_u32_b32 v5, v20, 0
	v_bcnt_u32_b32 v5, v21, v5
	ds_write_b32 v28, v5 offset:64
.LBB1638_84:
	s_or_b64 exec, exec, s[2:3]
	s_waitcnt vmcnt(6)
	v_cmp_lt_i64_e32 vcc, -1, v[2:3]
	v_cndmask_b32_e32 v5, -1, v27, vcc
	v_ashrrev_i32_e32 v20, 31, v3
	v_xor_b32_e32 v3, v5, v3
	v_xor_b32_e32 v2, v20, v2
	v_cmp_ne_u64_e32 vcc, s[4:5], v[2:3]
	v_cndmask_b32_e32 v21, v27, v3, vcc
	v_cndmask_b32_e32 v20, 0, v2, vcc
	v_lshrrev_b64 v[20:21], s48, v[20:21]
	v_and_b32_e32 v20, s17, v20
	v_lshl_add_u32 v5, v20, 4, v20
	v_add_lshl_u32 v31, v34, v5, 2
	v_and_b32_e32 v5, 1, v20
	v_add_co_u32_e32 v21, vcc, -1, v5
	v_addc_co_u32_e64 v29, s[2:3], 0, -1, vcc
	v_cmp_ne_u32_e32 vcc, 0, v5
	v_xor_b32_e32 v5, vcc_hi, v29
	v_and_b32_e32 v29, exec_hi, v5
	v_lshlrev_b32_e32 v5, 30, v20
	v_xor_b32_e32 v21, vcc_lo, v21
	v_cmp_gt_i64_e32 vcc, 0, v[4:5]
	v_not_b32_e32 v5, v5
	v_ashrrev_i32_e32 v5, 31, v5
	v_and_b32_e32 v21, exec_lo, v21
	v_xor_b32_e32 v30, vcc_hi, v5
	v_xor_b32_e32 v5, vcc_lo, v5
	v_and_b32_e32 v21, v21, v5
	v_lshlrev_b32_e32 v5, 29, v20
	v_cmp_gt_i64_e32 vcc, 0, v[4:5]
	v_not_b32_e32 v5, v5
	v_ashrrev_i32_e32 v5, 31, v5
	v_and_b32_e32 v29, v29, v30
	v_xor_b32_e32 v30, vcc_hi, v5
	v_xor_b32_e32 v5, vcc_lo, v5
	v_and_b32_e32 v21, v21, v5
	v_lshlrev_b32_e32 v5, 28, v20
	v_cmp_gt_i64_e32 vcc, 0, v[4:5]
	v_not_b32_e32 v5, v5
	v_ashrrev_i32_e32 v5, 31, v5
	v_and_b32_e32 v29, v29, v30
	;; [unrolled: 8-line block ×5, first 2 shown]
	v_xor_b32_e32 v30, vcc_hi, v5
	v_xor_b32_e32 v5, vcc_lo, v5
	v_and_b32_e32 v21, v21, v5
	v_lshlrev_b32_e32 v5, 24, v20
	v_cmp_gt_i64_e32 vcc, 0, v[4:5]
	v_not_b32_e32 v4, v5
	v_ashrrev_i32_e32 v4, 31, v4
	v_xor_b32_e32 v5, vcc_hi, v4
	v_xor_b32_e32 v4, vcc_lo, v4
	; wave barrier
	ds_read_b32 v27, v31 offset:64
	v_and_b32_e32 v29, v29, v30
	v_and_b32_e32 v4, v21, v4
	;; [unrolled: 1-line block ×3, first 2 shown]
	v_mbcnt_lo_u32_b32 v20, v4, 0
	v_mbcnt_hi_u32_b32 v29, v5, v20
	v_cmp_eq_u32_e32 vcc, 0, v29
	v_cmp_ne_u64_e64 s[2:3], 0, v[4:5]
	s_and_b64 s[4:5], s[2:3], vcc
	; wave barrier
	s_and_saveexec_b64 s[2:3], s[4:5]
	s_cbranch_execz .LBB1638_86
; %bb.85:
	v_bcnt_u32_b32 v4, v4, 0
	v_bcnt_u32_b32 v4, v5, v4
	s_waitcnt lgkmcnt(0)
	v_add_u32_e32 v4, v27, v4
	ds_write_b32 v31, v4 offset:64
.LBB1638_86:
	s_or_b64 exec, exec, s[2:3]
	v_bfrev_b32_e32 v33, 1
	s_waitcnt vmcnt(5)
	v_cmp_lt_i64_e32 vcc, -1, v[18:19]
	s_mov_b32 s4, -1
	v_cndmask_b32_e32 v4, -1, v33, vcc
	v_ashrrev_i32_e32 v20, 31, v19
	s_brev_b32 s5, -2
	v_xor_b32_e32 v5, v4, v19
	v_xor_b32_e32 v4, v20, v18
	v_cmp_ne_u64_e32 vcc, s[4:5], v[4:5]
	v_cndmask_b32_e32 v21, v33, v5, vcc
	v_cndmask_b32_e32 v20, 0, v4, vcc
	v_lshrrev_b64 v[20:21], s48, v[20:21]
	v_and_b32_e32 v20, s17, v20
	v_lshl_add_u32 v19, v20, 4, v20
	v_add_lshl_u32 v35, v34, v19, 2
	v_and_b32_e32 v19, 1, v20
	v_add_co_u32_e32 v21, vcc, -1, v19
	v_addc_co_u32_e64 v32, s[2:3], 0, -1, vcc
	v_cmp_ne_u32_e32 vcc, 0, v19
	v_xor_b32_e32 v19, vcc_hi, v32
	v_mov_b32_e32 v18, 0
	v_and_b32_e32 v32, exec_hi, v19
	v_lshlrev_b32_e32 v19, 30, v20
	v_xor_b32_e32 v21, vcc_lo, v21
	v_cmp_gt_i64_e32 vcc, 0, v[18:19]
	v_not_b32_e32 v19, v19
	v_ashrrev_i32_e32 v19, 31, v19
	v_and_b32_e32 v21, exec_lo, v21
	v_xor_b32_e32 v36, vcc_hi, v19
	v_xor_b32_e32 v19, vcc_lo, v19
	v_and_b32_e32 v21, v21, v19
	v_lshlrev_b32_e32 v19, 29, v20
	v_cmp_gt_i64_e32 vcc, 0, v[18:19]
	v_not_b32_e32 v19, v19
	v_ashrrev_i32_e32 v19, 31, v19
	v_and_b32_e32 v32, v32, v36
	v_xor_b32_e32 v36, vcc_hi, v19
	v_xor_b32_e32 v19, vcc_lo, v19
	v_and_b32_e32 v21, v21, v19
	v_lshlrev_b32_e32 v19, 28, v20
	v_cmp_gt_i64_e32 vcc, 0, v[18:19]
	v_not_b32_e32 v19, v19
	v_ashrrev_i32_e32 v19, 31, v19
	v_and_b32_e32 v32, v32, v36
	;; [unrolled: 8-line block ×5, first 2 shown]
	v_xor_b32_e32 v36, vcc_hi, v19
	v_xor_b32_e32 v19, vcc_lo, v19
	v_and_b32_e32 v32, v32, v36
	v_and_b32_e32 v36, v21, v19
	v_lshlrev_b32_e32 v19, 24, v20
	v_cmp_gt_i64_e32 vcc, 0, v[18:19]
	v_not_b32_e32 v19, v19
	v_ashrrev_i32_e32 v19, 31, v19
	v_xor_b32_e32 v20, vcc_hi, v19
	v_xor_b32_e32 v19, vcc_lo, v19
	; wave barrier
	ds_read_b32 v30, v35 offset:64
	v_and_b32_e32 v21, v32, v20
	v_and_b32_e32 v20, v36, v19
	v_mbcnt_lo_u32_b32 v19, v20, 0
	v_mbcnt_hi_u32_b32 v32, v21, v19
	v_cmp_eq_u32_e32 vcc, 0, v32
	v_cmp_ne_u64_e64 s[2:3], 0, v[20:21]
	s_and_b64 s[6:7], s[2:3], vcc
	; wave barrier
	s_and_saveexec_b64 s[2:3], s[6:7]
	s_cbranch_execz .LBB1638_88
; %bb.87:
	v_bcnt_u32_b32 v19, v20, 0
	v_bcnt_u32_b32 v19, v21, v19
	s_waitcnt lgkmcnt(0)
	v_add_u32_e32 v19, v30, v19
	ds_write_b32 v35, v19 offset:64
.LBB1638_88:
	s_or_b64 exec, exec, s[2:3]
	s_waitcnt vmcnt(4)
	v_cmp_lt_i64_e32 vcc, -1, v[6:7]
	v_cndmask_b32_e32 v19, -1, v33, vcc
	v_ashrrev_i32_e32 v20, 31, v7
	v_xor_b32_e32 v7, v19, v7
	v_xor_b32_e32 v6, v20, v6
	v_cmp_ne_u64_e32 vcc, s[4:5], v[6:7]
	v_cndmask_b32_e32 v21, v33, v7, vcc
	v_cndmask_b32_e32 v20, 0, v6, vcc
	v_lshrrev_b64 v[20:21], s48, v[20:21]
	v_and_b32_e32 v20, s17, v20
	v_lshl_add_u32 v19, v20, 4, v20
	v_add_lshl_u32 v38, v34, v19, 2
	v_and_b32_e32 v19, 1, v20
	v_add_co_u32_e32 v21, vcc, -1, v19
	v_addc_co_u32_e64 v36, s[2:3], 0, -1, vcc
	v_cmp_ne_u32_e32 vcc, 0, v19
	v_xor_b32_e32 v19, vcc_hi, v36
	v_and_b32_e32 v36, exec_hi, v19
	v_lshlrev_b32_e32 v19, 30, v20
	v_xor_b32_e32 v21, vcc_lo, v21
	v_cmp_gt_i64_e32 vcc, 0, v[18:19]
	v_not_b32_e32 v19, v19
	v_ashrrev_i32_e32 v19, 31, v19
	v_and_b32_e32 v21, exec_lo, v21
	v_xor_b32_e32 v37, vcc_hi, v19
	v_xor_b32_e32 v19, vcc_lo, v19
	v_and_b32_e32 v21, v21, v19
	v_lshlrev_b32_e32 v19, 29, v20
	v_cmp_gt_i64_e32 vcc, 0, v[18:19]
	v_not_b32_e32 v19, v19
	v_ashrrev_i32_e32 v19, 31, v19
	v_and_b32_e32 v36, v36, v37
	v_xor_b32_e32 v37, vcc_hi, v19
	v_xor_b32_e32 v19, vcc_lo, v19
	v_and_b32_e32 v21, v21, v19
	v_lshlrev_b32_e32 v19, 28, v20
	v_cmp_gt_i64_e32 vcc, 0, v[18:19]
	v_not_b32_e32 v19, v19
	v_ashrrev_i32_e32 v19, 31, v19
	v_and_b32_e32 v36, v36, v37
	;; [unrolled: 8-line block ×5, first 2 shown]
	v_xor_b32_e32 v37, vcc_hi, v19
	v_xor_b32_e32 v19, vcc_lo, v19
	v_and_b32_e32 v21, v21, v19
	v_lshlrev_b32_e32 v19, 24, v20
	v_cmp_gt_i64_e32 vcc, 0, v[18:19]
	v_not_b32_e32 v18, v19
	v_ashrrev_i32_e32 v18, 31, v18
	v_xor_b32_e32 v19, vcc_hi, v18
	v_xor_b32_e32 v18, vcc_lo, v18
	; wave barrier
	ds_read_b32 v33, v38 offset:64
	v_and_b32_e32 v36, v36, v37
	v_and_b32_e32 v18, v21, v18
	;; [unrolled: 1-line block ×3, first 2 shown]
	v_mbcnt_lo_u32_b32 v20, v18, 0
	v_mbcnt_hi_u32_b32 v36, v19, v20
	v_cmp_eq_u32_e32 vcc, 0, v36
	v_cmp_ne_u64_e64 s[2:3], 0, v[18:19]
	s_and_b64 s[4:5], s[2:3], vcc
	; wave barrier
	s_and_saveexec_b64 s[2:3], s[4:5]
	s_cbranch_execz .LBB1638_90
; %bb.89:
	v_bcnt_u32_b32 v18, v18, 0
	v_bcnt_u32_b32 v18, v19, v18
	s_waitcnt lgkmcnt(0)
	v_add_u32_e32 v18, v33, v18
	ds_write_b32 v38, v18 offset:64
.LBB1638_90:
	s_or_b64 exec, exec, s[2:3]
	v_bfrev_b32_e32 v40, 1
	s_waitcnt vmcnt(3)
	v_cmp_lt_i64_e32 vcc, -1, v[8:9]
	s_mov_b32 s4, -1
	v_cndmask_b32_e32 v18, -1, v40, vcc
	v_ashrrev_i32_e32 v19, 31, v9
	s_brev_b32 s5, -2
	v_xor_b32_e32 v9, v18, v9
	v_xor_b32_e32 v8, v19, v8
	v_cmp_ne_u64_e32 vcc, s[4:5], v[8:9]
	v_cndmask_b32_e32 v21, v40, v9, vcc
	v_cndmask_b32_e32 v20, 0, v8, vcc
	v_lshrrev_b64 v[20:21], s48, v[20:21]
	v_and_b32_e32 v20, s17, v20
	v_lshl_add_u32 v19, v20, 4, v20
	v_add_lshl_u32 v41, v34, v19, 2
	v_and_b32_e32 v19, 1, v20
	v_add_co_u32_e32 v21, vcc, -1, v19
	v_addc_co_u32_e64 v39, s[2:3], 0, -1, vcc
	v_cmp_ne_u32_e32 vcc, 0, v19
	v_xor_b32_e32 v19, vcc_hi, v39
	v_mov_b32_e32 v18, 0
	v_and_b32_e32 v39, exec_hi, v19
	v_lshlrev_b32_e32 v19, 30, v20
	v_xor_b32_e32 v21, vcc_lo, v21
	v_cmp_gt_i64_e32 vcc, 0, v[18:19]
	v_not_b32_e32 v19, v19
	v_ashrrev_i32_e32 v19, 31, v19
	v_and_b32_e32 v21, exec_lo, v21
	v_xor_b32_e32 v42, vcc_hi, v19
	v_xor_b32_e32 v19, vcc_lo, v19
	v_and_b32_e32 v21, v21, v19
	v_lshlrev_b32_e32 v19, 29, v20
	v_cmp_gt_i64_e32 vcc, 0, v[18:19]
	v_not_b32_e32 v19, v19
	v_ashrrev_i32_e32 v19, 31, v19
	v_and_b32_e32 v39, v39, v42
	v_xor_b32_e32 v42, vcc_hi, v19
	v_xor_b32_e32 v19, vcc_lo, v19
	v_and_b32_e32 v21, v21, v19
	v_lshlrev_b32_e32 v19, 28, v20
	v_cmp_gt_i64_e32 vcc, 0, v[18:19]
	v_not_b32_e32 v19, v19
	v_ashrrev_i32_e32 v19, 31, v19
	v_and_b32_e32 v39, v39, v42
	;; [unrolled: 8-line block ×5, first 2 shown]
	v_xor_b32_e32 v42, vcc_hi, v19
	v_xor_b32_e32 v19, vcc_lo, v19
	v_and_b32_e32 v39, v39, v42
	v_and_b32_e32 v42, v21, v19
	v_lshlrev_b32_e32 v19, 24, v20
	v_cmp_gt_i64_e32 vcc, 0, v[18:19]
	v_not_b32_e32 v19, v19
	v_ashrrev_i32_e32 v19, 31, v19
	v_xor_b32_e32 v20, vcc_hi, v19
	v_xor_b32_e32 v19, vcc_lo, v19
	; wave barrier
	ds_read_b32 v37, v41 offset:64
	v_and_b32_e32 v21, v39, v20
	v_and_b32_e32 v20, v42, v19
	v_mbcnt_lo_u32_b32 v19, v20, 0
	v_mbcnt_hi_u32_b32 v39, v21, v19
	v_cmp_eq_u32_e32 vcc, 0, v39
	v_cmp_ne_u64_e64 s[2:3], 0, v[20:21]
	s_and_b64 s[6:7], s[2:3], vcc
	; wave barrier
	s_and_saveexec_b64 s[2:3], s[6:7]
	s_cbranch_execz .LBB1638_92
; %bb.91:
	v_bcnt_u32_b32 v19, v20, 0
	v_bcnt_u32_b32 v19, v21, v19
	s_waitcnt lgkmcnt(0)
	v_add_u32_e32 v19, v37, v19
	ds_write_b32 v41, v19 offset:64
.LBB1638_92:
	s_or_b64 exec, exec, s[2:3]
	s_waitcnt vmcnt(2)
	v_cmp_lt_i64_e32 vcc, -1, v[12:13]
	v_cndmask_b32_e32 v19, -1, v40, vcc
	v_ashrrev_i32_e32 v20, 31, v13
	v_xor_b32_e32 v13, v19, v13
	v_xor_b32_e32 v12, v20, v12
	v_cmp_ne_u64_e32 vcc, s[4:5], v[12:13]
	v_cndmask_b32_e32 v21, v40, v13, vcc
	v_cndmask_b32_e32 v20, 0, v12, vcc
	v_lshrrev_b64 v[20:21], s48, v[20:21]
	v_and_b32_e32 v20, s17, v20
	v_lshl_add_u32 v19, v20, 4, v20
	v_add_lshl_u32 v44, v34, v19, 2
	v_and_b32_e32 v19, 1, v20
	v_add_co_u32_e32 v21, vcc, -1, v19
	v_addc_co_u32_e64 v42, s[2:3], 0, -1, vcc
	v_cmp_ne_u32_e32 vcc, 0, v19
	v_xor_b32_e32 v19, vcc_hi, v42
	v_and_b32_e32 v42, exec_hi, v19
	v_lshlrev_b32_e32 v19, 30, v20
	v_xor_b32_e32 v21, vcc_lo, v21
	v_cmp_gt_i64_e32 vcc, 0, v[18:19]
	v_not_b32_e32 v19, v19
	v_ashrrev_i32_e32 v19, 31, v19
	v_and_b32_e32 v21, exec_lo, v21
	v_xor_b32_e32 v43, vcc_hi, v19
	v_xor_b32_e32 v19, vcc_lo, v19
	v_and_b32_e32 v21, v21, v19
	v_lshlrev_b32_e32 v19, 29, v20
	v_cmp_gt_i64_e32 vcc, 0, v[18:19]
	v_not_b32_e32 v19, v19
	v_ashrrev_i32_e32 v19, 31, v19
	v_and_b32_e32 v42, v42, v43
	v_xor_b32_e32 v43, vcc_hi, v19
	v_xor_b32_e32 v19, vcc_lo, v19
	v_and_b32_e32 v21, v21, v19
	v_lshlrev_b32_e32 v19, 28, v20
	v_cmp_gt_i64_e32 vcc, 0, v[18:19]
	v_not_b32_e32 v19, v19
	v_ashrrev_i32_e32 v19, 31, v19
	v_and_b32_e32 v42, v42, v43
	;; [unrolled: 8-line block ×5, first 2 shown]
	v_xor_b32_e32 v43, vcc_hi, v19
	v_xor_b32_e32 v19, vcc_lo, v19
	v_and_b32_e32 v21, v21, v19
	v_lshlrev_b32_e32 v19, 24, v20
	v_cmp_gt_i64_e32 vcc, 0, v[18:19]
	v_not_b32_e32 v18, v19
	v_ashrrev_i32_e32 v18, 31, v18
	v_xor_b32_e32 v19, vcc_hi, v18
	v_xor_b32_e32 v18, vcc_lo, v18
	; wave barrier
	ds_read_b32 v40, v44 offset:64
	v_and_b32_e32 v42, v42, v43
	v_and_b32_e32 v18, v21, v18
	v_and_b32_e32 v19, v42, v19
	v_mbcnt_lo_u32_b32 v20, v18, 0
	v_mbcnt_hi_u32_b32 v42, v19, v20
	v_cmp_eq_u32_e32 vcc, 0, v42
	v_cmp_ne_u64_e64 s[2:3], 0, v[18:19]
	s_and_b64 s[4:5], s[2:3], vcc
	; wave barrier
	s_and_saveexec_b64 s[2:3], s[4:5]
	s_cbranch_execz .LBB1638_94
; %bb.93:
	v_bcnt_u32_b32 v18, v18, 0
	v_bcnt_u32_b32 v18, v19, v18
	s_waitcnt lgkmcnt(0)
	v_add_u32_e32 v18, v40, v18
	ds_write_b32 v44, v18 offset:64
.LBB1638_94:
	s_or_b64 exec, exec, s[2:3]
	v_bfrev_b32_e32 v47, 1
	s_waitcnt vmcnt(1)
	v_cmp_lt_i64_e32 vcc, -1, v[16:17]
	s_mov_b32 s4, -1
	v_cndmask_b32_e32 v18, -1, v47, vcc
	v_ashrrev_i32_e32 v19, 31, v17
	s_brev_b32 s5, -2
	v_xor_b32_e32 v17, v18, v17
	v_xor_b32_e32 v16, v19, v16
	v_cmp_ne_u64_e32 vcc, s[4:5], v[16:17]
	v_cndmask_b32_e32 v21, v47, v17, vcc
	v_cndmask_b32_e32 v20, 0, v16, vcc
	v_lshrrev_b64 v[20:21], s48, v[20:21]
	v_and_b32_e32 v20, s17, v20
	v_lshl_add_u32 v19, v20, 4, v20
	v_add_lshl_u32 v46, v19, v34, 2
	v_and_b32_e32 v19, 1, v20
	v_add_co_u32_e32 v21, vcc, -1, v19
	v_addc_co_u32_e64 v45, s[2:3], 0, -1, vcc
	v_cmp_ne_u32_e32 vcc, 0, v19
	v_xor_b32_e32 v19, vcc_hi, v45
	v_mov_b32_e32 v18, 0
	v_and_b32_e32 v45, exec_hi, v19
	v_lshlrev_b32_e32 v19, 30, v20
	v_xor_b32_e32 v21, vcc_lo, v21
	v_cmp_gt_i64_e32 vcc, 0, v[18:19]
	v_not_b32_e32 v19, v19
	v_ashrrev_i32_e32 v19, 31, v19
	v_and_b32_e32 v21, exec_lo, v21
	v_xor_b32_e32 v48, vcc_hi, v19
	v_xor_b32_e32 v19, vcc_lo, v19
	v_and_b32_e32 v21, v21, v19
	v_lshlrev_b32_e32 v19, 29, v20
	v_cmp_gt_i64_e32 vcc, 0, v[18:19]
	v_not_b32_e32 v19, v19
	v_ashrrev_i32_e32 v19, 31, v19
	v_and_b32_e32 v45, v45, v48
	v_xor_b32_e32 v48, vcc_hi, v19
	v_xor_b32_e32 v19, vcc_lo, v19
	v_and_b32_e32 v21, v21, v19
	v_lshlrev_b32_e32 v19, 28, v20
	v_cmp_gt_i64_e32 vcc, 0, v[18:19]
	v_not_b32_e32 v19, v19
	v_ashrrev_i32_e32 v19, 31, v19
	v_and_b32_e32 v45, v45, v48
	;; [unrolled: 8-line block ×5, first 2 shown]
	v_xor_b32_e32 v48, vcc_hi, v19
	v_xor_b32_e32 v19, vcc_lo, v19
	v_and_b32_e32 v45, v45, v48
	v_and_b32_e32 v48, v21, v19
	v_lshlrev_b32_e32 v19, 24, v20
	v_cmp_gt_i64_e32 vcc, 0, v[18:19]
	v_not_b32_e32 v19, v19
	v_ashrrev_i32_e32 v19, 31, v19
	v_xor_b32_e32 v20, vcc_hi, v19
	v_xor_b32_e32 v19, vcc_lo, v19
	; wave barrier
	ds_read_b32 v43, v46 offset:64
	v_and_b32_e32 v21, v45, v20
	v_and_b32_e32 v20, v48, v19
	v_mbcnt_lo_u32_b32 v19, v20, 0
	v_mbcnt_hi_u32_b32 v45, v21, v19
	v_cmp_eq_u32_e32 vcc, 0, v45
	v_cmp_ne_u64_e64 s[2:3], 0, v[20:21]
	s_and_b64 s[6:7], s[2:3], vcc
	; wave barrier
	s_and_saveexec_b64 s[2:3], s[6:7]
	s_cbranch_execz .LBB1638_96
; %bb.95:
	v_bcnt_u32_b32 v19, v20, 0
	v_bcnt_u32_b32 v19, v21, v19
	s_waitcnt lgkmcnt(0)
	v_add_u32_e32 v19, v43, v19
	ds_write_b32 v46, v19 offset:64
.LBB1638_96:
	s_or_b64 exec, exec, s[2:3]
	s_waitcnt vmcnt(0)
	v_cmp_lt_i64_e32 vcc, -1, v[14:15]
	v_cndmask_b32_e32 v19, -1, v47, vcc
	v_ashrrev_i32_e32 v20, 31, v15
	v_xor_b32_e32 v15, v19, v15
	v_xor_b32_e32 v14, v20, v14
	v_cmp_ne_u64_e32 vcc, s[4:5], v[14:15]
	v_cndmask_b32_e32 v21, v47, v15, vcc
	v_cndmask_b32_e32 v20, 0, v14, vcc
	v_lshrrev_b64 v[20:21], s48, v[20:21]
	v_and_b32_e32 v20, s17, v20
	v_lshl_add_u32 v19, v20, 4, v20
	v_add_lshl_u32 v49, v19, v34, 2
	v_and_b32_e32 v19, 1, v20
	v_add_co_u32_e32 v21, vcc, -1, v19
	v_addc_co_u32_e64 v47, s[2:3], 0, -1, vcc
	v_cmp_ne_u32_e32 vcc, 0, v19
	v_xor_b32_e32 v19, vcc_hi, v47
	v_and_b32_e32 v47, exec_hi, v19
	v_lshlrev_b32_e32 v19, 30, v20
	v_xor_b32_e32 v21, vcc_lo, v21
	v_cmp_gt_i64_e32 vcc, 0, v[18:19]
	v_not_b32_e32 v19, v19
	v_ashrrev_i32_e32 v19, 31, v19
	v_and_b32_e32 v21, exec_lo, v21
	v_xor_b32_e32 v50, vcc_hi, v19
	v_xor_b32_e32 v19, vcc_lo, v19
	v_and_b32_e32 v21, v21, v19
	v_lshlrev_b32_e32 v19, 29, v20
	v_cmp_gt_i64_e32 vcc, 0, v[18:19]
	v_not_b32_e32 v19, v19
	v_ashrrev_i32_e32 v19, 31, v19
	v_and_b32_e32 v47, v47, v50
	v_xor_b32_e32 v50, vcc_hi, v19
	v_xor_b32_e32 v19, vcc_lo, v19
	v_and_b32_e32 v21, v21, v19
	v_lshlrev_b32_e32 v19, 28, v20
	v_cmp_gt_i64_e32 vcc, 0, v[18:19]
	v_not_b32_e32 v19, v19
	v_ashrrev_i32_e32 v19, 31, v19
	v_and_b32_e32 v47, v47, v50
	;; [unrolled: 8-line block ×5, first 2 shown]
	v_xor_b32_e32 v50, vcc_hi, v19
	v_xor_b32_e32 v19, vcc_lo, v19
	v_and_b32_e32 v21, v21, v19
	v_lshlrev_b32_e32 v19, 24, v20
	v_cmp_gt_i64_e32 vcc, 0, v[18:19]
	v_not_b32_e32 v18, v19
	v_ashrrev_i32_e32 v18, 31, v18
	v_xor_b32_e32 v19, vcc_hi, v18
	v_xor_b32_e32 v18, vcc_lo, v18
	; wave barrier
	ds_read_b32 v34, v49 offset:64
	v_and_b32_e32 v47, v47, v50
	v_and_b32_e32 v18, v21, v18
	;; [unrolled: 1-line block ×3, first 2 shown]
	v_mbcnt_lo_u32_b32 v20, v18, 0
	v_mbcnt_hi_u32_b32 v47, v19, v20
	v_cmp_eq_u32_e32 vcc, 0, v47
	v_cmp_ne_u64_e64 s[2:3], 0, v[18:19]
	v_add_u32_e32 v48, 64, v23
	s_and_b64 s[4:5], s[2:3], vcc
	; wave barrier
	s_and_saveexec_b64 s[2:3], s[4:5]
	s_cbranch_execz .LBB1638_98
; %bb.97:
	v_bcnt_u32_b32 v18, v18, 0
	v_bcnt_u32_b32 v18, v19, v18
	s_waitcnt lgkmcnt(0)
	v_add_u32_e32 v18, v34, v18
	ds_write_b32 v49, v18 offset:64
.LBB1638_98:
	s_or_b64 exec, exec, s[2:3]
	; wave barrier
	s_waitcnt lgkmcnt(0)
	s_barrier
	ds_read2_b32 v[20:21], v23 offset0:16 offset1:17
	ds_read2_b32 v[18:19], v48 offset0:2 offset1:3
	ds_read_b32 v50, v48 offset:16
	v_cmp_lt_u32_e64 s[8:9], 31, v22
	s_waitcnt lgkmcnt(1)
	v_add3_u32 v51, v21, v20, v18
	s_waitcnt lgkmcnt(0)
	v_add3_u32 v50, v51, v19, v50
	v_and_b32_e32 v51, 15, v22
	v_cmp_eq_u32_e32 vcc, 0, v51
	v_mov_b32_dpp v52, v50 row_shr:1 row_mask:0xf bank_mask:0xf
	v_cndmask_b32_e64 v52, v52, 0, vcc
	v_add_u32_e32 v50, v52, v50
	v_cmp_lt_u32_e64 s[2:3], 1, v51
	v_cmp_lt_u32_e64 s[4:5], 3, v51
	v_mov_b32_dpp v52, v50 row_shr:2 row_mask:0xf bank_mask:0xf
	v_cndmask_b32_e64 v52, 0, v52, s[2:3]
	v_add_u32_e32 v50, v50, v52
	v_cmp_lt_u32_e64 s[6:7], 7, v51
	s_nop 0
	v_mov_b32_dpp v52, v50 row_shr:4 row_mask:0xf bank_mask:0xf
	v_cndmask_b32_e64 v52, 0, v52, s[4:5]
	v_add_u32_e32 v50, v50, v52
	s_nop 1
	v_mov_b32_dpp v52, v50 row_shr:8 row_mask:0xf bank_mask:0xf
	v_cndmask_b32_e64 v51, 0, v52, s[6:7]
	v_add_u32_e32 v50, v50, v51
	v_bfe_i32 v52, v22, 4, 1
	s_nop 0
	v_mov_b32_dpp v51, v50 row_bcast:15 row_mask:0xf bank_mask:0xf
	v_and_b32_e32 v51, v52, v51
	v_add_u32_e32 v50, v50, v51
	v_and_b32_e32 v52, 63, v10
	s_nop 0
	v_mov_b32_dpp v51, v50 row_bcast:31 row_mask:0xf bank_mask:0xf
	v_cndmask_b32_e64 v51, 0, v51, s[8:9]
	v_add_u32_e32 v50, v50, v51
	v_lshrrev_b32_e32 v51, 6, v10
	v_cmp_eq_u32_e64 s[8:9], 63, v52
	s_and_saveexec_b64 s[14:15], s[8:9]
	s_cbranch_execz .LBB1638_100
; %bb.99:
	v_lshlrev_b32_e32 v52, 2, v51
	ds_write_b32 v52, v50
.LBB1638_100:
	s_or_b64 exec, exec, s[14:15]
	v_cmp_gt_u32_e64 s[8:9], 16, v10
	s_waitcnt lgkmcnt(0)
	s_barrier
	s_and_saveexec_b64 s[14:15], s[8:9]
	s_cbranch_execz .LBB1638_102
; %bb.101:
	v_lshlrev_b32_e32 v52, 2, v10
	ds_read_b32 v53, v52
	s_waitcnt lgkmcnt(0)
	s_nop 0
	v_mov_b32_dpp v54, v53 row_shr:1 row_mask:0xf bank_mask:0xf
	v_cndmask_b32_e64 v54, v54, 0, vcc
	v_add_u32_e32 v53, v54, v53
	s_nop 1
	v_mov_b32_dpp v54, v53 row_shr:2 row_mask:0xf bank_mask:0xf
	v_cndmask_b32_e64 v54, 0, v54, s[2:3]
	v_add_u32_e32 v53, v53, v54
	s_nop 1
	v_mov_b32_dpp v54, v53 row_shr:4 row_mask:0xf bank_mask:0xf
	v_cndmask_b32_e64 v54, 0, v54, s[4:5]
	;; [unrolled: 4-line block ×3, first 2 shown]
	v_add_u32_e32 v53, v53, v54
	ds_write_b32 v52, v53
.LBB1638_102:
	s_or_b64 exec, exec, s[14:15]
	v_cmp_lt_u32_e32 vcc, 63, v10
	v_mov_b32_e32 v52, 0
	s_waitcnt lgkmcnt(0)
	s_barrier
	s_and_saveexec_b64 s[2:3], vcc
	s_cbranch_execz .LBB1638_104
; %bb.103:
	v_lshl_add_u32 v51, v51, 2, -4
	ds_read_b32 v52, v51
.LBB1638_104:
	s_or_b64 exec, exec, s[2:3]
	v_add_u32_e32 v51, -1, v22
	v_and_b32_e32 v53, 64, v22
	v_cmp_lt_i32_e32 vcc, v51, v53
	v_cndmask_b32_e32 v51, v51, v22, vcc
	s_waitcnt lgkmcnt(0)
	v_add_u32_e32 v50, v52, v50
	v_lshlrev_b32_e32 v51, 2, v51
	ds_bpermute_b32 v50, v51, v50
	v_cmp_eq_u32_e32 vcc, 0, v22
	s_waitcnt lgkmcnt(0)
	v_cndmask_b32_e32 v22, v50, v52, vcc
	v_cndmask_b32_e64 v22, v22, 0, s[0:1]
	v_add_u32_e32 v20, v22, v20
	v_add_u32_e32 v21, v20, v21
	;; [unrolled: 1-line block ×4, first 2 shown]
	ds_write2_b32 v23, v22, v20 offset0:16 offset1:17
	ds_write2_b32 v48, v21, v18 offset0:2 offset1:3
	ds_write_b32 v48, v19 offset:16
	s_waitcnt lgkmcnt(0)
	s_barrier
	ds_read_b32 v50, v28 offset:64
	ds_read_b32 v48, v31 offset:64
	;; [unrolled: 1-line block ×8, first 2 shown]
	s_movk_i32 s0, 0x100
	v_cmp_gt_u32_e32 vcc, s0, v10
                                        ; implicit-def: $vgpr28
                                        ; implicit-def: $vgpr31
	s_and_saveexec_b64 s[2:3], vcc
	s_cbranch_execz .LBB1638_108
; %bb.105:
	v_mul_u32_u24_e32 v18, 17, v10
	v_lshlrev_b32_e32 v19, 2, v18
	ds_read_b32 v28, v19 offset:64
	s_movk_i32 s0, 0xff
	v_cmp_ne_u32_e64 s[0:1], s0, v10
	v_mov_b32_e32 v18, 0x2000
	s_and_saveexec_b64 s[4:5], s[0:1]
	s_cbranch_execz .LBB1638_107
; %bb.106:
	ds_read_b32 v18, v19 offset:132
.LBB1638_107:
	s_or_b64 exec, exec, s[4:5]
	s_waitcnt lgkmcnt(0)
	v_sub_u32_e32 v31, v18, v28
.LBB1638_108:
	s_or_b64 exec, exec, s[2:3]
	s_waitcnt lgkmcnt(0)
	s_barrier
	s_and_saveexec_b64 s[2:3], vcc
	s_cbranch_execz .LBB1638_118
; %bb.109:
	v_lshl_or_b32 v18, s33, 8, v10
	v_mov_b32_e32 v19, 0
	v_lshlrev_b64 v[20:21], 2, v[18:19]
	v_mov_b32_e32 v51, s31
	v_add_co_u32_e64 v20, s[0:1], s30, v20
	v_addc_co_u32_e64 v21, s[0:1], v51, v21, s[0:1]
	v_or_b32_e32 v18, 2.0, v31
	s_mov_b64 s[4:5], 0
	s_brev_b32 s14, 1
	s_mov_b32 s15, s33
	v_mov_b32_e32 v52, 0
	global_store_dword v[20:21], v18, off
                                        ; implicit-def: $sgpr0_sgpr1
	s_branch .LBB1638_112
.LBB1638_110:                           ;   in Loop: Header=BB1638_112 Depth=1
	s_or_b64 exec, exec, s[8:9]
.LBB1638_111:                           ;   in Loop: Header=BB1638_112 Depth=1
	s_or_b64 exec, exec, s[6:7]
	v_and_b32_e32 v22, 0x3fffffff, v53
	v_add_u32_e32 v52, v22, v52
	v_cmp_eq_u32_e64 s[0:1], s14, v18
	s_and_b64 s[6:7], exec, s[0:1]
	s_or_b64 s[4:5], s[6:7], s[4:5]
	s_andn2_b64 exec, exec, s[4:5]
	s_cbranch_execz .LBB1638_117
.LBB1638_112:                           ; =>This Loop Header: Depth=1
                                        ;     Child Loop BB1638_115 Depth 2
	s_or_b64 s[0:1], s[0:1], exec
	s_cmp_eq_u32 s15, 0
	s_cbranch_scc1 .LBB1638_116
; %bb.113:                              ;   in Loop: Header=BB1638_112 Depth=1
	s_add_i32 s15, s15, -1
	v_lshl_or_b32 v18, s15, 8, v10
	v_lshlrev_b64 v[22:23], 2, v[18:19]
	v_add_co_u32_e64 v22, s[0:1], s30, v22
	v_addc_co_u32_e64 v23, s[0:1], v51, v23, s[0:1]
	global_load_dword v53, v[22:23], off glc
	s_waitcnt vmcnt(0)
	v_and_b32_e32 v18, -2.0, v53
	v_cmp_eq_u32_e64 s[0:1], 0, v18
	s_and_saveexec_b64 s[6:7], s[0:1]
	s_cbranch_execz .LBB1638_111
; %bb.114:                              ;   in Loop: Header=BB1638_112 Depth=1
	s_mov_b64 s[8:9], 0
.LBB1638_115:                           ;   Parent Loop BB1638_112 Depth=1
                                        ; =>  This Inner Loop Header: Depth=2
	global_load_dword v53, v[22:23], off glc
	s_waitcnt vmcnt(0)
	v_and_b32_e32 v18, -2.0, v53
	v_cmp_ne_u32_e64 s[0:1], 0, v18
	s_or_b64 s[8:9], s[0:1], s[8:9]
	s_andn2_b64 exec, exec, s[8:9]
	s_cbranch_execnz .LBB1638_115
	s_branch .LBB1638_110
.LBB1638_116:                           ;   in Loop: Header=BB1638_112 Depth=1
                                        ; implicit-def: $sgpr15
	s_and_b64 s[6:7], exec, s[0:1]
	s_or_b64 s[4:5], s[6:7], s[4:5]
	s_andn2_b64 exec, exec, s[4:5]
	s_cbranch_execnz .LBB1638_112
.LBB1638_117:
	s_or_b64 exec, exec, s[4:5]
	v_add_u32_e32 v18, v52, v31
	v_or_b32_e32 v18, 0x80000000, v18
	global_store_dword v[20:21], v18, off
	v_lshlrev_b32_e32 v18, 2, v10
	global_load_dword v19, v18, s[44:45]
	v_sub_u32_e32 v20, v52, v28
	s_waitcnt vmcnt(0)
	v_add_u32_e32 v19, v20, v19
	ds_write_b32 v18, v19
.LBB1638_118:
	s_or_b64 exec, exec, s[2:3]
	s_mov_b32 s4, -1
	v_add_u32_e32 v20, v50, v26
	s_movk_i32 s6, 0x400
	v_add_u32_e32 v21, 0x400, v11
	v_add3_u32 v22, v47, v49, v34
	v_add3_u32 v23, v45, v46, v43
	;; [unrolled: 1-line block ×7, first 2 shown]
	s_mov_b32 s7, 0
	s_mov_b32 s8, 1
	s_brev_b32 s5, -2
	v_bfrev_b32_e32 v41, 1
	v_mov_b32_e32 v42, s39
	v_mov_b32_e32 v19, 0
	;; [unrolled: 1-line block ×3, first 2 shown]
                                        ; implicit-def: $vgpr40
                                        ; implicit-def: $vgpr39
                                        ; implicit-def: $vgpr38
                                        ; implicit-def: $vgpr37
                                        ; implicit-def: $vgpr36
                                        ; implicit-def: $vgpr35
                                        ; implicit-def: $vgpr32
                                        ; implicit-def: $vgpr29
.LBB1638_119:                           ; =>This Inner Loop Header: Depth=1
	v_add_u32_e32 v18, s7, v20
	v_add_u32_e32 v44, s7, v27
	;; [unrolled: 1-line block ×8, first 2 shown]
	v_min_u32_e32 v18, 0x800, v18
	v_min_u32_e32 v44, 0x800, v44
	;; [unrolled: 1-line block ×8, first 2 shown]
	v_lshlrev_b32_e32 v18, 3, v18
	v_lshlrev_b32_e32 v44, 3, v44
	;; [unrolled: 1-line block ×8, first 2 shown]
	ds_write_b64 v18, v[0:1] offset:1024
	ds_write_b64 v44, v[2:3] offset:1024
	;; [unrolled: 1-line block ×8, first 2 shown]
	s_waitcnt lgkmcnt(0)
	s_barrier
	ds_read_b64 v[44:45], v11 offset:1024
	s_add_i32 s9, s8, -1
	s_cmp_eq_u32 s9, 0
	s_waitcnt lgkmcnt(0)
	v_cmp_ne_u64_e64 s[0:1], s[4:5], v[44:45]
	v_cndmask_b32_e64 v47, v41, v45, s[0:1]
	v_cndmask_b32_e64 v46, 0, v44, s[0:1]
	v_lshrrev_b64 v[46:47], s48, v[46:47]
	v_cmp_lt_i64_e64 s[2:3], -1, v[44:45]
	v_and_b32_e32 v46, s17, v46
	s_cselect_b64 s[0:1], -1, 0
	s_cmp_eq_u32 s9, 1
	v_cndmask_b32_e64 v18, v41, -1, s[2:3]
	v_cndmask_b32_e64 v40, v40, v46, s[0:1]
	s_cselect_b64 s[0:1], -1, 0
	s_cmp_eq_u32 s9, 2
	v_ashrrev_i32_e32 v48, 31, v45
	v_xor_b32_e32 v45, v18, v45
	v_lshlrev_b32_e32 v18, 2, v46
	v_cndmask_b32_e64 v50, v39, v46, s[0:1]
	s_cselect_b64 s[0:1], -1, 0
	s_cmp_eq_u32 s9, 3
	v_cndmask_b32_e64 v51, v38, v46, s[0:1]
	ds_read_b32 v18, v18
	ds_read_b64 v[38:39], v21 offset:8192
	s_cselect_b64 s[0:1], -1, 0
	s_cmp_eq_u32 s9, 4
	v_cndmask_b32_e64 v52, v37, v46, s[0:1]
	s_cselect_b64 s[0:1], -1, 0
	s_cmp_eq_u32 s9, 5
	v_cndmask_b32_e64 v53, v36, v46, s[0:1]
	;; [unrolled: 3-line block ×4, first 2 shown]
	s_waitcnt lgkmcnt(1)
	v_add_u32_e32 v18, v43, v18
	s_cselect_b64 s[0:1], -1, 0
	v_cndmask_b32_e64 v29, v29, v46, s[0:1]
	s_waitcnt lgkmcnt(0)
	v_cmp_ne_u64_e64 s[0:1], s[4:5], v[38:39]
	v_lshlrev_b64 v[46:47], 3, v[18:19]
	v_not_b32_e32 v48, v48
	v_cndmask_b32_e64 v37, v41, v39, s[0:1]
	v_cndmask_b32_e64 v36, 0, v38, s[0:1]
	v_add_co_u32_e64 v46, s[0:1], s38, v46
	v_xor_b32_e32 v44, v48, v44
	v_cmp_lt_i64_e64 s[2:3], -1, v[38:39]
	v_ashrrev_i32_e32 v49, 31, v39
	s_cmp_eq_u32 s8, 7
	v_addc_co_u32_e64 v47, s[0:1], v42, v47, s[0:1]
	v_lshrrev_b64 v[36:37], s48, v[36:37]
	v_cndmask_b32_e64 v48, v41, -1, s[2:3]
	v_not_b32_e32 v18, v49
	global_store_dwordx2 v[46:47], v[44:45], off
	v_and_b32_e32 v44, s17, v36
	s_cselect_b64 s[0:1], -1, 0
	s_cmp_eq_u32 s8, 6
	v_xor_b32_e32 v49, v48, v39
	v_xor_b32_e32 v48, v18, v38
	v_lshlrev_b32_e32 v18, 2, v44
	v_cndmask_b32_e64 v29, v29, v44, s[0:1]
	s_cselect_b64 s[0:1], -1, 0
	s_cmp_eq_u32 s8, 5
	v_cndmask_b32_e64 v32, v32, v44, s[0:1]
	ds_read_b32 v18, v18
	s_cselect_b64 s[0:1], -1, 0
	s_cmp_eq_u32 s8, 4
	v_cndmask_b32_e64 v35, v35, v44, s[0:1]
	s_cselect_b64 s[0:1], -1, 0
	s_cmp_eq_u32 s8, 3
	v_cndmask_b32_e64 v36, v53, v44, s[0:1]
	;; [unrolled: 3-line block ×5, first 2 shown]
	s_waitcnt lgkmcnt(0)
	v_add3_u32 v18, v43, v18, s6
	s_cselect_b64 s[0:1], -1, 0
	v_cndmask_b32_e64 v40, v40, v44, s[0:1]
	v_lshlrev_b64 v[44:45], 3, v[18:19]
	s_addk_i32 s7, 0xf800
	s_add_i32 s8, s8, 2
	v_add_co_u32_e64 v44, s[0:1], s38, v44
	v_add_u32_e32 v43, 0x800, v43
	s_cmpk_lg_i32 s7, 0xe000
	v_addc_co_u32_e64 v45, s[0:1], v42, v45, s[0:1]
	global_store_dwordx2 v[44:45], v[48:49], off
	s_barrier
	s_cbranch_scc1 .LBB1638_119
; %bb.120:
	s_add_u32 s0, s40, s12
	s_addc_u32 s1, s41, s13
	v_mov_b32_e32 v0, s1
	v_add_co_u32_e64 v1, s[0:1], s0, v24
	v_addc_co_u32_e64 v0, s[0:1], 0, v0, s[0:1]
	v_add_co_u32_e64 v18, s[0:1], v1, v25
	v_addc_co_u32_e64 v19, s[0:1], 0, v0, s[0:1]
	global_load_dwordx2 v[0:1], v[18:19], off
	global_load_dwordx2 v[2:3], v[18:19], off offset:512
	global_load_dwordx2 v[4:5], v[18:19], off offset:1024
	;; [unrolled: 1-line block ×7, first 2 shown]
	s_mov_b32 s2, 0
	s_mov_b32 s3, 1
	s_movk_i32 s4, 0x400
	v_mov_b32_e32 v19, 0
	v_mov_b32_e32 v24, v10
	s_waitcnt vmcnt(0)
.LBB1638_121:                           ; =>This Inner Loop Header: Depth=1
	s_add_i32 s5, s3, -1
	v_add_u32_e32 v18, s2, v20
	s_cmp_eq_u32 s5, 1
	v_add_u32_e32 v25, s2, v27
	v_add_u32_e32 v41, s2, v30
	;; [unrolled: 1-line block ×7, first 2 shown]
	v_min_u32_e32 v18, 0x800, v18
	s_cselect_b64 s[0:1], -1, 0
	s_cmp_eq_u32 s5, 2
	v_min_u32_e32 v25, 0x800, v25
	v_min_u32_e32 v41, 0x800, v41
	;; [unrolled: 1-line block ×7, first 2 shown]
	v_lshlrev_b32_e32 v18, 3, v18
	v_cndmask_b32_e64 v47, v40, v39, s[0:1]
	s_cselect_b64 s[0:1], -1, 0
	s_cmp_eq_u32 s5, 3
	v_lshlrev_b32_e32 v25, 3, v25
	v_lshlrev_b32_e32 v41, 3, v41
	;; [unrolled: 1-line block ×7, first 2 shown]
	ds_write_b64 v18, v[0:1] offset:1024
	ds_write_b64 v25, v[2:3] offset:1024
	;; [unrolled: 1-line block ×8, first 2 shown]
	v_cndmask_b32_e64 v18, v47, v38, s[0:1]
	s_cselect_b64 s[0:1], -1, 0
	s_cmp_eq_u32 s5, 4
	v_cndmask_b32_e64 v18, v18, v37, s[0:1]
	s_cselect_b64 s[0:1], -1, 0
	s_cmp_eq_u32 s5, 5
	;; [unrolled: 3-line block ×9, first 2 shown]
	v_lshlrev_b32_e32 v18, 2, v18
	v_cndmask_b32_e64 v25, v25, v36, s[0:1]
	s_cselect_b64 s[0:1], -1, 0
	s_cmp_eq_u32 s3, 6
	s_waitcnt lgkmcnt(0)
	s_barrier
	ds_read_b64 v[42:43], v11 offset:1024
	ds_read_b32 v18, v18
	v_cndmask_b32_e64 v25, v25, v35, s[0:1]
	s_cselect_b64 s[0:1], -1, 0
	s_cmp_eq_u32 s3, 7
	v_cndmask_b32_e64 v25, v25, v32, s[0:1]
	s_cselect_b64 s[0:1], -1, 0
	v_cndmask_b32_e64 v25, v25, v29, s[0:1]
	v_lshlrev_b32_e32 v25, 2, v25
	ds_read_b32 v25, v25
	ds_read_b64 v[44:45], v21 offset:8192
	s_waitcnt lgkmcnt(2)
	v_add_u32_e32 v18, v24, v18
	v_lshlrev_b64 v[46:47], 3, v[18:19]
	v_mov_b32_e32 v48, s43
	v_add_co_u32_e64 v46, s[0:1], s42, v46
	v_addc_co_u32_e64 v47, s[0:1], v48, v47, s[0:1]
	s_waitcnt lgkmcnt(1)
	v_add3_u32 v18, v24, v25, s4
	global_store_dwordx2 v[46:47], v[42:43], off
	v_lshlrev_b64 v[42:43], 3, v[18:19]
	s_addk_i32 s2, 0xf800
	s_add_i32 s3, s3, 2
	v_add_co_u32_e64 v42, s[0:1], s42, v42
	s_cmpk_lg_i32 s2, 0xe000
	v_add_u32_e32 v24, 0x800, v24
	v_addc_co_u32_e64 v43, s[0:1], v48, v43, s[0:1]
	s_waitcnt lgkmcnt(0)
	global_store_dwordx2 v[42:43], v[44:45], off
	s_barrier
	s_cbranch_scc1 .LBB1638_121
; %bb.122:
	s_add_i32 s16, s16, -1
	s_cmp_eq_u32 s16, s33
	s_cselect_b64 s[0:1], -1, 0
	s_and_b64 s[2:3], vcc, s[0:1]
                                        ; implicit-def: $vgpr2
	s_and_saveexec_b64 s[0:1], s[2:3]
; %bb.123:
	v_add_u32_e32 v2, v28, v31
	s_or_b64 s[10:11], s[10:11], exec
; %bb.124:
	s_or_b64 exec, exec, s[0:1]
.LBB1638_125:
	s_and_saveexec_b64 s[0:1], s[10:11]
	s_cbranch_execnz .LBB1638_127
; %bb.126:
	s_endpgm
.LBB1638_127:
	v_lshlrev_b32_e32 v0, 2, v10
	ds_read_b32 v1, v0
	s_waitcnt lgkmcnt(0)
	v_add_u32_e32 v1, v1, v2
	global_store_dword v0, v1, s[46:47]
	s_endpgm
.LBB1638_128:
	global_load_dwordx2 v[12:13], v[28:29], off
	s_or_b64 exec, exec, s[20:21]
                                        ; implicit-def: $vgpr14_vgpr15
	s_and_saveexec_b64 s[20:21], s[2:3]
	s_cbranch_execz .LBB1638_66
.LBB1638_129:
	global_load_dwordx2 v[14:15], v[28:29], off offset:512
	s_or_b64 exec, exec, s[20:21]
                                        ; implicit-def: $vgpr16_vgpr17
	s_and_saveexec_b64 s[2:3], s[26:27]
	s_cbranch_execz .LBB1638_67
.LBB1638_130:
	global_load_dwordx2 v[16:17], v[28:29], off offset:1024
	s_or_b64 exec, exec, s[2:3]
                                        ; implicit-def: $vgpr18_vgpr19
	s_and_saveexec_b64 s[2:3], s[8:9]
	s_cbranch_execz .LBB1638_68
.LBB1638_131:
	global_load_dwordx2 v[18:19], v[28:29], off offset:1536
	s_or_b64 exec, exec, s[2:3]
                                        ; implicit-def: $vgpr20_vgpr21
	s_and_saveexec_b64 s[2:3], s[10:11]
	s_cbranch_execz .LBB1638_69
.LBB1638_132:
	global_load_dwordx2 v[20:21], v[28:29], off offset:2048
	s_or_b64 exec, exec, s[2:3]
                                        ; implicit-def: $vgpr22_vgpr23
	s_and_saveexec_b64 s[2:3], s[12:13]
	s_cbranch_execz .LBB1638_70
.LBB1638_133:
	global_load_dwordx2 v[22:23], v[28:29], off offset:2560
	s_or_b64 exec, exec, s[2:3]
                                        ; implicit-def: $vgpr24_vgpr25
	s_and_saveexec_b64 s[2:3], s[14:15]
	s_cbranch_execz .LBB1638_71
.LBB1638_134:
	global_load_dwordx2 v[24:25], v[28:29], off offset:3072
	s_or_b64 exec, exec, s[2:3]
                                        ; implicit-def: $vgpr26_vgpr27
	s_and_saveexec_b64 s[2:3], s[16:17]
	s_cbranch_execnz .LBB1638_72
	s_branch .LBB1638_73
	.section	.rodata,"a",@progbits
	.p2align	6, 0x0
	.amdhsa_kernel _ZN7rocprim17ROCPRIM_400000_NS6detail17trampoline_kernelINS0_14default_configENS1_35radix_sort_onesweep_config_selectorIdlEEZZNS1_29radix_sort_onesweep_iterationIS3_Lb0EPdS7_N6thrust23THRUST_200600_302600_NS10device_ptrIlEESB_jNS0_19identity_decomposerENS1_16block_id_wrapperIjLb1EEEEE10hipError_tT1_PNSt15iterator_traitsISG_E10value_typeET2_T3_PNSH_ISM_E10value_typeET4_T5_PSR_SS_PNS1_23onesweep_lookback_stateEbbT6_jjT7_P12ihipStream_tbENKUlT_T0_SG_SL_E_clIS7_S7_PlSB_EEDaSZ_S10_SG_SL_EUlSZ_E_NS1_11comp_targetILNS1_3genE4ELNS1_11target_archE910ELNS1_3gpuE8ELNS1_3repE0EEENS1_47radix_sort_onesweep_sort_config_static_selectorELNS0_4arch9wavefront6targetE1EEEvSG_
		.amdhsa_group_segment_fixed_size 20552
		.amdhsa_private_segment_fixed_size 0
		.amdhsa_kernarg_size 344
		.amdhsa_user_sgpr_count 6
		.amdhsa_user_sgpr_private_segment_buffer 1
		.amdhsa_user_sgpr_dispatch_ptr 0
		.amdhsa_user_sgpr_queue_ptr 0
		.amdhsa_user_sgpr_kernarg_segment_ptr 1
		.amdhsa_user_sgpr_dispatch_id 0
		.amdhsa_user_sgpr_flat_scratch_init 0
		.amdhsa_user_sgpr_kernarg_preload_length 0
		.amdhsa_user_sgpr_kernarg_preload_offset 0
		.amdhsa_user_sgpr_private_segment_size 0
		.amdhsa_uses_dynamic_stack 0
		.amdhsa_system_sgpr_private_segment_wavefront_offset 0
		.amdhsa_system_sgpr_workgroup_id_x 1
		.amdhsa_system_sgpr_workgroup_id_y 0
		.amdhsa_system_sgpr_workgroup_id_z 0
		.amdhsa_system_sgpr_workgroup_info 0
		.amdhsa_system_vgpr_workitem_id 2
		.amdhsa_next_free_vgpr 57
		.amdhsa_next_free_sgpr 56
		.amdhsa_accum_offset 60
		.amdhsa_reserve_vcc 1
		.amdhsa_reserve_flat_scratch 0
		.amdhsa_float_round_mode_32 0
		.amdhsa_float_round_mode_16_64 0
		.amdhsa_float_denorm_mode_32 3
		.amdhsa_float_denorm_mode_16_64 3
		.amdhsa_dx10_clamp 1
		.amdhsa_ieee_mode 1
		.amdhsa_fp16_overflow 0
		.amdhsa_tg_split 0
		.amdhsa_exception_fp_ieee_invalid_op 0
		.amdhsa_exception_fp_denorm_src 0
		.amdhsa_exception_fp_ieee_div_zero 0
		.amdhsa_exception_fp_ieee_overflow 0
		.amdhsa_exception_fp_ieee_underflow 0
		.amdhsa_exception_fp_ieee_inexact 0
		.amdhsa_exception_int_div_zero 0
	.end_amdhsa_kernel
	.section	.text._ZN7rocprim17ROCPRIM_400000_NS6detail17trampoline_kernelINS0_14default_configENS1_35radix_sort_onesweep_config_selectorIdlEEZZNS1_29radix_sort_onesweep_iterationIS3_Lb0EPdS7_N6thrust23THRUST_200600_302600_NS10device_ptrIlEESB_jNS0_19identity_decomposerENS1_16block_id_wrapperIjLb1EEEEE10hipError_tT1_PNSt15iterator_traitsISG_E10value_typeET2_T3_PNSH_ISM_E10value_typeET4_T5_PSR_SS_PNS1_23onesweep_lookback_stateEbbT6_jjT7_P12ihipStream_tbENKUlT_T0_SG_SL_E_clIS7_S7_PlSB_EEDaSZ_S10_SG_SL_EUlSZ_E_NS1_11comp_targetILNS1_3genE4ELNS1_11target_archE910ELNS1_3gpuE8ELNS1_3repE0EEENS1_47radix_sort_onesweep_sort_config_static_selectorELNS0_4arch9wavefront6targetE1EEEvSG_,"axG",@progbits,_ZN7rocprim17ROCPRIM_400000_NS6detail17trampoline_kernelINS0_14default_configENS1_35radix_sort_onesweep_config_selectorIdlEEZZNS1_29radix_sort_onesweep_iterationIS3_Lb0EPdS7_N6thrust23THRUST_200600_302600_NS10device_ptrIlEESB_jNS0_19identity_decomposerENS1_16block_id_wrapperIjLb1EEEEE10hipError_tT1_PNSt15iterator_traitsISG_E10value_typeET2_T3_PNSH_ISM_E10value_typeET4_T5_PSR_SS_PNS1_23onesweep_lookback_stateEbbT6_jjT7_P12ihipStream_tbENKUlT_T0_SG_SL_E_clIS7_S7_PlSB_EEDaSZ_S10_SG_SL_EUlSZ_E_NS1_11comp_targetILNS1_3genE4ELNS1_11target_archE910ELNS1_3gpuE8ELNS1_3repE0EEENS1_47radix_sort_onesweep_sort_config_static_selectorELNS0_4arch9wavefront6targetE1EEEvSG_,comdat
.Lfunc_end1638:
	.size	_ZN7rocprim17ROCPRIM_400000_NS6detail17trampoline_kernelINS0_14default_configENS1_35radix_sort_onesweep_config_selectorIdlEEZZNS1_29radix_sort_onesweep_iterationIS3_Lb0EPdS7_N6thrust23THRUST_200600_302600_NS10device_ptrIlEESB_jNS0_19identity_decomposerENS1_16block_id_wrapperIjLb1EEEEE10hipError_tT1_PNSt15iterator_traitsISG_E10value_typeET2_T3_PNSH_ISM_E10value_typeET4_T5_PSR_SS_PNS1_23onesweep_lookback_stateEbbT6_jjT7_P12ihipStream_tbENKUlT_T0_SG_SL_E_clIS7_S7_PlSB_EEDaSZ_S10_SG_SL_EUlSZ_E_NS1_11comp_targetILNS1_3genE4ELNS1_11target_archE910ELNS1_3gpuE8ELNS1_3repE0EEENS1_47radix_sort_onesweep_sort_config_static_selectorELNS0_4arch9wavefront6targetE1EEEvSG_, .Lfunc_end1638-_ZN7rocprim17ROCPRIM_400000_NS6detail17trampoline_kernelINS0_14default_configENS1_35radix_sort_onesweep_config_selectorIdlEEZZNS1_29radix_sort_onesweep_iterationIS3_Lb0EPdS7_N6thrust23THRUST_200600_302600_NS10device_ptrIlEESB_jNS0_19identity_decomposerENS1_16block_id_wrapperIjLb1EEEEE10hipError_tT1_PNSt15iterator_traitsISG_E10value_typeET2_T3_PNSH_ISM_E10value_typeET4_T5_PSR_SS_PNS1_23onesweep_lookback_stateEbbT6_jjT7_P12ihipStream_tbENKUlT_T0_SG_SL_E_clIS7_S7_PlSB_EEDaSZ_S10_SG_SL_EUlSZ_E_NS1_11comp_targetILNS1_3genE4ELNS1_11target_archE910ELNS1_3gpuE8ELNS1_3repE0EEENS1_47radix_sort_onesweep_sort_config_static_selectorELNS0_4arch9wavefront6targetE1EEEvSG_
                                        ; -- End function
	.section	.AMDGPU.csdata,"",@progbits
; Kernel info:
; codeLenInByte = 13824
; NumSgprs: 60
; NumVgprs: 57
; NumAgprs: 0
; TotalNumVgprs: 57
; ScratchSize: 0
; MemoryBound: 0
; FloatMode: 240
; IeeeMode: 1
; LDSByteSize: 20552 bytes/workgroup (compile time only)
; SGPRBlocks: 7
; VGPRBlocks: 7
; NumSGPRsForWavesPerEU: 60
; NumVGPRsForWavesPerEU: 57
; AccumOffset: 60
; Occupancy: 8
; WaveLimiterHint : 1
; COMPUTE_PGM_RSRC2:SCRATCH_EN: 0
; COMPUTE_PGM_RSRC2:USER_SGPR: 6
; COMPUTE_PGM_RSRC2:TRAP_HANDLER: 0
; COMPUTE_PGM_RSRC2:TGID_X_EN: 1
; COMPUTE_PGM_RSRC2:TGID_Y_EN: 0
; COMPUTE_PGM_RSRC2:TGID_Z_EN: 0
; COMPUTE_PGM_RSRC2:TIDIG_COMP_CNT: 2
; COMPUTE_PGM_RSRC3_GFX90A:ACCUM_OFFSET: 14
; COMPUTE_PGM_RSRC3_GFX90A:TG_SPLIT: 0
	.section	.text._ZN7rocprim17ROCPRIM_400000_NS6detail17trampoline_kernelINS0_14default_configENS1_35radix_sort_onesweep_config_selectorIdlEEZZNS1_29radix_sort_onesweep_iterationIS3_Lb0EPdS7_N6thrust23THRUST_200600_302600_NS10device_ptrIlEESB_jNS0_19identity_decomposerENS1_16block_id_wrapperIjLb1EEEEE10hipError_tT1_PNSt15iterator_traitsISG_E10value_typeET2_T3_PNSH_ISM_E10value_typeET4_T5_PSR_SS_PNS1_23onesweep_lookback_stateEbbT6_jjT7_P12ihipStream_tbENKUlT_T0_SG_SL_E_clIS7_S7_PlSB_EEDaSZ_S10_SG_SL_EUlSZ_E_NS1_11comp_targetILNS1_3genE3ELNS1_11target_archE908ELNS1_3gpuE7ELNS1_3repE0EEENS1_47radix_sort_onesweep_sort_config_static_selectorELNS0_4arch9wavefront6targetE1EEEvSG_,"axG",@progbits,_ZN7rocprim17ROCPRIM_400000_NS6detail17trampoline_kernelINS0_14default_configENS1_35radix_sort_onesweep_config_selectorIdlEEZZNS1_29radix_sort_onesweep_iterationIS3_Lb0EPdS7_N6thrust23THRUST_200600_302600_NS10device_ptrIlEESB_jNS0_19identity_decomposerENS1_16block_id_wrapperIjLb1EEEEE10hipError_tT1_PNSt15iterator_traitsISG_E10value_typeET2_T3_PNSH_ISM_E10value_typeET4_T5_PSR_SS_PNS1_23onesweep_lookback_stateEbbT6_jjT7_P12ihipStream_tbENKUlT_T0_SG_SL_E_clIS7_S7_PlSB_EEDaSZ_S10_SG_SL_EUlSZ_E_NS1_11comp_targetILNS1_3genE3ELNS1_11target_archE908ELNS1_3gpuE7ELNS1_3repE0EEENS1_47radix_sort_onesweep_sort_config_static_selectorELNS0_4arch9wavefront6targetE1EEEvSG_,comdat
	.protected	_ZN7rocprim17ROCPRIM_400000_NS6detail17trampoline_kernelINS0_14default_configENS1_35radix_sort_onesweep_config_selectorIdlEEZZNS1_29radix_sort_onesweep_iterationIS3_Lb0EPdS7_N6thrust23THRUST_200600_302600_NS10device_ptrIlEESB_jNS0_19identity_decomposerENS1_16block_id_wrapperIjLb1EEEEE10hipError_tT1_PNSt15iterator_traitsISG_E10value_typeET2_T3_PNSH_ISM_E10value_typeET4_T5_PSR_SS_PNS1_23onesweep_lookback_stateEbbT6_jjT7_P12ihipStream_tbENKUlT_T0_SG_SL_E_clIS7_S7_PlSB_EEDaSZ_S10_SG_SL_EUlSZ_E_NS1_11comp_targetILNS1_3genE3ELNS1_11target_archE908ELNS1_3gpuE7ELNS1_3repE0EEENS1_47radix_sort_onesweep_sort_config_static_selectorELNS0_4arch9wavefront6targetE1EEEvSG_ ; -- Begin function _ZN7rocprim17ROCPRIM_400000_NS6detail17trampoline_kernelINS0_14default_configENS1_35radix_sort_onesweep_config_selectorIdlEEZZNS1_29radix_sort_onesweep_iterationIS3_Lb0EPdS7_N6thrust23THRUST_200600_302600_NS10device_ptrIlEESB_jNS0_19identity_decomposerENS1_16block_id_wrapperIjLb1EEEEE10hipError_tT1_PNSt15iterator_traitsISG_E10value_typeET2_T3_PNSH_ISM_E10value_typeET4_T5_PSR_SS_PNS1_23onesweep_lookback_stateEbbT6_jjT7_P12ihipStream_tbENKUlT_T0_SG_SL_E_clIS7_S7_PlSB_EEDaSZ_S10_SG_SL_EUlSZ_E_NS1_11comp_targetILNS1_3genE3ELNS1_11target_archE908ELNS1_3gpuE7ELNS1_3repE0EEENS1_47radix_sort_onesweep_sort_config_static_selectorELNS0_4arch9wavefront6targetE1EEEvSG_
	.globl	_ZN7rocprim17ROCPRIM_400000_NS6detail17trampoline_kernelINS0_14default_configENS1_35radix_sort_onesweep_config_selectorIdlEEZZNS1_29radix_sort_onesweep_iterationIS3_Lb0EPdS7_N6thrust23THRUST_200600_302600_NS10device_ptrIlEESB_jNS0_19identity_decomposerENS1_16block_id_wrapperIjLb1EEEEE10hipError_tT1_PNSt15iterator_traitsISG_E10value_typeET2_T3_PNSH_ISM_E10value_typeET4_T5_PSR_SS_PNS1_23onesweep_lookback_stateEbbT6_jjT7_P12ihipStream_tbENKUlT_T0_SG_SL_E_clIS7_S7_PlSB_EEDaSZ_S10_SG_SL_EUlSZ_E_NS1_11comp_targetILNS1_3genE3ELNS1_11target_archE908ELNS1_3gpuE7ELNS1_3repE0EEENS1_47radix_sort_onesweep_sort_config_static_selectorELNS0_4arch9wavefront6targetE1EEEvSG_
	.p2align	8
	.type	_ZN7rocprim17ROCPRIM_400000_NS6detail17trampoline_kernelINS0_14default_configENS1_35radix_sort_onesweep_config_selectorIdlEEZZNS1_29radix_sort_onesweep_iterationIS3_Lb0EPdS7_N6thrust23THRUST_200600_302600_NS10device_ptrIlEESB_jNS0_19identity_decomposerENS1_16block_id_wrapperIjLb1EEEEE10hipError_tT1_PNSt15iterator_traitsISG_E10value_typeET2_T3_PNSH_ISM_E10value_typeET4_T5_PSR_SS_PNS1_23onesweep_lookback_stateEbbT6_jjT7_P12ihipStream_tbENKUlT_T0_SG_SL_E_clIS7_S7_PlSB_EEDaSZ_S10_SG_SL_EUlSZ_E_NS1_11comp_targetILNS1_3genE3ELNS1_11target_archE908ELNS1_3gpuE7ELNS1_3repE0EEENS1_47radix_sort_onesweep_sort_config_static_selectorELNS0_4arch9wavefront6targetE1EEEvSG_,@function
_ZN7rocprim17ROCPRIM_400000_NS6detail17trampoline_kernelINS0_14default_configENS1_35radix_sort_onesweep_config_selectorIdlEEZZNS1_29radix_sort_onesweep_iterationIS3_Lb0EPdS7_N6thrust23THRUST_200600_302600_NS10device_ptrIlEESB_jNS0_19identity_decomposerENS1_16block_id_wrapperIjLb1EEEEE10hipError_tT1_PNSt15iterator_traitsISG_E10value_typeET2_T3_PNSH_ISM_E10value_typeET4_T5_PSR_SS_PNS1_23onesweep_lookback_stateEbbT6_jjT7_P12ihipStream_tbENKUlT_T0_SG_SL_E_clIS7_S7_PlSB_EEDaSZ_S10_SG_SL_EUlSZ_E_NS1_11comp_targetILNS1_3genE3ELNS1_11target_archE908ELNS1_3gpuE7ELNS1_3repE0EEENS1_47radix_sort_onesweep_sort_config_static_selectorELNS0_4arch9wavefront6targetE1EEEvSG_: ; @_ZN7rocprim17ROCPRIM_400000_NS6detail17trampoline_kernelINS0_14default_configENS1_35radix_sort_onesweep_config_selectorIdlEEZZNS1_29radix_sort_onesweep_iterationIS3_Lb0EPdS7_N6thrust23THRUST_200600_302600_NS10device_ptrIlEESB_jNS0_19identity_decomposerENS1_16block_id_wrapperIjLb1EEEEE10hipError_tT1_PNSt15iterator_traitsISG_E10value_typeET2_T3_PNSH_ISM_E10value_typeET4_T5_PSR_SS_PNS1_23onesweep_lookback_stateEbbT6_jjT7_P12ihipStream_tbENKUlT_T0_SG_SL_E_clIS7_S7_PlSB_EEDaSZ_S10_SG_SL_EUlSZ_E_NS1_11comp_targetILNS1_3genE3ELNS1_11target_archE908ELNS1_3gpuE7ELNS1_3repE0EEENS1_47radix_sort_onesweep_sort_config_static_selectorELNS0_4arch9wavefront6targetE1EEEvSG_
; %bb.0:
	.section	.rodata,"a",@progbits
	.p2align	6, 0x0
	.amdhsa_kernel _ZN7rocprim17ROCPRIM_400000_NS6detail17trampoline_kernelINS0_14default_configENS1_35radix_sort_onesweep_config_selectorIdlEEZZNS1_29radix_sort_onesweep_iterationIS3_Lb0EPdS7_N6thrust23THRUST_200600_302600_NS10device_ptrIlEESB_jNS0_19identity_decomposerENS1_16block_id_wrapperIjLb1EEEEE10hipError_tT1_PNSt15iterator_traitsISG_E10value_typeET2_T3_PNSH_ISM_E10value_typeET4_T5_PSR_SS_PNS1_23onesweep_lookback_stateEbbT6_jjT7_P12ihipStream_tbENKUlT_T0_SG_SL_E_clIS7_S7_PlSB_EEDaSZ_S10_SG_SL_EUlSZ_E_NS1_11comp_targetILNS1_3genE3ELNS1_11target_archE908ELNS1_3gpuE7ELNS1_3repE0EEENS1_47radix_sort_onesweep_sort_config_static_selectorELNS0_4arch9wavefront6targetE1EEEvSG_
		.amdhsa_group_segment_fixed_size 0
		.amdhsa_private_segment_fixed_size 0
		.amdhsa_kernarg_size 88
		.amdhsa_user_sgpr_count 6
		.amdhsa_user_sgpr_private_segment_buffer 1
		.amdhsa_user_sgpr_dispatch_ptr 0
		.amdhsa_user_sgpr_queue_ptr 0
		.amdhsa_user_sgpr_kernarg_segment_ptr 1
		.amdhsa_user_sgpr_dispatch_id 0
		.amdhsa_user_sgpr_flat_scratch_init 0
		.amdhsa_user_sgpr_kernarg_preload_length 0
		.amdhsa_user_sgpr_kernarg_preload_offset 0
		.amdhsa_user_sgpr_private_segment_size 0
		.amdhsa_uses_dynamic_stack 0
		.amdhsa_system_sgpr_private_segment_wavefront_offset 0
		.amdhsa_system_sgpr_workgroup_id_x 1
		.amdhsa_system_sgpr_workgroup_id_y 0
		.amdhsa_system_sgpr_workgroup_id_z 0
		.amdhsa_system_sgpr_workgroup_info 0
		.amdhsa_system_vgpr_workitem_id 0
		.amdhsa_next_free_vgpr 1
		.amdhsa_next_free_sgpr 0
		.amdhsa_accum_offset 4
		.amdhsa_reserve_vcc 0
		.amdhsa_reserve_flat_scratch 0
		.amdhsa_float_round_mode_32 0
		.amdhsa_float_round_mode_16_64 0
		.amdhsa_float_denorm_mode_32 3
		.amdhsa_float_denorm_mode_16_64 3
		.amdhsa_dx10_clamp 1
		.amdhsa_ieee_mode 1
		.amdhsa_fp16_overflow 0
		.amdhsa_tg_split 0
		.amdhsa_exception_fp_ieee_invalid_op 0
		.amdhsa_exception_fp_denorm_src 0
		.amdhsa_exception_fp_ieee_div_zero 0
		.amdhsa_exception_fp_ieee_overflow 0
		.amdhsa_exception_fp_ieee_underflow 0
		.amdhsa_exception_fp_ieee_inexact 0
		.amdhsa_exception_int_div_zero 0
	.end_amdhsa_kernel
	.section	.text._ZN7rocprim17ROCPRIM_400000_NS6detail17trampoline_kernelINS0_14default_configENS1_35radix_sort_onesweep_config_selectorIdlEEZZNS1_29radix_sort_onesweep_iterationIS3_Lb0EPdS7_N6thrust23THRUST_200600_302600_NS10device_ptrIlEESB_jNS0_19identity_decomposerENS1_16block_id_wrapperIjLb1EEEEE10hipError_tT1_PNSt15iterator_traitsISG_E10value_typeET2_T3_PNSH_ISM_E10value_typeET4_T5_PSR_SS_PNS1_23onesweep_lookback_stateEbbT6_jjT7_P12ihipStream_tbENKUlT_T0_SG_SL_E_clIS7_S7_PlSB_EEDaSZ_S10_SG_SL_EUlSZ_E_NS1_11comp_targetILNS1_3genE3ELNS1_11target_archE908ELNS1_3gpuE7ELNS1_3repE0EEENS1_47radix_sort_onesweep_sort_config_static_selectorELNS0_4arch9wavefront6targetE1EEEvSG_,"axG",@progbits,_ZN7rocprim17ROCPRIM_400000_NS6detail17trampoline_kernelINS0_14default_configENS1_35radix_sort_onesweep_config_selectorIdlEEZZNS1_29radix_sort_onesweep_iterationIS3_Lb0EPdS7_N6thrust23THRUST_200600_302600_NS10device_ptrIlEESB_jNS0_19identity_decomposerENS1_16block_id_wrapperIjLb1EEEEE10hipError_tT1_PNSt15iterator_traitsISG_E10value_typeET2_T3_PNSH_ISM_E10value_typeET4_T5_PSR_SS_PNS1_23onesweep_lookback_stateEbbT6_jjT7_P12ihipStream_tbENKUlT_T0_SG_SL_E_clIS7_S7_PlSB_EEDaSZ_S10_SG_SL_EUlSZ_E_NS1_11comp_targetILNS1_3genE3ELNS1_11target_archE908ELNS1_3gpuE7ELNS1_3repE0EEENS1_47radix_sort_onesweep_sort_config_static_selectorELNS0_4arch9wavefront6targetE1EEEvSG_,comdat
.Lfunc_end1639:
	.size	_ZN7rocprim17ROCPRIM_400000_NS6detail17trampoline_kernelINS0_14default_configENS1_35radix_sort_onesweep_config_selectorIdlEEZZNS1_29radix_sort_onesweep_iterationIS3_Lb0EPdS7_N6thrust23THRUST_200600_302600_NS10device_ptrIlEESB_jNS0_19identity_decomposerENS1_16block_id_wrapperIjLb1EEEEE10hipError_tT1_PNSt15iterator_traitsISG_E10value_typeET2_T3_PNSH_ISM_E10value_typeET4_T5_PSR_SS_PNS1_23onesweep_lookback_stateEbbT6_jjT7_P12ihipStream_tbENKUlT_T0_SG_SL_E_clIS7_S7_PlSB_EEDaSZ_S10_SG_SL_EUlSZ_E_NS1_11comp_targetILNS1_3genE3ELNS1_11target_archE908ELNS1_3gpuE7ELNS1_3repE0EEENS1_47radix_sort_onesweep_sort_config_static_selectorELNS0_4arch9wavefront6targetE1EEEvSG_, .Lfunc_end1639-_ZN7rocprim17ROCPRIM_400000_NS6detail17trampoline_kernelINS0_14default_configENS1_35radix_sort_onesweep_config_selectorIdlEEZZNS1_29radix_sort_onesweep_iterationIS3_Lb0EPdS7_N6thrust23THRUST_200600_302600_NS10device_ptrIlEESB_jNS0_19identity_decomposerENS1_16block_id_wrapperIjLb1EEEEE10hipError_tT1_PNSt15iterator_traitsISG_E10value_typeET2_T3_PNSH_ISM_E10value_typeET4_T5_PSR_SS_PNS1_23onesweep_lookback_stateEbbT6_jjT7_P12ihipStream_tbENKUlT_T0_SG_SL_E_clIS7_S7_PlSB_EEDaSZ_S10_SG_SL_EUlSZ_E_NS1_11comp_targetILNS1_3genE3ELNS1_11target_archE908ELNS1_3gpuE7ELNS1_3repE0EEENS1_47radix_sort_onesweep_sort_config_static_selectorELNS0_4arch9wavefront6targetE1EEEvSG_
                                        ; -- End function
	.section	.AMDGPU.csdata,"",@progbits
; Kernel info:
; codeLenInByte = 0
; NumSgprs: 4
; NumVgprs: 0
; NumAgprs: 0
; TotalNumVgprs: 0
; ScratchSize: 0
; MemoryBound: 0
; FloatMode: 240
; IeeeMode: 1
; LDSByteSize: 0 bytes/workgroup (compile time only)
; SGPRBlocks: 0
; VGPRBlocks: 0
; NumSGPRsForWavesPerEU: 4
; NumVGPRsForWavesPerEU: 1
; AccumOffset: 4
; Occupancy: 8
; WaveLimiterHint : 0
; COMPUTE_PGM_RSRC2:SCRATCH_EN: 0
; COMPUTE_PGM_RSRC2:USER_SGPR: 6
; COMPUTE_PGM_RSRC2:TRAP_HANDLER: 0
; COMPUTE_PGM_RSRC2:TGID_X_EN: 1
; COMPUTE_PGM_RSRC2:TGID_Y_EN: 0
; COMPUTE_PGM_RSRC2:TGID_Z_EN: 0
; COMPUTE_PGM_RSRC2:TIDIG_COMP_CNT: 0
; COMPUTE_PGM_RSRC3_GFX90A:ACCUM_OFFSET: 0
; COMPUTE_PGM_RSRC3_GFX90A:TG_SPLIT: 0
	.section	.text._ZN7rocprim17ROCPRIM_400000_NS6detail17trampoline_kernelINS0_14default_configENS1_35radix_sort_onesweep_config_selectorIdlEEZZNS1_29radix_sort_onesweep_iterationIS3_Lb0EPdS7_N6thrust23THRUST_200600_302600_NS10device_ptrIlEESB_jNS0_19identity_decomposerENS1_16block_id_wrapperIjLb1EEEEE10hipError_tT1_PNSt15iterator_traitsISG_E10value_typeET2_T3_PNSH_ISM_E10value_typeET4_T5_PSR_SS_PNS1_23onesweep_lookback_stateEbbT6_jjT7_P12ihipStream_tbENKUlT_T0_SG_SL_E_clIS7_S7_PlSB_EEDaSZ_S10_SG_SL_EUlSZ_E_NS1_11comp_targetILNS1_3genE10ELNS1_11target_archE1201ELNS1_3gpuE5ELNS1_3repE0EEENS1_47radix_sort_onesweep_sort_config_static_selectorELNS0_4arch9wavefront6targetE1EEEvSG_,"axG",@progbits,_ZN7rocprim17ROCPRIM_400000_NS6detail17trampoline_kernelINS0_14default_configENS1_35radix_sort_onesweep_config_selectorIdlEEZZNS1_29radix_sort_onesweep_iterationIS3_Lb0EPdS7_N6thrust23THRUST_200600_302600_NS10device_ptrIlEESB_jNS0_19identity_decomposerENS1_16block_id_wrapperIjLb1EEEEE10hipError_tT1_PNSt15iterator_traitsISG_E10value_typeET2_T3_PNSH_ISM_E10value_typeET4_T5_PSR_SS_PNS1_23onesweep_lookback_stateEbbT6_jjT7_P12ihipStream_tbENKUlT_T0_SG_SL_E_clIS7_S7_PlSB_EEDaSZ_S10_SG_SL_EUlSZ_E_NS1_11comp_targetILNS1_3genE10ELNS1_11target_archE1201ELNS1_3gpuE5ELNS1_3repE0EEENS1_47radix_sort_onesweep_sort_config_static_selectorELNS0_4arch9wavefront6targetE1EEEvSG_,comdat
	.protected	_ZN7rocprim17ROCPRIM_400000_NS6detail17trampoline_kernelINS0_14default_configENS1_35radix_sort_onesweep_config_selectorIdlEEZZNS1_29radix_sort_onesweep_iterationIS3_Lb0EPdS7_N6thrust23THRUST_200600_302600_NS10device_ptrIlEESB_jNS0_19identity_decomposerENS1_16block_id_wrapperIjLb1EEEEE10hipError_tT1_PNSt15iterator_traitsISG_E10value_typeET2_T3_PNSH_ISM_E10value_typeET4_T5_PSR_SS_PNS1_23onesweep_lookback_stateEbbT6_jjT7_P12ihipStream_tbENKUlT_T0_SG_SL_E_clIS7_S7_PlSB_EEDaSZ_S10_SG_SL_EUlSZ_E_NS1_11comp_targetILNS1_3genE10ELNS1_11target_archE1201ELNS1_3gpuE5ELNS1_3repE0EEENS1_47radix_sort_onesweep_sort_config_static_selectorELNS0_4arch9wavefront6targetE1EEEvSG_ ; -- Begin function _ZN7rocprim17ROCPRIM_400000_NS6detail17trampoline_kernelINS0_14default_configENS1_35radix_sort_onesweep_config_selectorIdlEEZZNS1_29radix_sort_onesweep_iterationIS3_Lb0EPdS7_N6thrust23THRUST_200600_302600_NS10device_ptrIlEESB_jNS0_19identity_decomposerENS1_16block_id_wrapperIjLb1EEEEE10hipError_tT1_PNSt15iterator_traitsISG_E10value_typeET2_T3_PNSH_ISM_E10value_typeET4_T5_PSR_SS_PNS1_23onesweep_lookback_stateEbbT6_jjT7_P12ihipStream_tbENKUlT_T0_SG_SL_E_clIS7_S7_PlSB_EEDaSZ_S10_SG_SL_EUlSZ_E_NS1_11comp_targetILNS1_3genE10ELNS1_11target_archE1201ELNS1_3gpuE5ELNS1_3repE0EEENS1_47radix_sort_onesweep_sort_config_static_selectorELNS0_4arch9wavefront6targetE1EEEvSG_
	.globl	_ZN7rocprim17ROCPRIM_400000_NS6detail17trampoline_kernelINS0_14default_configENS1_35radix_sort_onesweep_config_selectorIdlEEZZNS1_29radix_sort_onesweep_iterationIS3_Lb0EPdS7_N6thrust23THRUST_200600_302600_NS10device_ptrIlEESB_jNS0_19identity_decomposerENS1_16block_id_wrapperIjLb1EEEEE10hipError_tT1_PNSt15iterator_traitsISG_E10value_typeET2_T3_PNSH_ISM_E10value_typeET4_T5_PSR_SS_PNS1_23onesweep_lookback_stateEbbT6_jjT7_P12ihipStream_tbENKUlT_T0_SG_SL_E_clIS7_S7_PlSB_EEDaSZ_S10_SG_SL_EUlSZ_E_NS1_11comp_targetILNS1_3genE10ELNS1_11target_archE1201ELNS1_3gpuE5ELNS1_3repE0EEENS1_47radix_sort_onesweep_sort_config_static_selectorELNS0_4arch9wavefront6targetE1EEEvSG_
	.p2align	8
	.type	_ZN7rocprim17ROCPRIM_400000_NS6detail17trampoline_kernelINS0_14default_configENS1_35radix_sort_onesweep_config_selectorIdlEEZZNS1_29radix_sort_onesweep_iterationIS3_Lb0EPdS7_N6thrust23THRUST_200600_302600_NS10device_ptrIlEESB_jNS0_19identity_decomposerENS1_16block_id_wrapperIjLb1EEEEE10hipError_tT1_PNSt15iterator_traitsISG_E10value_typeET2_T3_PNSH_ISM_E10value_typeET4_T5_PSR_SS_PNS1_23onesweep_lookback_stateEbbT6_jjT7_P12ihipStream_tbENKUlT_T0_SG_SL_E_clIS7_S7_PlSB_EEDaSZ_S10_SG_SL_EUlSZ_E_NS1_11comp_targetILNS1_3genE10ELNS1_11target_archE1201ELNS1_3gpuE5ELNS1_3repE0EEENS1_47radix_sort_onesweep_sort_config_static_selectorELNS0_4arch9wavefront6targetE1EEEvSG_,@function
_ZN7rocprim17ROCPRIM_400000_NS6detail17trampoline_kernelINS0_14default_configENS1_35radix_sort_onesweep_config_selectorIdlEEZZNS1_29radix_sort_onesweep_iterationIS3_Lb0EPdS7_N6thrust23THRUST_200600_302600_NS10device_ptrIlEESB_jNS0_19identity_decomposerENS1_16block_id_wrapperIjLb1EEEEE10hipError_tT1_PNSt15iterator_traitsISG_E10value_typeET2_T3_PNSH_ISM_E10value_typeET4_T5_PSR_SS_PNS1_23onesweep_lookback_stateEbbT6_jjT7_P12ihipStream_tbENKUlT_T0_SG_SL_E_clIS7_S7_PlSB_EEDaSZ_S10_SG_SL_EUlSZ_E_NS1_11comp_targetILNS1_3genE10ELNS1_11target_archE1201ELNS1_3gpuE5ELNS1_3repE0EEENS1_47radix_sort_onesweep_sort_config_static_selectorELNS0_4arch9wavefront6targetE1EEEvSG_: ; @_ZN7rocprim17ROCPRIM_400000_NS6detail17trampoline_kernelINS0_14default_configENS1_35radix_sort_onesweep_config_selectorIdlEEZZNS1_29radix_sort_onesweep_iterationIS3_Lb0EPdS7_N6thrust23THRUST_200600_302600_NS10device_ptrIlEESB_jNS0_19identity_decomposerENS1_16block_id_wrapperIjLb1EEEEE10hipError_tT1_PNSt15iterator_traitsISG_E10value_typeET2_T3_PNSH_ISM_E10value_typeET4_T5_PSR_SS_PNS1_23onesweep_lookback_stateEbbT6_jjT7_P12ihipStream_tbENKUlT_T0_SG_SL_E_clIS7_S7_PlSB_EEDaSZ_S10_SG_SL_EUlSZ_E_NS1_11comp_targetILNS1_3genE10ELNS1_11target_archE1201ELNS1_3gpuE5ELNS1_3repE0EEENS1_47radix_sort_onesweep_sort_config_static_selectorELNS0_4arch9wavefront6targetE1EEEvSG_
; %bb.0:
	.section	.rodata,"a",@progbits
	.p2align	6, 0x0
	.amdhsa_kernel _ZN7rocprim17ROCPRIM_400000_NS6detail17trampoline_kernelINS0_14default_configENS1_35radix_sort_onesweep_config_selectorIdlEEZZNS1_29radix_sort_onesweep_iterationIS3_Lb0EPdS7_N6thrust23THRUST_200600_302600_NS10device_ptrIlEESB_jNS0_19identity_decomposerENS1_16block_id_wrapperIjLb1EEEEE10hipError_tT1_PNSt15iterator_traitsISG_E10value_typeET2_T3_PNSH_ISM_E10value_typeET4_T5_PSR_SS_PNS1_23onesweep_lookback_stateEbbT6_jjT7_P12ihipStream_tbENKUlT_T0_SG_SL_E_clIS7_S7_PlSB_EEDaSZ_S10_SG_SL_EUlSZ_E_NS1_11comp_targetILNS1_3genE10ELNS1_11target_archE1201ELNS1_3gpuE5ELNS1_3repE0EEENS1_47radix_sort_onesweep_sort_config_static_selectorELNS0_4arch9wavefront6targetE1EEEvSG_
		.amdhsa_group_segment_fixed_size 0
		.amdhsa_private_segment_fixed_size 0
		.amdhsa_kernarg_size 88
		.amdhsa_user_sgpr_count 6
		.amdhsa_user_sgpr_private_segment_buffer 1
		.amdhsa_user_sgpr_dispatch_ptr 0
		.amdhsa_user_sgpr_queue_ptr 0
		.amdhsa_user_sgpr_kernarg_segment_ptr 1
		.amdhsa_user_sgpr_dispatch_id 0
		.amdhsa_user_sgpr_flat_scratch_init 0
		.amdhsa_user_sgpr_kernarg_preload_length 0
		.amdhsa_user_sgpr_kernarg_preload_offset 0
		.amdhsa_user_sgpr_private_segment_size 0
		.amdhsa_uses_dynamic_stack 0
		.amdhsa_system_sgpr_private_segment_wavefront_offset 0
		.amdhsa_system_sgpr_workgroup_id_x 1
		.amdhsa_system_sgpr_workgroup_id_y 0
		.amdhsa_system_sgpr_workgroup_id_z 0
		.amdhsa_system_sgpr_workgroup_info 0
		.amdhsa_system_vgpr_workitem_id 0
		.amdhsa_next_free_vgpr 1
		.amdhsa_next_free_sgpr 0
		.amdhsa_accum_offset 4
		.amdhsa_reserve_vcc 0
		.amdhsa_reserve_flat_scratch 0
		.amdhsa_float_round_mode_32 0
		.amdhsa_float_round_mode_16_64 0
		.amdhsa_float_denorm_mode_32 3
		.amdhsa_float_denorm_mode_16_64 3
		.amdhsa_dx10_clamp 1
		.amdhsa_ieee_mode 1
		.amdhsa_fp16_overflow 0
		.amdhsa_tg_split 0
		.amdhsa_exception_fp_ieee_invalid_op 0
		.amdhsa_exception_fp_denorm_src 0
		.amdhsa_exception_fp_ieee_div_zero 0
		.amdhsa_exception_fp_ieee_overflow 0
		.amdhsa_exception_fp_ieee_underflow 0
		.amdhsa_exception_fp_ieee_inexact 0
		.amdhsa_exception_int_div_zero 0
	.end_amdhsa_kernel
	.section	.text._ZN7rocprim17ROCPRIM_400000_NS6detail17trampoline_kernelINS0_14default_configENS1_35radix_sort_onesweep_config_selectorIdlEEZZNS1_29radix_sort_onesweep_iterationIS3_Lb0EPdS7_N6thrust23THRUST_200600_302600_NS10device_ptrIlEESB_jNS0_19identity_decomposerENS1_16block_id_wrapperIjLb1EEEEE10hipError_tT1_PNSt15iterator_traitsISG_E10value_typeET2_T3_PNSH_ISM_E10value_typeET4_T5_PSR_SS_PNS1_23onesweep_lookback_stateEbbT6_jjT7_P12ihipStream_tbENKUlT_T0_SG_SL_E_clIS7_S7_PlSB_EEDaSZ_S10_SG_SL_EUlSZ_E_NS1_11comp_targetILNS1_3genE10ELNS1_11target_archE1201ELNS1_3gpuE5ELNS1_3repE0EEENS1_47radix_sort_onesweep_sort_config_static_selectorELNS0_4arch9wavefront6targetE1EEEvSG_,"axG",@progbits,_ZN7rocprim17ROCPRIM_400000_NS6detail17trampoline_kernelINS0_14default_configENS1_35radix_sort_onesweep_config_selectorIdlEEZZNS1_29radix_sort_onesweep_iterationIS3_Lb0EPdS7_N6thrust23THRUST_200600_302600_NS10device_ptrIlEESB_jNS0_19identity_decomposerENS1_16block_id_wrapperIjLb1EEEEE10hipError_tT1_PNSt15iterator_traitsISG_E10value_typeET2_T3_PNSH_ISM_E10value_typeET4_T5_PSR_SS_PNS1_23onesweep_lookback_stateEbbT6_jjT7_P12ihipStream_tbENKUlT_T0_SG_SL_E_clIS7_S7_PlSB_EEDaSZ_S10_SG_SL_EUlSZ_E_NS1_11comp_targetILNS1_3genE10ELNS1_11target_archE1201ELNS1_3gpuE5ELNS1_3repE0EEENS1_47radix_sort_onesweep_sort_config_static_selectorELNS0_4arch9wavefront6targetE1EEEvSG_,comdat
.Lfunc_end1640:
	.size	_ZN7rocprim17ROCPRIM_400000_NS6detail17trampoline_kernelINS0_14default_configENS1_35radix_sort_onesweep_config_selectorIdlEEZZNS1_29radix_sort_onesweep_iterationIS3_Lb0EPdS7_N6thrust23THRUST_200600_302600_NS10device_ptrIlEESB_jNS0_19identity_decomposerENS1_16block_id_wrapperIjLb1EEEEE10hipError_tT1_PNSt15iterator_traitsISG_E10value_typeET2_T3_PNSH_ISM_E10value_typeET4_T5_PSR_SS_PNS1_23onesweep_lookback_stateEbbT6_jjT7_P12ihipStream_tbENKUlT_T0_SG_SL_E_clIS7_S7_PlSB_EEDaSZ_S10_SG_SL_EUlSZ_E_NS1_11comp_targetILNS1_3genE10ELNS1_11target_archE1201ELNS1_3gpuE5ELNS1_3repE0EEENS1_47radix_sort_onesweep_sort_config_static_selectorELNS0_4arch9wavefront6targetE1EEEvSG_, .Lfunc_end1640-_ZN7rocprim17ROCPRIM_400000_NS6detail17trampoline_kernelINS0_14default_configENS1_35radix_sort_onesweep_config_selectorIdlEEZZNS1_29radix_sort_onesweep_iterationIS3_Lb0EPdS7_N6thrust23THRUST_200600_302600_NS10device_ptrIlEESB_jNS0_19identity_decomposerENS1_16block_id_wrapperIjLb1EEEEE10hipError_tT1_PNSt15iterator_traitsISG_E10value_typeET2_T3_PNSH_ISM_E10value_typeET4_T5_PSR_SS_PNS1_23onesweep_lookback_stateEbbT6_jjT7_P12ihipStream_tbENKUlT_T0_SG_SL_E_clIS7_S7_PlSB_EEDaSZ_S10_SG_SL_EUlSZ_E_NS1_11comp_targetILNS1_3genE10ELNS1_11target_archE1201ELNS1_3gpuE5ELNS1_3repE0EEENS1_47radix_sort_onesweep_sort_config_static_selectorELNS0_4arch9wavefront6targetE1EEEvSG_
                                        ; -- End function
	.section	.AMDGPU.csdata,"",@progbits
; Kernel info:
; codeLenInByte = 0
; NumSgprs: 4
; NumVgprs: 0
; NumAgprs: 0
; TotalNumVgprs: 0
; ScratchSize: 0
; MemoryBound: 0
; FloatMode: 240
; IeeeMode: 1
; LDSByteSize: 0 bytes/workgroup (compile time only)
; SGPRBlocks: 0
; VGPRBlocks: 0
; NumSGPRsForWavesPerEU: 4
; NumVGPRsForWavesPerEU: 1
; AccumOffset: 4
; Occupancy: 8
; WaveLimiterHint : 0
; COMPUTE_PGM_RSRC2:SCRATCH_EN: 0
; COMPUTE_PGM_RSRC2:USER_SGPR: 6
; COMPUTE_PGM_RSRC2:TRAP_HANDLER: 0
; COMPUTE_PGM_RSRC2:TGID_X_EN: 1
; COMPUTE_PGM_RSRC2:TGID_Y_EN: 0
; COMPUTE_PGM_RSRC2:TGID_Z_EN: 0
; COMPUTE_PGM_RSRC2:TIDIG_COMP_CNT: 0
; COMPUTE_PGM_RSRC3_GFX90A:ACCUM_OFFSET: 0
; COMPUTE_PGM_RSRC3_GFX90A:TG_SPLIT: 0
	.section	.text._ZN7rocprim17ROCPRIM_400000_NS6detail17trampoline_kernelINS0_14default_configENS1_35radix_sort_onesweep_config_selectorIdlEEZZNS1_29radix_sort_onesweep_iterationIS3_Lb0EPdS7_N6thrust23THRUST_200600_302600_NS10device_ptrIlEESB_jNS0_19identity_decomposerENS1_16block_id_wrapperIjLb1EEEEE10hipError_tT1_PNSt15iterator_traitsISG_E10value_typeET2_T3_PNSH_ISM_E10value_typeET4_T5_PSR_SS_PNS1_23onesweep_lookback_stateEbbT6_jjT7_P12ihipStream_tbENKUlT_T0_SG_SL_E_clIS7_S7_PlSB_EEDaSZ_S10_SG_SL_EUlSZ_E_NS1_11comp_targetILNS1_3genE9ELNS1_11target_archE1100ELNS1_3gpuE3ELNS1_3repE0EEENS1_47radix_sort_onesweep_sort_config_static_selectorELNS0_4arch9wavefront6targetE1EEEvSG_,"axG",@progbits,_ZN7rocprim17ROCPRIM_400000_NS6detail17trampoline_kernelINS0_14default_configENS1_35radix_sort_onesweep_config_selectorIdlEEZZNS1_29radix_sort_onesweep_iterationIS3_Lb0EPdS7_N6thrust23THRUST_200600_302600_NS10device_ptrIlEESB_jNS0_19identity_decomposerENS1_16block_id_wrapperIjLb1EEEEE10hipError_tT1_PNSt15iterator_traitsISG_E10value_typeET2_T3_PNSH_ISM_E10value_typeET4_T5_PSR_SS_PNS1_23onesweep_lookback_stateEbbT6_jjT7_P12ihipStream_tbENKUlT_T0_SG_SL_E_clIS7_S7_PlSB_EEDaSZ_S10_SG_SL_EUlSZ_E_NS1_11comp_targetILNS1_3genE9ELNS1_11target_archE1100ELNS1_3gpuE3ELNS1_3repE0EEENS1_47radix_sort_onesweep_sort_config_static_selectorELNS0_4arch9wavefront6targetE1EEEvSG_,comdat
	.protected	_ZN7rocprim17ROCPRIM_400000_NS6detail17trampoline_kernelINS0_14default_configENS1_35radix_sort_onesweep_config_selectorIdlEEZZNS1_29radix_sort_onesweep_iterationIS3_Lb0EPdS7_N6thrust23THRUST_200600_302600_NS10device_ptrIlEESB_jNS0_19identity_decomposerENS1_16block_id_wrapperIjLb1EEEEE10hipError_tT1_PNSt15iterator_traitsISG_E10value_typeET2_T3_PNSH_ISM_E10value_typeET4_T5_PSR_SS_PNS1_23onesweep_lookback_stateEbbT6_jjT7_P12ihipStream_tbENKUlT_T0_SG_SL_E_clIS7_S7_PlSB_EEDaSZ_S10_SG_SL_EUlSZ_E_NS1_11comp_targetILNS1_3genE9ELNS1_11target_archE1100ELNS1_3gpuE3ELNS1_3repE0EEENS1_47radix_sort_onesweep_sort_config_static_selectorELNS0_4arch9wavefront6targetE1EEEvSG_ ; -- Begin function _ZN7rocprim17ROCPRIM_400000_NS6detail17trampoline_kernelINS0_14default_configENS1_35radix_sort_onesweep_config_selectorIdlEEZZNS1_29radix_sort_onesweep_iterationIS3_Lb0EPdS7_N6thrust23THRUST_200600_302600_NS10device_ptrIlEESB_jNS0_19identity_decomposerENS1_16block_id_wrapperIjLb1EEEEE10hipError_tT1_PNSt15iterator_traitsISG_E10value_typeET2_T3_PNSH_ISM_E10value_typeET4_T5_PSR_SS_PNS1_23onesweep_lookback_stateEbbT6_jjT7_P12ihipStream_tbENKUlT_T0_SG_SL_E_clIS7_S7_PlSB_EEDaSZ_S10_SG_SL_EUlSZ_E_NS1_11comp_targetILNS1_3genE9ELNS1_11target_archE1100ELNS1_3gpuE3ELNS1_3repE0EEENS1_47radix_sort_onesweep_sort_config_static_selectorELNS0_4arch9wavefront6targetE1EEEvSG_
	.globl	_ZN7rocprim17ROCPRIM_400000_NS6detail17trampoline_kernelINS0_14default_configENS1_35radix_sort_onesweep_config_selectorIdlEEZZNS1_29radix_sort_onesweep_iterationIS3_Lb0EPdS7_N6thrust23THRUST_200600_302600_NS10device_ptrIlEESB_jNS0_19identity_decomposerENS1_16block_id_wrapperIjLb1EEEEE10hipError_tT1_PNSt15iterator_traitsISG_E10value_typeET2_T3_PNSH_ISM_E10value_typeET4_T5_PSR_SS_PNS1_23onesweep_lookback_stateEbbT6_jjT7_P12ihipStream_tbENKUlT_T0_SG_SL_E_clIS7_S7_PlSB_EEDaSZ_S10_SG_SL_EUlSZ_E_NS1_11comp_targetILNS1_3genE9ELNS1_11target_archE1100ELNS1_3gpuE3ELNS1_3repE0EEENS1_47radix_sort_onesweep_sort_config_static_selectorELNS0_4arch9wavefront6targetE1EEEvSG_
	.p2align	8
	.type	_ZN7rocprim17ROCPRIM_400000_NS6detail17trampoline_kernelINS0_14default_configENS1_35radix_sort_onesweep_config_selectorIdlEEZZNS1_29radix_sort_onesweep_iterationIS3_Lb0EPdS7_N6thrust23THRUST_200600_302600_NS10device_ptrIlEESB_jNS0_19identity_decomposerENS1_16block_id_wrapperIjLb1EEEEE10hipError_tT1_PNSt15iterator_traitsISG_E10value_typeET2_T3_PNSH_ISM_E10value_typeET4_T5_PSR_SS_PNS1_23onesweep_lookback_stateEbbT6_jjT7_P12ihipStream_tbENKUlT_T0_SG_SL_E_clIS7_S7_PlSB_EEDaSZ_S10_SG_SL_EUlSZ_E_NS1_11comp_targetILNS1_3genE9ELNS1_11target_archE1100ELNS1_3gpuE3ELNS1_3repE0EEENS1_47radix_sort_onesweep_sort_config_static_selectorELNS0_4arch9wavefront6targetE1EEEvSG_,@function
_ZN7rocprim17ROCPRIM_400000_NS6detail17trampoline_kernelINS0_14default_configENS1_35radix_sort_onesweep_config_selectorIdlEEZZNS1_29radix_sort_onesweep_iterationIS3_Lb0EPdS7_N6thrust23THRUST_200600_302600_NS10device_ptrIlEESB_jNS0_19identity_decomposerENS1_16block_id_wrapperIjLb1EEEEE10hipError_tT1_PNSt15iterator_traitsISG_E10value_typeET2_T3_PNSH_ISM_E10value_typeET4_T5_PSR_SS_PNS1_23onesweep_lookback_stateEbbT6_jjT7_P12ihipStream_tbENKUlT_T0_SG_SL_E_clIS7_S7_PlSB_EEDaSZ_S10_SG_SL_EUlSZ_E_NS1_11comp_targetILNS1_3genE9ELNS1_11target_archE1100ELNS1_3gpuE3ELNS1_3repE0EEENS1_47radix_sort_onesweep_sort_config_static_selectorELNS0_4arch9wavefront6targetE1EEEvSG_: ; @_ZN7rocprim17ROCPRIM_400000_NS6detail17trampoline_kernelINS0_14default_configENS1_35radix_sort_onesweep_config_selectorIdlEEZZNS1_29radix_sort_onesweep_iterationIS3_Lb0EPdS7_N6thrust23THRUST_200600_302600_NS10device_ptrIlEESB_jNS0_19identity_decomposerENS1_16block_id_wrapperIjLb1EEEEE10hipError_tT1_PNSt15iterator_traitsISG_E10value_typeET2_T3_PNSH_ISM_E10value_typeET4_T5_PSR_SS_PNS1_23onesweep_lookback_stateEbbT6_jjT7_P12ihipStream_tbENKUlT_T0_SG_SL_E_clIS7_S7_PlSB_EEDaSZ_S10_SG_SL_EUlSZ_E_NS1_11comp_targetILNS1_3genE9ELNS1_11target_archE1100ELNS1_3gpuE3ELNS1_3repE0EEENS1_47radix_sort_onesweep_sort_config_static_selectorELNS0_4arch9wavefront6targetE1EEEvSG_
; %bb.0:
	.section	.rodata,"a",@progbits
	.p2align	6, 0x0
	.amdhsa_kernel _ZN7rocprim17ROCPRIM_400000_NS6detail17trampoline_kernelINS0_14default_configENS1_35radix_sort_onesweep_config_selectorIdlEEZZNS1_29radix_sort_onesweep_iterationIS3_Lb0EPdS7_N6thrust23THRUST_200600_302600_NS10device_ptrIlEESB_jNS0_19identity_decomposerENS1_16block_id_wrapperIjLb1EEEEE10hipError_tT1_PNSt15iterator_traitsISG_E10value_typeET2_T3_PNSH_ISM_E10value_typeET4_T5_PSR_SS_PNS1_23onesweep_lookback_stateEbbT6_jjT7_P12ihipStream_tbENKUlT_T0_SG_SL_E_clIS7_S7_PlSB_EEDaSZ_S10_SG_SL_EUlSZ_E_NS1_11comp_targetILNS1_3genE9ELNS1_11target_archE1100ELNS1_3gpuE3ELNS1_3repE0EEENS1_47radix_sort_onesweep_sort_config_static_selectorELNS0_4arch9wavefront6targetE1EEEvSG_
		.amdhsa_group_segment_fixed_size 0
		.amdhsa_private_segment_fixed_size 0
		.amdhsa_kernarg_size 88
		.amdhsa_user_sgpr_count 6
		.amdhsa_user_sgpr_private_segment_buffer 1
		.amdhsa_user_sgpr_dispatch_ptr 0
		.amdhsa_user_sgpr_queue_ptr 0
		.amdhsa_user_sgpr_kernarg_segment_ptr 1
		.amdhsa_user_sgpr_dispatch_id 0
		.amdhsa_user_sgpr_flat_scratch_init 0
		.amdhsa_user_sgpr_kernarg_preload_length 0
		.amdhsa_user_sgpr_kernarg_preload_offset 0
		.amdhsa_user_sgpr_private_segment_size 0
		.amdhsa_uses_dynamic_stack 0
		.amdhsa_system_sgpr_private_segment_wavefront_offset 0
		.amdhsa_system_sgpr_workgroup_id_x 1
		.amdhsa_system_sgpr_workgroup_id_y 0
		.amdhsa_system_sgpr_workgroup_id_z 0
		.amdhsa_system_sgpr_workgroup_info 0
		.amdhsa_system_vgpr_workitem_id 0
		.amdhsa_next_free_vgpr 1
		.amdhsa_next_free_sgpr 0
		.amdhsa_accum_offset 4
		.amdhsa_reserve_vcc 0
		.amdhsa_reserve_flat_scratch 0
		.amdhsa_float_round_mode_32 0
		.amdhsa_float_round_mode_16_64 0
		.amdhsa_float_denorm_mode_32 3
		.amdhsa_float_denorm_mode_16_64 3
		.amdhsa_dx10_clamp 1
		.amdhsa_ieee_mode 1
		.amdhsa_fp16_overflow 0
		.amdhsa_tg_split 0
		.amdhsa_exception_fp_ieee_invalid_op 0
		.amdhsa_exception_fp_denorm_src 0
		.amdhsa_exception_fp_ieee_div_zero 0
		.amdhsa_exception_fp_ieee_overflow 0
		.amdhsa_exception_fp_ieee_underflow 0
		.amdhsa_exception_fp_ieee_inexact 0
		.amdhsa_exception_int_div_zero 0
	.end_amdhsa_kernel
	.section	.text._ZN7rocprim17ROCPRIM_400000_NS6detail17trampoline_kernelINS0_14default_configENS1_35radix_sort_onesweep_config_selectorIdlEEZZNS1_29radix_sort_onesweep_iterationIS3_Lb0EPdS7_N6thrust23THRUST_200600_302600_NS10device_ptrIlEESB_jNS0_19identity_decomposerENS1_16block_id_wrapperIjLb1EEEEE10hipError_tT1_PNSt15iterator_traitsISG_E10value_typeET2_T3_PNSH_ISM_E10value_typeET4_T5_PSR_SS_PNS1_23onesweep_lookback_stateEbbT6_jjT7_P12ihipStream_tbENKUlT_T0_SG_SL_E_clIS7_S7_PlSB_EEDaSZ_S10_SG_SL_EUlSZ_E_NS1_11comp_targetILNS1_3genE9ELNS1_11target_archE1100ELNS1_3gpuE3ELNS1_3repE0EEENS1_47radix_sort_onesweep_sort_config_static_selectorELNS0_4arch9wavefront6targetE1EEEvSG_,"axG",@progbits,_ZN7rocprim17ROCPRIM_400000_NS6detail17trampoline_kernelINS0_14default_configENS1_35radix_sort_onesweep_config_selectorIdlEEZZNS1_29radix_sort_onesweep_iterationIS3_Lb0EPdS7_N6thrust23THRUST_200600_302600_NS10device_ptrIlEESB_jNS0_19identity_decomposerENS1_16block_id_wrapperIjLb1EEEEE10hipError_tT1_PNSt15iterator_traitsISG_E10value_typeET2_T3_PNSH_ISM_E10value_typeET4_T5_PSR_SS_PNS1_23onesweep_lookback_stateEbbT6_jjT7_P12ihipStream_tbENKUlT_T0_SG_SL_E_clIS7_S7_PlSB_EEDaSZ_S10_SG_SL_EUlSZ_E_NS1_11comp_targetILNS1_3genE9ELNS1_11target_archE1100ELNS1_3gpuE3ELNS1_3repE0EEENS1_47radix_sort_onesweep_sort_config_static_selectorELNS0_4arch9wavefront6targetE1EEEvSG_,comdat
.Lfunc_end1641:
	.size	_ZN7rocprim17ROCPRIM_400000_NS6detail17trampoline_kernelINS0_14default_configENS1_35radix_sort_onesweep_config_selectorIdlEEZZNS1_29radix_sort_onesweep_iterationIS3_Lb0EPdS7_N6thrust23THRUST_200600_302600_NS10device_ptrIlEESB_jNS0_19identity_decomposerENS1_16block_id_wrapperIjLb1EEEEE10hipError_tT1_PNSt15iterator_traitsISG_E10value_typeET2_T3_PNSH_ISM_E10value_typeET4_T5_PSR_SS_PNS1_23onesweep_lookback_stateEbbT6_jjT7_P12ihipStream_tbENKUlT_T0_SG_SL_E_clIS7_S7_PlSB_EEDaSZ_S10_SG_SL_EUlSZ_E_NS1_11comp_targetILNS1_3genE9ELNS1_11target_archE1100ELNS1_3gpuE3ELNS1_3repE0EEENS1_47radix_sort_onesweep_sort_config_static_selectorELNS0_4arch9wavefront6targetE1EEEvSG_, .Lfunc_end1641-_ZN7rocprim17ROCPRIM_400000_NS6detail17trampoline_kernelINS0_14default_configENS1_35radix_sort_onesweep_config_selectorIdlEEZZNS1_29radix_sort_onesweep_iterationIS3_Lb0EPdS7_N6thrust23THRUST_200600_302600_NS10device_ptrIlEESB_jNS0_19identity_decomposerENS1_16block_id_wrapperIjLb1EEEEE10hipError_tT1_PNSt15iterator_traitsISG_E10value_typeET2_T3_PNSH_ISM_E10value_typeET4_T5_PSR_SS_PNS1_23onesweep_lookback_stateEbbT6_jjT7_P12ihipStream_tbENKUlT_T0_SG_SL_E_clIS7_S7_PlSB_EEDaSZ_S10_SG_SL_EUlSZ_E_NS1_11comp_targetILNS1_3genE9ELNS1_11target_archE1100ELNS1_3gpuE3ELNS1_3repE0EEENS1_47radix_sort_onesweep_sort_config_static_selectorELNS0_4arch9wavefront6targetE1EEEvSG_
                                        ; -- End function
	.section	.AMDGPU.csdata,"",@progbits
; Kernel info:
; codeLenInByte = 0
; NumSgprs: 4
; NumVgprs: 0
; NumAgprs: 0
; TotalNumVgprs: 0
; ScratchSize: 0
; MemoryBound: 0
; FloatMode: 240
; IeeeMode: 1
; LDSByteSize: 0 bytes/workgroup (compile time only)
; SGPRBlocks: 0
; VGPRBlocks: 0
; NumSGPRsForWavesPerEU: 4
; NumVGPRsForWavesPerEU: 1
; AccumOffset: 4
; Occupancy: 8
; WaveLimiterHint : 0
; COMPUTE_PGM_RSRC2:SCRATCH_EN: 0
; COMPUTE_PGM_RSRC2:USER_SGPR: 6
; COMPUTE_PGM_RSRC2:TRAP_HANDLER: 0
; COMPUTE_PGM_RSRC2:TGID_X_EN: 1
; COMPUTE_PGM_RSRC2:TGID_Y_EN: 0
; COMPUTE_PGM_RSRC2:TGID_Z_EN: 0
; COMPUTE_PGM_RSRC2:TIDIG_COMP_CNT: 0
; COMPUTE_PGM_RSRC3_GFX90A:ACCUM_OFFSET: 0
; COMPUTE_PGM_RSRC3_GFX90A:TG_SPLIT: 0
	.section	.text._ZN7rocprim17ROCPRIM_400000_NS6detail17trampoline_kernelINS0_14default_configENS1_35radix_sort_onesweep_config_selectorIdlEEZZNS1_29radix_sort_onesweep_iterationIS3_Lb0EPdS7_N6thrust23THRUST_200600_302600_NS10device_ptrIlEESB_jNS0_19identity_decomposerENS1_16block_id_wrapperIjLb1EEEEE10hipError_tT1_PNSt15iterator_traitsISG_E10value_typeET2_T3_PNSH_ISM_E10value_typeET4_T5_PSR_SS_PNS1_23onesweep_lookback_stateEbbT6_jjT7_P12ihipStream_tbENKUlT_T0_SG_SL_E_clIS7_S7_PlSB_EEDaSZ_S10_SG_SL_EUlSZ_E_NS1_11comp_targetILNS1_3genE8ELNS1_11target_archE1030ELNS1_3gpuE2ELNS1_3repE0EEENS1_47radix_sort_onesweep_sort_config_static_selectorELNS0_4arch9wavefront6targetE1EEEvSG_,"axG",@progbits,_ZN7rocprim17ROCPRIM_400000_NS6detail17trampoline_kernelINS0_14default_configENS1_35radix_sort_onesweep_config_selectorIdlEEZZNS1_29radix_sort_onesweep_iterationIS3_Lb0EPdS7_N6thrust23THRUST_200600_302600_NS10device_ptrIlEESB_jNS0_19identity_decomposerENS1_16block_id_wrapperIjLb1EEEEE10hipError_tT1_PNSt15iterator_traitsISG_E10value_typeET2_T3_PNSH_ISM_E10value_typeET4_T5_PSR_SS_PNS1_23onesweep_lookback_stateEbbT6_jjT7_P12ihipStream_tbENKUlT_T0_SG_SL_E_clIS7_S7_PlSB_EEDaSZ_S10_SG_SL_EUlSZ_E_NS1_11comp_targetILNS1_3genE8ELNS1_11target_archE1030ELNS1_3gpuE2ELNS1_3repE0EEENS1_47radix_sort_onesweep_sort_config_static_selectorELNS0_4arch9wavefront6targetE1EEEvSG_,comdat
	.protected	_ZN7rocprim17ROCPRIM_400000_NS6detail17trampoline_kernelINS0_14default_configENS1_35radix_sort_onesweep_config_selectorIdlEEZZNS1_29radix_sort_onesweep_iterationIS3_Lb0EPdS7_N6thrust23THRUST_200600_302600_NS10device_ptrIlEESB_jNS0_19identity_decomposerENS1_16block_id_wrapperIjLb1EEEEE10hipError_tT1_PNSt15iterator_traitsISG_E10value_typeET2_T3_PNSH_ISM_E10value_typeET4_T5_PSR_SS_PNS1_23onesweep_lookback_stateEbbT6_jjT7_P12ihipStream_tbENKUlT_T0_SG_SL_E_clIS7_S7_PlSB_EEDaSZ_S10_SG_SL_EUlSZ_E_NS1_11comp_targetILNS1_3genE8ELNS1_11target_archE1030ELNS1_3gpuE2ELNS1_3repE0EEENS1_47radix_sort_onesweep_sort_config_static_selectorELNS0_4arch9wavefront6targetE1EEEvSG_ ; -- Begin function _ZN7rocprim17ROCPRIM_400000_NS6detail17trampoline_kernelINS0_14default_configENS1_35radix_sort_onesweep_config_selectorIdlEEZZNS1_29radix_sort_onesweep_iterationIS3_Lb0EPdS7_N6thrust23THRUST_200600_302600_NS10device_ptrIlEESB_jNS0_19identity_decomposerENS1_16block_id_wrapperIjLb1EEEEE10hipError_tT1_PNSt15iterator_traitsISG_E10value_typeET2_T3_PNSH_ISM_E10value_typeET4_T5_PSR_SS_PNS1_23onesweep_lookback_stateEbbT6_jjT7_P12ihipStream_tbENKUlT_T0_SG_SL_E_clIS7_S7_PlSB_EEDaSZ_S10_SG_SL_EUlSZ_E_NS1_11comp_targetILNS1_3genE8ELNS1_11target_archE1030ELNS1_3gpuE2ELNS1_3repE0EEENS1_47radix_sort_onesweep_sort_config_static_selectorELNS0_4arch9wavefront6targetE1EEEvSG_
	.globl	_ZN7rocprim17ROCPRIM_400000_NS6detail17trampoline_kernelINS0_14default_configENS1_35radix_sort_onesweep_config_selectorIdlEEZZNS1_29radix_sort_onesweep_iterationIS3_Lb0EPdS7_N6thrust23THRUST_200600_302600_NS10device_ptrIlEESB_jNS0_19identity_decomposerENS1_16block_id_wrapperIjLb1EEEEE10hipError_tT1_PNSt15iterator_traitsISG_E10value_typeET2_T3_PNSH_ISM_E10value_typeET4_T5_PSR_SS_PNS1_23onesweep_lookback_stateEbbT6_jjT7_P12ihipStream_tbENKUlT_T0_SG_SL_E_clIS7_S7_PlSB_EEDaSZ_S10_SG_SL_EUlSZ_E_NS1_11comp_targetILNS1_3genE8ELNS1_11target_archE1030ELNS1_3gpuE2ELNS1_3repE0EEENS1_47radix_sort_onesweep_sort_config_static_selectorELNS0_4arch9wavefront6targetE1EEEvSG_
	.p2align	8
	.type	_ZN7rocprim17ROCPRIM_400000_NS6detail17trampoline_kernelINS0_14default_configENS1_35radix_sort_onesweep_config_selectorIdlEEZZNS1_29radix_sort_onesweep_iterationIS3_Lb0EPdS7_N6thrust23THRUST_200600_302600_NS10device_ptrIlEESB_jNS0_19identity_decomposerENS1_16block_id_wrapperIjLb1EEEEE10hipError_tT1_PNSt15iterator_traitsISG_E10value_typeET2_T3_PNSH_ISM_E10value_typeET4_T5_PSR_SS_PNS1_23onesweep_lookback_stateEbbT6_jjT7_P12ihipStream_tbENKUlT_T0_SG_SL_E_clIS7_S7_PlSB_EEDaSZ_S10_SG_SL_EUlSZ_E_NS1_11comp_targetILNS1_3genE8ELNS1_11target_archE1030ELNS1_3gpuE2ELNS1_3repE0EEENS1_47radix_sort_onesweep_sort_config_static_selectorELNS0_4arch9wavefront6targetE1EEEvSG_,@function
_ZN7rocprim17ROCPRIM_400000_NS6detail17trampoline_kernelINS0_14default_configENS1_35radix_sort_onesweep_config_selectorIdlEEZZNS1_29radix_sort_onesweep_iterationIS3_Lb0EPdS7_N6thrust23THRUST_200600_302600_NS10device_ptrIlEESB_jNS0_19identity_decomposerENS1_16block_id_wrapperIjLb1EEEEE10hipError_tT1_PNSt15iterator_traitsISG_E10value_typeET2_T3_PNSH_ISM_E10value_typeET4_T5_PSR_SS_PNS1_23onesweep_lookback_stateEbbT6_jjT7_P12ihipStream_tbENKUlT_T0_SG_SL_E_clIS7_S7_PlSB_EEDaSZ_S10_SG_SL_EUlSZ_E_NS1_11comp_targetILNS1_3genE8ELNS1_11target_archE1030ELNS1_3gpuE2ELNS1_3repE0EEENS1_47radix_sort_onesweep_sort_config_static_selectorELNS0_4arch9wavefront6targetE1EEEvSG_: ; @_ZN7rocprim17ROCPRIM_400000_NS6detail17trampoline_kernelINS0_14default_configENS1_35radix_sort_onesweep_config_selectorIdlEEZZNS1_29radix_sort_onesweep_iterationIS3_Lb0EPdS7_N6thrust23THRUST_200600_302600_NS10device_ptrIlEESB_jNS0_19identity_decomposerENS1_16block_id_wrapperIjLb1EEEEE10hipError_tT1_PNSt15iterator_traitsISG_E10value_typeET2_T3_PNSH_ISM_E10value_typeET4_T5_PSR_SS_PNS1_23onesweep_lookback_stateEbbT6_jjT7_P12ihipStream_tbENKUlT_T0_SG_SL_E_clIS7_S7_PlSB_EEDaSZ_S10_SG_SL_EUlSZ_E_NS1_11comp_targetILNS1_3genE8ELNS1_11target_archE1030ELNS1_3gpuE2ELNS1_3repE0EEENS1_47radix_sort_onesweep_sort_config_static_selectorELNS0_4arch9wavefront6targetE1EEEvSG_
; %bb.0:
	.section	.rodata,"a",@progbits
	.p2align	6, 0x0
	.amdhsa_kernel _ZN7rocprim17ROCPRIM_400000_NS6detail17trampoline_kernelINS0_14default_configENS1_35radix_sort_onesweep_config_selectorIdlEEZZNS1_29radix_sort_onesweep_iterationIS3_Lb0EPdS7_N6thrust23THRUST_200600_302600_NS10device_ptrIlEESB_jNS0_19identity_decomposerENS1_16block_id_wrapperIjLb1EEEEE10hipError_tT1_PNSt15iterator_traitsISG_E10value_typeET2_T3_PNSH_ISM_E10value_typeET4_T5_PSR_SS_PNS1_23onesweep_lookback_stateEbbT6_jjT7_P12ihipStream_tbENKUlT_T0_SG_SL_E_clIS7_S7_PlSB_EEDaSZ_S10_SG_SL_EUlSZ_E_NS1_11comp_targetILNS1_3genE8ELNS1_11target_archE1030ELNS1_3gpuE2ELNS1_3repE0EEENS1_47radix_sort_onesweep_sort_config_static_selectorELNS0_4arch9wavefront6targetE1EEEvSG_
		.amdhsa_group_segment_fixed_size 0
		.amdhsa_private_segment_fixed_size 0
		.amdhsa_kernarg_size 88
		.amdhsa_user_sgpr_count 6
		.amdhsa_user_sgpr_private_segment_buffer 1
		.amdhsa_user_sgpr_dispatch_ptr 0
		.amdhsa_user_sgpr_queue_ptr 0
		.amdhsa_user_sgpr_kernarg_segment_ptr 1
		.amdhsa_user_sgpr_dispatch_id 0
		.amdhsa_user_sgpr_flat_scratch_init 0
		.amdhsa_user_sgpr_kernarg_preload_length 0
		.amdhsa_user_sgpr_kernarg_preload_offset 0
		.amdhsa_user_sgpr_private_segment_size 0
		.amdhsa_uses_dynamic_stack 0
		.amdhsa_system_sgpr_private_segment_wavefront_offset 0
		.amdhsa_system_sgpr_workgroup_id_x 1
		.amdhsa_system_sgpr_workgroup_id_y 0
		.amdhsa_system_sgpr_workgroup_id_z 0
		.amdhsa_system_sgpr_workgroup_info 0
		.amdhsa_system_vgpr_workitem_id 0
		.amdhsa_next_free_vgpr 1
		.amdhsa_next_free_sgpr 0
		.amdhsa_accum_offset 4
		.amdhsa_reserve_vcc 0
		.amdhsa_reserve_flat_scratch 0
		.amdhsa_float_round_mode_32 0
		.amdhsa_float_round_mode_16_64 0
		.amdhsa_float_denorm_mode_32 3
		.amdhsa_float_denorm_mode_16_64 3
		.amdhsa_dx10_clamp 1
		.amdhsa_ieee_mode 1
		.amdhsa_fp16_overflow 0
		.amdhsa_tg_split 0
		.amdhsa_exception_fp_ieee_invalid_op 0
		.amdhsa_exception_fp_denorm_src 0
		.amdhsa_exception_fp_ieee_div_zero 0
		.amdhsa_exception_fp_ieee_overflow 0
		.amdhsa_exception_fp_ieee_underflow 0
		.amdhsa_exception_fp_ieee_inexact 0
		.amdhsa_exception_int_div_zero 0
	.end_amdhsa_kernel
	.section	.text._ZN7rocprim17ROCPRIM_400000_NS6detail17trampoline_kernelINS0_14default_configENS1_35radix_sort_onesweep_config_selectorIdlEEZZNS1_29radix_sort_onesweep_iterationIS3_Lb0EPdS7_N6thrust23THRUST_200600_302600_NS10device_ptrIlEESB_jNS0_19identity_decomposerENS1_16block_id_wrapperIjLb1EEEEE10hipError_tT1_PNSt15iterator_traitsISG_E10value_typeET2_T3_PNSH_ISM_E10value_typeET4_T5_PSR_SS_PNS1_23onesweep_lookback_stateEbbT6_jjT7_P12ihipStream_tbENKUlT_T0_SG_SL_E_clIS7_S7_PlSB_EEDaSZ_S10_SG_SL_EUlSZ_E_NS1_11comp_targetILNS1_3genE8ELNS1_11target_archE1030ELNS1_3gpuE2ELNS1_3repE0EEENS1_47radix_sort_onesweep_sort_config_static_selectorELNS0_4arch9wavefront6targetE1EEEvSG_,"axG",@progbits,_ZN7rocprim17ROCPRIM_400000_NS6detail17trampoline_kernelINS0_14default_configENS1_35radix_sort_onesweep_config_selectorIdlEEZZNS1_29radix_sort_onesweep_iterationIS3_Lb0EPdS7_N6thrust23THRUST_200600_302600_NS10device_ptrIlEESB_jNS0_19identity_decomposerENS1_16block_id_wrapperIjLb1EEEEE10hipError_tT1_PNSt15iterator_traitsISG_E10value_typeET2_T3_PNSH_ISM_E10value_typeET4_T5_PSR_SS_PNS1_23onesweep_lookback_stateEbbT6_jjT7_P12ihipStream_tbENKUlT_T0_SG_SL_E_clIS7_S7_PlSB_EEDaSZ_S10_SG_SL_EUlSZ_E_NS1_11comp_targetILNS1_3genE8ELNS1_11target_archE1030ELNS1_3gpuE2ELNS1_3repE0EEENS1_47radix_sort_onesweep_sort_config_static_selectorELNS0_4arch9wavefront6targetE1EEEvSG_,comdat
.Lfunc_end1642:
	.size	_ZN7rocprim17ROCPRIM_400000_NS6detail17trampoline_kernelINS0_14default_configENS1_35radix_sort_onesweep_config_selectorIdlEEZZNS1_29radix_sort_onesweep_iterationIS3_Lb0EPdS7_N6thrust23THRUST_200600_302600_NS10device_ptrIlEESB_jNS0_19identity_decomposerENS1_16block_id_wrapperIjLb1EEEEE10hipError_tT1_PNSt15iterator_traitsISG_E10value_typeET2_T3_PNSH_ISM_E10value_typeET4_T5_PSR_SS_PNS1_23onesweep_lookback_stateEbbT6_jjT7_P12ihipStream_tbENKUlT_T0_SG_SL_E_clIS7_S7_PlSB_EEDaSZ_S10_SG_SL_EUlSZ_E_NS1_11comp_targetILNS1_3genE8ELNS1_11target_archE1030ELNS1_3gpuE2ELNS1_3repE0EEENS1_47radix_sort_onesweep_sort_config_static_selectorELNS0_4arch9wavefront6targetE1EEEvSG_, .Lfunc_end1642-_ZN7rocprim17ROCPRIM_400000_NS6detail17trampoline_kernelINS0_14default_configENS1_35radix_sort_onesweep_config_selectorIdlEEZZNS1_29radix_sort_onesweep_iterationIS3_Lb0EPdS7_N6thrust23THRUST_200600_302600_NS10device_ptrIlEESB_jNS0_19identity_decomposerENS1_16block_id_wrapperIjLb1EEEEE10hipError_tT1_PNSt15iterator_traitsISG_E10value_typeET2_T3_PNSH_ISM_E10value_typeET4_T5_PSR_SS_PNS1_23onesweep_lookback_stateEbbT6_jjT7_P12ihipStream_tbENKUlT_T0_SG_SL_E_clIS7_S7_PlSB_EEDaSZ_S10_SG_SL_EUlSZ_E_NS1_11comp_targetILNS1_3genE8ELNS1_11target_archE1030ELNS1_3gpuE2ELNS1_3repE0EEENS1_47radix_sort_onesweep_sort_config_static_selectorELNS0_4arch9wavefront6targetE1EEEvSG_
                                        ; -- End function
	.section	.AMDGPU.csdata,"",@progbits
; Kernel info:
; codeLenInByte = 0
; NumSgprs: 4
; NumVgprs: 0
; NumAgprs: 0
; TotalNumVgprs: 0
; ScratchSize: 0
; MemoryBound: 0
; FloatMode: 240
; IeeeMode: 1
; LDSByteSize: 0 bytes/workgroup (compile time only)
; SGPRBlocks: 0
; VGPRBlocks: 0
; NumSGPRsForWavesPerEU: 4
; NumVGPRsForWavesPerEU: 1
; AccumOffset: 4
; Occupancy: 8
; WaveLimiterHint : 0
; COMPUTE_PGM_RSRC2:SCRATCH_EN: 0
; COMPUTE_PGM_RSRC2:USER_SGPR: 6
; COMPUTE_PGM_RSRC2:TRAP_HANDLER: 0
; COMPUTE_PGM_RSRC2:TGID_X_EN: 1
; COMPUTE_PGM_RSRC2:TGID_Y_EN: 0
; COMPUTE_PGM_RSRC2:TGID_Z_EN: 0
; COMPUTE_PGM_RSRC2:TIDIG_COMP_CNT: 0
; COMPUTE_PGM_RSRC3_GFX90A:ACCUM_OFFSET: 0
; COMPUTE_PGM_RSRC3_GFX90A:TG_SPLIT: 0
	.section	.text._ZN7rocprim17ROCPRIM_400000_NS6detail17trampoline_kernelINS0_14default_configENS1_35radix_sort_onesweep_config_selectorIdlEEZZNS1_29radix_sort_onesweep_iterationIS3_Lb0EPdS7_N6thrust23THRUST_200600_302600_NS10device_ptrIlEESB_jNS0_19identity_decomposerENS1_16block_id_wrapperIjLb0EEEEE10hipError_tT1_PNSt15iterator_traitsISG_E10value_typeET2_T3_PNSH_ISM_E10value_typeET4_T5_PSR_SS_PNS1_23onesweep_lookback_stateEbbT6_jjT7_P12ihipStream_tbENKUlT_T0_SG_SL_E_clIS7_S7_SB_SB_EEDaSZ_S10_SG_SL_EUlSZ_E_NS1_11comp_targetILNS1_3genE0ELNS1_11target_archE4294967295ELNS1_3gpuE0ELNS1_3repE0EEENS1_47radix_sort_onesweep_sort_config_static_selectorELNS0_4arch9wavefront6targetE1EEEvSG_,"axG",@progbits,_ZN7rocprim17ROCPRIM_400000_NS6detail17trampoline_kernelINS0_14default_configENS1_35radix_sort_onesweep_config_selectorIdlEEZZNS1_29radix_sort_onesweep_iterationIS3_Lb0EPdS7_N6thrust23THRUST_200600_302600_NS10device_ptrIlEESB_jNS0_19identity_decomposerENS1_16block_id_wrapperIjLb0EEEEE10hipError_tT1_PNSt15iterator_traitsISG_E10value_typeET2_T3_PNSH_ISM_E10value_typeET4_T5_PSR_SS_PNS1_23onesweep_lookback_stateEbbT6_jjT7_P12ihipStream_tbENKUlT_T0_SG_SL_E_clIS7_S7_SB_SB_EEDaSZ_S10_SG_SL_EUlSZ_E_NS1_11comp_targetILNS1_3genE0ELNS1_11target_archE4294967295ELNS1_3gpuE0ELNS1_3repE0EEENS1_47radix_sort_onesweep_sort_config_static_selectorELNS0_4arch9wavefront6targetE1EEEvSG_,comdat
	.protected	_ZN7rocprim17ROCPRIM_400000_NS6detail17trampoline_kernelINS0_14default_configENS1_35radix_sort_onesweep_config_selectorIdlEEZZNS1_29radix_sort_onesweep_iterationIS3_Lb0EPdS7_N6thrust23THRUST_200600_302600_NS10device_ptrIlEESB_jNS0_19identity_decomposerENS1_16block_id_wrapperIjLb0EEEEE10hipError_tT1_PNSt15iterator_traitsISG_E10value_typeET2_T3_PNSH_ISM_E10value_typeET4_T5_PSR_SS_PNS1_23onesweep_lookback_stateEbbT6_jjT7_P12ihipStream_tbENKUlT_T0_SG_SL_E_clIS7_S7_SB_SB_EEDaSZ_S10_SG_SL_EUlSZ_E_NS1_11comp_targetILNS1_3genE0ELNS1_11target_archE4294967295ELNS1_3gpuE0ELNS1_3repE0EEENS1_47radix_sort_onesweep_sort_config_static_selectorELNS0_4arch9wavefront6targetE1EEEvSG_ ; -- Begin function _ZN7rocprim17ROCPRIM_400000_NS6detail17trampoline_kernelINS0_14default_configENS1_35radix_sort_onesweep_config_selectorIdlEEZZNS1_29radix_sort_onesweep_iterationIS3_Lb0EPdS7_N6thrust23THRUST_200600_302600_NS10device_ptrIlEESB_jNS0_19identity_decomposerENS1_16block_id_wrapperIjLb0EEEEE10hipError_tT1_PNSt15iterator_traitsISG_E10value_typeET2_T3_PNSH_ISM_E10value_typeET4_T5_PSR_SS_PNS1_23onesweep_lookback_stateEbbT6_jjT7_P12ihipStream_tbENKUlT_T0_SG_SL_E_clIS7_S7_SB_SB_EEDaSZ_S10_SG_SL_EUlSZ_E_NS1_11comp_targetILNS1_3genE0ELNS1_11target_archE4294967295ELNS1_3gpuE0ELNS1_3repE0EEENS1_47radix_sort_onesweep_sort_config_static_selectorELNS0_4arch9wavefront6targetE1EEEvSG_
	.globl	_ZN7rocprim17ROCPRIM_400000_NS6detail17trampoline_kernelINS0_14default_configENS1_35radix_sort_onesweep_config_selectorIdlEEZZNS1_29radix_sort_onesweep_iterationIS3_Lb0EPdS7_N6thrust23THRUST_200600_302600_NS10device_ptrIlEESB_jNS0_19identity_decomposerENS1_16block_id_wrapperIjLb0EEEEE10hipError_tT1_PNSt15iterator_traitsISG_E10value_typeET2_T3_PNSH_ISM_E10value_typeET4_T5_PSR_SS_PNS1_23onesweep_lookback_stateEbbT6_jjT7_P12ihipStream_tbENKUlT_T0_SG_SL_E_clIS7_S7_SB_SB_EEDaSZ_S10_SG_SL_EUlSZ_E_NS1_11comp_targetILNS1_3genE0ELNS1_11target_archE4294967295ELNS1_3gpuE0ELNS1_3repE0EEENS1_47radix_sort_onesweep_sort_config_static_selectorELNS0_4arch9wavefront6targetE1EEEvSG_
	.p2align	8
	.type	_ZN7rocprim17ROCPRIM_400000_NS6detail17trampoline_kernelINS0_14default_configENS1_35radix_sort_onesweep_config_selectorIdlEEZZNS1_29radix_sort_onesweep_iterationIS3_Lb0EPdS7_N6thrust23THRUST_200600_302600_NS10device_ptrIlEESB_jNS0_19identity_decomposerENS1_16block_id_wrapperIjLb0EEEEE10hipError_tT1_PNSt15iterator_traitsISG_E10value_typeET2_T3_PNSH_ISM_E10value_typeET4_T5_PSR_SS_PNS1_23onesweep_lookback_stateEbbT6_jjT7_P12ihipStream_tbENKUlT_T0_SG_SL_E_clIS7_S7_SB_SB_EEDaSZ_S10_SG_SL_EUlSZ_E_NS1_11comp_targetILNS1_3genE0ELNS1_11target_archE4294967295ELNS1_3gpuE0ELNS1_3repE0EEENS1_47radix_sort_onesweep_sort_config_static_selectorELNS0_4arch9wavefront6targetE1EEEvSG_,@function
_ZN7rocprim17ROCPRIM_400000_NS6detail17trampoline_kernelINS0_14default_configENS1_35radix_sort_onesweep_config_selectorIdlEEZZNS1_29radix_sort_onesweep_iterationIS3_Lb0EPdS7_N6thrust23THRUST_200600_302600_NS10device_ptrIlEESB_jNS0_19identity_decomposerENS1_16block_id_wrapperIjLb0EEEEE10hipError_tT1_PNSt15iterator_traitsISG_E10value_typeET2_T3_PNSH_ISM_E10value_typeET4_T5_PSR_SS_PNS1_23onesweep_lookback_stateEbbT6_jjT7_P12ihipStream_tbENKUlT_T0_SG_SL_E_clIS7_S7_SB_SB_EEDaSZ_S10_SG_SL_EUlSZ_E_NS1_11comp_targetILNS1_3genE0ELNS1_11target_archE4294967295ELNS1_3gpuE0ELNS1_3repE0EEENS1_47radix_sort_onesweep_sort_config_static_selectorELNS0_4arch9wavefront6targetE1EEEvSG_: ; @_ZN7rocprim17ROCPRIM_400000_NS6detail17trampoline_kernelINS0_14default_configENS1_35radix_sort_onesweep_config_selectorIdlEEZZNS1_29radix_sort_onesweep_iterationIS3_Lb0EPdS7_N6thrust23THRUST_200600_302600_NS10device_ptrIlEESB_jNS0_19identity_decomposerENS1_16block_id_wrapperIjLb0EEEEE10hipError_tT1_PNSt15iterator_traitsISG_E10value_typeET2_T3_PNSH_ISM_E10value_typeET4_T5_PSR_SS_PNS1_23onesweep_lookback_stateEbbT6_jjT7_P12ihipStream_tbENKUlT_T0_SG_SL_E_clIS7_S7_SB_SB_EEDaSZ_S10_SG_SL_EUlSZ_E_NS1_11comp_targetILNS1_3genE0ELNS1_11target_archE4294967295ELNS1_3gpuE0ELNS1_3repE0EEENS1_47radix_sort_onesweep_sort_config_static_selectorELNS0_4arch9wavefront6targetE1EEEvSG_
; %bb.0:
	.section	.rodata,"a",@progbits
	.p2align	6, 0x0
	.amdhsa_kernel _ZN7rocprim17ROCPRIM_400000_NS6detail17trampoline_kernelINS0_14default_configENS1_35radix_sort_onesweep_config_selectorIdlEEZZNS1_29radix_sort_onesweep_iterationIS3_Lb0EPdS7_N6thrust23THRUST_200600_302600_NS10device_ptrIlEESB_jNS0_19identity_decomposerENS1_16block_id_wrapperIjLb0EEEEE10hipError_tT1_PNSt15iterator_traitsISG_E10value_typeET2_T3_PNSH_ISM_E10value_typeET4_T5_PSR_SS_PNS1_23onesweep_lookback_stateEbbT6_jjT7_P12ihipStream_tbENKUlT_T0_SG_SL_E_clIS7_S7_SB_SB_EEDaSZ_S10_SG_SL_EUlSZ_E_NS1_11comp_targetILNS1_3genE0ELNS1_11target_archE4294967295ELNS1_3gpuE0ELNS1_3repE0EEENS1_47radix_sort_onesweep_sort_config_static_selectorELNS0_4arch9wavefront6targetE1EEEvSG_
		.amdhsa_group_segment_fixed_size 0
		.amdhsa_private_segment_fixed_size 0
		.amdhsa_kernarg_size 88
		.amdhsa_user_sgpr_count 6
		.amdhsa_user_sgpr_private_segment_buffer 1
		.amdhsa_user_sgpr_dispatch_ptr 0
		.amdhsa_user_sgpr_queue_ptr 0
		.amdhsa_user_sgpr_kernarg_segment_ptr 1
		.amdhsa_user_sgpr_dispatch_id 0
		.amdhsa_user_sgpr_flat_scratch_init 0
		.amdhsa_user_sgpr_kernarg_preload_length 0
		.amdhsa_user_sgpr_kernarg_preload_offset 0
		.amdhsa_user_sgpr_private_segment_size 0
		.amdhsa_uses_dynamic_stack 0
		.amdhsa_system_sgpr_private_segment_wavefront_offset 0
		.amdhsa_system_sgpr_workgroup_id_x 1
		.amdhsa_system_sgpr_workgroup_id_y 0
		.amdhsa_system_sgpr_workgroup_id_z 0
		.amdhsa_system_sgpr_workgroup_info 0
		.amdhsa_system_vgpr_workitem_id 0
		.amdhsa_next_free_vgpr 1
		.amdhsa_next_free_sgpr 0
		.amdhsa_accum_offset 4
		.amdhsa_reserve_vcc 0
		.amdhsa_reserve_flat_scratch 0
		.amdhsa_float_round_mode_32 0
		.amdhsa_float_round_mode_16_64 0
		.amdhsa_float_denorm_mode_32 3
		.amdhsa_float_denorm_mode_16_64 3
		.amdhsa_dx10_clamp 1
		.amdhsa_ieee_mode 1
		.amdhsa_fp16_overflow 0
		.amdhsa_tg_split 0
		.amdhsa_exception_fp_ieee_invalid_op 0
		.amdhsa_exception_fp_denorm_src 0
		.amdhsa_exception_fp_ieee_div_zero 0
		.amdhsa_exception_fp_ieee_overflow 0
		.amdhsa_exception_fp_ieee_underflow 0
		.amdhsa_exception_fp_ieee_inexact 0
		.amdhsa_exception_int_div_zero 0
	.end_amdhsa_kernel
	.section	.text._ZN7rocprim17ROCPRIM_400000_NS6detail17trampoline_kernelINS0_14default_configENS1_35radix_sort_onesweep_config_selectorIdlEEZZNS1_29radix_sort_onesweep_iterationIS3_Lb0EPdS7_N6thrust23THRUST_200600_302600_NS10device_ptrIlEESB_jNS0_19identity_decomposerENS1_16block_id_wrapperIjLb0EEEEE10hipError_tT1_PNSt15iterator_traitsISG_E10value_typeET2_T3_PNSH_ISM_E10value_typeET4_T5_PSR_SS_PNS1_23onesweep_lookback_stateEbbT6_jjT7_P12ihipStream_tbENKUlT_T0_SG_SL_E_clIS7_S7_SB_SB_EEDaSZ_S10_SG_SL_EUlSZ_E_NS1_11comp_targetILNS1_3genE0ELNS1_11target_archE4294967295ELNS1_3gpuE0ELNS1_3repE0EEENS1_47radix_sort_onesweep_sort_config_static_selectorELNS0_4arch9wavefront6targetE1EEEvSG_,"axG",@progbits,_ZN7rocprim17ROCPRIM_400000_NS6detail17trampoline_kernelINS0_14default_configENS1_35radix_sort_onesweep_config_selectorIdlEEZZNS1_29radix_sort_onesweep_iterationIS3_Lb0EPdS7_N6thrust23THRUST_200600_302600_NS10device_ptrIlEESB_jNS0_19identity_decomposerENS1_16block_id_wrapperIjLb0EEEEE10hipError_tT1_PNSt15iterator_traitsISG_E10value_typeET2_T3_PNSH_ISM_E10value_typeET4_T5_PSR_SS_PNS1_23onesweep_lookback_stateEbbT6_jjT7_P12ihipStream_tbENKUlT_T0_SG_SL_E_clIS7_S7_SB_SB_EEDaSZ_S10_SG_SL_EUlSZ_E_NS1_11comp_targetILNS1_3genE0ELNS1_11target_archE4294967295ELNS1_3gpuE0ELNS1_3repE0EEENS1_47radix_sort_onesweep_sort_config_static_selectorELNS0_4arch9wavefront6targetE1EEEvSG_,comdat
.Lfunc_end1643:
	.size	_ZN7rocprim17ROCPRIM_400000_NS6detail17trampoline_kernelINS0_14default_configENS1_35radix_sort_onesweep_config_selectorIdlEEZZNS1_29radix_sort_onesweep_iterationIS3_Lb0EPdS7_N6thrust23THRUST_200600_302600_NS10device_ptrIlEESB_jNS0_19identity_decomposerENS1_16block_id_wrapperIjLb0EEEEE10hipError_tT1_PNSt15iterator_traitsISG_E10value_typeET2_T3_PNSH_ISM_E10value_typeET4_T5_PSR_SS_PNS1_23onesweep_lookback_stateEbbT6_jjT7_P12ihipStream_tbENKUlT_T0_SG_SL_E_clIS7_S7_SB_SB_EEDaSZ_S10_SG_SL_EUlSZ_E_NS1_11comp_targetILNS1_3genE0ELNS1_11target_archE4294967295ELNS1_3gpuE0ELNS1_3repE0EEENS1_47radix_sort_onesweep_sort_config_static_selectorELNS0_4arch9wavefront6targetE1EEEvSG_, .Lfunc_end1643-_ZN7rocprim17ROCPRIM_400000_NS6detail17trampoline_kernelINS0_14default_configENS1_35radix_sort_onesweep_config_selectorIdlEEZZNS1_29radix_sort_onesweep_iterationIS3_Lb0EPdS7_N6thrust23THRUST_200600_302600_NS10device_ptrIlEESB_jNS0_19identity_decomposerENS1_16block_id_wrapperIjLb0EEEEE10hipError_tT1_PNSt15iterator_traitsISG_E10value_typeET2_T3_PNSH_ISM_E10value_typeET4_T5_PSR_SS_PNS1_23onesweep_lookback_stateEbbT6_jjT7_P12ihipStream_tbENKUlT_T0_SG_SL_E_clIS7_S7_SB_SB_EEDaSZ_S10_SG_SL_EUlSZ_E_NS1_11comp_targetILNS1_3genE0ELNS1_11target_archE4294967295ELNS1_3gpuE0ELNS1_3repE0EEENS1_47radix_sort_onesweep_sort_config_static_selectorELNS0_4arch9wavefront6targetE1EEEvSG_
                                        ; -- End function
	.section	.AMDGPU.csdata,"",@progbits
; Kernel info:
; codeLenInByte = 0
; NumSgprs: 4
; NumVgprs: 0
; NumAgprs: 0
; TotalNumVgprs: 0
; ScratchSize: 0
; MemoryBound: 0
; FloatMode: 240
; IeeeMode: 1
; LDSByteSize: 0 bytes/workgroup (compile time only)
; SGPRBlocks: 0
; VGPRBlocks: 0
; NumSGPRsForWavesPerEU: 4
; NumVGPRsForWavesPerEU: 1
; AccumOffset: 4
; Occupancy: 8
; WaveLimiterHint : 0
; COMPUTE_PGM_RSRC2:SCRATCH_EN: 0
; COMPUTE_PGM_RSRC2:USER_SGPR: 6
; COMPUTE_PGM_RSRC2:TRAP_HANDLER: 0
; COMPUTE_PGM_RSRC2:TGID_X_EN: 1
; COMPUTE_PGM_RSRC2:TGID_Y_EN: 0
; COMPUTE_PGM_RSRC2:TGID_Z_EN: 0
; COMPUTE_PGM_RSRC2:TIDIG_COMP_CNT: 0
; COMPUTE_PGM_RSRC3_GFX90A:ACCUM_OFFSET: 0
; COMPUTE_PGM_RSRC3_GFX90A:TG_SPLIT: 0
	.section	.text._ZN7rocprim17ROCPRIM_400000_NS6detail17trampoline_kernelINS0_14default_configENS1_35radix_sort_onesweep_config_selectorIdlEEZZNS1_29radix_sort_onesweep_iterationIS3_Lb0EPdS7_N6thrust23THRUST_200600_302600_NS10device_ptrIlEESB_jNS0_19identity_decomposerENS1_16block_id_wrapperIjLb0EEEEE10hipError_tT1_PNSt15iterator_traitsISG_E10value_typeET2_T3_PNSH_ISM_E10value_typeET4_T5_PSR_SS_PNS1_23onesweep_lookback_stateEbbT6_jjT7_P12ihipStream_tbENKUlT_T0_SG_SL_E_clIS7_S7_SB_SB_EEDaSZ_S10_SG_SL_EUlSZ_E_NS1_11comp_targetILNS1_3genE6ELNS1_11target_archE950ELNS1_3gpuE13ELNS1_3repE0EEENS1_47radix_sort_onesweep_sort_config_static_selectorELNS0_4arch9wavefront6targetE1EEEvSG_,"axG",@progbits,_ZN7rocprim17ROCPRIM_400000_NS6detail17trampoline_kernelINS0_14default_configENS1_35radix_sort_onesweep_config_selectorIdlEEZZNS1_29radix_sort_onesweep_iterationIS3_Lb0EPdS7_N6thrust23THRUST_200600_302600_NS10device_ptrIlEESB_jNS0_19identity_decomposerENS1_16block_id_wrapperIjLb0EEEEE10hipError_tT1_PNSt15iterator_traitsISG_E10value_typeET2_T3_PNSH_ISM_E10value_typeET4_T5_PSR_SS_PNS1_23onesweep_lookback_stateEbbT6_jjT7_P12ihipStream_tbENKUlT_T0_SG_SL_E_clIS7_S7_SB_SB_EEDaSZ_S10_SG_SL_EUlSZ_E_NS1_11comp_targetILNS1_3genE6ELNS1_11target_archE950ELNS1_3gpuE13ELNS1_3repE0EEENS1_47radix_sort_onesweep_sort_config_static_selectorELNS0_4arch9wavefront6targetE1EEEvSG_,comdat
	.protected	_ZN7rocprim17ROCPRIM_400000_NS6detail17trampoline_kernelINS0_14default_configENS1_35radix_sort_onesweep_config_selectorIdlEEZZNS1_29radix_sort_onesweep_iterationIS3_Lb0EPdS7_N6thrust23THRUST_200600_302600_NS10device_ptrIlEESB_jNS0_19identity_decomposerENS1_16block_id_wrapperIjLb0EEEEE10hipError_tT1_PNSt15iterator_traitsISG_E10value_typeET2_T3_PNSH_ISM_E10value_typeET4_T5_PSR_SS_PNS1_23onesweep_lookback_stateEbbT6_jjT7_P12ihipStream_tbENKUlT_T0_SG_SL_E_clIS7_S7_SB_SB_EEDaSZ_S10_SG_SL_EUlSZ_E_NS1_11comp_targetILNS1_3genE6ELNS1_11target_archE950ELNS1_3gpuE13ELNS1_3repE0EEENS1_47radix_sort_onesweep_sort_config_static_selectorELNS0_4arch9wavefront6targetE1EEEvSG_ ; -- Begin function _ZN7rocprim17ROCPRIM_400000_NS6detail17trampoline_kernelINS0_14default_configENS1_35radix_sort_onesweep_config_selectorIdlEEZZNS1_29radix_sort_onesweep_iterationIS3_Lb0EPdS7_N6thrust23THRUST_200600_302600_NS10device_ptrIlEESB_jNS0_19identity_decomposerENS1_16block_id_wrapperIjLb0EEEEE10hipError_tT1_PNSt15iterator_traitsISG_E10value_typeET2_T3_PNSH_ISM_E10value_typeET4_T5_PSR_SS_PNS1_23onesweep_lookback_stateEbbT6_jjT7_P12ihipStream_tbENKUlT_T0_SG_SL_E_clIS7_S7_SB_SB_EEDaSZ_S10_SG_SL_EUlSZ_E_NS1_11comp_targetILNS1_3genE6ELNS1_11target_archE950ELNS1_3gpuE13ELNS1_3repE0EEENS1_47radix_sort_onesweep_sort_config_static_selectorELNS0_4arch9wavefront6targetE1EEEvSG_
	.globl	_ZN7rocprim17ROCPRIM_400000_NS6detail17trampoline_kernelINS0_14default_configENS1_35radix_sort_onesweep_config_selectorIdlEEZZNS1_29radix_sort_onesweep_iterationIS3_Lb0EPdS7_N6thrust23THRUST_200600_302600_NS10device_ptrIlEESB_jNS0_19identity_decomposerENS1_16block_id_wrapperIjLb0EEEEE10hipError_tT1_PNSt15iterator_traitsISG_E10value_typeET2_T3_PNSH_ISM_E10value_typeET4_T5_PSR_SS_PNS1_23onesweep_lookback_stateEbbT6_jjT7_P12ihipStream_tbENKUlT_T0_SG_SL_E_clIS7_S7_SB_SB_EEDaSZ_S10_SG_SL_EUlSZ_E_NS1_11comp_targetILNS1_3genE6ELNS1_11target_archE950ELNS1_3gpuE13ELNS1_3repE0EEENS1_47radix_sort_onesweep_sort_config_static_selectorELNS0_4arch9wavefront6targetE1EEEvSG_
	.p2align	8
	.type	_ZN7rocprim17ROCPRIM_400000_NS6detail17trampoline_kernelINS0_14default_configENS1_35radix_sort_onesweep_config_selectorIdlEEZZNS1_29radix_sort_onesweep_iterationIS3_Lb0EPdS7_N6thrust23THRUST_200600_302600_NS10device_ptrIlEESB_jNS0_19identity_decomposerENS1_16block_id_wrapperIjLb0EEEEE10hipError_tT1_PNSt15iterator_traitsISG_E10value_typeET2_T3_PNSH_ISM_E10value_typeET4_T5_PSR_SS_PNS1_23onesweep_lookback_stateEbbT6_jjT7_P12ihipStream_tbENKUlT_T0_SG_SL_E_clIS7_S7_SB_SB_EEDaSZ_S10_SG_SL_EUlSZ_E_NS1_11comp_targetILNS1_3genE6ELNS1_11target_archE950ELNS1_3gpuE13ELNS1_3repE0EEENS1_47radix_sort_onesweep_sort_config_static_selectorELNS0_4arch9wavefront6targetE1EEEvSG_,@function
_ZN7rocprim17ROCPRIM_400000_NS6detail17trampoline_kernelINS0_14default_configENS1_35radix_sort_onesweep_config_selectorIdlEEZZNS1_29radix_sort_onesweep_iterationIS3_Lb0EPdS7_N6thrust23THRUST_200600_302600_NS10device_ptrIlEESB_jNS0_19identity_decomposerENS1_16block_id_wrapperIjLb0EEEEE10hipError_tT1_PNSt15iterator_traitsISG_E10value_typeET2_T3_PNSH_ISM_E10value_typeET4_T5_PSR_SS_PNS1_23onesweep_lookback_stateEbbT6_jjT7_P12ihipStream_tbENKUlT_T0_SG_SL_E_clIS7_S7_SB_SB_EEDaSZ_S10_SG_SL_EUlSZ_E_NS1_11comp_targetILNS1_3genE6ELNS1_11target_archE950ELNS1_3gpuE13ELNS1_3repE0EEENS1_47radix_sort_onesweep_sort_config_static_selectorELNS0_4arch9wavefront6targetE1EEEvSG_: ; @_ZN7rocprim17ROCPRIM_400000_NS6detail17trampoline_kernelINS0_14default_configENS1_35radix_sort_onesweep_config_selectorIdlEEZZNS1_29radix_sort_onesweep_iterationIS3_Lb0EPdS7_N6thrust23THRUST_200600_302600_NS10device_ptrIlEESB_jNS0_19identity_decomposerENS1_16block_id_wrapperIjLb0EEEEE10hipError_tT1_PNSt15iterator_traitsISG_E10value_typeET2_T3_PNSH_ISM_E10value_typeET4_T5_PSR_SS_PNS1_23onesweep_lookback_stateEbbT6_jjT7_P12ihipStream_tbENKUlT_T0_SG_SL_E_clIS7_S7_SB_SB_EEDaSZ_S10_SG_SL_EUlSZ_E_NS1_11comp_targetILNS1_3genE6ELNS1_11target_archE950ELNS1_3gpuE13ELNS1_3repE0EEENS1_47radix_sort_onesweep_sort_config_static_selectorELNS0_4arch9wavefront6targetE1EEEvSG_
; %bb.0:
	.section	.rodata,"a",@progbits
	.p2align	6, 0x0
	.amdhsa_kernel _ZN7rocprim17ROCPRIM_400000_NS6detail17trampoline_kernelINS0_14default_configENS1_35radix_sort_onesweep_config_selectorIdlEEZZNS1_29radix_sort_onesweep_iterationIS3_Lb0EPdS7_N6thrust23THRUST_200600_302600_NS10device_ptrIlEESB_jNS0_19identity_decomposerENS1_16block_id_wrapperIjLb0EEEEE10hipError_tT1_PNSt15iterator_traitsISG_E10value_typeET2_T3_PNSH_ISM_E10value_typeET4_T5_PSR_SS_PNS1_23onesweep_lookback_stateEbbT6_jjT7_P12ihipStream_tbENKUlT_T0_SG_SL_E_clIS7_S7_SB_SB_EEDaSZ_S10_SG_SL_EUlSZ_E_NS1_11comp_targetILNS1_3genE6ELNS1_11target_archE950ELNS1_3gpuE13ELNS1_3repE0EEENS1_47radix_sort_onesweep_sort_config_static_selectorELNS0_4arch9wavefront6targetE1EEEvSG_
		.amdhsa_group_segment_fixed_size 0
		.amdhsa_private_segment_fixed_size 0
		.amdhsa_kernarg_size 88
		.amdhsa_user_sgpr_count 6
		.amdhsa_user_sgpr_private_segment_buffer 1
		.amdhsa_user_sgpr_dispatch_ptr 0
		.amdhsa_user_sgpr_queue_ptr 0
		.amdhsa_user_sgpr_kernarg_segment_ptr 1
		.amdhsa_user_sgpr_dispatch_id 0
		.amdhsa_user_sgpr_flat_scratch_init 0
		.amdhsa_user_sgpr_kernarg_preload_length 0
		.amdhsa_user_sgpr_kernarg_preload_offset 0
		.amdhsa_user_sgpr_private_segment_size 0
		.amdhsa_uses_dynamic_stack 0
		.amdhsa_system_sgpr_private_segment_wavefront_offset 0
		.amdhsa_system_sgpr_workgroup_id_x 1
		.amdhsa_system_sgpr_workgroup_id_y 0
		.amdhsa_system_sgpr_workgroup_id_z 0
		.amdhsa_system_sgpr_workgroup_info 0
		.amdhsa_system_vgpr_workitem_id 0
		.amdhsa_next_free_vgpr 1
		.amdhsa_next_free_sgpr 0
		.amdhsa_accum_offset 4
		.amdhsa_reserve_vcc 0
		.amdhsa_reserve_flat_scratch 0
		.amdhsa_float_round_mode_32 0
		.amdhsa_float_round_mode_16_64 0
		.amdhsa_float_denorm_mode_32 3
		.amdhsa_float_denorm_mode_16_64 3
		.amdhsa_dx10_clamp 1
		.amdhsa_ieee_mode 1
		.amdhsa_fp16_overflow 0
		.amdhsa_tg_split 0
		.amdhsa_exception_fp_ieee_invalid_op 0
		.amdhsa_exception_fp_denorm_src 0
		.amdhsa_exception_fp_ieee_div_zero 0
		.amdhsa_exception_fp_ieee_overflow 0
		.amdhsa_exception_fp_ieee_underflow 0
		.amdhsa_exception_fp_ieee_inexact 0
		.amdhsa_exception_int_div_zero 0
	.end_amdhsa_kernel
	.section	.text._ZN7rocprim17ROCPRIM_400000_NS6detail17trampoline_kernelINS0_14default_configENS1_35radix_sort_onesweep_config_selectorIdlEEZZNS1_29radix_sort_onesweep_iterationIS3_Lb0EPdS7_N6thrust23THRUST_200600_302600_NS10device_ptrIlEESB_jNS0_19identity_decomposerENS1_16block_id_wrapperIjLb0EEEEE10hipError_tT1_PNSt15iterator_traitsISG_E10value_typeET2_T3_PNSH_ISM_E10value_typeET4_T5_PSR_SS_PNS1_23onesweep_lookback_stateEbbT6_jjT7_P12ihipStream_tbENKUlT_T0_SG_SL_E_clIS7_S7_SB_SB_EEDaSZ_S10_SG_SL_EUlSZ_E_NS1_11comp_targetILNS1_3genE6ELNS1_11target_archE950ELNS1_3gpuE13ELNS1_3repE0EEENS1_47radix_sort_onesweep_sort_config_static_selectorELNS0_4arch9wavefront6targetE1EEEvSG_,"axG",@progbits,_ZN7rocprim17ROCPRIM_400000_NS6detail17trampoline_kernelINS0_14default_configENS1_35radix_sort_onesweep_config_selectorIdlEEZZNS1_29radix_sort_onesweep_iterationIS3_Lb0EPdS7_N6thrust23THRUST_200600_302600_NS10device_ptrIlEESB_jNS0_19identity_decomposerENS1_16block_id_wrapperIjLb0EEEEE10hipError_tT1_PNSt15iterator_traitsISG_E10value_typeET2_T3_PNSH_ISM_E10value_typeET4_T5_PSR_SS_PNS1_23onesweep_lookback_stateEbbT6_jjT7_P12ihipStream_tbENKUlT_T0_SG_SL_E_clIS7_S7_SB_SB_EEDaSZ_S10_SG_SL_EUlSZ_E_NS1_11comp_targetILNS1_3genE6ELNS1_11target_archE950ELNS1_3gpuE13ELNS1_3repE0EEENS1_47radix_sort_onesweep_sort_config_static_selectorELNS0_4arch9wavefront6targetE1EEEvSG_,comdat
.Lfunc_end1644:
	.size	_ZN7rocprim17ROCPRIM_400000_NS6detail17trampoline_kernelINS0_14default_configENS1_35radix_sort_onesweep_config_selectorIdlEEZZNS1_29radix_sort_onesweep_iterationIS3_Lb0EPdS7_N6thrust23THRUST_200600_302600_NS10device_ptrIlEESB_jNS0_19identity_decomposerENS1_16block_id_wrapperIjLb0EEEEE10hipError_tT1_PNSt15iterator_traitsISG_E10value_typeET2_T3_PNSH_ISM_E10value_typeET4_T5_PSR_SS_PNS1_23onesweep_lookback_stateEbbT6_jjT7_P12ihipStream_tbENKUlT_T0_SG_SL_E_clIS7_S7_SB_SB_EEDaSZ_S10_SG_SL_EUlSZ_E_NS1_11comp_targetILNS1_3genE6ELNS1_11target_archE950ELNS1_3gpuE13ELNS1_3repE0EEENS1_47radix_sort_onesweep_sort_config_static_selectorELNS0_4arch9wavefront6targetE1EEEvSG_, .Lfunc_end1644-_ZN7rocprim17ROCPRIM_400000_NS6detail17trampoline_kernelINS0_14default_configENS1_35radix_sort_onesweep_config_selectorIdlEEZZNS1_29radix_sort_onesweep_iterationIS3_Lb0EPdS7_N6thrust23THRUST_200600_302600_NS10device_ptrIlEESB_jNS0_19identity_decomposerENS1_16block_id_wrapperIjLb0EEEEE10hipError_tT1_PNSt15iterator_traitsISG_E10value_typeET2_T3_PNSH_ISM_E10value_typeET4_T5_PSR_SS_PNS1_23onesweep_lookback_stateEbbT6_jjT7_P12ihipStream_tbENKUlT_T0_SG_SL_E_clIS7_S7_SB_SB_EEDaSZ_S10_SG_SL_EUlSZ_E_NS1_11comp_targetILNS1_3genE6ELNS1_11target_archE950ELNS1_3gpuE13ELNS1_3repE0EEENS1_47radix_sort_onesweep_sort_config_static_selectorELNS0_4arch9wavefront6targetE1EEEvSG_
                                        ; -- End function
	.section	.AMDGPU.csdata,"",@progbits
; Kernel info:
; codeLenInByte = 0
; NumSgprs: 4
; NumVgprs: 0
; NumAgprs: 0
; TotalNumVgprs: 0
; ScratchSize: 0
; MemoryBound: 0
; FloatMode: 240
; IeeeMode: 1
; LDSByteSize: 0 bytes/workgroup (compile time only)
; SGPRBlocks: 0
; VGPRBlocks: 0
; NumSGPRsForWavesPerEU: 4
; NumVGPRsForWavesPerEU: 1
; AccumOffset: 4
; Occupancy: 8
; WaveLimiterHint : 0
; COMPUTE_PGM_RSRC2:SCRATCH_EN: 0
; COMPUTE_PGM_RSRC2:USER_SGPR: 6
; COMPUTE_PGM_RSRC2:TRAP_HANDLER: 0
; COMPUTE_PGM_RSRC2:TGID_X_EN: 1
; COMPUTE_PGM_RSRC2:TGID_Y_EN: 0
; COMPUTE_PGM_RSRC2:TGID_Z_EN: 0
; COMPUTE_PGM_RSRC2:TIDIG_COMP_CNT: 0
; COMPUTE_PGM_RSRC3_GFX90A:ACCUM_OFFSET: 0
; COMPUTE_PGM_RSRC3_GFX90A:TG_SPLIT: 0
	.section	.text._ZN7rocprim17ROCPRIM_400000_NS6detail17trampoline_kernelINS0_14default_configENS1_35radix_sort_onesweep_config_selectorIdlEEZZNS1_29radix_sort_onesweep_iterationIS3_Lb0EPdS7_N6thrust23THRUST_200600_302600_NS10device_ptrIlEESB_jNS0_19identity_decomposerENS1_16block_id_wrapperIjLb0EEEEE10hipError_tT1_PNSt15iterator_traitsISG_E10value_typeET2_T3_PNSH_ISM_E10value_typeET4_T5_PSR_SS_PNS1_23onesweep_lookback_stateEbbT6_jjT7_P12ihipStream_tbENKUlT_T0_SG_SL_E_clIS7_S7_SB_SB_EEDaSZ_S10_SG_SL_EUlSZ_E_NS1_11comp_targetILNS1_3genE5ELNS1_11target_archE942ELNS1_3gpuE9ELNS1_3repE0EEENS1_47radix_sort_onesweep_sort_config_static_selectorELNS0_4arch9wavefront6targetE1EEEvSG_,"axG",@progbits,_ZN7rocprim17ROCPRIM_400000_NS6detail17trampoline_kernelINS0_14default_configENS1_35radix_sort_onesweep_config_selectorIdlEEZZNS1_29radix_sort_onesweep_iterationIS3_Lb0EPdS7_N6thrust23THRUST_200600_302600_NS10device_ptrIlEESB_jNS0_19identity_decomposerENS1_16block_id_wrapperIjLb0EEEEE10hipError_tT1_PNSt15iterator_traitsISG_E10value_typeET2_T3_PNSH_ISM_E10value_typeET4_T5_PSR_SS_PNS1_23onesweep_lookback_stateEbbT6_jjT7_P12ihipStream_tbENKUlT_T0_SG_SL_E_clIS7_S7_SB_SB_EEDaSZ_S10_SG_SL_EUlSZ_E_NS1_11comp_targetILNS1_3genE5ELNS1_11target_archE942ELNS1_3gpuE9ELNS1_3repE0EEENS1_47radix_sort_onesweep_sort_config_static_selectorELNS0_4arch9wavefront6targetE1EEEvSG_,comdat
	.protected	_ZN7rocprim17ROCPRIM_400000_NS6detail17trampoline_kernelINS0_14default_configENS1_35radix_sort_onesweep_config_selectorIdlEEZZNS1_29radix_sort_onesweep_iterationIS3_Lb0EPdS7_N6thrust23THRUST_200600_302600_NS10device_ptrIlEESB_jNS0_19identity_decomposerENS1_16block_id_wrapperIjLb0EEEEE10hipError_tT1_PNSt15iterator_traitsISG_E10value_typeET2_T3_PNSH_ISM_E10value_typeET4_T5_PSR_SS_PNS1_23onesweep_lookback_stateEbbT6_jjT7_P12ihipStream_tbENKUlT_T0_SG_SL_E_clIS7_S7_SB_SB_EEDaSZ_S10_SG_SL_EUlSZ_E_NS1_11comp_targetILNS1_3genE5ELNS1_11target_archE942ELNS1_3gpuE9ELNS1_3repE0EEENS1_47radix_sort_onesweep_sort_config_static_selectorELNS0_4arch9wavefront6targetE1EEEvSG_ ; -- Begin function _ZN7rocprim17ROCPRIM_400000_NS6detail17trampoline_kernelINS0_14default_configENS1_35radix_sort_onesweep_config_selectorIdlEEZZNS1_29radix_sort_onesweep_iterationIS3_Lb0EPdS7_N6thrust23THRUST_200600_302600_NS10device_ptrIlEESB_jNS0_19identity_decomposerENS1_16block_id_wrapperIjLb0EEEEE10hipError_tT1_PNSt15iterator_traitsISG_E10value_typeET2_T3_PNSH_ISM_E10value_typeET4_T5_PSR_SS_PNS1_23onesweep_lookback_stateEbbT6_jjT7_P12ihipStream_tbENKUlT_T0_SG_SL_E_clIS7_S7_SB_SB_EEDaSZ_S10_SG_SL_EUlSZ_E_NS1_11comp_targetILNS1_3genE5ELNS1_11target_archE942ELNS1_3gpuE9ELNS1_3repE0EEENS1_47radix_sort_onesweep_sort_config_static_selectorELNS0_4arch9wavefront6targetE1EEEvSG_
	.globl	_ZN7rocprim17ROCPRIM_400000_NS6detail17trampoline_kernelINS0_14default_configENS1_35radix_sort_onesweep_config_selectorIdlEEZZNS1_29radix_sort_onesweep_iterationIS3_Lb0EPdS7_N6thrust23THRUST_200600_302600_NS10device_ptrIlEESB_jNS0_19identity_decomposerENS1_16block_id_wrapperIjLb0EEEEE10hipError_tT1_PNSt15iterator_traitsISG_E10value_typeET2_T3_PNSH_ISM_E10value_typeET4_T5_PSR_SS_PNS1_23onesweep_lookback_stateEbbT6_jjT7_P12ihipStream_tbENKUlT_T0_SG_SL_E_clIS7_S7_SB_SB_EEDaSZ_S10_SG_SL_EUlSZ_E_NS1_11comp_targetILNS1_3genE5ELNS1_11target_archE942ELNS1_3gpuE9ELNS1_3repE0EEENS1_47radix_sort_onesweep_sort_config_static_selectorELNS0_4arch9wavefront6targetE1EEEvSG_
	.p2align	8
	.type	_ZN7rocprim17ROCPRIM_400000_NS6detail17trampoline_kernelINS0_14default_configENS1_35radix_sort_onesweep_config_selectorIdlEEZZNS1_29radix_sort_onesweep_iterationIS3_Lb0EPdS7_N6thrust23THRUST_200600_302600_NS10device_ptrIlEESB_jNS0_19identity_decomposerENS1_16block_id_wrapperIjLb0EEEEE10hipError_tT1_PNSt15iterator_traitsISG_E10value_typeET2_T3_PNSH_ISM_E10value_typeET4_T5_PSR_SS_PNS1_23onesweep_lookback_stateEbbT6_jjT7_P12ihipStream_tbENKUlT_T0_SG_SL_E_clIS7_S7_SB_SB_EEDaSZ_S10_SG_SL_EUlSZ_E_NS1_11comp_targetILNS1_3genE5ELNS1_11target_archE942ELNS1_3gpuE9ELNS1_3repE0EEENS1_47radix_sort_onesweep_sort_config_static_selectorELNS0_4arch9wavefront6targetE1EEEvSG_,@function
_ZN7rocprim17ROCPRIM_400000_NS6detail17trampoline_kernelINS0_14default_configENS1_35radix_sort_onesweep_config_selectorIdlEEZZNS1_29radix_sort_onesweep_iterationIS3_Lb0EPdS7_N6thrust23THRUST_200600_302600_NS10device_ptrIlEESB_jNS0_19identity_decomposerENS1_16block_id_wrapperIjLb0EEEEE10hipError_tT1_PNSt15iterator_traitsISG_E10value_typeET2_T3_PNSH_ISM_E10value_typeET4_T5_PSR_SS_PNS1_23onesweep_lookback_stateEbbT6_jjT7_P12ihipStream_tbENKUlT_T0_SG_SL_E_clIS7_S7_SB_SB_EEDaSZ_S10_SG_SL_EUlSZ_E_NS1_11comp_targetILNS1_3genE5ELNS1_11target_archE942ELNS1_3gpuE9ELNS1_3repE0EEENS1_47radix_sort_onesweep_sort_config_static_selectorELNS0_4arch9wavefront6targetE1EEEvSG_: ; @_ZN7rocprim17ROCPRIM_400000_NS6detail17trampoline_kernelINS0_14default_configENS1_35radix_sort_onesweep_config_selectorIdlEEZZNS1_29radix_sort_onesweep_iterationIS3_Lb0EPdS7_N6thrust23THRUST_200600_302600_NS10device_ptrIlEESB_jNS0_19identity_decomposerENS1_16block_id_wrapperIjLb0EEEEE10hipError_tT1_PNSt15iterator_traitsISG_E10value_typeET2_T3_PNSH_ISM_E10value_typeET4_T5_PSR_SS_PNS1_23onesweep_lookback_stateEbbT6_jjT7_P12ihipStream_tbENKUlT_T0_SG_SL_E_clIS7_S7_SB_SB_EEDaSZ_S10_SG_SL_EUlSZ_E_NS1_11comp_targetILNS1_3genE5ELNS1_11target_archE942ELNS1_3gpuE9ELNS1_3repE0EEENS1_47radix_sort_onesweep_sort_config_static_selectorELNS0_4arch9wavefront6targetE1EEEvSG_
; %bb.0:
	.section	.rodata,"a",@progbits
	.p2align	6, 0x0
	.amdhsa_kernel _ZN7rocprim17ROCPRIM_400000_NS6detail17trampoline_kernelINS0_14default_configENS1_35radix_sort_onesweep_config_selectorIdlEEZZNS1_29radix_sort_onesweep_iterationIS3_Lb0EPdS7_N6thrust23THRUST_200600_302600_NS10device_ptrIlEESB_jNS0_19identity_decomposerENS1_16block_id_wrapperIjLb0EEEEE10hipError_tT1_PNSt15iterator_traitsISG_E10value_typeET2_T3_PNSH_ISM_E10value_typeET4_T5_PSR_SS_PNS1_23onesweep_lookback_stateEbbT6_jjT7_P12ihipStream_tbENKUlT_T0_SG_SL_E_clIS7_S7_SB_SB_EEDaSZ_S10_SG_SL_EUlSZ_E_NS1_11comp_targetILNS1_3genE5ELNS1_11target_archE942ELNS1_3gpuE9ELNS1_3repE0EEENS1_47radix_sort_onesweep_sort_config_static_selectorELNS0_4arch9wavefront6targetE1EEEvSG_
		.amdhsa_group_segment_fixed_size 0
		.amdhsa_private_segment_fixed_size 0
		.amdhsa_kernarg_size 88
		.amdhsa_user_sgpr_count 6
		.amdhsa_user_sgpr_private_segment_buffer 1
		.amdhsa_user_sgpr_dispatch_ptr 0
		.amdhsa_user_sgpr_queue_ptr 0
		.amdhsa_user_sgpr_kernarg_segment_ptr 1
		.amdhsa_user_sgpr_dispatch_id 0
		.amdhsa_user_sgpr_flat_scratch_init 0
		.amdhsa_user_sgpr_kernarg_preload_length 0
		.amdhsa_user_sgpr_kernarg_preload_offset 0
		.amdhsa_user_sgpr_private_segment_size 0
		.amdhsa_uses_dynamic_stack 0
		.amdhsa_system_sgpr_private_segment_wavefront_offset 0
		.amdhsa_system_sgpr_workgroup_id_x 1
		.amdhsa_system_sgpr_workgroup_id_y 0
		.amdhsa_system_sgpr_workgroup_id_z 0
		.amdhsa_system_sgpr_workgroup_info 0
		.amdhsa_system_vgpr_workitem_id 0
		.amdhsa_next_free_vgpr 1
		.amdhsa_next_free_sgpr 0
		.amdhsa_accum_offset 4
		.amdhsa_reserve_vcc 0
		.amdhsa_reserve_flat_scratch 0
		.amdhsa_float_round_mode_32 0
		.amdhsa_float_round_mode_16_64 0
		.amdhsa_float_denorm_mode_32 3
		.amdhsa_float_denorm_mode_16_64 3
		.amdhsa_dx10_clamp 1
		.amdhsa_ieee_mode 1
		.amdhsa_fp16_overflow 0
		.amdhsa_tg_split 0
		.amdhsa_exception_fp_ieee_invalid_op 0
		.amdhsa_exception_fp_denorm_src 0
		.amdhsa_exception_fp_ieee_div_zero 0
		.amdhsa_exception_fp_ieee_overflow 0
		.amdhsa_exception_fp_ieee_underflow 0
		.amdhsa_exception_fp_ieee_inexact 0
		.amdhsa_exception_int_div_zero 0
	.end_amdhsa_kernel
	.section	.text._ZN7rocprim17ROCPRIM_400000_NS6detail17trampoline_kernelINS0_14default_configENS1_35radix_sort_onesweep_config_selectorIdlEEZZNS1_29radix_sort_onesweep_iterationIS3_Lb0EPdS7_N6thrust23THRUST_200600_302600_NS10device_ptrIlEESB_jNS0_19identity_decomposerENS1_16block_id_wrapperIjLb0EEEEE10hipError_tT1_PNSt15iterator_traitsISG_E10value_typeET2_T3_PNSH_ISM_E10value_typeET4_T5_PSR_SS_PNS1_23onesweep_lookback_stateEbbT6_jjT7_P12ihipStream_tbENKUlT_T0_SG_SL_E_clIS7_S7_SB_SB_EEDaSZ_S10_SG_SL_EUlSZ_E_NS1_11comp_targetILNS1_3genE5ELNS1_11target_archE942ELNS1_3gpuE9ELNS1_3repE0EEENS1_47radix_sort_onesweep_sort_config_static_selectorELNS0_4arch9wavefront6targetE1EEEvSG_,"axG",@progbits,_ZN7rocprim17ROCPRIM_400000_NS6detail17trampoline_kernelINS0_14default_configENS1_35radix_sort_onesweep_config_selectorIdlEEZZNS1_29radix_sort_onesweep_iterationIS3_Lb0EPdS7_N6thrust23THRUST_200600_302600_NS10device_ptrIlEESB_jNS0_19identity_decomposerENS1_16block_id_wrapperIjLb0EEEEE10hipError_tT1_PNSt15iterator_traitsISG_E10value_typeET2_T3_PNSH_ISM_E10value_typeET4_T5_PSR_SS_PNS1_23onesweep_lookback_stateEbbT6_jjT7_P12ihipStream_tbENKUlT_T0_SG_SL_E_clIS7_S7_SB_SB_EEDaSZ_S10_SG_SL_EUlSZ_E_NS1_11comp_targetILNS1_3genE5ELNS1_11target_archE942ELNS1_3gpuE9ELNS1_3repE0EEENS1_47radix_sort_onesweep_sort_config_static_selectorELNS0_4arch9wavefront6targetE1EEEvSG_,comdat
.Lfunc_end1645:
	.size	_ZN7rocprim17ROCPRIM_400000_NS6detail17trampoline_kernelINS0_14default_configENS1_35radix_sort_onesweep_config_selectorIdlEEZZNS1_29radix_sort_onesweep_iterationIS3_Lb0EPdS7_N6thrust23THRUST_200600_302600_NS10device_ptrIlEESB_jNS0_19identity_decomposerENS1_16block_id_wrapperIjLb0EEEEE10hipError_tT1_PNSt15iterator_traitsISG_E10value_typeET2_T3_PNSH_ISM_E10value_typeET4_T5_PSR_SS_PNS1_23onesweep_lookback_stateEbbT6_jjT7_P12ihipStream_tbENKUlT_T0_SG_SL_E_clIS7_S7_SB_SB_EEDaSZ_S10_SG_SL_EUlSZ_E_NS1_11comp_targetILNS1_3genE5ELNS1_11target_archE942ELNS1_3gpuE9ELNS1_3repE0EEENS1_47radix_sort_onesweep_sort_config_static_selectorELNS0_4arch9wavefront6targetE1EEEvSG_, .Lfunc_end1645-_ZN7rocprim17ROCPRIM_400000_NS6detail17trampoline_kernelINS0_14default_configENS1_35radix_sort_onesweep_config_selectorIdlEEZZNS1_29radix_sort_onesweep_iterationIS3_Lb0EPdS7_N6thrust23THRUST_200600_302600_NS10device_ptrIlEESB_jNS0_19identity_decomposerENS1_16block_id_wrapperIjLb0EEEEE10hipError_tT1_PNSt15iterator_traitsISG_E10value_typeET2_T3_PNSH_ISM_E10value_typeET4_T5_PSR_SS_PNS1_23onesweep_lookback_stateEbbT6_jjT7_P12ihipStream_tbENKUlT_T0_SG_SL_E_clIS7_S7_SB_SB_EEDaSZ_S10_SG_SL_EUlSZ_E_NS1_11comp_targetILNS1_3genE5ELNS1_11target_archE942ELNS1_3gpuE9ELNS1_3repE0EEENS1_47radix_sort_onesweep_sort_config_static_selectorELNS0_4arch9wavefront6targetE1EEEvSG_
                                        ; -- End function
	.section	.AMDGPU.csdata,"",@progbits
; Kernel info:
; codeLenInByte = 0
; NumSgprs: 4
; NumVgprs: 0
; NumAgprs: 0
; TotalNumVgprs: 0
; ScratchSize: 0
; MemoryBound: 0
; FloatMode: 240
; IeeeMode: 1
; LDSByteSize: 0 bytes/workgroup (compile time only)
; SGPRBlocks: 0
; VGPRBlocks: 0
; NumSGPRsForWavesPerEU: 4
; NumVGPRsForWavesPerEU: 1
; AccumOffset: 4
; Occupancy: 8
; WaveLimiterHint : 0
; COMPUTE_PGM_RSRC2:SCRATCH_EN: 0
; COMPUTE_PGM_RSRC2:USER_SGPR: 6
; COMPUTE_PGM_RSRC2:TRAP_HANDLER: 0
; COMPUTE_PGM_RSRC2:TGID_X_EN: 1
; COMPUTE_PGM_RSRC2:TGID_Y_EN: 0
; COMPUTE_PGM_RSRC2:TGID_Z_EN: 0
; COMPUTE_PGM_RSRC2:TIDIG_COMP_CNT: 0
; COMPUTE_PGM_RSRC3_GFX90A:ACCUM_OFFSET: 0
; COMPUTE_PGM_RSRC3_GFX90A:TG_SPLIT: 0
	.section	.text._ZN7rocprim17ROCPRIM_400000_NS6detail17trampoline_kernelINS0_14default_configENS1_35radix_sort_onesweep_config_selectorIdlEEZZNS1_29radix_sort_onesweep_iterationIS3_Lb0EPdS7_N6thrust23THRUST_200600_302600_NS10device_ptrIlEESB_jNS0_19identity_decomposerENS1_16block_id_wrapperIjLb0EEEEE10hipError_tT1_PNSt15iterator_traitsISG_E10value_typeET2_T3_PNSH_ISM_E10value_typeET4_T5_PSR_SS_PNS1_23onesweep_lookback_stateEbbT6_jjT7_P12ihipStream_tbENKUlT_T0_SG_SL_E_clIS7_S7_SB_SB_EEDaSZ_S10_SG_SL_EUlSZ_E_NS1_11comp_targetILNS1_3genE2ELNS1_11target_archE906ELNS1_3gpuE6ELNS1_3repE0EEENS1_47radix_sort_onesweep_sort_config_static_selectorELNS0_4arch9wavefront6targetE1EEEvSG_,"axG",@progbits,_ZN7rocprim17ROCPRIM_400000_NS6detail17trampoline_kernelINS0_14default_configENS1_35radix_sort_onesweep_config_selectorIdlEEZZNS1_29radix_sort_onesweep_iterationIS3_Lb0EPdS7_N6thrust23THRUST_200600_302600_NS10device_ptrIlEESB_jNS0_19identity_decomposerENS1_16block_id_wrapperIjLb0EEEEE10hipError_tT1_PNSt15iterator_traitsISG_E10value_typeET2_T3_PNSH_ISM_E10value_typeET4_T5_PSR_SS_PNS1_23onesweep_lookback_stateEbbT6_jjT7_P12ihipStream_tbENKUlT_T0_SG_SL_E_clIS7_S7_SB_SB_EEDaSZ_S10_SG_SL_EUlSZ_E_NS1_11comp_targetILNS1_3genE2ELNS1_11target_archE906ELNS1_3gpuE6ELNS1_3repE0EEENS1_47radix_sort_onesweep_sort_config_static_selectorELNS0_4arch9wavefront6targetE1EEEvSG_,comdat
	.protected	_ZN7rocprim17ROCPRIM_400000_NS6detail17trampoline_kernelINS0_14default_configENS1_35radix_sort_onesweep_config_selectorIdlEEZZNS1_29radix_sort_onesweep_iterationIS3_Lb0EPdS7_N6thrust23THRUST_200600_302600_NS10device_ptrIlEESB_jNS0_19identity_decomposerENS1_16block_id_wrapperIjLb0EEEEE10hipError_tT1_PNSt15iterator_traitsISG_E10value_typeET2_T3_PNSH_ISM_E10value_typeET4_T5_PSR_SS_PNS1_23onesweep_lookback_stateEbbT6_jjT7_P12ihipStream_tbENKUlT_T0_SG_SL_E_clIS7_S7_SB_SB_EEDaSZ_S10_SG_SL_EUlSZ_E_NS1_11comp_targetILNS1_3genE2ELNS1_11target_archE906ELNS1_3gpuE6ELNS1_3repE0EEENS1_47radix_sort_onesweep_sort_config_static_selectorELNS0_4arch9wavefront6targetE1EEEvSG_ ; -- Begin function _ZN7rocprim17ROCPRIM_400000_NS6detail17trampoline_kernelINS0_14default_configENS1_35radix_sort_onesweep_config_selectorIdlEEZZNS1_29radix_sort_onesweep_iterationIS3_Lb0EPdS7_N6thrust23THRUST_200600_302600_NS10device_ptrIlEESB_jNS0_19identity_decomposerENS1_16block_id_wrapperIjLb0EEEEE10hipError_tT1_PNSt15iterator_traitsISG_E10value_typeET2_T3_PNSH_ISM_E10value_typeET4_T5_PSR_SS_PNS1_23onesweep_lookback_stateEbbT6_jjT7_P12ihipStream_tbENKUlT_T0_SG_SL_E_clIS7_S7_SB_SB_EEDaSZ_S10_SG_SL_EUlSZ_E_NS1_11comp_targetILNS1_3genE2ELNS1_11target_archE906ELNS1_3gpuE6ELNS1_3repE0EEENS1_47radix_sort_onesweep_sort_config_static_selectorELNS0_4arch9wavefront6targetE1EEEvSG_
	.globl	_ZN7rocprim17ROCPRIM_400000_NS6detail17trampoline_kernelINS0_14default_configENS1_35radix_sort_onesweep_config_selectorIdlEEZZNS1_29radix_sort_onesweep_iterationIS3_Lb0EPdS7_N6thrust23THRUST_200600_302600_NS10device_ptrIlEESB_jNS0_19identity_decomposerENS1_16block_id_wrapperIjLb0EEEEE10hipError_tT1_PNSt15iterator_traitsISG_E10value_typeET2_T3_PNSH_ISM_E10value_typeET4_T5_PSR_SS_PNS1_23onesweep_lookback_stateEbbT6_jjT7_P12ihipStream_tbENKUlT_T0_SG_SL_E_clIS7_S7_SB_SB_EEDaSZ_S10_SG_SL_EUlSZ_E_NS1_11comp_targetILNS1_3genE2ELNS1_11target_archE906ELNS1_3gpuE6ELNS1_3repE0EEENS1_47radix_sort_onesweep_sort_config_static_selectorELNS0_4arch9wavefront6targetE1EEEvSG_
	.p2align	8
	.type	_ZN7rocprim17ROCPRIM_400000_NS6detail17trampoline_kernelINS0_14default_configENS1_35radix_sort_onesweep_config_selectorIdlEEZZNS1_29radix_sort_onesweep_iterationIS3_Lb0EPdS7_N6thrust23THRUST_200600_302600_NS10device_ptrIlEESB_jNS0_19identity_decomposerENS1_16block_id_wrapperIjLb0EEEEE10hipError_tT1_PNSt15iterator_traitsISG_E10value_typeET2_T3_PNSH_ISM_E10value_typeET4_T5_PSR_SS_PNS1_23onesweep_lookback_stateEbbT6_jjT7_P12ihipStream_tbENKUlT_T0_SG_SL_E_clIS7_S7_SB_SB_EEDaSZ_S10_SG_SL_EUlSZ_E_NS1_11comp_targetILNS1_3genE2ELNS1_11target_archE906ELNS1_3gpuE6ELNS1_3repE0EEENS1_47radix_sort_onesweep_sort_config_static_selectorELNS0_4arch9wavefront6targetE1EEEvSG_,@function
_ZN7rocprim17ROCPRIM_400000_NS6detail17trampoline_kernelINS0_14default_configENS1_35radix_sort_onesweep_config_selectorIdlEEZZNS1_29radix_sort_onesweep_iterationIS3_Lb0EPdS7_N6thrust23THRUST_200600_302600_NS10device_ptrIlEESB_jNS0_19identity_decomposerENS1_16block_id_wrapperIjLb0EEEEE10hipError_tT1_PNSt15iterator_traitsISG_E10value_typeET2_T3_PNSH_ISM_E10value_typeET4_T5_PSR_SS_PNS1_23onesweep_lookback_stateEbbT6_jjT7_P12ihipStream_tbENKUlT_T0_SG_SL_E_clIS7_S7_SB_SB_EEDaSZ_S10_SG_SL_EUlSZ_E_NS1_11comp_targetILNS1_3genE2ELNS1_11target_archE906ELNS1_3gpuE6ELNS1_3repE0EEENS1_47radix_sort_onesweep_sort_config_static_selectorELNS0_4arch9wavefront6targetE1EEEvSG_: ; @_ZN7rocprim17ROCPRIM_400000_NS6detail17trampoline_kernelINS0_14default_configENS1_35radix_sort_onesweep_config_selectorIdlEEZZNS1_29radix_sort_onesweep_iterationIS3_Lb0EPdS7_N6thrust23THRUST_200600_302600_NS10device_ptrIlEESB_jNS0_19identity_decomposerENS1_16block_id_wrapperIjLb0EEEEE10hipError_tT1_PNSt15iterator_traitsISG_E10value_typeET2_T3_PNSH_ISM_E10value_typeET4_T5_PSR_SS_PNS1_23onesweep_lookback_stateEbbT6_jjT7_P12ihipStream_tbENKUlT_T0_SG_SL_E_clIS7_S7_SB_SB_EEDaSZ_S10_SG_SL_EUlSZ_E_NS1_11comp_targetILNS1_3genE2ELNS1_11target_archE906ELNS1_3gpuE6ELNS1_3repE0EEENS1_47radix_sort_onesweep_sort_config_static_selectorELNS0_4arch9wavefront6targetE1EEEvSG_
; %bb.0:
	.section	.rodata,"a",@progbits
	.p2align	6, 0x0
	.amdhsa_kernel _ZN7rocprim17ROCPRIM_400000_NS6detail17trampoline_kernelINS0_14default_configENS1_35radix_sort_onesweep_config_selectorIdlEEZZNS1_29radix_sort_onesweep_iterationIS3_Lb0EPdS7_N6thrust23THRUST_200600_302600_NS10device_ptrIlEESB_jNS0_19identity_decomposerENS1_16block_id_wrapperIjLb0EEEEE10hipError_tT1_PNSt15iterator_traitsISG_E10value_typeET2_T3_PNSH_ISM_E10value_typeET4_T5_PSR_SS_PNS1_23onesweep_lookback_stateEbbT6_jjT7_P12ihipStream_tbENKUlT_T0_SG_SL_E_clIS7_S7_SB_SB_EEDaSZ_S10_SG_SL_EUlSZ_E_NS1_11comp_targetILNS1_3genE2ELNS1_11target_archE906ELNS1_3gpuE6ELNS1_3repE0EEENS1_47radix_sort_onesweep_sort_config_static_selectorELNS0_4arch9wavefront6targetE1EEEvSG_
		.amdhsa_group_segment_fixed_size 0
		.amdhsa_private_segment_fixed_size 0
		.amdhsa_kernarg_size 88
		.amdhsa_user_sgpr_count 6
		.amdhsa_user_sgpr_private_segment_buffer 1
		.amdhsa_user_sgpr_dispatch_ptr 0
		.amdhsa_user_sgpr_queue_ptr 0
		.amdhsa_user_sgpr_kernarg_segment_ptr 1
		.amdhsa_user_sgpr_dispatch_id 0
		.amdhsa_user_sgpr_flat_scratch_init 0
		.amdhsa_user_sgpr_kernarg_preload_length 0
		.amdhsa_user_sgpr_kernarg_preload_offset 0
		.amdhsa_user_sgpr_private_segment_size 0
		.amdhsa_uses_dynamic_stack 0
		.amdhsa_system_sgpr_private_segment_wavefront_offset 0
		.amdhsa_system_sgpr_workgroup_id_x 1
		.amdhsa_system_sgpr_workgroup_id_y 0
		.amdhsa_system_sgpr_workgroup_id_z 0
		.amdhsa_system_sgpr_workgroup_info 0
		.amdhsa_system_vgpr_workitem_id 0
		.amdhsa_next_free_vgpr 1
		.amdhsa_next_free_sgpr 0
		.amdhsa_accum_offset 4
		.amdhsa_reserve_vcc 0
		.amdhsa_reserve_flat_scratch 0
		.amdhsa_float_round_mode_32 0
		.amdhsa_float_round_mode_16_64 0
		.amdhsa_float_denorm_mode_32 3
		.amdhsa_float_denorm_mode_16_64 3
		.amdhsa_dx10_clamp 1
		.amdhsa_ieee_mode 1
		.amdhsa_fp16_overflow 0
		.amdhsa_tg_split 0
		.amdhsa_exception_fp_ieee_invalid_op 0
		.amdhsa_exception_fp_denorm_src 0
		.amdhsa_exception_fp_ieee_div_zero 0
		.amdhsa_exception_fp_ieee_overflow 0
		.amdhsa_exception_fp_ieee_underflow 0
		.amdhsa_exception_fp_ieee_inexact 0
		.amdhsa_exception_int_div_zero 0
	.end_amdhsa_kernel
	.section	.text._ZN7rocprim17ROCPRIM_400000_NS6detail17trampoline_kernelINS0_14default_configENS1_35radix_sort_onesweep_config_selectorIdlEEZZNS1_29radix_sort_onesweep_iterationIS3_Lb0EPdS7_N6thrust23THRUST_200600_302600_NS10device_ptrIlEESB_jNS0_19identity_decomposerENS1_16block_id_wrapperIjLb0EEEEE10hipError_tT1_PNSt15iterator_traitsISG_E10value_typeET2_T3_PNSH_ISM_E10value_typeET4_T5_PSR_SS_PNS1_23onesweep_lookback_stateEbbT6_jjT7_P12ihipStream_tbENKUlT_T0_SG_SL_E_clIS7_S7_SB_SB_EEDaSZ_S10_SG_SL_EUlSZ_E_NS1_11comp_targetILNS1_3genE2ELNS1_11target_archE906ELNS1_3gpuE6ELNS1_3repE0EEENS1_47radix_sort_onesweep_sort_config_static_selectorELNS0_4arch9wavefront6targetE1EEEvSG_,"axG",@progbits,_ZN7rocprim17ROCPRIM_400000_NS6detail17trampoline_kernelINS0_14default_configENS1_35radix_sort_onesweep_config_selectorIdlEEZZNS1_29radix_sort_onesweep_iterationIS3_Lb0EPdS7_N6thrust23THRUST_200600_302600_NS10device_ptrIlEESB_jNS0_19identity_decomposerENS1_16block_id_wrapperIjLb0EEEEE10hipError_tT1_PNSt15iterator_traitsISG_E10value_typeET2_T3_PNSH_ISM_E10value_typeET4_T5_PSR_SS_PNS1_23onesweep_lookback_stateEbbT6_jjT7_P12ihipStream_tbENKUlT_T0_SG_SL_E_clIS7_S7_SB_SB_EEDaSZ_S10_SG_SL_EUlSZ_E_NS1_11comp_targetILNS1_3genE2ELNS1_11target_archE906ELNS1_3gpuE6ELNS1_3repE0EEENS1_47radix_sort_onesweep_sort_config_static_selectorELNS0_4arch9wavefront6targetE1EEEvSG_,comdat
.Lfunc_end1646:
	.size	_ZN7rocprim17ROCPRIM_400000_NS6detail17trampoline_kernelINS0_14default_configENS1_35radix_sort_onesweep_config_selectorIdlEEZZNS1_29radix_sort_onesweep_iterationIS3_Lb0EPdS7_N6thrust23THRUST_200600_302600_NS10device_ptrIlEESB_jNS0_19identity_decomposerENS1_16block_id_wrapperIjLb0EEEEE10hipError_tT1_PNSt15iterator_traitsISG_E10value_typeET2_T3_PNSH_ISM_E10value_typeET4_T5_PSR_SS_PNS1_23onesweep_lookback_stateEbbT6_jjT7_P12ihipStream_tbENKUlT_T0_SG_SL_E_clIS7_S7_SB_SB_EEDaSZ_S10_SG_SL_EUlSZ_E_NS1_11comp_targetILNS1_3genE2ELNS1_11target_archE906ELNS1_3gpuE6ELNS1_3repE0EEENS1_47radix_sort_onesweep_sort_config_static_selectorELNS0_4arch9wavefront6targetE1EEEvSG_, .Lfunc_end1646-_ZN7rocprim17ROCPRIM_400000_NS6detail17trampoline_kernelINS0_14default_configENS1_35radix_sort_onesweep_config_selectorIdlEEZZNS1_29radix_sort_onesweep_iterationIS3_Lb0EPdS7_N6thrust23THRUST_200600_302600_NS10device_ptrIlEESB_jNS0_19identity_decomposerENS1_16block_id_wrapperIjLb0EEEEE10hipError_tT1_PNSt15iterator_traitsISG_E10value_typeET2_T3_PNSH_ISM_E10value_typeET4_T5_PSR_SS_PNS1_23onesweep_lookback_stateEbbT6_jjT7_P12ihipStream_tbENKUlT_T0_SG_SL_E_clIS7_S7_SB_SB_EEDaSZ_S10_SG_SL_EUlSZ_E_NS1_11comp_targetILNS1_3genE2ELNS1_11target_archE906ELNS1_3gpuE6ELNS1_3repE0EEENS1_47radix_sort_onesweep_sort_config_static_selectorELNS0_4arch9wavefront6targetE1EEEvSG_
                                        ; -- End function
	.section	.AMDGPU.csdata,"",@progbits
; Kernel info:
; codeLenInByte = 0
; NumSgprs: 4
; NumVgprs: 0
; NumAgprs: 0
; TotalNumVgprs: 0
; ScratchSize: 0
; MemoryBound: 0
; FloatMode: 240
; IeeeMode: 1
; LDSByteSize: 0 bytes/workgroup (compile time only)
; SGPRBlocks: 0
; VGPRBlocks: 0
; NumSGPRsForWavesPerEU: 4
; NumVGPRsForWavesPerEU: 1
; AccumOffset: 4
; Occupancy: 8
; WaveLimiterHint : 0
; COMPUTE_PGM_RSRC2:SCRATCH_EN: 0
; COMPUTE_PGM_RSRC2:USER_SGPR: 6
; COMPUTE_PGM_RSRC2:TRAP_HANDLER: 0
; COMPUTE_PGM_RSRC2:TGID_X_EN: 1
; COMPUTE_PGM_RSRC2:TGID_Y_EN: 0
; COMPUTE_PGM_RSRC2:TGID_Z_EN: 0
; COMPUTE_PGM_RSRC2:TIDIG_COMP_CNT: 0
; COMPUTE_PGM_RSRC3_GFX90A:ACCUM_OFFSET: 0
; COMPUTE_PGM_RSRC3_GFX90A:TG_SPLIT: 0
	.section	.text._ZN7rocprim17ROCPRIM_400000_NS6detail17trampoline_kernelINS0_14default_configENS1_35radix_sort_onesweep_config_selectorIdlEEZZNS1_29radix_sort_onesweep_iterationIS3_Lb0EPdS7_N6thrust23THRUST_200600_302600_NS10device_ptrIlEESB_jNS0_19identity_decomposerENS1_16block_id_wrapperIjLb0EEEEE10hipError_tT1_PNSt15iterator_traitsISG_E10value_typeET2_T3_PNSH_ISM_E10value_typeET4_T5_PSR_SS_PNS1_23onesweep_lookback_stateEbbT6_jjT7_P12ihipStream_tbENKUlT_T0_SG_SL_E_clIS7_S7_SB_SB_EEDaSZ_S10_SG_SL_EUlSZ_E_NS1_11comp_targetILNS1_3genE4ELNS1_11target_archE910ELNS1_3gpuE8ELNS1_3repE0EEENS1_47radix_sort_onesweep_sort_config_static_selectorELNS0_4arch9wavefront6targetE1EEEvSG_,"axG",@progbits,_ZN7rocprim17ROCPRIM_400000_NS6detail17trampoline_kernelINS0_14default_configENS1_35radix_sort_onesweep_config_selectorIdlEEZZNS1_29radix_sort_onesweep_iterationIS3_Lb0EPdS7_N6thrust23THRUST_200600_302600_NS10device_ptrIlEESB_jNS0_19identity_decomposerENS1_16block_id_wrapperIjLb0EEEEE10hipError_tT1_PNSt15iterator_traitsISG_E10value_typeET2_T3_PNSH_ISM_E10value_typeET4_T5_PSR_SS_PNS1_23onesweep_lookback_stateEbbT6_jjT7_P12ihipStream_tbENKUlT_T0_SG_SL_E_clIS7_S7_SB_SB_EEDaSZ_S10_SG_SL_EUlSZ_E_NS1_11comp_targetILNS1_3genE4ELNS1_11target_archE910ELNS1_3gpuE8ELNS1_3repE0EEENS1_47radix_sort_onesweep_sort_config_static_selectorELNS0_4arch9wavefront6targetE1EEEvSG_,comdat
	.protected	_ZN7rocprim17ROCPRIM_400000_NS6detail17trampoline_kernelINS0_14default_configENS1_35radix_sort_onesweep_config_selectorIdlEEZZNS1_29radix_sort_onesweep_iterationIS3_Lb0EPdS7_N6thrust23THRUST_200600_302600_NS10device_ptrIlEESB_jNS0_19identity_decomposerENS1_16block_id_wrapperIjLb0EEEEE10hipError_tT1_PNSt15iterator_traitsISG_E10value_typeET2_T3_PNSH_ISM_E10value_typeET4_T5_PSR_SS_PNS1_23onesweep_lookback_stateEbbT6_jjT7_P12ihipStream_tbENKUlT_T0_SG_SL_E_clIS7_S7_SB_SB_EEDaSZ_S10_SG_SL_EUlSZ_E_NS1_11comp_targetILNS1_3genE4ELNS1_11target_archE910ELNS1_3gpuE8ELNS1_3repE0EEENS1_47radix_sort_onesweep_sort_config_static_selectorELNS0_4arch9wavefront6targetE1EEEvSG_ ; -- Begin function _ZN7rocprim17ROCPRIM_400000_NS6detail17trampoline_kernelINS0_14default_configENS1_35radix_sort_onesweep_config_selectorIdlEEZZNS1_29radix_sort_onesweep_iterationIS3_Lb0EPdS7_N6thrust23THRUST_200600_302600_NS10device_ptrIlEESB_jNS0_19identity_decomposerENS1_16block_id_wrapperIjLb0EEEEE10hipError_tT1_PNSt15iterator_traitsISG_E10value_typeET2_T3_PNSH_ISM_E10value_typeET4_T5_PSR_SS_PNS1_23onesweep_lookback_stateEbbT6_jjT7_P12ihipStream_tbENKUlT_T0_SG_SL_E_clIS7_S7_SB_SB_EEDaSZ_S10_SG_SL_EUlSZ_E_NS1_11comp_targetILNS1_3genE4ELNS1_11target_archE910ELNS1_3gpuE8ELNS1_3repE0EEENS1_47radix_sort_onesweep_sort_config_static_selectorELNS0_4arch9wavefront6targetE1EEEvSG_
	.globl	_ZN7rocprim17ROCPRIM_400000_NS6detail17trampoline_kernelINS0_14default_configENS1_35radix_sort_onesweep_config_selectorIdlEEZZNS1_29radix_sort_onesweep_iterationIS3_Lb0EPdS7_N6thrust23THRUST_200600_302600_NS10device_ptrIlEESB_jNS0_19identity_decomposerENS1_16block_id_wrapperIjLb0EEEEE10hipError_tT1_PNSt15iterator_traitsISG_E10value_typeET2_T3_PNSH_ISM_E10value_typeET4_T5_PSR_SS_PNS1_23onesweep_lookback_stateEbbT6_jjT7_P12ihipStream_tbENKUlT_T0_SG_SL_E_clIS7_S7_SB_SB_EEDaSZ_S10_SG_SL_EUlSZ_E_NS1_11comp_targetILNS1_3genE4ELNS1_11target_archE910ELNS1_3gpuE8ELNS1_3repE0EEENS1_47radix_sort_onesweep_sort_config_static_selectorELNS0_4arch9wavefront6targetE1EEEvSG_
	.p2align	8
	.type	_ZN7rocprim17ROCPRIM_400000_NS6detail17trampoline_kernelINS0_14default_configENS1_35radix_sort_onesweep_config_selectorIdlEEZZNS1_29radix_sort_onesweep_iterationIS3_Lb0EPdS7_N6thrust23THRUST_200600_302600_NS10device_ptrIlEESB_jNS0_19identity_decomposerENS1_16block_id_wrapperIjLb0EEEEE10hipError_tT1_PNSt15iterator_traitsISG_E10value_typeET2_T3_PNSH_ISM_E10value_typeET4_T5_PSR_SS_PNS1_23onesweep_lookback_stateEbbT6_jjT7_P12ihipStream_tbENKUlT_T0_SG_SL_E_clIS7_S7_SB_SB_EEDaSZ_S10_SG_SL_EUlSZ_E_NS1_11comp_targetILNS1_3genE4ELNS1_11target_archE910ELNS1_3gpuE8ELNS1_3repE0EEENS1_47radix_sort_onesweep_sort_config_static_selectorELNS0_4arch9wavefront6targetE1EEEvSG_,@function
_ZN7rocprim17ROCPRIM_400000_NS6detail17trampoline_kernelINS0_14default_configENS1_35radix_sort_onesweep_config_selectorIdlEEZZNS1_29radix_sort_onesweep_iterationIS3_Lb0EPdS7_N6thrust23THRUST_200600_302600_NS10device_ptrIlEESB_jNS0_19identity_decomposerENS1_16block_id_wrapperIjLb0EEEEE10hipError_tT1_PNSt15iterator_traitsISG_E10value_typeET2_T3_PNSH_ISM_E10value_typeET4_T5_PSR_SS_PNS1_23onesweep_lookback_stateEbbT6_jjT7_P12ihipStream_tbENKUlT_T0_SG_SL_E_clIS7_S7_SB_SB_EEDaSZ_S10_SG_SL_EUlSZ_E_NS1_11comp_targetILNS1_3genE4ELNS1_11target_archE910ELNS1_3gpuE8ELNS1_3repE0EEENS1_47radix_sort_onesweep_sort_config_static_selectorELNS0_4arch9wavefront6targetE1EEEvSG_: ; @_ZN7rocprim17ROCPRIM_400000_NS6detail17trampoline_kernelINS0_14default_configENS1_35radix_sort_onesweep_config_selectorIdlEEZZNS1_29radix_sort_onesweep_iterationIS3_Lb0EPdS7_N6thrust23THRUST_200600_302600_NS10device_ptrIlEESB_jNS0_19identity_decomposerENS1_16block_id_wrapperIjLb0EEEEE10hipError_tT1_PNSt15iterator_traitsISG_E10value_typeET2_T3_PNSH_ISM_E10value_typeET4_T5_PSR_SS_PNS1_23onesweep_lookback_stateEbbT6_jjT7_P12ihipStream_tbENKUlT_T0_SG_SL_E_clIS7_S7_SB_SB_EEDaSZ_S10_SG_SL_EUlSZ_E_NS1_11comp_targetILNS1_3genE4ELNS1_11target_archE910ELNS1_3gpuE8ELNS1_3repE0EEENS1_47radix_sort_onesweep_sort_config_static_selectorELNS0_4arch9wavefront6targetE1EEEvSG_
; %bb.0:
	s_load_dwordx8 s[36:43], s[4:5], 0x0
	s_load_dwordx4 s[44:47], s[4:5], 0x44
	s_load_dwordx4 s[28:31], s[4:5], 0x28
	s_load_dwordx2 s[34:35], s[4:5], 0x38
	v_mbcnt_lo_u32_b32 v1, -1, 0
	s_waitcnt lgkmcnt(0)
	s_cmp_ge_u32 s6, s46
	s_cbranch_scc0 .LBB1647_59
; %bb.1:
	s_load_dword s2, s[4:5], 0x20
	s_lshl_b32 s3, s46, 13
	s_lshl_b32 s0, s6, 13
	s_mov_b32 s1, 0
	s_lshl_b64 s[46:47], s[0:1], 3
	s_waitcnt lgkmcnt(0)
	s_sub_i32 s7, s2, s3
	v_mbcnt_hi_u32_b32 v28, -1, v1
	v_and_b32_e32 v10, 0x3ff, v0
	s_add_u32 s0, s36, s46
	v_and_b32_e32 v2, 63, v28
	s_addc_u32 s1, s37, s47
	v_lshlrev_b32_e32 v11, 3, v10
	v_lshlrev_b32_e32 v30, 3, v2
	v_and_b32_e32 v3, 0x1e00, v11
	v_mov_b32_e32 v4, s1
	v_add_co_u32_e32 v5, vcc, s0, v30
	v_addc_co_u32_e32 v4, vcc, 0, v4, vcc
	v_lshlrev_b32_e32 v31, 3, v3
	s_mov_b32 s2, -1
	v_add_co_u32_e32 v20, vcc, v5, v31
	s_brev_b32 s3, -2
	v_addc_co_u32_e32 v21, vcc, 0, v4, vcc
	v_or_b32_e32 v2, v2, v3
	v_cmp_gt_u32_e32 vcc, s7, v2
	v_pk_mov_b32 v[12:13], s[2:3], s[2:3] op_sel:[0,1]
	s_and_saveexec_b64 s[0:1], vcc
	s_cbranch_execz .LBB1647_3
; %bb.2:
	global_load_dwordx2 v[12:13], v[20:21], off
.LBB1647_3:
	s_or_b64 exec, exec, s[0:1]
	v_or_b32_e32 v3, 64, v2
	v_cmp_gt_u32_e64 s[0:1], s7, v3
	v_pk_mov_b32 v[14:15], s[2:3], s[2:3] op_sel:[0,1]
	s_and_saveexec_b64 s[2:3], s[0:1]
	s_cbranch_execz .LBB1647_5
; %bb.4:
	global_load_dwordx2 v[14:15], v[20:21], off offset:512
.LBB1647_5:
	s_or_b64 exec, exec, s[2:3]
	s_mov_b32 s8, -1
	v_or_b32_e32 v3, 0x80, v2
	s_brev_b32 s9, -2
	v_cmp_gt_u32_e64 s[2:3], s7, v3
	v_pk_mov_b32 v[16:17], s[8:9], s[8:9] op_sel:[0,1]
	s_and_saveexec_b64 s[10:11], s[2:3]
	s_cbranch_execz .LBB1647_7
; %bb.6:
	global_load_dwordx2 v[16:17], v[20:21], off offset:1024
.LBB1647_7:
	s_or_b64 exec, exec, s[10:11]
	v_or_b32_e32 v3, 0xc0, v2
	v_cmp_gt_u32_e64 s[24:25], s7, v3
	v_pk_mov_b32 v[18:19], s[8:9], s[8:9] op_sel:[0,1]
	s_and_saveexec_b64 s[8:9], s[24:25]
	s_cbranch_execz .LBB1647_9
; %bb.8:
	global_load_dwordx2 v[18:19], v[20:21], off offset:1536
.LBB1647_9:
	s_or_b64 exec, exec, s[8:9]
	s_mov_b32 s12, -1
	v_or_b32_e32 v3, 0x100, v2
	s_brev_b32 s13, -2
	v_cmp_gt_u32_e64 s[8:9], s7, v3
	v_pk_mov_b32 v[8:9], s[12:13], s[12:13] op_sel:[0,1]
	s_and_saveexec_b64 s[10:11], s[8:9]
	s_cbranch_execz .LBB1647_11
; %bb.10:
	global_load_dwordx2 v[8:9], v[20:21], off offset:2048
.LBB1647_11:
	;; [unrolled: 20-line block ×3, first 2 shown]
	s_or_b64 exec, exec, s[14:15]
	v_or_b32_e32 v2, 0x1c0, v2
	v_cmp_gt_u32_e64 s[14:15], s7, v2
	v_pk_mov_b32 v[2:3], s[16:17], s[16:17] op_sel:[0,1]
	s_and_saveexec_b64 s[16:17], s[14:15]
	s_cbranch_execz .LBB1647_17
; %bb.16:
	global_load_dwordx2 v[2:3], v[20:21], off offset:3584
.LBB1647_17:
	s_or_b64 exec, exec, s[16:17]
	s_load_dword s16, s[4:5], 0x64
	s_load_dword s33, s[4:5], 0x58
	s_add_u32 s17, s4, 0x58
	s_addc_u32 s18, s5, 0
	v_mov_b32_e32 v20, 0
	s_waitcnt lgkmcnt(0)
	s_lshr_b32 s19, s16, 16
	s_cmp_lt_u32 s6, s33
	s_cselect_b32 s16, 12, 18
	s_add_u32 s16, s17, s16
	s_addc_u32 s17, s18, 0
	global_load_ushort v25, v20, s[16:17]
	v_bfrev_b32_e32 v24, 1
	s_waitcnt vmcnt(1)
	v_cmp_lt_i64_e64 s[16:17], -1, v[12:13]
	s_mov_b32 s20, -1
	v_ashrrev_i32_e32 v21, 31, v13
	v_cndmask_b32_e64 v23, -1, v24, s[16:17]
	s_brev_b32 s21, -2
	v_xor_b32_e32 v12, v21, v12
	v_xor_b32_e32 v13, v23, v13
	v_mul_u32_u24_e32 v22, 5, v10
	v_cmp_ne_u64_e64 s[16:17], s[20:21], v[12:13]
	v_lshlrev_b32_e32 v33, 2, v22
	v_cndmask_b32_e64 v23, v24, v13, s[16:17]
	v_cndmask_b32_e64 v22, 0, v12, s[16:17]
	s_lshl_b32 s16, -1, s45
	v_bfe_u32 v26, v0, 10, 10
	v_bfe_u32 v27, v0, 20, 10
	v_lshrrev_b64 v[22:23], s44, v[22:23]
	s_not_b32 s50, s16
	v_mad_u32_u24 v23, v27, s19, v26
	v_and_b32_e32 v26, s50, v22
	v_and_b32_e32 v22, 1, v26
	v_add_co_u32_e64 v29, s[16:17], -1, v22
	v_lshlrev_b32_e32 v21, 30, v26
	v_addc_co_u32_e64 v32, s[16:17], 0, -1, s[16:17]
	v_cmp_ne_u32_e64 s[16:17], 0, v22
	v_cmp_gt_i64_e64 s[18:19], 0, v[20:21]
	v_not_b32_e32 v22, v21
	v_lshlrev_b32_e32 v21, 29, v26
	v_xor_b32_e32 v32, s17, v32
	v_xor_b32_e32 v29, s16, v29
	v_ashrrev_i32_e32 v22, 31, v22
	v_cmp_gt_i64_e64 s[16:17], 0, v[20:21]
	v_not_b32_e32 v34, v21
	v_lshlrev_b32_e32 v21, 28, v26
	v_and_b32_e32 v32, exec_hi, v32
	v_and_b32_e32 v29, exec_lo, v29
	v_xor_b32_e32 v35, s19, v22
	v_xor_b32_e32 v22, s18, v22
	v_ashrrev_i32_e32 v34, 31, v34
	v_cmp_gt_i64_e64 s[18:19], 0, v[20:21]
	v_not_b32_e32 v36, v21
	v_lshlrev_b32_e32 v21, 27, v26
	v_and_b32_e32 v32, v32, v35
	v_and_b32_e32 v22, v29, v22
	v_xor_b32_e32 v29, s17, v34
	v_xor_b32_e32 v34, s16, v34
	v_ashrrev_i32_e32 v35, 31, v36
	v_cmp_gt_i64_e64 s[16:17], 0, v[20:21]
	v_not_b32_e32 v36, v21
	v_lshlrev_b32_e32 v21, 26, v26
	v_and_b32_e32 v29, v32, v29
	v_and_b32_e32 v22, v22, v34
	v_xor_b32_e32 v32, s19, v35
	v_xor_b32_e32 v34, s18, v35
	v_ashrrev_i32_e32 v35, 31, v36
	v_not_b32_e32 v36, v21
	v_cmp_gt_i64_e64 s[18:19], 0, v[20:21]
	v_and_b32_e32 v29, v29, v32
	v_and_b32_e32 v22, v22, v34
	v_xor_b32_e32 v32, s17, v35
	v_xor_b32_e32 v34, s16, v35
	v_ashrrev_i32_e32 v35, 31, v36
	v_and_b32_e32 v29, v29, v32
	v_and_b32_e32 v22, v22, v34
	v_xor_b32_e32 v32, s19, v35
	v_xor_b32_e32 v34, s18, v35
	v_lshlrev_b32_e32 v21, 25, v26
	v_and_b32_e32 v29, v29, v32
	v_and_b32_e32 v32, v22, v34
	v_lshl_add_u32 v27, v26, 4, v26
	ds_write2_b32 v33, v20, v20 offset0:16 offset1:17
	ds_write2_b32 v33, v20, v20 offset0:18 offset1:19
	ds_write_b32 v33, v20 offset:80
	s_waitcnt lgkmcnt(0)
	s_barrier
	s_waitcnt lgkmcnt(0)
	; wave barrier
	s_waitcnt vmcnt(0)
	v_mad_u64_u32 v[22:23], s[16:17], v23, v25, v[10:11]
	v_cmp_gt_i64_e64 s[16:17], 0, v[20:21]
	v_not_b32_e32 v21, v21
	v_ashrrev_i32_e32 v21, 31, v21
	v_lshrrev_b32_e32 v41, 6, v22
	v_xor_b32_e32 v22, s17, v21
	v_xor_b32_e32 v21, s16, v21
	v_and_b32_e32 v25, v32, v21
	v_lshlrev_b32_e32 v21, 24, v26
	v_cmp_gt_i64_e64 s[16:17], 0, v[20:21]
	v_not_b32_e32 v21, v21
	v_ashrrev_i32_e32 v21, 31, v21
	v_and_b32_e32 v22, v29, v22
	v_xor_b32_e32 v23, s17, v21
	v_xor_b32_e32 v21, s16, v21
	v_and_b32_e32 v23, v22, v23
	v_and_b32_e32 v22, v25, v21
	v_mbcnt_lo_u32_b32 v21, v22, 0
	v_mbcnt_hi_u32_b32 v29, v23, v21
	v_cmp_eq_u32_e64 s[16:17], 0, v29
	v_cmp_ne_u64_e64 s[18:19], 0, v[22:23]
	v_add_lshl_u32 v35, v41, v27, 2
	s_and_b64 s[18:19], s[18:19], s[16:17]
	s_and_saveexec_b64 s[16:17], s[18:19]
	s_cbranch_execz .LBB1647_19
; %bb.18:
	v_bcnt_u32_b32 v21, v22, 0
	v_bcnt_u32_b32 v21, v23, v21
	ds_write_b32 v35, v21 offset:64
.LBB1647_19:
	s_or_b64 exec, exec, s[16:17]
	v_cmp_lt_i64_e64 s[16:17], -1, v[14:15]
	v_cndmask_b32_e64 v21, -1, v24, s[16:17]
	v_ashrrev_i32_e32 v22, 31, v15
	v_xor_b32_e32 v15, v21, v15
	v_xor_b32_e32 v14, v22, v14
	v_cmp_ne_u64_e64 s[16:17], s[20:21], v[14:15]
	v_cndmask_b32_e64 v23, v24, v15, s[16:17]
	v_cndmask_b32_e64 v22, 0, v14, s[16:17]
	v_lshrrev_b64 v[22:23], s44, v[22:23]
	v_and_b32_e32 v22, s50, v22
	v_lshl_add_u32 v21, v22, 4, v22
	v_add_lshl_u32 v37, v41, v21, 2
	v_and_b32_e32 v21, 1, v22
	v_add_co_u32_e64 v23, s[16:17], -1, v21
	v_addc_co_u32_e64 v24, s[16:17], 0, -1, s[16:17]
	v_cmp_ne_u32_e64 s[16:17], 0, v21
	v_xor_b32_e32 v21, s17, v24
	v_and_b32_e32 v24, exec_hi, v21
	v_lshlrev_b32_e32 v21, 30, v22
	v_xor_b32_e32 v23, s16, v23
	v_cmp_gt_i64_e64 s[16:17], 0, v[20:21]
	v_not_b32_e32 v21, v21
	v_ashrrev_i32_e32 v21, 31, v21
	v_and_b32_e32 v23, exec_lo, v23
	v_xor_b32_e32 v25, s17, v21
	v_xor_b32_e32 v21, s16, v21
	v_and_b32_e32 v23, v23, v21
	v_lshlrev_b32_e32 v21, 29, v22
	v_cmp_gt_i64_e64 s[16:17], 0, v[20:21]
	v_not_b32_e32 v21, v21
	v_ashrrev_i32_e32 v21, 31, v21
	v_and_b32_e32 v24, v24, v25
	v_xor_b32_e32 v25, s17, v21
	v_xor_b32_e32 v21, s16, v21
	v_and_b32_e32 v23, v23, v21
	v_lshlrev_b32_e32 v21, 28, v22
	v_cmp_gt_i64_e64 s[16:17], 0, v[20:21]
	v_not_b32_e32 v21, v21
	v_ashrrev_i32_e32 v21, 31, v21
	v_and_b32_e32 v24, v24, v25
	;; [unrolled: 8-line block ×5, first 2 shown]
	v_xor_b32_e32 v25, s17, v21
	v_xor_b32_e32 v21, s16, v21
	v_and_b32_e32 v23, v23, v21
	v_lshlrev_b32_e32 v21, 24, v22
	v_cmp_gt_i64_e64 s[16:17], 0, v[20:21]
	v_not_b32_e32 v20, v21
	v_ashrrev_i32_e32 v20, 31, v20
	v_xor_b32_e32 v21, s17, v20
	v_xor_b32_e32 v20, s16, v20
	; wave barrier
	ds_read_b32 v32, v37 offset:64
	v_and_b32_e32 v24, v24, v25
	v_and_b32_e32 v20, v23, v20
	;; [unrolled: 1-line block ×3, first 2 shown]
	v_mbcnt_lo_u32_b32 v22, v20, 0
	v_mbcnt_hi_u32_b32 v34, v21, v22
	v_cmp_eq_u32_e64 s[16:17], 0, v34
	v_cmp_ne_u64_e64 s[18:19], 0, v[20:21]
	s_and_b64 s[18:19], s[18:19], s[16:17]
	; wave barrier
	s_and_saveexec_b64 s[16:17], s[18:19]
	s_cbranch_execz .LBB1647_21
; %bb.20:
	v_bcnt_u32_b32 v20, v20, 0
	v_bcnt_u32_b32 v20, v21, v20
	s_waitcnt lgkmcnt(0)
	v_add_u32_e32 v20, v32, v20
	ds_write_b32 v37, v20 offset:64
.LBB1647_21:
	s_or_b64 exec, exec, s[16:17]
	v_bfrev_b32_e32 v24, 1
	v_cmp_lt_i64_e64 s[16:17], -1, v[16:17]
	v_cndmask_b32_e64 v20, -1, v24, s[16:17]
	v_ashrrev_i32_e32 v21, 31, v17
	v_xor_b32_e32 v17, v20, v17
	v_xor_b32_e32 v16, v21, v16
	v_cmp_ne_u64_e64 s[16:17], s[20:21], v[16:17]
	v_cndmask_b32_e64 v23, v24, v17, s[16:17]
	v_cndmask_b32_e64 v22, 0, v16, s[16:17]
	v_lshrrev_b64 v[22:23], s44, v[22:23]
	v_and_b32_e32 v22, s50, v22
	v_lshl_add_u32 v21, v22, 4, v22
	v_add_lshl_u32 v40, v41, v21, 2
	v_and_b32_e32 v21, 1, v22
	v_add_co_u32_e64 v23, s[16:17], -1, v21
	v_addc_co_u32_e64 v25, s[16:17], 0, -1, s[16:17]
	v_cmp_ne_u32_e64 s[16:17], 0, v21
	v_xor_b32_e32 v21, s17, v25
	v_mov_b32_e32 v20, 0
	v_and_b32_e32 v25, exec_hi, v21
	v_lshlrev_b32_e32 v21, 30, v22
	v_xor_b32_e32 v23, s16, v23
	v_cmp_gt_i64_e64 s[16:17], 0, v[20:21]
	v_not_b32_e32 v21, v21
	v_ashrrev_i32_e32 v21, 31, v21
	v_and_b32_e32 v23, exec_lo, v23
	v_xor_b32_e32 v26, s17, v21
	v_xor_b32_e32 v21, s16, v21
	v_and_b32_e32 v23, v23, v21
	v_lshlrev_b32_e32 v21, 29, v22
	v_cmp_gt_i64_e64 s[16:17], 0, v[20:21]
	v_not_b32_e32 v21, v21
	v_ashrrev_i32_e32 v21, 31, v21
	v_and_b32_e32 v25, v25, v26
	v_xor_b32_e32 v26, s17, v21
	v_xor_b32_e32 v21, s16, v21
	v_and_b32_e32 v23, v23, v21
	v_lshlrev_b32_e32 v21, 28, v22
	v_cmp_gt_i64_e64 s[16:17], 0, v[20:21]
	v_not_b32_e32 v21, v21
	v_ashrrev_i32_e32 v21, 31, v21
	v_and_b32_e32 v25, v25, v26
	;; [unrolled: 8-line block ×5, first 2 shown]
	v_xor_b32_e32 v26, s17, v21
	v_xor_b32_e32 v21, s16, v21
	v_and_b32_e32 v25, v25, v26
	v_and_b32_e32 v26, v23, v21
	v_lshlrev_b32_e32 v21, 24, v22
	v_cmp_gt_i64_e64 s[16:17], 0, v[20:21]
	v_not_b32_e32 v21, v21
	v_ashrrev_i32_e32 v21, 31, v21
	v_xor_b32_e32 v22, s17, v21
	v_xor_b32_e32 v21, s16, v21
	; wave barrier
	ds_read_b32 v36, v40 offset:64
	v_and_b32_e32 v23, v25, v22
	v_and_b32_e32 v22, v26, v21
	v_mbcnt_lo_u32_b32 v21, v22, 0
	v_mbcnt_hi_u32_b32 v38, v23, v21
	v_cmp_eq_u32_e64 s[16:17], 0, v38
	v_cmp_ne_u64_e64 s[18:19], 0, v[22:23]
	s_and_b64 s[18:19], s[18:19], s[16:17]
	; wave barrier
	s_and_saveexec_b64 s[16:17], s[18:19]
	s_cbranch_execz .LBB1647_23
; %bb.22:
	v_bcnt_u32_b32 v21, v22, 0
	v_bcnt_u32_b32 v21, v23, v21
	s_waitcnt lgkmcnt(0)
	v_add_u32_e32 v21, v36, v21
	ds_write_b32 v40, v21 offset:64
.LBB1647_23:
	s_or_b64 exec, exec, s[16:17]
	v_cmp_lt_i64_e64 s[16:17], -1, v[18:19]
	v_cndmask_b32_e64 v21, -1, v24, s[16:17]
	v_ashrrev_i32_e32 v22, 31, v19
	v_xor_b32_e32 v19, v21, v19
	v_xor_b32_e32 v18, v22, v18
	v_cmp_ne_u64_e64 s[16:17], s[20:21], v[18:19]
	v_cndmask_b32_e64 v23, v24, v19, s[16:17]
	v_cndmask_b32_e64 v22, 0, v18, s[16:17]
	v_lshrrev_b64 v[22:23], s44, v[22:23]
	v_and_b32_e32 v22, s50, v22
	v_lshl_add_u32 v21, v22, 4, v22
	v_add_lshl_u32 v44, v41, v21, 2
	v_and_b32_e32 v21, 1, v22
	v_add_co_u32_e64 v23, s[16:17], -1, v21
	v_addc_co_u32_e64 v24, s[16:17], 0, -1, s[16:17]
	v_cmp_ne_u32_e64 s[16:17], 0, v21
	v_xor_b32_e32 v21, s17, v24
	v_and_b32_e32 v24, exec_hi, v21
	v_lshlrev_b32_e32 v21, 30, v22
	v_xor_b32_e32 v23, s16, v23
	v_cmp_gt_i64_e64 s[16:17], 0, v[20:21]
	v_not_b32_e32 v21, v21
	v_ashrrev_i32_e32 v21, 31, v21
	v_and_b32_e32 v23, exec_lo, v23
	v_xor_b32_e32 v25, s17, v21
	v_xor_b32_e32 v21, s16, v21
	v_and_b32_e32 v23, v23, v21
	v_lshlrev_b32_e32 v21, 29, v22
	v_cmp_gt_i64_e64 s[16:17], 0, v[20:21]
	v_not_b32_e32 v21, v21
	v_ashrrev_i32_e32 v21, 31, v21
	v_and_b32_e32 v24, v24, v25
	v_xor_b32_e32 v25, s17, v21
	v_xor_b32_e32 v21, s16, v21
	v_and_b32_e32 v23, v23, v21
	v_lshlrev_b32_e32 v21, 28, v22
	v_cmp_gt_i64_e64 s[16:17], 0, v[20:21]
	v_not_b32_e32 v21, v21
	v_ashrrev_i32_e32 v21, 31, v21
	v_and_b32_e32 v24, v24, v25
	;; [unrolled: 8-line block ×5, first 2 shown]
	v_xor_b32_e32 v25, s17, v21
	v_xor_b32_e32 v21, s16, v21
	v_and_b32_e32 v23, v23, v21
	v_lshlrev_b32_e32 v21, 24, v22
	v_cmp_gt_i64_e64 s[16:17], 0, v[20:21]
	v_not_b32_e32 v20, v21
	v_ashrrev_i32_e32 v20, 31, v20
	v_xor_b32_e32 v21, s17, v20
	v_xor_b32_e32 v20, s16, v20
	; wave barrier
	ds_read_b32 v39, v44 offset:64
	v_and_b32_e32 v24, v24, v25
	v_and_b32_e32 v20, v23, v20
	v_and_b32_e32 v21, v24, v21
	v_mbcnt_lo_u32_b32 v22, v20, 0
	v_mbcnt_hi_u32_b32 v42, v21, v22
	v_cmp_eq_u32_e64 s[16:17], 0, v42
	v_cmp_ne_u64_e64 s[18:19], 0, v[20:21]
	s_and_b64 s[18:19], s[18:19], s[16:17]
	; wave barrier
	s_and_saveexec_b64 s[16:17], s[18:19]
	s_cbranch_execz .LBB1647_25
; %bb.24:
	v_bcnt_u32_b32 v20, v20, 0
	v_bcnt_u32_b32 v20, v21, v20
	s_waitcnt lgkmcnt(0)
	v_add_u32_e32 v20, v39, v20
	ds_write_b32 v44, v20 offset:64
.LBB1647_25:
	s_or_b64 exec, exec, s[16:17]
	v_bfrev_b32_e32 v24, 1
	v_cmp_lt_i64_e64 s[16:17], -1, v[8:9]
	v_cndmask_b32_e64 v20, -1, v24, s[16:17]
	v_ashrrev_i32_e32 v22, 31, v9
	v_xor_b32_e32 v21, v20, v9
	v_xor_b32_e32 v20, v22, v8
	v_cmp_ne_u64_e64 s[16:17], s[20:21], v[20:21]
	v_cndmask_b32_e64 v23, v24, v21, s[16:17]
	v_cndmask_b32_e64 v22, 0, v20, s[16:17]
	v_lshrrev_b64 v[22:23], s44, v[22:23]
	v_and_b32_e32 v22, s50, v22
	v_lshl_add_u32 v9, v22, 4, v22
	v_add_lshl_u32 v47, v41, v9, 2
	v_and_b32_e32 v9, 1, v22
	v_add_co_u32_e64 v23, s[16:17], -1, v9
	v_addc_co_u32_e64 v25, s[16:17], 0, -1, s[16:17]
	v_cmp_ne_u32_e64 s[16:17], 0, v9
	v_xor_b32_e32 v9, s17, v25
	v_mov_b32_e32 v8, 0
	v_and_b32_e32 v25, exec_hi, v9
	v_lshlrev_b32_e32 v9, 30, v22
	v_xor_b32_e32 v23, s16, v23
	v_cmp_gt_i64_e64 s[16:17], 0, v[8:9]
	v_not_b32_e32 v9, v9
	v_ashrrev_i32_e32 v9, 31, v9
	v_and_b32_e32 v23, exec_lo, v23
	v_xor_b32_e32 v26, s17, v9
	v_xor_b32_e32 v9, s16, v9
	v_and_b32_e32 v23, v23, v9
	v_lshlrev_b32_e32 v9, 29, v22
	v_cmp_gt_i64_e64 s[16:17], 0, v[8:9]
	v_not_b32_e32 v9, v9
	v_ashrrev_i32_e32 v9, 31, v9
	v_and_b32_e32 v25, v25, v26
	v_xor_b32_e32 v26, s17, v9
	v_xor_b32_e32 v9, s16, v9
	v_and_b32_e32 v23, v23, v9
	v_lshlrev_b32_e32 v9, 28, v22
	v_cmp_gt_i64_e64 s[16:17], 0, v[8:9]
	v_not_b32_e32 v9, v9
	v_ashrrev_i32_e32 v9, 31, v9
	v_and_b32_e32 v25, v25, v26
	;; [unrolled: 8-line block ×5, first 2 shown]
	v_xor_b32_e32 v26, s17, v9
	v_xor_b32_e32 v9, s16, v9
	v_and_b32_e32 v25, v25, v26
	v_and_b32_e32 v26, v23, v9
	v_lshlrev_b32_e32 v9, 24, v22
	v_cmp_gt_i64_e64 s[16:17], 0, v[8:9]
	v_not_b32_e32 v9, v9
	v_ashrrev_i32_e32 v9, 31, v9
	v_xor_b32_e32 v22, s17, v9
	v_xor_b32_e32 v9, s16, v9
	; wave barrier
	ds_read_b32 v43, v47 offset:64
	v_and_b32_e32 v23, v25, v22
	v_and_b32_e32 v22, v26, v9
	v_mbcnt_lo_u32_b32 v9, v22, 0
	v_mbcnt_hi_u32_b32 v45, v23, v9
	v_cmp_eq_u32_e64 s[16:17], 0, v45
	v_cmp_ne_u64_e64 s[18:19], 0, v[22:23]
	s_and_b64 s[18:19], s[18:19], s[16:17]
	; wave barrier
	s_and_saveexec_b64 s[16:17], s[18:19]
	s_cbranch_execz .LBB1647_27
; %bb.26:
	v_bcnt_u32_b32 v9, v22, 0
	v_bcnt_u32_b32 v9, v23, v9
	s_waitcnt lgkmcnt(0)
	v_add_u32_e32 v9, v43, v9
	ds_write_b32 v47, v9 offset:64
.LBB1647_27:
	s_or_b64 exec, exec, s[16:17]
	v_cmp_lt_i64_e64 s[16:17], -1, v[6:7]
	v_cndmask_b32_e64 v9, -1, v24, s[16:17]
	v_ashrrev_i32_e32 v22, 31, v7
	v_xor_b32_e32 v23, v9, v7
	v_xor_b32_e32 v22, v22, v6
	v_cmp_ne_u64_e64 s[16:17], s[20:21], v[22:23]
	v_cndmask_b32_e64 v7, v24, v23, s[16:17]
	v_cndmask_b32_e64 v6, 0, v22, s[16:17]
	v_lshrrev_b64 v[6:7], s44, v[6:7]
	v_and_b32_e32 v6, s50, v6
	v_lshl_add_u32 v7, v6, 4, v6
	v_add_lshl_u32 v48, v41, v7, 2
	v_and_b32_e32 v7, 1, v6
	v_add_co_u32_e64 v9, s[16:17], -1, v7
	v_addc_co_u32_e64 v24, s[16:17], 0, -1, s[16:17]
	v_cmp_ne_u32_e64 s[16:17], 0, v7
	v_xor_b32_e32 v9, s16, v9
	v_xor_b32_e32 v7, s17, v24
	v_and_b32_e32 v24, exec_lo, v9
	v_lshlrev_b32_e32 v9, 30, v6
	v_cmp_gt_i64_e64 s[16:17], 0, v[8:9]
	v_not_b32_e32 v9, v9
	v_ashrrev_i32_e32 v9, 31, v9
	v_xor_b32_e32 v25, s17, v9
	v_xor_b32_e32 v9, s16, v9
	v_and_b32_e32 v24, v24, v9
	v_lshlrev_b32_e32 v9, 29, v6
	v_cmp_gt_i64_e64 s[16:17], 0, v[8:9]
	v_not_b32_e32 v9, v9
	v_and_b32_e32 v7, exec_hi, v7
	v_ashrrev_i32_e32 v9, 31, v9
	v_and_b32_e32 v7, v7, v25
	v_xor_b32_e32 v25, s17, v9
	v_xor_b32_e32 v9, s16, v9
	v_and_b32_e32 v24, v24, v9
	v_lshlrev_b32_e32 v9, 28, v6
	v_cmp_gt_i64_e64 s[16:17], 0, v[8:9]
	v_not_b32_e32 v9, v9
	v_ashrrev_i32_e32 v9, 31, v9
	v_and_b32_e32 v7, v7, v25
	v_xor_b32_e32 v25, s17, v9
	v_xor_b32_e32 v9, s16, v9
	v_and_b32_e32 v24, v24, v9
	v_lshlrev_b32_e32 v9, 27, v6
	v_cmp_gt_i64_e64 s[16:17], 0, v[8:9]
	v_not_b32_e32 v9, v9
	;; [unrolled: 8-line block ×4, first 2 shown]
	v_ashrrev_i32_e32 v9, 31, v9
	v_and_b32_e32 v7, v7, v25
	v_xor_b32_e32 v25, s17, v9
	v_xor_b32_e32 v9, s16, v9
	v_and_b32_e32 v24, v24, v9
	v_lshlrev_b32_e32 v9, 24, v6
	v_not_b32_e32 v6, v9
	v_cmp_gt_i64_e64 s[16:17], 0, v[8:9]
	v_ashrrev_i32_e32 v6, 31, v6
	v_xor_b32_e32 v8, s17, v6
	v_xor_b32_e32 v6, s16, v6
	; wave barrier
	ds_read_b32 v46, v48 offset:64
	v_and_b32_e32 v7, v7, v25
	v_and_b32_e32 v6, v24, v6
	;; [unrolled: 1-line block ×3, first 2 shown]
	v_mbcnt_lo_u32_b32 v8, v6, 0
	v_mbcnt_hi_u32_b32 v8, v7, v8
	v_cmp_eq_u32_e64 s[16:17], 0, v8
	v_cmp_ne_u64_e64 s[18:19], 0, v[6:7]
	s_and_b64 s[18:19], s[18:19], s[16:17]
	; wave barrier
	s_and_saveexec_b64 s[16:17], s[18:19]
	s_cbranch_execz .LBB1647_29
; %bb.28:
	v_bcnt_u32_b32 v6, v6, 0
	v_bcnt_u32_b32 v6, v7, v6
	s_waitcnt lgkmcnt(0)
	v_add_u32_e32 v6, v46, v6
	ds_write_b32 v48, v6 offset:64
.LBB1647_29:
	s_or_b64 exec, exec, s[16:17]
	v_bfrev_b32_e32 v51, 1
	v_cmp_lt_i64_e64 s[16:17], -1, v[4:5]
	v_cndmask_b32_e64 v6, -1, v51, s[16:17]
	v_ashrrev_i32_e32 v7, 31, v5
	v_xor_b32_e32 v25, v6, v5
	v_xor_b32_e32 v24, v7, v4
	v_cmp_ne_u64_e64 s[16:17], s[20:21], v[24:25]
	v_cndmask_b32_e64 v7, v51, v25, s[16:17]
	v_cndmask_b32_e64 v6, 0, v24, s[16:17]
	v_lshrrev_b64 v[6:7], s44, v[6:7]
	v_and_b32_e32 v6, s50, v6
	v_lshl_add_u32 v5, v6, 4, v6
	v_add_lshl_u32 v50, v41, v5, 2
	v_and_b32_e32 v5, 1, v6
	v_add_co_u32_e64 v7, s[16:17], -1, v5
	v_addc_co_u32_e64 v26, s[16:17], 0, -1, s[16:17]
	v_cmp_ne_u32_e64 s[16:17], 0, v5
	v_xor_b32_e32 v5, s17, v26
	v_mov_b32_e32 v4, 0
	v_and_b32_e32 v26, exec_hi, v5
	v_lshlrev_b32_e32 v5, 30, v6
	v_xor_b32_e32 v7, s16, v7
	v_cmp_gt_i64_e64 s[16:17], 0, v[4:5]
	v_not_b32_e32 v5, v5
	v_ashrrev_i32_e32 v5, 31, v5
	v_and_b32_e32 v7, exec_lo, v7
	v_xor_b32_e32 v27, s17, v5
	v_xor_b32_e32 v5, s16, v5
	v_and_b32_e32 v7, v7, v5
	v_lshlrev_b32_e32 v5, 29, v6
	v_cmp_gt_i64_e64 s[16:17], 0, v[4:5]
	v_not_b32_e32 v5, v5
	v_ashrrev_i32_e32 v5, 31, v5
	v_and_b32_e32 v26, v26, v27
	v_xor_b32_e32 v27, s17, v5
	v_xor_b32_e32 v5, s16, v5
	v_and_b32_e32 v7, v7, v5
	v_lshlrev_b32_e32 v5, 28, v6
	v_cmp_gt_i64_e64 s[16:17], 0, v[4:5]
	v_not_b32_e32 v5, v5
	v_ashrrev_i32_e32 v5, 31, v5
	v_and_b32_e32 v26, v26, v27
	;; [unrolled: 8-line block ×5, first 2 shown]
	v_xor_b32_e32 v27, s17, v5
	v_xor_b32_e32 v5, s16, v5
	v_and_b32_e32 v26, v26, v27
	v_and_b32_e32 v27, v7, v5
	v_lshlrev_b32_e32 v5, 24, v6
	v_cmp_gt_i64_e64 s[16:17], 0, v[4:5]
	v_not_b32_e32 v5, v5
	v_ashrrev_i32_e32 v5, 31, v5
	v_xor_b32_e32 v6, s17, v5
	v_xor_b32_e32 v5, s16, v5
	; wave barrier
	ds_read_b32 v9, v50 offset:64
	v_and_b32_e32 v7, v26, v6
	v_and_b32_e32 v6, v27, v5
	v_mbcnt_lo_u32_b32 v5, v6, 0
	v_mbcnt_hi_u32_b32 v49, v7, v5
	v_cmp_eq_u32_e64 s[16:17], 0, v49
	v_cmp_ne_u64_e64 s[18:19], 0, v[6:7]
	s_and_b64 s[18:19], s[18:19], s[16:17]
	; wave barrier
	s_and_saveexec_b64 s[16:17], s[18:19]
	s_cbranch_execz .LBB1647_31
; %bb.30:
	v_bcnt_u32_b32 v5, v6, 0
	v_bcnt_u32_b32 v5, v7, v5
	s_waitcnt lgkmcnt(0)
	v_add_u32_e32 v5, v9, v5
	ds_write_b32 v50, v5 offset:64
.LBB1647_31:
	s_or_b64 exec, exec, s[16:17]
	v_cmp_lt_i64_e64 s[16:17], -1, v[2:3]
	v_cndmask_b32_e64 v5, -1, v51, s[16:17]
	v_ashrrev_i32_e32 v7, 31, v3
	v_xor_b32_e32 v27, v5, v3
	v_xor_b32_e32 v26, v7, v2
	v_cmp_ne_u64_e64 s[16:17], s[20:21], v[26:27]
	v_cndmask_b32_e64 v3, v51, v27, s[16:17]
	v_cndmask_b32_e64 v2, 0, v26, s[16:17]
	v_lshrrev_b64 v[2:3], s44, v[2:3]
	v_and_b32_e32 v2, s50, v2
	v_lshl_add_u32 v3, v2, 4, v2
	v_add_lshl_u32 v7, v3, v41, 2
	v_and_b32_e32 v3, 1, v2
	v_add_co_u32_e64 v5, s[16:17], -1, v3
	v_addc_co_u32_e64 v51, s[16:17], 0, -1, s[16:17]
	v_cmp_ne_u32_e64 s[16:17], 0, v3
	v_xor_b32_e32 v5, s16, v5
	v_xor_b32_e32 v3, s17, v51
	v_and_b32_e32 v51, exec_lo, v5
	v_lshlrev_b32_e32 v5, 30, v2
	v_cmp_gt_i64_e64 s[16:17], 0, v[4:5]
	v_not_b32_e32 v5, v5
	v_ashrrev_i32_e32 v5, 31, v5
	v_xor_b32_e32 v52, s17, v5
	v_xor_b32_e32 v5, s16, v5
	v_and_b32_e32 v51, v51, v5
	v_lshlrev_b32_e32 v5, 29, v2
	v_cmp_gt_i64_e64 s[16:17], 0, v[4:5]
	v_not_b32_e32 v5, v5
	v_and_b32_e32 v3, exec_hi, v3
	v_ashrrev_i32_e32 v5, 31, v5
	v_and_b32_e32 v3, v3, v52
	v_xor_b32_e32 v52, s17, v5
	v_xor_b32_e32 v5, s16, v5
	v_and_b32_e32 v51, v51, v5
	v_lshlrev_b32_e32 v5, 28, v2
	v_cmp_gt_i64_e64 s[16:17], 0, v[4:5]
	v_not_b32_e32 v5, v5
	v_ashrrev_i32_e32 v5, 31, v5
	v_and_b32_e32 v3, v3, v52
	v_xor_b32_e32 v52, s17, v5
	v_xor_b32_e32 v5, s16, v5
	v_and_b32_e32 v51, v51, v5
	v_lshlrev_b32_e32 v5, 27, v2
	v_cmp_gt_i64_e64 s[16:17], 0, v[4:5]
	v_not_b32_e32 v5, v5
	;; [unrolled: 8-line block ×4, first 2 shown]
	v_ashrrev_i32_e32 v5, 31, v5
	v_and_b32_e32 v3, v3, v52
	v_xor_b32_e32 v52, s17, v5
	v_xor_b32_e32 v5, s16, v5
	v_and_b32_e32 v51, v51, v5
	v_lshlrev_b32_e32 v5, 24, v2
	v_not_b32_e32 v2, v5
	v_cmp_gt_i64_e64 s[16:17], 0, v[4:5]
	v_ashrrev_i32_e32 v2, 31, v2
	v_xor_b32_e32 v4, s17, v2
	v_xor_b32_e32 v2, s16, v2
	; wave barrier
	ds_read_b32 v41, v7 offset:64
	v_and_b32_e32 v3, v3, v52
	v_and_b32_e32 v2, v51, v2
	;; [unrolled: 1-line block ×3, first 2 shown]
	v_mbcnt_lo_u32_b32 v4, v2, 0
	v_mbcnt_hi_u32_b32 v51, v3, v4
	v_cmp_eq_u32_e64 s[16:17], 0, v51
	v_cmp_ne_u64_e64 s[18:19], 0, v[2:3]
	v_add_u32_e32 v6, 64, v33
	s_and_b64 s[18:19], s[18:19], s[16:17]
	; wave barrier
	s_and_saveexec_b64 s[16:17], s[18:19]
	s_cbranch_execz .LBB1647_33
; %bb.32:
	v_bcnt_u32_b32 v2, v2, 0
	v_bcnt_u32_b32 v2, v3, v2
	s_waitcnt lgkmcnt(0)
	v_add_u32_e32 v2, v41, v2
	ds_write_b32 v7, v2 offset:64
.LBB1647_33:
	s_or_b64 exec, exec, s[16:17]
	; wave barrier
	s_waitcnt lgkmcnt(0)
	s_barrier
	ds_read2_b32 v[4:5], v33 offset0:16 offset1:17
	ds_read2_b32 v[2:3], v6 offset0:2 offset1:3
	ds_read_b32 v52, v6 offset:16
	v_cmp_lt_u32_e64 s[26:27], 31, v28
	s_waitcnt lgkmcnt(1)
	v_add3_u32 v53, v5, v4, v2
	s_waitcnt lgkmcnt(0)
	v_add3_u32 v52, v53, v3, v52
	v_and_b32_e32 v53, 15, v28
	v_cmp_eq_u32_e64 s[16:17], 0, v53
	v_mov_b32_dpp v54, v52 row_shr:1 row_mask:0xf bank_mask:0xf
	v_cndmask_b32_e64 v54, v54, 0, s[16:17]
	v_add_u32_e32 v52, v54, v52
	v_cmp_lt_u32_e64 s[18:19], 1, v53
	v_cmp_lt_u32_e64 s[20:21], 3, v53
	v_mov_b32_dpp v54, v52 row_shr:2 row_mask:0xf bank_mask:0xf
	v_cndmask_b32_e64 v54, 0, v54, s[18:19]
	v_add_u32_e32 v52, v52, v54
	v_cmp_lt_u32_e64 s[22:23], 7, v53
	s_nop 0
	v_mov_b32_dpp v54, v52 row_shr:4 row_mask:0xf bank_mask:0xf
	v_cndmask_b32_e64 v54, 0, v54, s[20:21]
	v_add_u32_e32 v52, v52, v54
	s_nop 1
	v_mov_b32_dpp v54, v52 row_shr:8 row_mask:0xf bank_mask:0xf
	v_cndmask_b32_e64 v53, 0, v54, s[22:23]
	v_add_u32_e32 v52, v52, v53
	v_bfe_i32 v54, v28, 4, 1
	s_nop 0
	v_mov_b32_dpp v53, v52 row_bcast:15 row_mask:0xf bank_mask:0xf
	v_and_b32_e32 v53, v54, v53
	v_add_u32_e32 v52, v52, v53
	v_lshrrev_b32_e32 v54, 6, v10
	s_nop 0
	v_mov_b32_dpp v53, v52 row_bcast:31 row_mask:0xf bank_mask:0xf
	v_cndmask_b32_e64 v53, 0, v53, s[26:27]
	v_add_u32_e32 v53, v52, v53
	v_and_b32_e32 v52, 63, v10
	v_cmp_eq_u32_e64 s[26:27], 63, v52
	s_and_saveexec_b64 s[48:49], s[26:27]
	s_cbranch_execz .LBB1647_35
; %bb.34:
	v_lshlrev_b32_e32 v52, 2, v54
	ds_write_b32 v52, v53
.LBB1647_35:
	s_or_b64 exec, exec, s[48:49]
	v_cmp_gt_u32_e64 s[26:27], 16, v10
	v_lshlrev_b32_e32 v52, 2, v10
	s_waitcnt lgkmcnt(0)
	s_barrier
	s_and_saveexec_b64 s[48:49], s[26:27]
	s_cbranch_execz .LBB1647_37
; %bb.36:
	ds_read_b32 v55, v52
	s_waitcnt lgkmcnt(0)
	s_nop 0
	v_mov_b32_dpp v56, v55 row_shr:1 row_mask:0xf bank_mask:0xf
	v_cndmask_b32_e64 v56, v56, 0, s[16:17]
	v_add_u32_e32 v55, v56, v55
	s_nop 1
	v_mov_b32_dpp v56, v55 row_shr:2 row_mask:0xf bank_mask:0xf
	v_cndmask_b32_e64 v56, 0, v56, s[18:19]
	v_add_u32_e32 v55, v55, v56
	;; [unrolled: 4-line block ×4, first 2 shown]
	ds_write_b32 v52, v55
.LBB1647_37:
	s_or_b64 exec, exec, s[48:49]
	v_cmp_lt_u32_e64 s[16:17], 63, v10
	v_mov_b32_e32 v55, 0
	s_waitcnt lgkmcnt(0)
	s_barrier
	s_and_saveexec_b64 s[18:19], s[16:17]
	s_cbranch_execz .LBB1647_39
; %bb.38:
	v_lshl_add_u32 v54, v54, 2, -4
	ds_read_b32 v55, v54
.LBB1647_39:
	s_or_b64 exec, exec, s[18:19]
	v_add_u32_e32 v54, -1, v28
	v_and_b32_e32 v56, 64, v28
	v_cmp_lt_i32_e64 s[16:17], v54, v56
	v_cndmask_b32_e64 v54, v54, v28, s[16:17]
	s_waitcnt lgkmcnt(0)
	v_add_u32_e32 v53, v55, v53
	v_lshlrev_b32_e32 v54, 2, v54
	ds_bpermute_b32 v53, v54, v53
	v_cmp_eq_u32_e64 s[16:17], 0, v28
	s_waitcnt lgkmcnt(0)
	v_cndmask_b32_e64 v28, v53, v55, s[16:17]
	v_cmp_ne_u32_e64 s[16:17], 0, v10
	v_cndmask_b32_e64 v28, 0, v28, s[16:17]
	v_add_u32_e32 v4, v28, v4
	v_add_u32_e32 v5, v4, v5
	;; [unrolled: 1-line block ×4, first 2 shown]
	ds_write2_b32 v33, v28, v4 offset0:16 offset1:17
	ds_write2_b32 v6, v5, v2 offset0:2 offset1:3
	ds_write_b32 v6, v3 offset:16
	s_waitcnt lgkmcnt(0)
	s_barrier
	ds_read_b32 v55, v35 offset:64
	ds_read_b32 v28, v37 offset:64
	;; [unrolled: 1-line block ×8, first 2 shown]
	s_movk_i32 s16, 0x100
	v_cmp_gt_u32_e64 s[16:17], s16, v10
                                        ; implicit-def: $vgpr33
                                        ; implicit-def: $vgpr35
	s_and_saveexec_b64 s[20:21], s[16:17]
	s_cbranch_execz .LBB1647_43
; %bb.40:
	v_mul_u32_u24_e32 v2, 17, v10
	v_lshlrev_b32_e32 v3, 2, v2
	ds_read_b32 v33, v3 offset:64
	s_movk_i32 s18, 0xff
	v_cmp_ne_u32_e64 s[18:19], s18, v10
	v_mov_b32_e32 v2, 0x2000
	s_and_saveexec_b64 s[22:23], s[18:19]
	s_cbranch_execz .LBB1647_42
; %bb.41:
	ds_read_b32 v2, v3 offset:132
.LBB1647_42:
	s_or_b64 exec, exec, s[22:23]
	s_waitcnt lgkmcnt(0)
	v_sub_u32_e32 v35, v2, v33
.LBB1647_43:
	s_or_b64 exec, exec, s[20:21]
	s_waitcnt lgkmcnt(0)
	s_barrier
	s_and_saveexec_b64 s[20:21], s[16:17]
	s_cbranch_execz .LBB1647_53
; %bb.44:
	v_lshl_or_b32 v2, s6, 8, v10
	v_mov_b32_e32 v3, 0
	v_lshlrev_b64 v[4:5], 2, v[2:3]
	v_mov_b32_e32 v37, s35
	v_add_co_u32_e64 v4, s[18:19], s34, v4
	v_addc_co_u32_e64 v5, s[18:19], v37, v5, s[18:19]
	v_or_b32_e32 v2, 2.0, v35
	s_mov_b64 s[22:23], 0
	s_brev_b32 s51, 1
	s_mov_b32 s52, s6
	v_mov_b32_e32 v40, 0
	global_store_dword v[4:5], v2, off
                                        ; implicit-def: $sgpr18_sgpr19
	s_branch .LBB1647_46
.LBB1647_45:                            ;   in Loop: Header=BB1647_46 Depth=1
	s_or_b64 exec, exec, s[26:27]
	v_and_b32_e32 v6, 0x3fffffff, v56
	v_add_u32_e32 v40, v6, v40
	v_cmp_eq_u32_e64 s[18:19], s51, v2
	s_and_b64 s[26:27], exec, s[18:19]
	s_or_b64 s[22:23], s[26:27], s[22:23]
	s_andn2_b64 exec, exec, s[22:23]
	s_cbranch_execz .LBB1647_52
.LBB1647_46:                            ; =>This Loop Header: Depth=1
                                        ;     Child Loop BB1647_49 Depth 2
	s_or_b64 s[18:19], s[18:19], exec
	s_cmp_eq_u32 s52, 0
	s_cbranch_scc1 .LBB1647_51
; %bb.47:                               ;   in Loop: Header=BB1647_46 Depth=1
	s_add_i32 s52, s52, -1
	v_lshl_or_b32 v2, s52, 8, v10
	v_lshlrev_b64 v[6:7], 2, v[2:3]
	v_add_co_u32_e64 v6, s[18:19], s34, v6
	v_addc_co_u32_e64 v7, s[18:19], v37, v7, s[18:19]
	global_load_dword v56, v[6:7], off glc
	s_waitcnt vmcnt(0)
	v_and_b32_e32 v2, -2.0, v56
	v_cmp_eq_u32_e64 s[18:19], 0, v2
	s_and_saveexec_b64 s[26:27], s[18:19]
	s_cbranch_execz .LBB1647_45
; %bb.48:                               ;   in Loop: Header=BB1647_46 Depth=1
	s_mov_b64 s[48:49], 0
.LBB1647_49:                            ;   Parent Loop BB1647_46 Depth=1
                                        ; =>  This Inner Loop Header: Depth=2
	global_load_dword v56, v[6:7], off glc
	s_waitcnt vmcnt(0)
	v_and_b32_e32 v2, -2.0, v56
	v_cmp_ne_u32_e64 s[18:19], 0, v2
	s_or_b64 s[48:49], s[18:19], s[48:49]
	s_andn2_b64 exec, exec, s[48:49]
	s_cbranch_execnz .LBB1647_49
; %bb.50:                               ;   in Loop: Header=BB1647_46 Depth=1
	s_or_b64 exec, exec, s[48:49]
	s_branch .LBB1647_45
.LBB1647_51:                            ;   in Loop: Header=BB1647_46 Depth=1
                                        ; implicit-def: $sgpr52
	s_and_b64 s[26:27], exec, s[18:19]
	s_or_b64 s[22:23], s[26:27], s[22:23]
	s_andn2_b64 exec, exec, s[22:23]
	s_cbranch_execnz .LBB1647_46
.LBB1647_52:
	s_or_b64 exec, exec, s[22:23]
	v_add_u32_e32 v2, v40, v35
	v_or_b32_e32 v2, 0x80000000, v2
	global_store_dword v[4:5], v2, off
	global_load_dword v2, v52, s[28:29]
	v_sub_u32_e32 v3, v40, v33
	s_waitcnt vmcnt(0)
	v_add_u32_e32 v2, v3, v2
	ds_write_b32 v52, v2
.LBB1647_53:
	s_or_b64 exec, exec, s[20:21]
	s_mov_b32 s22, -1
	v_add_u32_e32 v37, v55, v29
	s_movk_i32 s48, 0x400
	v_add_u32_e32 v40, 0x400, v11
	v_add3_u32 v41, v51, v50, v41
	v_add3_u32 v44, v49, v44, v9
	;; [unrolled: 1-line block ×7, first 2 shown]
	s_mov_b32 s49, 0
	s_brev_b32 s23, -2
	v_mov_b32_e32 v29, 0
	v_bfrev_b32_e32 v34, 1
	v_mov_b32_e32 v38, v10
	s_mov_b32 s51, 0
                                        ; implicit-def: $vgpr2_vgpr3_vgpr4_vgpr5_vgpr6_vgpr7_vgpr8_vgpr9
	s_branch .LBB1647_55
.LBB1647_54:                            ;   in Loop: Header=BB1647_55 Depth=1
	s_or_b64 exec, exec, s[26:27]
	s_addk_i32 s51, 0xf800
	s_add_i32 s49, s49, 2
	s_cmpk_eq_i32 s51, 0xe000
	v_add_u32_e32 v38, 0x800, v38
	s_barrier
	s_cbranch_scc1 .LBB1647_60
.LBB1647_55:                            ; =>This Inner Loop Header: Depth=1
	v_add_u32_e32 v28, s51, v37
	v_min_u32_e32 v28, 0x800, v28
	v_lshlrev_b32_e32 v28, 3, v28
	ds_write_b64 v28, v[12:13] offset:1024
	v_add_u32_e32 v28, s51, v32
	v_min_u32_e32 v28, 0x800, v28
	v_lshlrev_b32_e32 v28, 3, v28
	ds_write_b64 v28, v[14:15] offset:1024
	;; [unrolled: 4-line block ×7, first 2 shown]
	v_add_u32_e32 v28, s51, v41
	v_min_u32_e32 v28, 0x800, v28
	v_lshlrev_b32_e32 v28, 3, v28
	v_cmp_gt_u32_e64 s[18:19], s7, v38
	ds_write_b64 v28, v[26:27] offset:1024
	s_waitcnt lgkmcnt(0)
	s_barrier
	s_and_saveexec_b64 s[26:27], s[18:19]
	s_cbranch_execz .LBB1647_57
; %bb.56:                               ;   in Loop: Header=BB1647_55 Depth=1
	ds_read_b64 v[48:49], v11 offset:1024
	v_mov_b32_e32 v42, s39
	s_cmp_eq_u32 s49, 7
	s_waitcnt lgkmcnt(0)
	v_cmp_ne_u64_e64 s[18:19], s[22:23], v[48:49]
	v_cndmask_b32_e64 v51, v34, v49, s[18:19]
	v_cndmask_b32_e64 v50, 0, v48, s[18:19]
	v_lshrrev_b64 v[50:51], s44, v[50:51]
	v_and_b32_e32 v45, s50, v50
	v_lshlrev_b32_e32 v47, 2, v45
	ds_read_b32 v47, v47
	v_cmp_lt_i64_e64 s[20:21], -1, v[48:49]
	v_cndmask_b32_e64 v28, v34, -1, s[20:21]
	v_ashrrev_i32_e32 v50, 31, v49
	v_not_b32_e32 v50, v50
	v_xor_b32_e32 v49, v28, v49
	s_waitcnt lgkmcnt(0)
	v_add_u32_e32 v28, v38, v47
	v_xor_b32_e32 v48, v50, v48
	v_lshlrev_b64 v[50:51], 3, v[28:29]
	v_add_co_u32_e64 v50, s[18:19], s38, v50
	v_addc_co_u32_e64 v51, s[18:19], v42, v51, s[18:19]
	s_cselect_b64 s[18:19], -1, 0
	s_cmp_eq_u32 s49, 6
	v_cndmask_b32_e64 v9, v9, v45, s[18:19]
	s_cselect_b64 s[18:19], -1, 0
	s_cmp_eq_u32 s49, 5
	v_cndmask_b32_e64 v8, v8, v45, s[18:19]
	;; [unrolled: 3-line block ×7, first 2 shown]
	s_cselect_b64 s[18:19], -1, 0
	v_cndmask_b32_e64 v2, v2, v45, s[18:19]
	global_store_dwordx2 v[50:51], v[48:49], off
.LBB1647_57:                            ;   in Loop: Header=BB1647_55 Depth=1
	s_or_b64 exec, exec, s[26:27]
	v_add_u32_e32 v28, 0x400, v38
	v_cmp_gt_u32_e64 s[18:19], s7, v28
	s_and_saveexec_b64 s[26:27], s[18:19]
	s_cbranch_execz .LBB1647_54
; %bb.58:                               ;   in Loop: Header=BB1647_55 Depth=1
	ds_read_b64 v[48:49], v40 offset:8192
	v_mov_b32_e32 v42, s39
	s_waitcnt lgkmcnt(0)
	v_cmp_ne_u64_e64 s[18:19], s[22:23], v[48:49]
	v_cndmask_b32_e64 v51, v34, v49, s[18:19]
	v_cndmask_b32_e64 v50, 0, v48, s[18:19]
	v_lshrrev_b64 v[50:51], s44, v[50:51]
	v_and_b32_e32 v45, s50, v50
	v_lshlrev_b32_e32 v47, 2, v45
	ds_read_b32 v47, v47
	v_cmp_lt_i64_e64 s[20:21], -1, v[48:49]
	v_cndmask_b32_e64 v28, v34, -1, s[20:21]
	v_ashrrev_i32_e32 v50, 31, v49
	v_not_b32_e32 v50, v50
	v_xor_b32_e32 v49, v28, v49
	s_waitcnt lgkmcnt(0)
	v_add3_u32 v28, v38, v47, s48
	v_xor_b32_e32 v48, v50, v48
	v_lshlrev_b64 v[50:51], 3, v[28:29]
	v_add_co_u32_e64 v50, s[18:19], s38, v50
	s_add_i32 s20, s49, 1
	v_addc_co_u32_e64 v51, s[18:19], v42, v51, s[18:19]
	s_cmp_eq_u32 s20, 7
	s_cselect_b64 s[18:19], -1, 0
	s_cmp_eq_u32 s20, 6
	v_cndmask_b32_e64 v9, v9, v45, s[18:19]
	s_cselect_b64 s[18:19], -1, 0
	s_cmp_eq_u32 s20, 5
	v_cndmask_b32_e64 v8, v8, v45, s[18:19]
	;; [unrolled: 3-line block ×7, first 2 shown]
	s_cselect_b64 s[18:19], -1, 0
	v_cndmask_b32_e64 v2, v2, v45, s[18:19]
	global_store_dwordx2 v[50:51], v[48:49], off
	s_branch .LBB1647_54
.LBB1647_59:
	s_mov_b64 s[10:11], 0
                                        ; implicit-def: $vgpr2
                                        ; implicit-def: $vgpr10
	s_cbranch_execnz .LBB1647_78
	s_branch .LBB1647_121
.LBB1647_60:
	s_add_u32 s18, s40, s46
	s_addc_u32 s19, s41, s47
	v_mov_b32_e32 v12, s19
	v_add_co_u32_e64 v13, s[18:19], s18, v30
	v_addc_co_u32_e64 v12, s[18:19], 0, v12, s[18:19]
	v_add_co_u32_e64 v28, s[18:19], v13, v31
	v_addc_co_u32_e64 v29, s[18:19], 0, v12, s[18:19]
                                        ; implicit-def: $vgpr12_vgpr13
	s_and_saveexec_b64 s[18:19], vcc
	s_cbranch_execnz .LBB1647_124
; %bb.61:
	s_or_b64 exec, exec, s[18:19]
                                        ; implicit-def: $vgpr14_vgpr15
	s_and_saveexec_b64 s[18:19], s[0:1]
	s_cbranch_execnz .LBB1647_125
.LBB1647_62:
	s_or_b64 exec, exec, s[18:19]
                                        ; implicit-def: $vgpr16_vgpr17
	s_and_saveexec_b64 s[0:1], s[2:3]
	s_cbranch_execnz .LBB1647_126
.LBB1647_63:
	s_or_b64 exec, exec, s[0:1]
                                        ; implicit-def: $vgpr18_vgpr19
	s_and_saveexec_b64 s[0:1], s[24:25]
	s_cbranch_execnz .LBB1647_127
.LBB1647_64:
	s_or_b64 exec, exec, s[0:1]
                                        ; implicit-def: $vgpr20_vgpr21
	s_and_saveexec_b64 s[0:1], s[8:9]
	s_cbranch_execnz .LBB1647_128
.LBB1647_65:
	s_or_b64 exec, exec, s[0:1]
                                        ; implicit-def: $vgpr22_vgpr23
	s_and_saveexec_b64 s[0:1], s[10:11]
	s_cbranch_execnz .LBB1647_129
.LBB1647_66:
	s_or_b64 exec, exec, s[0:1]
                                        ; implicit-def: $vgpr24_vgpr25
	s_and_saveexec_b64 s[0:1], s[12:13]
	s_cbranch_execnz .LBB1647_130
.LBB1647_67:
	s_or_b64 exec, exec, s[0:1]
                                        ; implicit-def: $vgpr26_vgpr27
	s_and_saveexec_b64 s[0:1], s[14:15]
	s_cbranch_execz .LBB1647_69
.LBB1647_68:
	global_load_dwordx2 v[26:27], v[28:29], off offset:3584
.LBB1647_69:
	s_or_b64 exec, exec, s[0:1]
	s_mov_b32 s2, 0
	v_mov_b32_e32 v29, 0
	s_movk_i32 s3, 0x400
	s_mov_b32 s8, 0
	v_mov_b32_e32 v30, v10
	s_waitcnt vmcnt(0)
	s_branch .LBB1647_71
.LBB1647_70:                            ;   in Loop: Header=BB1647_71 Depth=1
	s_or_b64 exec, exec, s[0:1]
	s_addk_i32 s8, 0xf800
	s_add_i32 s2, s2, 2
	s_cmpk_eq_i32 s8, 0xe000
	v_add_u32_e32 v30, 0x800, v30
	s_barrier
	s_cbranch_scc1 .LBB1647_75
.LBB1647_71:                            ; =>This Inner Loop Header: Depth=1
	v_add_u32_e32 v28, s8, v37
	v_min_u32_e32 v28, 0x800, v28
	v_lshlrev_b32_e32 v28, 3, v28
	ds_write_b64 v28, v[12:13] offset:1024
	v_add_u32_e32 v28, s8, v32
	v_min_u32_e32 v28, 0x800, v28
	v_lshlrev_b32_e32 v28, 3, v28
	ds_write_b64 v28, v[14:15] offset:1024
	;; [unrolled: 4-line block ×7, first 2 shown]
	v_add_u32_e32 v28, s8, v41
	v_min_u32_e32 v28, 0x800, v28
	v_lshlrev_b32_e32 v28, 3, v28
	v_cmp_gt_u32_e32 vcc, s7, v30
	ds_write_b64 v28, v[26:27] offset:1024
	s_waitcnt lgkmcnt(0)
	s_barrier
	s_and_saveexec_b64 s[0:1], vcc
	s_cbranch_execz .LBB1647_73
; %bb.72:                               ;   in Loop: Header=BB1647_71 Depth=1
	s_cmp_eq_u32 s2, 1
	s_cselect_b64 vcc, -1, 0
	s_cmp_eq_u32 s2, 2
	v_cndmask_b32_e32 v28, v2, v3, vcc
	s_cselect_b64 vcc, -1, 0
	s_cmp_eq_u32 s2, 3
	v_cndmask_b32_e32 v28, v28, v4, vcc
	;; [unrolled: 3-line block ×6, first 2 shown]
	s_cselect_b64 vcc, -1, 0
	v_cndmask_b32_e32 v28, v28, v9, vcc
	v_lshlrev_b32_e32 v28, 2, v28
	ds_read_b32 v28, v28
	ds_read_b64 v[48:49], v11 offset:1024
	s_waitcnt lgkmcnt(1)
	v_add_u32_e32 v28, v30, v28
	v_lshlrev_b64 v[50:51], 3, v[28:29]
	v_mov_b32_e32 v28, s43
	v_add_co_u32_e32 v50, vcc, s42, v50
	v_addc_co_u32_e32 v51, vcc, v28, v51, vcc
	s_waitcnt lgkmcnt(0)
	global_store_dwordx2 v[50:51], v[48:49], off
.LBB1647_73:                            ;   in Loop: Header=BB1647_71 Depth=1
	s_or_b64 exec, exec, s[0:1]
	v_add_u32_e32 v28, 0x400, v30
	v_cmp_gt_u32_e32 vcc, s7, v28
	s_and_saveexec_b64 s[0:1], vcc
	s_cbranch_execz .LBB1647_70
; %bb.74:                               ;   in Loop: Header=BB1647_71 Depth=1
	s_add_i32 s9, s2, 1
	s_cmp_eq_u32 s9, 1
	s_cselect_b64 vcc, -1, 0
	s_cmp_eq_u32 s9, 2
	v_cndmask_b32_e32 v28, v2, v3, vcc
	s_cselect_b64 vcc, -1, 0
	s_cmp_eq_u32 s9, 3
	v_cndmask_b32_e32 v28, v28, v4, vcc
	;; [unrolled: 3-line block ×6, first 2 shown]
	s_cselect_b64 vcc, -1, 0
	v_cndmask_b32_e32 v28, v28, v9, vcc
	v_lshlrev_b32_e32 v28, 2, v28
	ds_read_b32 v28, v28
	ds_read_b64 v[48:49], v40 offset:8192
	s_waitcnt lgkmcnt(1)
	v_add3_u32 v28, v30, v28, s3
	v_lshlrev_b64 v[50:51], 3, v[28:29]
	v_mov_b32_e32 v28, s43
	v_add_co_u32_e32 v50, vcc, s42, v50
	v_addc_co_u32_e32 v51, vcc, v28, v51, vcc
	s_waitcnt lgkmcnt(0)
	global_store_dwordx2 v[50:51], v[48:49], off
	s_branch .LBB1647_70
.LBB1647_75:
	s_add_i32 s33, s33, -1
	s_cmp_eq_u32 s33, s6
	s_cselect_b64 s[0:1], -1, 0
	s_and_b64 s[2:3], s[16:17], s[0:1]
	s_mov_b64 s[0:1], 0
	s_mov_b64 s[10:11], 0
                                        ; implicit-def: $vgpr2
	s_and_saveexec_b64 s[8:9], s[2:3]
	s_xor_b64 s[2:3], exec, s[8:9]
; %bb.76:
	s_mov_b64 s[10:11], exec
	v_add_u32_e32 v2, v33, v35
; %bb.77:
	s_or_b64 exec, exec, s[2:3]
	s_and_b64 vcc, exec, s[0:1]
	s_cbranch_vccz .LBB1647_121
.LBB1647_78:
	s_lshl_b32 s0, s6, 13
	s_mov_b32 s1, 0
	s_lshl_b64 s[12:13], s[0:1], 3
	v_mbcnt_hi_u32_b32 v22, -1, v1
	v_and_b32_e32 v10, 0x3ff, v0
	s_add_u32 s0, s36, s12
	v_and_b32_e32 v1, 63, v22
	s_addc_u32 s1, s37, s13
	v_lshlrev_b32_e32 v11, 3, v10
	v_lshlrev_b32_e32 v24, 3, v1
	v_and_b32_e32 v2, 0x1e00, v11
	v_mov_b32_e32 v1, s1
	v_add_co_u32_e32 v3, vcc, s0, v24
	s_load_dword s7, s[4:5], 0x58
	s_load_dword s0, s[4:5], 0x64
	v_addc_co_u32_e32 v1, vcc, 0, v1, vcc
	v_lshlrev_b32_e32 v25, 3, v2
	v_add_co_u32_e32 v20, vcc, v3, v25
	v_addc_co_u32_e32 v21, vcc, 0, v1, vcc
	global_load_dwordx2 v[28:29], v[20:21], off
	s_add_u32 s1, s4, 0x58
	s_addc_u32 s2, s5, 0
	s_waitcnt lgkmcnt(0)
	s_lshr_b32 s4, s0, 16
	s_cmp_lt_u32 s6, s7
	s_cselect_b32 s0, 12, 18
	s_add_u32 s0, s1, s0
	v_mov_b32_e32 v4, 0
	s_addc_u32 s1, s2, 0
	global_load_ushort v5, v4, s[0:1]
	v_mul_u32_u24_e32 v2, 5, v10
	v_lshlrev_b32_e32 v23, 2, v2
	ds_write2_b32 v23, v4, v4 offset0:16 offset1:17
	ds_write2_b32 v23, v4, v4 offset0:18 offset1:19
	ds_write_b32 v23, v4 offset:80
	global_load_dwordx2 v[2:3], v[20:21], off offset:512
	global_load_dwordx2 v[18:19], v[20:21], off offset:1024
	;; [unrolled: 1-line block ×7, first 2 shown]
	v_bfrev_b32_e32 v27, 1
	v_bfe_u32 v1, v0, 10, 10
	v_bfe_u32 v0, v0, 20, 10
	s_mov_b32 s2, -1
	v_mad_u32_u24 v26, v0, s4, v1
	s_brev_b32 s3, -2
	s_lshl_b32 s0, -1, s45
	s_not_b32 s16, s0
	s_waitcnt lgkmcnt(0)
	s_barrier
	s_waitcnt lgkmcnt(0)
	; wave barrier
	s_waitcnt vmcnt(8)
	v_cmp_lt_i64_e32 vcc, -1, v[28:29]
	v_cndmask_b32_e32 v0, -1, v27, vcc
	v_ashrrev_i32_e32 v20, 31, v29
	v_xor_b32_e32 v1, v0, v29
	v_xor_b32_e32 v0, v20, v28
	v_cmp_ne_u64_e32 vcc, s[2:3], v[0:1]
	v_cndmask_b32_e32 v21, v27, v1, vcc
	v_cndmask_b32_e32 v20, 0, v0, vcc
	v_lshrrev_b64 v[20:21], s44, v[20:21]
	s_waitcnt vmcnt(7)
	v_mad_u64_u32 v[28:29], s[0:1], v26, v5, v[10:11]
	v_and_b32_e32 v20, s16, v20
	v_lshrrev_b32_e32 v34, 6, v28
	v_lshl_add_u32 v21, v20, 4, v20
	v_and_b32_e32 v26, 1, v20
	v_add_lshl_u32 v28, v34, v21, 2
	v_add_co_u32_e32 v21, vcc, -1, v26
	v_lshlrev_b32_e32 v5, 30, v20
	v_addc_co_u32_e64 v29, s[0:1], 0, -1, vcc
	v_cmp_ne_u32_e32 vcc, 0, v26
	v_cmp_gt_i64_e64 s[0:1], 0, v[4:5]
	v_not_b32_e32 v26, v5
	v_lshlrev_b32_e32 v5, 29, v20
	v_xor_b32_e32 v29, vcc_hi, v29
	v_xor_b32_e32 v21, vcc_lo, v21
	v_ashrrev_i32_e32 v26, 31, v26
	v_cmp_gt_i64_e32 vcc, 0, v[4:5]
	v_not_b32_e32 v30, v5
	v_lshlrev_b32_e32 v5, 28, v20
	v_and_b32_e32 v29, exec_hi, v29
	v_and_b32_e32 v21, exec_lo, v21
	v_xor_b32_e32 v31, s1, v26
	v_xor_b32_e32 v26, s0, v26
	v_ashrrev_i32_e32 v30, 31, v30
	v_cmp_gt_i64_e64 s[0:1], 0, v[4:5]
	v_not_b32_e32 v5, v5
	v_and_b32_e32 v29, v29, v31
	v_and_b32_e32 v21, v21, v26
	v_xor_b32_e32 v26, vcc_hi, v30
	v_xor_b32_e32 v30, vcc_lo, v30
	v_ashrrev_i32_e32 v5, 31, v5
	v_and_b32_e32 v26, v29, v26
	v_and_b32_e32 v21, v21, v30
	v_xor_b32_e32 v29, s1, v5
	v_xor_b32_e32 v5, s0, v5
	v_and_b32_e32 v21, v21, v5
	v_lshlrev_b32_e32 v5, 27, v20
	v_cmp_gt_i64_e32 vcc, 0, v[4:5]
	v_not_b32_e32 v5, v5
	v_ashrrev_i32_e32 v5, 31, v5
	v_and_b32_e32 v26, v26, v29
	v_xor_b32_e32 v29, vcc_hi, v5
	v_xor_b32_e32 v5, vcc_lo, v5
	v_and_b32_e32 v21, v21, v5
	v_lshlrev_b32_e32 v5, 26, v20
	v_cmp_gt_i64_e32 vcc, 0, v[4:5]
	v_not_b32_e32 v5, v5
	v_ashrrev_i32_e32 v5, 31, v5
	v_and_b32_e32 v26, v26, v29
	v_xor_b32_e32 v29, vcc_hi, v5
	v_xor_b32_e32 v5, vcc_lo, v5
	;; [unrolled: 8-line block ×3, first 2 shown]
	v_and_b32_e32 v26, v26, v29
	v_and_b32_e32 v29, v21, v5
	v_lshlrev_b32_e32 v5, 24, v20
	v_cmp_gt_i64_e32 vcc, 0, v[4:5]
	v_not_b32_e32 v5, v5
	v_ashrrev_i32_e32 v5, 31, v5
	v_xor_b32_e32 v20, vcc_hi, v5
	v_xor_b32_e32 v5, vcc_lo, v5
	v_and_b32_e32 v21, v26, v20
	v_and_b32_e32 v20, v29, v5
	v_mbcnt_lo_u32_b32 v5, v20, 0
	v_mbcnt_hi_u32_b32 v26, v21, v5
	v_cmp_eq_u32_e32 vcc, 0, v26
	v_cmp_ne_u64_e64 s[0:1], 0, v[20:21]
	s_and_b64 s[4:5], s[0:1], vcc
	s_and_saveexec_b64 s[0:1], s[4:5]
	s_cbranch_execz .LBB1647_80
; %bb.79:
	v_bcnt_u32_b32 v5, v20, 0
	v_bcnt_u32_b32 v5, v21, v5
	ds_write_b32 v28, v5 offset:64
.LBB1647_80:
	s_or_b64 exec, exec, s[0:1]
	s_waitcnt vmcnt(6)
	v_cmp_lt_i64_e32 vcc, -1, v[2:3]
	v_cndmask_b32_e32 v5, -1, v27, vcc
	v_ashrrev_i32_e32 v20, 31, v3
	v_xor_b32_e32 v3, v5, v3
	v_xor_b32_e32 v2, v20, v2
	v_cmp_ne_u64_e32 vcc, s[2:3], v[2:3]
	v_cndmask_b32_e32 v21, v27, v3, vcc
	v_cndmask_b32_e32 v20, 0, v2, vcc
	v_lshrrev_b64 v[20:21], s44, v[20:21]
	v_and_b32_e32 v20, s16, v20
	v_lshl_add_u32 v5, v20, 4, v20
	v_add_lshl_u32 v31, v34, v5, 2
	v_and_b32_e32 v5, 1, v20
	v_add_co_u32_e32 v21, vcc, -1, v5
	v_addc_co_u32_e64 v29, s[0:1], 0, -1, vcc
	v_cmp_ne_u32_e32 vcc, 0, v5
	v_xor_b32_e32 v5, vcc_hi, v29
	v_and_b32_e32 v29, exec_hi, v5
	v_lshlrev_b32_e32 v5, 30, v20
	v_xor_b32_e32 v21, vcc_lo, v21
	v_cmp_gt_i64_e32 vcc, 0, v[4:5]
	v_not_b32_e32 v5, v5
	v_ashrrev_i32_e32 v5, 31, v5
	v_and_b32_e32 v21, exec_lo, v21
	v_xor_b32_e32 v30, vcc_hi, v5
	v_xor_b32_e32 v5, vcc_lo, v5
	v_and_b32_e32 v21, v21, v5
	v_lshlrev_b32_e32 v5, 29, v20
	v_cmp_gt_i64_e32 vcc, 0, v[4:5]
	v_not_b32_e32 v5, v5
	v_ashrrev_i32_e32 v5, 31, v5
	v_and_b32_e32 v29, v29, v30
	v_xor_b32_e32 v30, vcc_hi, v5
	v_xor_b32_e32 v5, vcc_lo, v5
	v_and_b32_e32 v21, v21, v5
	v_lshlrev_b32_e32 v5, 28, v20
	v_cmp_gt_i64_e32 vcc, 0, v[4:5]
	v_not_b32_e32 v5, v5
	v_ashrrev_i32_e32 v5, 31, v5
	v_and_b32_e32 v29, v29, v30
	;; [unrolled: 8-line block ×5, first 2 shown]
	v_xor_b32_e32 v30, vcc_hi, v5
	v_xor_b32_e32 v5, vcc_lo, v5
	v_and_b32_e32 v21, v21, v5
	v_lshlrev_b32_e32 v5, 24, v20
	v_cmp_gt_i64_e32 vcc, 0, v[4:5]
	v_not_b32_e32 v4, v5
	v_ashrrev_i32_e32 v4, 31, v4
	v_xor_b32_e32 v5, vcc_hi, v4
	v_xor_b32_e32 v4, vcc_lo, v4
	; wave barrier
	ds_read_b32 v27, v31 offset:64
	v_and_b32_e32 v29, v29, v30
	v_and_b32_e32 v4, v21, v4
	;; [unrolled: 1-line block ×3, first 2 shown]
	v_mbcnt_lo_u32_b32 v20, v4, 0
	v_mbcnt_hi_u32_b32 v29, v5, v20
	v_cmp_eq_u32_e32 vcc, 0, v29
	v_cmp_ne_u64_e64 s[0:1], 0, v[4:5]
	s_and_b64 s[2:3], s[0:1], vcc
	; wave barrier
	s_and_saveexec_b64 s[0:1], s[2:3]
	s_cbranch_execz .LBB1647_82
; %bb.81:
	v_bcnt_u32_b32 v4, v4, 0
	v_bcnt_u32_b32 v4, v5, v4
	s_waitcnt lgkmcnt(0)
	v_add_u32_e32 v4, v27, v4
	ds_write_b32 v31, v4 offset:64
.LBB1647_82:
	s_or_b64 exec, exec, s[0:1]
	v_bfrev_b32_e32 v33, 1
	s_waitcnt vmcnt(5)
	v_cmp_lt_i64_e32 vcc, -1, v[18:19]
	s_mov_b32 s2, -1
	v_cndmask_b32_e32 v4, -1, v33, vcc
	v_ashrrev_i32_e32 v20, 31, v19
	s_brev_b32 s3, -2
	v_xor_b32_e32 v5, v4, v19
	v_xor_b32_e32 v4, v20, v18
	v_cmp_ne_u64_e32 vcc, s[2:3], v[4:5]
	v_cndmask_b32_e32 v21, v33, v5, vcc
	v_cndmask_b32_e32 v20, 0, v4, vcc
	v_lshrrev_b64 v[20:21], s44, v[20:21]
	v_and_b32_e32 v20, s16, v20
	v_lshl_add_u32 v19, v20, 4, v20
	v_add_lshl_u32 v35, v34, v19, 2
	v_and_b32_e32 v19, 1, v20
	v_add_co_u32_e32 v21, vcc, -1, v19
	v_addc_co_u32_e64 v32, s[0:1], 0, -1, vcc
	v_cmp_ne_u32_e32 vcc, 0, v19
	v_xor_b32_e32 v19, vcc_hi, v32
	v_mov_b32_e32 v18, 0
	v_and_b32_e32 v32, exec_hi, v19
	v_lshlrev_b32_e32 v19, 30, v20
	v_xor_b32_e32 v21, vcc_lo, v21
	v_cmp_gt_i64_e32 vcc, 0, v[18:19]
	v_not_b32_e32 v19, v19
	v_ashrrev_i32_e32 v19, 31, v19
	v_and_b32_e32 v21, exec_lo, v21
	v_xor_b32_e32 v36, vcc_hi, v19
	v_xor_b32_e32 v19, vcc_lo, v19
	v_and_b32_e32 v21, v21, v19
	v_lshlrev_b32_e32 v19, 29, v20
	v_cmp_gt_i64_e32 vcc, 0, v[18:19]
	v_not_b32_e32 v19, v19
	v_ashrrev_i32_e32 v19, 31, v19
	v_and_b32_e32 v32, v32, v36
	v_xor_b32_e32 v36, vcc_hi, v19
	v_xor_b32_e32 v19, vcc_lo, v19
	v_and_b32_e32 v21, v21, v19
	v_lshlrev_b32_e32 v19, 28, v20
	v_cmp_gt_i64_e32 vcc, 0, v[18:19]
	v_not_b32_e32 v19, v19
	v_ashrrev_i32_e32 v19, 31, v19
	v_and_b32_e32 v32, v32, v36
	;; [unrolled: 8-line block ×5, first 2 shown]
	v_xor_b32_e32 v36, vcc_hi, v19
	v_xor_b32_e32 v19, vcc_lo, v19
	v_and_b32_e32 v32, v32, v36
	v_and_b32_e32 v36, v21, v19
	v_lshlrev_b32_e32 v19, 24, v20
	v_cmp_gt_i64_e32 vcc, 0, v[18:19]
	v_not_b32_e32 v19, v19
	v_ashrrev_i32_e32 v19, 31, v19
	v_xor_b32_e32 v20, vcc_hi, v19
	v_xor_b32_e32 v19, vcc_lo, v19
	; wave barrier
	ds_read_b32 v30, v35 offset:64
	v_and_b32_e32 v21, v32, v20
	v_and_b32_e32 v20, v36, v19
	v_mbcnt_lo_u32_b32 v19, v20, 0
	v_mbcnt_hi_u32_b32 v32, v21, v19
	v_cmp_eq_u32_e32 vcc, 0, v32
	v_cmp_ne_u64_e64 s[0:1], 0, v[20:21]
	s_and_b64 s[4:5], s[0:1], vcc
	; wave barrier
	s_and_saveexec_b64 s[0:1], s[4:5]
	s_cbranch_execz .LBB1647_84
; %bb.83:
	v_bcnt_u32_b32 v19, v20, 0
	v_bcnt_u32_b32 v19, v21, v19
	s_waitcnt lgkmcnt(0)
	v_add_u32_e32 v19, v30, v19
	ds_write_b32 v35, v19 offset:64
.LBB1647_84:
	s_or_b64 exec, exec, s[0:1]
	s_waitcnt vmcnt(4)
	v_cmp_lt_i64_e32 vcc, -1, v[6:7]
	v_cndmask_b32_e32 v19, -1, v33, vcc
	v_ashrrev_i32_e32 v20, 31, v7
	v_xor_b32_e32 v7, v19, v7
	v_xor_b32_e32 v6, v20, v6
	v_cmp_ne_u64_e32 vcc, s[2:3], v[6:7]
	v_cndmask_b32_e32 v21, v33, v7, vcc
	v_cndmask_b32_e32 v20, 0, v6, vcc
	v_lshrrev_b64 v[20:21], s44, v[20:21]
	v_and_b32_e32 v20, s16, v20
	v_lshl_add_u32 v19, v20, 4, v20
	v_add_lshl_u32 v38, v34, v19, 2
	v_and_b32_e32 v19, 1, v20
	v_add_co_u32_e32 v21, vcc, -1, v19
	v_addc_co_u32_e64 v36, s[0:1], 0, -1, vcc
	v_cmp_ne_u32_e32 vcc, 0, v19
	v_xor_b32_e32 v19, vcc_hi, v36
	v_and_b32_e32 v36, exec_hi, v19
	v_lshlrev_b32_e32 v19, 30, v20
	v_xor_b32_e32 v21, vcc_lo, v21
	v_cmp_gt_i64_e32 vcc, 0, v[18:19]
	v_not_b32_e32 v19, v19
	v_ashrrev_i32_e32 v19, 31, v19
	v_and_b32_e32 v21, exec_lo, v21
	v_xor_b32_e32 v37, vcc_hi, v19
	v_xor_b32_e32 v19, vcc_lo, v19
	v_and_b32_e32 v21, v21, v19
	v_lshlrev_b32_e32 v19, 29, v20
	v_cmp_gt_i64_e32 vcc, 0, v[18:19]
	v_not_b32_e32 v19, v19
	v_ashrrev_i32_e32 v19, 31, v19
	v_and_b32_e32 v36, v36, v37
	v_xor_b32_e32 v37, vcc_hi, v19
	v_xor_b32_e32 v19, vcc_lo, v19
	v_and_b32_e32 v21, v21, v19
	v_lshlrev_b32_e32 v19, 28, v20
	v_cmp_gt_i64_e32 vcc, 0, v[18:19]
	v_not_b32_e32 v19, v19
	v_ashrrev_i32_e32 v19, 31, v19
	v_and_b32_e32 v36, v36, v37
	;; [unrolled: 8-line block ×5, first 2 shown]
	v_xor_b32_e32 v37, vcc_hi, v19
	v_xor_b32_e32 v19, vcc_lo, v19
	v_and_b32_e32 v21, v21, v19
	v_lshlrev_b32_e32 v19, 24, v20
	v_cmp_gt_i64_e32 vcc, 0, v[18:19]
	v_not_b32_e32 v18, v19
	v_ashrrev_i32_e32 v18, 31, v18
	v_xor_b32_e32 v19, vcc_hi, v18
	v_xor_b32_e32 v18, vcc_lo, v18
	; wave barrier
	ds_read_b32 v33, v38 offset:64
	v_and_b32_e32 v36, v36, v37
	v_and_b32_e32 v18, v21, v18
	;; [unrolled: 1-line block ×3, first 2 shown]
	v_mbcnt_lo_u32_b32 v20, v18, 0
	v_mbcnt_hi_u32_b32 v36, v19, v20
	v_cmp_eq_u32_e32 vcc, 0, v36
	v_cmp_ne_u64_e64 s[0:1], 0, v[18:19]
	s_and_b64 s[2:3], s[0:1], vcc
	; wave barrier
	s_and_saveexec_b64 s[0:1], s[2:3]
	s_cbranch_execz .LBB1647_86
; %bb.85:
	v_bcnt_u32_b32 v18, v18, 0
	v_bcnt_u32_b32 v18, v19, v18
	s_waitcnt lgkmcnt(0)
	v_add_u32_e32 v18, v33, v18
	ds_write_b32 v38, v18 offset:64
.LBB1647_86:
	s_or_b64 exec, exec, s[0:1]
	v_bfrev_b32_e32 v40, 1
	s_waitcnt vmcnt(3)
	v_cmp_lt_i64_e32 vcc, -1, v[8:9]
	s_mov_b32 s2, -1
	v_cndmask_b32_e32 v18, -1, v40, vcc
	v_ashrrev_i32_e32 v19, 31, v9
	s_brev_b32 s3, -2
	v_xor_b32_e32 v9, v18, v9
	v_xor_b32_e32 v8, v19, v8
	v_cmp_ne_u64_e32 vcc, s[2:3], v[8:9]
	v_cndmask_b32_e32 v21, v40, v9, vcc
	v_cndmask_b32_e32 v20, 0, v8, vcc
	v_lshrrev_b64 v[20:21], s44, v[20:21]
	v_and_b32_e32 v20, s16, v20
	v_lshl_add_u32 v19, v20, 4, v20
	v_add_lshl_u32 v41, v34, v19, 2
	v_and_b32_e32 v19, 1, v20
	v_add_co_u32_e32 v21, vcc, -1, v19
	v_addc_co_u32_e64 v39, s[0:1], 0, -1, vcc
	v_cmp_ne_u32_e32 vcc, 0, v19
	v_xor_b32_e32 v19, vcc_hi, v39
	v_mov_b32_e32 v18, 0
	v_and_b32_e32 v39, exec_hi, v19
	v_lshlrev_b32_e32 v19, 30, v20
	v_xor_b32_e32 v21, vcc_lo, v21
	v_cmp_gt_i64_e32 vcc, 0, v[18:19]
	v_not_b32_e32 v19, v19
	v_ashrrev_i32_e32 v19, 31, v19
	v_and_b32_e32 v21, exec_lo, v21
	v_xor_b32_e32 v42, vcc_hi, v19
	v_xor_b32_e32 v19, vcc_lo, v19
	v_and_b32_e32 v21, v21, v19
	v_lshlrev_b32_e32 v19, 29, v20
	v_cmp_gt_i64_e32 vcc, 0, v[18:19]
	v_not_b32_e32 v19, v19
	v_ashrrev_i32_e32 v19, 31, v19
	v_and_b32_e32 v39, v39, v42
	v_xor_b32_e32 v42, vcc_hi, v19
	v_xor_b32_e32 v19, vcc_lo, v19
	v_and_b32_e32 v21, v21, v19
	v_lshlrev_b32_e32 v19, 28, v20
	v_cmp_gt_i64_e32 vcc, 0, v[18:19]
	v_not_b32_e32 v19, v19
	v_ashrrev_i32_e32 v19, 31, v19
	v_and_b32_e32 v39, v39, v42
	;; [unrolled: 8-line block ×5, first 2 shown]
	v_xor_b32_e32 v42, vcc_hi, v19
	v_xor_b32_e32 v19, vcc_lo, v19
	v_and_b32_e32 v39, v39, v42
	v_and_b32_e32 v42, v21, v19
	v_lshlrev_b32_e32 v19, 24, v20
	v_cmp_gt_i64_e32 vcc, 0, v[18:19]
	v_not_b32_e32 v19, v19
	v_ashrrev_i32_e32 v19, 31, v19
	v_xor_b32_e32 v20, vcc_hi, v19
	v_xor_b32_e32 v19, vcc_lo, v19
	; wave barrier
	ds_read_b32 v37, v41 offset:64
	v_and_b32_e32 v21, v39, v20
	v_and_b32_e32 v20, v42, v19
	v_mbcnt_lo_u32_b32 v19, v20, 0
	v_mbcnt_hi_u32_b32 v39, v21, v19
	v_cmp_eq_u32_e32 vcc, 0, v39
	v_cmp_ne_u64_e64 s[0:1], 0, v[20:21]
	s_and_b64 s[4:5], s[0:1], vcc
	; wave barrier
	s_and_saveexec_b64 s[0:1], s[4:5]
	s_cbranch_execz .LBB1647_88
; %bb.87:
	v_bcnt_u32_b32 v19, v20, 0
	v_bcnt_u32_b32 v19, v21, v19
	s_waitcnt lgkmcnt(0)
	v_add_u32_e32 v19, v37, v19
	ds_write_b32 v41, v19 offset:64
.LBB1647_88:
	s_or_b64 exec, exec, s[0:1]
	s_waitcnt vmcnt(2)
	v_cmp_lt_i64_e32 vcc, -1, v[12:13]
	v_cndmask_b32_e32 v19, -1, v40, vcc
	v_ashrrev_i32_e32 v20, 31, v13
	v_xor_b32_e32 v13, v19, v13
	v_xor_b32_e32 v12, v20, v12
	v_cmp_ne_u64_e32 vcc, s[2:3], v[12:13]
	v_cndmask_b32_e32 v21, v40, v13, vcc
	v_cndmask_b32_e32 v20, 0, v12, vcc
	v_lshrrev_b64 v[20:21], s44, v[20:21]
	v_and_b32_e32 v20, s16, v20
	v_lshl_add_u32 v19, v20, 4, v20
	v_add_lshl_u32 v44, v34, v19, 2
	v_and_b32_e32 v19, 1, v20
	v_add_co_u32_e32 v21, vcc, -1, v19
	v_addc_co_u32_e64 v42, s[0:1], 0, -1, vcc
	v_cmp_ne_u32_e32 vcc, 0, v19
	v_xor_b32_e32 v19, vcc_hi, v42
	v_and_b32_e32 v42, exec_hi, v19
	v_lshlrev_b32_e32 v19, 30, v20
	v_xor_b32_e32 v21, vcc_lo, v21
	v_cmp_gt_i64_e32 vcc, 0, v[18:19]
	v_not_b32_e32 v19, v19
	v_ashrrev_i32_e32 v19, 31, v19
	v_and_b32_e32 v21, exec_lo, v21
	v_xor_b32_e32 v43, vcc_hi, v19
	v_xor_b32_e32 v19, vcc_lo, v19
	v_and_b32_e32 v21, v21, v19
	v_lshlrev_b32_e32 v19, 29, v20
	v_cmp_gt_i64_e32 vcc, 0, v[18:19]
	v_not_b32_e32 v19, v19
	v_ashrrev_i32_e32 v19, 31, v19
	v_and_b32_e32 v42, v42, v43
	v_xor_b32_e32 v43, vcc_hi, v19
	v_xor_b32_e32 v19, vcc_lo, v19
	v_and_b32_e32 v21, v21, v19
	v_lshlrev_b32_e32 v19, 28, v20
	v_cmp_gt_i64_e32 vcc, 0, v[18:19]
	v_not_b32_e32 v19, v19
	v_ashrrev_i32_e32 v19, 31, v19
	v_and_b32_e32 v42, v42, v43
	;; [unrolled: 8-line block ×5, first 2 shown]
	v_xor_b32_e32 v43, vcc_hi, v19
	v_xor_b32_e32 v19, vcc_lo, v19
	v_and_b32_e32 v21, v21, v19
	v_lshlrev_b32_e32 v19, 24, v20
	v_cmp_gt_i64_e32 vcc, 0, v[18:19]
	v_not_b32_e32 v18, v19
	v_ashrrev_i32_e32 v18, 31, v18
	v_xor_b32_e32 v19, vcc_hi, v18
	v_xor_b32_e32 v18, vcc_lo, v18
	; wave barrier
	ds_read_b32 v40, v44 offset:64
	v_and_b32_e32 v42, v42, v43
	v_and_b32_e32 v18, v21, v18
	;; [unrolled: 1-line block ×3, first 2 shown]
	v_mbcnt_lo_u32_b32 v20, v18, 0
	v_mbcnt_hi_u32_b32 v42, v19, v20
	v_cmp_eq_u32_e32 vcc, 0, v42
	v_cmp_ne_u64_e64 s[0:1], 0, v[18:19]
	s_and_b64 s[2:3], s[0:1], vcc
	; wave barrier
	s_and_saveexec_b64 s[0:1], s[2:3]
	s_cbranch_execz .LBB1647_90
; %bb.89:
	v_bcnt_u32_b32 v18, v18, 0
	v_bcnt_u32_b32 v18, v19, v18
	s_waitcnt lgkmcnt(0)
	v_add_u32_e32 v18, v40, v18
	ds_write_b32 v44, v18 offset:64
.LBB1647_90:
	s_or_b64 exec, exec, s[0:1]
	v_bfrev_b32_e32 v47, 1
	s_waitcnt vmcnt(1)
	v_cmp_lt_i64_e32 vcc, -1, v[16:17]
	s_mov_b32 s2, -1
	v_cndmask_b32_e32 v18, -1, v47, vcc
	v_ashrrev_i32_e32 v19, 31, v17
	s_brev_b32 s3, -2
	v_xor_b32_e32 v17, v18, v17
	v_xor_b32_e32 v16, v19, v16
	v_cmp_ne_u64_e32 vcc, s[2:3], v[16:17]
	v_cndmask_b32_e32 v21, v47, v17, vcc
	v_cndmask_b32_e32 v20, 0, v16, vcc
	v_lshrrev_b64 v[20:21], s44, v[20:21]
	v_and_b32_e32 v20, s16, v20
	v_lshl_add_u32 v19, v20, 4, v20
	v_add_lshl_u32 v46, v19, v34, 2
	v_and_b32_e32 v19, 1, v20
	v_add_co_u32_e32 v21, vcc, -1, v19
	v_addc_co_u32_e64 v45, s[0:1], 0, -1, vcc
	v_cmp_ne_u32_e32 vcc, 0, v19
	v_xor_b32_e32 v19, vcc_hi, v45
	v_mov_b32_e32 v18, 0
	v_and_b32_e32 v45, exec_hi, v19
	v_lshlrev_b32_e32 v19, 30, v20
	v_xor_b32_e32 v21, vcc_lo, v21
	v_cmp_gt_i64_e32 vcc, 0, v[18:19]
	v_not_b32_e32 v19, v19
	v_ashrrev_i32_e32 v19, 31, v19
	v_and_b32_e32 v21, exec_lo, v21
	v_xor_b32_e32 v48, vcc_hi, v19
	v_xor_b32_e32 v19, vcc_lo, v19
	v_and_b32_e32 v21, v21, v19
	v_lshlrev_b32_e32 v19, 29, v20
	v_cmp_gt_i64_e32 vcc, 0, v[18:19]
	v_not_b32_e32 v19, v19
	v_ashrrev_i32_e32 v19, 31, v19
	v_and_b32_e32 v45, v45, v48
	v_xor_b32_e32 v48, vcc_hi, v19
	v_xor_b32_e32 v19, vcc_lo, v19
	v_and_b32_e32 v21, v21, v19
	v_lshlrev_b32_e32 v19, 28, v20
	v_cmp_gt_i64_e32 vcc, 0, v[18:19]
	v_not_b32_e32 v19, v19
	v_ashrrev_i32_e32 v19, 31, v19
	v_and_b32_e32 v45, v45, v48
	;; [unrolled: 8-line block ×5, first 2 shown]
	v_xor_b32_e32 v48, vcc_hi, v19
	v_xor_b32_e32 v19, vcc_lo, v19
	v_and_b32_e32 v45, v45, v48
	v_and_b32_e32 v48, v21, v19
	v_lshlrev_b32_e32 v19, 24, v20
	v_cmp_gt_i64_e32 vcc, 0, v[18:19]
	v_not_b32_e32 v19, v19
	v_ashrrev_i32_e32 v19, 31, v19
	v_xor_b32_e32 v20, vcc_hi, v19
	v_xor_b32_e32 v19, vcc_lo, v19
	; wave barrier
	ds_read_b32 v43, v46 offset:64
	v_and_b32_e32 v21, v45, v20
	v_and_b32_e32 v20, v48, v19
	v_mbcnt_lo_u32_b32 v19, v20, 0
	v_mbcnt_hi_u32_b32 v45, v21, v19
	v_cmp_eq_u32_e32 vcc, 0, v45
	v_cmp_ne_u64_e64 s[0:1], 0, v[20:21]
	s_and_b64 s[4:5], s[0:1], vcc
	; wave barrier
	s_and_saveexec_b64 s[0:1], s[4:5]
	s_cbranch_execz .LBB1647_92
; %bb.91:
	v_bcnt_u32_b32 v19, v20, 0
	v_bcnt_u32_b32 v19, v21, v19
	s_waitcnt lgkmcnt(0)
	v_add_u32_e32 v19, v43, v19
	ds_write_b32 v46, v19 offset:64
.LBB1647_92:
	s_or_b64 exec, exec, s[0:1]
	s_waitcnt vmcnt(0)
	v_cmp_lt_i64_e32 vcc, -1, v[14:15]
	v_cndmask_b32_e32 v19, -1, v47, vcc
	v_ashrrev_i32_e32 v20, 31, v15
	v_xor_b32_e32 v15, v19, v15
	v_xor_b32_e32 v14, v20, v14
	v_cmp_ne_u64_e32 vcc, s[2:3], v[14:15]
	v_cndmask_b32_e32 v21, v47, v15, vcc
	v_cndmask_b32_e32 v20, 0, v14, vcc
	v_lshrrev_b64 v[20:21], s44, v[20:21]
	v_and_b32_e32 v20, s16, v20
	v_lshl_add_u32 v19, v20, 4, v20
	v_add_lshl_u32 v50, v19, v34, 2
	v_and_b32_e32 v19, 1, v20
	v_add_co_u32_e32 v21, vcc, -1, v19
	v_addc_co_u32_e64 v47, s[0:1], 0, -1, vcc
	v_cmp_ne_u32_e32 vcc, 0, v19
	v_xor_b32_e32 v19, vcc_hi, v47
	v_and_b32_e32 v47, exec_hi, v19
	v_lshlrev_b32_e32 v19, 30, v20
	v_xor_b32_e32 v21, vcc_lo, v21
	v_cmp_gt_i64_e32 vcc, 0, v[18:19]
	v_not_b32_e32 v19, v19
	v_ashrrev_i32_e32 v19, 31, v19
	v_and_b32_e32 v21, exec_lo, v21
	v_xor_b32_e32 v49, vcc_hi, v19
	v_xor_b32_e32 v19, vcc_lo, v19
	v_and_b32_e32 v21, v21, v19
	v_lshlrev_b32_e32 v19, 29, v20
	v_cmp_gt_i64_e32 vcc, 0, v[18:19]
	v_not_b32_e32 v19, v19
	v_ashrrev_i32_e32 v19, 31, v19
	v_and_b32_e32 v47, v47, v49
	v_xor_b32_e32 v49, vcc_hi, v19
	v_xor_b32_e32 v19, vcc_lo, v19
	v_and_b32_e32 v21, v21, v19
	v_lshlrev_b32_e32 v19, 28, v20
	v_cmp_gt_i64_e32 vcc, 0, v[18:19]
	v_not_b32_e32 v19, v19
	v_ashrrev_i32_e32 v19, 31, v19
	v_and_b32_e32 v47, v47, v49
	;; [unrolled: 8-line block ×5, first 2 shown]
	v_xor_b32_e32 v49, vcc_hi, v19
	v_xor_b32_e32 v19, vcc_lo, v19
	v_and_b32_e32 v21, v21, v19
	v_lshlrev_b32_e32 v19, 24, v20
	v_cmp_gt_i64_e32 vcc, 0, v[18:19]
	v_not_b32_e32 v18, v19
	v_ashrrev_i32_e32 v18, 31, v18
	v_xor_b32_e32 v19, vcc_hi, v18
	v_xor_b32_e32 v18, vcc_lo, v18
	; wave barrier
	ds_read_b32 v34, v50 offset:64
	v_and_b32_e32 v47, v47, v49
	v_and_b32_e32 v18, v21, v18
	;; [unrolled: 1-line block ×3, first 2 shown]
	v_mbcnt_lo_u32_b32 v20, v18, 0
	v_mbcnt_hi_u32_b32 v47, v19, v20
	v_cmp_eq_u32_e32 vcc, 0, v47
	v_cmp_ne_u64_e64 s[0:1], 0, v[18:19]
	v_add_u32_e32 v48, 64, v23
	s_and_b64 s[2:3], s[0:1], vcc
	; wave barrier
	s_and_saveexec_b64 s[0:1], s[2:3]
	s_cbranch_execz .LBB1647_94
; %bb.93:
	v_bcnt_u32_b32 v18, v18, 0
	v_bcnt_u32_b32 v18, v19, v18
	s_waitcnt lgkmcnt(0)
	v_add_u32_e32 v18, v34, v18
	ds_write_b32 v50, v18 offset:64
.LBB1647_94:
	s_or_b64 exec, exec, s[0:1]
	; wave barrier
	s_waitcnt lgkmcnt(0)
	s_barrier
	ds_read2_b32 v[20:21], v23 offset0:16 offset1:17
	ds_read2_b32 v[18:19], v48 offset0:2 offset1:3
	ds_read_b32 v49, v48 offset:16
	v_cmp_lt_u32_e64 s[8:9], 31, v22
	s_waitcnt lgkmcnt(1)
	v_add3_u32 v51, v21, v20, v18
	s_waitcnt lgkmcnt(0)
	v_add3_u32 v49, v51, v19, v49
	v_and_b32_e32 v51, 15, v22
	v_cmp_eq_u32_e32 vcc, 0, v51
	v_mov_b32_dpp v52, v49 row_shr:1 row_mask:0xf bank_mask:0xf
	v_cndmask_b32_e64 v52, v52, 0, vcc
	v_add_u32_e32 v49, v52, v49
	v_cmp_lt_u32_e64 s[0:1], 1, v51
	v_cmp_lt_u32_e64 s[2:3], 3, v51
	v_mov_b32_dpp v52, v49 row_shr:2 row_mask:0xf bank_mask:0xf
	v_cndmask_b32_e64 v52, 0, v52, s[0:1]
	v_add_u32_e32 v49, v49, v52
	v_cmp_lt_u32_e64 s[4:5], 7, v51
	s_nop 0
	v_mov_b32_dpp v52, v49 row_shr:4 row_mask:0xf bank_mask:0xf
	v_cndmask_b32_e64 v52, 0, v52, s[2:3]
	v_add_u32_e32 v49, v49, v52
	s_nop 1
	v_mov_b32_dpp v52, v49 row_shr:8 row_mask:0xf bank_mask:0xf
	v_cndmask_b32_e64 v51, 0, v52, s[4:5]
	v_add_u32_e32 v49, v49, v51
	v_bfe_i32 v52, v22, 4, 1
	s_nop 0
	v_mov_b32_dpp v51, v49 row_bcast:15 row_mask:0xf bank_mask:0xf
	v_and_b32_e32 v51, v52, v51
	v_add_u32_e32 v49, v49, v51
	v_lshrrev_b32_e32 v52, 6, v10
	s_nop 0
	v_mov_b32_dpp v51, v49 row_bcast:31 row_mask:0xf bank_mask:0xf
	v_cndmask_b32_e64 v51, 0, v51, s[8:9]
	v_add_u32_e32 v51, v49, v51
	v_and_b32_e32 v49, 63, v10
	v_cmp_eq_u32_e64 s[8:9], 63, v49
	s_and_saveexec_b64 s[14:15], s[8:9]
	s_cbranch_execz .LBB1647_96
; %bb.95:
	v_lshlrev_b32_e32 v49, 2, v52
	ds_write_b32 v49, v51
.LBB1647_96:
	s_or_b64 exec, exec, s[14:15]
	v_cmp_gt_u32_e64 s[8:9], 16, v10
	v_lshlrev_b32_e32 v49, 2, v10
	s_waitcnt lgkmcnt(0)
	s_barrier
	s_and_saveexec_b64 s[14:15], s[8:9]
	s_cbranch_execz .LBB1647_98
; %bb.97:
	ds_read_b32 v53, v49
	s_waitcnt lgkmcnt(0)
	s_nop 0
	v_mov_b32_dpp v54, v53 row_shr:1 row_mask:0xf bank_mask:0xf
	v_cndmask_b32_e64 v54, v54, 0, vcc
	v_add_u32_e32 v53, v54, v53
	s_nop 1
	v_mov_b32_dpp v54, v53 row_shr:2 row_mask:0xf bank_mask:0xf
	v_cndmask_b32_e64 v54, 0, v54, s[0:1]
	v_add_u32_e32 v53, v53, v54
	s_nop 1
	v_mov_b32_dpp v54, v53 row_shr:4 row_mask:0xf bank_mask:0xf
	v_cndmask_b32_e64 v54, 0, v54, s[2:3]
	;; [unrolled: 4-line block ×3, first 2 shown]
	v_add_u32_e32 v53, v53, v54
	ds_write_b32 v49, v53
.LBB1647_98:
	s_or_b64 exec, exec, s[14:15]
	v_cmp_lt_u32_e32 vcc, 63, v10
	v_mov_b32_e32 v53, 0
	s_waitcnt lgkmcnt(0)
	s_barrier
	s_and_saveexec_b64 s[0:1], vcc
	s_cbranch_execz .LBB1647_100
; %bb.99:
	v_lshl_add_u32 v52, v52, 2, -4
	ds_read_b32 v53, v52
.LBB1647_100:
	s_or_b64 exec, exec, s[0:1]
	v_add_u32_e32 v52, -1, v22
	v_and_b32_e32 v54, 64, v22
	v_cmp_lt_i32_e32 vcc, v52, v54
	v_cndmask_b32_e32 v52, v52, v22, vcc
	s_waitcnt lgkmcnt(0)
	v_add_u32_e32 v51, v53, v51
	v_lshlrev_b32_e32 v52, 2, v52
	ds_bpermute_b32 v51, v52, v51
	v_cmp_eq_u32_e32 vcc, 0, v22
	s_movk_i32 s0, 0x100
	s_waitcnt lgkmcnt(0)
	v_cndmask_b32_e32 v22, v51, v53, vcc
	v_cmp_ne_u32_e32 vcc, 0, v10
	v_cndmask_b32_e32 v22, 0, v22, vcc
	v_add_u32_e32 v20, v22, v20
	v_add_u32_e32 v21, v20, v21
	;; [unrolled: 1-line block ×4, first 2 shown]
	ds_write2_b32 v23, v22, v20 offset0:16 offset1:17
	ds_write2_b32 v48, v21, v18 offset0:2 offset1:3
	ds_write_b32 v48, v19 offset:16
	s_waitcnt lgkmcnt(0)
	s_barrier
	ds_read_b32 v51, v28 offset:64
	ds_read_b32 v48, v31 offset:64
	;; [unrolled: 1-line block ×8, first 2 shown]
	v_cmp_gt_u32_e32 vcc, s0, v10
                                        ; implicit-def: $vgpr28
                                        ; implicit-def: $vgpr31
	s_and_saveexec_b64 s[2:3], vcc
	s_cbranch_execz .LBB1647_104
; %bb.101:
	v_mul_u32_u24_e32 v18, 17, v10
	v_lshlrev_b32_e32 v19, 2, v18
	ds_read_b32 v28, v19 offset:64
	s_movk_i32 s0, 0xff
	v_cmp_ne_u32_e64 s[0:1], s0, v10
	v_mov_b32_e32 v18, 0x2000
	s_and_saveexec_b64 s[4:5], s[0:1]
	s_cbranch_execz .LBB1647_103
; %bb.102:
	ds_read_b32 v18, v19 offset:132
.LBB1647_103:
	s_or_b64 exec, exec, s[4:5]
	s_waitcnt lgkmcnt(0)
	v_sub_u32_e32 v31, v18, v28
.LBB1647_104:
	s_or_b64 exec, exec, s[2:3]
	s_waitcnt lgkmcnt(0)
	s_barrier
	s_and_saveexec_b64 s[2:3], vcc
	s_cbranch_execz .LBB1647_114
; %bb.105:
	v_lshl_or_b32 v18, s6, 8, v10
	v_mov_b32_e32 v19, 0
	v_lshlrev_b64 v[20:21], 2, v[18:19]
	v_mov_b32_e32 v52, s35
	v_add_co_u32_e64 v20, s[0:1], s34, v20
	v_addc_co_u32_e64 v21, s[0:1], v52, v21, s[0:1]
	v_or_b32_e32 v18, 2.0, v31
	s_mov_b64 s[4:5], 0
	s_brev_b32 s17, 1
	s_mov_b32 s18, s6
	v_mov_b32_e32 v53, 0
	global_store_dword v[20:21], v18, off
                                        ; implicit-def: $sgpr0_sgpr1
	s_branch .LBB1647_108
.LBB1647_106:                           ;   in Loop: Header=BB1647_108 Depth=1
	s_or_b64 exec, exec, s[14:15]
.LBB1647_107:                           ;   in Loop: Header=BB1647_108 Depth=1
	s_or_b64 exec, exec, s[8:9]
	v_and_b32_e32 v22, 0x3fffffff, v54
	v_add_u32_e32 v53, v22, v53
	v_cmp_eq_u32_e64 s[0:1], s17, v18
	s_and_b64 s[8:9], exec, s[0:1]
	s_or_b64 s[4:5], s[8:9], s[4:5]
	s_andn2_b64 exec, exec, s[4:5]
	s_cbranch_execz .LBB1647_113
.LBB1647_108:                           ; =>This Loop Header: Depth=1
                                        ;     Child Loop BB1647_111 Depth 2
	s_or_b64 s[0:1], s[0:1], exec
	s_cmp_eq_u32 s18, 0
	s_cbranch_scc1 .LBB1647_112
; %bb.109:                              ;   in Loop: Header=BB1647_108 Depth=1
	s_add_i32 s18, s18, -1
	v_lshl_or_b32 v18, s18, 8, v10
	v_lshlrev_b64 v[22:23], 2, v[18:19]
	v_add_co_u32_e64 v22, s[0:1], s34, v22
	v_addc_co_u32_e64 v23, s[0:1], v52, v23, s[0:1]
	global_load_dword v54, v[22:23], off glc
	s_waitcnt vmcnt(0)
	v_and_b32_e32 v18, -2.0, v54
	v_cmp_eq_u32_e64 s[0:1], 0, v18
	s_and_saveexec_b64 s[8:9], s[0:1]
	s_cbranch_execz .LBB1647_107
; %bb.110:                              ;   in Loop: Header=BB1647_108 Depth=1
	s_mov_b64 s[14:15], 0
.LBB1647_111:                           ;   Parent Loop BB1647_108 Depth=1
                                        ; =>  This Inner Loop Header: Depth=2
	global_load_dword v54, v[22:23], off glc
	s_waitcnt vmcnt(0)
	v_and_b32_e32 v18, -2.0, v54
	v_cmp_ne_u32_e64 s[0:1], 0, v18
	s_or_b64 s[14:15], s[0:1], s[14:15]
	s_andn2_b64 exec, exec, s[14:15]
	s_cbranch_execnz .LBB1647_111
	s_branch .LBB1647_106
.LBB1647_112:                           ;   in Loop: Header=BB1647_108 Depth=1
                                        ; implicit-def: $sgpr18
	s_and_b64 s[8:9], exec, s[0:1]
	s_or_b64 s[4:5], s[8:9], s[4:5]
	s_andn2_b64 exec, exec, s[4:5]
	s_cbranch_execnz .LBB1647_108
.LBB1647_113:
	s_or_b64 exec, exec, s[4:5]
	v_add_u32_e32 v18, v53, v31
	v_or_b32_e32 v18, 0x80000000, v18
	global_store_dword v[20:21], v18, off
	global_load_dword v18, v49, s[28:29]
	v_sub_u32_e32 v19, v53, v28
	s_waitcnt vmcnt(0)
	v_add_u32_e32 v18, v19, v18
	ds_write_b32 v49, v18
.LBB1647_114:
	s_or_b64 exec, exec, s[2:3]
	s_mov_b32 s8, -1
	v_add_u32_e32 v20, v51, v26
	s_movk_i32 s14, 0x400
	v_add_u32_e32 v21, 0x400, v11
	v_add3_u32 v22, v47, v50, v34
	v_add3_u32 v23, v45, v46, v43
	;; [unrolled: 1-line block ×7, first 2 shown]
	s_mov_b32 s15, 0
	s_mov_b32 s17, 1
	s_brev_b32 s9, -2
	v_bfrev_b32_e32 v41, 1
	v_mov_b32_e32 v42, s39
	v_mov_b32_e32 v19, 0
	v_mov_b32_e32 v43, v10
                                        ; implicit-def: $vgpr40
                                        ; implicit-def: $vgpr39
                                        ; implicit-def: $vgpr38
                                        ; implicit-def: $vgpr37
                                        ; implicit-def: $vgpr36
                                        ; implicit-def: $vgpr35
                                        ; implicit-def: $vgpr32
                                        ; implicit-def: $vgpr29
.LBB1647_115:                           ; =>This Inner Loop Header: Depth=1
	v_add_u32_e32 v18, s15, v20
	v_add_u32_e32 v44, s15, v27
	;; [unrolled: 1-line block ×8, first 2 shown]
	v_min_u32_e32 v18, 0x800, v18
	v_min_u32_e32 v44, 0x800, v44
	;; [unrolled: 1-line block ×8, first 2 shown]
	v_lshlrev_b32_e32 v18, 3, v18
	v_lshlrev_b32_e32 v44, 3, v44
	;; [unrolled: 1-line block ×8, first 2 shown]
	ds_write_b64 v18, v[0:1] offset:1024
	ds_write_b64 v44, v[2:3] offset:1024
	;; [unrolled: 1-line block ×8, first 2 shown]
	s_waitcnt lgkmcnt(0)
	s_barrier
	ds_read_b64 v[44:45], v11 offset:1024
	ds_read_b64 v[46:47], v21 offset:8192
	s_add_i32 s18, s17, -1
	s_cmp_eq_u32 s18, 0
	s_waitcnt lgkmcnt(1)
	v_cmp_ne_u64_e64 s[0:1], s[8:9], v[44:45]
	v_cndmask_b32_e64 v49, v41, v45, s[0:1]
	v_cmp_lt_i64_e64 s[2:3], -1, v[44:45]
	v_cndmask_b32_e64 v48, 0, v44, s[0:1]
	v_cndmask_b32_e64 v18, v41, -1, s[2:3]
	v_ashrrev_i32_e32 v50, 31, v45
	s_waitcnt lgkmcnt(0)
	v_cmp_ne_u64_e64 s[2:3], s[8:9], v[46:47]
	v_lshrrev_b64 v[48:49], s44, v[48:49]
	v_cndmask_b32_e64 v51, v41, v47, s[2:3]
	v_ashrrev_i32_e32 v53, 31, v47
	v_not_b32_e32 v54, v50
	v_cndmask_b32_e64 v50, 0, v46, s[2:3]
	v_and_b32_e32 v48, s16, v48
	s_cselect_b64 s[0:1], -1, 0
	s_cmp_eq_u32 s18, 1
	v_xor_b32_e32 v45, v18, v45
	v_not_b32_e32 v18, v53
	v_lshrrev_b64 v[50:51], s44, v[50:51]
	v_cndmask_b32_e64 v40, v40, v48, s[0:1]
	s_cselect_b64 s[0:1], -1, 0
	s_cmp_eq_u32 s18, 2
	v_cmp_lt_i64_e64 s[4:5], -1, v[46:47]
	v_xor_b32_e32 v46, v18, v46
	v_and_b32_e32 v49, s16, v50
	v_lshlrev_b32_e32 v18, 2, v48
	v_cndmask_b32_e64 v50, v39, v48, s[0:1]
	s_cselect_b64 s[0:1], -1, 0
	s_cmp_eq_u32 s18, 3
	v_cndmask_b32_e64 v52, v41, -1, s[4:5]
	v_lshlrev_b32_e32 v39, 2, v49
	v_cndmask_b32_e64 v51, v38, v48, s[0:1]
	ds_read_b32 v18, v18
	ds_read_b32 v38, v39
	s_cselect_b64 s[0:1], -1, 0
	s_cmp_eq_u32 s18, 4
	v_xor_b32_e32 v47, v52, v47
	v_cndmask_b32_e64 v52, v37, v48, s[0:1]
	s_cselect_b64 s[0:1], -1, 0
	s_cmp_eq_u32 s18, 5
	v_cndmask_b32_e64 v53, v36, v48, s[0:1]
	s_cselect_b64 s[0:1], -1, 0
	s_cmp_eq_u32 s18, 6
	;; [unrolled: 3-line block ×3, first 2 shown]
	v_cndmask_b32_e64 v32, v32, v48, s[0:1]
	s_waitcnt lgkmcnt(1)
	v_add_u32_e32 v18, v43, v18
	s_cselect_b64 s[0:1], -1, 0
	s_cmp_eq_u32 s17, 7
	v_cndmask_b32_e64 v29, v29, v48, s[0:1]
	v_lshlrev_b64 v[36:37], 3, v[18:19]
	s_cselect_b64 s[0:1], -1, 0
	v_cndmask_b32_e64 v29, v29, v49, s[0:1]
	v_add_co_u32_e64 v36, s[0:1], s38, v36
	s_waitcnt lgkmcnt(0)
	v_add3_u32 v18, v43, v38, s14
	s_cmp_eq_u32 s17, 6
	v_addc_co_u32_e64 v37, s[0:1], v42, v37, s[0:1]
	v_xor_b32_e32 v44, v54, v44
	v_lshlrev_b64 v[38:39], 3, v[18:19]
	s_cselect_b64 s[0:1], -1, 0
	v_cndmask_b32_e64 v32, v32, v49, s[0:1]
	global_store_dwordx2 v[36:37], v[44:45], off
	v_add_co_u32_e64 v36, s[0:1], s38, v38
	s_cmp_eq_u32 s17, 5
	v_addc_co_u32_e64 v37, s[0:1], v42, v39, s[0:1]
	s_cselect_b64 s[0:1], -1, 0
	s_cmp_eq_u32 s17, 4
	v_cndmask_b32_e64 v35, v35, v49, s[0:1]
	s_cselect_b64 s[0:1], -1, 0
	s_cmp_eq_u32 s17, 3
	global_store_dwordx2 v[36:37], v[46:47], off
	v_cndmask_b32_e64 v36, v53, v49, s[0:1]
	s_cselect_b64 s[0:1], -1, 0
	s_cmp_eq_u32 s17, 2
	v_cndmask_b32_e64 v37, v52, v49, s[0:1]
	s_cselect_b64 s[0:1], -1, 0
	s_cmp_eq_u32 s17, 1
	;; [unrolled: 3-line block ×3, first 2 shown]
	v_cndmask_b32_e64 v39, v50, v49, s[0:1]
	s_cselect_b64 s[0:1], -1, 0
	s_addk_i32 s15, 0xf800
	s_add_i32 s17, s17, 2
	v_add_u32_e32 v43, 0x800, v43
	s_cmpk_lg_i32 s15, 0xe000
	v_cndmask_b32_e64 v40, v40, v49, s[0:1]
	s_barrier
	s_cbranch_scc1 .LBB1647_115
; %bb.116:
	s_add_u32 s0, s40, s12
	s_addc_u32 s1, s41, s13
	v_mov_b32_e32 v0, s1
	v_add_co_u32_e64 v1, s[0:1], s0, v24
	v_addc_co_u32_e64 v0, s[0:1], 0, v0, s[0:1]
	v_add_co_u32_e64 v18, s[0:1], v1, v25
	v_addc_co_u32_e64 v19, s[0:1], 0, v0, s[0:1]
	global_load_dwordx2 v[0:1], v[18:19], off
	global_load_dwordx2 v[2:3], v[18:19], off offset:512
	global_load_dwordx2 v[4:5], v[18:19], off offset:1024
	;; [unrolled: 1-line block ×7, first 2 shown]
	s_mov_b32 s2, 0
	s_mov_b32 s3, 1
	s_movk_i32 s4, 0x400
	v_mov_b32_e32 v19, 0
	v_mov_b32_e32 v24, v10
	s_waitcnt vmcnt(0)
.LBB1647_117:                           ; =>This Inner Loop Header: Depth=1
	s_add_i32 s5, s3, -1
	v_add_u32_e32 v18, s2, v20
	s_cmp_eq_u32 s5, 1
	v_add_u32_e32 v25, s2, v27
	v_add_u32_e32 v41, s2, v30
	;; [unrolled: 1-line block ×7, first 2 shown]
	v_min_u32_e32 v18, 0x800, v18
	s_cselect_b64 s[0:1], -1, 0
	s_cmp_eq_u32 s5, 2
	v_min_u32_e32 v25, 0x800, v25
	v_min_u32_e32 v41, 0x800, v41
	;; [unrolled: 1-line block ×7, first 2 shown]
	v_lshlrev_b32_e32 v18, 3, v18
	v_cndmask_b32_e64 v47, v40, v39, s[0:1]
	s_cselect_b64 s[0:1], -1, 0
	s_cmp_eq_u32 s5, 3
	v_lshlrev_b32_e32 v25, 3, v25
	v_lshlrev_b32_e32 v41, 3, v41
	;; [unrolled: 1-line block ×7, first 2 shown]
	ds_write_b64 v18, v[0:1] offset:1024
	ds_write_b64 v25, v[2:3] offset:1024
	;; [unrolled: 1-line block ×8, first 2 shown]
	v_cndmask_b32_e64 v18, v47, v38, s[0:1]
	s_cselect_b64 s[0:1], -1, 0
	s_cmp_eq_u32 s5, 4
	v_cndmask_b32_e64 v18, v18, v37, s[0:1]
	s_cselect_b64 s[0:1], -1, 0
	s_cmp_eq_u32 s5, 5
	;; [unrolled: 3-line block ×10, first 2 shown]
	v_lshlrev_b32_e32 v18, 2, v18
	v_cndmask_b32_e64 v25, v25, v35, s[0:1]
	s_cselect_b64 s[0:1], -1, 0
	s_cmp_eq_u32 s3, 7
	s_waitcnt lgkmcnt(0)
	s_barrier
	ds_read_b64 v[42:43], v11 offset:1024
	ds_read_b32 v18, v18
	ds_read_b64 v[44:45], v21 offset:8192
	v_cndmask_b32_e64 v25, v25, v32, s[0:1]
	s_cselect_b64 s[0:1], -1, 0
	v_cndmask_b32_e64 v25, v25, v29, s[0:1]
	v_lshlrev_b32_e32 v25, 2, v25
	ds_read_b32 v25, v25
	s_waitcnt lgkmcnt(2)
	v_add_u32_e32 v18, v24, v18
	v_lshlrev_b64 v[46:47], 3, v[18:19]
	v_mov_b32_e32 v48, s43
	v_add_co_u32_e64 v46, s[0:1], s42, v46
	v_addc_co_u32_e64 v47, s[0:1], v48, v47, s[0:1]
	s_waitcnt lgkmcnt(0)
	v_add3_u32 v18, v24, v25, s4
	global_store_dwordx2 v[46:47], v[42:43], off
	v_lshlrev_b64 v[42:43], 3, v[18:19]
	s_addk_i32 s2, 0xf800
	s_add_i32 s3, s3, 2
	v_add_co_u32_e64 v42, s[0:1], s42, v42
	s_cmpk_lg_i32 s2, 0xe000
	v_add_u32_e32 v24, 0x800, v24
	v_addc_co_u32_e64 v43, s[0:1], v48, v43, s[0:1]
	global_store_dwordx2 v[42:43], v[44:45], off
	s_barrier
	s_cbranch_scc1 .LBB1647_117
; %bb.118:
	s_add_i32 s7, s7, -1
	s_cmp_eq_u32 s7, s6
	s_cselect_b64 s[0:1], -1, 0
	s_and_b64 s[2:3], vcc, s[0:1]
                                        ; implicit-def: $vgpr2
	s_and_saveexec_b64 s[0:1], s[2:3]
; %bb.119:
	v_add_u32_e32 v2, v28, v31
	s_or_b64 s[10:11], s[10:11], exec
; %bb.120:
	s_or_b64 exec, exec, s[0:1]
.LBB1647_121:
	s_and_saveexec_b64 s[0:1], s[10:11]
	s_cbranch_execnz .LBB1647_123
; %bb.122:
	s_endpgm
.LBB1647_123:
	v_lshlrev_b32_e32 v3, 2, v10
	ds_read_b32 v3, v3
	v_mov_b32_e32 v11, 0
	v_lshlrev_b64 v[0:1], 2, v[10:11]
	v_mov_b32_e32 v4, s31
	v_add_co_u32_e32 v0, vcc, s30, v0
	v_addc_co_u32_e32 v1, vcc, v4, v1, vcc
	s_waitcnt lgkmcnt(0)
	v_add_u32_e32 v2, v3, v2
	global_store_dword v[0:1], v2, off
	s_endpgm
.LBB1647_124:
	global_load_dwordx2 v[12:13], v[28:29], off
	s_or_b64 exec, exec, s[18:19]
                                        ; implicit-def: $vgpr14_vgpr15
	s_and_saveexec_b64 s[18:19], s[0:1]
	s_cbranch_execz .LBB1647_62
.LBB1647_125:
	global_load_dwordx2 v[14:15], v[28:29], off offset:512
	s_or_b64 exec, exec, s[18:19]
                                        ; implicit-def: $vgpr16_vgpr17
	s_and_saveexec_b64 s[0:1], s[2:3]
	s_cbranch_execz .LBB1647_63
.LBB1647_126:
	global_load_dwordx2 v[16:17], v[28:29], off offset:1024
	s_or_b64 exec, exec, s[0:1]
                                        ; implicit-def: $vgpr18_vgpr19
	s_and_saveexec_b64 s[0:1], s[24:25]
	s_cbranch_execz .LBB1647_64
.LBB1647_127:
	global_load_dwordx2 v[18:19], v[28:29], off offset:1536
	s_or_b64 exec, exec, s[0:1]
                                        ; implicit-def: $vgpr20_vgpr21
	s_and_saveexec_b64 s[0:1], s[8:9]
	s_cbranch_execz .LBB1647_65
.LBB1647_128:
	global_load_dwordx2 v[20:21], v[28:29], off offset:2048
	s_or_b64 exec, exec, s[0:1]
                                        ; implicit-def: $vgpr22_vgpr23
	s_and_saveexec_b64 s[0:1], s[10:11]
	s_cbranch_execz .LBB1647_66
.LBB1647_129:
	global_load_dwordx2 v[22:23], v[28:29], off offset:2560
	s_or_b64 exec, exec, s[0:1]
                                        ; implicit-def: $vgpr24_vgpr25
	s_and_saveexec_b64 s[0:1], s[12:13]
	s_cbranch_execz .LBB1647_67
.LBB1647_130:
	global_load_dwordx2 v[24:25], v[28:29], off offset:3072
	s_or_b64 exec, exec, s[0:1]
                                        ; implicit-def: $vgpr26_vgpr27
	s_and_saveexec_b64 s[0:1], s[14:15]
	s_cbranch_execnz .LBB1647_68
	s_branch .LBB1647_69
	.section	.rodata,"a",@progbits
	.p2align	6, 0x0
	.amdhsa_kernel _ZN7rocprim17ROCPRIM_400000_NS6detail17trampoline_kernelINS0_14default_configENS1_35radix_sort_onesweep_config_selectorIdlEEZZNS1_29radix_sort_onesweep_iterationIS3_Lb0EPdS7_N6thrust23THRUST_200600_302600_NS10device_ptrIlEESB_jNS0_19identity_decomposerENS1_16block_id_wrapperIjLb0EEEEE10hipError_tT1_PNSt15iterator_traitsISG_E10value_typeET2_T3_PNSH_ISM_E10value_typeET4_T5_PSR_SS_PNS1_23onesweep_lookback_stateEbbT6_jjT7_P12ihipStream_tbENKUlT_T0_SG_SL_E_clIS7_S7_SB_SB_EEDaSZ_S10_SG_SL_EUlSZ_E_NS1_11comp_targetILNS1_3genE4ELNS1_11target_archE910ELNS1_3gpuE8ELNS1_3repE0EEENS1_47radix_sort_onesweep_sort_config_static_selectorELNS0_4arch9wavefront6targetE1EEEvSG_
		.amdhsa_group_segment_fixed_size 20552
		.amdhsa_private_segment_fixed_size 0
		.amdhsa_kernarg_size 344
		.amdhsa_user_sgpr_count 6
		.amdhsa_user_sgpr_private_segment_buffer 1
		.amdhsa_user_sgpr_dispatch_ptr 0
		.amdhsa_user_sgpr_queue_ptr 0
		.amdhsa_user_sgpr_kernarg_segment_ptr 1
		.amdhsa_user_sgpr_dispatch_id 0
		.amdhsa_user_sgpr_flat_scratch_init 0
		.amdhsa_user_sgpr_kernarg_preload_length 0
		.amdhsa_user_sgpr_kernarg_preload_offset 0
		.amdhsa_user_sgpr_private_segment_size 0
		.amdhsa_uses_dynamic_stack 0
		.amdhsa_system_sgpr_private_segment_wavefront_offset 0
		.amdhsa_system_sgpr_workgroup_id_x 1
		.amdhsa_system_sgpr_workgroup_id_y 0
		.amdhsa_system_sgpr_workgroup_id_z 0
		.amdhsa_system_sgpr_workgroup_info 0
		.amdhsa_system_vgpr_workitem_id 2
		.amdhsa_next_free_vgpr 57
		.amdhsa_next_free_sgpr 53
		.amdhsa_accum_offset 60
		.amdhsa_reserve_vcc 1
		.amdhsa_reserve_flat_scratch 0
		.amdhsa_float_round_mode_32 0
		.amdhsa_float_round_mode_16_64 0
		.amdhsa_float_denorm_mode_32 3
		.amdhsa_float_denorm_mode_16_64 3
		.amdhsa_dx10_clamp 1
		.amdhsa_ieee_mode 1
		.amdhsa_fp16_overflow 0
		.amdhsa_tg_split 0
		.amdhsa_exception_fp_ieee_invalid_op 0
		.amdhsa_exception_fp_denorm_src 0
		.amdhsa_exception_fp_ieee_div_zero 0
		.amdhsa_exception_fp_ieee_overflow 0
		.amdhsa_exception_fp_ieee_underflow 0
		.amdhsa_exception_fp_ieee_inexact 0
		.amdhsa_exception_int_div_zero 0
	.end_amdhsa_kernel
	.section	.text._ZN7rocprim17ROCPRIM_400000_NS6detail17trampoline_kernelINS0_14default_configENS1_35radix_sort_onesweep_config_selectorIdlEEZZNS1_29radix_sort_onesweep_iterationIS3_Lb0EPdS7_N6thrust23THRUST_200600_302600_NS10device_ptrIlEESB_jNS0_19identity_decomposerENS1_16block_id_wrapperIjLb0EEEEE10hipError_tT1_PNSt15iterator_traitsISG_E10value_typeET2_T3_PNSH_ISM_E10value_typeET4_T5_PSR_SS_PNS1_23onesweep_lookback_stateEbbT6_jjT7_P12ihipStream_tbENKUlT_T0_SG_SL_E_clIS7_S7_SB_SB_EEDaSZ_S10_SG_SL_EUlSZ_E_NS1_11comp_targetILNS1_3genE4ELNS1_11target_archE910ELNS1_3gpuE8ELNS1_3repE0EEENS1_47radix_sort_onesweep_sort_config_static_selectorELNS0_4arch9wavefront6targetE1EEEvSG_,"axG",@progbits,_ZN7rocprim17ROCPRIM_400000_NS6detail17trampoline_kernelINS0_14default_configENS1_35radix_sort_onesweep_config_selectorIdlEEZZNS1_29radix_sort_onesweep_iterationIS3_Lb0EPdS7_N6thrust23THRUST_200600_302600_NS10device_ptrIlEESB_jNS0_19identity_decomposerENS1_16block_id_wrapperIjLb0EEEEE10hipError_tT1_PNSt15iterator_traitsISG_E10value_typeET2_T3_PNSH_ISM_E10value_typeET4_T5_PSR_SS_PNS1_23onesweep_lookback_stateEbbT6_jjT7_P12ihipStream_tbENKUlT_T0_SG_SL_E_clIS7_S7_SB_SB_EEDaSZ_S10_SG_SL_EUlSZ_E_NS1_11comp_targetILNS1_3genE4ELNS1_11target_archE910ELNS1_3gpuE8ELNS1_3repE0EEENS1_47radix_sort_onesweep_sort_config_static_selectorELNS0_4arch9wavefront6targetE1EEEvSG_,comdat
.Lfunc_end1647:
	.size	_ZN7rocprim17ROCPRIM_400000_NS6detail17trampoline_kernelINS0_14default_configENS1_35radix_sort_onesweep_config_selectorIdlEEZZNS1_29radix_sort_onesweep_iterationIS3_Lb0EPdS7_N6thrust23THRUST_200600_302600_NS10device_ptrIlEESB_jNS0_19identity_decomposerENS1_16block_id_wrapperIjLb0EEEEE10hipError_tT1_PNSt15iterator_traitsISG_E10value_typeET2_T3_PNSH_ISM_E10value_typeET4_T5_PSR_SS_PNS1_23onesweep_lookback_stateEbbT6_jjT7_P12ihipStream_tbENKUlT_T0_SG_SL_E_clIS7_S7_SB_SB_EEDaSZ_S10_SG_SL_EUlSZ_E_NS1_11comp_targetILNS1_3genE4ELNS1_11target_archE910ELNS1_3gpuE8ELNS1_3repE0EEENS1_47radix_sort_onesweep_sort_config_static_selectorELNS0_4arch9wavefront6targetE1EEEvSG_, .Lfunc_end1647-_ZN7rocprim17ROCPRIM_400000_NS6detail17trampoline_kernelINS0_14default_configENS1_35radix_sort_onesweep_config_selectorIdlEEZZNS1_29radix_sort_onesweep_iterationIS3_Lb0EPdS7_N6thrust23THRUST_200600_302600_NS10device_ptrIlEESB_jNS0_19identity_decomposerENS1_16block_id_wrapperIjLb0EEEEE10hipError_tT1_PNSt15iterator_traitsISG_E10value_typeET2_T3_PNSH_ISM_E10value_typeET4_T5_PSR_SS_PNS1_23onesweep_lookback_stateEbbT6_jjT7_P12ihipStream_tbENKUlT_T0_SG_SL_E_clIS7_S7_SB_SB_EEDaSZ_S10_SG_SL_EUlSZ_E_NS1_11comp_targetILNS1_3genE4ELNS1_11target_archE910ELNS1_3gpuE8ELNS1_3repE0EEENS1_47radix_sort_onesweep_sort_config_static_selectorELNS0_4arch9wavefront6targetE1EEEvSG_
                                        ; -- End function
	.section	.AMDGPU.csdata,"",@progbits
; Kernel info:
; codeLenInByte = 13720
; NumSgprs: 57
; NumVgprs: 57
; NumAgprs: 0
; TotalNumVgprs: 57
; ScratchSize: 0
; MemoryBound: 0
; FloatMode: 240
; IeeeMode: 1
; LDSByteSize: 20552 bytes/workgroup (compile time only)
; SGPRBlocks: 7
; VGPRBlocks: 7
; NumSGPRsForWavesPerEU: 57
; NumVGPRsForWavesPerEU: 57
; AccumOffset: 60
; Occupancy: 8
; WaveLimiterHint : 1
; COMPUTE_PGM_RSRC2:SCRATCH_EN: 0
; COMPUTE_PGM_RSRC2:USER_SGPR: 6
; COMPUTE_PGM_RSRC2:TRAP_HANDLER: 0
; COMPUTE_PGM_RSRC2:TGID_X_EN: 1
; COMPUTE_PGM_RSRC2:TGID_Y_EN: 0
; COMPUTE_PGM_RSRC2:TGID_Z_EN: 0
; COMPUTE_PGM_RSRC2:TIDIG_COMP_CNT: 2
; COMPUTE_PGM_RSRC3_GFX90A:ACCUM_OFFSET: 14
; COMPUTE_PGM_RSRC3_GFX90A:TG_SPLIT: 0
	.section	.text._ZN7rocprim17ROCPRIM_400000_NS6detail17trampoline_kernelINS0_14default_configENS1_35radix_sort_onesweep_config_selectorIdlEEZZNS1_29radix_sort_onesweep_iterationIS3_Lb0EPdS7_N6thrust23THRUST_200600_302600_NS10device_ptrIlEESB_jNS0_19identity_decomposerENS1_16block_id_wrapperIjLb0EEEEE10hipError_tT1_PNSt15iterator_traitsISG_E10value_typeET2_T3_PNSH_ISM_E10value_typeET4_T5_PSR_SS_PNS1_23onesweep_lookback_stateEbbT6_jjT7_P12ihipStream_tbENKUlT_T0_SG_SL_E_clIS7_S7_SB_SB_EEDaSZ_S10_SG_SL_EUlSZ_E_NS1_11comp_targetILNS1_3genE3ELNS1_11target_archE908ELNS1_3gpuE7ELNS1_3repE0EEENS1_47radix_sort_onesweep_sort_config_static_selectorELNS0_4arch9wavefront6targetE1EEEvSG_,"axG",@progbits,_ZN7rocprim17ROCPRIM_400000_NS6detail17trampoline_kernelINS0_14default_configENS1_35radix_sort_onesweep_config_selectorIdlEEZZNS1_29radix_sort_onesweep_iterationIS3_Lb0EPdS7_N6thrust23THRUST_200600_302600_NS10device_ptrIlEESB_jNS0_19identity_decomposerENS1_16block_id_wrapperIjLb0EEEEE10hipError_tT1_PNSt15iterator_traitsISG_E10value_typeET2_T3_PNSH_ISM_E10value_typeET4_T5_PSR_SS_PNS1_23onesweep_lookback_stateEbbT6_jjT7_P12ihipStream_tbENKUlT_T0_SG_SL_E_clIS7_S7_SB_SB_EEDaSZ_S10_SG_SL_EUlSZ_E_NS1_11comp_targetILNS1_3genE3ELNS1_11target_archE908ELNS1_3gpuE7ELNS1_3repE0EEENS1_47radix_sort_onesweep_sort_config_static_selectorELNS0_4arch9wavefront6targetE1EEEvSG_,comdat
	.protected	_ZN7rocprim17ROCPRIM_400000_NS6detail17trampoline_kernelINS0_14default_configENS1_35radix_sort_onesweep_config_selectorIdlEEZZNS1_29radix_sort_onesweep_iterationIS3_Lb0EPdS7_N6thrust23THRUST_200600_302600_NS10device_ptrIlEESB_jNS0_19identity_decomposerENS1_16block_id_wrapperIjLb0EEEEE10hipError_tT1_PNSt15iterator_traitsISG_E10value_typeET2_T3_PNSH_ISM_E10value_typeET4_T5_PSR_SS_PNS1_23onesweep_lookback_stateEbbT6_jjT7_P12ihipStream_tbENKUlT_T0_SG_SL_E_clIS7_S7_SB_SB_EEDaSZ_S10_SG_SL_EUlSZ_E_NS1_11comp_targetILNS1_3genE3ELNS1_11target_archE908ELNS1_3gpuE7ELNS1_3repE0EEENS1_47radix_sort_onesweep_sort_config_static_selectorELNS0_4arch9wavefront6targetE1EEEvSG_ ; -- Begin function _ZN7rocprim17ROCPRIM_400000_NS6detail17trampoline_kernelINS0_14default_configENS1_35radix_sort_onesweep_config_selectorIdlEEZZNS1_29radix_sort_onesweep_iterationIS3_Lb0EPdS7_N6thrust23THRUST_200600_302600_NS10device_ptrIlEESB_jNS0_19identity_decomposerENS1_16block_id_wrapperIjLb0EEEEE10hipError_tT1_PNSt15iterator_traitsISG_E10value_typeET2_T3_PNSH_ISM_E10value_typeET4_T5_PSR_SS_PNS1_23onesweep_lookback_stateEbbT6_jjT7_P12ihipStream_tbENKUlT_T0_SG_SL_E_clIS7_S7_SB_SB_EEDaSZ_S10_SG_SL_EUlSZ_E_NS1_11comp_targetILNS1_3genE3ELNS1_11target_archE908ELNS1_3gpuE7ELNS1_3repE0EEENS1_47radix_sort_onesweep_sort_config_static_selectorELNS0_4arch9wavefront6targetE1EEEvSG_
	.globl	_ZN7rocprim17ROCPRIM_400000_NS6detail17trampoline_kernelINS0_14default_configENS1_35radix_sort_onesweep_config_selectorIdlEEZZNS1_29radix_sort_onesweep_iterationIS3_Lb0EPdS7_N6thrust23THRUST_200600_302600_NS10device_ptrIlEESB_jNS0_19identity_decomposerENS1_16block_id_wrapperIjLb0EEEEE10hipError_tT1_PNSt15iterator_traitsISG_E10value_typeET2_T3_PNSH_ISM_E10value_typeET4_T5_PSR_SS_PNS1_23onesweep_lookback_stateEbbT6_jjT7_P12ihipStream_tbENKUlT_T0_SG_SL_E_clIS7_S7_SB_SB_EEDaSZ_S10_SG_SL_EUlSZ_E_NS1_11comp_targetILNS1_3genE3ELNS1_11target_archE908ELNS1_3gpuE7ELNS1_3repE0EEENS1_47radix_sort_onesweep_sort_config_static_selectorELNS0_4arch9wavefront6targetE1EEEvSG_
	.p2align	8
	.type	_ZN7rocprim17ROCPRIM_400000_NS6detail17trampoline_kernelINS0_14default_configENS1_35radix_sort_onesweep_config_selectorIdlEEZZNS1_29radix_sort_onesweep_iterationIS3_Lb0EPdS7_N6thrust23THRUST_200600_302600_NS10device_ptrIlEESB_jNS0_19identity_decomposerENS1_16block_id_wrapperIjLb0EEEEE10hipError_tT1_PNSt15iterator_traitsISG_E10value_typeET2_T3_PNSH_ISM_E10value_typeET4_T5_PSR_SS_PNS1_23onesweep_lookback_stateEbbT6_jjT7_P12ihipStream_tbENKUlT_T0_SG_SL_E_clIS7_S7_SB_SB_EEDaSZ_S10_SG_SL_EUlSZ_E_NS1_11comp_targetILNS1_3genE3ELNS1_11target_archE908ELNS1_3gpuE7ELNS1_3repE0EEENS1_47radix_sort_onesweep_sort_config_static_selectorELNS0_4arch9wavefront6targetE1EEEvSG_,@function
_ZN7rocprim17ROCPRIM_400000_NS6detail17trampoline_kernelINS0_14default_configENS1_35radix_sort_onesweep_config_selectorIdlEEZZNS1_29radix_sort_onesweep_iterationIS3_Lb0EPdS7_N6thrust23THRUST_200600_302600_NS10device_ptrIlEESB_jNS0_19identity_decomposerENS1_16block_id_wrapperIjLb0EEEEE10hipError_tT1_PNSt15iterator_traitsISG_E10value_typeET2_T3_PNSH_ISM_E10value_typeET4_T5_PSR_SS_PNS1_23onesweep_lookback_stateEbbT6_jjT7_P12ihipStream_tbENKUlT_T0_SG_SL_E_clIS7_S7_SB_SB_EEDaSZ_S10_SG_SL_EUlSZ_E_NS1_11comp_targetILNS1_3genE3ELNS1_11target_archE908ELNS1_3gpuE7ELNS1_3repE0EEENS1_47radix_sort_onesweep_sort_config_static_selectorELNS0_4arch9wavefront6targetE1EEEvSG_: ; @_ZN7rocprim17ROCPRIM_400000_NS6detail17trampoline_kernelINS0_14default_configENS1_35radix_sort_onesweep_config_selectorIdlEEZZNS1_29radix_sort_onesweep_iterationIS3_Lb0EPdS7_N6thrust23THRUST_200600_302600_NS10device_ptrIlEESB_jNS0_19identity_decomposerENS1_16block_id_wrapperIjLb0EEEEE10hipError_tT1_PNSt15iterator_traitsISG_E10value_typeET2_T3_PNSH_ISM_E10value_typeET4_T5_PSR_SS_PNS1_23onesweep_lookback_stateEbbT6_jjT7_P12ihipStream_tbENKUlT_T0_SG_SL_E_clIS7_S7_SB_SB_EEDaSZ_S10_SG_SL_EUlSZ_E_NS1_11comp_targetILNS1_3genE3ELNS1_11target_archE908ELNS1_3gpuE7ELNS1_3repE0EEENS1_47radix_sort_onesweep_sort_config_static_selectorELNS0_4arch9wavefront6targetE1EEEvSG_
; %bb.0:
	.section	.rodata,"a",@progbits
	.p2align	6, 0x0
	.amdhsa_kernel _ZN7rocprim17ROCPRIM_400000_NS6detail17trampoline_kernelINS0_14default_configENS1_35radix_sort_onesweep_config_selectorIdlEEZZNS1_29radix_sort_onesweep_iterationIS3_Lb0EPdS7_N6thrust23THRUST_200600_302600_NS10device_ptrIlEESB_jNS0_19identity_decomposerENS1_16block_id_wrapperIjLb0EEEEE10hipError_tT1_PNSt15iterator_traitsISG_E10value_typeET2_T3_PNSH_ISM_E10value_typeET4_T5_PSR_SS_PNS1_23onesweep_lookback_stateEbbT6_jjT7_P12ihipStream_tbENKUlT_T0_SG_SL_E_clIS7_S7_SB_SB_EEDaSZ_S10_SG_SL_EUlSZ_E_NS1_11comp_targetILNS1_3genE3ELNS1_11target_archE908ELNS1_3gpuE7ELNS1_3repE0EEENS1_47radix_sort_onesweep_sort_config_static_selectorELNS0_4arch9wavefront6targetE1EEEvSG_
		.amdhsa_group_segment_fixed_size 0
		.amdhsa_private_segment_fixed_size 0
		.amdhsa_kernarg_size 88
		.amdhsa_user_sgpr_count 6
		.amdhsa_user_sgpr_private_segment_buffer 1
		.amdhsa_user_sgpr_dispatch_ptr 0
		.amdhsa_user_sgpr_queue_ptr 0
		.amdhsa_user_sgpr_kernarg_segment_ptr 1
		.amdhsa_user_sgpr_dispatch_id 0
		.amdhsa_user_sgpr_flat_scratch_init 0
		.amdhsa_user_sgpr_kernarg_preload_length 0
		.amdhsa_user_sgpr_kernarg_preload_offset 0
		.amdhsa_user_sgpr_private_segment_size 0
		.amdhsa_uses_dynamic_stack 0
		.amdhsa_system_sgpr_private_segment_wavefront_offset 0
		.amdhsa_system_sgpr_workgroup_id_x 1
		.amdhsa_system_sgpr_workgroup_id_y 0
		.amdhsa_system_sgpr_workgroup_id_z 0
		.amdhsa_system_sgpr_workgroup_info 0
		.amdhsa_system_vgpr_workitem_id 0
		.amdhsa_next_free_vgpr 1
		.amdhsa_next_free_sgpr 0
		.amdhsa_accum_offset 4
		.amdhsa_reserve_vcc 0
		.amdhsa_reserve_flat_scratch 0
		.amdhsa_float_round_mode_32 0
		.amdhsa_float_round_mode_16_64 0
		.amdhsa_float_denorm_mode_32 3
		.amdhsa_float_denorm_mode_16_64 3
		.amdhsa_dx10_clamp 1
		.amdhsa_ieee_mode 1
		.amdhsa_fp16_overflow 0
		.amdhsa_tg_split 0
		.amdhsa_exception_fp_ieee_invalid_op 0
		.amdhsa_exception_fp_denorm_src 0
		.amdhsa_exception_fp_ieee_div_zero 0
		.amdhsa_exception_fp_ieee_overflow 0
		.amdhsa_exception_fp_ieee_underflow 0
		.amdhsa_exception_fp_ieee_inexact 0
		.amdhsa_exception_int_div_zero 0
	.end_amdhsa_kernel
	.section	.text._ZN7rocprim17ROCPRIM_400000_NS6detail17trampoline_kernelINS0_14default_configENS1_35radix_sort_onesweep_config_selectorIdlEEZZNS1_29radix_sort_onesweep_iterationIS3_Lb0EPdS7_N6thrust23THRUST_200600_302600_NS10device_ptrIlEESB_jNS0_19identity_decomposerENS1_16block_id_wrapperIjLb0EEEEE10hipError_tT1_PNSt15iterator_traitsISG_E10value_typeET2_T3_PNSH_ISM_E10value_typeET4_T5_PSR_SS_PNS1_23onesweep_lookback_stateEbbT6_jjT7_P12ihipStream_tbENKUlT_T0_SG_SL_E_clIS7_S7_SB_SB_EEDaSZ_S10_SG_SL_EUlSZ_E_NS1_11comp_targetILNS1_3genE3ELNS1_11target_archE908ELNS1_3gpuE7ELNS1_3repE0EEENS1_47radix_sort_onesweep_sort_config_static_selectorELNS0_4arch9wavefront6targetE1EEEvSG_,"axG",@progbits,_ZN7rocprim17ROCPRIM_400000_NS6detail17trampoline_kernelINS0_14default_configENS1_35radix_sort_onesweep_config_selectorIdlEEZZNS1_29radix_sort_onesweep_iterationIS3_Lb0EPdS7_N6thrust23THRUST_200600_302600_NS10device_ptrIlEESB_jNS0_19identity_decomposerENS1_16block_id_wrapperIjLb0EEEEE10hipError_tT1_PNSt15iterator_traitsISG_E10value_typeET2_T3_PNSH_ISM_E10value_typeET4_T5_PSR_SS_PNS1_23onesweep_lookback_stateEbbT6_jjT7_P12ihipStream_tbENKUlT_T0_SG_SL_E_clIS7_S7_SB_SB_EEDaSZ_S10_SG_SL_EUlSZ_E_NS1_11comp_targetILNS1_3genE3ELNS1_11target_archE908ELNS1_3gpuE7ELNS1_3repE0EEENS1_47radix_sort_onesweep_sort_config_static_selectorELNS0_4arch9wavefront6targetE1EEEvSG_,comdat
.Lfunc_end1648:
	.size	_ZN7rocprim17ROCPRIM_400000_NS6detail17trampoline_kernelINS0_14default_configENS1_35radix_sort_onesweep_config_selectorIdlEEZZNS1_29radix_sort_onesweep_iterationIS3_Lb0EPdS7_N6thrust23THRUST_200600_302600_NS10device_ptrIlEESB_jNS0_19identity_decomposerENS1_16block_id_wrapperIjLb0EEEEE10hipError_tT1_PNSt15iterator_traitsISG_E10value_typeET2_T3_PNSH_ISM_E10value_typeET4_T5_PSR_SS_PNS1_23onesweep_lookback_stateEbbT6_jjT7_P12ihipStream_tbENKUlT_T0_SG_SL_E_clIS7_S7_SB_SB_EEDaSZ_S10_SG_SL_EUlSZ_E_NS1_11comp_targetILNS1_3genE3ELNS1_11target_archE908ELNS1_3gpuE7ELNS1_3repE0EEENS1_47radix_sort_onesweep_sort_config_static_selectorELNS0_4arch9wavefront6targetE1EEEvSG_, .Lfunc_end1648-_ZN7rocprim17ROCPRIM_400000_NS6detail17trampoline_kernelINS0_14default_configENS1_35radix_sort_onesweep_config_selectorIdlEEZZNS1_29radix_sort_onesweep_iterationIS3_Lb0EPdS7_N6thrust23THRUST_200600_302600_NS10device_ptrIlEESB_jNS0_19identity_decomposerENS1_16block_id_wrapperIjLb0EEEEE10hipError_tT1_PNSt15iterator_traitsISG_E10value_typeET2_T3_PNSH_ISM_E10value_typeET4_T5_PSR_SS_PNS1_23onesweep_lookback_stateEbbT6_jjT7_P12ihipStream_tbENKUlT_T0_SG_SL_E_clIS7_S7_SB_SB_EEDaSZ_S10_SG_SL_EUlSZ_E_NS1_11comp_targetILNS1_3genE3ELNS1_11target_archE908ELNS1_3gpuE7ELNS1_3repE0EEENS1_47radix_sort_onesweep_sort_config_static_selectorELNS0_4arch9wavefront6targetE1EEEvSG_
                                        ; -- End function
	.section	.AMDGPU.csdata,"",@progbits
; Kernel info:
; codeLenInByte = 0
; NumSgprs: 4
; NumVgprs: 0
; NumAgprs: 0
; TotalNumVgprs: 0
; ScratchSize: 0
; MemoryBound: 0
; FloatMode: 240
; IeeeMode: 1
; LDSByteSize: 0 bytes/workgroup (compile time only)
; SGPRBlocks: 0
; VGPRBlocks: 0
; NumSGPRsForWavesPerEU: 4
; NumVGPRsForWavesPerEU: 1
; AccumOffset: 4
; Occupancy: 8
; WaveLimiterHint : 0
; COMPUTE_PGM_RSRC2:SCRATCH_EN: 0
; COMPUTE_PGM_RSRC2:USER_SGPR: 6
; COMPUTE_PGM_RSRC2:TRAP_HANDLER: 0
; COMPUTE_PGM_RSRC2:TGID_X_EN: 1
; COMPUTE_PGM_RSRC2:TGID_Y_EN: 0
; COMPUTE_PGM_RSRC2:TGID_Z_EN: 0
; COMPUTE_PGM_RSRC2:TIDIG_COMP_CNT: 0
; COMPUTE_PGM_RSRC3_GFX90A:ACCUM_OFFSET: 0
; COMPUTE_PGM_RSRC3_GFX90A:TG_SPLIT: 0
	.section	.text._ZN7rocprim17ROCPRIM_400000_NS6detail17trampoline_kernelINS0_14default_configENS1_35radix_sort_onesweep_config_selectorIdlEEZZNS1_29radix_sort_onesweep_iterationIS3_Lb0EPdS7_N6thrust23THRUST_200600_302600_NS10device_ptrIlEESB_jNS0_19identity_decomposerENS1_16block_id_wrapperIjLb0EEEEE10hipError_tT1_PNSt15iterator_traitsISG_E10value_typeET2_T3_PNSH_ISM_E10value_typeET4_T5_PSR_SS_PNS1_23onesweep_lookback_stateEbbT6_jjT7_P12ihipStream_tbENKUlT_T0_SG_SL_E_clIS7_S7_SB_SB_EEDaSZ_S10_SG_SL_EUlSZ_E_NS1_11comp_targetILNS1_3genE10ELNS1_11target_archE1201ELNS1_3gpuE5ELNS1_3repE0EEENS1_47radix_sort_onesweep_sort_config_static_selectorELNS0_4arch9wavefront6targetE1EEEvSG_,"axG",@progbits,_ZN7rocprim17ROCPRIM_400000_NS6detail17trampoline_kernelINS0_14default_configENS1_35radix_sort_onesweep_config_selectorIdlEEZZNS1_29radix_sort_onesweep_iterationIS3_Lb0EPdS7_N6thrust23THRUST_200600_302600_NS10device_ptrIlEESB_jNS0_19identity_decomposerENS1_16block_id_wrapperIjLb0EEEEE10hipError_tT1_PNSt15iterator_traitsISG_E10value_typeET2_T3_PNSH_ISM_E10value_typeET4_T5_PSR_SS_PNS1_23onesweep_lookback_stateEbbT6_jjT7_P12ihipStream_tbENKUlT_T0_SG_SL_E_clIS7_S7_SB_SB_EEDaSZ_S10_SG_SL_EUlSZ_E_NS1_11comp_targetILNS1_3genE10ELNS1_11target_archE1201ELNS1_3gpuE5ELNS1_3repE0EEENS1_47radix_sort_onesweep_sort_config_static_selectorELNS0_4arch9wavefront6targetE1EEEvSG_,comdat
	.protected	_ZN7rocprim17ROCPRIM_400000_NS6detail17trampoline_kernelINS0_14default_configENS1_35radix_sort_onesweep_config_selectorIdlEEZZNS1_29radix_sort_onesweep_iterationIS3_Lb0EPdS7_N6thrust23THRUST_200600_302600_NS10device_ptrIlEESB_jNS0_19identity_decomposerENS1_16block_id_wrapperIjLb0EEEEE10hipError_tT1_PNSt15iterator_traitsISG_E10value_typeET2_T3_PNSH_ISM_E10value_typeET4_T5_PSR_SS_PNS1_23onesweep_lookback_stateEbbT6_jjT7_P12ihipStream_tbENKUlT_T0_SG_SL_E_clIS7_S7_SB_SB_EEDaSZ_S10_SG_SL_EUlSZ_E_NS1_11comp_targetILNS1_3genE10ELNS1_11target_archE1201ELNS1_3gpuE5ELNS1_3repE0EEENS1_47radix_sort_onesweep_sort_config_static_selectorELNS0_4arch9wavefront6targetE1EEEvSG_ ; -- Begin function _ZN7rocprim17ROCPRIM_400000_NS6detail17trampoline_kernelINS0_14default_configENS1_35radix_sort_onesweep_config_selectorIdlEEZZNS1_29radix_sort_onesweep_iterationIS3_Lb0EPdS7_N6thrust23THRUST_200600_302600_NS10device_ptrIlEESB_jNS0_19identity_decomposerENS1_16block_id_wrapperIjLb0EEEEE10hipError_tT1_PNSt15iterator_traitsISG_E10value_typeET2_T3_PNSH_ISM_E10value_typeET4_T5_PSR_SS_PNS1_23onesweep_lookback_stateEbbT6_jjT7_P12ihipStream_tbENKUlT_T0_SG_SL_E_clIS7_S7_SB_SB_EEDaSZ_S10_SG_SL_EUlSZ_E_NS1_11comp_targetILNS1_3genE10ELNS1_11target_archE1201ELNS1_3gpuE5ELNS1_3repE0EEENS1_47radix_sort_onesweep_sort_config_static_selectorELNS0_4arch9wavefront6targetE1EEEvSG_
	.globl	_ZN7rocprim17ROCPRIM_400000_NS6detail17trampoline_kernelINS0_14default_configENS1_35radix_sort_onesweep_config_selectorIdlEEZZNS1_29radix_sort_onesweep_iterationIS3_Lb0EPdS7_N6thrust23THRUST_200600_302600_NS10device_ptrIlEESB_jNS0_19identity_decomposerENS1_16block_id_wrapperIjLb0EEEEE10hipError_tT1_PNSt15iterator_traitsISG_E10value_typeET2_T3_PNSH_ISM_E10value_typeET4_T5_PSR_SS_PNS1_23onesweep_lookback_stateEbbT6_jjT7_P12ihipStream_tbENKUlT_T0_SG_SL_E_clIS7_S7_SB_SB_EEDaSZ_S10_SG_SL_EUlSZ_E_NS1_11comp_targetILNS1_3genE10ELNS1_11target_archE1201ELNS1_3gpuE5ELNS1_3repE0EEENS1_47radix_sort_onesweep_sort_config_static_selectorELNS0_4arch9wavefront6targetE1EEEvSG_
	.p2align	8
	.type	_ZN7rocprim17ROCPRIM_400000_NS6detail17trampoline_kernelINS0_14default_configENS1_35radix_sort_onesweep_config_selectorIdlEEZZNS1_29radix_sort_onesweep_iterationIS3_Lb0EPdS7_N6thrust23THRUST_200600_302600_NS10device_ptrIlEESB_jNS0_19identity_decomposerENS1_16block_id_wrapperIjLb0EEEEE10hipError_tT1_PNSt15iterator_traitsISG_E10value_typeET2_T3_PNSH_ISM_E10value_typeET4_T5_PSR_SS_PNS1_23onesweep_lookback_stateEbbT6_jjT7_P12ihipStream_tbENKUlT_T0_SG_SL_E_clIS7_S7_SB_SB_EEDaSZ_S10_SG_SL_EUlSZ_E_NS1_11comp_targetILNS1_3genE10ELNS1_11target_archE1201ELNS1_3gpuE5ELNS1_3repE0EEENS1_47radix_sort_onesweep_sort_config_static_selectorELNS0_4arch9wavefront6targetE1EEEvSG_,@function
_ZN7rocprim17ROCPRIM_400000_NS6detail17trampoline_kernelINS0_14default_configENS1_35radix_sort_onesweep_config_selectorIdlEEZZNS1_29radix_sort_onesweep_iterationIS3_Lb0EPdS7_N6thrust23THRUST_200600_302600_NS10device_ptrIlEESB_jNS0_19identity_decomposerENS1_16block_id_wrapperIjLb0EEEEE10hipError_tT1_PNSt15iterator_traitsISG_E10value_typeET2_T3_PNSH_ISM_E10value_typeET4_T5_PSR_SS_PNS1_23onesweep_lookback_stateEbbT6_jjT7_P12ihipStream_tbENKUlT_T0_SG_SL_E_clIS7_S7_SB_SB_EEDaSZ_S10_SG_SL_EUlSZ_E_NS1_11comp_targetILNS1_3genE10ELNS1_11target_archE1201ELNS1_3gpuE5ELNS1_3repE0EEENS1_47radix_sort_onesweep_sort_config_static_selectorELNS0_4arch9wavefront6targetE1EEEvSG_: ; @_ZN7rocprim17ROCPRIM_400000_NS6detail17trampoline_kernelINS0_14default_configENS1_35radix_sort_onesweep_config_selectorIdlEEZZNS1_29radix_sort_onesweep_iterationIS3_Lb0EPdS7_N6thrust23THRUST_200600_302600_NS10device_ptrIlEESB_jNS0_19identity_decomposerENS1_16block_id_wrapperIjLb0EEEEE10hipError_tT1_PNSt15iterator_traitsISG_E10value_typeET2_T3_PNSH_ISM_E10value_typeET4_T5_PSR_SS_PNS1_23onesweep_lookback_stateEbbT6_jjT7_P12ihipStream_tbENKUlT_T0_SG_SL_E_clIS7_S7_SB_SB_EEDaSZ_S10_SG_SL_EUlSZ_E_NS1_11comp_targetILNS1_3genE10ELNS1_11target_archE1201ELNS1_3gpuE5ELNS1_3repE0EEENS1_47radix_sort_onesweep_sort_config_static_selectorELNS0_4arch9wavefront6targetE1EEEvSG_
; %bb.0:
	.section	.rodata,"a",@progbits
	.p2align	6, 0x0
	.amdhsa_kernel _ZN7rocprim17ROCPRIM_400000_NS6detail17trampoline_kernelINS0_14default_configENS1_35radix_sort_onesweep_config_selectorIdlEEZZNS1_29radix_sort_onesweep_iterationIS3_Lb0EPdS7_N6thrust23THRUST_200600_302600_NS10device_ptrIlEESB_jNS0_19identity_decomposerENS1_16block_id_wrapperIjLb0EEEEE10hipError_tT1_PNSt15iterator_traitsISG_E10value_typeET2_T3_PNSH_ISM_E10value_typeET4_T5_PSR_SS_PNS1_23onesweep_lookback_stateEbbT6_jjT7_P12ihipStream_tbENKUlT_T0_SG_SL_E_clIS7_S7_SB_SB_EEDaSZ_S10_SG_SL_EUlSZ_E_NS1_11comp_targetILNS1_3genE10ELNS1_11target_archE1201ELNS1_3gpuE5ELNS1_3repE0EEENS1_47radix_sort_onesweep_sort_config_static_selectorELNS0_4arch9wavefront6targetE1EEEvSG_
		.amdhsa_group_segment_fixed_size 0
		.amdhsa_private_segment_fixed_size 0
		.amdhsa_kernarg_size 88
		.amdhsa_user_sgpr_count 6
		.amdhsa_user_sgpr_private_segment_buffer 1
		.amdhsa_user_sgpr_dispatch_ptr 0
		.amdhsa_user_sgpr_queue_ptr 0
		.amdhsa_user_sgpr_kernarg_segment_ptr 1
		.amdhsa_user_sgpr_dispatch_id 0
		.amdhsa_user_sgpr_flat_scratch_init 0
		.amdhsa_user_sgpr_kernarg_preload_length 0
		.amdhsa_user_sgpr_kernarg_preload_offset 0
		.amdhsa_user_sgpr_private_segment_size 0
		.amdhsa_uses_dynamic_stack 0
		.amdhsa_system_sgpr_private_segment_wavefront_offset 0
		.amdhsa_system_sgpr_workgroup_id_x 1
		.amdhsa_system_sgpr_workgroup_id_y 0
		.amdhsa_system_sgpr_workgroup_id_z 0
		.amdhsa_system_sgpr_workgroup_info 0
		.amdhsa_system_vgpr_workitem_id 0
		.amdhsa_next_free_vgpr 1
		.amdhsa_next_free_sgpr 0
		.amdhsa_accum_offset 4
		.amdhsa_reserve_vcc 0
		.amdhsa_reserve_flat_scratch 0
		.amdhsa_float_round_mode_32 0
		.amdhsa_float_round_mode_16_64 0
		.amdhsa_float_denorm_mode_32 3
		.amdhsa_float_denorm_mode_16_64 3
		.amdhsa_dx10_clamp 1
		.amdhsa_ieee_mode 1
		.amdhsa_fp16_overflow 0
		.amdhsa_tg_split 0
		.amdhsa_exception_fp_ieee_invalid_op 0
		.amdhsa_exception_fp_denorm_src 0
		.amdhsa_exception_fp_ieee_div_zero 0
		.amdhsa_exception_fp_ieee_overflow 0
		.amdhsa_exception_fp_ieee_underflow 0
		.amdhsa_exception_fp_ieee_inexact 0
		.amdhsa_exception_int_div_zero 0
	.end_amdhsa_kernel
	.section	.text._ZN7rocprim17ROCPRIM_400000_NS6detail17trampoline_kernelINS0_14default_configENS1_35radix_sort_onesweep_config_selectorIdlEEZZNS1_29radix_sort_onesweep_iterationIS3_Lb0EPdS7_N6thrust23THRUST_200600_302600_NS10device_ptrIlEESB_jNS0_19identity_decomposerENS1_16block_id_wrapperIjLb0EEEEE10hipError_tT1_PNSt15iterator_traitsISG_E10value_typeET2_T3_PNSH_ISM_E10value_typeET4_T5_PSR_SS_PNS1_23onesweep_lookback_stateEbbT6_jjT7_P12ihipStream_tbENKUlT_T0_SG_SL_E_clIS7_S7_SB_SB_EEDaSZ_S10_SG_SL_EUlSZ_E_NS1_11comp_targetILNS1_3genE10ELNS1_11target_archE1201ELNS1_3gpuE5ELNS1_3repE0EEENS1_47radix_sort_onesweep_sort_config_static_selectorELNS0_4arch9wavefront6targetE1EEEvSG_,"axG",@progbits,_ZN7rocprim17ROCPRIM_400000_NS6detail17trampoline_kernelINS0_14default_configENS1_35radix_sort_onesweep_config_selectorIdlEEZZNS1_29radix_sort_onesweep_iterationIS3_Lb0EPdS7_N6thrust23THRUST_200600_302600_NS10device_ptrIlEESB_jNS0_19identity_decomposerENS1_16block_id_wrapperIjLb0EEEEE10hipError_tT1_PNSt15iterator_traitsISG_E10value_typeET2_T3_PNSH_ISM_E10value_typeET4_T5_PSR_SS_PNS1_23onesweep_lookback_stateEbbT6_jjT7_P12ihipStream_tbENKUlT_T0_SG_SL_E_clIS7_S7_SB_SB_EEDaSZ_S10_SG_SL_EUlSZ_E_NS1_11comp_targetILNS1_3genE10ELNS1_11target_archE1201ELNS1_3gpuE5ELNS1_3repE0EEENS1_47radix_sort_onesweep_sort_config_static_selectorELNS0_4arch9wavefront6targetE1EEEvSG_,comdat
.Lfunc_end1649:
	.size	_ZN7rocprim17ROCPRIM_400000_NS6detail17trampoline_kernelINS0_14default_configENS1_35radix_sort_onesweep_config_selectorIdlEEZZNS1_29radix_sort_onesweep_iterationIS3_Lb0EPdS7_N6thrust23THRUST_200600_302600_NS10device_ptrIlEESB_jNS0_19identity_decomposerENS1_16block_id_wrapperIjLb0EEEEE10hipError_tT1_PNSt15iterator_traitsISG_E10value_typeET2_T3_PNSH_ISM_E10value_typeET4_T5_PSR_SS_PNS1_23onesweep_lookback_stateEbbT6_jjT7_P12ihipStream_tbENKUlT_T0_SG_SL_E_clIS7_S7_SB_SB_EEDaSZ_S10_SG_SL_EUlSZ_E_NS1_11comp_targetILNS1_3genE10ELNS1_11target_archE1201ELNS1_3gpuE5ELNS1_3repE0EEENS1_47radix_sort_onesweep_sort_config_static_selectorELNS0_4arch9wavefront6targetE1EEEvSG_, .Lfunc_end1649-_ZN7rocprim17ROCPRIM_400000_NS6detail17trampoline_kernelINS0_14default_configENS1_35radix_sort_onesweep_config_selectorIdlEEZZNS1_29radix_sort_onesweep_iterationIS3_Lb0EPdS7_N6thrust23THRUST_200600_302600_NS10device_ptrIlEESB_jNS0_19identity_decomposerENS1_16block_id_wrapperIjLb0EEEEE10hipError_tT1_PNSt15iterator_traitsISG_E10value_typeET2_T3_PNSH_ISM_E10value_typeET4_T5_PSR_SS_PNS1_23onesweep_lookback_stateEbbT6_jjT7_P12ihipStream_tbENKUlT_T0_SG_SL_E_clIS7_S7_SB_SB_EEDaSZ_S10_SG_SL_EUlSZ_E_NS1_11comp_targetILNS1_3genE10ELNS1_11target_archE1201ELNS1_3gpuE5ELNS1_3repE0EEENS1_47radix_sort_onesweep_sort_config_static_selectorELNS0_4arch9wavefront6targetE1EEEvSG_
                                        ; -- End function
	.section	.AMDGPU.csdata,"",@progbits
; Kernel info:
; codeLenInByte = 0
; NumSgprs: 4
; NumVgprs: 0
; NumAgprs: 0
; TotalNumVgprs: 0
; ScratchSize: 0
; MemoryBound: 0
; FloatMode: 240
; IeeeMode: 1
; LDSByteSize: 0 bytes/workgroup (compile time only)
; SGPRBlocks: 0
; VGPRBlocks: 0
; NumSGPRsForWavesPerEU: 4
; NumVGPRsForWavesPerEU: 1
; AccumOffset: 4
; Occupancy: 8
; WaveLimiterHint : 0
; COMPUTE_PGM_RSRC2:SCRATCH_EN: 0
; COMPUTE_PGM_RSRC2:USER_SGPR: 6
; COMPUTE_PGM_RSRC2:TRAP_HANDLER: 0
; COMPUTE_PGM_RSRC2:TGID_X_EN: 1
; COMPUTE_PGM_RSRC2:TGID_Y_EN: 0
; COMPUTE_PGM_RSRC2:TGID_Z_EN: 0
; COMPUTE_PGM_RSRC2:TIDIG_COMP_CNT: 0
; COMPUTE_PGM_RSRC3_GFX90A:ACCUM_OFFSET: 0
; COMPUTE_PGM_RSRC3_GFX90A:TG_SPLIT: 0
	.section	.text._ZN7rocprim17ROCPRIM_400000_NS6detail17trampoline_kernelINS0_14default_configENS1_35radix_sort_onesweep_config_selectorIdlEEZZNS1_29radix_sort_onesweep_iterationIS3_Lb0EPdS7_N6thrust23THRUST_200600_302600_NS10device_ptrIlEESB_jNS0_19identity_decomposerENS1_16block_id_wrapperIjLb0EEEEE10hipError_tT1_PNSt15iterator_traitsISG_E10value_typeET2_T3_PNSH_ISM_E10value_typeET4_T5_PSR_SS_PNS1_23onesweep_lookback_stateEbbT6_jjT7_P12ihipStream_tbENKUlT_T0_SG_SL_E_clIS7_S7_SB_SB_EEDaSZ_S10_SG_SL_EUlSZ_E_NS1_11comp_targetILNS1_3genE9ELNS1_11target_archE1100ELNS1_3gpuE3ELNS1_3repE0EEENS1_47radix_sort_onesweep_sort_config_static_selectorELNS0_4arch9wavefront6targetE1EEEvSG_,"axG",@progbits,_ZN7rocprim17ROCPRIM_400000_NS6detail17trampoline_kernelINS0_14default_configENS1_35radix_sort_onesweep_config_selectorIdlEEZZNS1_29radix_sort_onesweep_iterationIS3_Lb0EPdS7_N6thrust23THRUST_200600_302600_NS10device_ptrIlEESB_jNS0_19identity_decomposerENS1_16block_id_wrapperIjLb0EEEEE10hipError_tT1_PNSt15iterator_traitsISG_E10value_typeET2_T3_PNSH_ISM_E10value_typeET4_T5_PSR_SS_PNS1_23onesweep_lookback_stateEbbT6_jjT7_P12ihipStream_tbENKUlT_T0_SG_SL_E_clIS7_S7_SB_SB_EEDaSZ_S10_SG_SL_EUlSZ_E_NS1_11comp_targetILNS1_3genE9ELNS1_11target_archE1100ELNS1_3gpuE3ELNS1_3repE0EEENS1_47radix_sort_onesweep_sort_config_static_selectorELNS0_4arch9wavefront6targetE1EEEvSG_,comdat
	.protected	_ZN7rocprim17ROCPRIM_400000_NS6detail17trampoline_kernelINS0_14default_configENS1_35radix_sort_onesweep_config_selectorIdlEEZZNS1_29radix_sort_onesweep_iterationIS3_Lb0EPdS7_N6thrust23THRUST_200600_302600_NS10device_ptrIlEESB_jNS0_19identity_decomposerENS1_16block_id_wrapperIjLb0EEEEE10hipError_tT1_PNSt15iterator_traitsISG_E10value_typeET2_T3_PNSH_ISM_E10value_typeET4_T5_PSR_SS_PNS1_23onesweep_lookback_stateEbbT6_jjT7_P12ihipStream_tbENKUlT_T0_SG_SL_E_clIS7_S7_SB_SB_EEDaSZ_S10_SG_SL_EUlSZ_E_NS1_11comp_targetILNS1_3genE9ELNS1_11target_archE1100ELNS1_3gpuE3ELNS1_3repE0EEENS1_47radix_sort_onesweep_sort_config_static_selectorELNS0_4arch9wavefront6targetE1EEEvSG_ ; -- Begin function _ZN7rocprim17ROCPRIM_400000_NS6detail17trampoline_kernelINS0_14default_configENS1_35radix_sort_onesweep_config_selectorIdlEEZZNS1_29radix_sort_onesweep_iterationIS3_Lb0EPdS7_N6thrust23THRUST_200600_302600_NS10device_ptrIlEESB_jNS0_19identity_decomposerENS1_16block_id_wrapperIjLb0EEEEE10hipError_tT1_PNSt15iterator_traitsISG_E10value_typeET2_T3_PNSH_ISM_E10value_typeET4_T5_PSR_SS_PNS1_23onesweep_lookback_stateEbbT6_jjT7_P12ihipStream_tbENKUlT_T0_SG_SL_E_clIS7_S7_SB_SB_EEDaSZ_S10_SG_SL_EUlSZ_E_NS1_11comp_targetILNS1_3genE9ELNS1_11target_archE1100ELNS1_3gpuE3ELNS1_3repE0EEENS1_47radix_sort_onesweep_sort_config_static_selectorELNS0_4arch9wavefront6targetE1EEEvSG_
	.globl	_ZN7rocprim17ROCPRIM_400000_NS6detail17trampoline_kernelINS0_14default_configENS1_35radix_sort_onesweep_config_selectorIdlEEZZNS1_29radix_sort_onesweep_iterationIS3_Lb0EPdS7_N6thrust23THRUST_200600_302600_NS10device_ptrIlEESB_jNS0_19identity_decomposerENS1_16block_id_wrapperIjLb0EEEEE10hipError_tT1_PNSt15iterator_traitsISG_E10value_typeET2_T3_PNSH_ISM_E10value_typeET4_T5_PSR_SS_PNS1_23onesweep_lookback_stateEbbT6_jjT7_P12ihipStream_tbENKUlT_T0_SG_SL_E_clIS7_S7_SB_SB_EEDaSZ_S10_SG_SL_EUlSZ_E_NS1_11comp_targetILNS1_3genE9ELNS1_11target_archE1100ELNS1_3gpuE3ELNS1_3repE0EEENS1_47radix_sort_onesweep_sort_config_static_selectorELNS0_4arch9wavefront6targetE1EEEvSG_
	.p2align	8
	.type	_ZN7rocprim17ROCPRIM_400000_NS6detail17trampoline_kernelINS0_14default_configENS1_35radix_sort_onesweep_config_selectorIdlEEZZNS1_29radix_sort_onesweep_iterationIS3_Lb0EPdS7_N6thrust23THRUST_200600_302600_NS10device_ptrIlEESB_jNS0_19identity_decomposerENS1_16block_id_wrapperIjLb0EEEEE10hipError_tT1_PNSt15iterator_traitsISG_E10value_typeET2_T3_PNSH_ISM_E10value_typeET4_T5_PSR_SS_PNS1_23onesweep_lookback_stateEbbT6_jjT7_P12ihipStream_tbENKUlT_T0_SG_SL_E_clIS7_S7_SB_SB_EEDaSZ_S10_SG_SL_EUlSZ_E_NS1_11comp_targetILNS1_3genE9ELNS1_11target_archE1100ELNS1_3gpuE3ELNS1_3repE0EEENS1_47radix_sort_onesweep_sort_config_static_selectorELNS0_4arch9wavefront6targetE1EEEvSG_,@function
_ZN7rocprim17ROCPRIM_400000_NS6detail17trampoline_kernelINS0_14default_configENS1_35radix_sort_onesweep_config_selectorIdlEEZZNS1_29radix_sort_onesweep_iterationIS3_Lb0EPdS7_N6thrust23THRUST_200600_302600_NS10device_ptrIlEESB_jNS0_19identity_decomposerENS1_16block_id_wrapperIjLb0EEEEE10hipError_tT1_PNSt15iterator_traitsISG_E10value_typeET2_T3_PNSH_ISM_E10value_typeET4_T5_PSR_SS_PNS1_23onesweep_lookback_stateEbbT6_jjT7_P12ihipStream_tbENKUlT_T0_SG_SL_E_clIS7_S7_SB_SB_EEDaSZ_S10_SG_SL_EUlSZ_E_NS1_11comp_targetILNS1_3genE9ELNS1_11target_archE1100ELNS1_3gpuE3ELNS1_3repE0EEENS1_47radix_sort_onesweep_sort_config_static_selectorELNS0_4arch9wavefront6targetE1EEEvSG_: ; @_ZN7rocprim17ROCPRIM_400000_NS6detail17trampoline_kernelINS0_14default_configENS1_35radix_sort_onesweep_config_selectorIdlEEZZNS1_29radix_sort_onesweep_iterationIS3_Lb0EPdS7_N6thrust23THRUST_200600_302600_NS10device_ptrIlEESB_jNS0_19identity_decomposerENS1_16block_id_wrapperIjLb0EEEEE10hipError_tT1_PNSt15iterator_traitsISG_E10value_typeET2_T3_PNSH_ISM_E10value_typeET4_T5_PSR_SS_PNS1_23onesweep_lookback_stateEbbT6_jjT7_P12ihipStream_tbENKUlT_T0_SG_SL_E_clIS7_S7_SB_SB_EEDaSZ_S10_SG_SL_EUlSZ_E_NS1_11comp_targetILNS1_3genE9ELNS1_11target_archE1100ELNS1_3gpuE3ELNS1_3repE0EEENS1_47radix_sort_onesweep_sort_config_static_selectorELNS0_4arch9wavefront6targetE1EEEvSG_
; %bb.0:
	.section	.rodata,"a",@progbits
	.p2align	6, 0x0
	.amdhsa_kernel _ZN7rocprim17ROCPRIM_400000_NS6detail17trampoline_kernelINS0_14default_configENS1_35radix_sort_onesweep_config_selectorIdlEEZZNS1_29radix_sort_onesweep_iterationIS3_Lb0EPdS7_N6thrust23THRUST_200600_302600_NS10device_ptrIlEESB_jNS0_19identity_decomposerENS1_16block_id_wrapperIjLb0EEEEE10hipError_tT1_PNSt15iterator_traitsISG_E10value_typeET2_T3_PNSH_ISM_E10value_typeET4_T5_PSR_SS_PNS1_23onesweep_lookback_stateEbbT6_jjT7_P12ihipStream_tbENKUlT_T0_SG_SL_E_clIS7_S7_SB_SB_EEDaSZ_S10_SG_SL_EUlSZ_E_NS1_11comp_targetILNS1_3genE9ELNS1_11target_archE1100ELNS1_3gpuE3ELNS1_3repE0EEENS1_47radix_sort_onesweep_sort_config_static_selectorELNS0_4arch9wavefront6targetE1EEEvSG_
		.amdhsa_group_segment_fixed_size 0
		.amdhsa_private_segment_fixed_size 0
		.amdhsa_kernarg_size 88
		.amdhsa_user_sgpr_count 6
		.amdhsa_user_sgpr_private_segment_buffer 1
		.amdhsa_user_sgpr_dispatch_ptr 0
		.amdhsa_user_sgpr_queue_ptr 0
		.amdhsa_user_sgpr_kernarg_segment_ptr 1
		.amdhsa_user_sgpr_dispatch_id 0
		.amdhsa_user_sgpr_flat_scratch_init 0
		.amdhsa_user_sgpr_kernarg_preload_length 0
		.amdhsa_user_sgpr_kernarg_preload_offset 0
		.amdhsa_user_sgpr_private_segment_size 0
		.amdhsa_uses_dynamic_stack 0
		.amdhsa_system_sgpr_private_segment_wavefront_offset 0
		.amdhsa_system_sgpr_workgroup_id_x 1
		.amdhsa_system_sgpr_workgroup_id_y 0
		.amdhsa_system_sgpr_workgroup_id_z 0
		.amdhsa_system_sgpr_workgroup_info 0
		.amdhsa_system_vgpr_workitem_id 0
		.amdhsa_next_free_vgpr 1
		.amdhsa_next_free_sgpr 0
		.amdhsa_accum_offset 4
		.amdhsa_reserve_vcc 0
		.amdhsa_reserve_flat_scratch 0
		.amdhsa_float_round_mode_32 0
		.amdhsa_float_round_mode_16_64 0
		.amdhsa_float_denorm_mode_32 3
		.amdhsa_float_denorm_mode_16_64 3
		.amdhsa_dx10_clamp 1
		.amdhsa_ieee_mode 1
		.amdhsa_fp16_overflow 0
		.amdhsa_tg_split 0
		.amdhsa_exception_fp_ieee_invalid_op 0
		.amdhsa_exception_fp_denorm_src 0
		.amdhsa_exception_fp_ieee_div_zero 0
		.amdhsa_exception_fp_ieee_overflow 0
		.amdhsa_exception_fp_ieee_underflow 0
		.amdhsa_exception_fp_ieee_inexact 0
		.amdhsa_exception_int_div_zero 0
	.end_amdhsa_kernel
	.section	.text._ZN7rocprim17ROCPRIM_400000_NS6detail17trampoline_kernelINS0_14default_configENS1_35radix_sort_onesweep_config_selectorIdlEEZZNS1_29radix_sort_onesweep_iterationIS3_Lb0EPdS7_N6thrust23THRUST_200600_302600_NS10device_ptrIlEESB_jNS0_19identity_decomposerENS1_16block_id_wrapperIjLb0EEEEE10hipError_tT1_PNSt15iterator_traitsISG_E10value_typeET2_T3_PNSH_ISM_E10value_typeET4_T5_PSR_SS_PNS1_23onesweep_lookback_stateEbbT6_jjT7_P12ihipStream_tbENKUlT_T0_SG_SL_E_clIS7_S7_SB_SB_EEDaSZ_S10_SG_SL_EUlSZ_E_NS1_11comp_targetILNS1_3genE9ELNS1_11target_archE1100ELNS1_3gpuE3ELNS1_3repE0EEENS1_47radix_sort_onesweep_sort_config_static_selectorELNS0_4arch9wavefront6targetE1EEEvSG_,"axG",@progbits,_ZN7rocprim17ROCPRIM_400000_NS6detail17trampoline_kernelINS0_14default_configENS1_35radix_sort_onesweep_config_selectorIdlEEZZNS1_29radix_sort_onesweep_iterationIS3_Lb0EPdS7_N6thrust23THRUST_200600_302600_NS10device_ptrIlEESB_jNS0_19identity_decomposerENS1_16block_id_wrapperIjLb0EEEEE10hipError_tT1_PNSt15iterator_traitsISG_E10value_typeET2_T3_PNSH_ISM_E10value_typeET4_T5_PSR_SS_PNS1_23onesweep_lookback_stateEbbT6_jjT7_P12ihipStream_tbENKUlT_T0_SG_SL_E_clIS7_S7_SB_SB_EEDaSZ_S10_SG_SL_EUlSZ_E_NS1_11comp_targetILNS1_3genE9ELNS1_11target_archE1100ELNS1_3gpuE3ELNS1_3repE0EEENS1_47radix_sort_onesweep_sort_config_static_selectorELNS0_4arch9wavefront6targetE1EEEvSG_,comdat
.Lfunc_end1650:
	.size	_ZN7rocprim17ROCPRIM_400000_NS6detail17trampoline_kernelINS0_14default_configENS1_35radix_sort_onesweep_config_selectorIdlEEZZNS1_29radix_sort_onesweep_iterationIS3_Lb0EPdS7_N6thrust23THRUST_200600_302600_NS10device_ptrIlEESB_jNS0_19identity_decomposerENS1_16block_id_wrapperIjLb0EEEEE10hipError_tT1_PNSt15iterator_traitsISG_E10value_typeET2_T3_PNSH_ISM_E10value_typeET4_T5_PSR_SS_PNS1_23onesweep_lookback_stateEbbT6_jjT7_P12ihipStream_tbENKUlT_T0_SG_SL_E_clIS7_S7_SB_SB_EEDaSZ_S10_SG_SL_EUlSZ_E_NS1_11comp_targetILNS1_3genE9ELNS1_11target_archE1100ELNS1_3gpuE3ELNS1_3repE0EEENS1_47radix_sort_onesweep_sort_config_static_selectorELNS0_4arch9wavefront6targetE1EEEvSG_, .Lfunc_end1650-_ZN7rocprim17ROCPRIM_400000_NS6detail17trampoline_kernelINS0_14default_configENS1_35radix_sort_onesweep_config_selectorIdlEEZZNS1_29radix_sort_onesweep_iterationIS3_Lb0EPdS7_N6thrust23THRUST_200600_302600_NS10device_ptrIlEESB_jNS0_19identity_decomposerENS1_16block_id_wrapperIjLb0EEEEE10hipError_tT1_PNSt15iterator_traitsISG_E10value_typeET2_T3_PNSH_ISM_E10value_typeET4_T5_PSR_SS_PNS1_23onesweep_lookback_stateEbbT6_jjT7_P12ihipStream_tbENKUlT_T0_SG_SL_E_clIS7_S7_SB_SB_EEDaSZ_S10_SG_SL_EUlSZ_E_NS1_11comp_targetILNS1_3genE9ELNS1_11target_archE1100ELNS1_3gpuE3ELNS1_3repE0EEENS1_47radix_sort_onesweep_sort_config_static_selectorELNS0_4arch9wavefront6targetE1EEEvSG_
                                        ; -- End function
	.section	.AMDGPU.csdata,"",@progbits
; Kernel info:
; codeLenInByte = 0
; NumSgprs: 4
; NumVgprs: 0
; NumAgprs: 0
; TotalNumVgprs: 0
; ScratchSize: 0
; MemoryBound: 0
; FloatMode: 240
; IeeeMode: 1
; LDSByteSize: 0 bytes/workgroup (compile time only)
; SGPRBlocks: 0
; VGPRBlocks: 0
; NumSGPRsForWavesPerEU: 4
; NumVGPRsForWavesPerEU: 1
; AccumOffset: 4
; Occupancy: 8
; WaveLimiterHint : 0
; COMPUTE_PGM_RSRC2:SCRATCH_EN: 0
; COMPUTE_PGM_RSRC2:USER_SGPR: 6
; COMPUTE_PGM_RSRC2:TRAP_HANDLER: 0
; COMPUTE_PGM_RSRC2:TGID_X_EN: 1
; COMPUTE_PGM_RSRC2:TGID_Y_EN: 0
; COMPUTE_PGM_RSRC2:TGID_Z_EN: 0
; COMPUTE_PGM_RSRC2:TIDIG_COMP_CNT: 0
; COMPUTE_PGM_RSRC3_GFX90A:ACCUM_OFFSET: 0
; COMPUTE_PGM_RSRC3_GFX90A:TG_SPLIT: 0
	.section	.text._ZN7rocprim17ROCPRIM_400000_NS6detail17trampoline_kernelINS0_14default_configENS1_35radix_sort_onesweep_config_selectorIdlEEZZNS1_29radix_sort_onesweep_iterationIS3_Lb0EPdS7_N6thrust23THRUST_200600_302600_NS10device_ptrIlEESB_jNS0_19identity_decomposerENS1_16block_id_wrapperIjLb0EEEEE10hipError_tT1_PNSt15iterator_traitsISG_E10value_typeET2_T3_PNSH_ISM_E10value_typeET4_T5_PSR_SS_PNS1_23onesweep_lookback_stateEbbT6_jjT7_P12ihipStream_tbENKUlT_T0_SG_SL_E_clIS7_S7_SB_SB_EEDaSZ_S10_SG_SL_EUlSZ_E_NS1_11comp_targetILNS1_3genE8ELNS1_11target_archE1030ELNS1_3gpuE2ELNS1_3repE0EEENS1_47radix_sort_onesweep_sort_config_static_selectorELNS0_4arch9wavefront6targetE1EEEvSG_,"axG",@progbits,_ZN7rocprim17ROCPRIM_400000_NS6detail17trampoline_kernelINS0_14default_configENS1_35radix_sort_onesweep_config_selectorIdlEEZZNS1_29radix_sort_onesweep_iterationIS3_Lb0EPdS7_N6thrust23THRUST_200600_302600_NS10device_ptrIlEESB_jNS0_19identity_decomposerENS1_16block_id_wrapperIjLb0EEEEE10hipError_tT1_PNSt15iterator_traitsISG_E10value_typeET2_T3_PNSH_ISM_E10value_typeET4_T5_PSR_SS_PNS1_23onesweep_lookback_stateEbbT6_jjT7_P12ihipStream_tbENKUlT_T0_SG_SL_E_clIS7_S7_SB_SB_EEDaSZ_S10_SG_SL_EUlSZ_E_NS1_11comp_targetILNS1_3genE8ELNS1_11target_archE1030ELNS1_3gpuE2ELNS1_3repE0EEENS1_47radix_sort_onesweep_sort_config_static_selectorELNS0_4arch9wavefront6targetE1EEEvSG_,comdat
	.protected	_ZN7rocprim17ROCPRIM_400000_NS6detail17trampoline_kernelINS0_14default_configENS1_35radix_sort_onesweep_config_selectorIdlEEZZNS1_29radix_sort_onesweep_iterationIS3_Lb0EPdS7_N6thrust23THRUST_200600_302600_NS10device_ptrIlEESB_jNS0_19identity_decomposerENS1_16block_id_wrapperIjLb0EEEEE10hipError_tT1_PNSt15iterator_traitsISG_E10value_typeET2_T3_PNSH_ISM_E10value_typeET4_T5_PSR_SS_PNS1_23onesweep_lookback_stateEbbT6_jjT7_P12ihipStream_tbENKUlT_T0_SG_SL_E_clIS7_S7_SB_SB_EEDaSZ_S10_SG_SL_EUlSZ_E_NS1_11comp_targetILNS1_3genE8ELNS1_11target_archE1030ELNS1_3gpuE2ELNS1_3repE0EEENS1_47radix_sort_onesweep_sort_config_static_selectorELNS0_4arch9wavefront6targetE1EEEvSG_ ; -- Begin function _ZN7rocprim17ROCPRIM_400000_NS6detail17trampoline_kernelINS0_14default_configENS1_35radix_sort_onesweep_config_selectorIdlEEZZNS1_29radix_sort_onesweep_iterationIS3_Lb0EPdS7_N6thrust23THRUST_200600_302600_NS10device_ptrIlEESB_jNS0_19identity_decomposerENS1_16block_id_wrapperIjLb0EEEEE10hipError_tT1_PNSt15iterator_traitsISG_E10value_typeET2_T3_PNSH_ISM_E10value_typeET4_T5_PSR_SS_PNS1_23onesweep_lookback_stateEbbT6_jjT7_P12ihipStream_tbENKUlT_T0_SG_SL_E_clIS7_S7_SB_SB_EEDaSZ_S10_SG_SL_EUlSZ_E_NS1_11comp_targetILNS1_3genE8ELNS1_11target_archE1030ELNS1_3gpuE2ELNS1_3repE0EEENS1_47radix_sort_onesweep_sort_config_static_selectorELNS0_4arch9wavefront6targetE1EEEvSG_
	.globl	_ZN7rocprim17ROCPRIM_400000_NS6detail17trampoline_kernelINS0_14default_configENS1_35radix_sort_onesweep_config_selectorIdlEEZZNS1_29radix_sort_onesweep_iterationIS3_Lb0EPdS7_N6thrust23THRUST_200600_302600_NS10device_ptrIlEESB_jNS0_19identity_decomposerENS1_16block_id_wrapperIjLb0EEEEE10hipError_tT1_PNSt15iterator_traitsISG_E10value_typeET2_T3_PNSH_ISM_E10value_typeET4_T5_PSR_SS_PNS1_23onesweep_lookback_stateEbbT6_jjT7_P12ihipStream_tbENKUlT_T0_SG_SL_E_clIS7_S7_SB_SB_EEDaSZ_S10_SG_SL_EUlSZ_E_NS1_11comp_targetILNS1_3genE8ELNS1_11target_archE1030ELNS1_3gpuE2ELNS1_3repE0EEENS1_47radix_sort_onesweep_sort_config_static_selectorELNS0_4arch9wavefront6targetE1EEEvSG_
	.p2align	8
	.type	_ZN7rocprim17ROCPRIM_400000_NS6detail17trampoline_kernelINS0_14default_configENS1_35radix_sort_onesweep_config_selectorIdlEEZZNS1_29radix_sort_onesweep_iterationIS3_Lb0EPdS7_N6thrust23THRUST_200600_302600_NS10device_ptrIlEESB_jNS0_19identity_decomposerENS1_16block_id_wrapperIjLb0EEEEE10hipError_tT1_PNSt15iterator_traitsISG_E10value_typeET2_T3_PNSH_ISM_E10value_typeET4_T5_PSR_SS_PNS1_23onesweep_lookback_stateEbbT6_jjT7_P12ihipStream_tbENKUlT_T0_SG_SL_E_clIS7_S7_SB_SB_EEDaSZ_S10_SG_SL_EUlSZ_E_NS1_11comp_targetILNS1_3genE8ELNS1_11target_archE1030ELNS1_3gpuE2ELNS1_3repE0EEENS1_47radix_sort_onesweep_sort_config_static_selectorELNS0_4arch9wavefront6targetE1EEEvSG_,@function
_ZN7rocprim17ROCPRIM_400000_NS6detail17trampoline_kernelINS0_14default_configENS1_35radix_sort_onesweep_config_selectorIdlEEZZNS1_29radix_sort_onesweep_iterationIS3_Lb0EPdS7_N6thrust23THRUST_200600_302600_NS10device_ptrIlEESB_jNS0_19identity_decomposerENS1_16block_id_wrapperIjLb0EEEEE10hipError_tT1_PNSt15iterator_traitsISG_E10value_typeET2_T3_PNSH_ISM_E10value_typeET4_T5_PSR_SS_PNS1_23onesweep_lookback_stateEbbT6_jjT7_P12ihipStream_tbENKUlT_T0_SG_SL_E_clIS7_S7_SB_SB_EEDaSZ_S10_SG_SL_EUlSZ_E_NS1_11comp_targetILNS1_3genE8ELNS1_11target_archE1030ELNS1_3gpuE2ELNS1_3repE0EEENS1_47radix_sort_onesweep_sort_config_static_selectorELNS0_4arch9wavefront6targetE1EEEvSG_: ; @_ZN7rocprim17ROCPRIM_400000_NS6detail17trampoline_kernelINS0_14default_configENS1_35radix_sort_onesweep_config_selectorIdlEEZZNS1_29radix_sort_onesweep_iterationIS3_Lb0EPdS7_N6thrust23THRUST_200600_302600_NS10device_ptrIlEESB_jNS0_19identity_decomposerENS1_16block_id_wrapperIjLb0EEEEE10hipError_tT1_PNSt15iterator_traitsISG_E10value_typeET2_T3_PNSH_ISM_E10value_typeET4_T5_PSR_SS_PNS1_23onesweep_lookback_stateEbbT6_jjT7_P12ihipStream_tbENKUlT_T0_SG_SL_E_clIS7_S7_SB_SB_EEDaSZ_S10_SG_SL_EUlSZ_E_NS1_11comp_targetILNS1_3genE8ELNS1_11target_archE1030ELNS1_3gpuE2ELNS1_3repE0EEENS1_47radix_sort_onesweep_sort_config_static_selectorELNS0_4arch9wavefront6targetE1EEEvSG_
; %bb.0:
	.section	.rodata,"a",@progbits
	.p2align	6, 0x0
	.amdhsa_kernel _ZN7rocprim17ROCPRIM_400000_NS6detail17trampoline_kernelINS0_14default_configENS1_35radix_sort_onesweep_config_selectorIdlEEZZNS1_29radix_sort_onesweep_iterationIS3_Lb0EPdS7_N6thrust23THRUST_200600_302600_NS10device_ptrIlEESB_jNS0_19identity_decomposerENS1_16block_id_wrapperIjLb0EEEEE10hipError_tT1_PNSt15iterator_traitsISG_E10value_typeET2_T3_PNSH_ISM_E10value_typeET4_T5_PSR_SS_PNS1_23onesweep_lookback_stateEbbT6_jjT7_P12ihipStream_tbENKUlT_T0_SG_SL_E_clIS7_S7_SB_SB_EEDaSZ_S10_SG_SL_EUlSZ_E_NS1_11comp_targetILNS1_3genE8ELNS1_11target_archE1030ELNS1_3gpuE2ELNS1_3repE0EEENS1_47radix_sort_onesweep_sort_config_static_selectorELNS0_4arch9wavefront6targetE1EEEvSG_
		.amdhsa_group_segment_fixed_size 0
		.amdhsa_private_segment_fixed_size 0
		.amdhsa_kernarg_size 88
		.amdhsa_user_sgpr_count 6
		.amdhsa_user_sgpr_private_segment_buffer 1
		.amdhsa_user_sgpr_dispatch_ptr 0
		.amdhsa_user_sgpr_queue_ptr 0
		.amdhsa_user_sgpr_kernarg_segment_ptr 1
		.amdhsa_user_sgpr_dispatch_id 0
		.amdhsa_user_sgpr_flat_scratch_init 0
		.amdhsa_user_sgpr_kernarg_preload_length 0
		.amdhsa_user_sgpr_kernarg_preload_offset 0
		.amdhsa_user_sgpr_private_segment_size 0
		.amdhsa_uses_dynamic_stack 0
		.amdhsa_system_sgpr_private_segment_wavefront_offset 0
		.amdhsa_system_sgpr_workgroup_id_x 1
		.amdhsa_system_sgpr_workgroup_id_y 0
		.amdhsa_system_sgpr_workgroup_id_z 0
		.amdhsa_system_sgpr_workgroup_info 0
		.amdhsa_system_vgpr_workitem_id 0
		.amdhsa_next_free_vgpr 1
		.amdhsa_next_free_sgpr 0
		.amdhsa_accum_offset 4
		.amdhsa_reserve_vcc 0
		.amdhsa_reserve_flat_scratch 0
		.amdhsa_float_round_mode_32 0
		.amdhsa_float_round_mode_16_64 0
		.amdhsa_float_denorm_mode_32 3
		.amdhsa_float_denorm_mode_16_64 3
		.amdhsa_dx10_clamp 1
		.amdhsa_ieee_mode 1
		.amdhsa_fp16_overflow 0
		.amdhsa_tg_split 0
		.amdhsa_exception_fp_ieee_invalid_op 0
		.amdhsa_exception_fp_denorm_src 0
		.amdhsa_exception_fp_ieee_div_zero 0
		.amdhsa_exception_fp_ieee_overflow 0
		.amdhsa_exception_fp_ieee_underflow 0
		.amdhsa_exception_fp_ieee_inexact 0
		.amdhsa_exception_int_div_zero 0
	.end_amdhsa_kernel
	.section	.text._ZN7rocprim17ROCPRIM_400000_NS6detail17trampoline_kernelINS0_14default_configENS1_35radix_sort_onesweep_config_selectorIdlEEZZNS1_29radix_sort_onesweep_iterationIS3_Lb0EPdS7_N6thrust23THRUST_200600_302600_NS10device_ptrIlEESB_jNS0_19identity_decomposerENS1_16block_id_wrapperIjLb0EEEEE10hipError_tT1_PNSt15iterator_traitsISG_E10value_typeET2_T3_PNSH_ISM_E10value_typeET4_T5_PSR_SS_PNS1_23onesweep_lookback_stateEbbT6_jjT7_P12ihipStream_tbENKUlT_T0_SG_SL_E_clIS7_S7_SB_SB_EEDaSZ_S10_SG_SL_EUlSZ_E_NS1_11comp_targetILNS1_3genE8ELNS1_11target_archE1030ELNS1_3gpuE2ELNS1_3repE0EEENS1_47radix_sort_onesweep_sort_config_static_selectorELNS0_4arch9wavefront6targetE1EEEvSG_,"axG",@progbits,_ZN7rocprim17ROCPRIM_400000_NS6detail17trampoline_kernelINS0_14default_configENS1_35radix_sort_onesweep_config_selectorIdlEEZZNS1_29radix_sort_onesweep_iterationIS3_Lb0EPdS7_N6thrust23THRUST_200600_302600_NS10device_ptrIlEESB_jNS0_19identity_decomposerENS1_16block_id_wrapperIjLb0EEEEE10hipError_tT1_PNSt15iterator_traitsISG_E10value_typeET2_T3_PNSH_ISM_E10value_typeET4_T5_PSR_SS_PNS1_23onesweep_lookback_stateEbbT6_jjT7_P12ihipStream_tbENKUlT_T0_SG_SL_E_clIS7_S7_SB_SB_EEDaSZ_S10_SG_SL_EUlSZ_E_NS1_11comp_targetILNS1_3genE8ELNS1_11target_archE1030ELNS1_3gpuE2ELNS1_3repE0EEENS1_47radix_sort_onesweep_sort_config_static_selectorELNS0_4arch9wavefront6targetE1EEEvSG_,comdat
.Lfunc_end1651:
	.size	_ZN7rocprim17ROCPRIM_400000_NS6detail17trampoline_kernelINS0_14default_configENS1_35radix_sort_onesweep_config_selectorIdlEEZZNS1_29radix_sort_onesweep_iterationIS3_Lb0EPdS7_N6thrust23THRUST_200600_302600_NS10device_ptrIlEESB_jNS0_19identity_decomposerENS1_16block_id_wrapperIjLb0EEEEE10hipError_tT1_PNSt15iterator_traitsISG_E10value_typeET2_T3_PNSH_ISM_E10value_typeET4_T5_PSR_SS_PNS1_23onesweep_lookback_stateEbbT6_jjT7_P12ihipStream_tbENKUlT_T0_SG_SL_E_clIS7_S7_SB_SB_EEDaSZ_S10_SG_SL_EUlSZ_E_NS1_11comp_targetILNS1_3genE8ELNS1_11target_archE1030ELNS1_3gpuE2ELNS1_3repE0EEENS1_47radix_sort_onesweep_sort_config_static_selectorELNS0_4arch9wavefront6targetE1EEEvSG_, .Lfunc_end1651-_ZN7rocprim17ROCPRIM_400000_NS6detail17trampoline_kernelINS0_14default_configENS1_35radix_sort_onesweep_config_selectorIdlEEZZNS1_29radix_sort_onesweep_iterationIS3_Lb0EPdS7_N6thrust23THRUST_200600_302600_NS10device_ptrIlEESB_jNS0_19identity_decomposerENS1_16block_id_wrapperIjLb0EEEEE10hipError_tT1_PNSt15iterator_traitsISG_E10value_typeET2_T3_PNSH_ISM_E10value_typeET4_T5_PSR_SS_PNS1_23onesweep_lookback_stateEbbT6_jjT7_P12ihipStream_tbENKUlT_T0_SG_SL_E_clIS7_S7_SB_SB_EEDaSZ_S10_SG_SL_EUlSZ_E_NS1_11comp_targetILNS1_3genE8ELNS1_11target_archE1030ELNS1_3gpuE2ELNS1_3repE0EEENS1_47radix_sort_onesweep_sort_config_static_selectorELNS0_4arch9wavefront6targetE1EEEvSG_
                                        ; -- End function
	.section	.AMDGPU.csdata,"",@progbits
; Kernel info:
; codeLenInByte = 0
; NumSgprs: 4
; NumVgprs: 0
; NumAgprs: 0
; TotalNumVgprs: 0
; ScratchSize: 0
; MemoryBound: 0
; FloatMode: 240
; IeeeMode: 1
; LDSByteSize: 0 bytes/workgroup (compile time only)
; SGPRBlocks: 0
; VGPRBlocks: 0
; NumSGPRsForWavesPerEU: 4
; NumVGPRsForWavesPerEU: 1
; AccumOffset: 4
; Occupancy: 8
; WaveLimiterHint : 0
; COMPUTE_PGM_RSRC2:SCRATCH_EN: 0
; COMPUTE_PGM_RSRC2:USER_SGPR: 6
; COMPUTE_PGM_RSRC2:TRAP_HANDLER: 0
; COMPUTE_PGM_RSRC2:TGID_X_EN: 1
; COMPUTE_PGM_RSRC2:TGID_Y_EN: 0
; COMPUTE_PGM_RSRC2:TGID_Z_EN: 0
; COMPUTE_PGM_RSRC2:TIDIG_COMP_CNT: 0
; COMPUTE_PGM_RSRC3_GFX90A:ACCUM_OFFSET: 0
; COMPUTE_PGM_RSRC3_GFX90A:TG_SPLIT: 0
	.section	.text._ZN7rocprim17ROCPRIM_400000_NS6detail17trampoline_kernelINS0_14default_configENS1_35radix_sort_onesweep_config_selectorIdlEEZZNS1_29radix_sort_onesweep_iterationIS3_Lb0EPdS7_N6thrust23THRUST_200600_302600_NS10device_ptrIlEESB_jNS0_19identity_decomposerENS1_16block_id_wrapperIjLb0EEEEE10hipError_tT1_PNSt15iterator_traitsISG_E10value_typeET2_T3_PNSH_ISM_E10value_typeET4_T5_PSR_SS_PNS1_23onesweep_lookback_stateEbbT6_jjT7_P12ihipStream_tbENKUlT_T0_SG_SL_E_clIS7_S7_SB_PlEEDaSZ_S10_SG_SL_EUlSZ_E_NS1_11comp_targetILNS1_3genE0ELNS1_11target_archE4294967295ELNS1_3gpuE0ELNS1_3repE0EEENS1_47radix_sort_onesweep_sort_config_static_selectorELNS0_4arch9wavefront6targetE1EEEvSG_,"axG",@progbits,_ZN7rocprim17ROCPRIM_400000_NS6detail17trampoline_kernelINS0_14default_configENS1_35radix_sort_onesweep_config_selectorIdlEEZZNS1_29radix_sort_onesweep_iterationIS3_Lb0EPdS7_N6thrust23THRUST_200600_302600_NS10device_ptrIlEESB_jNS0_19identity_decomposerENS1_16block_id_wrapperIjLb0EEEEE10hipError_tT1_PNSt15iterator_traitsISG_E10value_typeET2_T3_PNSH_ISM_E10value_typeET4_T5_PSR_SS_PNS1_23onesweep_lookback_stateEbbT6_jjT7_P12ihipStream_tbENKUlT_T0_SG_SL_E_clIS7_S7_SB_PlEEDaSZ_S10_SG_SL_EUlSZ_E_NS1_11comp_targetILNS1_3genE0ELNS1_11target_archE4294967295ELNS1_3gpuE0ELNS1_3repE0EEENS1_47radix_sort_onesweep_sort_config_static_selectorELNS0_4arch9wavefront6targetE1EEEvSG_,comdat
	.protected	_ZN7rocprim17ROCPRIM_400000_NS6detail17trampoline_kernelINS0_14default_configENS1_35radix_sort_onesweep_config_selectorIdlEEZZNS1_29radix_sort_onesweep_iterationIS3_Lb0EPdS7_N6thrust23THRUST_200600_302600_NS10device_ptrIlEESB_jNS0_19identity_decomposerENS1_16block_id_wrapperIjLb0EEEEE10hipError_tT1_PNSt15iterator_traitsISG_E10value_typeET2_T3_PNSH_ISM_E10value_typeET4_T5_PSR_SS_PNS1_23onesweep_lookback_stateEbbT6_jjT7_P12ihipStream_tbENKUlT_T0_SG_SL_E_clIS7_S7_SB_PlEEDaSZ_S10_SG_SL_EUlSZ_E_NS1_11comp_targetILNS1_3genE0ELNS1_11target_archE4294967295ELNS1_3gpuE0ELNS1_3repE0EEENS1_47radix_sort_onesweep_sort_config_static_selectorELNS0_4arch9wavefront6targetE1EEEvSG_ ; -- Begin function _ZN7rocprim17ROCPRIM_400000_NS6detail17trampoline_kernelINS0_14default_configENS1_35radix_sort_onesweep_config_selectorIdlEEZZNS1_29radix_sort_onesweep_iterationIS3_Lb0EPdS7_N6thrust23THRUST_200600_302600_NS10device_ptrIlEESB_jNS0_19identity_decomposerENS1_16block_id_wrapperIjLb0EEEEE10hipError_tT1_PNSt15iterator_traitsISG_E10value_typeET2_T3_PNSH_ISM_E10value_typeET4_T5_PSR_SS_PNS1_23onesweep_lookback_stateEbbT6_jjT7_P12ihipStream_tbENKUlT_T0_SG_SL_E_clIS7_S7_SB_PlEEDaSZ_S10_SG_SL_EUlSZ_E_NS1_11comp_targetILNS1_3genE0ELNS1_11target_archE4294967295ELNS1_3gpuE0ELNS1_3repE0EEENS1_47radix_sort_onesweep_sort_config_static_selectorELNS0_4arch9wavefront6targetE1EEEvSG_
	.globl	_ZN7rocprim17ROCPRIM_400000_NS6detail17trampoline_kernelINS0_14default_configENS1_35radix_sort_onesweep_config_selectorIdlEEZZNS1_29radix_sort_onesweep_iterationIS3_Lb0EPdS7_N6thrust23THRUST_200600_302600_NS10device_ptrIlEESB_jNS0_19identity_decomposerENS1_16block_id_wrapperIjLb0EEEEE10hipError_tT1_PNSt15iterator_traitsISG_E10value_typeET2_T3_PNSH_ISM_E10value_typeET4_T5_PSR_SS_PNS1_23onesweep_lookback_stateEbbT6_jjT7_P12ihipStream_tbENKUlT_T0_SG_SL_E_clIS7_S7_SB_PlEEDaSZ_S10_SG_SL_EUlSZ_E_NS1_11comp_targetILNS1_3genE0ELNS1_11target_archE4294967295ELNS1_3gpuE0ELNS1_3repE0EEENS1_47radix_sort_onesweep_sort_config_static_selectorELNS0_4arch9wavefront6targetE1EEEvSG_
	.p2align	8
	.type	_ZN7rocprim17ROCPRIM_400000_NS6detail17trampoline_kernelINS0_14default_configENS1_35radix_sort_onesweep_config_selectorIdlEEZZNS1_29radix_sort_onesweep_iterationIS3_Lb0EPdS7_N6thrust23THRUST_200600_302600_NS10device_ptrIlEESB_jNS0_19identity_decomposerENS1_16block_id_wrapperIjLb0EEEEE10hipError_tT1_PNSt15iterator_traitsISG_E10value_typeET2_T3_PNSH_ISM_E10value_typeET4_T5_PSR_SS_PNS1_23onesweep_lookback_stateEbbT6_jjT7_P12ihipStream_tbENKUlT_T0_SG_SL_E_clIS7_S7_SB_PlEEDaSZ_S10_SG_SL_EUlSZ_E_NS1_11comp_targetILNS1_3genE0ELNS1_11target_archE4294967295ELNS1_3gpuE0ELNS1_3repE0EEENS1_47radix_sort_onesweep_sort_config_static_selectorELNS0_4arch9wavefront6targetE1EEEvSG_,@function
_ZN7rocprim17ROCPRIM_400000_NS6detail17trampoline_kernelINS0_14default_configENS1_35radix_sort_onesweep_config_selectorIdlEEZZNS1_29radix_sort_onesweep_iterationIS3_Lb0EPdS7_N6thrust23THRUST_200600_302600_NS10device_ptrIlEESB_jNS0_19identity_decomposerENS1_16block_id_wrapperIjLb0EEEEE10hipError_tT1_PNSt15iterator_traitsISG_E10value_typeET2_T3_PNSH_ISM_E10value_typeET4_T5_PSR_SS_PNS1_23onesweep_lookback_stateEbbT6_jjT7_P12ihipStream_tbENKUlT_T0_SG_SL_E_clIS7_S7_SB_PlEEDaSZ_S10_SG_SL_EUlSZ_E_NS1_11comp_targetILNS1_3genE0ELNS1_11target_archE4294967295ELNS1_3gpuE0ELNS1_3repE0EEENS1_47radix_sort_onesweep_sort_config_static_selectorELNS0_4arch9wavefront6targetE1EEEvSG_: ; @_ZN7rocprim17ROCPRIM_400000_NS6detail17trampoline_kernelINS0_14default_configENS1_35radix_sort_onesweep_config_selectorIdlEEZZNS1_29radix_sort_onesweep_iterationIS3_Lb0EPdS7_N6thrust23THRUST_200600_302600_NS10device_ptrIlEESB_jNS0_19identity_decomposerENS1_16block_id_wrapperIjLb0EEEEE10hipError_tT1_PNSt15iterator_traitsISG_E10value_typeET2_T3_PNSH_ISM_E10value_typeET4_T5_PSR_SS_PNS1_23onesweep_lookback_stateEbbT6_jjT7_P12ihipStream_tbENKUlT_T0_SG_SL_E_clIS7_S7_SB_PlEEDaSZ_S10_SG_SL_EUlSZ_E_NS1_11comp_targetILNS1_3genE0ELNS1_11target_archE4294967295ELNS1_3gpuE0ELNS1_3repE0EEENS1_47radix_sort_onesweep_sort_config_static_selectorELNS0_4arch9wavefront6targetE1EEEvSG_
; %bb.0:
	.section	.rodata,"a",@progbits
	.p2align	6, 0x0
	.amdhsa_kernel _ZN7rocprim17ROCPRIM_400000_NS6detail17trampoline_kernelINS0_14default_configENS1_35radix_sort_onesweep_config_selectorIdlEEZZNS1_29radix_sort_onesweep_iterationIS3_Lb0EPdS7_N6thrust23THRUST_200600_302600_NS10device_ptrIlEESB_jNS0_19identity_decomposerENS1_16block_id_wrapperIjLb0EEEEE10hipError_tT1_PNSt15iterator_traitsISG_E10value_typeET2_T3_PNSH_ISM_E10value_typeET4_T5_PSR_SS_PNS1_23onesweep_lookback_stateEbbT6_jjT7_P12ihipStream_tbENKUlT_T0_SG_SL_E_clIS7_S7_SB_PlEEDaSZ_S10_SG_SL_EUlSZ_E_NS1_11comp_targetILNS1_3genE0ELNS1_11target_archE4294967295ELNS1_3gpuE0ELNS1_3repE0EEENS1_47radix_sort_onesweep_sort_config_static_selectorELNS0_4arch9wavefront6targetE1EEEvSG_
		.amdhsa_group_segment_fixed_size 0
		.amdhsa_private_segment_fixed_size 0
		.amdhsa_kernarg_size 88
		.amdhsa_user_sgpr_count 6
		.amdhsa_user_sgpr_private_segment_buffer 1
		.amdhsa_user_sgpr_dispatch_ptr 0
		.amdhsa_user_sgpr_queue_ptr 0
		.amdhsa_user_sgpr_kernarg_segment_ptr 1
		.amdhsa_user_sgpr_dispatch_id 0
		.amdhsa_user_sgpr_flat_scratch_init 0
		.amdhsa_user_sgpr_kernarg_preload_length 0
		.amdhsa_user_sgpr_kernarg_preload_offset 0
		.amdhsa_user_sgpr_private_segment_size 0
		.amdhsa_uses_dynamic_stack 0
		.amdhsa_system_sgpr_private_segment_wavefront_offset 0
		.amdhsa_system_sgpr_workgroup_id_x 1
		.amdhsa_system_sgpr_workgroup_id_y 0
		.amdhsa_system_sgpr_workgroup_id_z 0
		.amdhsa_system_sgpr_workgroup_info 0
		.amdhsa_system_vgpr_workitem_id 0
		.amdhsa_next_free_vgpr 1
		.amdhsa_next_free_sgpr 0
		.amdhsa_accum_offset 4
		.amdhsa_reserve_vcc 0
		.amdhsa_reserve_flat_scratch 0
		.amdhsa_float_round_mode_32 0
		.amdhsa_float_round_mode_16_64 0
		.amdhsa_float_denorm_mode_32 3
		.amdhsa_float_denorm_mode_16_64 3
		.amdhsa_dx10_clamp 1
		.amdhsa_ieee_mode 1
		.amdhsa_fp16_overflow 0
		.amdhsa_tg_split 0
		.amdhsa_exception_fp_ieee_invalid_op 0
		.amdhsa_exception_fp_denorm_src 0
		.amdhsa_exception_fp_ieee_div_zero 0
		.amdhsa_exception_fp_ieee_overflow 0
		.amdhsa_exception_fp_ieee_underflow 0
		.amdhsa_exception_fp_ieee_inexact 0
		.amdhsa_exception_int_div_zero 0
	.end_amdhsa_kernel
	.section	.text._ZN7rocprim17ROCPRIM_400000_NS6detail17trampoline_kernelINS0_14default_configENS1_35radix_sort_onesweep_config_selectorIdlEEZZNS1_29radix_sort_onesweep_iterationIS3_Lb0EPdS7_N6thrust23THRUST_200600_302600_NS10device_ptrIlEESB_jNS0_19identity_decomposerENS1_16block_id_wrapperIjLb0EEEEE10hipError_tT1_PNSt15iterator_traitsISG_E10value_typeET2_T3_PNSH_ISM_E10value_typeET4_T5_PSR_SS_PNS1_23onesweep_lookback_stateEbbT6_jjT7_P12ihipStream_tbENKUlT_T0_SG_SL_E_clIS7_S7_SB_PlEEDaSZ_S10_SG_SL_EUlSZ_E_NS1_11comp_targetILNS1_3genE0ELNS1_11target_archE4294967295ELNS1_3gpuE0ELNS1_3repE0EEENS1_47radix_sort_onesweep_sort_config_static_selectorELNS0_4arch9wavefront6targetE1EEEvSG_,"axG",@progbits,_ZN7rocprim17ROCPRIM_400000_NS6detail17trampoline_kernelINS0_14default_configENS1_35radix_sort_onesweep_config_selectorIdlEEZZNS1_29radix_sort_onesweep_iterationIS3_Lb0EPdS7_N6thrust23THRUST_200600_302600_NS10device_ptrIlEESB_jNS0_19identity_decomposerENS1_16block_id_wrapperIjLb0EEEEE10hipError_tT1_PNSt15iterator_traitsISG_E10value_typeET2_T3_PNSH_ISM_E10value_typeET4_T5_PSR_SS_PNS1_23onesweep_lookback_stateEbbT6_jjT7_P12ihipStream_tbENKUlT_T0_SG_SL_E_clIS7_S7_SB_PlEEDaSZ_S10_SG_SL_EUlSZ_E_NS1_11comp_targetILNS1_3genE0ELNS1_11target_archE4294967295ELNS1_3gpuE0ELNS1_3repE0EEENS1_47radix_sort_onesweep_sort_config_static_selectorELNS0_4arch9wavefront6targetE1EEEvSG_,comdat
.Lfunc_end1652:
	.size	_ZN7rocprim17ROCPRIM_400000_NS6detail17trampoline_kernelINS0_14default_configENS1_35radix_sort_onesweep_config_selectorIdlEEZZNS1_29radix_sort_onesweep_iterationIS3_Lb0EPdS7_N6thrust23THRUST_200600_302600_NS10device_ptrIlEESB_jNS0_19identity_decomposerENS1_16block_id_wrapperIjLb0EEEEE10hipError_tT1_PNSt15iterator_traitsISG_E10value_typeET2_T3_PNSH_ISM_E10value_typeET4_T5_PSR_SS_PNS1_23onesweep_lookback_stateEbbT6_jjT7_P12ihipStream_tbENKUlT_T0_SG_SL_E_clIS7_S7_SB_PlEEDaSZ_S10_SG_SL_EUlSZ_E_NS1_11comp_targetILNS1_3genE0ELNS1_11target_archE4294967295ELNS1_3gpuE0ELNS1_3repE0EEENS1_47radix_sort_onesweep_sort_config_static_selectorELNS0_4arch9wavefront6targetE1EEEvSG_, .Lfunc_end1652-_ZN7rocprim17ROCPRIM_400000_NS6detail17trampoline_kernelINS0_14default_configENS1_35radix_sort_onesweep_config_selectorIdlEEZZNS1_29radix_sort_onesweep_iterationIS3_Lb0EPdS7_N6thrust23THRUST_200600_302600_NS10device_ptrIlEESB_jNS0_19identity_decomposerENS1_16block_id_wrapperIjLb0EEEEE10hipError_tT1_PNSt15iterator_traitsISG_E10value_typeET2_T3_PNSH_ISM_E10value_typeET4_T5_PSR_SS_PNS1_23onesweep_lookback_stateEbbT6_jjT7_P12ihipStream_tbENKUlT_T0_SG_SL_E_clIS7_S7_SB_PlEEDaSZ_S10_SG_SL_EUlSZ_E_NS1_11comp_targetILNS1_3genE0ELNS1_11target_archE4294967295ELNS1_3gpuE0ELNS1_3repE0EEENS1_47radix_sort_onesweep_sort_config_static_selectorELNS0_4arch9wavefront6targetE1EEEvSG_
                                        ; -- End function
	.section	.AMDGPU.csdata,"",@progbits
; Kernel info:
; codeLenInByte = 0
; NumSgprs: 4
; NumVgprs: 0
; NumAgprs: 0
; TotalNumVgprs: 0
; ScratchSize: 0
; MemoryBound: 0
; FloatMode: 240
; IeeeMode: 1
; LDSByteSize: 0 bytes/workgroup (compile time only)
; SGPRBlocks: 0
; VGPRBlocks: 0
; NumSGPRsForWavesPerEU: 4
; NumVGPRsForWavesPerEU: 1
; AccumOffset: 4
; Occupancy: 8
; WaveLimiterHint : 0
; COMPUTE_PGM_RSRC2:SCRATCH_EN: 0
; COMPUTE_PGM_RSRC2:USER_SGPR: 6
; COMPUTE_PGM_RSRC2:TRAP_HANDLER: 0
; COMPUTE_PGM_RSRC2:TGID_X_EN: 1
; COMPUTE_PGM_RSRC2:TGID_Y_EN: 0
; COMPUTE_PGM_RSRC2:TGID_Z_EN: 0
; COMPUTE_PGM_RSRC2:TIDIG_COMP_CNT: 0
; COMPUTE_PGM_RSRC3_GFX90A:ACCUM_OFFSET: 0
; COMPUTE_PGM_RSRC3_GFX90A:TG_SPLIT: 0
	.section	.text._ZN7rocprim17ROCPRIM_400000_NS6detail17trampoline_kernelINS0_14default_configENS1_35radix_sort_onesweep_config_selectorIdlEEZZNS1_29radix_sort_onesweep_iterationIS3_Lb0EPdS7_N6thrust23THRUST_200600_302600_NS10device_ptrIlEESB_jNS0_19identity_decomposerENS1_16block_id_wrapperIjLb0EEEEE10hipError_tT1_PNSt15iterator_traitsISG_E10value_typeET2_T3_PNSH_ISM_E10value_typeET4_T5_PSR_SS_PNS1_23onesweep_lookback_stateEbbT6_jjT7_P12ihipStream_tbENKUlT_T0_SG_SL_E_clIS7_S7_SB_PlEEDaSZ_S10_SG_SL_EUlSZ_E_NS1_11comp_targetILNS1_3genE6ELNS1_11target_archE950ELNS1_3gpuE13ELNS1_3repE0EEENS1_47radix_sort_onesweep_sort_config_static_selectorELNS0_4arch9wavefront6targetE1EEEvSG_,"axG",@progbits,_ZN7rocprim17ROCPRIM_400000_NS6detail17trampoline_kernelINS0_14default_configENS1_35radix_sort_onesweep_config_selectorIdlEEZZNS1_29radix_sort_onesweep_iterationIS3_Lb0EPdS7_N6thrust23THRUST_200600_302600_NS10device_ptrIlEESB_jNS0_19identity_decomposerENS1_16block_id_wrapperIjLb0EEEEE10hipError_tT1_PNSt15iterator_traitsISG_E10value_typeET2_T3_PNSH_ISM_E10value_typeET4_T5_PSR_SS_PNS1_23onesweep_lookback_stateEbbT6_jjT7_P12ihipStream_tbENKUlT_T0_SG_SL_E_clIS7_S7_SB_PlEEDaSZ_S10_SG_SL_EUlSZ_E_NS1_11comp_targetILNS1_3genE6ELNS1_11target_archE950ELNS1_3gpuE13ELNS1_3repE0EEENS1_47radix_sort_onesweep_sort_config_static_selectorELNS0_4arch9wavefront6targetE1EEEvSG_,comdat
	.protected	_ZN7rocprim17ROCPRIM_400000_NS6detail17trampoline_kernelINS0_14default_configENS1_35radix_sort_onesweep_config_selectorIdlEEZZNS1_29radix_sort_onesweep_iterationIS3_Lb0EPdS7_N6thrust23THRUST_200600_302600_NS10device_ptrIlEESB_jNS0_19identity_decomposerENS1_16block_id_wrapperIjLb0EEEEE10hipError_tT1_PNSt15iterator_traitsISG_E10value_typeET2_T3_PNSH_ISM_E10value_typeET4_T5_PSR_SS_PNS1_23onesweep_lookback_stateEbbT6_jjT7_P12ihipStream_tbENKUlT_T0_SG_SL_E_clIS7_S7_SB_PlEEDaSZ_S10_SG_SL_EUlSZ_E_NS1_11comp_targetILNS1_3genE6ELNS1_11target_archE950ELNS1_3gpuE13ELNS1_3repE0EEENS1_47radix_sort_onesweep_sort_config_static_selectorELNS0_4arch9wavefront6targetE1EEEvSG_ ; -- Begin function _ZN7rocprim17ROCPRIM_400000_NS6detail17trampoline_kernelINS0_14default_configENS1_35radix_sort_onesweep_config_selectorIdlEEZZNS1_29radix_sort_onesweep_iterationIS3_Lb0EPdS7_N6thrust23THRUST_200600_302600_NS10device_ptrIlEESB_jNS0_19identity_decomposerENS1_16block_id_wrapperIjLb0EEEEE10hipError_tT1_PNSt15iterator_traitsISG_E10value_typeET2_T3_PNSH_ISM_E10value_typeET4_T5_PSR_SS_PNS1_23onesweep_lookback_stateEbbT6_jjT7_P12ihipStream_tbENKUlT_T0_SG_SL_E_clIS7_S7_SB_PlEEDaSZ_S10_SG_SL_EUlSZ_E_NS1_11comp_targetILNS1_3genE6ELNS1_11target_archE950ELNS1_3gpuE13ELNS1_3repE0EEENS1_47radix_sort_onesweep_sort_config_static_selectorELNS0_4arch9wavefront6targetE1EEEvSG_
	.globl	_ZN7rocprim17ROCPRIM_400000_NS6detail17trampoline_kernelINS0_14default_configENS1_35radix_sort_onesweep_config_selectorIdlEEZZNS1_29radix_sort_onesweep_iterationIS3_Lb0EPdS7_N6thrust23THRUST_200600_302600_NS10device_ptrIlEESB_jNS0_19identity_decomposerENS1_16block_id_wrapperIjLb0EEEEE10hipError_tT1_PNSt15iterator_traitsISG_E10value_typeET2_T3_PNSH_ISM_E10value_typeET4_T5_PSR_SS_PNS1_23onesweep_lookback_stateEbbT6_jjT7_P12ihipStream_tbENKUlT_T0_SG_SL_E_clIS7_S7_SB_PlEEDaSZ_S10_SG_SL_EUlSZ_E_NS1_11comp_targetILNS1_3genE6ELNS1_11target_archE950ELNS1_3gpuE13ELNS1_3repE0EEENS1_47radix_sort_onesweep_sort_config_static_selectorELNS0_4arch9wavefront6targetE1EEEvSG_
	.p2align	8
	.type	_ZN7rocprim17ROCPRIM_400000_NS6detail17trampoline_kernelINS0_14default_configENS1_35radix_sort_onesweep_config_selectorIdlEEZZNS1_29radix_sort_onesweep_iterationIS3_Lb0EPdS7_N6thrust23THRUST_200600_302600_NS10device_ptrIlEESB_jNS0_19identity_decomposerENS1_16block_id_wrapperIjLb0EEEEE10hipError_tT1_PNSt15iterator_traitsISG_E10value_typeET2_T3_PNSH_ISM_E10value_typeET4_T5_PSR_SS_PNS1_23onesweep_lookback_stateEbbT6_jjT7_P12ihipStream_tbENKUlT_T0_SG_SL_E_clIS7_S7_SB_PlEEDaSZ_S10_SG_SL_EUlSZ_E_NS1_11comp_targetILNS1_3genE6ELNS1_11target_archE950ELNS1_3gpuE13ELNS1_3repE0EEENS1_47radix_sort_onesweep_sort_config_static_selectorELNS0_4arch9wavefront6targetE1EEEvSG_,@function
_ZN7rocprim17ROCPRIM_400000_NS6detail17trampoline_kernelINS0_14default_configENS1_35radix_sort_onesweep_config_selectorIdlEEZZNS1_29radix_sort_onesweep_iterationIS3_Lb0EPdS7_N6thrust23THRUST_200600_302600_NS10device_ptrIlEESB_jNS0_19identity_decomposerENS1_16block_id_wrapperIjLb0EEEEE10hipError_tT1_PNSt15iterator_traitsISG_E10value_typeET2_T3_PNSH_ISM_E10value_typeET4_T5_PSR_SS_PNS1_23onesweep_lookback_stateEbbT6_jjT7_P12ihipStream_tbENKUlT_T0_SG_SL_E_clIS7_S7_SB_PlEEDaSZ_S10_SG_SL_EUlSZ_E_NS1_11comp_targetILNS1_3genE6ELNS1_11target_archE950ELNS1_3gpuE13ELNS1_3repE0EEENS1_47radix_sort_onesweep_sort_config_static_selectorELNS0_4arch9wavefront6targetE1EEEvSG_: ; @_ZN7rocprim17ROCPRIM_400000_NS6detail17trampoline_kernelINS0_14default_configENS1_35radix_sort_onesweep_config_selectorIdlEEZZNS1_29radix_sort_onesweep_iterationIS3_Lb0EPdS7_N6thrust23THRUST_200600_302600_NS10device_ptrIlEESB_jNS0_19identity_decomposerENS1_16block_id_wrapperIjLb0EEEEE10hipError_tT1_PNSt15iterator_traitsISG_E10value_typeET2_T3_PNSH_ISM_E10value_typeET4_T5_PSR_SS_PNS1_23onesweep_lookback_stateEbbT6_jjT7_P12ihipStream_tbENKUlT_T0_SG_SL_E_clIS7_S7_SB_PlEEDaSZ_S10_SG_SL_EUlSZ_E_NS1_11comp_targetILNS1_3genE6ELNS1_11target_archE950ELNS1_3gpuE13ELNS1_3repE0EEENS1_47radix_sort_onesweep_sort_config_static_selectorELNS0_4arch9wavefront6targetE1EEEvSG_
; %bb.0:
	.section	.rodata,"a",@progbits
	.p2align	6, 0x0
	.amdhsa_kernel _ZN7rocprim17ROCPRIM_400000_NS6detail17trampoline_kernelINS0_14default_configENS1_35radix_sort_onesweep_config_selectorIdlEEZZNS1_29radix_sort_onesweep_iterationIS3_Lb0EPdS7_N6thrust23THRUST_200600_302600_NS10device_ptrIlEESB_jNS0_19identity_decomposerENS1_16block_id_wrapperIjLb0EEEEE10hipError_tT1_PNSt15iterator_traitsISG_E10value_typeET2_T3_PNSH_ISM_E10value_typeET4_T5_PSR_SS_PNS1_23onesweep_lookback_stateEbbT6_jjT7_P12ihipStream_tbENKUlT_T0_SG_SL_E_clIS7_S7_SB_PlEEDaSZ_S10_SG_SL_EUlSZ_E_NS1_11comp_targetILNS1_3genE6ELNS1_11target_archE950ELNS1_3gpuE13ELNS1_3repE0EEENS1_47radix_sort_onesweep_sort_config_static_selectorELNS0_4arch9wavefront6targetE1EEEvSG_
		.amdhsa_group_segment_fixed_size 0
		.amdhsa_private_segment_fixed_size 0
		.amdhsa_kernarg_size 88
		.amdhsa_user_sgpr_count 6
		.amdhsa_user_sgpr_private_segment_buffer 1
		.amdhsa_user_sgpr_dispatch_ptr 0
		.amdhsa_user_sgpr_queue_ptr 0
		.amdhsa_user_sgpr_kernarg_segment_ptr 1
		.amdhsa_user_sgpr_dispatch_id 0
		.amdhsa_user_sgpr_flat_scratch_init 0
		.amdhsa_user_sgpr_kernarg_preload_length 0
		.amdhsa_user_sgpr_kernarg_preload_offset 0
		.amdhsa_user_sgpr_private_segment_size 0
		.amdhsa_uses_dynamic_stack 0
		.amdhsa_system_sgpr_private_segment_wavefront_offset 0
		.amdhsa_system_sgpr_workgroup_id_x 1
		.amdhsa_system_sgpr_workgroup_id_y 0
		.amdhsa_system_sgpr_workgroup_id_z 0
		.amdhsa_system_sgpr_workgroup_info 0
		.amdhsa_system_vgpr_workitem_id 0
		.amdhsa_next_free_vgpr 1
		.amdhsa_next_free_sgpr 0
		.amdhsa_accum_offset 4
		.amdhsa_reserve_vcc 0
		.amdhsa_reserve_flat_scratch 0
		.amdhsa_float_round_mode_32 0
		.amdhsa_float_round_mode_16_64 0
		.amdhsa_float_denorm_mode_32 3
		.amdhsa_float_denorm_mode_16_64 3
		.amdhsa_dx10_clamp 1
		.amdhsa_ieee_mode 1
		.amdhsa_fp16_overflow 0
		.amdhsa_tg_split 0
		.amdhsa_exception_fp_ieee_invalid_op 0
		.amdhsa_exception_fp_denorm_src 0
		.amdhsa_exception_fp_ieee_div_zero 0
		.amdhsa_exception_fp_ieee_overflow 0
		.amdhsa_exception_fp_ieee_underflow 0
		.amdhsa_exception_fp_ieee_inexact 0
		.amdhsa_exception_int_div_zero 0
	.end_amdhsa_kernel
	.section	.text._ZN7rocprim17ROCPRIM_400000_NS6detail17trampoline_kernelINS0_14default_configENS1_35radix_sort_onesweep_config_selectorIdlEEZZNS1_29radix_sort_onesweep_iterationIS3_Lb0EPdS7_N6thrust23THRUST_200600_302600_NS10device_ptrIlEESB_jNS0_19identity_decomposerENS1_16block_id_wrapperIjLb0EEEEE10hipError_tT1_PNSt15iterator_traitsISG_E10value_typeET2_T3_PNSH_ISM_E10value_typeET4_T5_PSR_SS_PNS1_23onesweep_lookback_stateEbbT6_jjT7_P12ihipStream_tbENKUlT_T0_SG_SL_E_clIS7_S7_SB_PlEEDaSZ_S10_SG_SL_EUlSZ_E_NS1_11comp_targetILNS1_3genE6ELNS1_11target_archE950ELNS1_3gpuE13ELNS1_3repE0EEENS1_47radix_sort_onesweep_sort_config_static_selectorELNS0_4arch9wavefront6targetE1EEEvSG_,"axG",@progbits,_ZN7rocprim17ROCPRIM_400000_NS6detail17trampoline_kernelINS0_14default_configENS1_35radix_sort_onesweep_config_selectorIdlEEZZNS1_29radix_sort_onesweep_iterationIS3_Lb0EPdS7_N6thrust23THRUST_200600_302600_NS10device_ptrIlEESB_jNS0_19identity_decomposerENS1_16block_id_wrapperIjLb0EEEEE10hipError_tT1_PNSt15iterator_traitsISG_E10value_typeET2_T3_PNSH_ISM_E10value_typeET4_T5_PSR_SS_PNS1_23onesweep_lookback_stateEbbT6_jjT7_P12ihipStream_tbENKUlT_T0_SG_SL_E_clIS7_S7_SB_PlEEDaSZ_S10_SG_SL_EUlSZ_E_NS1_11comp_targetILNS1_3genE6ELNS1_11target_archE950ELNS1_3gpuE13ELNS1_3repE0EEENS1_47radix_sort_onesweep_sort_config_static_selectorELNS0_4arch9wavefront6targetE1EEEvSG_,comdat
.Lfunc_end1653:
	.size	_ZN7rocprim17ROCPRIM_400000_NS6detail17trampoline_kernelINS0_14default_configENS1_35radix_sort_onesweep_config_selectorIdlEEZZNS1_29radix_sort_onesweep_iterationIS3_Lb0EPdS7_N6thrust23THRUST_200600_302600_NS10device_ptrIlEESB_jNS0_19identity_decomposerENS1_16block_id_wrapperIjLb0EEEEE10hipError_tT1_PNSt15iterator_traitsISG_E10value_typeET2_T3_PNSH_ISM_E10value_typeET4_T5_PSR_SS_PNS1_23onesweep_lookback_stateEbbT6_jjT7_P12ihipStream_tbENKUlT_T0_SG_SL_E_clIS7_S7_SB_PlEEDaSZ_S10_SG_SL_EUlSZ_E_NS1_11comp_targetILNS1_3genE6ELNS1_11target_archE950ELNS1_3gpuE13ELNS1_3repE0EEENS1_47radix_sort_onesweep_sort_config_static_selectorELNS0_4arch9wavefront6targetE1EEEvSG_, .Lfunc_end1653-_ZN7rocprim17ROCPRIM_400000_NS6detail17trampoline_kernelINS0_14default_configENS1_35radix_sort_onesweep_config_selectorIdlEEZZNS1_29radix_sort_onesweep_iterationIS3_Lb0EPdS7_N6thrust23THRUST_200600_302600_NS10device_ptrIlEESB_jNS0_19identity_decomposerENS1_16block_id_wrapperIjLb0EEEEE10hipError_tT1_PNSt15iterator_traitsISG_E10value_typeET2_T3_PNSH_ISM_E10value_typeET4_T5_PSR_SS_PNS1_23onesweep_lookback_stateEbbT6_jjT7_P12ihipStream_tbENKUlT_T0_SG_SL_E_clIS7_S7_SB_PlEEDaSZ_S10_SG_SL_EUlSZ_E_NS1_11comp_targetILNS1_3genE6ELNS1_11target_archE950ELNS1_3gpuE13ELNS1_3repE0EEENS1_47radix_sort_onesweep_sort_config_static_selectorELNS0_4arch9wavefront6targetE1EEEvSG_
                                        ; -- End function
	.section	.AMDGPU.csdata,"",@progbits
; Kernel info:
; codeLenInByte = 0
; NumSgprs: 4
; NumVgprs: 0
; NumAgprs: 0
; TotalNumVgprs: 0
; ScratchSize: 0
; MemoryBound: 0
; FloatMode: 240
; IeeeMode: 1
; LDSByteSize: 0 bytes/workgroup (compile time only)
; SGPRBlocks: 0
; VGPRBlocks: 0
; NumSGPRsForWavesPerEU: 4
; NumVGPRsForWavesPerEU: 1
; AccumOffset: 4
; Occupancy: 8
; WaveLimiterHint : 0
; COMPUTE_PGM_RSRC2:SCRATCH_EN: 0
; COMPUTE_PGM_RSRC2:USER_SGPR: 6
; COMPUTE_PGM_RSRC2:TRAP_HANDLER: 0
; COMPUTE_PGM_RSRC2:TGID_X_EN: 1
; COMPUTE_PGM_RSRC2:TGID_Y_EN: 0
; COMPUTE_PGM_RSRC2:TGID_Z_EN: 0
; COMPUTE_PGM_RSRC2:TIDIG_COMP_CNT: 0
; COMPUTE_PGM_RSRC3_GFX90A:ACCUM_OFFSET: 0
; COMPUTE_PGM_RSRC3_GFX90A:TG_SPLIT: 0
	.section	.text._ZN7rocprim17ROCPRIM_400000_NS6detail17trampoline_kernelINS0_14default_configENS1_35radix_sort_onesweep_config_selectorIdlEEZZNS1_29radix_sort_onesweep_iterationIS3_Lb0EPdS7_N6thrust23THRUST_200600_302600_NS10device_ptrIlEESB_jNS0_19identity_decomposerENS1_16block_id_wrapperIjLb0EEEEE10hipError_tT1_PNSt15iterator_traitsISG_E10value_typeET2_T3_PNSH_ISM_E10value_typeET4_T5_PSR_SS_PNS1_23onesweep_lookback_stateEbbT6_jjT7_P12ihipStream_tbENKUlT_T0_SG_SL_E_clIS7_S7_SB_PlEEDaSZ_S10_SG_SL_EUlSZ_E_NS1_11comp_targetILNS1_3genE5ELNS1_11target_archE942ELNS1_3gpuE9ELNS1_3repE0EEENS1_47radix_sort_onesweep_sort_config_static_selectorELNS0_4arch9wavefront6targetE1EEEvSG_,"axG",@progbits,_ZN7rocprim17ROCPRIM_400000_NS6detail17trampoline_kernelINS0_14default_configENS1_35radix_sort_onesweep_config_selectorIdlEEZZNS1_29radix_sort_onesweep_iterationIS3_Lb0EPdS7_N6thrust23THRUST_200600_302600_NS10device_ptrIlEESB_jNS0_19identity_decomposerENS1_16block_id_wrapperIjLb0EEEEE10hipError_tT1_PNSt15iterator_traitsISG_E10value_typeET2_T3_PNSH_ISM_E10value_typeET4_T5_PSR_SS_PNS1_23onesweep_lookback_stateEbbT6_jjT7_P12ihipStream_tbENKUlT_T0_SG_SL_E_clIS7_S7_SB_PlEEDaSZ_S10_SG_SL_EUlSZ_E_NS1_11comp_targetILNS1_3genE5ELNS1_11target_archE942ELNS1_3gpuE9ELNS1_3repE0EEENS1_47radix_sort_onesweep_sort_config_static_selectorELNS0_4arch9wavefront6targetE1EEEvSG_,comdat
	.protected	_ZN7rocprim17ROCPRIM_400000_NS6detail17trampoline_kernelINS0_14default_configENS1_35radix_sort_onesweep_config_selectorIdlEEZZNS1_29radix_sort_onesweep_iterationIS3_Lb0EPdS7_N6thrust23THRUST_200600_302600_NS10device_ptrIlEESB_jNS0_19identity_decomposerENS1_16block_id_wrapperIjLb0EEEEE10hipError_tT1_PNSt15iterator_traitsISG_E10value_typeET2_T3_PNSH_ISM_E10value_typeET4_T5_PSR_SS_PNS1_23onesweep_lookback_stateEbbT6_jjT7_P12ihipStream_tbENKUlT_T0_SG_SL_E_clIS7_S7_SB_PlEEDaSZ_S10_SG_SL_EUlSZ_E_NS1_11comp_targetILNS1_3genE5ELNS1_11target_archE942ELNS1_3gpuE9ELNS1_3repE0EEENS1_47radix_sort_onesweep_sort_config_static_selectorELNS0_4arch9wavefront6targetE1EEEvSG_ ; -- Begin function _ZN7rocprim17ROCPRIM_400000_NS6detail17trampoline_kernelINS0_14default_configENS1_35radix_sort_onesweep_config_selectorIdlEEZZNS1_29radix_sort_onesweep_iterationIS3_Lb0EPdS7_N6thrust23THRUST_200600_302600_NS10device_ptrIlEESB_jNS0_19identity_decomposerENS1_16block_id_wrapperIjLb0EEEEE10hipError_tT1_PNSt15iterator_traitsISG_E10value_typeET2_T3_PNSH_ISM_E10value_typeET4_T5_PSR_SS_PNS1_23onesweep_lookback_stateEbbT6_jjT7_P12ihipStream_tbENKUlT_T0_SG_SL_E_clIS7_S7_SB_PlEEDaSZ_S10_SG_SL_EUlSZ_E_NS1_11comp_targetILNS1_3genE5ELNS1_11target_archE942ELNS1_3gpuE9ELNS1_3repE0EEENS1_47radix_sort_onesweep_sort_config_static_selectorELNS0_4arch9wavefront6targetE1EEEvSG_
	.globl	_ZN7rocprim17ROCPRIM_400000_NS6detail17trampoline_kernelINS0_14default_configENS1_35radix_sort_onesweep_config_selectorIdlEEZZNS1_29radix_sort_onesweep_iterationIS3_Lb0EPdS7_N6thrust23THRUST_200600_302600_NS10device_ptrIlEESB_jNS0_19identity_decomposerENS1_16block_id_wrapperIjLb0EEEEE10hipError_tT1_PNSt15iterator_traitsISG_E10value_typeET2_T3_PNSH_ISM_E10value_typeET4_T5_PSR_SS_PNS1_23onesweep_lookback_stateEbbT6_jjT7_P12ihipStream_tbENKUlT_T0_SG_SL_E_clIS7_S7_SB_PlEEDaSZ_S10_SG_SL_EUlSZ_E_NS1_11comp_targetILNS1_3genE5ELNS1_11target_archE942ELNS1_3gpuE9ELNS1_3repE0EEENS1_47radix_sort_onesweep_sort_config_static_selectorELNS0_4arch9wavefront6targetE1EEEvSG_
	.p2align	8
	.type	_ZN7rocprim17ROCPRIM_400000_NS6detail17trampoline_kernelINS0_14default_configENS1_35radix_sort_onesweep_config_selectorIdlEEZZNS1_29radix_sort_onesweep_iterationIS3_Lb0EPdS7_N6thrust23THRUST_200600_302600_NS10device_ptrIlEESB_jNS0_19identity_decomposerENS1_16block_id_wrapperIjLb0EEEEE10hipError_tT1_PNSt15iterator_traitsISG_E10value_typeET2_T3_PNSH_ISM_E10value_typeET4_T5_PSR_SS_PNS1_23onesweep_lookback_stateEbbT6_jjT7_P12ihipStream_tbENKUlT_T0_SG_SL_E_clIS7_S7_SB_PlEEDaSZ_S10_SG_SL_EUlSZ_E_NS1_11comp_targetILNS1_3genE5ELNS1_11target_archE942ELNS1_3gpuE9ELNS1_3repE0EEENS1_47radix_sort_onesweep_sort_config_static_selectorELNS0_4arch9wavefront6targetE1EEEvSG_,@function
_ZN7rocprim17ROCPRIM_400000_NS6detail17trampoline_kernelINS0_14default_configENS1_35radix_sort_onesweep_config_selectorIdlEEZZNS1_29radix_sort_onesweep_iterationIS3_Lb0EPdS7_N6thrust23THRUST_200600_302600_NS10device_ptrIlEESB_jNS0_19identity_decomposerENS1_16block_id_wrapperIjLb0EEEEE10hipError_tT1_PNSt15iterator_traitsISG_E10value_typeET2_T3_PNSH_ISM_E10value_typeET4_T5_PSR_SS_PNS1_23onesweep_lookback_stateEbbT6_jjT7_P12ihipStream_tbENKUlT_T0_SG_SL_E_clIS7_S7_SB_PlEEDaSZ_S10_SG_SL_EUlSZ_E_NS1_11comp_targetILNS1_3genE5ELNS1_11target_archE942ELNS1_3gpuE9ELNS1_3repE0EEENS1_47radix_sort_onesweep_sort_config_static_selectorELNS0_4arch9wavefront6targetE1EEEvSG_: ; @_ZN7rocprim17ROCPRIM_400000_NS6detail17trampoline_kernelINS0_14default_configENS1_35radix_sort_onesweep_config_selectorIdlEEZZNS1_29radix_sort_onesweep_iterationIS3_Lb0EPdS7_N6thrust23THRUST_200600_302600_NS10device_ptrIlEESB_jNS0_19identity_decomposerENS1_16block_id_wrapperIjLb0EEEEE10hipError_tT1_PNSt15iterator_traitsISG_E10value_typeET2_T3_PNSH_ISM_E10value_typeET4_T5_PSR_SS_PNS1_23onesweep_lookback_stateEbbT6_jjT7_P12ihipStream_tbENKUlT_T0_SG_SL_E_clIS7_S7_SB_PlEEDaSZ_S10_SG_SL_EUlSZ_E_NS1_11comp_targetILNS1_3genE5ELNS1_11target_archE942ELNS1_3gpuE9ELNS1_3repE0EEENS1_47radix_sort_onesweep_sort_config_static_selectorELNS0_4arch9wavefront6targetE1EEEvSG_
; %bb.0:
	.section	.rodata,"a",@progbits
	.p2align	6, 0x0
	.amdhsa_kernel _ZN7rocprim17ROCPRIM_400000_NS6detail17trampoline_kernelINS0_14default_configENS1_35radix_sort_onesweep_config_selectorIdlEEZZNS1_29radix_sort_onesweep_iterationIS3_Lb0EPdS7_N6thrust23THRUST_200600_302600_NS10device_ptrIlEESB_jNS0_19identity_decomposerENS1_16block_id_wrapperIjLb0EEEEE10hipError_tT1_PNSt15iterator_traitsISG_E10value_typeET2_T3_PNSH_ISM_E10value_typeET4_T5_PSR_SS_PNS1_23onesweep_lookback_stateEbbT6_jjT7_P12ihipStream_tbENKUlT_T0_SG_SL_E_clIS7_S7_SB_PlEEDaSZ_S10_SG_SL_EUlSZ_E_NS1_11comp_targetILNS1_3genE5ELNS1_11target_archE942ELNS1_3gpuE9ELNS1_3repE0EEENS1_47radix_sort_onesweep_sort_config_static_selectorELNS0_4arch9wavefront6targetE1EEEvSG_
		.amdhsa_group_segment_fixed_size 0
		.amdhsa_private_segment_fixed_size 0
		.amdhsa_kernarg_size 88
		.amdhsa_user_sgpr_count 6
		.amdhsa_user_sgpr_private_segment_buffer 1
		.amdhsa_user_sgpr_dispatch_ptr 0
		.amdhsa_user_sgpr_queue_ptr 0
		.amdhsa_user_sgpr_kernarg_segment_ptr 1
		.amdhsa_user_sgpr_dispatch_id 0
		.amdhsa_user_sgpr_flat_scratch_init 0
		.amdhsa_user_sgpr_kernarg_preload_length 0
		.amdhsa_user_sgpr_kernarg_preload_offset 0
		.amdhsa_user_sgpr_private_segment_size 0
		.amdhsa_uses_dynamic_stack 0
		.amdhsa_system_sgpr_private_segment_wavefront_offset 0
		.amdhsa_system_sgpr_workgroup_id_x 1
		.amdhsa_system_sgpr_workgroup_id_y 0
		.amdhsa_system_sgpr_workgroup_id_z 0
		.amdhsa_system_sgpr_workgroup_info 0
		.amdhsa_system_vgpr_workitem_id 0
		.amdhsa_next_free_vgpr 1
		.amdhsa_next_free_sgpr 0
		.amdhsa_accum_offset 4
		.amdhsa_reserve_vcc 0
		.amdhsa_reserve_flat_scratch 0
		.amdhsa_float_round_mode_32 0
		.amdhsa_float_round_mode_16_64 0
		.amdhsa_float_denorm_mode_32 3
		.amdhsa_float_denorm_mode_16_64 3
		.amdhsa_dx10_clamp 1
		.amdhsa_ieee_mode 1
		.amdhsa_fp16_overflow 0
		.amdhsa_tg_split 0
		.amdhsa_exception_fp_ieee_invalid_op 0
		.amdhsa_exception_fp_denorm_src 0
		.amdhsa_exception_fp_ieee_div_zero 0
		.amdhsa_exception_fp_ieee_overflow 0
		.amdhsa_exception_fp_ieee_underflow 0
		.amdhsa_exception_fp_ieee_inexact 0
		.amdhsa_exception_int_div_zero 0
	.end_amdhsa_kernel
	.section	.text._ZN7rocprim17ROCPRIM_400000_NS6detail17trampoline_kernelINS0_14default_configENS1_35radix_sort_onesweep_config_selectorIdlEEZZNS1_29radix_sort_onesweep_iterationIS3_Lb0EPdS7_N6thrust23THRUST_200600_302600_NS10device_ptrIlEESB_jNS0_19identity_decomposerENS1_16block_id_wrapperIjLb0EEEEE10hipError_tT1_PNSt15iterator_traitsISG_E10value_typeET2_T3_PNSH_ISM_E10value_typeET4_T5_PSR_SS_PNS1_23onesweep_lookback_stateEbbT6_jjT7_P12ihipStream_tbENKUlT_T0_SG_SL_E_clIS7_S7_SB_PlEEDaSZ_S10_SG_SL_EUlSZ_E_NS1_11comp_targetILNS1_3genE5ELNS1_11target_archE942ELNS1_3gpuE9ELNS1_3repE0EEENS1_47radix_sort_onesweep_sort_config_static_selectorELNS0_4arch9wavefront6targetE1EEEvSG_,"axG",@progbits,_ZN7rocprim17ROCPRIM_400000_NS6detail17trampoline_kernelINS0_14default_configENS1_35radix_sort_onesweep_config_selectorIdlEEZZNS1_29radix_sort_onesweep_iterationIS3_Lb0EPdS7_N6thrust23THRUST_200600_302600_NS10device_ptrIlEESB_jNS0_19identity_decomposerENS1_16block_id_wrapperIjLb0EEEEE10hipError_tT1_PNSt15iterator_traitsISG_E10value_typeET2_T3_PNSH_ISM_E10value_typeET4_T5_PSR_SS_PNS1_23onesweep_lookback_stateEbbT6_jjT7_P12ihipStream_tbENKUlT_T0_SG_SL_E_clIS7_S7_SB_PlEEDaSZ_S10_SG_SL_EUlSZ_E_NS1_11comp_targetILNS1_3genE5ELNS1_11target_archE942ELNS1_3gpuE9ELNS1_3repE0EEENS1_47radix_sort_onesweep_sort_config_static_selectorELNS0_4arch9wavefront6targetE1EEEvSG_,comdat
.Lfunc_end1654:
	.size	_ZN7rocprim17ROCPRIM_400000_NS6detail17trampoline_kernelINS0_14default_configENS1_35radix_sort_onesweep_config_selectorIdlEEZZNS1_29radix_sort_onesweep_iterationIS3_Lb0EPdS7_N6thrust23THRUST_200600_302600_NS10device_ptrIlEESB_jNS0_19identity_decomposerENS1_16block_id_wrapperIjLb0EEEEE10hipError_tT1_PNSt15iterator_traitsISG_E10value_typeET2_T3_PNSH_ISM_E10value_typeET4_T5_PSR_SS_PNS1_23onesweep_lookback_stateEbbT6_jjT7_P12ihipStream_tbENKUlT_T0_SG_SL_E_clIS7_S7_SB_PlEEDaSZ_S10_SG_SL_EUlSZ_E_NS1_11comp_targetILNS1_3genE5ELNS1_11target_archE942ELNS1_3gpuE9ELNS1_3repE0EEENS1_47radix_sort_onesweep_sort_config_static_selectorELNS0_4arch9wavefront6targetE1EEEvSG_, .Lfunc_end1654-_ZN7rocprim17ROCPRIM_400000_NS6detail17trampoline_kernelINS0_14default_configENS1_35radix_sort_onesweep_config_selectorIdlEEZZNS1_29radix_sort_onesweep_iterationIS3_Lb0EPdS7_N6thrust23THRUST_200600_302600_NS10device_ptrIlEESB_jNS0_19identity_decomposerENS1_16block_id_wrapperIjLb0EEEEE10hipError_tT1_PNSt15iterator_traitsISG_E10value_typeET2_T3_PNSH_ISM_E10value_typeET4_T5_PSR_SS_PNS1_23onesweep_lookback_stateEbbT6_jjT7_P12ihipStream_tbENKUlT_T0_SG_SL_E_clIS7_S7_SB_PlEEDaSZ_S10_SG_SL_EUlSZ_E_NS1_11comp_targetILNS1_3genE5ELNS1_11target_archE942ELNS1_3gpuE9ELNS1_3repE0EEENS1_47radix_sort_onesweep_sort_config_static_selectorELNS0_4arch9wavefront6targetE1EEEvSG_
                                        ; -- End function
	.section	.AMDGPU.csdata,"",@progbits
; Kernel info:
; codeLenInByte = 0
; NumSgprs: 4
; NumVgprs: 0
; NumAgprs: 0
; TotalNumVgprs: 0
; ScratchSize: 0
; MemoryBound: 0
; FloatMode: 240
; IeeeMode: 1
; LDSByteSize: 0 bytes/workgroup (compile time only)
; SGPRBlocks: 0
; VGPRBlocks: 0
; NumSGPRsForWavesPerEU: 4
; NumVGPRsForWavesPerEU: 1
; AccumOffset: 4
; Occupancy: 8
; WaveLimiterHint : 0
; COMPUTE_PGM_RSRC2:SCRATCH_EN: 0
; COMPUTE_PGM_RSRC2:USER_SGPR: 6
; COMPUTE_PGM_RSRC2:TRAP_HANDLER: 0
; COMPUTE_PGM_RSRC2:TGID_X_EN: 1
; COMPUTE_PGM_RSRC2:TGID_Y_EN: 0
; COMPUTE_PGM_RSRC2:TGID_Z_EN: 0
; COMPUTE_PGM_RSRC2:TIDIG_COMP_CNT: 0
; COMPUTE_PGM_RSRC3_GFX90A:ACCUM_OFFSET: 0
; COMPUTE_PGM_RSRC3_GFX90A:TG_SPLIT: 0
	.section	.text._ZN7rocprim17ROCPRIM_400000_NS6detail17trampoline_kernelINS0_14default_configENS1_35radix_sort_onesweep_config_selectorIdlEEZZNS1_29radix_sort_onesweep_iterationIS3_Lb0EPdS7_N6thrust23THRUST_200600_302600_NS10device_ptrIlEESB_jNS0_19identity_decomposerENS1_16block_id_wrapperIjLb0EEEEE10hipError_tT1_PNSt15iterator_traitsISG_E10value_typeET2_T3_PNSH_ISM_E10value_typeET4_T5_PSR_SS_PNS1_23onesweep_lookback_stateEbbT6_jjT7_P12ihipStream_tbENKUlT_T0_SG_SL_E_clIS7_S7_SB_PlEEDaSZ_S10_SG_SL_EUlSZ_E_NS1_11comp_targetILNS1_3genE2ELNS1_11target_archE906ELNS1_3gpuE6ELNS1_3repE0EEENS1_47radix_sort_onesweep_sort_config_static_selectorELNS0_4arch9wavefront6targetE1EEEvSG_,"axG",@progbits,_ZN7rocprim17ROCPRIM_400000_NS6detail17trampoline_kernelINS0_14default_configENS1_35radix_sort_onesweep_config_selectorIdlEEZZNS1_29radix_sort_onesweep_iterationIS3_Lb0EPdS7_N6thrust23THRUST_200600_302600_NS10device_ptrIlEESB_jNS0_19identity_decomposerENS1_16block_id_wrapperIjLb0EEEEE10hipError_tT1_PNSt15iterator_traitsISG_E10value_typeET2_T3_PNSH_ISM_E10value_typeET4_T5_PSR_SS_PNS1_23onesweep_lookback_stateEbbT6_jjT7_P12ihipStream_tbENKUlT_T0_SG_SL_E_clIS7_S7_SB_PlEEDaSZ_S10_SG_SL_EUlSZ_E_NS1_11comp_targetILNS1_3genE2ELNS1_11target_archE906ELNS1_3gpuE6ELNS1_3repE0EEENS1_47radix_sort_onesweep_sort_config_static_selectorELNS0_4arch9wavefront6targetE1EEEvSG_,comdat
	.protected	_ZN7rocprim17ROCPRIM_400000_NS6detail17trampoline_kernelINS0_14default_configENS1_35radix_sort_onesweep_config_selectorIdlEEZZNS1_29radix_sort_onesweep_iterationIS3_Lb0EPdS7_N6thrust23THRUST_200600_302600_NS10device_ptrIlEESB_jNS0_19identity_decomposerENS1_16block_id_wrapperIjLb0EEEEE10hipError_tT1_PNSt15iterator_traitsISG_E10value_typeET2_T3_PNSH_ISM_E10value_typeET4_T5_PSR_SS_PNS1_23onesweep_lookback_stateEbbT6_jjT7_P12ihipStream_tbENKUlT_T0_SG_SL_E_clIS7_S7_SB_PlEEDaSZ_S10_SG_SL_EUlSZ_E_NS1_11comp_targetILNS1_3genE2ELNS1_11target_archE906ELNS1_3gpuE6ELNS1_3repE0EEENS1_47radix_sort_onesweep_sort_config_static_selectorELNS0_4arch9wavefront6targetE1EEEvSG_ ; -- Begin function _ZN7rocprim17ROCPRIM_400000_NS6detail17trampoline_kernelINS0_14default_configENS1_35radix_sort_onesweep_config_selectorIdlEEZZNS1_29radix_sort_onesweep_iterationIS3_Lb0EPdS7_N6thrust23THRUST_200600_302600_NS10device_ptrIlEESB_jNS0_19identity_decomposerENS1_16block_id_wrapperIjLb0EEEEE10hipError_tT1_PNSt15iterator_traitsISG_E10value_typeET2_T3_PNSH_ISM_E10value_typeET4_T5_PSR_SS_PNS1_23onesweep_lookback_stateEbbT6_jjT7_P12ihipStream_tbENKUlT_T0_SG_SL_E_clIS7_S7_SB_PlEEDaSZ_S10_SG_SL_EUlSZ_E_NS1_11comp_targetILNS1_3genE2ELNS1_11target_archE906ELNS1_3gpuE6ELNS1_3repE0EEENS1_47radix_sort_onesweep_sort_config_static_selectorELNS0_4arch9wavefront6targetE1EEEvSG_
	.globl	_ZN7rocprim17ROCPRIM_400000_NS6detail17trampoline_kernelINS0_14default_configENS1_35radix_sort_onesweep_config_selectorIdlEEZZNS1_29radix_sort_onesweep_iterationIS3_Lb0EPdS7_N6thrust23THRUST_200600_302600_NS10device_ptrIlEESB_jNS0_19identity_decomposerENS1_16block_id_wrapperIjLb0EEEEE10hipError_tT1_PNSt15iterator_traitsISG_E10value_typeET2_T3_PNSH_ISM_E10value_typeET4_T5_PSR_SS_PNS1_23onesweep_lookback_stateEbbT6_jjT7_P12ihipStream_tbENKUlT_T0_SG_SL_E_clIS7_S7_SB_PlEEDaSZ_S10_SG_SL_EUlSZ_E_NS1_11comp_targetILNS1_3genE2ELNS1_11target_archE906ELNS1_3gpuE6ELNS1_3repE0EEENS1_47radix_sort_onesweep_sort_config_static_selectorELNS0_4arch9wavefront6targetE1EEEvSG_
	.p2align	8
	.type	_ZN7rocprim17ROCPRIM_400000_NS6detail17trampoline_kernelINS0_14default_configENS1_35radix_sort_onesweep_config_selectorIdlEEZZNS1_29radix_sort_onesweep_iterationIS3_Lb0EPdS7_N6thrust23THRUST_200600_302600_NS10device_ptrIlEESB_jNS0_19identity_decomposerENS1_16block_id_wrapperIjLb0EEEEE10hipError_tT1_PNSt15iterator_traitsISG_E10value_typeET2_T3_PNSH_ISM_E10value_typeET4_T5_PSR_SS_PNS1_23onesweep_lookback_stateEbbT6_jjT7_P12ihipStream_tbENKUlT_T0_SG_SL_E_clIS7_S7_SB_PlEEDaSZ_S10_SG_SL_EUlSZ_E_NS1_11comp_targetILNS1_3genE2ELNS1_11target_archE906ELNS1_3gpuE6ELNS1_3repE0EEENS1_47radix_sort_onesweep_sort_config_static_selectorELNS0_4arch9wavefront6targetE1EEEvSG_,@function
_ZN7rocprim17ROCPRIM_400000_NS6detail17trampoline_kernelINS0_14default_configENS1_35radix_sort_onesweep_config_selectorIdlEEZZNS1_29radix_sort_onesweep_iterationIS3_Lb0EPdS7_N6thrust23THRUST_200600_302600_NS10device_ptrIlEESB_jNS0_19identity_decomposerENS1_16block_id_wrapperIjLb0EEEEE10hipError_tT1_PNSt15iterator_traitsISG_E10value_typeET2_T3_PNSH_ISM_E10value_typeET4_T5_PSR_SS_PNS1_23onesweep_lookback_stateEbbT6_jjT7_P12ihipStream_tbENKUlT_T0_SG_SL_E_clIS7_S7_SB_PlEEDaSZ_S10_SG_SL_EUlSZ_E_NS1_11comp_targetILNS1_3genE2ELNS1_11target_archE906ELNS1_3gpuE6ELNS1_3repE0EEENS1_47radix_sort_onesweep_sort_config_static_selectorELNS0_4arch9wavefront6targetE1EEEvSG_: ; @_ZN7rocprim17ROCPRIM_400000_NS6detail17trampoline_kernelINS0_14default_configENS1_35radix_sort_onesweep_config_selectorIdlEEZZNS1_29radix_sort_onesweep_iterationIS3_Lb0EPdS7_N6thrust23THRUST_200600_302600_NS10device_ptrIlEESB_jNS0_19identity_decomposerENS1_16block_id_wrapperIjLb0EEEEE10hipError_tT1_PNSt15iterator_traitsISG_E10value_typeET2_T3_PNSH_ISM_E10value_typeET4_T5_PSR_SS_PNS1_23onesweep_lookback_stateEbbT6_jjT7_P12ihipStream_tbENKUlT_T0_SG_SL_E_clIS7_S7_SB_PlEEDaSZ_S10_SG_SL_EUlSZ_E_NS1_11comp_targetILNS1_3genE2ELNS1_11target_archE906ELNS1_3gpuE6ELNS1_3repE0EEENS1_47radix_sort_onesweep_sort_config_static_selectorELNS0_4arch9wavefront6targetE1EEEvSG_
; %bb.0:
	.section	.rodata,"a",@progbits
	.p2align	6, 0x0
	.amdhsa_kernel _ZN7rocprim17ROCPRIM_400000_NS6detail17trampoline_kernelINS0_14default_configENS1_35radix_sort_onesweep_config_selectorIdlEEZZNS1_29radix_sort_onesweep_iterationIS3_Lb0EPdS7_N6thrust23THRUST_200600_302600_NS10device_ptrIlEESB_jNS0_19identity_decomposerENS1_16block_id_wrapperIjLb0EEEEE10hipError_tT1_PNSt15iterator_traitsISG_E10value_typeET2_T3_PNSH_ISM_E10value_typeET4_T5_PSR_SS_PNS1_23onesweep_lookback_stateEbbT6_jjT7_P12ihipStream_tbENKUlT_T0_SG_SL_E_clIS7_S7_SB_PlEEDaSZ_S10_SG_SL_EUlSZ_E_NS1_11comp_targetILNS1_3genE2ELNS1_11target_archE906ELNS1_3gpuE6ELNS1_3repE0EEENS1_47radix_sort_onesweep_sort_config_static_selectorELNS0_4arch9wavefront6targetE1EEEvSG_
		.amdhsa_group_segment_fixed_size 0
		.amdhsa_private_segment_fixed_size 0
		.amdhsa_kernarg_size 88
		.amdhsa_user_sgpr_count 6
		.amdhsa_user_sgpr_private_segment_buffer 1
		.amdhsa_user_sgpr_dispatch_ptr 0
		.amdhsa_user_sgpr_queue_ptr 0
		.amdhsa_user_sgpr_kernarg_segment_ptr 1
		.amdhsa_user_sgpr_dispatch_id 0
		.amdhsa_user_sgpr_flat_scratch_init 0
		.amdhsa_user_sgpr_kernarg_preload_length 0
		.amdhsa_user_sgpr_kernarg_preload_offset 0
		.amdhsa_user_sgpr_private_segment_size 0
		.amdhsa_uses_dynamic_stack 0
		.amdhsa_system_sgpr_private_segment_wavefront_offset 0
		.amdhsa_system_sgpr_workgroup_id_x 1
		.amdhsa_system_sgpr_workgroup_id_y 0
		.amdhsa_system_sgpr_workgroup_id_z 0
		.amdhsa_system_sgpr_workgroup_info 0
		.amdhsa_system_vgpr_workitem_id 0
		.amdhsa_next_free_vgpr 1
		.amdhsa_next_free_sgpr 0
		.amdhsa_accum_offset 4
		.amdhsa_reserve_vcc 0
		.amdhsa_reserve_flat_scratch 0
		.amdhsa_float_round_mode_32 0
		.amdhsa_float_round_mode_16_64 0
		.amdhsa_float_denorm_mode_32 3
		.amdhsa_float_denorm_mode_16_64 3
		.amdhsa_dx10_clamp 1
		.amdhsa_ieee_mode 1
		.amdhsa_fp16_overflow 0
		.amdhsa_tg_split 0
		.amdhsa_exception_fp_ieee_invalid_op 0
		.amdhsa_exception_fp_denorm_src 0
		.amdhsa_exception_fp_ieee_div_zero 0
		.amdhsa_exception_fp_ieee_overflow 0
		.amdhsa_exception_fp_ieee_underflow 0
		.amdhsa_exception_fp_ieee_inexact 0
		.amdhsa_exception_int_div_zero 0
	.end_amdhsa_kernel
	.section	.text._ZN7rocprim17ROCPRIM_400000_NS6detail17trampoline_kernelINS0_14default_configENS1_35radix_sort_onesweep_config_selectorIdlEEZZNS1_29radix_sort_onesweep_iterationIS3_Lb0EPdS7_N6thrust23THRUST_200600_302600_NS10device_ptrIlEESB_jNS0_19identity_decomposerENS1_16block_id_wrapperIjLb0EEEEE10hipError_tT1_PNSt15iterator_traitsISG_E10value_typeET2_T3_PNSH_ISM_E10value_typeET4_T5_PSR_SS_PNS1_23onesweep_lookback_stateEbbT6_jjT7_P12ihipStream_tbENKUlT_T0_SG_SL_E_clIS7_S7_SB_PlEEDaSZ_S10_SG_SL_EUlSZ_E_NS1_11comp_targetILNS1_3genE2ELNS1_11target_archE906ELNS1_3gpuE6ELNS1_3repE0EEENS1_47radix_sort_onesweep_sort_config_static_selectorELNS0_4arch9wavefront6targetE1EEEvSG_,"axG",@progbits,_ZN7rocprim17ROCPRIM_400000_NS6detail17trampoline_kernelINS0_14default_configENS1_35radix_sort_onesweep_config_selectorIdlEEZZNS1_29radix_sort_onesweep_iterationIS3_Lb0EPdS7_N6thrust23THRUST_200600_302600_NS10device_ptrIlEESB_jNS0_19identity_decomposerENS1_16block_id_wrapperIjLb0EEEEE10hipError_tT1_PNSt15iterator_traitsISG_E10value_typeET2_T3_PNSH_ISM_E10value_typeET4_T5_PSR_SS_PNS1_23onesweep_lookback_stateEbbT6_jjT7_P12ihipStream_tbENKUlT_T0_SG_SL_E_clIS7_S7_SB_PlEEDaSZ_S10_SG_SL_EUlSZ_E_NS1_11comp_targetILNS1_3genE2ELNS1_11target_archE906ELNS1_3gpuE6ELNS1_3repE0EEENS1_47radix_sort_onesweep_sort_config_static_selectorELNS0_4arch9wavefront6targetE1EEEvSG_,comdat
.Lfunc_end1655:
	.size	_ZN7rocprim17ROCPRIM_400000_NS6detail17trampoline_kernelINS0_14default_configENS1_35radix_sort_onesweep_config_selectorIdlEEZZNS1_29radix_sort_onesweep_iterationIS3_Lb0EPdS7_N6thrust23THRUST_200600_302600_NS10device_ptrIlEESB_jNS0_19identity_decomposerENS1_16block_id_wrapperIjLb0EEEEE10hipError_tT1_PNSt15iterator_traitsISG_E10value_typeET2_T3_PNSH_ISM_E10value_typeET4_T5_PSR_SS_PNS1_23onesweep_lookback_stateEbbT6_jjT7_P12ihipStream_tbENKUlT_T0_SG_SL_E_clIS7_S7_SB_PlEEDaSZ_S10_SG_SL_EUlSZ_E_NS1_11comp_targetILNS1_3genE2ELNS1_11target_archE906ELNS1_3gpuE6ELNS1_3repE0EEENS1_47radix_sort_onesweep_sort_config_static_selectorELNS0_4arch9wavefront6targetE1EEEvSG_, .Lfunc_end1655-_ZN7rocprim17ROCPRIM_400000_NS6detail17trampoline_kernelINS0_14default_configENS1_35radix_sort_onesweep_config_selectorIdlEEZZNS1_29radix_sort_onesweep_iterationIS3_Lb0EPdS7_N6thrust23THRUST_200600_302600_NS10device_ptrIlEESB_jNS0_19identity_decomposerENS1_16block_id_wrapperIjLb0EEEEE10hipError_tT1_PNSt15iterator_traitsISG_E10value_typeET2_T3_PNSH_ISM_E10value_typeET4_T5_PSR_SS_PNS1_23onesweep_lookback_stateEbbT6_jjT7_P12ihipStream_tbENKUlT_T0_SG_SL_E_clIS7_S7_SB_PlEEDaSZ_S10_SG_SL_EUlSZ_E_NS1_11comp_targetILNS1_3genE2ELNS1_11target_archE906ELNS1_3gpuE6ELNS1_3repE0EEENS1_47radix_sort_onesweep_sort_config_static_selectorELNS0_4arch9wavefront6targetE1EEEvSG_
                                        ; -- End function
	.section	.AMDGPU.csdata,"",@progbits
; Kernel info:
; codeLenInByte = 0
; NumSgprs: 4
; NumVgprs: 0
; NumAgprs: 0
; TotalNumVgprs: 0
; ScratchSize: 0
; MemoryBound: 0
; FloatMode: 240
; IeeeMode: 1
; LDSByteSize: 0 bytes/workgroup (compile time only)
; SGPRBlocks: 0
; VGPRBlocks: 0
; NumSGPRsForWavesPerEU: 4
; NumVGPRsForWavesPerEU: 1
; AccumOffset: 4
; Occupancy: 8
; WaveLimiterHint : 0
; COMPUTE_PGM_RSRC2:SCRATCH_EN: 0
; COMPUTE_PGM_RSRC2:USER_SGPR: 6
; COMPUTE_PGM_RSRC2:TRAP_HANDLER: 0
; COMPUTE_PGM_RSRC2:TGID_X_EN: 1
; COMPUTE_PGM_RSRC2:TGID_Y_EN: 0
; COMPUTE_PGM_RSRC2:TGID_Z_EN: 0
; COMPUTE_PGM_RSRC2:TIDIG_COMP_CNT: 0
; COMPUTE_PGM_RSRC3_GFX90A:ACCUM_OFFSET: 0
; COMPUTE_PGM_RSRC3_GFX90A:TG_SPLIT: 0
	.section	.text._ZN7rocprim17ROCPRIM_400000_NS6detail17trampoline_kernelINS0_14default_configENS1_35radix_sort_onesweep_config_selectorIdlEEZZNS1_29radix_sort_onesweep_iterationIS3_Lb0EPdS7_N6thrust23THRUST_200600_302600_NS10device_ptrIlEESB_jNS0_19identity_decomposerENS1_16block_id_wrapperIjLb0EEEEE10hipError_tT1_PNSt15iterator_traitsISG_E10value_typeET2_T3_PNSH_ISM_E10value_typeET4_T5_PSR_SS_PNS1_23onesweep_lookback_stateEbbT6_jjT7_P12ihipStream_tbENKUlT_T0_SG_SL_E_clIS7_S7_SB_PlEEDaSZ_S10_SG_SL_EUlSZ_E_NS1_11comp_targetILNS1_3genE4ELNS1_11target_archE910ELNS1_3gpuE8ELNS1_3repE0EEENS1_47radix_sort_onesweep_sort_config_static_selectorELNS0_4arch9wavefront6targetE1EEEvSG_,"axG",@progbits,_ZN7rocprim17ROCPRIM_400000_NS6detail17trampoline_kernelINS0_14default_configENS1_35radix_sort_onesweep_config_selectorIdlEEZZNS1_29radix_sort_onesweep_iterationIS3_Lb0EPdS7_N6thrust23THRUST_200600_302600_NS10device_ptrIlEESB_jNS0_19identity_decomposerENS1_16block_id_wrapperIjLb0EEEEE10hipError_tT1_PNSt15iterator_traitsISG_E10value_typeET2_T3_PNSH_ISM_E10value_typeET4_T5_PSR_SS_PNS1_23onesweep_lookback_stateEbbT6_jjT7_P12ihipStream_tbENKUlT_T0_SG_SL_E_clIS7_S7_SB_PlEEDaSZ_S10_SG_SL_EUlSZ_E_NS1_11comp_targetILNS1_3genE4ELNS1_11target_archE910ELNS1_3gpuE8ELNS1_3repE0EEENS1_47radix_sort_onesweep_sort_config_static_selectorELNS0_4arch9wavefront6targetE1EEEvSG_,comdat
	.protected	_ZN7rocprim17ROCPRIM_400000_NS6detail17trampoline_kernelINS0_14default_configENS1_35radix_sort_onesweep_config_selectorIdlEEZZNS1_29radix_sort_onesweep_iterationIS3_Lb0EPdS7_N6thrust23THRUST_200600_302600_NS10device_ptrIlEESB_jNS0_19identity_decomposerENS1_16block_id_wrapperIjLb0EEEEE10hipError_tT1_PNSt15iterator_traitsISG_E10value_typeET2_T3_PNSH_ISM_E10value_typeET4_T5_PSR_SS_PNS1_23onesweep_lookback_stateEbbT6_jjT7_P12ihipStream_tbENKUlT_T0_SG_SL_E_clIS7_S7_SB_PlEEDaSZ_S10_SG_SL_EUlSZ_E_NS1_11comp_targetILNS1_3genE4ELNS1_11target_archE910ELNS1_3gpuE8ELNS1_3repE0EEENS1_47radix_sort_onesweep_sort_config_static_selectorELNS0_4arch9wavefront6targetE1EEEvSG_ ; -- Begin function _ZN7rocprim17ROCPRIM_400000_NS6detail17trampoline_kernelINS0_14default_configENS1_35radix_sort_onesweep_config_selectorIdlEEZZNS1_29radix_sort_onesweep_iterationIS3_Lb0EPdS7_N6thrust23THRUST_200600_302600_NS10device_ptrIlEESB_jNS0_19identity_decomposerENS1_16block_id_wrapperIjLb0EEEEE10hipError_tT1_PNSt15iterator_traitsISG_E10value_typeET2_T3_PNSH_ISM_E10value_typeET4_T5_PSR_SS_PNS1_23onesweep_lookback_stateEbbT6_jjT7_P12ihipStream_tbENKUlT_T0_SG_SL_E_clIS7_S7_SB_PlEEDaSZ_S10_SG_SL_EUlSZ_E_NS1_11comp_targetILNS1_3genE4ELNS1_11target_archE910ELNS1_3gpuE8ELNS1_3repE0EEENS1_47radix_sort_onesweep_sort_config_static_selectorELNS0_4arch9wavefront6targetE1EEEvSG_
	.globl	_ZN7rocprim17ROCPRIM_400000_NS6detail17trampoline_kernelINS0_14default_configENS1_35radix_sort_onesweep_config_selectorIdlEEZZNS1_29radix_sort_onesweep_iterationIS3_Lb0EPdS7_N6thrust23THRUST_200600_302600_NS10device_ptrIlEESB_jNS0_19identity_decomposerENS1_16block_id_wrapperIjLb0EEEEE10hipError_tT1_PNSt15iterator_traitsISG_E10value_typeET2_T3_PNSH_ISM_E10value_typeET4_T5_PSR_SS_PNS1_23onesweep_lookback_stateEbbT6_jjT7_P12ihipStream_tbENKUlT_T0_SG_SL_E_clIS7_S7_SB_PlEEDaSZ_S10_SG_SL_EUlSZ_E_NS1_11comp_targetILNS1_3genE4ELNS1_11target_archE910ELNS1_3gpuE8ELNS1_3repE0EEENS1_47radix_sort_onesweep_sort_config_static_selectorELNS0_4arch9wavefront6targetE1EEEvSG_
	.p2align	8
	.type	_ZN7rocprim17ROCPRIM_400000_NS6detail17trampoline_kernelINS0_14default_configENS1_35radix_sort_onesweep_config_selectorIdlEEZZNS1_29radix_sort_onesweep_iterationIS3_Lb0EPdS7_N6thrust23THRUST_200600_302600_NS10device_ptrIlEESB_jNS0_19identity_decomposerENS1_16block_id_wrapperIjLb0EEEEE10hipError_tT1_PNSt15iterator_traitsISG_E10value_typeET2_T3_PNSH_ISM_E10value_typeET4_T5_PSR_SS_PNS1_23onesweep_lookback_stateEbbT6_jjT7_P12ihipStream_tbENKUlT_T0_SG_SL_E_clIS7_S7_SB_PlEEDaSZ_S10_SG_SL_EUlSZ_E_NS1_11comp_targetILNS1_3genE4ELNS1_11target_archE910ELNS1_3gpuE8ELNS1_3repE0EEENS1_47radix_sort_onesweep_sort_config_static_selectorELNS0_4arch9wavefront6targetE1EEEvSG_,@function
_ZN7rocprim17ROCPRIM_400000_NS6detail17trampoline_kernelINS0_14default_configENS1_35radix_sort_onesweep_config_selectorIdlEEZZNS1_29radix_sort_onesweep_iterationIS3_Lb0EPdS7_N6thrust23THRUST_200600_302600_NS10device_ptrIlEESB_jNS0_19identity_decomposerENS1_16block_id_wrapperIjLb0EEEEE10hipError_tT1_PNSt15iterator_traitsISG_E10value_typeET2_T3_PNSH_ISM_E10value_typeET4_T5_PSR_SS_PNS1_23onesweep_lookback_stateEbbT6_jjT7_P12ihipStream_tbENKUlT_T0_SG_SL_E_clIS7_S7_SB_PlEEDaSZ_S10_SG_SL_EUlSZ_E_NS1_11comp_targetILNS1_3genE4ELNS1_11target_archE910ELNS1_3gpuE8ELNS1_3repE0EEENS1_47radix_sort_onesweep_sort_config_static_selectorELNS0_4arch9wavefront6targetE1EEEvSG_: ; @_ZN7rocprim17ROCPRIM_400000_NS6detail17trampoline_kernelINS0_14default_configENS1_35radix_sort_onesweep_config_selectorIdlEEZZNS1_29radix_sort_onesweep_iterationIS3_Lb0EPdS7_N6thrust23THRUST_200600_302600_NS10device_ptrIlEESB_jNS0_19identity_decomposerENS1_16block_id_wrapperIjLb0EEEEE10hipError_tT1_PNSt15iterator_traitsISG_E10value_typeET2_T3_PNSH_ISM_E10value_typeET4_T5_PSR_SS_PNS1_23onesweep_lookback_stateEbbT6_jjT7_P12ihipStream_tbENKUlT_T0_SG_SL_E_clIS7_S7_SB_PlEEDaSZ_S10_SG_SL_EUlSZ_E_NS1_11comp_targetILNS1_3genE4ELNS1_11target_archE910ELNS1_3gpuE8ELNS1_3repE0EEENS1_47radix_sort_onesweep_sort_config_static_selectorELNS0_4arch9wavefront6targetE1EEEvSG_
; %bb.0:
	s_load_dwordx8 s[36:43], s[4:5], 0x0
	s_load_dwordx4 s[44:47], s[4:5], 0x44
	s_load_dwordx4 s[28:31], s[4:5], 0x28
	s_load_dwordx2 s[34:35], s[4:5], 0x38
	v_mbcnt_lo_u32_b32 v1, -1, 0
	s_waitcnt lgkmcnt(0)
	s_cmp_ge_u32 s6, s46
	s_cbranch_scc0 .LBB1656_59
; %bb.1:
	s_load_dword s2, s[4:5], 0x20
	s_lshl_b32 s3, s46, 13
	s_lshl_b32 s0, s6, 13
	s_mov_b32 s1, 0
	s_lshl_b64 s[46:47], s[0:1], 3
	s_waitcnt lgkmcnt(0)
	s_sub_i32 s7, s2, s3
	v_mbcnt_hi_u32_b32 v28, -1, v1
	v_and_b32_e32 v10, 0x3ff, v0
	s_add_u32 s0, s36, s46
	v_and_b32_e32 v2, 63, v28
	s_addc_u32 s1, s37, s47
	v_lshlrev_b32_e32 v11, 3, v10
	v_lshlrev_b32_e32 v30, 3, v2
	v_and_b32_e32 v3, 0x1e00, v11
	v_mov_b32_e32 v4, s1
	v_add_co_u32_e32 v5, vcc, s0, v30
	v_addc_co_u32_e32 v4, vcc, 0, v4, vcc
	v_lshlrev_b32_e32 v31, 3, v3
	s_mov_b32 s2, -1
	v_add_co_u32_e32 v20, vcc, v5, v31
	s_brev_b32 s3, -2
	v_addc_co_u32_e32 v21, vcc, 0, v4, vcc
	v_or_b32_e32 v2, v2, v3
	v_cmp_gt_u32_e32 vcc, s7, v2
	v_pk_mov_b32 v[12:13], s[2:3], s[2:3] op_sel:[0,1]
	s_and_saveexec_b64 s[0:1], vcc
	s_cbranch_execz .LBB1656_3
; %bb.2:
	global_load_dwordx2 v[12:13], v[20:21], off
.LBB1656_3:
	s_or_b64 exec, exec, s[0:1]
	v_or_b32_e32 v3, 64, v2
	v_cmp_gt_u32_e64 s[0:1], s7, v3
	v_pk_mov_b32 v[14:15], s[2:3], s[2:3] op_sel:[0,1]
	s_and_saveexec_b64 s[2:3], s[0:1]
	s_cbranch_execz .LBB1656_5
; %bb.4:
	global_load_dwordx2 v[14:15], v[20:21], off offset:512
.LBB1656_5:
	s_or_b64 exec, exec, s[2:3]
	s_mov_b32 s8, -1
	v_or_b32_e32 v3, 0x80, v2
	s_brev_b32 s9, -2
	v_cmp_gt_u32_e64 s[2:3], s7, v3
	v_pk_mov_b32 v[16:17], s[8:9], s[8:9] op_sel:[0,1]
	s_and_saveexec_b64 s[10:11], s[2:3]
	s_cbranch_execz .LBB1656_7
; %bb.6:
	global_load_dwordx2 v[16:17], v[20:21], off offset:1024
.LBB1656_7:
	s_or_b64 exec, exec, s[10:11]
	v_or_b32_e32 v3, 0xc0, v2
	v_cmp_gt_u32_e64 s[24:25], s7, v3
	v_pk_mov_b32 v[18:19], s[8:9], s[8:9] op_sel:[0,1]
	s_and_saveexec_b64 s[8:9], s[24:25]
	s_cbranch_execz .LBB1656_9
; %bb.8:
	global_load_dwordx2 v[18:19], v[20:21], off offset:1536
.LBB1656_9:
	s_or_b64 exec, exec, s[8:9]
	s_mov_b32 s12, -1
	v_or_b32_e32 v3, 0x100, v2
	s_brev_b32 s13, -2
	v_cmp_gt_u32_e64 s[8:9], s7, v3
	v_pk_mov_b32 v[8:9], s[12:13], s[12:13] op_sel:[0,1]
	s_and_saveexec_b64 s[10:11], s[8:9]
	s_cbranch_execz .LBB1656_11
; %bb.10:
	global_load_dwordx2 v[8:9], v[20:21], off offset:2048
.LBB1656_11:
	;; [unrolled: 20-line block ×3, first 2 shown]
	s_or_b64 exec, exec, s[14:15]
	v_or_b32_e32 v2, 0x1c0, v2
	v_cmp_gt_u32_e64 s[14:15], s7, v2
	v_pk_mov_b32 v[2:3], s[16:17], s[16:17] op_sel:[0,1]
	s_and_saveexec_b64 s[16:17], s[14:15]
	s_cbranch_execz .LBB1656_17
; %bb.16:
	global_load_dwordx2 v[2:3], v[20:21], off offset:3584
.LBB1656_17:
	s_or_b64 exec, exec, s[16:17]
	s_load_dword s16, s[4:5], 0x64
	s_load_dword s33, s[4:5], 0x58
	s_add_u32 s17, s4, 0x58
	s_addc_u32 s18, s5, 0
	v_mov_b32_e32 v20, 0
	s_waitcnt lgkmcnt(0)
	s_lshr_b32 s19, s16, 16
	s_cmp_lt_u32 s6, s33
	s_cselect_b32 s16, 12, 18
	s_add_u32 s16, s17, s16
	s_addc_u32 s17, s18, 0
	global_load_ushort v25, v20, s[16:17]
	v_bfrev_b32_e32 v24, 1
	s_waitcnt vmcnt(1)
	v_cmp_lt_i64_e64 s[16:17], -1, v[12:13]
	s_mov_b32 s20, -1
	v_ashrrev_i32_e32 v21, 31, v13
	v_cndmask_b32_e64 v23, -1, v24, s[16:17]
	s_brev_b32 s21, -2
	v_xor_b32_e32 v12, v21, v12
	v_xor_b32_e32 v13, v23, v13
	v_mul_u32_u24_e32 v22, 5, v10
	v_cmp_ne_u64_e64 s[16:17], s[20:21], v[12:13]
	v_lshlrev_b32_e32 v33, 2, v22
	v_cndmask_b32_e64 v23, v24, v13, s[16:17]
	v_cndmask_b32_e64 v22, 0, v12, s[16:17]
	s_lshl_b32 s16, -1, s45
	v_bfe_u32 v26, v0, 10, 10
	v_bfe_u32 v27, v0, 20, 10
	v_lshrrev_b64 v[22:23], s44, v[22:23]
	s_not_b32 s50, s16
	v_mad_u32_u24 v23, v27, s19, v26
	v_and_b32_e32 v26, s50, v22
	v_and_b32_e32 v22, 1, v26
	v_add_co_u32_e64 v29, s[16:17], -1, v22
	v_lshlrev_b32_e32 v21, 30, v26
	v_addc_co_u32_e64 v32, s[16:17], 0, -1, s[16:17]
	v_cmp_ne_u32_e64 s[16:17], 0, v22
	v_cmp_gt_i64_e64 s[18:19], 0, v[20:21]
	v_not_b32_e32 v22, v21
	v_lshlrev_b32_e32 v21, 29, v26
	v_xor_b32_e32 v32, s17, v32
	v_xor_b32_e32 v29, s16, v29
	v_ashrrev_i32_e32 v22, 31, v22
	v_cmp_gt_i64_e64 s[16:17], 0, v[20:21]
	v_not_b32_e32 v34, v21
	v_lshlrev_b32_e32 v21, 28, v26
	v_and_b32_e32 v32, exec_hi, v32
	v_and_b32_e32 v29, exec_lo, v29
	v_xor_b32_e32 v35, s19, v22
	v_xor_b32_e32 v22, s18, v22
	v_ashrrev_i32_e32 v34, 31, v34
	v_cmp_gt_i64_e64 s[18:19], 0, v[20:21]
	v_not_b32_e32 v36, v21
	v_lshlrev_b32_e32 v21, 27, v26
	v_and_b32_e32 v32, v32, v35
	v_and_b32_e32 v22, v29, v22
	v_xor_b32_e32 v29, s17, v34
	v_xor_b32_e32 v34, s16, v34
	v_ashrrev_i32_e32 v35, 31, v36
	v_cmp_gt_i64_e64 s[16:17], 0, v[20:21]
	v_not_b32_e32 v36, v21
	v_lshlrev_b32_e32 v21, 26, v26
	v_and_b32_e32 v29, v32, v29
	v_and_b32_e32 v22, v22, v34
	v_xor_b32_e32 v32, s19, v35
	v_xor_b32_e32 v34, s18, v35
	v_ashrrev_i32_e32 v35, 31, v36
	v_not_b32_e32 v36, v21
	v_cmp_gt_i64_e64 s[18:19], 0, v[20:21]
	v_and_b32_e32 v29, v29, v32
	v_and_b32_e32 v22, v22, v34
	v_xor_b32_e32 v32, s17, v35
	v_xor_b32_e32 v34, s16, v35
	v_ashrrev_i32_e32 v35, 31, v36
	v_and_b32_e32 v29, v29, v32
	v_and_b32_e32 v22, v22, v34
	v_xor_b32_e32 v32, s19, v35
	v_xor_b32_e32 v34, s18, v35
	v_lshlrev_b32_e32 v21, 25, v26
	v_and_b32_e32 v29, v29, v32
	v_and_b32_e32 v32, v22, v34
	v_lshl_add_u32 v27, v26, 4, v26
	ds_write2_b32 v33, v20, v20 offset0:16 offset1:17
	ds_write2_b32 v33, v20, v20 offset0:18 offset1:19
	ds_write_b32 v33, v20 offset:80
	s_waitcnt lgkmcnt(0)
	s_barrier
	s_waitcnt lgkmcnt(0)
	; wave barrier
	s_waitcnt vmcnt(0)
	v_mad_u64_u32 v[22:23], s[16:17], v23, v25, v[10:11]
	v_cmp_gt_i64_e64 s[16:17], 0, v[20:21]
	v_not_b32_e32 v21, v21
	v_ashrrev_i32_e32 v21, 31, v21
	v_lshrrev_b32_e32 v41, 6, v22
	v_xor_b32_e32 v22, s17, v21
	v_xor_b32_e32 v21, s16, v21
	v_and_b32_e32 v25, v32, v21
	v_lshlrev_b32_e32 v21, 24, v26
	v_cmp_gt_i64_e64 s[16:17], 0, v[20:21]
	v_not_b32_e32 v21, v21
	v_ashrrev_i32_e32 v21, 31, v21
	v_and_b32_e32 v22, v29, v22
	v_xor_b32_e32 v23, s17, v21
	v_xor_b32_e32 v21, s16, v21
	v_and_b32_e32 v23, v22, v23
	v_and_b32_e32 v22, v25, v21
	v_mbcnt_lo_u32_b32 v21, v22, 0
	v_mbcnt_hi_u32_b32 v29, v23, v21
	v_cmp_eq_u32_e64 s[16:17], 0, v29
	v_cmp_ne_u64_e64 s[18:19], 0, v[22:23]
	v_add_lshl_u32 v35, v41, v27, 2
	s_and_b64 s[18:19], s[18:19], s[16:17]
	s_and_saveexec_b64 s[16:17], s[18:19]
	s_cbranch_execz .LBB1656_19
; %bb.18:
	v_bcnt_u32_b32 v21, v22, 0
	v_bcnt_u32_b32 v21, v23, v21
	ds_write_b32 v35, v21 offset:64
.LBB1656_19:
	s_or_b64 exec, exec, s[16:17]
	v_cmp_lt_i64_e64 s[16:17], -1, v[14:15]
	v_cndmask_b32_e64 v21, -1, v24, s[16:17]
	v_ashrrev_i32_e32 v22, 31, v15
	v_xor_b32_e32 v15, v21, v15
	v_xor_b32_e32 v14, v22, v14
	v_cmp_ne_u64_e64 s[16:17], s[20:21], v[14:15]
	v_cndmask_b32_e64 v23, v24, v15, s[16:17]
	v_cndmask_b32_e64 v22, 0, v14, s[16:17]
	v_lshrrev_b64 v[22:23], s44, v[22:23]
	v_and_b32_e32 v22, s50, v22
	v_lshl_add_u32 v21, v22, 4, v22
	v_add_lshl_u32 v37, v41, v21, 2
	v_and_b32_e32 v21, 1, v22
	v_add_co_u32_e64 v23, s[16:17], -1, v21
	v_addc_co_u32_e64 v24, s[16:17], 0, -1, s[16:17]
	v_cmp_ne_u32_e64 s[16:17], 0, v21
	v_xor_b32_e32 v21, s17, v24
	v_and_b32_e32 v24, exec_hi, v21
	v_lshlrev_b32_e32 v21, 30, v22
	v_xor_b32_e32 v23, s16, v23
	v_cmp_gt_i64_e64 s[16:17], 0, v[20:21]
	v_not_b32_e32 v21, v21
	v_ashrrev_i32_e32 v21, 31, v21
	v_and_b32_e32 v23, exec_lo, v23
	v_xor_b32_e32 v25, s17, v21
	v_xor_b32_e32 v21, s16, v21
	v_and_b32_e32 v23, v23, v21
	v_lshlrev_b32_e32 v21, 29, v22
	v_cmp_gt_i64_e64 s[16:17], 0, v[20:21]
	v_not_b32_e32 v21, v21
	v_ashrrev_i32_e32 v21, 31, v21
	v_and_b32_e32 v24, v24, v25
	v_xor_b32_e32 v25, s17, v21
	v_xor_b32_e32 v21, s16, v21
	v_and_b32_e32 v23, v23, v21
	v_lshlrev_b32_e32 v21, 28, v22
	v_cmp_gt_i64_e64 s[16:17], 0, v[20:21]
	v_not_b32_e32 v21, v21
	v_ashrrev_i32_e32 v21, 31, v21
	v_and_b32_e32 v24, v24, v25
	;; [unrolled: 8-line block ×5, first 2 shown]
	v_xor_b32_e32 v25, s17, v21
	v_xor_b32_e32 v21, s16, v21
	v_and_b32_e32 v23, v23, v21
	v_lshlrev_b32_e32 v21, 24, v22
	v_cmp_gt_i64_e64 s[16:17], 0, v[20:21]
	v_not_b32_e32 v20, v21
	v_ashrrev_i32_e32 v20, 31, v20
	v_xor_b32_e32 v21, s17, v20
	v_xor_b32_e32 v20, s16, v20
	; wave barrier
	ds_read_b32 v32, v37 offset:64
	v_and_b32_e32 v24, v24, v25
	v_and_b32_e32 v20, v23, v20
	v_and_b32_e32 v21, v24, v21
	v_mbcnt_lo_u32_b32 v22, v20, 0
	v_mbcnt_hi_u32_b32 v34, v21, v22
	v_cmp_eq_u32_e64 s[16:17], 0, v34
	v_cmp_ne_u64_e64 s[18:19], 0, v[20:21]
	s_and_b64 s[18:19], s[18:19], s[16:17]
	; wave barrier
	s_and_saveexec_b64 s[16:17], s[18:19]
	s_cbranch_execz .LBB1656_21
; %bb.20:
	v_bcnt_u32_b32 v20, v20, 0
	v_bcnt_u32_b32 v20, v21, v20
	s_waitcnt lgkmcnt(0)
	v_add_u32_e32 v20, v32, v20
	ds_write_b32 v37, v20 offset:64
.LBB1656_21:
	s_or_b64 exec, exec, s[16:17]
	v_bfrev_b32_e32 v24, 1
	v_cmp_lt_i64_e64 s[16:17], -1, v[16:17]
	v_cndmask_b32_e64 v20, -1, v24, s[16:17]
	v_ashrrev_i32_e32 v21, 31, v17
	v_xor_b32_e32 v17, v20, v17
	v_xor_b32_e32 v16, v21, v16
	v_cmp_ne_u64_e64 s[16:17], s[20:21], v[16:17]
	v_cndmask_b32_e64 v23, v24, v17, s[16:17]
	v_cndmask_b32_e64 v22, 0, v16, s[16:17]
	v_lshrrev_b64 v[22:23], s44, v[22:23]
	v_and_b32_e32 v22, s50, v22
	v_lshl_add_u32 v21, v22, 4, v22
	v_add_lshl_u32 v40, v41, v21, 2
	v_and_b32_e32 v21, 1, v22
	v_add_co_u32_e64 v23, s[16:17], -1, v21
	v_addc_co_u32_e64 v25, s[16:17], 0, -1, s[16:17]
	v_cmp_ne_u32_e64 s[16:17], 0, v21
	v_xor_b32_e32 v21, s17, v25
	v_mov_b32_e32 v20, 0
	v_and_b32_e32 v25, exec_hi, v21
	v_lshlrev_b32_e32 v21, 30, v22
	v_xor_b32_e32 v23, s16, v23
	v_cmp_gt_i64_e64 s[16:17], 0, v[20:21]
	v_not_b32_e32 v21, v21
	v_ashrrev_i32_e32 v21, 31, v21
	v_and_b32_e32 v23, exec_lo, v23
	v_xor_b32_e32 v26, s17, v21
	v_xor_b32_e32 v21, s16, v21
	v_and_b32_e32 v23, v23, v21
	v_lshlrev_b32_e32 v21, 29, v22
	v_cmp_gt_i64_e64 s[16:17], 0, v[20:21]
	v_not_b32_e32 v21, v21
	v_ashrrev_i32_e32 v21, 31, v21
	v_and_b32_e32 v25, v25, v26
	v_xor_b32_e32 v26, s17, v21
	v_xor_b32_e32 v21, s16, v21
	v_and_b32_e32 v23, v23, v21
	v_lshlrev_b32_e32 v21, 28, v22
	v_cmp_gt_i64_e64 s[16:17], 0, v[20:21]
	v_not_b32_e32 v21, v21
	v_ashrrev_i32_e32 v21, 31, v21
	v_and_b32_e32 v25, v25, v26
	;; [unrolled: 8-line block ×5, first 2 shown]
	v_xor_b32_e32 v26, s17, v21
	v_xor_b32_e32 v21, s16, v21
	v_and_b32_e32 v25, v25, v26
	v_and_b32_e32 v26, v23, v21
	v_lshlrev_b32_e32 v21, 24, v22
	v_cmp_gt_i64_e64 s[16:17], 0, v[20:21]
	v_not_b32_e32 v21, v21
	v_ashrrev_i32_e32 v21, 31, v21
	v_xor_b32_e32 v22, s17, v21
	v_xor_b32_e32 v21, s16, v21
	; wave barrier
	ds_read_b32 v36, v40 offset:64
	v_and_b32_e32 v23, v25, v22
	v_and_b32_e32 v22, v26, v21
	v_mbcnt_lo_u32_b32 v21, v22, 0
	v_mbcnt_hi_u32_b32 v38, v23, v21
	v_cmp_eq_u32_e64 s[16:17], 0, v38
	v_cmp_ne_u64_e64 s[18:19], 0, v[22:23]
	s_and_b64 s[18:19], s[18:19], s[16:17]
	; wave barrier
	s_and_saveexec_b64 s[16:17], s[18:19]
	s_cbranch_execz .LBB1656_23
; %bb.22:
	v_bcnt_u32_b32 v21, v22, 0
	v_bcnt_u32_b32 v21, v23, v21
	s_waitcnt lgkmcnt(0)
	v_add_u32_e32 v21, v36, v21
	ds_write_b32 v40, v21 offset:64
.LBB1656_23:
	s_or_b64 exec, exec, s[16:17]
	v_cmp_lt_i64_e64 s[16:17], -1, v[18:19]
	v_cndmask_b32_e64 v21, -1, v24, s[16:17]
	v_ashrrev_i32_e32 v22, 31, v19
	v_xor_b32_e32 v19, v21, v19
	v_xor_b32_e32 v18, v22, v18
	v_cmp_ne_u64_e64 s[16:17], s[20:21], v[18:19]
	v_cndmask_b32_e64 v23, v24, v19, s[16:17]
	v_cndmask_b32_e64 v22, 0, v18, s[16:17]
	v_lshrrev_b64 v[22:23], s44, v[22:23]
	v_and_b32_e32 v22, s50, v22
	v_lshl_add_u32 v21, v22, 4, v22
	v_add_lshl_u32 v44, v41, v21, 2
	v_and_b32_e32 v21, 1, v22
	v_add_co_u32_e64 v23, s[16:17], -1, v21
	v_addc_co_u32_e64 v24, s[16:17], 0, -1, s[16:17]
	v_cmp_ne_u32_e64 s[16:17], 0, v21
	v_xor_b32_e32 v21, s17, v24
	v_and_b32_e32 v24, exec_hi, v21
	v_lshlrev_b32_e32 v21, 30, v22
	v_xor_b32_e32 v23, s16, v23
	v_cmp_gt_i64_e64 s[16:17], 0, v[20:21]
	v_not_b32_e32 v21, v21
	v_ashrrev_i32_e32 v21, 31, v21
	v_and_b32_e32 v23, exec_lo, v23
	v_xor_b32_e32 v25, s17, v21
	v_xor_b32_e32 v21, s16, v21
	v_and_b32_e32 v23, v23, v21
	v_lshlrev_b32_e32 v21, 29, v22
	v_cmp_gt_i64_e64 s[16:17], 0, v[20:21]
	v_not_b32_e32 v21, v21
	v_ashrrev_i32_e32 v21, 31, v21
	v_and_b32_e32 v24, v24, v25
	v_xor_b32_e32 v25, s17, v21
	v_xor_b32_e32 v21, s16, v21
	v_and_b32_e32 v23, v23, v21
	v_lshlrev_b32_e32 v21, 28, v22
	v_cmp_gt_i64_e64 s[16:17], 0, v[20:21]
	v_not_b32_e32 v21, v21
	v_ashrrev_i32_e32 v21, 31, v21
	v_and_b32_e32 v24, v24, v25
	;; [unrolled: 8-line block ×5, first 2 shown]
	v_xor_b32_e32 v25, s17, v21
	v_xor_b32_e32 v21, s16, v21
	v_and_b32_e32 v23, v23, v21
	v_lshlrev_b32_e32 v21, 24, v22
	v_cmp_gt_i64_e64 s[16:17], 0, v[20:21]
	v_not_b32_e32 v20, v21
	v_ashrrev_i32_e32 v20, 31, v20
	v_xor_b32_e32 v21, s17, v20
	v_xor_b32_e32 v20, s16, v20
	; wave barrier
	ds_read_b32 v39, v44 offset:64
	v_and_b32_e32 v24, v24, v25
	v_and_b32_e32 v20, v23, v20
	;; [unrolled: 1-line block ×3, first 2 shown]
	v_mbcnt_lo_u32_b32 v22, v20, 0
	v_mbcnt_hi_u32_b32 v42, v21, v22
	v_cmp_eq_u32_e64 s[16:17], 0, v42
	v_cmp_ne_u64_e64 s[18:19], 0, v[20:21]
	s_and_b64 s[18:19], s[18:19], s[16:17]
	; wave barrier
	s_and_saveexec_b64 s[16:17], s[18:19]
	s_cbranch_execz .LBB1656_25
; %bb.24:
	v_bcnt_u32_b32 v20, v20, 0
	v_bcnt_u32_b32 v20, v21, v20
	s_waitcnt lgkmcnt(0)
	v_add_u32_e32 v20, v39, v20
	ds_write_b32 v44, v20 offset:64
.LBB1656_25:
	s_or_b64 exec, exec, s[16:17]
	v_bfrev_b32_e32 v24, 1
	v_cmp_lt_i64_e64 s[16:17], -1, v[8:9]
	v_cndmask_b32_e64 v20, -1, v24, s[16:17]
	v_ashrrev_i32_e32 v22, 31, v9
	v_xor_b32_e32 v21, v20, v9
	v_xor_b32_e32 v20, v22, v8
	v_cmp_ne_u64_e64 s[16:17], s[20:21], v[20:21]
	v_cndmask_b32_e64 v23, v24, v21, s[16:17]
	v_cndmask_b32_e64 v22, 0, v20, s[16:17]
	v_lshrrev_b64 v[22:23], s44, v[22:23]
	v_and_b32_e32 v22, s50, v22
	v_lshl_add_u32 v9, v22, 4, v22
	v_add_lshl_u32 v47, v41, v9, 2
	v_and_b32_e32 v9, 1, v22
	v_add_co_u32_e64 v23, s[16:17], -1, v9
	v_addc_co_u32_e64 v25, s[16:17], 0, -1, s[16:17]
	v_cmp_ne_u32_e64 s[16:17], 0, v9
	v_xor_b32_e32 v9, s17, v25
	v_mov_b32_e32 v8, 0
	v_and_b32_e32 v25, exec_hi, v9
	v_lshlrev_b32_e32 v9, 30, v22
	v_xor_b32_e32 v23, s16, v23
	v_cmp_gt_i64_e64 s[16:17], 0, v[8:9]
	v_not_b32_e32 v9, v9
	v_ashrrev_i32_e32 v9, 31, v9
	v_and_b32_e32 v23, exec_lo, v23
	v_xor_b32_e32 v26, s17, v9
	v_xor_b32_e32 v9, s16, v9
	v_and_b32_e32 v23, v23, v9
	v_lshlrev_b32_e32 v9, 29, v22
	v_cmp_gt_i64_e64 s[16:17], 0, v[8:9]
	v_not_b32_e32 v9, v9
	v_ashrrev_i32_e32 v9, 31, v9
	v_and_b32_e32 v25, v25, v26
	v_xor_b32_e32 v26, s17, v9
	v_xor_b32_e32 v9, s16, v9
	v_and_b32_e32 v23, v23, v9
	v_lshlrev_b32_e32 v9, 28, v22
	v_cmp_gt_i64_e64 s[16:17], 0, v[8:9]
	v_not_b32_e32 v9, v9
	v_ashrrev_i32_e32 v9, 31, v9
	v_and_b32_e32 v25, v25, v26
	;; [unrolled: 8-line block ×5, first 2 shown]
	v_xor_b32_e32 v26, s17, v9
	v_xor_b32_e32 v9, s16, v9
	v_and_b32_e32 v25, v25, v26
	v_and_b32_e32 v26, v23, v9
	v_lshlrev_b32_e32 v9, 24, v22
	v_cmp_gt_i64_e64 s[16:17], 0, v[8:9]
	v_not_b32_e32 v9, v9
	v_ashrrev_i32_e32 v9, 31, v9
	v_xor_b32_e32 v22, s17, v9
	v_xor_b32_e32 v9, s16, v9
	; wave barrier
	ds_read_b32 v43, v47 offset:64
	v_and_b32_e32 v23, v25, v22
	v_and_b32_e32 v22, v26, v9
	v_mbcnt_lo_u32_b32 v9, v22, 0
	v_mbcnt_hi_u32_b32 v45, v23, v9
	v_cmp_eq_u32_e64 s[16:17], 0, v45
	v_cmp_ne_u64_e64 s[18:19], 0, v[22:23]
	s_and_b64 s[18:19], s[18:19], s[16:17]
	; wave barrier
	s_and_saveexec_b64 s[16:17], s[18:19]
	s_cbranch_execz .LBB1656_27
; %bb.26:
	v_bcnt_u32_b32 v9, v22, 0
	v_bcnt_u32_b32 v9, v23, v9
	s_waitcnt lgkmcnt(0)
	v_add_u32_e32 v9, v43, v9
	ds_write_b32 v47, v9 offset:64
.LBB1656_27:
	s_or_b64 exec, exec, s[16:17]
	v_cmp_lt_i64_e64 s[16:17], -1, v[6:7]
	v_cndmask_b32_e64 v9, -1, v24, s[16:17]
	v_ashrrev_i32_e32 v22, 31, v7
	v_xor_b32_e32 v23, v9, v7
	v_xor_b32_e32 v22, v22, v6
	v_cmp_ne_u64_e64 s[16:17], s[20:21], v[22:23]
	v_cndmask_b32_e64 v7, v24, v23, s[16:17]
	v_cndmask_b32_e64 v6, 0, v22, s[16:17]
	v_lshrrev_b64 v[6:7], s44, v[6:7]
	v_and_b32_e32 v6, s50, v6
	v_lshl_add_u32 v7, v6, 4, v6
	v_add_lshl_u32 v48, v41, v7, 2
	v_and_b32_e32 v7, 1, v6
	v_add_co_u32_e64 v9, s[16:17], -1, v7
	v_addc_co_u32_e64 v24, s[16:17], 0, -1, s[16:17]
	v_cmp_ne_u32_e64 s[16:17], 0, v7
	v_xor_b32_e32 v9, s16, v9
	v_xor_b32_e32 v7, s17, v24
	v_and_b32_e32 v24, exec_lo, v9
	v_lshlrev_b32_e32 v9, 30, v6
	v_cmp_gt_i64_e64 s[16:17], 0, v[8:9]
	v_not_b32_e32 v9, v9
	v_ashrrev_i32_e32 v9, 31, v9
	v_xor_b32_e32 v25, s17, v9
	v_xor_b32_e32 v9, s16, v9
	v_and_b32_e32 v24, v24, v9
	v_lshlrev_b32_e32 v9, 29, v6
	v_cmp_gt_i64_e64 s[16:17], 0, v[8:9]
	v_not_b32_e32 v9, v9
	v_and_b32_e32 v7, exec_hi, v7
	v_ashrrev_i32_e32 v9, 31, v9
	v_and_b32_e32 v7, v7, v25
	v_xor_b32_e32 v25, s17, v9
	v_xor_b32_e32 v9, s16, v9
	v_and_b32_e32 v24, v24, v9
	v_lshlrev_b32_e32 v9, 28, v6
	v_cmp_gt_i64_e64 s[16:17], 0, v[8:9]
	v_not_b32_e32 v9, v9
	v_ashrrev_i32_e32 v9, 31, v9
	v_and_b32_e32 v7, v7, v25
	v_xor_b32_e32 v25, s17, v9
	v_xor_b32_e32 v9, s16, v9
	v_and_b32_e32 v24, v24, v9
	v_lshlrev_b32_e32 v9, 27, v6
	v_cmp_gt_i64_e64 s[16:17], 0, v[8:9]
	v_not_b32_e32 v9, v9
	;; [unrolled: 8-line block ×4, first 2 shown]
	v_ashrrev_i32_e32 v9, 31, v9
	v_and_b32_e32 v7, v7, v25
	v_xor_b32_e32 v25, s17, v9
	v_xor_b32_e32 v9, s16, v9
	v_and_b32_e32 v24, v24, v9
	v_lshlrev_b32_e32 v9, 24, v6
	v_not_b32_e32 v6, v9
	v_cmp_gt_i64_e64 s[16:17], 0, v[8:9]
	v_ashrrev_i32_e32 v6, 31, v6
	v_xor_b32_e32 v8, s17, v6
	v_xor_b32_e32 v6, s16, v6
	; wave barrier
	ds_read_b32 v46, v48 offset:64
	v_and_b32_e32 v7, v7, v25
	v_and_b32_e32 v6, v24, v6
	;; [unrolled: 1-line block ×3, first 2 shown]
	v_mbcnt_lo_u32_b32 v8, v6, 0
	v_mbcnt_hi_u32_b32 v8, v7, v8
	v_cmp_eq_u32_e64 s[16:17], 0, v8
	v_cmp_ne_u64_e64 s[18:19], 0, v[6:7]
	s_and_b64 s[18:19], s[18:19], s[16:17]
	; wave barrier
	s_and_saveexec_b64 s[16:17], s[18:19]
	s_cbranch_execz .LBB1656_29
; %bb.28:
	v_bcnt_u32_b32 v6, v6, 0
	v_bcnt_u32_b32 v6, v7, v6
	s_waitcnt lgkmcnt(0)
	v_add_u32_e32 v6, v46, v6
	ds_write_b32 v48, v6 offset:64
.LBB1656_29:
	s_or_b64 exec, exec, s[16:17]
	v_bfrev_b32_e32 v51, 1
	v_cmp_lt_i64_e64 s[16:17], -1, v[4:5]
	v_cndmask_b32_e64 v6, -1, v51, s[16:17]
	v_ashrrev_i32_e32 v7, 31, v5
	v_xor_b32_e32 v25, v6, v5
	v_xor_b32_e32 v24, v7, v4
	v_cmp_ne_u64_e64 s[16:17], s[20:21], v[24:25]
	v_cndmask_b32_e64 v7, v51, v25, s[16:17]
	v_cndmask_b32_e64 v6, 0, v24, s[16:17]
	v_lshrrev_b64 v[6:7], s44, v[6:7]
	v_and_b32_e32 v6, s50, v6
	v_lshl_add_u32 v5, v6, 4, v6
	v_add_lshl_u32 v50, v41, v5, 2
	v_and_b32_e32 v5, 1, v6
	v_add_co_u32_e64 v7, s[16:17], -1, v5
	v_addc_co_u32_e64 v26, s[16:17], 0, -1, s[16:17]
	v_cmp_ne_u32_e64 s[16:17], 0, v5
	v_xor_b32_e32 v5, s17, v26
	v_mov_b32_e32 v4, 0
	v_and_b32_e32 v26, exec_hi, v5
	v_lshlrev_b32_e32 v5, 30, v6
	v_xor_b32_e32 v7, s16, v7
	v_cmp_gt_i64_e64 s[16:17], 0, v[4:5]
	v_not_b32_e32 v5, v5
	v_ashrrev_i32_e32 v5, 31, v5
	v_and_b32_e32 v7, exec_lo, v7
	v_xor_b32_e32 v27, s17, v5
	v_xor_b32_e32 v5, s16, v5
	v_and_b32_e32 v7, v7, v5
	v_lshlrev_b32_e32 v5, 29, v6
	v_cmp_gt_i64_e64 s[16:17], 0, v[4:5]
	v_not_b32_e32 v5, v5
	v_ashrrev_i32_e32 v5, 31, v5
	v_and_b32_e32 v26, v26, v27
	v_xor_b32_e32 v27, s17, v5
	v_xor_b32_e32 v5, s16, v5
	v_and_b32_e32 v7, v7, v5
	v_lshlrev_b32_e32 v5, 28, v6
	v_cmp_gt_i64_e64 s[16:17], 0, v[4:5]
	v_not_b32_e32 v5, v5
	v_ashrrev_i32_e32 v5, 31, v5
	v_and_b32_e32 v26, v26, v27
	;; [unrolled: 8-line block ×5, first 2 shown]
	v_xor_b32_e32 v27, s17, v5
	v_xor_b32_e32 v5, s16, v5
	v_and_b32_e32 v26, v26, v27
	v_and_b32_e32 v27, v7, v5
	v_lshlrev_b32_e32 v5, 24, v6
	v_cmp_gt_i64_e64 s[16:17], 0, v[4:5]
	v_not_b32_e32 v5, v5
	v_ashrrev_i32_e32 v5, 31, v5
	v_xor_b32_e32 v6, s17, v5
	v_xor_b32_e32 v5, s16, v5
	; wave barrier
	ds_read_b32 v9, v50 offset:64
	v_and_b32_e32 v7, v26, v6
	v_and_b32_e32 v6, v27, v5
	v_mbcnt_lo_u32_b32 v5, v6, 0
	v_mbcnt_hi_u32_b32 v49, v7, v5
	v_cmp_eq_u32_e64 s[16:17], 0, v49
	v_cmp_ne_u64_e64 s[18:19], 0, v[6:7]
	s_and_b64 s[18:19], s[18:19], s[16:17]
	; wave barrier
	s_and_saveexec_b64 s[16:17], s[18:19]
	s_cbranch_execz .LBB1656_31
; %bb.30:
	v_bcnt_u32_b32 v5, v6, 0
	v_bcnt_u32_b32 v5, v7, v5
	s_waitcnt lgkmcnt(0)
	v_add_u32_e32 v5, v9, v5
	ds_write_b32 v50, v5 offset:64
.LBB1656_31:
	s_or_b64 exec, exec, s[16:17]
	v_cmp_lt_i64_e64 s[16:17], -1, v[2:3]
	v_cndmask_b32_e64 v5, -1, v51, s[16:17]
	v_ashrrev_i32_e32 v7, 31, v3
	v_xor_b32_e32 v27, v5, v3
	v_xor_b32_e32 v26, v7, v2
	v_cmp_ne_u64_e64 s[16:17], s[20:21], v[26:27]
	v_cndmask_b32_e64 v3, v51, v27, s[16:17]
	v_cndmask_b32_e64 v2, 0, v26, s[16:17]
	v_lshrrev_b64 v[2:3], s44, v[2:3]
	v_and_b32_e32 v2, s50, v2
	v_lshl_add_u32 v3, v2, 4, v2
	v_add_lshl_u32 v7, v3, v41, 2
	v_and_b32_e32 v3, 1, v2
	v_add_co_u32_e64 v5, s[16:17], -1, v3
	v_addc_co_u32_e64 v51, s[16:17], 0, -1, s[16:17]
	v_cmp_ne_u32_e64 s[16:17], 0, v3
	v_xor_b32_e32 v5, s16, v5
	v_xor_b32_e32 v3, s17, v51
	v_and_b32_e32 v51, exec_lo, v5
	v_lshlrev_b32_e32 v5, 30, v2
	v_cmp_gt_i64_e64 s[16:17], 0, v[4:5]
	v_not_b32_e32 v5, v5
	v_ashrrev_i32_e32 v5, 31, v5
	v_xor_b32_e32 v52, s17, v5
	v_xor_b32_e32 v5, s16, v5
	v_and_b32_e32 v51, v51, v5
	v_lshlrev_b32_e32 v5, 29, v2
	v_cmp_gt_i64_e64 s[16:17], 0, v[4:5]
	v_not_b32_e32 v5, v5
	v_and_b32_e32 v3, exec_hi, v3
	v_ashrrev_i32_e32 v5, 31, v5
	v_and_b32_e32 v3, v3, v52
	v_xor_b32_e32 v52, s17, v5
	v_xor_b32_e32 v5, s16, v5
	v_and_b32_e32 v51, v51, v5
	v_lshlrev_b32_e32 v5, 28, v2
	v_cmp_gt_i64_e64 s[16:17], 0, v[4:5]
	v_not_b32_e32 v5, v5
	v_ashrrev_i32_e32 v5, 31, v5
	v_and_b32_e32 v3, v3, v52
	v_xor_b32_e32 v52, s17, v5
	v_xor_b32_e32 v5, s16, v5
	v_and_b32_e32 v51, v51, v5
	v_lshlrev_b32_e32 v5, 27, v2
	v_cmp_gt_i64_e64 s[16:17], 0, v[4:5]
	v_not_b32_e32 v5, v5
	;; [unrolled: 8-line block ×4, first 2 shown]
	v_ashrrev_i32_e32 v5, 31, v5
	v_and_b32_e32 v3, v3, v52
	v_xor_b32_e32 v52, s17, v5
	v_xor_b32_e32 v5, s16, v5
	v_and_b32_e32 v51, v51, v5
	v_lshlrev_b32_e32 v5, 24, v2
	v_not_b32_e32 v2, v5
	v_cmp_gt_i64_e64 s[16:17], 0, v[4:5]
	v_ashrrev_i32_e32 v2, 31, v2
	v_xor_b32_e32 v4, s17, v2
	v_xor_b32_e32 v2, s16, v2
	; wave barrier
	ds_read_b32 v41, v7 offset:64
	v_and_b32_e32 v3, v3, v52
	v_and_b32_e32 v2, v51, v2
	v_and_b32_e32 v3, v3, v4
	v_mbcnt_lo_u32_b32 v4, v2, 0
	v_mbcnt_hi_u32_b32 v51, v3, v4
	v_cmp_eq_u32_e64 s[16:17], 0, v51
	v_cmp_ne_u64_e64 s[18:19], 0, v[2:3]
	v_add_u32_e32 v6, 64, v33
	s_and_b64 s[18:19], s[18:19], s[16:17]
	; wave barrier
	s_and_saveexec_b64 s[16:17], s[18:19]
	s_cbranch_execz .LBB1656_33
; %bb.32:
	v_bcnt_u32_b32 v2, v2, 0
	v_bcnt_u32_b32 v2, v3, v2
	s_waitcnt lgkmcnt(0)
	v_add_u32_e32 v2, v41, v2
	ds_write_b32 v7, v2 offset:64
.LBB1656_33:
	s_or_b64 exec, exec, s[16:17]
	; wave barrier
	s_waitcnt lgkmcnt(0)
	s_barrier
	ds_read2_b32 v[4:5], v33 offset0:16 offset1:17
	ds_read2_b32 v[2:3], v6 offset0:2 offset1:3
	ds_read_b32 v52, v6 offset:16
	v_cmp_lt_u32_e64 s[26:27], 31, v28
	s_waitcnt lgkmcnt(1)
	v_add3_u32 v53, v5, v4, v2
	s_waitcnt lgkmcnt(0)
	v_add3_u32 v52, v53, v3, v52
	v_and_b32_e32 v53, 15, v28
	v_cmp_eq_u32_e64 s[16:17], 0, v53
	v_mov_b32_dpp v54, v52 row_shr:1 row_mask:0xf bank_mask:0xf
	v_cndmask_b32_e64 v54, v54, 0, s[16:17]
	v_add_u32_e32 v52, v54, v52
	v_cmp_lt_u32_e64 s[18:19], 1, v53
	v_cmp_lt_u32_e64 s[20:21], 3, v53
	v_mov_b32_dpp v54, v52 row_shr:2 row_mask:0xf bank_mask:0xf
	v_cndmask_b32_e64 v54, 0, v54, s[18:19]
	v_add_u32_e32 v52, v52, v54
	v_cmp_lt_u32_e64 s[22:23], 7, v53
	s_nop 0
	v_mov_b32_dpp v54, v52 row_shr:4 row_mask:0xf bank_mask:0xf
	v_cndmask_b32_e64 v54, 0, v54, s[20:21]
	v_add_u32_e32 v52, v52, v54
	s_nop 1
	v_mov_b32_dpp v54, v52 row_shr:8 row_mask:0xf bank_mask:0xf
	v_cndmask_b32_e64 v53, 0, v54, s[22:23]
	v_add_u32_e32 v52, v52, v53
	v_bfe_i32 v54, v28, 4, 1
	s_nop 0
	v_mov_b32_dpp v53, v52 row_bcast:15 row_mask:0xf bank_mask:0xf
	v_and_b32_e32 v53, v54, v53
	v_add_u32_e32 v52, v52, v53
	v_lshrrev_b32_e32 v54, 6, v10
	s_nop 0
	v_mov_b32_dpp v53, v52 row_bcast:31 row_mask:0xf bank_mask:0xf
	v_cndmask_b32_e64 v53, 0, v53, s[26:27]
	v_add_u32_e32 v53, v52, v53
	v_and_b32_e32 v52, 63, v10
	v_cmp_eq_u32_e64 s[26:27], 63, v52
	s_and_saveexec_b64 s[48:49], s[26:27]
	s_cbranch_execz .LBB1656_35
; %bb.34:
	v_lshlrev_b32_e32 v52, 2, v54
	ds_write_b32 v52, v53
.LBB1656_35:
	s_or_b64 exec, exec, s[48:49]
	v_cmp_gt_u32_e64 s[26:27], 16, v10
	v_lshlrev_b32_e32 v52, 2, v10
	s_waitcnt lgkmcnt(0)
	s_barrier
	s_and_saveexec_b64 s[48:49], s[26:27]
	s_cbranch_execz .LBB1656_37
; %bb.36:
	ds_read_b32 v55, v52
	s_waitcnt lgkmcnt(0)
	s_nop 0
	v_mov_b32_dpp v56, v55 row_shr:1 row_mask:0xf bank_mask:0xf
	v_cndmask_b32_e64 v56, v56, 0, s[16:17]
	v_add_u32_e32 v55, v56, v55
	s_nop 1
	v_mov_b32_dpp v56, v55 row_shr:2 row_mask:0xf bank_mask:0xf
	v_cndmask_b32_e64 v56, 0, v56, s[18:19]
	v_add_u32_e32 v55, v55, v56
	;; [unrolled: 4-line block ×4, first 2 shown]
	ds_write_b32 v52, v55
.LBB1656_37:
	s_or_b64 exec, exec, s[48:49]
	v_cmp_lt_u32_e64 s[16:17], 63, v10
	v_mov_b32_e32 v55, 0
	s_waitcnt lgkmcnt(0)
	s_barrier
	s_and_saveexec_b64 s[18:19], s[16:17]
	s_cbranch_execz .LBB1656_39
; %bb.38:
	v_lshl_add_u32 v54, v54, 2, -4
	ds_read_b32 v55, v54
.LBB1656_39:
	s_or_b64 exec, exec, s[18:19]
	v_add_u32_e32 v54, -1, v28
	v_and_b32_e32 v56, 64, v28
	v_cmp_lt_i32_e64 s[16:17], v54, v56
	v_cndmask_b32_e64 v54, v54, v28, s[16:17]
	s_waitcnt lgkmcnt(0)
	v_add_u32_e32 v53, v55, v53
	v_lshlrev_b32_e32 v54, 2, v54
	ds_bpermute_b32 v53, v54, v53
	v_cmp_eq_u32_e64 s[16:17], 0, v28
	s_waitcnt lgkmcnt(0)
	v_cndmask_b32_e64 v28, v53, v55, s[16:17]
	v_cmp_ne_u32_e64 s[16:17], 0, v10
	v_cndmask_b32_e64 v28, 0, v28, s[16:17]
	v_add_u32_e32 v4, v28, v4
	v_add_u32_e32 v5, v4, v5
	;; [unrolled: 1-line block ×4, first 2 shown]
	ds_write2_b32 v33, v28, v4 offset0:16 offset1:17
	ds_write2_b32 v6, v5, v2 offset0:2 offset1:3
	ds_write_b32 v6, v3 offset:16
	s_waitcnt lgkmcnt(0)
	s_barrier
	ds_read_b32 v55, v35 offset:64
	ds_read_b32 v28, v37 offset:64
	;; [unrolled: 1-line block ×8, first 2 shown]
	s_movk_i32 s16, 0x100
	v_cmp_gt_u32_e64 s[16:17], s16, v10
                                        ; implicit-def: $vgpr33
                                        ; implicit-def: $vgpr35
	s_and_saveexec_b64 s[20:21], s[16:17]
	s_cbranch_execz .LBB1656_43
; %bb.40:
	v_mul_u32_u24_e32 v2, 17, v10
	v_lshlrev_b32_e32 v3, 2, v2
	ds_read_b32 v33, v3 offset:64
	s_movk_i32 s18, 0xff
	v_cmp_ne_u32_e64 s[18:19], s18, v10
	v_mov_b32_e32 v2, 0x2000
	s_and_saveexec_b64 s[22:23], s[18:19]
	s_cbranch_execz .LBB1656_42
; %bb.41:
	ds_read_b32 v2, v3 offset:132
.LBB1656_42:
	s_or_b64 exec, exec, s[22:23]
	s_waitcnt lgkmcnt(0)
	v_sub_u32_e32 v35, v2, v33
.LBB1656_43:
	s_or_b64 exec, exec, s[20:21]
	s_waitcnt lgkmcnt(0)
	s_barrier
	s_and_saveexec_b64 s[20:21], s[16:17]
	s_cbranch_execz .LBB1656_53
; %bb.44:
	v_lshl_or_b32 v2, s6, 8, v10
	v_mov_b32_e32 v3, 0
	v_lshlrev_b64 v[4:5], 2, v[2:3]
	v_mov_b32_e32 v37, s35
	v_add_co_u32_e64 v4, s[18:19], s34, v4
	v_addc_co_u32_e64 v5, s[18:19], v37, v5, s[18:19]
	v_or_b32_e32 v2, 2.0, v35
	s_mov_b64 s[22:23], 0
	s_brev_b32 s51, 1
	s_mov_b32 s52, s6
	v_mov_b32_e32 v40, 0
	global_store_dword v[4:5], v2, off
                                        ; implicit-def: $sgpr18_sgpr19
	s_branch .LBB1656_46
.LBB1656_45:                            ;   in Loop: Header=BB1656_46 Depth=1
	s_or_b64 exec, exec, s[26:27]
	v_and_b32_e32 v6, 0x3fffffff, v56
	v_add_u32_e32 v40, v6, v40
	v_cmp_eq_u32_e64 s[18:19], s51, v2
	s_and_b64 s[26:27], exec, s[18:19]
	s_or_b64 s[22:23], s[26:27], s[22:23]
	s_andn2_b64 exec, exec, s[22:23]
	s_cbranch_execz .LBB1656_52
.LBB1656_46:                            ; =>This Loop Header: Depth=1
                                        ;     Child Loop BB1656_49 Depth 2
	s_or_b64 s[18:19], s[18:19], exec
	s_cmp_eq_u32 s52, 0
	s_cbranch_scc1 .LBB1656_51
; %bb.47:                               ;   in Loop: Header=BB1656_46 Depth=1
	s_add_i32 s52, s52, -1
	v_lshl_or_b32 v2, s52, 8, v10
	v_lshlrev_b64 v[6:7], 2, v[2:3]
	v_add_co_u32_e64 v6, s[18:19], s34, v6
	v_addc_co_u32_e64 v7, s[18:19], v37, v7, s[18:19]
	global_load_dword v56, v[6:7], off glc
	s_waitcnt vmcnt(0)
	v_and_b32_e32 v2, -2.0, v56
	v_cmp_eq_u32_e64 s[18:19], 0, v2
	s_and_saveexec_b64 s[26:27], s[18:19]
	s_cbranch_execz .LBB1656_45
; %bb.48:                               ;   in Loop: Header=BB1656_46 Depth=1
	s_mov_b64 s[48:49], 0
.LBB1656_49:                            ;   Parent Loop BB1656_46 Depth=1
                                        ; =>  This Inner Loop Header: Depth=2
	global_load_dword v56, v[6:7], off glc
	s_waitcnt vmcnt(0)
	v_and_b32_e32 v2, -2.0, v56
	v_cmp_ne_u32_e64 s[18:19], 0, v2
	s_or_b64 s[48:49], s[18:19], s[48:49]
	s_andn2_b64 exec, exec, s[48:49]
	s_cbranch_execnz .LBB1656_49
; %bb.50:                               ;   in Loop: Header=BB1656_46 Depth=1
	s_or_b64 exec, exec, s[48:49]
	s_branch .LBB1656_45
.LBB1656_51:                            ;   in Loop: Header=BB1656_46 Depth=1
                                        ; implicit-def: $sgpr52
	s_and_b64 s[26:27], exec, s[18:19]
	s_or_b64 s[22:23], s[26:27], s[22:23]
	s_andn2_b64 exec, exec, s[22:23]
	s_cbranch_execnz .LBB1656_46
.LBB1656_52:
	s_or_b64 exec, exec, s[22:23]
	v_add_u32_e32 v2, v40, v35
	v_or_b32_e32 v2, 0x80000000, v2
	global_store_dword v[4:5], v2, off
	global_load_dword v2, v52, s[28:29]
	v_sub_u32_e32 v3, v40, v33
	s_waitcnt vmcnt(0)
	v_add_u32_e32 v2, v3, v2
	ds_write_b32 v52, v2
.LBB1656_53:
	s_or_b64 exec, exec, s[20:21]
	s_mov_b32 s22, -1
	v_add_u32_e32 v37, v55, v29
	s_movk_i32 s48, 0x400
	v_add_u32_e32 v40, 0x400, v11
	v_add3_u32 v41, v51, v50, v41
	v_add3_u32 v44, v49, v44, v9
	;; [unrolled: 1-line block ×7, first 2 shown]
	s_mov_b32 s49, 0
	s_brev_b32 s23, -2
	v_mov_b32_e32 v29, 0
	v_bfrev_b32_e32 v34, 1
	v_mov_b32_e32 v38, v10
	s_mov_b32 s51, 0
                                        ; implicit-def: $vgpr2_vgpr3_vgpr4_vgpr5_vgpr6_vgpr7_vgpr8_vgpr9
	s_branch .LBB1656_55
.LBB1656_54:                            ;   in Loop: Header=BB1656_55 Depth=1
	s_or_b64 exec, exec, s[26:27]
	s_addk_i32 s51, 0xf800
	s_add_i32 s49, s49, 2
	s_cmpk_eq_i32 s51, 0xe000
	v_add_u32_e32 v38, 0x800, v38
	s_barrier
	s_cbranch_scc1 .LBB1656_60
.LBB1656_55:                            ; =>This Inner Loop Header: Depth=1
	v_add_u32_e32 v28, s51, v37
	v_min_u32_e32 v28, 0x800, v28
	v_lshlrev_b32_e32 v28, 3, v28
	ds_write_b64 v28, v[12:13] offset:1024
	v_add_u32_e32 v28, s51, v32
	v_min_u32_e32 v28, 0x800, v28
	v_lshlrev_b32_e32 v28, 3, v28
	ds_write_b64 v28, v[14:15] offset:1024
	;; [unrolled: 4-line block ×7, first 2 shown]
	v_add_u32_e32 v28, s51, v41
	v_min_u32_e32 v28, 0x800, v28
	v_lshlrev_b32_e32 v28, 3, v28
	v_cmp_gt_u32_e64 s[18:19], s7, v38
	ds_write_b64 v28, v[26:27] offset:1024
	s_waitcnt lgkmcnt(0)
	s_barrier
	s_and_saveexec_b64 s[26:27], s[18:19]
	s_cbranch_execz .LBB1656_57
; %bb.56:                               ;   in Loop: Header=BB1656_55 Depth=1
	ds_read_b64 v[48:49], v11 offset:1024
	v_mov_b32_e32 v42, s39
	s_cmp_eq_u32 s49, 7
	s_waitcnt lgkmcnt(0)
	v_cmp_ne_u64_e64 s[18:19], s[22:23], v[48:49]
	v_cndmask_b32_e64 v51, v34, v49, s[18:19]
	v_cndmask_b32_e64 v50, 0, v48, s[18:19]
	v_lshrrev_b64 v[50:51], s44, v[50:51]
	v_and_b32_e32 v45, s50, v50
	v_lshlrev_b32_e32 v47, 2, v45
	ds_read_b32 v47, v47
	v_cmp_lt_i64_e64 s[20:21], -1, v[48:49]
	v_cndmask_b32_e64 v28, v34, -1, s[20:21]
	v_ashrrev_i32_e32 v50, 31, v49
	v_not_b32_e32 v50, v50
	v_xor_b32_e32 v49, v28, v49
	s_waitcnt lgkmcnt(0)
	v_add_u32_e32 v28, v38, v47
	v_xor_b32_e32 v48, v50, v48
	v_lshlrev_b64 v[50:51], 3, v[28:29]
	v_add_co_u32_e64 v50, s[18:19], s38, v50
	v_addc_co_u32_e64 v51, s[18:19], v42, v51, s[18:19]
	s_cselect_b64 s[18:19], -1, 0
	s_cmp_eq_u32 s49, 6
	v_cndmask_b32_e64 v9, v9, v45, s[18:19]
	s_cselect_b64 s[18:19], -1, 0
	s_cmp_eq_u32 s49, 5
	v_cndmask_b32_e64 v8, v8, v45, s[18:19]
	;; [unrolled: 3-line block ×7, first 2 shown]
	s_cselect_b64 s[18:19], -1, 0
	v_cndmask_b32_e64 v2, v2, v45, s[18:19]
	global_store_dwordx2 v[50:51], v[48:49], off
.LBB1656_57:                            ;   in Loop: Header=BB1656_55 Depth=1
	s_or_b64 exec, exec, s[26:27]
	v_add_u32_e32 v28, 0x400, v38
	v_cmp_gt_u32_e64 s[18:19], s7, v28
	s_and_saveexec_b64 s[26:27], s[18:19]
	s_cbranch_execz .LBB1656_54
; %bb.58:                               ;   in Loop: Header=BB1656_55 Depth=1
	ds_read_b64 v[48:49], v40 offset:8192
	v_mov_b32_e32 v42, s39
	s_waitcnt lgkmcnt(0)
	v_cmp_ne_u64_e64 s[18:19], s[22:23], v[48:49]
	v_cndmask_b32_e64 v51, v34, v49, s[18:19]
	v_cndmask_b32_e64 v50, 0, v48, s[18:19]
	v_lshrrev_b64 v[50:51], s44, v[50:51]
	v_and_b32_e32 v45, s50, v50
	v_lshlrev_b32_e32 v47, 2, v45
	ds_read_b32 v47, v47
	v_cmp_lt_i64_e64 s[20:21], -1, v[48:49]
	v_cndmask_b32_e64 v28, v34, -1, s[20:21]
	v_ashrrev_i32_e32 v50, 31, v49
	v_not_b32_e32 v50, v50
	v_xor_b32_e32 v49, v28, v49
	s_waitcnt lgkmcnt(0)
	v_add3_u32 v28, v38, v47, s48
	v_xor_b32_e32 v48, v50, v48
	v_lshlrev_b64 v[50:51], 3, v[28:29]
	v_add_co_u32_e64 v50, s[18:19], s38, v50
	s_add_i32 s20, s49, 1
	v_addc_co_u32_e64 v51, s[18:19], v42, v51, s[18:19]
	s_cmp_eq_u32 s20, 7
	s_cselect_b64 s[18:19], -1, 0
	s_cmp_eq_u32 s20, 6
	v_cndmask_b32_e64 v9, v9, v45, s[18:19]
	s_cselect_b64 s[18:19], -1, 0
	s_cmp_eq_u32 s20, 5
	v_cndmask_b32_e64 v8, v8, v45, s[18:19]
	;; [unrolled: 3-line block ×7, first 2 shown]
	s_cselect_b64 s[18:19], -1, 0
	v_cndmask_b32_e64 v2, v2, v45, s[18:19]
	global_store_dwordx2 v[50:51], v[48:49], off
	s_branch .LBB1656_54
.LBB1656_59:
	s_mov_b64 s[10:11], 0
                                        ; implicit-def: $vgpr2
                                        ; implicit-def: $vgpr10
	s_cbranch_execnz .LBB1656_78
	s_branch .LBB1656_121
.LBB1656_60:
	s_add_u32 s18, s40, s46
	s_addc_u32 s19, s41, s47
	v_mov_b32_e32 v12, s19
	v_add_co_u32_e64 v13, s[18:19], s18, v30
	v_addc_co_u32_e64 v12, s[18:19], 0, v12, s[18:19]
	v_add_co_u32_e64 v28, s[18:19], v13, v31
	v_addc_co_u32_e64 v29, s[18:19], 0, v12, s[18:19]
                                        ; implicit-def: $vgpr12_vgpr13
	s_and_saveexec_b64 s[18:19], vcc
	s_cbranch_execnz .LBB1656_124
; %bb.61:
	s_or_b64 exec, exec, s[18:19]
                                        ; implicit-def: $vgpr14_vgpr15
	s_and_saveexec_b64 s[18:19], s[0:1]
	s_cbranch_execnz .LBB1656_125
.LBB1656_62:
	s_or_b64 exec, exec, s[18:19]
                                        ; implicit-def: $vgpr16_vgpr17
	s_and_saveexec_b64 s[0:1], s[2:3]
	s_cbranch_execnz .LBB1656_126
.LBB1656_63:
	s_or_b64 exec, exec, s[0:1]
                                        ; implicit-def: $vgpr18_vgpr19
	s_and_saveexec_b64 s[0:1], s[24:25]
	s_cbranch_execnz .LBB1656_127
.LBB1656_64:
	s_or_b64 exec, exec, s[0:1]
                                        ; implicit-def: $vgpr20_vgpr21
	s_and_saveexec_b64 s[0:1], s[8:9]
	s_cbranch_execnz .LBB1656_128
.LBB1656_65:
	s_or_b64 exec, exec, s[0:1]
                                        ; implicit-def: $vgpr22_vgpr23
	s_and_saveexec_b64 s[0:1], s[10:11]
	s_cbranch_execnz .LBB1656_129
.LBB1656_66:
	s_or_b64 exec, exec, s[0:1]
                                        ; implicit-def: $vgpr24_vgpr25
	s_and_saveexec_b64 s[0:1], s[12:13]
	s_cbranch_execnz .LBB1656_130
.LBB1656_67:
	s_or_b64 exec, exec, s[0:1]
                                        ; implicit-def: $vgpr26_vgpr27
	s_and_saveexec_b64 s[0:1], s[14:15]
	s_cbranch_execz .LBB1656_69
.LBB1656_68:
	global_load_dwordx2 v[26:27], v[28:29], off offset:3584
.LBB1656_69:
	s_or_b64 exec, exec, s[0:1]
	s_mov_b32 s2, 0
	v_mov_b32_e32 v29, 0
	s_movk_i32 s3, 0x400
	s_mov_b32 s8, 0
	v_mov_b32_e32 v30, v10
	s_waitcnt vmcnt(0)
	s_branch .LBB1656_71
.LBB1656_70:                            ;   in Loop: Header=BB1656_71 Depth=1
	s_or_b64 exec, exec, s[0:1]
	s_addk_i32 s8, 0xf800
	s_add_i32 s2, s2, 2
	s_cmpk_eq_i32 s8, 0xe000
	v_add_u32_e32 v30, 0x800, v30
	s_barrier
	s_cbranch_scc1 .LBB1656_75
.LBB1656_71:                            ; =>This Inner Loop Header: Depth=1
	v_add_u32_e32 v28, s8, v37
	v_min_u32_e32 v28, 0x800, v28
	v_lshlrev_b32_e32 v28, 3, v28
	ds_write_b64 v28, v[12:13] offset:1024
	v_add_u32_e32 v28, s8, v32
	v_min_u32_e32 v28, 0x800, v28
	v_lshlrev_b32_e32 v28, 3, v28
	ds_write_b64 v28, v[14:15] offset:1024
	;; [unrolled: 4-line block ×7, first 2 shown]
	v_add_u32_e32 v28, s8, v41
	v_min_u32_e32 v28, 0x800, v28
	v_lshlrev_b32_e32 v28, 3, v28
	v_cmp_gt_u32_e32 vcc, s7, v30
	ds_write_b64 v28, v[26:27] offset:1024
	s_waitcnt lgkmcnt(0)
	s_barrier
	s_and_saveexec_b64 s[0:1], vcc
	s_cbranch_execz .LBB1656_73
; %bb.72:                               ;   in Loop: Header=BB1656_71 Depth=1
	s_cmp_eq_u32 s2, 1
	s_cselect_b64 vcc, -1, 0
	s_cmp_eq_u32 s2, 2
	v_cndmask_b32_e32 v28, v2, v3, vcc
	s_cselect_b64 vcc, -1, 0
	s_cmp_eq_u32 s2, 3
	v_cndmask_b32_e32 v28, v28, v4, vcc
	;; [unrolled: 3-line block ×6, first 2 shown]
	s_cselect_b64 vcc, -1, 0
	v_cndmask_b32_e32 v28, v28, v9, vcc
	v_lshlrev_b32_e32 v28, 2, v28
	ds_read_b32 v28, v28
	ds_read_b64 v[48:49], v11 offset:1024
	s_waitcnt lgkmcnt(1)
	v_add_u32_e32 v28, v30, v28
	v_lshlrev_b64 v[50:51], 3, v[28:29]
	v_mov_b32_e32 v28, s43
	v_add_co_u32_e32 v50, vcc, s42, v50
	v_addc_co_u32_e32 v51, vcc, v28, v51, vcc
	s_waitcnt lgkmcnt(0)
	global_store_dwordx2 v[50:51], v[48:49], off
.LBB1656_73:                            ;   in Loop: Header=BB1656_71 Depth=1
	s_or_b64 exec, exec, s[0:1]
	v_add_u32_e32 v28, 0x400, v30
	v_cmp_gt_u32_e32 vcc, s7, v28
	s_and_saveexec_b64 s[0:1], vcc
	s_cbranch_execz .LBB1656_70
; %bb.74:                               ;   in Loop: Header=BB1656_71 Depth=1
	s_add_i32 s9, s2, 1
	s_cmp_eq_u32 s9, 1
	s_cselect_b64 vcc, -1, 0
	s_cmp_eq_u32 s9, 2
	v_cndmask_b32_e32 v28, v2, v3, vcc
	s_cselect_b64 vcc, -1, 0
	s_cmp_eq_u32 s9, 3
	v_cndmask_b32_e32 v28, v28, v4, vcc
	;; [unrolled: 3-line block ×6, first 2 shown]
	s_cselect_b64 vcc, -1, 0
	v_cndmask_b32_e32 v28, v28, v9, vcc
	v_lshlrev_b32_e32 v28, 2, v28
	ds_read_b32 v28, v28
	ds_read_b64 v[48:49], v40 offset:8192
	s_waitcnt lgkmcnt(1)
	v_add3_u32 v28, v30, v28, s3
	v_lshlrev_b64 v[50:51], 3, v[28:29]
	v_mov_b32_e32 v28, s43
	v_add_co_u32_e32 v50, vcc, s42, v50
	v_addc_co_u32_e32 v51, vcc, v28, v51, vcc
	s_waitcnt lgkmcnt(0)
	global_store_dwordx2 v[50:51], v[48:49], off
	s_branch .LBB1656_70
.LBB1656_75:
	s_add_i32 s33, s33, -1
	s_cmp_eq_u32 s33, s6
	s_cselect_b64 s[0:1], -1, 0
	s_and_b64 s[2:3], s[16:17], s[0:1]
	s_mov_b64 s[0:1], 0
	s_mov_b64 s[10:11], 0
                                        ; implicit-def: $vgpr2
	s_and_saveexec_b64 s[8:9], s[2:3]
	s_xor_b64 s[2:3], exec, s[8:9]
; %bb.76:
	s_mov_b64 s[10:11], exec
	v_add_u32_e32 v2, v33, v35
; %bb.77:
	s_or_b64 exec, exec, s[2:3]
	s_and_b64 vcc, exec, s[0:1]
	s_cbranch_vccz .LBB1656_121
.LBB1656_78:
	s_lshl_b32 s0, s6, 13
	s_mov_b32 s1, 0
	s_lshl_b64 s[12:13], s[0:1], 3
	v_mbcnt_hi_u32_b32 v22, -1, v1
	v_and_b32_e32 v10, 0x3ff, v0
	s_add_u32 s0, s36, s12
	v_and_b32_e32 v1, 63, v22
	s_addc_u32 s1, s37, s13
	v_lshlrev_b32_e32 v11, 3, v10
	v_lshlrev_b32_e32 v24, 3, v1
	v_and_b32_e32 v2, 0x1e00, v11
	v_mov_b32_e32 v1, s1
	v_add_co_u32_e32 v3, vcc, s0, v24
	s_load_dword s7, s[4:5], 0x58
	s_load_dword s0, s[4:5], 0x64
	v_addc_co_u32_e32 v1, vcc, 0, v1, vcc
	v_lshlrev_b32_e32 v25, 3, v2
	v_add_co_u32_e32 v20, vcc, v3, v25
	v_addc_co_u32_e32 v21, vcc, 0, v1, vcc
	global_load_dwordx2 v[28:29], v[20:21], off
	s_add_u32 s1, s4, 0x58
	s_addc_u32 s2, s5, 0
	s_waitcnt lgkmcnt(0)
	s_lshr_b32 s4, s0, 16
	s_cmp_lt_u32 s6, s7
	s_cselect_b32 s0, 12, 18
	s_add_u32 s0, s1, s0
	v_mov_b32_e32 v4, 0
	s_addc_u32 s1, s2, 0
	global_load_ushort v5, v4, s[0:1]
	v_mul_u32_u24_e32 v2, 5, v10
	v_lshlrev_b32_e32 v23, 2, v2
	ds_write2_b32 v23, v4, v4 offset0:16 offset1:17
	ds_write2_b32 v23, v4, v4 offset0:18 offset1:19
	ds_write_b32 v23, v4 offset:80
	global_load_dwordx2 v[2:3], v[20:21], off offset:512
	global_load_dwordx2 v[18:19], v[20:21], off offset:1024
	;; [unrolled: 1-line block ×7, first 2 shown]
	v_bfrev_b32_e32 v27, 1
	v_bfe_u32 v1, v0, 10, 10
	v_bfe_u32 v0, v0, 20, 10
	s_mov_b32 s2, -1
	v_mad_u32_u24 v26, v0, s4, v1
	s_brev_b32 s3, -2
	s_lshl_b32 s0, -1, s45
	s_not_b32 s16, s0
	s_waitcnt lgkmcnt(0)
	s_barrier
	s_waitcnt lgkmcnt(0)
	; wave barrier
	s_waitcnt vmcnt(8)
	v_cmp_lt_i64_e32 vcc, -1, v[28:29]
	v_cndmask_b32_e32 v0, -1, v27, vcc
	v_ashrrev_i32_e32 v20, 31, v29
	v_xor_b32_e32 v1, v0, v29
	v_xor_b32_e32 v0, v20, v28
	v_cmp_ne_u64_e32 vcc, s[2:3], v[0:1]
	v_cndmask_b32_e32 v21, v27, v1, vcc
	v_cndmask_b32_e32 v20, 0, v0, vcc
	v_lshrrev_b64 v[20:21], s44, v[20:21]
	s_waitcnt vmcnt(7)
	v_mad_u64_u32 v[28:29], s[0:1], v26, v5, v[10:11]
	v_and_b32_e32 v20, s16, v20
	v_lshrrev_b32_e32 v34, 6, v28
	v_lshl_add_u32 v21, v20, 4, v20
	v_and_b32_e32 v26, 1, v20
	v_add_lshl_u32 v28, v34, v21, 2
	v_add_co_u32_e32 v21, vcc, -1, v26
	v_lshlrev_b32_e32 v5, 30, v20
	v_addc_co_u32_e64 v29, s[0:1], 0, -1, vcc
	v_cmp_ne_u32_e32 vcc, 0, v26
	v_cmp_gt_i64_e64 s[0:1], 0, v[4:5]
	v_not_b32_e32 v26, v5
	v_lshlrev_b32_e32 v5, 29, v20
	v_xor_b32_e32 v29, vcc_hi, v29
	v_xor_b32_e32 v21, vcc_lo, v21
	v_ashrrev_i32_e32 v26, 31, v26
	v_cmp_gt_i64_e32 vcc, 0, v[4:5]
	v_not_b32_e32 v30, v5
	v_lshlrev_b32_e32 v5, 28, v20
	v_and_b32_e32 v29, exec_hi, v29
	v_and_b32_e32 v21, exec_lo, v21
	v_xor_b32_e32 v31, s1, v26
	v_xor_b32_e32 v26, s0, v26
	v_ashrrev_i32_e32 v30, 31, v30
	v_cmp_gt_i64_e64 s[0:1], 0, v[4:5]
	v_not_b32_e32 v5, v5
	v_and_b32_e32 v29, v29, v31
	v_and_b32_e32 v21, v21, v26
	v_xor_b32_e32 v26, vcc_hi, v30
	v_xor_b32_e32 v30, vcc_lo, v30
	v_ashrrev_i32_e32 v5, 31, v5
	v_and_b32_e32 v26, v29, v26
	v_and_b32_e32 v21, v21, v30
	v_xor_b32_e32 v29, s1, v5
	v_xor_b32_e32 v5, s0, v5
	v_and_b32_e32 v21, v21, v5
	v_lshlrev_b32_e32 v5, 27, v20
	v_cmp_gt_i64_e32 vcc, 0, v[4:5]
	v_not_b32_e32 v5, v5
	v_ashrrev_i32_e32 v5, 31, v5
	v_and_b32_e32 v26, v26, v29
	v_xor_b32_e32 v29, vcc_hi, v5
	v_xor_b32_e32 v5, vcc_lo, v5
	v_and_b32_e32 v21, v21, v5
	v_lshlrev_b32_e32 v5, 26, v20
	v_cmp_gt_i64_e32 vcc, 0, v[4:5]
	v_not_b32_e32 v5, v5
	v_ashrrev_i32_e32 v5, 31, v5
	v_and_b32_e32 v26, v26, v29
	v_xor_b32_e32 v29, vcc_hi, v5
	v_xor_b32_e32 v5, vcc_lo, v5
	;; [unrolled: 8-line block ×3, first 2 shown]
	v_and_b32_e32 v26, v26, v29
	v_and_b32_e32 v29, v21, v5
	v_lshlrev_b32_e32 v5, 24, v20
	v_cmp_gt_i64_e32 vcc, 0, v[4:5]
	v_not_b32_e32 v5, v5
	v_ashrrev_i32_e32 v5, 31, v5
	v_xor_b32_e32 v20, vcc_hi, v5
	v_xor_b32_e32 v5, vcc_lo, v5
	v_and_b32_e32 v21, v26, v20
	v_and_b32_e32 v20, v29, v5
	v_mbcnt_lo_u32_b32 v5, v20, 0
	v_mbcnt_hi_u32_b32 v26, v21, v5
	v_cmp_eq_u32_e32 vcc, 0, v26
	v_cmp_ne_u64_e64 s[0:1], 0, v[20:21]
	s_and_b64 s[4:5], s[0:1], vcc
	s_and_saveexec_b64 s[0:1], s[4:5]
	s_cbranch_execz .LBB1656_80
; %bb.79:
	v_bcnt_u32_b32 v5, v20, 0
	v_bcnt_u32_b32 v5, v21, v5
	ds_write_b32 v28, v5 offset:64
.LBB1656_80:
	s_or_b64 exec, exec, s[0:1]
	s_waitcnt vmcnt(6)
	v_cmp_lt_i64_e32 vcc, -1, v[2:3]
	v_cndmask_b32_e32 v5, -1, v27, vcc
	v_ashrrev_i32_e32 v20, 31, v3
	v_xor_b32_e32 v3, v5, v3
	v_xor_b32_e32 v2, v20, v2
	v_cmp_ne_u64_e32 vcc, s[2:3], v[2:3]
	v_cndmask_b32_e32 v21, v27, v3, vcc
	v_cndmask_b32_e32 v20, 0, v2, vcc
	v_lshrrev_b64 v[20:21], s44, v[20:21]
	v_and_b32_e32 v20, s16, v20
	v_lshl_add_u32 v5, v20, 4, v20
	v_add_lshl_u32 v31, v34, v5, 2
	v_and_b32_e32 v5, 1, v20
	v_add_co_u32_e32 v21, vcc, -1, v5
	v_addc_co_u32_e64 v29, s[0:1], 0, -1, vcc
	v_cmp_ne_u32_e32 vcc, 0, v5
	v_xor_b32_e32 v5, vcc_hi, v29
	v_and_b32_e32 v29, exec_hi, v5
	v_lshlrev_b32_e32 v5, 30, v20
	v_xor_b32_e32 v21, vcc_lo, v21
	v_cmp_gt_i64_e32 vcc, 0, v[4:5]
	v_not_b32_e32 v5, v5
	v_ashrrev_i32_e32 v5, 31, v5
	v_and_b32_e32 v21, exec_lo, v21
	v_xor_b32_e32 v30, vcc_hi, v5
	v_xor_b32_e32 v5, vcc_lo, v5
	v_and_b32_e32 v21, v21, v5
	v_lshlrev_b32_e32 v5, 29, v20
	v_cmp_gt_i64_e32 vcc, 0, v[4:5]
	v_not_b32_e32 v5, v5
	v_ashrrev_i32_e32 v5, 31, v5
	v_and_b32_e32 v29, v29, v30
	v_xor_b32_e32 v30, vcc_hi, v5
	v_xor_b32_e32 v5, vcc_lo, v5
	v_and_b32_e32 v21, v21, v5
	v_lshlrev_b32_e32 v5, 28, v20
	v_cmp_gt_i64_e32 vcc, 0, v[4:5]
	v_not_b32_e32 v5, v5
	v_ashrrev_i32_e32 v5, 31, v5
	v_and_b32_e32 v29, v29, v30
	;; [unrolled: 8-line block ×5, first 2 shown]
	v_xor_b32_e32 v30, vcc_hi, v5
	v_xor_b32_e32 v5, vcc_lo, v5
	v_and_b32_e32 v21, v21, v5
	v_lshlrev_b32_e32 v5, 24, v20
	v_cmp_gt_i64_e32 vcc, 0, v[4:5]
	v_not_b32_e32 v4, v5
	v_ashrrev_i32_e32 v4, 31, v4
	v_xor_b32_e32 v5, vcc_hi, v4
	v_xor_b32_e32 v4, vcc_lo, v4
	; wave barrier
	ds_read_b32 v27, v31 offset:64
	v_and_b32_e32 v29, v29, v30
	v_and_b32_e32 v4, v21, v4
	;; [unrolled: 1-line block ×3, first 2 shown]
	v_mbcnt_lo_u32_b32 v20, v4, 0
	v_mbcnt_hi_u32_b32 v29, v5, v20
	v_cmp_eq_u32_e32 vcc, 0, v29
	v_cmp_ne_u64_e64 s[0:1], 0, v[4:5]
	s_and_b64 s[2:3], s[0:1], vcc
	; wave barrier
	s_and_saveexec_b64 s[0:1], s[2:3]
	s_cbranch_execz .LBB1656_82
; %bb.81:
	v_bcnt_u32_b32 v4, v4, 0
	v_bcnt_u32_b32 v4, v5, v4
	s_waitcnt lgkmcnt(0)
	v_add_u32_e32 v4, v27, v4
	ds_write_b32 v31, v4 offset:64
.LBB1656_82:
	s_or_b64 exec, exec, s[0:1]
	v_bfrev_b32_e32 v33, 1
	s_waitcnt vmcnt(5)
	v_cmp_lt_i64_e32 vcc, -1, v[18:19]
	s_mov_b32 s2, -1
	v_cndmask_b32_e32 v4, -1, v33, vcc
	v_ashrrev_i32_e32 v20, 31, v19
	s_brev_b32 s3, -2
	v_xor_b32_e32 v5, v4, v19
	v_xor_b32_e32 v4, v20, v18
	v_cmp_ne_u64_e32 vcc, s[2:3], v[4:5]
	v_cndmask_b32_e32 v21, v33, v5, vcc
	v_cndmask_b32_e32 v20, 0, v4, vcc
	v_lshrrev_b64 v[20:21], s44, v[20:21]
	v_and_b32_e32 v20, s16, v20
	v_lshl_add_u32 v19, v20, 4, v20
	v_add_lshl_u32 v35, v34, v19, 2
	v_and_b32_e32 v19, 1, v20
	v_add_co_u32_e32 v21, vcc, -1, v19
	v_addc_co_u32_e64 v32, s[0:1], 0, -1, vcc
	v_cmp_ne_u32_e32 vcc, 0, v19
	v_xor_b32_e32 v19, vcc_hi, v32
	v_mov_b32_e32 v18, 0
	v_and_b32_e32 v32, exec_hi, v19
	v_lshlrev_b32_e32 v19, 30, v20
	v_xor_b32_e32 v21, vcc_lo, v21
	v_cmp_gt_i64_e32 vcc, 0, v[18:19]
	v_not_b32_e32 v19, v19
	v_ashrrev_i32_e32 v19, 31, v19
	v_and_b32_e32 v21, exec_lo, v21
	v_xor_b32_e32 v36, vcc_hi, v19
	v_xor_b32_e32 v19, vcc_lo, v19
	v_and_b32_e32 v21, v21, v19
	v_lshlrev_b32_e32 v19, 29, v20
	v_cmp_gt_i64_e32 vcc, 0, v[18:19]
	v_not_b32_e32 v19, v19
	v_ashrrev_i32_e32 v19, 31, v19
	v_and_b32_e32 v32, v32, v36
	v_xor_b32_e32 v36, vcc_hi, v19
	v_xor_b32_e32 v19, vcc_lo, v19
	v_and_b32_e32 v21, v21, v19
	v_lshlrev_b32_e32 v19, 28, v20
	v_cmp_gt_i64_e32 vcc, 0, v[18:19]
	v_not_b32_e32 v19, v19
	v_ashrrev_i32_e32 v19, 31, v19
	v_and_b32_e32 v32, v32, v36
	;; [unrolled: 8-line block ×5, first 2 shown]
	v_xor_b32_e32 v36, vcc_hi, v19
	v_xor_b32_e32 v19, vcc_lo, v19
	v_and_b32_e32 v32, v32, v36
	v_and_b32_e32 v36, v21, v19
	v_lshlrev_b32_e32 v19, 24, v20
	v_cmp_gt_i64_e32 vcc, 0, v[18:19]
	v_not_b32_e32 v19, v19
	v_ashrrev_i32_e32 v19, 31, v19
	v_xor_b32_e32 v20, vcc_hi, v19
	v_xor_b32_e32 v19, vcc_lo, v19
	; wave barrier
	ds_read_b32 v30, v35 offset:64
	v_and_b32_e32 v21, v32, v20
	v_and_b32_e32 v20, v36, v19
	v_mbcnt_lo_u32_b32 v19, v20, 0
	v_mbcnt_hi_u32_b32 v32, v21, v19
	v_cmp_eq_u32_e32 vcc, 0, v32
	v_cmp_ne_u64_e64 s[0:1], 0, v[20:21]
	s_and_b64 s[4:5], s[0:1], vcc
	; wave barrier
	s_and_saveexec_b64 s[0:1], s[4:5]
	s_cbranch_execz .LBB1656_84
; %bb.83:
	v_bcnt_u32_b32 v19, v20, 0
	v_bcnt_u32_b32 v19, v21, v19
	s_waitcnt lgkmcnt(0)
	v_add_u32_e32 v19, v30, v19
	ds_write_b32 v35, v19 offset:64
.LBB1656_84:
	s_or_b64 exec, exec, s[0:1]
	s_waitcnt vmcnt(4)
	v_cmp_lt_i64_e32 vcc, -1, v[6:7]
	v_cndmask_b32_e32 v19, -1, v33, vcc
	v_ashrrev_i32_e32 v20, 31, v7
	v_xor_b32_e32 v7, v19, v7
	v_xor_b32_e32 v6, v20, v6
	v_cmp_ne_u64_e32 vcc, s[2:3], v[6:7]
	v_cndmask_b32_e32 v21, v33, v7, vcc
	v_cndmask_b32_e32 v20, 0, v6, vcc
	v_lshrrev_b64 v[20:21], s44, v[20:21]
	v_and_b32_e32 v20, s16, v20
	v_lshl_add_u32 v19, v20, 4, v20
	v_add_lshl_u32 v38, v34, v19, 2
	v_and_b32_e32 v19, 1, v20
	v_add_co_u32_e32 v21, vcc, -1, v19
	v_addc_co_u32_e64 v36, s[0:1], 0, -1, vcc
	v_cmp_ne_u32_e32 vcc, 0, v19
	v_xor_b32_e32 v19, vcc_hi, v36
	v_and_b32_e32 v36, exec_hi, v19
	v_lshlrev_b32_e32 v19, 30, v20
	v_xor_b32_e32 v21, vcc_lo, v21
	v_cmp_gt_i64_e32 vcc, 0, v[18:19]
	v_not_b32_e32 v19, v19
	v_ashrrev_i32_e32 v19, 31, v19
	v_and_b32_e32 v21, exec_lo, v21
	v_xor_b32_e32 v37, vcc_hi, v19
	v_xor_b32_e32 v19, vcc_lo, v19
	v_and_b32_e32 v21, v21, v19
	v_lshlrev_b32_e32 v19, 29, v20
	v_cmp_gt_i64_e32 vcc, 0, v[18:19]
	v_not_b32_e32 v19, v19
	v_ashrrev_i32_e32 v19, 31, v19
	v_and_b32_e32 v36, v36, v37
	v_xor_b32_e32 v37, vcc_hi, v19
	v_xor_b32_e32 v19, vcc_lo, v19
	v_and_b32_e32 v21, v21, v19
	v_lshlrev_b32_e32 v19, 28, v20
	v_cmp_gt_i64_e32 vcc, 0, v[18:19]
	v_not_b32_e32 v19, v19
	v_ashrrev_i32_e32 v19, 31, v19
	v_and_b32_e32 v36, v36, v37
	;; [unrolled: 8-line block ×5, first 2 shown]
	v_xor_b32_e32 v37, vcc_hi, v19
	v_xor_b32_e32 v19, vcc_lo, v19
	v_and_b32_e32 v21, v21, v19
	v_lshlrev_b32_e32 v19, 24, v20
	v_cmp_gt_i64_e32 vcc, 0, v[18:19]
	v_not_b32_e32 v18, v19
	v_ashrrev_i32_e32 v18, 31, v18
	v_xor_b32_e32 v19, vcc_hi, v18
	v_xor_b32_e32 v18, vcc_lo, v18
	; wave barrier
	ds_read_b32 v33, v38 offset:64
	v_and_b32_e32 v36, v36, v37
	v_and_b32_e32 v18, v21, v18
	;; [unrolled: 1-line block ×3, first 2 shown]
	v_mbcnt_lo_u32_b32 v20, v18, 0
	v_mbcnt_hi_u32_b32 v36, v19, v20
	v_cmp_eq_u32_e32 vcc, 0, v36
	v_cmp_ne_u64_e64 s[0:1], 0, v[18:19]
	s_and_b64 s[2:3], s[0:1], vcc
	; wave barrier
	s_and_saveexec_b64 s[0:1], s[2:3]
	s_cbranch_execz .LBB1656_86
; %bb.85:
	v_bcnt_u32_b32 v18, v18, 0
	v_bcnt_u32_b32 v18, v19, v18
	s_waitcnt lgkmcnt(0)
	v_add_u32_e32 v18, v33, v18
	ds_write_b32 v38, v18 offset:64
.LBB1656_86:
	s_or_b64 exec, exec, s[0:1]
	v_bfrev_b32_e32 v40, 1
	s_waitcnt vmcnt(3)
	v_cmp_lt_i64_e32 vcc, -1, v[8:9]
	s_mov_b32 s2, -1
	v_cndmask_b32_e32 v18, -1, v40, vcc
	v_ashrrev_i32_e32 v19, 31, v9
	s_brev_b32 s3, -2
	v_xor_b32_e32 v9, v18, v9
	v_xor_b32_e32 v8, v19, v8
	v_cmp_ne_u64_e32 vcc, s[2:3], v[8:9]
	v_cndmask_b32_e32 v21, v40, v9, vcc
	v_cndmask_b32_e32 v20, 0, v8, vcc
	v_lshrrev_b64 v[20:21], s44, v[20:21]
	v_and_b32_e32 v20, s16, v20
	v_lshl_add_u32 v19, v20, 4, v20
	v_add_lshl_u32 v41, v34, v19, 2
	v_and_b32_e32 v19, 1, v20
	v_add_co_u32_e32 v21, vcc, -1, v19
	v_addc_co_u32_e64 v39, s[0:1], 0, -1, vcc
	v_cmp_ne_u32_e32 vcc, 0, v19
	v_xor_b32_e32 v19, vcc_hi, v39
	v_mov_b32_e32 v18, 0
	v_and_b32_e32 v39, exec_hi, v19
	v_lshlrev_b32_e32 v19, 30, v20
	v_xor_b32_e32 v21, vcc_lo, v21
	v_cmp_gt_i64_e32 vcc, 0, v[18:19]
	v_not_b32_e32 v19, v19
	v_ashrrev_i32_e32 v19, 31, v19
	v_and_b32_e32 v21, exec_lo, v21
	v_xor_b32_e32 v42, vcc_hi, v19
	v_xor_b32_e32 v19, vcc_lo, v19
	v_and_b32_e32 v21, v21, v19
	v_lshlrev_b32_e32 v19, 29, v20
	v_cmp_gt_i64_e32 vcc, 0, v[18:19]
	v_not_b32_e32 v19, v19
	v_ashrrev_i32_e32 v19, 31, v19
	v_and_b32_e32 v39, v39, v42
	v_xor_b32_e32 v42, vcc_hi, v19
	v_xor_b32_e32 v19, vcc_lo, v19
	v_and_b32_e32 v21, v21, v19
	v_lshlrev_b32_e32 v19, 28, v20
	v_cmp_gt_i64_e32 vcc, 0, v[18:19]
	v_not_b32_e32 v19, v19
	v_ashrrev_i32_e32 v19, 31, v19
	v_and_b32_e32 v39, v39, v42
	;; [unrolled: 8-line block ×5, first 2 shown]
	v_xor_b32_e32 v42, vcc_hi, v19
	v_xor_b32_e32 v19, vcc_lo, v19
	v_and_b32_e32 v39, v39, v42
	v_and_b32_e32 v42, v21, v19
	v_lshlrev_b32_e32 v19, 24, v20
	v_cmp_gt_i64_e32 vcc, 0, v[18:19]
	v_not_b32_e32 v19, v19
	v_ashrrev_i32_e32 v19, 31, v19
	v_xor_b32_e32 v20, vcc_hi, v19
	v_xor_b32_e32 v19, vcc_lo, v19
	; wave barrier
	ds_read_b32 v37, v41 offset:64
	v_and_b32_e32 v21, v39, v20
	v_and_b32_e32 v20, v42, v19
	v_mbcnt_lo_u32_b32 v19, v20, 0
	v_mbcnt_hi_u32_b32 v39, v21, v19
	v_cmp_eq_u32_e32 vcc, 0, v39
	v_cmp_ne_u64_e64 s[0:1], 0, v[20:21]
	s_and_b64 s[4:5], s[0:1], vcc
	; wave barrier
	s_and_saveexec_b64 s[0:1], s[4:5]
	s_cbranch_execz .LBB1656_88
; %bb.87:
	v_bcnt_u32_b32 v19, v20, 0
	v_bcnt_u32_b32 v19, v21, v19
	s_waitcnt lgkmcnt(0)
	v_add_u32_e32 v19, v37, v19
	ds_write_b32 v41, v19 offset:64
.LBB1656_88:
	s_or_b64 exec, exec, s[0:1]
	s_waitcnt vmcnt(2)
	v_cmp_lt_i64_e32 vcc, -1, v[12:13]
	v_cndmask_b32_e32 v19, -1, v40, vcc
	v_ashrrev_i32_e32 v20, 31, v13
	v_xor_b32_e32 v13, v19, v13
	v_xor_b32_e32 v12, v20, v12
	v_cmp_ne_u64_e32 vcc, s[2:3], v[12:13]
	v_cndmask_b32_e32 v21, v40, v13, vcc
	v_cndmask_b32_e32 v20, 0, v12, vcc
	v_lshrrev_b64 v[20:21], s44, v[20:21]
	v_and_b32_e32 v20, s16, v20
	v_lshl_add_u32 v19, v20, 4, v20
	v_add_lshl_u32 v44, v34, v19, 2
	v_and_b32_e32 v19, 1, v20
	v_add_co_u32_e32 v21, vcc, -1, v19
	v_addc_co_u32_e64 v42, s[0:1], 0, -1, vcc
	v_cmp_ne_u32_e32 vcc, 0, v19
	v_xor_b32_e32 v19, vcc_hi, v42
	v_and_b32_e32 v42, exec_hi, v19
	v_lshlrev_b32_e32 v19, 30, v20
	v_xor_b32_e32 v21, vcc_lo, v21
	v_cmp_gt_i64_e32 vcc, 0, v[18:19]
	v_not_b32_e32 v19, v19
	v_ashrrev_i32_e32 v19, 31, v19
	v_and_b32_e32 v21, exec_lo, v21
	v_xor_b32_e32 v43, vcc_hi, v19
	v_xor_b32_e32 v19, vcc_lo, v19
	v_and_b32_e32 v21, v21, v19
	v_lshlrev_b32_e32 v19, 29, v20
	v_cmp_gt_i64_e32 vcc, 0, v[18:19]
	v_not_b32_e32 v19, v19
	v_ashrrev_i32_e32 v19, 31, v19
	v_and_b32_e32 v42, v42, v43
	v_xor_b32_e32 v43, vcc_hi, v19
	v_xor_b32_e32 v19, vcc_lo, v19
	v_and_b32_e32 v21, v21, v19
	v_lshlrev_b32_e32 v19, 28, v20
	v_cmp_gt_i64_e32 vcc, 0, v[18:19]
	v_not_b32_e32 v19, v19
	v_ashrrev_i32_e32 v19, 31, v19
	v_and_b32_e32 v42, v42, v43
	;; [unrolled: 8-line block ×5, first 2 shown]
	v_xor_b32_e32 v43, vcc_hi, v19
	v_xor_b32_e32 v19, vcc_lo, v19
	v_and_b32_e32 v21, v21, v19
	v_lshlrev_b32_e32 v19, 24, v20
	v_cmp_gt_i64_e32 vcc, 0, v[18:19]
	v_not_b32_e32 v18, v19
	v_ashrrev_i32_e32 v18, 31, v18
	v_xor_b32_e32 v19, vcc_hi, v18
	v_xor_b32_e32 v18, vcc_lo, v18
	; wave barrier
	ds_read_b32 v40, v44 offset:64
	v_and_b32_e32 v42, v42, v43
	v_and_b32_e32 v18, v21, v18
	;; [unrolled: 1-line block ×3, first 2 shown]
	v_mbcnt_lo_u32_b32 v20, v18, 0
	v_mbcnt_hi_u32_b32 v42, v19, v20
	v_cmp_eq_u32_e32 vcc, 0, v42
	v_cmp_ne_u64_e64 s[0:1], 0, v[18:19]
	s_and_b64 s[2:3], s[0:1], vcc
	; wave barrier
	s_and_saveexec_b64 s[0:1], s[2:3]
	s_cbranch_execz .LBB1656_90
; %bb.89:
	v_bcnt_u32_b32 v18, v18, 0
	v_bcnt_u32_b32 v18, v19, v18
	s_waitcnt lgkmcnt(0)
	v_add_u32_e32 v18, v40, v18
	ds_write_b32 v44, v18 offset:64
.LBB1656_90:
	s_or_b64 exec, exec, s[0:1]
	v_bfrev_b32_e32 v47, 1
	s_waitcnt vmcnt(1)
	v_cmp_lt_i64_e32 vcc, -1, v[16:17]
	s_mov_b32 s2, -1
	v_cndmask_b32_e32 v18, -1, v47, vcc
	v_ashrrev_i32_e32 v19, 31, v17
	s_brev_b32 s3, -2
	v_xor_b32_e32 v17, v18, v17
	v_xor_b32_e32 v16, v19, v16
	v_cmp_ne_u64_e32 vcc, s[2:3], v[16:17]
	v_cndmask_b32_e32 v21, v47, v17, vcc
	v_cndmask_b32_e32 v20, 0, v16, vcc
	v_lshrrev_b64 v[20:21], s44, v[20:21]
	v_and_b32_e32 v20, s16, v20
	v_lshl_add_u32 v19, v20, 4, v20
	v_add_lshl_u32 v46, v19, v34, 2
	v_and_b32_e32 v19, 1, v20
	v_add_co_u32_e32 v21, vcc, -1, v19
	v_addc_co_u32_e64 v45, s[0:1], 0, -1, vcc
	v_cmp_ne_u32_e32 vcc, 0, v19
	v_xor_b32_e32 v19, vcc_hi, v45
	v_mov_b32_e32 v18, 0
	v_and_b32_e32 v45, exec_hi, v19
	v_lshlrev_b32_e32 v19, 30, v20
	v_xor_b32_e32 v21, vcc_lo, v21
	v_cmp_gt_i64_e32 vcc, 0, v[18:19]
	v_not_b32_e32 v19, v19
	v_ashrrev_i32_e32 v19, 31, v19
	v_and_b32_e32 v21, exec_lo, v21
	v_xor_b32_e32 v48, vcc_hi, v19
	v_xor_b32_e32 v19, vcc_lo, v19
	v_and_b32_e32 v21, v21, v19
	v_lshlrev_b32_e32 v19, 29, v20
	v_cmp_gt_i64_e32 vcc, 0, v[18:19]
	v_not_b32_e32 v19, v19
	v_ashrrev_i32_e32 v19, 31, v19
	v_and_b32_e32 v45, v45, v48
	v_xor_b32_e32 v48, vcc_hi, v19
	v_xor_b32_e32 v19, vcc_lo, v19
	v_and_b32_e32 v21, v21, v19
	v_lshlrev_b32_e32 v19, 28, v20
	v_cmp_gt_i64_e32 vcc, 0, v[18:19]
	v_not_b32_e32 v19, v19
	v_ashrrev_i32_e32 v19, 31, v19
	v_and_b32_e32 v45, v45, v48
	;; [unrolled: 8-line block ×5, first 2 shown]
	v_xor_b32_e32 v48, vcc_hi, v19
	v_xor_b32_e32 v19, vcc_lo, v19
	v_and_b32_e32 v45, v45, v48
	v_and_b32_e32 v48, v21, v19
	v_lshlrev_b32_e32 v19, 24, v20
	v_cmp_gt_i64_e32 vcc, 0, v[18:19]
	v_not_b32_e32 v19, v19
	v_ashrrev_i32_e32 v19, 31, v19
	v_xor_b32_e32 v20, vcc_hi, v19
	v_xor_b32_e32 v19, vcc_lo, v19
	; wave barrier
	ds_read_b32 v43, v46 offset:64
	v_and_b32_e32 v21, v45, v20
	v_and_b32_e32 v20, v48, v19
	v_mbcnt_lo_u32_b32 v19, v20, 0
	v_mbcnt_hi_u32_b32 v45, v21, v19
	v_cmp_eq_u32_e32 vcc, 0, v45
	v_cmp_ne_u64_e64 s[0:1], 0, v[20:21]
	s_and_b64 s[4:5], s[0:1], vcc
	; wave barrier
	s_and_saveexec_b64 s[0:1], s[4:5]
	s_cbranch_execz .LBB1656_92
; %bb.91:
	v_bcnt_u32_b32 v19, v20, 0
	v_bcnt_u32_b32 v19, v21, v19
	s_waitcnt lgkmcnt(0)
	v_add_u32_e32 v19, v43, v19
	ds_write_b32 v46, v19 offset:64
.LBB1656_92:
	s_or_b64 exec, exec, s[0:1]
	s_waitcnt vmcnt(0)
	v_cmp_lt_i64_e32 vcc, -1, v[14:15]
	v_cndmask_b32_e32 v19, -1, v47, vcc
	v_ashrrev_i32_e32 v20, 31, v15
	v_xor_b32_e32 v15, v19, v15
	v_xor_b32_e32 v14, v20, v14
	v_cmp_ne_u64_e32 vcc, s[2:3], v[14:15]
	v_cndmask_b32_e32 v21, v47, v15, vcc
	v_cndmask_b32_e32 v20, 0, v14, vcc
	v_lshrrev_b64 v[20:21], s44, v[20:21]
	v_and_b32_e32 v20, s16, v20
	v_lshl_add_u32 v19, v20, 4, v20
	v_add_lshl_u32 v50, v19, v34, 2
	v_and_b32_e32 v19, 1, v20
	v_add_co_u32_e32 v21, vcc, -1, v19
	v_addc_co_u32_e64 v47, s[0:1], 0, -1, vcc
	v_cmp_ne_u32_e32 vcc, 0, v19
	v_xor_b32_e32 v19, vcc_hi, v47
	v_and_b32_e32 v47, exec_hi, v19
	v_lshlrev_b32_e32 v19, 30, v20
	v_xor_b32_e32 v21, vcc_lo, v21
	v_cmp_gt_i64_e32 vcc, 0, v[18:19]
	v_not_b32_e32 v19, v19
	v_ashrrev_i32_e32 v19, 31, v19
	v_and_b32_e32 v21, exec_lo, v21
	v_xor_b32_e32 v49, vcc_hi, v19
	v_xor_b32_e32 v19, vcc_lo, v19
	v_and_b32_e32 v21, v21, v19
	v_lshlrev_b32_e32 v19, 29, v20
	v_cmp_gt_i64_e32 vcc, 0, v[18:19]
	v_not_b32_e32 v19, v19
	v_ashrrev_i32_e32 v19, 31, v19
	v_and_b32_e32 v47, v47, v49
	v_xor_b32_e32 v49, vcc_hi, v19
	v_xor_b32_e32 v19, vcc_lo, v19
	v_and_b32_e32 v21, v21, v19
	v_lshlrev_b32_e32 v19, 28, v20
	v_cmp_gt_i64_e32 vcc, 0, v[18:19]
	v_not_b32_e32 v19, v19
	v_ashrrev_i32_e32 v19, 31, v19
	v_and_b32_e32 v47, v47, v49
	;; [unrolled: 8-line block ×5, first 2 shown]
	v_xor_b32_e32 v49, vcc_hi, v19
	v_xor_b32_e32 v19, vcc_lo, v19
	v_and_b32_e32 v21, v21, v19
	v_lshlrev_b32_e32 v19, 24, v20
	v_cmp_gt_i64_e32 vcc, 0, v[18:19]
	v_not_b32_e32 v18, v19
	v_ashrrev_i32_e32 v18, 31, v18
	v_xor_b32_e32 v19, vcc_hi, v18
	v_xor_b32_e32 v18, vcc_lo, v18
	; wave barrier
	ds_read_b32 v34, v50 offset:64
	v_and_b32_e32 v47, v47, v49
	v_and_b32_e32 v18, v21, v18
	v_and_b32_e32 v19, v47, v19
	v_mbcnt_lo_u32_b32 v20, v18, 0
	v_mbcnt_hi_u32_b32 v47, v19, v20
	v_cmp_eq_u32_e32 vcc, 0, v47
	v_cmp_ne_u64_e64 s[0:1], 0, v[18:19]
	v_add_u32_e32 v48, 64, v23
	s_and_b64 s[2:3], s[0:1], vcc
	; wave barrier
	s_and_saveexec_b64 s[0:1], s[2:3]
	s_cbranch_execz .LBB1656_94
; %bb.93:
	v_bcnt_u32_b32 v18, v18, 0
	v_bcnt_u32_b32 v18, v19, v18
	s_waitcnt lgkmcnt(0)
	v_add_u32_e32 v18, v34, v18
	ds_write_b32 v50, v18 offset:64
.LBB1656_94:
	s_or_b64 exec, exec, s[0:1]
	; wave barrier
	s_waitcnt lgkmcnt(0)
	s_barrier
	ds_read2_b32 v[20:21], v23 offset0:16 offset1:17
	ds_read2_b32 v[18:19], v48 offset0:2 offset1:3
	ds_read_b32 v49, v48 offset:16
	v_cmp_lt_u32_e64 s[8:9], 31, v22
	s_waitcnt lgkmcnt(1)
	v_add3_u32 v51, v21, v20, v18
	s_waitcnt lgkmcnt(0)
	v_add3_u32 v49, v51, v19, v49
	v_and_b32_e32 v51, 15, v22
	v_cmp_eq_u32_e32 vcc, 0, v51
	v_mov_b32_dpp v52, v49 row_shr:1 row_mask:0xf bank_mask:0xf
	v_cndmask_b32_e64 v52, v52, 0, vcc
	v_add_u32_e32 v49, v52, v49
	v_cmp_lt_u32_e64 s[0:1], 1, v51
	v_cmp_lt_u32_e64 s[2:3], 3, v51
	v_mov_b32_dpp v52, v49 row_shr:2 row_mask:0xf bank_mask:0xf
	v_cndmask_b32_e64 v52, 0, v52, s[0:1]
	v_add_u32_e32 v49, v49, v52
	v_cmp_lt_u32_e64 s[4:5], 7, v51
	s_nop 0
	v_mov_b32_dpp v52, v49 row_shr:4 row_mask:0xf bank_mask:0xf
	v_cndmask_b32_e64 v52, 0, v52, s[2:3]
	v_add_u32_e32 v49, v49, v52
	s_nop 1
	v_mov_b32_dpp v52, v49 row_shr:8 row_mask:0xf bank_mask:0xf
	v_cndmask_b32_e64 v51, 0, v52, s[4:5]
	v_add_u32_e32 v49, v49, v51
	v_bfe_i32 v52, v22, 4, 1
	s_nop 0
	v_mov_b32_dpp v51, v49 row_bcast:15 row_mask:0xf bank_mask:0xf
	v_and_b32_e32 v51, v52, v51
	v_add_u32_e32 v49, v49, v51
	v_lshrrev_b32_e32 v52, 6, v10
	s_nop 0
	v_mov_b32_dpp v51, v49 row_bcast:31 row_mask:0xf bank_mask:0xf
	v_cndmask_b32_e64 v51, 0, v51, s[8:9]
	v_add_u32_e32 v51, v49, v51
	v_and_b32_e32 v49, 63, v10
	v_cmp_eq_u32_e64 s[8:9], 63, v49
	s_and_saveexec_b64 s[14:15], s[8:9]
	s_cbranch_execz .LBB1656_96
; %bb.95:
	v_lshlrev_b32_e32 v49, 2, v52
	ds_write_b32 v49, v51
.LBB1656_96:
	s_or_b64 exec, exec, s[14:15]
	v_cmp_gt_u32_e64 s[8:9], 16, v10
	v_lshlrev_b32_e32 v49, 2, v10
	s_waitcnt lgkmcnt(0)
	s_barrier
	s_and_saveexec_b64 s[14:15], s[8:9]
	s_cbranch_execz .LBB1656_98
; %bb.97:
	ds_read_b32 v53, v49
	s_waitcnt lgkmcnt(0)
	s_nop 0
	v_mov_b32_dpp v54, v53 row_shr:1 row_mask:0xf bank_mask:0xf
	v_cndmask_b32_e64 v54, v54, 0, vcc
	v_add_u32_e32 v53, v54, v53
	s_nop 1
	v_mov_b32_dpp v54, v53 row_shr:2 row_mask:0xf bank_mask:0xf
	v_cndmask_b32_e64 v54, 0, v54, s[0:1]
	v_add_u32_e32 v53, v53, v54
	s_nop 1
	v_mov_b32_dpp v54, v53 row_shr:4 row_mask:0xf bank_mask:0xf
	v_cndmask_b32_e64 v54, 0, v54, s[2:3]
	;; [unrolled: 4-line block ×3, first 2 shown]
	v_add_u32_e32 v53, v53, v54
	ds_write_b32 v49, v53
.LBB1656_98:
	s_or_b64 exec, exec, s[14:15]
	v_cmp_lt_u32_e32 vcc, 63, v10
	v_mov_b32_e32 v53, 0
	s_waitcnt lgkmcnt(0)
	s_barrier
	s_and_saveexec_b64 s[0:1], vcc
	s_cbranch_execz .LBB1656_100
; %bb.99:
	v_lshl_add_u32 v52, v52, 2, -4
	ds_read_b32 v53, v52
.LBB1656_100:
	s_or_b64 exec, exec, s[0:1]
	v_add_u32_e32 v52, -1, v22
	v_and_b32_e32 v54, 64, v22
	v_cmp_lt_i32_e32 vcc, v52, v54
	v_cndmask_b32_e32 v52, v52, v22, vcc
	s_waitcnt lgkmcnt(0)
	v_add_u32_e32 v51, v53, v51
	v_lshlrev_b32_e32 v52, 2, v52
	ds_bpermute_b32 v51, v52, v51
	v_cmp_eq_u32_e32 vcc, 0, v22
	s_movk_i32 s0, 0x100
	s_waitcnt lgkmcnt(0)
	v_cndmask_b32_e32 v22, v51, v53, vcc
	v_cmp_ne_u32_e32 vcc, 0, v10
	v_cndmask_b32_e32 v22, 0, v22, vcc
	v_add_u32_e32 v20, v22, v20
	v_add_u32_e32 v21, v20, v21
	;; [unrolled: 1-line block ×4, first 2 shown]
	ds_write2_b32 v23, v22, v20 offset0:16 offset1:17
	ds_write2_b32 v48, v21, v18 offset0:2 offset1:3
	ds_write_b32 v48, v19 offset:16
	s_waitcnt lgkmcnt(0)
	s_barrier
	ds_read_b32 v51, v28 offset:64
	ds_read_b32 v48, v31 offset:64
	;; [unrolled: 1-line block ×8, first 2 shown]
	v_cmp_gt_u32_e32 vcc, s0, v10
                                        ; implicit-def: $vgpr28
                                        ; implicit-def: $vgpr31
	s_and_saveexec_b64 s[2:3], vcc
	s_cbranch_execz .LBB1656_104
; %bb.101:
	v_mul_u32_u24_e32 v18, 17, v10
	v_lshlrev_b32_e32 v19, 2, v18
	ds_read_b32 v28, v19 offset:64
	s_movk_i32 s0, 0xff
	v_cmp_ne_u32_e64 s[0:1], s0, v10
	v_mov_b32_e32 v18, 0x2000
	s_and_saveexec_b64 s[4:5], s[0:1]
	s_cbranch_execz .LBB1656_103
; %bb.102:
	ds_read_b32 v18, v19 offset:132
.LBB1656_103:
	s_or_b64 exec, exec, s[4:5]
	s_waitcnt lgkmcnt(0)
	v_sub_u32_e32 v31, v18, v28
.LBB1656_104:
	s_or_b64 exec, exec, s[2:3]
	s_waitcnt lgkmcnt(0)
	s_barrier
	s_and_saveexec_b64 s[2:3], vcc
	s_cbranch_execz .LBB1656_114
; %bb.105:
	v_lshl_or_b32 v18, s6, 8, v10
	v_mov_b32_e32 v19, 0
	v_lshlrev_b64 v[20:21], 2, v[18:19]
	v_mov_b32_e32 v52, s35
	v_add_co_u32_e64 v20, s[0:1], s34, v20
	v_addc_co_u32_e64 v21, s[0:1], v52, v21, s[0:1]
	v_or_b32_e32 v18, 2.0, v31
	s_mov_b64 s[4:5], 0
	s_brev_b32 s17, 1
	s_mov_b32 s18, s6
	v_mov_b32_e32 v53, 0
	global_store_dword v[20:21], v18, off
                                        ; implicit-def: $sgpr0_sgpr1
	s_branch .LBB1656_108
.LBB1656_106:                           ;   in Loop: Header=BB1656_108 Depth=1
	s_or_b64 exec, exec, s[14:15]
.LBB1656_107:                           ;   in Loop: Header=BB1656_108 Depth=1
	s_or_b64 exec, exec, s[8:9]
	v_and_b32_e32 v22, 0x3fffffff, v54
	v_add_u32_e32 v53, v22, v53
	v_cmp_eq_u32_e64 s[0:1], s17, v18
	s_and_b64 s[8:9], exec, s[0:1]
	s_or_b64 s[4:5], s[8:9], s[4:5]
	s_andn2_b64 exec, exec, s[4:5]
	s_cbranch_execz .LBB1656_113
.LBB1656_108:                           ; =>This Loop Header: Depth=1
                                        ;     Child Loop BB1656_111 Depth 2
	s_or_b64 s[0:1], s[0:1], exec
	s_cmp_eq_u32 s18, 0
	s_cbranch_scc1 .LBB1656_112
; %bb.109:                              ;   in Loop: Header=BB1656_108 Depth=1
	s_add_i32 s18, s18, -1
	v_lshl_or_b32 v18, s18, 8, v10
	v_lshlrev_b64 v[22:23], 2, v[18:19]
	v_add_co_u32_e64 v22, s[0:1], s34, v22
	v_addc_co_u32_e64 v23, s[0:1], v52, v23, s[0:1]
	global_load_dword v54, v[22:23], off glc
	s_waitcnt vmcnt(0)
	v_and_b32_e32 v18, -2.0, v54
	v_cmp_eq_u32_e64 s[0:1], 0, v18
	s_and_saveexec_b64 s[8:9], s[0:1]
	s_cbranch_execz .LBB1656_107
; %bb.110:                              ;   in Loop: Header=BB1656_108 Depth=1
	s_mov_b64 s[14:15], 0
.LBB1656_111:                           ;   Parent Loop BB1656_108 Depth=1
                                        ; =>  This Inner Loop Header: Depth=2
	global_load_dword v54, v[22:23], off glc
	s_waitcnt vmcnt(0)
	v_and_b32_e32 v18, -2.0, v54
	v_cmp_ne_u32_e64 s[0:1], 0, v18
	s_or_b64 s[14:15], s[0:1], s[14:15]
	s_andn2_b64 exec, exec, s[14:15]
	s_cbranch_execnz .LBB1656_111
	s_branch .LBB1656_106
.LBB1656_112:                           ;   in Loop: Header=BB1656_108 Depth=1
                                        ; implicit-def: $sgpr18
	s_and_b64 s[8:9], exec, s[0:1]
	s_or_b64 s[4:5], s[8:9], s[4:5]
	s_andn2_b64 exec, exec, s[4:5]
	s_cbranch_execnz .LBB1656_108
.LBB1656_113:
	s_or_b64 exec, exec, s[4:5]
	v_add_u32_e32 v18, v53, v31
	v_or_b32_e32 v18, 0x80000000, v18
	global_store_dword v[20:21], v18, off
	global_load_dword v18, v49, s[28:29]
	v_sub_u32_e32 v19, v53, v28
	s_waitcnt vmcnt(0)
	v_add_u32_e32 v18, v19, v18
	ds_write_b32 v49, v18
.LBB1656_114:
	s_or_b64 exec, exec, s[2:3]
	s_mov_b32 s8, -1
	v_add_u32_e32 v20, v51, v26
	s_movk_i32 s14, 0x400
	v_add_u32_e32 v21, 0x400, v11
	v_add3_u32 v22, v47, v50, v34
	v_add3_u32 v23, v45, v46, v43
	;; [unrolled: 1-line block ×7, first 2 shown]
	s_mov_b32 s15, 0
	s_mov_b32 s17, 1
	s_brev_b32 s9, -2
	v_bfrev_b32_e32 v41, 1
	v_mov_b32_e32 v42, s39
	v_mov_b32_e32 v19, 0
	;; [unrolled: 1-line block ×3, first 2 shown]
                                        ; implicit-def: $vgpr40
                                        ; implicit-def: $vgpr39
                                        ; implicit-def: $vgpr38
                                        ; implicit-def: $vgpr37
                                        ; implicit-def: $vgpr36
                                        ; implicit-def: $vgpr35
                                        ; implicit-def: $vgpr32
                                        ; implicit-def: $vgpr29
.LBB1656_115:                           ; =>This Inner Loop Header: Depth=1
	v_add_u32_e32 v18, s15, v20
	v_add_u32_e32 v44, s15, v27
	;; [unrolled: 1-line block ×8, first 2 shown]
	v_min_u32_e32 v18, 0x800, v18
	v_min_u32_e32 v44, 0x800, v44
	;; [unrolled: 1-line block ×8, first 2 shown]
	v_lshlrev_b32_e32 v18, 3, v18
	v_lshlrev_b32_e32 v44, 3, v44
	;; [unrolled: 1-line block ×8, first 2 shown]
	ds_write_b64 v18, v[0:1] offset:1024
	ds_write_b64 v44, v[2:3] offset:1024
	;; [unrolled: 1-line block ×8, first 2 shown]
	s_waitcnt lgkmcnt(0)
	s_barrier
	ds_read_b64 v[44:45], v11 offset:1024
	ds_read_b64 v[46:47], v21 offset:8192
	s_add_i32 s18, s17, -1
	s_cmp_eq_u32 s18, 0
	s_waitcnt lgkmcnt(1)
	v_cmp_ne_u64_e64 s[0:1], s[8:9], v[44:45]
	v_cndmask_b32_e64 v49, v41, v45, s[0:1]
	v_cmp_lt_i64_e64 s[2:3], -1, v[44:45]
	v_cndmask_b32_e64 v48, 0, v44, s[0:1]
	v_cndmask_b32_e64 v18, v41, -1, s[2:3]
	v_ashrrev_i32_e32 v50, 31, v45
	s_waitcnt lgkmcnt(0)
	v_cmp_ne_u64_e64 s[2:3], s[8:9], v[46:47]
	v_lshrrev_b64 v[48:49], s44, v[48:49]
	v_cndmask_b32_e64 v51, v41, v47, s[2:3]
	v_ashrrev_i32_e32 v53, 31, v47
	v_not_b32_e32 v54, v50
	v_cndmask_b32_e64 v50, 0, v46, s[2:3]
	v_and_b32_e32 v48, s16, v48
	s_cselect_b64 s[0:1], -1, 0
	s_cmp_eq_u32 s18, 1
	v_xor_b32_e32 v45, v18, v45
	v_not_b32_e32 v18, v53
	v_lshrrev_b64 v[50:51], s44, v[50:51]
	v_cndmask_b32_e64 v40, v40, v48, s[0:1]
	s_cselect_b64 s[0:1], -1, 0
	s_cmp_eq_u32 s18, 2
	v_cmp_lt_i64_e64 s[4:5], -1, v[46:47]
	v_xor_b32_e32 v46, v18, v46
	v_and_b32_e32 v49, s16, v50
	v_lshlrev_b32_e32 v18, 2, v48
	v_cndmask_b32_e64 v50, v39, v48, s[0:1]
	s_cselect_b64 s[0:1], -1, 0
	s_cmp_eq_u32 s18, 3
	v_cndmask_b32_e64 v52, v41, -1, s[4:5]
	v_lshlrev_b32_e32 v39, 2, v49
	v_cndmask_b32_e64 v51, v38, v48, s[0:1]
	ds_read_b32 v18, v18
	ds_read_b32 v38, v39
	s_cselect_b64 s[0:1], -1, 0
	s_cmp_eq_u32 s18, 4
	v_xor_b32_e32 v47, v52, v47
	v_cndmask_b32_e64 v52, v37, v48, s[0:1]
	s_cselect_b64 s[0:1], -1, 0
	s_cmp_eq_u32 s18, 5
	v_cndmask_b32_e64 v53, v36, v48, s[0:1]
	s_cselect_b64 s[0:1], -1, 0
	s_cmp_eq_u32 s18, 6
	;; [unrolled: 3-line block ×3, first 2 shown]
	v_cndmask_b32_e64 v32, v32, v48, s[0:1]
	s_waitcnt lgkmcnt(1)
	v_add_u32_e32 v18, v43, v18
	s_cselect_b64 s[0:1], -1, 0
	s_cmp_eq_u32 s17, 7
	v_cndmask_b32_e64 v29, v29, v48, s[0:1]
	v_lshlrev_b64 v[36:37], 3, v[18:19]
	s_cselect_b64 s[0:1], -1, 0
	v_cndmask_b32_e64 v29, v29, v49, s[0:1]
	v_add_co_u32_e64 v36, s[0:1], s38, v36
	s_waitcnt lgkmcnt(0)
	v_add3_u32 v18, v43, v38, s14
	s_cmp_eq_u32 s17, 6
	v_addc_co_u32_e64 v37, s[0:1], v42, v37, s[0:1]
	v_xor_b32_e32 v44, v54, v44
	v_lshlrev_b64 v[38:39], 3, v[18:19]
	s_cselect_b64 s[0:1], -1, 0
	v_cndmask_b32_e64 v32, v32, v49, s[0:1]
	global_store_dwordx2 v[36:37], v[44:45], off
	v_add_co_u32_e64 v36, s[0:1], s38, v38
	s_cmp_eq_u32 s17, 5
	v_addc_co_u32_e64 v37, s[0:1], v42, v39, s[0:1]
	s_cselect_b64 s[0:1], -1, 0
	s_cmp_eq_u32 s17, 4
	v_cndmask_b32_e64 v35, v35, v49, s[0:1]
	s_cselect_b64 s[0:1], -1, 0
	s_cmp_eq_u32 s17, 3
	global_store_dwordx2 v[36:37], v[46:47], off
	v_cndmask_b32_e64 v36, v53, v49, s[0:1]
	s_cselect_b64 s[0:1], -1, 0
	s_cmp_eq_u32 s17, 2
	v_cndmask_b32_e64 v37, v52, v49, s[0:1]
	s_cselect_b64 s[0:1], -1, 0
	s_cmp_eq_u32 s17, 1
	;; [unrolled: 3-line block ×3, first 2 shown]
	v_cndmask_b32_e64 v39, v50, v49, s[0:1]
	s_cselect_b64 s[0:1], -1, 0
	s_addk_i32 s15, 0xf800
	s_add_i32 s17, s17, 2
	v_add_u32_e32 v43, 0x800, v43
	s_cmpk_lg_i32 s15, 0xe000
	v_cndmask_b32_e64 v40, v40, v49, s[0:1]
	s_barrier
	s_cbranch_scc1 .LBB1656_115
; %bb.116:
	s_add_u32 s0, s40, s12
	s_addc_u32 s1, s41, s13
	v_mov_b32_e32 v0, s1
	v_add_co_u32_e64 v1, s[0:1], s0, v24
	v_addc_co_u32_e64 v0, s[0:1], 0, v0, s[0:1]
	v_add_co_u32_e64 v18, s[0:1], v1, v25
	v_addc_co_u32_e64 v19, s[0:1], 0, v0, s[0:1]
	global_load_dwordx2 v[0:1], v[18:19], off
	global_load_dwordx2 v[2:3], v[18:19], off offset:512
	global_load_dwordx2 v[4:5], v[18:19], off offset:1024
	;; [unrolled: 1-line block ×7, first 2 shown]
	s_mov_b32 s2, 0
	s_mov_b32 s3, 1
	s_movk_i32 s4, 0x400
	v_mov_b32_e32 v19, 0
	v_mov_b32_e32 v24, v10
	s_waitcnt vmcnt(0)
.LBB1656_117:                           ; =>This Inner Loop Header: Depth=1
	s_add_i32 s5, s3, -1
	v_add_u32_e32 v18, s2, v20
	s_cmp_eq_u32 s5, 1
	v_add_u32_e32 v25, s2, v27
	v_add_u32_e32 v41, s2, v30
	;; [unrolled: 1-line block ×7, first 2 shown]
	v_min_u32_e32 v18, 0x800, v18
	s_cselect_b64 s[0:1], -1, 0
	s_cmp_eq_u32 s5, 2
	v_min_u32_e32 v25, 0x800, v25
	v_min_u32_e32 v41, 0x800, v41
	;; [unrolled: 1-line block ×7, first 2 shown]
	v_lshlrev_b32_e32 v18, 3, v18
	v_cndmask_b32_e64 v47, v40, v39, s[0:1]
	s_cselect_b64 s[0:1], -1, 0
	s_cmp_eq_u32 s5, 3
	v_lshlrev_b32_e32 v25, 3, v25
	v_lshlrev_b32_e32 v41, 3, v41
	;; [unrolled: 1-line block ×7, first 2 shown]
	ds_write_b64 v18, v[0:1] offset:1024
	ds_write_b64 v25, v[2:3] offset:1024
	;; [unrolled: 1-line block ×8, first 2 shown]
	v_cndmask_b32_e64 v18, v47, v38, s[0:1]
	s_cselect_b64 s[0:1], -1, 0
	s_cmp_eq_u32 s5, 4
	v_cndmask_b32_e64 v18, v18, v37, s[0:1]
	s_cselect_b64 s[0:1], -1, 0
	s_cmp_eq_u32 s5, 5
	;; [unrolled: 3-line block ×10, first 2 shown]
	v_lshlrev_b32_e32 v18, 2, v18
	v_cndmask_b32_e64 v25, v25, v35, s[0:1]
	s_cselect_b64 s[0:1], -1, 0
	s_cmp_eq_u32 s3, 7
	s_waitcnt lgkmcnt(0)
	s_barrier
	ds_read_b64 v[42:43], v11 offset:1024
	ds_read_b32 v18, v18
	ds_read_b64 v[44:45], v21 offset:8192
	v_cndmask_b32_e64 v25, v25, v32, s[0:1]
	s_cselect_b64 s[0:1], -1, 0
	v_cndmask_b32_e64 v25, v25, v29, s[0:1]
	v_lshlrev_b32_e32 v25, 2, v25
	ds_read_b32 v25, v25
	s_waitcnt lgkmcnt(2)
	v_add_u32_e32 v18, v24, v18
	v_lshlrev_b64 v[46:47], 3, v[18:19]
	v_mov_b32_e32 v48, s43
	v_add_co_u32_e64 v46, s[0:1], s42, v46
	v_addc_co_u32_e64 v47, s[0:1], v48, v47, s[0:1]
	s_waitcnt lgkmcnt(0)
	v_add3_u32 v18, v24, v25, s4
	global_store_dwordx2 v[46:47], v[42:43], off
	v_lshlrev_b64 v[42:43], 3, v[18:19]
	s_addk_i32 s2, 0xf800
	s_add_i32 s3, s3, 2
	v_add_co_u32_e64 v42, s[0:1], s42, v42
	s_cmpk_lg_i32 s2, 0xe000
	v_add_u32_e32 v24, 0x800, v24
	v_addc_co_u32_e64 v43, s[0:1], v48, v43, s[0:1]
	global_store_dwordx2 v[42:43], v[44:45], off
	s_barrier
	s_cbranch_scc1 .LBB1656_117
; %bb.118:
	s_add_i32 s7, s7, -1
	s_cmp_eq_u32 s7, s6
	s_cselect_b64 s[0:1], -1, 0
	s_and_b64 s[2:3], vcc, s[0:1]
                                        ; implicit-def: $vgpr2
	s_and_saveexec_b64 s[0:1], s[2:3]
; %bb.119:
	v_add_u32_e32 v2, v28, v31
	s_or_b64 s[10:11], s[10:11], exec
; %bb.120:
	s_or_b64 exec, exec, s[0:1]
.LBB1656_121:
	s_and_saveexec_b64 s[0:1], s[10:11]
	s_cbranch_execnz .LBB1656_123
; %bb.122:
	s_endpgm
.LBB1656_123:
	v_lshlrev_b32_e32 v3, 2, v10
	ds_read_b32 v3, v3
	v_mov_b32_e32 v11, 0
	v_lshlrev_b64 v[0:1], 2, v[10:11]
	v_mov_b32_e32 v4, s31
	v_add_co_u32_e32 v0, vcc, s30, v0
	v_addc_co_u32_e32 v1, vcc, v4, v1, vcc
	s_waitcnt lgkmcnt(0)
	v_add_u32_e32 v2, v3, v2
	global_store_dword v[0:1], v2, off
	s_endpgm
.LBB1656_124:
	global_load_dwordx2 v[12:13], v[28:29], off
	s_or_b64 exec, exec, s[18:19]
                                        ; implicit-def: $vgpr14_vgpr15
	s_and_saveexec_b64 s[18:19], s[0:1]
	s_cbranch_execz .LBB1656_62
.LBB1656_125:
	global_load_dwordx2 v[14:15], v[28:29], off offset:512
	s_or_b64 exec, exec, s[18:19]
                                        ; implicit-def: $vgpr16_vgpr17
	s_and_saveexec_b64 s[0:1], s[2:3]
	s_cbranch_execz .LBB1656_63
.LBB1656_126:
	global_load_dwordx2 v[16:17], v[28:29], off offset:1024
	s_or_b64 exec, exec, s[0:1]
                                        ; implicit-def: $vgpr18_vgpr19
	s_and_saveexec_b64 s[0:1], s[24:25]
	s_cbranch_execz .LBB1656_64
.LBB1656_127:
	global_load_dwordx2 v[18:19], v[28:29], off offset:1536
	s_or_b64 exec, exec, s[0:1]
                                        ; implicit-def: $vgpr20_vgpr21
	s_and_saveexec_b64 s[0:1], s[8:9]
	s_cbranch_execz .LBB1656_65
.LBB1656_128:
	global_load_dwordx2 v[20:21], v[28:29], off offset:2048
	s_or_b64 exec, exec, s[0:1]
                                        ; implicit-def: $vgpr22_vgpr23
	s_and_saveexec_b64 s[0:1], s[10:11]
	s_cbranch_execz .LBB1656_66
.LBB1656_129:
	global_load_dwordx2 v[22:23], v[28:29], off offset:2560
	s_or_b64 exec, exec, s[0:1]
                                        ; implicit-def: $vgpr24_vgpr25
	s_and_saveexec_b64 s[0:1], s[12:13]
	s_cbranch_execz .LBB1656_67
.LBB1656_130:
	global_load_dwordx2 v[24:25], v[28:29], off offset:3072
	s_or_b64 exec, exec, s[0:1]
                                        ; implicit-def: $vgpr26_vgpr27
	s_and_saveexec_b64 s[0:1], s[14:15]
	s_cbranch_execnz .LBB1656_68
	s_branch .LBB1656_69
	.section	.rodata,"a",@progbits
	.p2align	6, 0x0
	.amdhsa_kernel _ZN7rocprim17ROCPRIM_400000_NS6detail17trampoline_kernelINS0_14default_configENS1_35radix_sort_onesweep_config_selectorIdlEEZZNS1_29radix_sort_onesweep_iterationIS3_Lb0EPdS7_N6thrust23THRUST_200600_302600_NS10device_ptrIlEESB_jNS0_19identity_decomposerENS1_16block_id_wrapperIjLb0EEEEE10hipError_tT1_PNSt15iterator_traitsISG_E10value_typeET2_T3_PNSH_ISM_E10value_typeET4_T5_PSR_SS_PNS1_23onesweep_lookback_stateEbbT6_jjT7_P12ihipStream_tbENKUlT_T0_SG_SL_E_clIS7_S7_SB_PlEEDaSZ_S10_SG_SL_EUlSZ_E_NS1_11comp_targetILNS1_3genE4ELNS1_11target_archE910ELNS1_3gpuE8ELNS1_3repE0EEENS1_47radix_sort_onesweep_sort_config_static_selectorELNS0_4arch9wavefront6targetE1EEEvSG_
		.amdhsa_group_segment_fixed_size 20552
		.amdhsa_private_segment_fixed_size 0
		.amdhsa_kernarg_size 344
		.amdhsa_user_sgpr_count 6
		.amdhsa_user_sgpr_private_segment_buffer 1
		.amdhsa_user_sgpr_dispatch_ptr 0
		.amdhsa_user_sgpr_queue_ptr 0
		.amdhsa_user_sgpr_kernarg_segment_ptr 1
		.amdhsa_user_sgpr_dispatch_id 0
		.amdhsa_user_sgpr_flat_scratch_init 0
		.amdhsa_user_sgpr_kernarg_preload_length 0
		.amdhsa_user_sgpr_kernarg_preload_offset 0
		.amdhsa_user_sgpr_private_segment_size 0
		.amdhsa_uses_dynamic_stack 0
		.amdhsa_system_sgpr_private_segment_wavefront_offset 0
		.amdhsa_system_sgpr_workgroup_id_x 1
		.amdhsa_system_sgpr_workgroup_id_y 0
		.amdhsa_system_sgpr_workgroup_id_z 0
		.amdhsa_system_sgpr_workgroup_info 0
		.amdhsa_system_vgpr_workitem_id 2
		.amdhsa_next_free_vgpr 57
		.amdhsa_next_free_sgpr 53
		.amdhsa_accum_offset 60
		.amdhsa_reserve_vcc 1
		.amdhsa_reserve_flat_scratch 0
		.amdhsa_float_round_mode_32 0
		.amdhsa_float_round_mode_16_64 0
		.amdhsa_float_denorm_mode_32 3
		.amdhsa_float_denorm_mode_16_64 3
		.amdhsa_dx10_clamp 1
		.amdhsa_ieee_mode 1
		.amdhsa_fp16_overflow 0
		.amdhsa_tg_split 0
		.amdhsa_exception_fp_ieee_invalid_op 0
		.amdhsa_exception_fp_denorm_src 0
		.amdhsa_exception_fp_ieee_div_zero 0
		.amdhsa_exception_fp_ieee_overflow 0
		.amdhsa_exception_fp_ieee_underflow 0
		.amdhsa_exception_fp_ieee_inexact 0
		.amdhsa_exception_int_div_zero 0
	.end_amdhsa_kernel
	.section	.text._ZN7rocprim17ROCPRIM_400000_NS6detail17trampoline_kernelINS0_14default_configENS1_35radix_sort_onesweep_config_selectorIdlEEZZNS1_29radix_sort_onesweep_iterationIS3_Lb0EPdS7_N6thrust23THRUST_200600_302600_NS10device_ptrIlEESB_jNS0_19identity_decomposerENS1_16block_id_wrapperIjLb0EEEEE10hipError_tT1_PNSt15iterator_traitsISG_E10value_typeET2_T3_PNSH_ISM_E10value_typeET4_T5_PSR_SS_PNS1_23onesweep_lookback_stateEbbT6_jjT7_P12ihipStream_tbENKUlT_T0_SG_SL_E_clIS7_S7_SB_PlEEDaSZ_S10_SG_SL_EUlSZ_E_NS1_11comp_targetILNS1_3genE4ELNS1_11target_archE910ELNS1_3gpuE8ELNS1_3repE0EEENS1_47radix_sort_onesweep_sort_config_static_selectorELNS0_4arch9wavefront6targetE1EEEvSG_,"axG",@progbits,_ZN7rocprim17ROCPRIM_400000_NS6detail17trampoline_kernelINS0_14default_configENS1_35radix_sort_onesweep_config_selectorIdlEEZZNS1_29radix_sort_onesweep_iterationIS3_Lb0EPdS7_N6thrust23THRUST_200600_302600_NS10device_ptrIlEESB_jNS0_19identity_decomposerENS1_16block_id_wrapperIjLb0EEEEE10hipError_tT1_PNSt15iterator_traitsISG_E10value_typeET2_T3_PNSH_ISM_E10value_typeET4_T5_PSR_SS_PNS1_23onesweep_lookback_stateEbbT6_jjT7_P12ihipStream_tbENKUlT_T0_SG_SL_E_clIS7_S7_SB_PlEEDaSZ_S10_SG_SL_EUlSZ_E_NS1_11comp_targetILNS1_3genE4ELNS1_11target_archE910ELNS1_3gpuE8ELNS1_3repE0EEENS1_47radix_sort_onesweep_sort_config_static_selectorELNS0_4arch9wavefront6targetE1EEEvSG_,comdat
.Lfunc_end1656:
	.size	_ZN7rocprim17ROCPRIM_400000_NS6detail17trampoline_kernelINS0_14default_configENS1_35radix_sort_onesweep_config_selectorIdlEEZZNS1_29radix_sort_onesweep_iterationIS3_Lb0EPdS7_N6thrust23THRUST_200600_302600_NS10device_ptrIlEESB_jNS0_19identity_decomposerENS1_16block_id_wrapperIjLb0EEEEE10hipError_tT1_PNSt15iterator_traitsISG_E10value_typeET2_T3_PNSH_ISM_E10value_typeET4_T5_PSR_SS_PNS1_23onesweep_lookback_stateEbbT6_jjT7_P12ihipStream_tbENKUlT_T0_SG_SL_E_clIS7_S7_SB_PlEEDaSZ_S10_SG_SL_EUlSZ_E_NS1_11comp_targetILNS1_3genE4ELNS1_11target_archE910ELNS1_3gpuE8ELNS1_3repE0EEENS1_47radix_sort_onesweep_sort_config_static_selectorELNS0_4arch9wavefront6targetE1EEEvSG_, .Lfunc_end1656-_ZN7rocprim17ROCPRIM_400000_NS6detail17trampoline_kernelINS0_14default_configENS1_35radix_sort_onesweep_config_selectorIdlEEZZNS1_29radix_sort_onesweep_iterationIS3_Lb0EPdS7_N6thrust23THRUST_200600_302600_NS10device_ptrIlEESB_jNS0_19identity_decomposerENS1_16block_id_wrapperIjLb0EEEEE10hipError_tT1_PNSt15iterator_traitsISG_E10value_typeET2_T3_PNSH_ISM_E10value_typeET4_T5_PSR_SS_PNS1_23onesweep_lookback_stateEbbT6_jjT7_P12ihipStream_tbENKUlT_T0_SG_SL_E_clIS7_S7_SB_PlEEDaSZ_S10_SG_SL_EUlSZ_E_NS1_11comp_targetILNS1_3genE4ELNS1_11target_archE910ELNS1_3gpuE8ELNS1_3repE0EEENS1_47radix_sort_onesweep_sort_config_static_selectorELNS0_4arch9wavefront6targetE1EEEvSG_
                                        ; -- End function
	.section	.AMDGPU.csdata,"",@progbits
; Kernel info:
; codeLenInByte = 13720
; NumSgprs: 57
; NumVgprs: 57
; NumAgprs: 0
; TotalNumVgprs: 57
; ScratchSize: 0
; MemoryBound: 0
; FloatMode: 240
; IeeeMode: 1
; LDSByteSize: 20552 bytes/workgroup (compile time only)
; SGPRBlocks: 7
; VGPRBlocks: 7
; NumSGPRsForWavesPerEU: 57
; NumVGPRsForWavesPerEU: 57
; AccumOffset: 60
; Occupancy: 8
; WaveLimiterHint : 1
; COMPUTE_PGM_RSRC2:SCRATCH_EN: 0
; COMPUTE_PGM_RSRC2:USER_SGPR: 6
; COMPUTE_PGM_RSRC2:TRAP_HANDLER: 0
; COMPUTE_PGM_RSRC2:TGID_X_EN: 1
; COMPUTE_PGM_RSRC2:TGID_Y_EN: 0
; COMPUTE_PGM_RSRC2:TGID_Z_EN: 0
; COMPUTE_PGM_RSRC2:TIDIG_COMP_CNT: 2
; COMPUTE_PGM_RSRC3_GFX90A:ACCUM_OFFSET: 14
; COMPUTE_PGM_RSRC3_GFX90A:TG_SPLIT: 0
	.section	.text._ZN7rocprim17ROCPRIM_400000_NS6detail17trampoline_kernelINS0_14default_configENS1_35radix_sort_onesweep_config_selectorIdlEEZZNS1_29radix_sort_onesweep_iterationIS3_Lb0EPdS7_N6thrust23THRUST_200600_302600_NS10device_ptrIlEESB_jNS0_19identity_decomposerENS1_16block_id_wrapperIjLb0EEEEE10hipError_tT1_PNSt15iterator_traitsISG_E10value_typeET2_T3_PNSH_ISM_E10value_typeET4_T5_PSR_SS_PNS1_23onesweep_lookback_stateEbbT6_jjT7_P12ihipStream_tbENKUlT_T0_SG_SL_E_clIS7_S7_SB_PlEEDaSZ_S10_SG_SL_EUlSZ_E_NS1_11comp_targetILNS1_3genE3ELNS1_11target_archE908ELNS1_3gpuE7ELNS1_3repE0EEENS1_47radix_sort_onesweep_sort_config_static_selectorELNS0_4arch9wavefront6targetE1EEEvSG_,"axG",@progbits,_ZN7rocprim17ROCPRIM_400000_NS6detail17trampoline_kernelINS0_14default_configENS1_35radix_sort_onesweep_config_selectorIdlEEZZNS1_29radix_sort_onesweep_iterationIS3_Lb0EPdS7_N6thrust23THRUST_200600_302600_NS10device_ptrIlEESB_jNS0_19identity_decomposerENS1_16block_id_wrapperIjLb0EEEEE10hipError_tT1_PNSt15iterator_traitsISG_E10value_typeET2_T3_PNSH_ISM_E10value_typeET4_T5_PSR_SS_PNS1_23onesweep_lookback_stateEbbT6_jjT7_P12ihipStream_tbENKUlT_T0_SG_SL_E_clIS7_S7_SB_PlEEDaSZ_S10_SG_SL_EUlSZ_E_NS1_11comp_targetILNS1_3genE3ELNS1_11target_archE908ELNS1_3gpuE7ELNS1_3repE0EEENS1_47radix_sort_onesweep_sort_config_static_selectorELNS0_4arch9wavefront6targetE1EEEvSG_,comdat
	.protected	_ZN7rocprim17ROCPRIM_400000_NS6detail17trampoline_kernelINS0_14default_configENS1_35radix_sort_onesweep_config_selectorIdlEEZZNS1_29radix_sort_onesweep_iterationIS3_Lb0EPdS7_N6thrust23THRUST_200600_302600_NS10device_ptrIlEESB_jNS0_19identity_decomposerENS1_16block_id_wrapperIjLb0EEEEE10hipError_tT1_PNSt15iterator_traitsISG_E10value_typeET2_T3_PNSH_ISM_E10value_typeET4_T5_PSR_SS_PNS1_23onesweep_lookback_stateEbbT6_jjT7_P12ihipStream_tbENKUlT_T0_SG_SL_E_clIS7_S7_SB_PlEEDaSZ_S10_SG_SL_EUlSZ_E_NS1_11comp_targetILNS1_3genE3ELNS1_11target_archE908ELNS1_3gpuE7ELNS1_3repE0EEENS1_47radix_sort_onesweep_sort_config_static_selectorELNS0_4arch9wavefront6targetE1EEEvSG_ ; -- Begin function _ZN7rocprim17ROCPRIM_400000_NS6detail17trampoline_kernelINS0_14default_configENS1_35radix_sort_onesweep_config_selectorIdlEEZZNS1_29radix_sort_onesweep_iterationIS3_Lb0EPdS7_N6thrust23THRUST_200600_302600_NS10device_ptrIlEESB_jNS0_19identity_decomposerENS1_16block_id_wrapperIjLb0EEEEE10hipError_tT1_PNSt15iterator_traitsISG_E10value_typeET2_T3_PNSH_ISM_E10value_typeET4_T5_PSR_SS_PNS1_23onesweep_lookback_stateEbbT6_jjT7_P12ihipStream_tbENKUlT_T0_SG_SL_E_clIS7_S7_SB_PlEEDaSZ_S10_SG_SL_EUlSZ_E_NS1_11comp_targetILNS1_3genE3ELNS1_11target_archE908ELNS1_3gpuE7ELNS1_3repE0EEENS1_47radix_sort_onesweep_sort_config_static_selectorELNS0_4arch9wavefront6targetE1EEEvSG_
	.globl	_ZN7rocprim17ROCPRIM_400000_NS6detail17trampoline_kernelINS0_14default_configENS1_35radix_sort_onesweep_config_selectorIdlEEZZNS1_29radix_sort_onesweep_iterationIS3_Lb0EPdS7_N6thrust23THRUST_200600_302600_NS10device_ptrIlEESB_jNS0_19identity_decomposerENS1_16block_id_wrapperIjLb0EEEEE10hipError_tT1_PNSt15iterator_traitsISG_E10value_typeET2_T3_PNSH_ISM_E10value_typeET4_T5_PSR_SS_PNS1_23onesweep_lookback_stateEbbT6_jjT7_P12ihipStream_tbENKUlT_T0_SG_SL_E_clIS7_S7_SB_PlEEDaSZ_S10_SG_SL_EUlSZ_E_NS1_11comp_targetILNS1_3genE3ELNS1_11target_archE908ELNS1_3gpuE7ELNS1_3repE0EEENS1_47radix_sort_onesweep_sort_config_static_selectorELNS0_4arch9wavefront6targetE1EEEvSG_
	.p2align	8
	.type	_ZN7rocprim17ROCPRIM_400000_NS6detail17trampoline_kernelINS0_14default_configENS1_35radix_sort_onesweep_config_selectorIdlEEZZNS1_29radix_sort_onesweep_iterationIS3_Lb0EPdS7_N6thrust23THRUST_200600_302600_NS10device_ptrIlEESB_jNS0_19identity_decomposerENS1_16block_id_wrapperIjLb0EEEEE10hipError_tT1_PNSt15iterator_traitsISG_E10value_typeET2_T3_PNSH_ISM_E10value_typeET4_T5_PSR_SS_PNS1_23onesweep_lookback_stateEbbT6_jjT7_P12ihipStream_tbENKUlT_T0_SG_SL_E_clIS7_S7_SB_PlEEDaSZ_S10_SG_SL_EUlSZ_E_NS1_11comp_targetILNS1_3genE3ELNS1_11target_archE908ELNS1_3gpuE7ELNS1_3repE0EEENS1_47radix_sort_onesweep_sort_config_static_selectorELNS0_4arch9wavefront6targetE1EEEvSG_,@function
_ZN7rocprim17ROCPRIM_400000_NS6detail17trampoline_kernelINS0_14default_configENS1_35radix_sort_onesweep_config_selectorIdlEEZZNS1_29radix_sort_onesweep_iterationIS3_Lb0EPdS7_N6thrust23THRUST_200600_302600_NS10device_ptrIlEESB_jNS0_19identity_decomposerENS1_16block_id_wrapperIjLb0EEEEE10hipError_tT1_PNSt15iterator_traitsISG_E10value_typeET2_T3_PNSH_ISM_E10value_typeET4_T5_PSR_SS_PNS1_23onesweep_lookback_stateEbbT6_jjT7_P12ihipStream_tbENKUlT_T0_SG_SL_E_clIS7_S7_SB_PlEEDaSZ_S10_SG_SL_EUlSZ_E_NS1_11comp_targetILNS1_3genE3ELNS1_11target_archE908ELNS1_3gpuE7ELNS1_3repE0EEENS1_47radix_sort_onesweep_sort_config_static_selectorELNS0_4arch9wavefront6targetE1EEEvSG_: ; @_ZN7rocprim17ROCPRIM_400000_NS6detail17trampoline_kernelINS0_14default_configENS1_35radix_sort_onesweep_config_selectorIdlEEZZNS1_29radix_sort_onesweep_iterationIS3_Lb0EPdS7_N6thrust23THRUST_200600_302600_NS10device_ptrIlEESB_jNS0_19identity_decomposerENS1_16block_id_wrapperIjLb0EEEEE10hipError_tT1_PNSt15iterator_traitsISG_E10value_typeET2_T3_PNSH_ISM_E10value_typeET4_T5_PSR_SS_PNS1_23onesweep_lookback_stateEbbT6_jjT7_P12ihipStream_tbENKUlT_T0_SG_SL_E_clIS7_S7_SB_PlEEDaSZ_S10_SG_SL_EUlSZ_E_NS1_11comp_targetILNS1_3genE3ELNS1_11target_archE908ELNS1_3gpuE7ELNS1_3repE0EEENS1_47radix_sort_onesweep_sort_config_static_selectorELNS0_4arch9wavefront6targetE1EEEvSG_
; %bb.0:
	.section	.rodata,"a",@progbits
	.p2align	6, 0x0
	.amdhsa_kernel _ZN7rocprim17ROCPRIM_400000_NS6detail17trampoline_kernelINS0_14default_configENS1_35radix_sort_onesweep_config_selectorIdlEEZZNS1_29radix_sort_onesweep_iterationIS3_Lb0EPdS7_N6thrust23THRUST_200600_302600_NS10device_ptrIlEESB_jNS0_19identity_decomposerENS1_16block_id_wrapperIjLb0EEEEE10hipError_tT1_PNSt15iterator_traitsISG_E10value_typeET2_T3_PNSH_ISM_E10value_typeET4_T5_PSR_SS_PNS1_23onesweep_lookback_stateEbbT6_jjT7_P12ihipStream_tbENKUlT_T0_SG_SL_E_clIS7_S7_SB_PlEEDaSZ_S10_SG_SL_EUlSZ_E_NS1_11comp_targetILNS1_3genE3ELNS1_11target_archE908ELNS1_3gpuE7ELNS1_3repE0EEENS1_47radix_sort_onesweep_sort_config_static_selectorELNS0_4arch9wavefront6targetE1EEEvSG_
		.amdhsa_group_segment_fixed_size 0
		.amdhsa_private_segment_fixed_size 0
		.amdhsa_kernarg_size 88
		.amdhsa_user_sgpr_count 6
		.amdhsa_user_sgpr_private_segment_buffer 1
		.amdhsa_user_sgpr_dispatch_ptr 0
		.amdhsa_user_sgpr_queue_ptr 0
		.amdhsa_user_sgpr_kernarg_segment_ptr 1
		.amdhsa_user_sgpr_dispatch_id 0
		.amdhsa_user_sgpr_flat_scratch_init 0
		.amdhsa_user_sgpr_kernarg_preload_length 0
		.amdhsa_user_sgpr_kernarg_preload_offset 0
		.amdhsa_user_sgpr_private_segment_size 0
		.amdhsa_uses_dynamic_stack 0
		.amdhsa_system_sgpr_private_segment_wavefront_offset 0
		.amdhsa_system_sgpr_workgroup_id_x 1
		.amdhsa_system_sgpr_workgroup_id_y 0
		.amdhsa_system_sgpr_workgroup_id_z 0
		.amdhsa_system_sgpr_workgroup_info 0
		.amdhsa_system_vgpr_workitem_id 0
		.amdhsa_next_free_vgpr 1
		.amdhsa_next_free_sgpr 0
		.amdhsa_accum_offset 4
		.amdhsa_reserve_vcc 0
		.amdhsa_reserve_flat_scratch 0
		.amdhsa_float_round_mode_32 0
		.amdhsa_float_round_mode_16_64 0
		.amdhsa_float_denorm_mode_32 3
		.amdhsa_float_denorm_mode_16_64 3
		.amdhsa_dx10_clamp 1
		.amdhsa_ieee_mode 1
		.amdhsa_fp16_overflow 0
		.amdhsa_tg_split 0
		.amdhsa_exception_fp_ieee_invalid_op 0
		.amdhsa_exception_fp_denorm_src 0
		.amdhsa_exception_fp_ieee_div_zero 0
		.amdhsa_exception_fp_ieee_overflow 0
		.amdhsa_exception_fp_ieee_underflow 0
		.amdhsa_exception_fp_ieee_inexact 0
		.amdhsa_exception_int_div_zero 0
	.end_amdhsa_kernel
	.section	.text._ZN7rocprim17ROCPRIM_400000_NS6detail17trampoline_kernelINS0_14default_configENS1_35radix_sort_onesweep_config_selectorIdlEEZZNS1_29radix_sort_onesweep_iterationIS3_Lb0EPdS7_N6thrust23THRUST_200600_302600_NS10device_ptrIlEESB_jNS0_19identity_decomposerENS1_16block_id_wrapperIjLb0EEEEE10hipError_tT1_PNSt15iterator_traitsISG_E10value_typeET2_T3_PNSH_ISM_E10value_typeET4_T5_PSR_SS_PNS1_23onesweep_lookback_stateEbbT6_jjT7_P12ihipStream_tbENKUlT_T0_SG_SL_E_clIS7_S7_SB_PlEEDaSZ_S10_SG_SL_EUlSZ_E_NS1_11comp_targetILNS1_3genE3ELNS1_11target_archE908ELNS1_3gpuE7ELNS1_3repE0EEENS1_47radix_sort_onesweep_sort_config_static_selectorELNS0_4arch9wavefront6targetE1EEEvSG_,"axG",@progbits,_ZN7rocprim17ROCPRIM_400000_NS6detail17trampoline_kernelINS0_14default_configENS1_35radix_sort_onesweep_config_selectorIdlEEZZNS1_29radix_sort_onesweep_iterationIS3_Lb0EPdS7_N6thrust23THRUST_200600_302600_NS10device_ptrIlEESB_jNS0_19identity_decomposerENS1_16block_id_wrapperIjLb0EEEEE10hipError_tT1_PNSt15iterator_traitsISG_E10value_typeET2_T3_PNSH_ISM_E10value_typeET4_T5_PSR_SS_PNS1_23onesweep_lookback_stateEbbT6_jjT7_P12ihipStream_tbENKUlT_T0_SG_SL_E_clIS7_S7_SB_PlEEDaSZ_S10_SG_SL_EUlSZ_E_NS1_11comp_targetILNS1_3genE3ELNS1_11target_archE908ELNS1_3gpuE7ELNS1_3repE0EEENS1_47radix_sort_onesweep_sort_config_static_selectorELNS0_4arch9wavefront6targetE1EEEvSG_,comdat
.Lfunc_end1657:
	.size	_ZN7rocprim17ROCPRIM_400000_NS6detail17trampoline_kernelINS0_14default_configENS1_35radix_sort_onesweep_config_selectorIdlEEZZNS1_29radix_sort_onesweep_iterationIS3_Lb0EPdS7_N6thrust23THRUST_200600_302600_NS10device_ptrIlEESB_jNS0_19identity_decomposerENS1_16block_id_wrapperIjLb0EEEEE10hipError_tT1_PNSt15iterator_traitsISG_E10value_typeET2_T3_PNSH_ISM_E10value_typeET4_T5_PSR_SS_PNS1_23onesweep_lookback_stateEbbT6_jjT7_P12ihipStream_tbENKUlT_T0_SG_SL_E_clIS7_S7_SB_PlEEDaSZ_S10_SG_SL_EUlSZ_E_NS1_11comp_targetILNS1_3genE3ELNS1_11target_archE908ELNS1_3gpuE7ELNS1_3repE0EEENS1_47radix_sort_onesweep_sort_config_static_selectorELNS0_4arch9wavefront6targetE1EEEvSG_, .Lfunc_end1657-_ZN7rocprim17ROCPRIM_400000_NS6detail17trampoline_kernelINS0_14default_configENS1_35radix_sort_onesweep_config_selectorIdlEEZZNS1_29radix_sort_onesweep_iterationIS3_Lb0EPdS7_N6thrust23THRUST_200600_302600_NS10device_ptrIlEESB_jNS0_19identity_decomposerENS1_16block_id_wrapperIjLb0EEEEE10hipError_tT1_PNSt15iterator_traitsISG_E10value_typeET2_T3_PNSH_ISM_E10value_typeET4_T5_PSR_SS_PNS1_23onesweep_lookback_stateEbbT6_jjT7_P12ihipStream_tbENKUlT_T0_SG_SL_E_clIS7_S7_SB_PlEEDaSZ_S10_SG_SL_EUlSZ_E_NS1_11comp_targetILNS1_3genE3ELNS1_11target_archE908ELNS1_3gpuE7ELNS1_3repE0EEENS1_47radix_sort_onesweep_sort_config_static_selectorELNS0_4arch9wavefront6targetE1EEEvSG_
                                        ; -- End function
	.section	.AMDGPU.csdata,"",@progbits
; Kernel info:
; codeLenInByte = 0
; NumSgprs: 4
; NumVgprs: 0
; NumAgprs: 0
; TotalNumVgprs: 0
; ScratchSize: 0
; MemoryBound: 0
; FloatMode: 240
; IeeeMode: 1
; LDSByteSize: 0 bytes/workgroup (compile time only)
; SGPRBlocks: 0
; VGPRBlocks: 0
; NumSGPRsForWavesPerEU: 4
; NumVGPRsForWavesPerEU: 1
; AccumOffset: 4
; Occupancy: 8
; WaveLimiterHint : 0
; COMPUTE_PGM_RSRC2:SCRATCH_EN: 0
; COMPUTE_PGM_RSRC2:USER_SGPR: 6
; COMPUTE_PGM_RSRC2:TRAP_HANDLER: 0
; COMPUTE_PGM_RSRC2:TGID_X_EN: 1
; COMPUTE_PGM_RSRC2:TGID_Y_EN: 0
; COMPUTE_PGM_RSRC2:TGID_Z_EN: 0
; COMPUTE_PGM_RSRC2:TIDIG_COMP_CNT: 0
; COMPUTE_PGM_RSRC3_GFX90A:ACCUM_OFFSET: 0
; COMPUTE_PGM_RSRC3_GFX90A:TG_SPLIT: 0
	.section	.text._ZN7rocprim17ROCPRIM_400000_NS6detail17trampoline_kernelINS0_14default_configENS1_35radix_sort_onesweep_config_selectorIdlEEZZNS1_29radix_sort_onesweep_iterationIS3_Lb0EPdS7_N6thrust23THRUST_200600_302600_NS10device_ptrIlEESB_jNS0_19identity_decomposerENS1_16block_id_wrapperIjLb0EEEEE10hipError_tT1_PNSt15iterator_traitsISG_E10value_typeET2_T3_PNSH_ISM_E10value_typeET4_T5_PSR_SS_PNS1_23onesweep_lookback_stateEbbT6_jjT7_P12ihipStream_tbENKUlT_T0_SG_SL_E_clIS7_S7_SB_PlEEDaSZ_S10_SG_SL_EUlSZ_E_NS1_11comp_targetILNS1_3genE10ELNS1_11target_archE1201ELNS1_3gpuE5ELNS1_3repE0EEENS1_47radix_sort_onesweep_sort_config_static_selectorELNS0_4arch9wavefront6targetE1EEEvSG_,"axG",@progbits,_ZN7rocprim17ROCPRIM_400000_NS6detail17trampoline_kernelINS0_14default_configENS1_35radix_sort_onesweep_config_selectorIdlEEZZNS1_29radix_sort_onesweep_iterationIS3_Lb0EPdS7_N6thrust23THRUST_200600_302600_NS10device_ptrIlEESB_jNS0_19identity_decomposerENS1_16block_id_wrapperIjLb0EEEEE10hipError_tT1_PNSt15iterator_traitsISG_E10value_typeET2_T3_PNSH_ISM_E10value_typeET4_T5_PSR_SS_PNS1_23onesweep_lookback_stateEbbT6_jjT7_P12ihipStream_tbENKUlT_T0_SG_SL_E_clIS7_S7_SB_PlEEDaSZ_S10_SG_SL_EUlSZ_E_NS1_11comp_targetILNS1_3genE10ELNS1_11target_archE1201ELNS1_3gpuE5ELNS1_3repE0EEENS1_47radix_sort_onesweep_sort_config_static_selectorELNS0_4arch9wavefront6targetE1EEEvSG_,comdat
	.protected	_ZN7rocprim17ROCPRIM_400000_NS6detail17trampoline_kernelINS0_14default_configENS1_35radix_sort_onesweep_config_selectorIdlEEZZNS1_29radix_sort_onesweep_iterationIS3_Lb0EPdS7_N6thrust23THRUST_200600_302600_NS10device_ptrIlEESB_jNS0_19identity_decomposerENS1_16block_id_wrapperIjLb0EEEEE10hipError_tT1_PNSt15iterator_traitsISG_E10value_typeET2_T3_PNSH_ISM_E10value_typeET4_T5_PSR_SS_PNS1_23onesweep_lookback_stateEbbT6_jjT7_P12ihipStream_tbENKUlT_T0_SG_SL_E_clIS7_S7_SB_PlEEDaSZ_S10_SG_SL_EUlSZ_E_NS1_11comp_targetILNS1_3genE10ELNS1_11target_archE1201ELNS1_3gpuE5ELNS1_3repE0EEENS1_47radix_sort_onesweep_sort_config_static_selectorELNS0_4arch9wavefront6targetE1EEEvSG_ ; -- Begin function _ZN7rocprim17ROCPRIM_400000_NS6detail17trampoline_kernelINS0_14default_configENS1_35radix_sort_onesweep_config_selectorIdlEEZZNS1_29radix_sort_onesweep_iterationIS3_Lb0EPdS7_N6thrust23THRUST_200600_302600_NS10device_ptrIlEESB_jNS0_19identity_decomposerENS1_16block_id_wrapperIjLb0EEEEE10hipError_tT1_PNSt15iterator_traitsISG_E10value_typeET2_T3_PNSH_ISM_E10value_typeET4_T5_PSR_SS_PNS1_23onesweep_lookback_stateEbbT6_jjT7_P12ihipStream_tbENKUlT_T0_SG_SL_E_clIS7_S7_SB_PlEEDaSZ_S10_SG_SL_EUlSZ_E_NS1_11comp_targetILNS1_3genE10ELNS1_11target_archE1201ELNS1_3gpuE5ELNS1_3repE0EEENS1_47radix_sort_onesweep_sort_config_static_selectorELNS0_4arch9wavefront6targetE1EEEvSG_
	.globl	_ZN7rocprim17ROCPRIM_400000_NS6detail17trampoline_kernelINS0_14default_configENS1_35radix_sort_onesweep_config_selectorIdlEEZZNS1_29radix_sort_onesweep_iterationIS3_Lb0EPdS7_N6thrust23THRUST_200600_302600_NS10device_ptrIlEESB_jNS0_19identity_decomposerENS1_16block_id_wrapperIjLb0EEEEE10hipError_tT1_PNSt15iterator_traitsISG_E10value_typeET2_T3_PNSH_ISM_E10value_typeET4_T5_PSR_SS_PNS1_23onesweep_lookback_stateEbbT6_jjT7_P12ihipStream_tbENKUlT_T0_SG_SL_E_clIS7_S7_SB_PlEEDaSZ_S10_SG_SL_EUlSZ_E_NS1_11comp_targetILNS1_3genE10ELNS1_11target_archE1201ELNS1_3gpuE5ELNS1_3repE0EEENS1_47radix_sort_onesweep_sort_config_static_selectorELNS0_4arch9wavefront6targetE1EEEvSG_
	.p2align	8
	.type	_ZN7rocprim17ROCPRIM_400000_NS6detail17trampoline_kernelINS0_14default_configENS1_35radix_sort_onesweep_config_selectorIdlEEZZNS1_29radix_sort_onesweep_iterationIS3_Lb0EPdS7_N6thrust23THRUST_200600_302600_NS10device_ptrIlEESB_jNS0_19identity_decomposerENS1_16block_id_wrapperIjLb0EEEEE10hipError_tT1_PNSt15iterator_traitsISG_E10value_typeET2_T3_PNSH_ISM_E10value_typeET4_T5_PSR_SS_PNS1_23onesweep_lookback_stateEbbT6_jjT7_P12ihipStream_tbENKUlT_T0_SG_SL_E_clIS7_S7_SB_PlEEDaSZ_S10_SG_SL_EUlSZ_E_NS1_11comp_targetILNS1_3genE10ELNS1_11target_archE1201ELNS1_3gpuE5ELNS1_3repE0EEENS1_47radix_sort_onesweep_sort_config_static_selectorELNS0_4arch9wavefront6targetE1EEEvSG_,@function
_ZN7rocprim17ROCPRIM_400000_NS6detail17trampoline_kernelINS0_14default_configENS1_35radix_sort_onesweep_config_selectorIdlEEZZNS1_29radix_sort_onesweep_iterationIS3_Lb0EPdS7_N6thrust23THRUST_200600_302600_NS10device_ptrIlEESB_jNS0_19identity_decomposerENS1_16block_id_wrapperIjLb0EEEEE10hipError_tT1_PNSt15iterator_traitsISG_E10value_typeET2_T3_PNSH_ISM_E10value_typeET4_T5_PSR_SS_PNS1_23onesweep_lookback_stateEbbT6_jjT7_P12ihipStream_tbENKUlT_T0_SG_SL_E_clIS7_S7_SB_PlEEDaSZ_S10_SG_SL_EUlSZ_E_NS1_11comp_targetILNS1_3genE10ELNS1_11target_archE1201ELNS1_3gpuE5ELNS1_3repE0EEENS1_47radix_sort_onesweep_sort_config_static_selectorELNS0_4arch9wavefront6targetE1EEEvSG_: ; @_ZN7rocprim17ROCPRIM_400000_NS6detail17trampoline_kernelINS0_14default_configENS1_35radix_sort_onesweep_config_selectorIdlEEZZNS1_29radix_sort_onesweep_iterationIS3_Lb0EPdS7_N6thrust23THRUST_200600_302600_NS10device_ptrIlEESB_jNS0_19identity_decomposerENS1_16block_id_wrapperIjLb0EEEEE10hipError_tT1_PNSt15iterator_traitsISG_E10value_typeET2_T3_PNSH_ISM_E10value_typeET4_T5_PSR_SS_PNS1_23onesweep_lookback_stateEbbT6_jjT7_P12ihipStream_tbENKUlT_T0_SG_SL_E_clIS7_S7_SB_PlEEDaSZ_S10_SG_SL_EUlSZ_E_NS1_11comp_targetILNS1_3genE10ELNS1_11target_archE1201ELNS1_3gpuE5ELNS1_3repE0EEENS1_47radix_sort_onesweep_sort_config_static_selectorELNS0_4arch9wavefront6targetE1EEEvSG_
; %bb.0:
	.section	.rodata,"a",@progbits
	.p2align	6, 0x0
	.amdhsa_kernel _ZN7rocprim17ROCPRIM_400000_NS6detail17trampoline_kernelINS0_14default_configENS1_35radix_sort_onesweep_config_selectorIdlEEZZNS1_29radix_sort_onesweep_iterationIS3_Lb0EPdS7_N6thrust23THRUST_200600_302600_NS10device_ptrIlEESB_jNS0_19identity_decomposerENS1_16block_id_wrapperIjLb0EEEEE10hipError_tT1_PNSt15iterator_traitsISG_E10value_typeET2_T3_PNSH_ISM_E10value_typeET4_T5_PSR_SS_PNS1_23onesweep_lookback_stateEbbT6_jjT7_P12ihipStream_tbENKUlT_T0_SG_SL_E_clIS7_S7_SB_PlEEDaSZ_S10_SG_SL_EUlSZ_E_NS1_11comp_targetILNS1_3genE10ELNS1_11target_archE1201ELNS1_3gpuE5ELNS1_3repE0EEENS1_47radix_sort_onesweep_sort_config_static_selectorELNS0_4arch9wavefront6targetE1EEEvSG_
		.amdhsa_group_segment_fixed_size 0
		.amdhsa_private_segment_fixed_size 0
		.amdhsa_kernarg_size 88
		.amdhsa_user_sgpr_count 6
		.amdhsa_user_sgpr_private_segment_buffer 1
		.amdhsa_user_sgpr_dispatch_ptr 0
		.amdhsa_user_sgpr_queue_ptr 0
		.amdhsa_user_sgpr_kernarg_segment_ptr 1
		.amdhsa_user_sgpr_dispatch_id 0
		.amdhsa_user_sgpr_flat_scratch_init 0
		.amdhsa_user_sgpr_kernarg_preload_length 0
		.amdhsa_user_sgpr_kernarg_preload_offset 0
		.amdhsa_user_sgpr_private_segment_size 0
		.amdhsa_uses_dynamic_stack 0
		.amdhsa_system_sgpr_private_segment_wavefront_offset 0
		.amdhsa_system_sgpr_workgroup_id_x 1
		.amdhsa_system_sgpr_workgroup_id_y 0
		.amdhsa_system_sgpr_workgroup_id_z 0
		.amdhsa_system_sgpr_workgroup_info 0
		.amdhsa_system_vgpr_workitem_id 0
		.amdhsa_next_free_vgpr 1
		.amdhsa_next_free_sgpr 0
		.amdhsa_accum_offset 4
		.amdhsa_reserve_vcc 0
		.amdhsa_reserve_flat_scratch 0
		.amdhsa_float_round_mode_32 0
		.amdhsa_float_round_mode_16_64 0
		.amdhsa_float_denorm_mode_32 3
		.amdhsa_float_denorm_mode_16_64 3
		.amdhsa_dx10_clamp 1
		.amdhsa_ieee_mode 1
		.amdhsa_fp16_overflow 0
		.amdhsa_tg_split 0
		.amdhsa_exception_fp_ieee_invalid_op 0
		.amdhsa_exception_fp_denorm_src 0
		.amdhsa_exception_fp_ieee_div_zero 0
		.amdhsa_exception_fp_ieee_overflow 0
		.amdhsa_exception_fp_ieee_underflow 0
		.amdhsa_exception_fp_ieee_inexact 0
		.amdhsa_exception_int_div_zero 0
	.end_amdhsa_kernel
	.section	.text._ZN7rocprim17ROCPRIM_400000_NS6detail17trampoline_kernelINS0_14default_configENS1_35radix_sort_onesweep_config_selectorIdlEEZZNS1_29radix_sort_onesweep_iterationIS3_Lb0EPdS7_N6thrust23THRUST_200600_302600_NS10device_ptrIlEESB_jNS0_19identity_decomposerENS1_16block_id_wrapperIjLb0EEEEE10hipError_tT1_PNSt15iterator_traitsISG_E10value_typeET2_T3_PNSH_ISM_E10value_typeET4_T5_PSR_SS_PNS1_23onesweep_lookback_stateEbbT6_jjT7_P12ihipStream_tbENKUlT_T0_SG_SL_E_clIS7_S7_SB_PlEEDaSZ_S10_SG_SL_EUlSZ_E_NS1_11comp_targetILNS1_3genE10ELNS1_11target_archE1201ELNS1_3gpuE5ELNS1_3repE0EEENS1_47radix_sort_onesweep_sort_config_static_selectorELNS0_4arch9wavefront6targetE1EEEvSG_,"axG",@progbits,_ZN7rocprim17ROCPRIM_400000_NS6detail17trampoline_kernelINS0_14default_configENS1_35radix_sort_onesweep_config_selectorIdlEEZZNS1_29radix_sort_onesweep_iterationIS3_Lb0EPdS7_N6thrust23THRUST_200600_302600_NS10device_ptrIlEESB_jNS0_19identity_decomposerENS1_16block_id_wrapperIjLb0EEEEE10hipError_tT1_PNSt15iterator_traitsISG_E10value_typeET2_T3_PNSH_ISM_E10value_typeET4_T5_PSR_SS_PNS1_23onesweep_lookback_stateEbbT6_jjT7_P12ihipStream_tbENKUlT_T0_SG_SL_E_clIS7_S7_SB_PlEEDaSZ_S10_SG_SL_EUlSZ_E_NS1_11comp_targetILNS1_3genE10ELNS1_11target_archE1201ELNS1_3gpuE5ELNS1_3repE0EEENS1_47radix_sort_onesweep_sort_config_static_selectorELNS0_4arch9wavefront6targetE1EEEvSG_,comdat
.Lfunc_end1658:
	.size	_ZN7rocprim17ROCPRIM_400000_NS6detail17trampoline_kernelINS0_14default_configENS1_35radix_sort_onesweep_config_selectorIdlEEZZNS1_29radix_sort_onesweep_iterationIS3_Lb0EPdS7_N6thrust23THRUST_200600_302600_NS10device_ptrIlEESB_jNS0_19identity_decomposerENS1_16block_id_wrapperIjLb0EEEEE10hipError_tT1_PNSt15iterator_traitsISG_E10value_typeET2_T3_PNSH_ISM_E10value_typeET4_T5_PSR_SS_PNS1_23onesweep_lookback_stateEbbT6_jjT7_P12ihipStream_tbENKUlT_T0_SG_SL_E_clIS7_S7_SB_PlEEDaSZ_S10_SG_SL_EUlSZ_E_NS1_11comp_targetILNS1_3genE10ELNS1_11target_archE1201ELNS1_3gpuE5ELNS1_3repE0EEENS1_47radix_sort_onesweep_sort_config_static_selectorELNS0_4arch9wavefront6targetE1EEEvSG_, .Lfunc_end1658-_ZN7rocprim17ROCPRIM_400000_NS6detail17trampoline_kernelINS0_14default_configENS1_35radix_sort_onesweep_config_selectorIdlEEZZNS1_29radix_sort_onesweep_iterationIS3_Lb0EPdS7_N6thrust23THRUST_200600_302600_NS10device_ptrIlEESB_jNS0_19identity_decomposerENS1_16block_id_wrapperIjLb0EEEEE10hipError_tT1_PNSt15iterator_traitsISG_E10value_typeET2_T3_PNSH_ISM_E10value_typeET4_T5_PSR_SS_PNS1_23onesweep_lookback_stateEbbT6_jjT7_P12ihipStream_tbENKUlT_T0_SG_SL_E_clIS7_S7_SB_PlEEDaSZ_S10_SG_SL_EUlSZ_E_NS1_11comp_targetILNS1_3genE10ELNS1_11target_archE1201ELNS1_3gpuE5ELNS1_3repE0EEENS1_47radix_sort_onesweep_sort_config_static_selectorELNS0_4arch9wavefront6targetE1EEEvSG_
                                        ; -- End function
	.section	.AMDGPU.csdata,"",@progbits
; Kernel info:
; codeLenInByte = 0
; NumSgprs: 4
; NumVgprs: 0
; NumAgprs: 0
; TotalNumVgprs: 0
; ScratchSize: 0
; MemoryBound: 0
; FloatMode: 240
; IeeeMode: 1
; LDSByteSize: 0 bytes/workgroup (compile time only)
; SGPRBlocks: 0
; VGPRBlocks: 0
; NumSGPRsForWavesPerEU: 4
; NumVGPRsForWavesPerEU: 1
; AccumOffset: 4
; Occupancy: 8
; WaveLimiterHint : 0
; COMPUTE_PGM_RSRC2:SCRATCH_EN: 0
; COMPUTE_PGM_RSRC2:USER_SGPR: 6
; COMPUTE_PGM_RSRC2:TRAP_HANDLER: 0
; COMPUTE_PGM_RSRC2:TGID_X_EN: 1
; COMPUTE_PGM_RSRC2:TGID_Y_EN: 0
; COMPUTE_PGM_RSRC2:TGID_Z_EN: 0
; COMPUTE_PGM_RSRC2:TIDIG_COMP_CNT: 0
; COMPUTE_PGM_RSRC3_GFX90A:ACCUM_OFFSET: 0
; COMPUTE_PGM_RSRC3_GFX90A:TG_SPLIT: 0
	.section	.text._ZN7rocprim17ROCPRIM_400000_NS6detail17trampoline_kernelINS0_14default_configENS1_35radix_sort_onesweep_config_selectorIdlEEZZNS1_29radix_sort_onesweep_iterationIS3_Lb0EPdS7_N6thrust23THRUST_200600_302600_NS10device_ptrIlEESB_jNS0_19identity_decomposerENS1_16block_id_wrapperIjLb0EEEEE10hipError_tT1_PNSt15iterator_traitsISG_E10value_typeET2_T3_PNSH_ISM_E10value_typeET4_T5_PSR_SS_PNS1_23onesweep_lookback_stateEbbT6_jjT7_P12ihipStream_tbENKUlT_T0_SG_SL_E_clIS7_S7_SB_PlEEDaSZ_S10_SG_SL_EUlSZ_E_NS1_11comp_targetILNS1_3genE9ELNS1_11target_archE1100ELNS1_3gpuE3ELNS1_3repE0EEENS1_47radix_sort_onesweep_sort_config_static_selectorELNS0_4arch9wavefront6targetE1EEEvSG_,"axG",@progbits,_ZN7rocprim17ROCPRIM_400000_NS6detail17trampoline_kernelINS0_14default_configENS1_35radix_sort_onesweep_config_selectorIdlEEZZNS1_29radix_sort_onesweep_iterationIS3_Lb0EPdS7_N6thrust23THRUST_200600_302600_NS10device_ptrIlEESB_jNS0_19identity_decomposerENS1_16block_id_wrapperIjLb0EEEEE10hipError_tT1_PNSt15iterator_traitsISG_E10value_typeET2_T3_PNSH_ISM_E10value_typeET4_T5_PSR_SS_PNS1_23onesweep_lookback_stateEbbT6_jjT7_P12ihipStream_tbENKUlT_T0_SG_SL_E_clIS7_S7_SB_PlEEDaSZ_S10_SG_SL_EUlSZ_E_NS1_11comp_targetILNS1_3genE9ELNS1_11target_archE1100ELNS1_3gpuE3ELNS1_3repE0EEENS1_47radix_sort_onesweep_sort_config_static_selectorELNS0_4arch9wavefront6targetE1EEEvSG_,comdat
	.protected	_ZN7rocprim17ROCPRIM_400000_NS6detail17trampoline_kernelINS0_14default_configENS1_35radix_sort_onesweep_config_selectorIdlEEZZNS1_29radix_sort_onesweep_iterationIS3_Lb0EPdS7_N6thrust23THRUST_200600_302600_NS10device_ptrIlEESB_jNS0_19identity_decomposerENS1_16block_id_wrapperIjLb0EEEEE10hipError_tT1_PNSt15iterator_traitsISG_E10value_typeET2_T3_PNSH_ISM_E10value_typeET4_T5_PSR_SS_PNS1_23onesweep_lookback_stateEbbT6_jjT7_P12ihipStream_tbENKUlT_T0_SG_SL_E_clIS7_S7_SB_PlEEDaSZ_S10_SG_SL_EUlSZ_E_NS1_11comp_targetILNS1_3genE9ELNS1_11target_archE1100ELNS1_3gpuE3ELNS1_3repE0EEENS1_47radix_sort_onesweep_sort_config_static_selectorELNS0_4arch9wavefront6targetE1EEEvSG_ ; -- Begin function _ZN7rocprim17ROCPRIM_400000_NS6detail17trampoline_kernelINS0_14default_configENS1_35radix_sort_onesweep_config_selectorIdlEEZZNS1_29radix_sort_onesweep_iterationIS3_Lb0EPdS7_N6thrust23THRUST_200600_302600_NS10device_ptrIlEESB_jNS0_19identity_decomposerENS1_16block_id_wrapperIjLb0EEEEE10hipError_tT1_PNSt15iterator_traitsISG_E10value_typeET2_T3_PNSH_ISM_E10value_typeET4_T5_PSR_SS_PNS1_23onesweep_lookback_stateEbbT6_jjT7_P12ihipStream_tbENKUlT_T0_SG_SL_E_clIS7_S7_SB_PlEEDaSZ_S10_SG_SL_EUlSZ_E_NS1_11comp_targetILNS1_3genE9ELNS1_11target_archE1100ELNS1_3gpuE3ELNS1_3repE0EEENS1_47radix_sort_onesweep_sort_config_static_selectorELNS0_4arch9wavefront6targetE1EEEvSG_
	.globl	_ZN7rocprim17ROCPRIM_400000_NS6detail17trampoline_kernelINS0_14default_configENS1_35radix_sort_onesweep_config_selectorIdlEEZZNS1_29radix_sort_onesweep_iterationIS3_Lb0EPdS7_N6thrust23THRUST_200600_302600_NS10device_ptrIlEESB_jNS0_19identity_decomposerENS1_16block_id_wrapperIjLb0EEEEE10hipError_tT1_PNSt15iterator_traitsISG_E10value_typeET2_T3_PNSH_ISM_E10value_typeET4_T5_PSR_SS_PNS1_23onesweep_lookback_stateEbbT6_jjT7_P12ihipStream_tbENKUlT_T0_SG_SL_E_clIS7_S7_SB_PlEEDaSZ_S10_SG_SL_EUlSZ_E_NS1_11comp_targetILNS1_3genE9ELNS1_11target_archE1100ELNS1_3gpuE3ELNS1_3repE0EEENS1_47radix_sort_onesweep_sort_config_static_selectorELNS0_4arch9wavefront6targetE1EEEvSG_
	.p2align	8
	.type	_ZN7rocprim17ROCPRIM_400000_NS6detail17trampoline_kernelINS0_14default_configENS1_35radix_sort_onesweep_config_selectorIdlEEZZNS1_29radix_sort_onesweep_iterationIS3_Lb0EPdS7_N6thrust23THRUST_200600_302600_NS10device_ptrIlEESB_jNS0_19identity_decomposerENS1_16block_id_wrapperIjLb0EEEEE10hipError_tT1_PNSt15iterator_traitsISG_E10value_typeET2_T3_PNSH_ISM_E10value_typeET4_T5_PSR_SS_PNS1_23onesweep_lookback_stateEbbT6_jjT7_P12ihipStream_tbENKUlT_T0_SG_SL_E_clIS7_S7_SB_PlEEDaSZ_S10_SG_SL_EUlSZ_E_NS1_11comp_targetILNS1_3genE9ELNS1_11target_archE1100ELNS1_3gpuE3ELNS1_3repE0EEENS1_47radix_sort_onesweep_sort_config_static_selectorELNS0_4arch9wavefront6targetE1EEEvSG_,@function
_ZN7rocprim17ROCPRIM_400000_NS6detail17trampoline_kernelINS0_14default_configENS1_35radix_sort_onesweep_config_selectorIdlEEZZNS1_29radix_sort_onesweep_iterationIS3_Lb0EPdS7_N6thrust23THRUST_200600_302600_NS10device_ptrIlEESB_jNS0_19identity_decomposerENS1_16block_id_wrapperIjLb0EEEEE10hipError_tT1_PNSt15iterator_traitsISG_E10value_typeET2_T3_PNSH_ISM_E10value_typeET4_T5_PSR_SS_PNS1_23onesweep_lookback_stateEbbT6_jjT7_P12ihipStream_tbENKUlT_T0_SG_SL_E_clIS7_S7_SB_PlEEDaSZ_S10_SG_SL_EUlSZ_E_NS1_11comp_targetILNS1_3genE9ELNS1_11target_archE1100ELNS1_3gpuE3ELNS1_3repE0EEENS1_47radix_sort_onesweep_sort_config_static_selectorELNS0_4arch9wavefront6targetE1EEEvSG_: ; @_ZN7rocprim17ROCPRIM_400000_NS6detail17trampoline_kernelINS0_14default_configENS1_35radix_sort_onesweep_config_selectorIdlEEZZNS1_29radix_sort_onesweep_iterationIS3_Lb0EPdS7_N6thrust23THRUST_200600_302600_NS10device_ptrIlEESB_jNS0_19identity_decomposerENS1_16block_id_wrapperIjLb0EEEEE10hipError_tT1_PNSt15iterator_traitsISG_E10value_typeET2_T3_PNSH_ISM_E10value_typeET4_T5_PSR_SS_PNS1_23onesweep_lookback_stateEbbT6_jjT7_P12ihipStream_tbENKUlT_T0_SG_SL_E_clIS7_S7_SB_PlEEDaSZ_S10_SG_SL_EUlSZ_E_NS1_11comp_targetILNS1_3genE9ELNS1_11target_archE1100ELNS1_3gpuE3ELNS1_3repE0EEENS1_47radix_sort_onesweep_sort_config_static_selectorELNS0_4arch9wavefront6targetE1EEEvSG_
; %bb.0:
	.section	.rodata,"a",@progbits
	.p2align	6, 0x0
	.amdhsa_kernel _ZN7rocprim17ROCPRIM_400000_NS6detail17trampoline_kernelINS0_14default_configENS1_35radix_sort_onesweep_config_selectorIdlEEZZNS1_29radix_sort_onesweep_iterationIS3_Lb0EPdS7_N6thrust23THRUST_200600_302600_NS10device_ptrIlEESB_jNS0_19identity_decomposerENS1_16block_id_wrapperIjLb0EEEEE10hipError_tT1_PNSt15iterator_traitsISG_E10value_typeET2_T3_PNSH_ISM_E10value_typeET4_T5_PSR_SS_PNS1_23onesweep_lookback_stateEbbT6_jjT7_P12ihipStream_tbENKUlT_T0_SG_SL_E_clIS7_S7_SB_PlEEDaSZ_S10_SG_SL_EUlSZ_E_NS1_11comp_targetILNS1_3genE9ELNS1_11target_archE1100ELNS1_3gpuE3ELNS1_3repE0EEENS1_47radix_sort_onesweep_sort_config_static_selectorELNS0_4arch9wavefront6targetE1EEEvSG_
		.amdhsa_group_segment_fixed_size 0
		.amdhsa_private_segment_fixed_size 0
		.amdhsa_kernarg_size 88
		.amdhsa_user_sgpr_count 6
		.amdhsa_user_sgpr_private_segment_buffer 1
		.amdhsa_user_sgpr_dispatch_ptr 0
		.amdhsa_user_sgpr_queue_ptr 0
		.amdhsa_user_sgpr_kernarg_segment_ptr 1
		.amdhsa_user_sgpr_dispatch_id 0
		.amdhsa_user_sgpr_flat_scratch_init 0
		.amdhsa_user_sgpr_kernarg_preload_length 0
		.amdhsa_user_sgpr_kernarg_preload_offset 0
		.amdhsa_user_sgpr_private_segment_size 0
		.amdhsa_uses_dynamic_stack 0
		.amdhsa_system_sgpr_private_segment_wavefront_offset 0
		.amdhsa_system_sgpr_workgroup_id_x 1
		.amdhsa_system_sgpr_workgroup_id_y 0
		.amdhsa_system_sgpr_workgroup_id_z 0
		.amdhsa_system_sgpr_workgroup_info 0
		.amdhsa_system_vgpr_workitem_id 0
		.amdhsa_next_free_vgpr 1
		.amdhsa_next_free_sgpr 0
		.amdhsa_accum_offset 4
		.amdhsa_reserve_vcc 0
		.amdhsa_reserve_flat_scratch 0
		.amdhsa_float_round_mode_32 0
		.amdhsa_float_round_mode_16_64 0
		.amdhsa_float_denorm_mode_32 3
		.amdhsa_float_denorm_mode_16_64 3
		.amdhsa_dx10_clamp 1
		.amdhsa_ieee_mode 1
		.amdhsa_fp16_overflow 0
		.amdhsa_tg_split 0
		.amdhsa_exception_fp_ieee_invalid_op 0
		.amdhsa_exception_fp_denorm_src 0
		.amdhsa_exception_fp_ieee_div_zero 0
		.amdhsa_exception_fp_ieee_overflow 0
		.amdhsa_exception_fp_ieee_underflow 0
		.amdhsa_exception_fp_ieee_inexact 0
		.amdhsa_exception_int_div_zero 0
	.end_amdhsa_kernel
	.section	.text._ZN7rocprim17ROCPRIM_400000_NS6detail17trampoline_kernelINS0_14default_configENS1_35radix_sort_onesweep_config_selectorIdlEEZZNS1_29radix_sort_onesweep_iterationIS3_Lb0EPdS7_N6thrust23THRUST_200600_302600_NS10device_ptrIlEESB_jNS0_19identity_decomposerENS1_16block_id_wrapperIjLb0EEEEE10hipError_tT1_PNSt15iterator_traitsISG_E10value_typeET2_T3_PNSH_ISM_E10value_typeET4_T5_PSR_SS_PNS1_23onesweep_lookback_stateEbbT6_jjT7_P12ihipStream_tbENKUlT_T0_SG_SL_E_clIS7_S7_SB_PlEEDaSZ_S10_SG_SL_EUlSZ_E_NS1_11comp_targetILNS1_3genE9ELNS1_11target_archE1100ELNS1_3gpuE3ELNS1_3repE0EEENS1_47radix_sort_onesweep_sort_config_static_selectorELNS0_4arch9wavefront6targetE1EEEvSG_,"axG",@progbits,_ZN7rocprim17ROCPRIM_400000_NS6detail17trampoline_kernelINS0_14default_configENS1_35radix_sort_onesweep_config_selectorIdlEEZZNS1_29radix_sort_onesweep_iterationIS3_Lb0EPdS7_N6thrust23THRUST_200600_302600_NS10device_ptrIlEESB_jNS0_19identity_decomposerENS1_16block_id_wrapperIjLb0EEEEE10hipError_tT1_PNSt15iterator_traitsISG_E10value_typeET2_T3_PNSH_ISM_E10value_typeET4_T5_PSR_SS_PNS1_23onesweep_lookback_stateEbbT6_jjT7_P12ihipStream_tbENKUlT_T0_SG_SL_E_clIS7_S7_SB_PlEEDaSZ_S10_SG_SL_EUlSZ_E_NS1_11comp_targetILNS1_3genE9ELNS1_11target_archE1100ELNS1_3gpuE3ELNS1_3repE0EEENS1_47radix_sort_onesweep_sort_config_static_selectorELNS0_4arch9wavefront6targetE1EEEvSG_,comdat
.Lfunc_end1659:
	.size	_ZN7rocprim17ROCPRIM_400000_NS6detail17trampoline_kernelINS0_14default_configENS1_35radix_sort_onesweep_config_selectorIdlEEZZNS1_29radix_sort_onesweep_iterationIS3_Lb0EPdS7_N6thrust23THRUST_200600_302600_NS10device_ptrIlEESB_jNS0_19identity_decomposerENS1_16block_id_wrapperIjLb0EEEEE10hipError_tT1_PNSt15iterator_traitsISG_E10value_typeET2_T3_PNSH_ISM_E10value_typeET4_T5_PSR_SS_PNS1_23onesweep_lookback_stateEbbT6_jjT7_P12ihipStream_tbENKUlT_T0_SG_SL_E_clIS7_S7_SB_PlEEDaSZ_S10_SG_SL_EUlSZ_E_NS1_11comp_targetILNS1_3genE9ELNS1_11target_archE1100ELNS1_3gpuE3ELNS1_3repE0EEENS1_47radix_sort_onesweep_sort_config_static_selectorELNS0_4arch9wavefront6targetE1EEEvSG_, .Lfunc_end1659-_ZN7rocprim17ROCPRIM_400000_NS6detail17trampoline_kernelINS0_14default_configENS1_35radix_sort_onesweep_config_selectorIdlEEZZNS1_29radix_sort_onesweep_iterationIS3_Lb0EPdS7_N6thrust23THRUST_200600_302600_NS10device_ptrIlEESB_jNS0_19identity_decomposerENS1_16block_id_wrapperIjLb0EEEEE10hipError_tT1_PNSt15iterator_traitsISG_E10value_typeET2_T3_PNSH_ISM_E10value_typeET4_T5_PSR_SS_PNS1_23onesweep_lookback_stateEbbT6_jjT7_P12ihipStream_tbENKUlT_T0_SG_SL_E_clIS7_S7_SB_PlEEDaSZ_S10_SG_SL_EUlSZ_E_NS1_11comp_targetILNS1_3genE9ELNS1_11target_archE1100ELNS1_3gpuE3ELNS1_3repE0EEENS1_47radix_sort_onesweep_sort_config_static_selectorELNS0_4arch9wavefront6targetE1EEEvSG_
                                        ; -- End function
	.section	.AMDGPU.csdata,"",@progbits
; Kernel info:
; codeLenInByte = 0
; NumSgprs: 4
; NumVgprs: 0
; NumAgprs: 0
; TotalNumVgprs: 0
; ScratchSize: 0
; MemoryBound: 0
; FloatMode: 240
; IeeeMode: 1
; LDSByteSize: 0 bytes/workgroup (compile time only)
; SGPRBlocks: 0
; VGPRBlocks: 0
; NumSGPRsForWavesPerEU: 4
; NumVGPRsForWavesPerEU: 1
; AccumOffset: 4
; Occupancy: 8
; WaveLimiterHint : 0
; COMPUTE_PGM_RSRC2:SCRATCH_EN: 0
; COMPUTE_PGM_RSRC2:USER_SGPR: 6
; COMPUTE_PGM_RSRC2:TRAP_HANDLER: 0
; COMPUTE_PGM_RSRC2:TGID_X_EN: 1
; COMPUTE_PGM_RSRC2:TGID_Y_EN: 0
; COMPUTE_PGM_RSRC2:TGID_Z_EN: 0
; COMPUTE_PGM_RSRC2:TIDIG_COMP_CNT: 0
; COMPUTE_PGM_RSRC3_GFX90A:ACCUM_OFFSET: 0
; COMPUTE_PGM_RSRC3_GFX90A:TG_SPLIT: 0
	.section	.text._ZN7rocprim17ROCPRIM_400000_NS6detail17trampoline_kernelINS0_14default_configENS1_35radix_sort_onesweep_config_selectorIdlEEZZNS1_29radix_sort_onesweep_iterationIS3_Lb0EPdS7_N6thrust23THRUST_200600_302600_NS10device_ptrIlEESB_jNS0_19identity_decomposerENS1_16block_id_wrapperIjLb0EEEEE10hipError_tT1_PNSt15iterator_traitsISG_E10value_typeET2_T3_PNSH_ISM_E10value_typeET4_T5_PSR_SS_PNS1_23onesweep_lookback_stateEbbT6_jjT7_P12ihipStream_tbENKUlT_T0_SG_SL_E_clIS7_S7_SB_PlEEDaSZ_S10_SG_SL_EUlSZ_E_NS1_11comp_targetILNS1_3genE8ELNS1_11target_archE1030ELNS1_3gpuE2ELNS1_3repE0EEENS1_47radix_sort_onesweep_sort_config_static_selectorELNS0_4arch9wavefront6targetE1EEEvSG_,"axG",@progbits,_ZN7rocprim17ROCPRIM_400000_NS6detail17trampoline_kernelINS0_14default_configENS1_35radix_sort_onesweep_config_selectorIdlEEZZNS1_29radix_sort_onesweep_iterationIS3_Lb0EPdS7_N6thrust23THRUST_200600_302600_NS10device_ptrIlEESB_jNS0_19identity_decomposerENS1_16block_id_wrapperIjLb0EEEEE10hipError_tT1_PNSt15iterator_traitsISG_E10value_typeET2_T3_PNSH_ISM_E10value_typeET4_T5_PSR_SS_PNS1_23onesweep_lookback_stateEbbT6_jjT7_P12ihipStream_tbENKUlT_T0_SG_SL_E_clIS7_S7_SB_PlEEDaSZ_S10_SG_SL_EUlSZ_E_NS1_11comp_targetILNS1_3genE8ELNS1_11target_archE1030ELNS1_3gpuE2ELNS1_3repE0EEENS1_47radix_sort_onesweep_sort_config_static_selectorELNS0_4arch9wavefront6targetE1EEEvSG_,comdat
	.protected	_ZN7rocprim17ROCPRIM_400000_NS6detail17trampoline_kernelINS0_14default_configENS1_35radix_sort_onesweep_config_selectorIdlEEZZNS1_29radix_sort_onesweep_iterationIS3_Lb0EPdS7_N6thrust23THRUST_200600_302600_NS10device_ptrIlEESB_jNS0_19identity_decomposerENS1_16block_id_wrapperIjLb0EEEEE10hipError_tT1_PNSt15iterator_traitsISG_E10value_typeET2_T3_PNSH_ISM_E10value_typeET4_T5_PSR_SS_PNS1_23onesweep_lookback_stateEbbT6_jjT7_P12ihipStream_tbENKUlT_T0_SG_SL_E_clIS7_S7_SB_PlEEDaSZ_S10_SG_SL_EUlSZ_E_NS1_11comp_targetILNS1_3genE8ELNS1_11target_archE1030ELNS1_3gpuE2ELNS1_3repE0EEENS1_47radix_sort_onesweep_sort_config_static_selectorELNS0_4arch9wavefront6targetE1EEEvSG_ ; -- Begin function _ZN7rocprim17ROCPRIM_400000_NS6detail17trampoline_kernelINS0_14default_configENS1_35radix_sort_onesweep_config_selectorIdlEEZZNS1_29radix_sort_onesweep_iterationIS3_Lb0EPdS7_N6thrust23THRUST_200600_302600_NS10device_ptrIlEESB_jNS0_19identity_decomposerENS1_16block_id_wrapperIjLb0EEEEE10hipError_tT1_PNSt15iterator_traitsISG_E10value_typeET2_T3_PNSH_ISM_E10value_typeET4_T5_PSR_SS_PNS1_23onesweep_lookback_stateEbbT6_jjT7_P12ihipStream_tbENKUlT_T0_SG_SL_E_clIS7_S7_SB_PlEEDaSZ_S10_SG_SL_EUlSZ_E_NS1_11comp_targetILNS1_3genE8ELNS1_11target_archE1030ELNS1_3gpuE2ELNS1_3repE0EEENS1_47radix_sort_onesweep_sort_config_static_selectorELNS0_4arch9wavefront6targetE1EEEvSG_
	.globl	_ZN7rocprim17ROCPRIM_400000_NS6detail17trampoline_kernelINS0_14default_configENS1_35radix_sort_onesweep_config_selectorIdlEEZZNS1_29radix_sort_onesweep_iterationIS3_Lb0EPdS7_N6thrust23THRUST_200600_302600_NS10device_ptrIlEESB_jNS0_19identity_decomposerENS1_16block_id_wrapperIjLb0EEEEE10hipError_tT1_PNSt15iterator_traitsISG_E10value_typeET2_T3_PNSH_ISM_E10value_typeET4_T5_PSR_SS_PNS1_23onesweep_lookback_stateEbbT6_jjT7_P12ihipStream_tbENKUlT_T0_SG_SL_E_clIS7_S7_SB_PlEEDaSZ_S10_SG_SL_EUlSZ_E_NS1_11comp_targetILNS1_3genE8ELNS1_11target_archE1030ELNS1_3gpuE2ELNS1_3repE0EEENS1_47radix_sort_onesweep_sort_config_static_selectorELNS0_4arch9wavefront6targetE1EEEvSG_
	.p2align	8
	.type	_ZN7rocprim17ROCPRIM_400000_NS6detail17trampoline_kernelINS0_14default_configENS1_35radix_sort_onesweep_config_selectorIdlEEZZNS1_29radix_sort_onesweep_iterationIS3_Lb0EPdS7_N6thrust23THRUST_200600_302600_NS10device_ptrIlEESB_jNS0_19identity_decomposerENS1_16block_id_wrapperIjLb0EEEEE10hipError_tT1_PNSt15iterator_traitsISG_E10value_typeET2_T3_PNSH_ISM_E10value_typeET4_T5_PSR_SS_PNS1_23onesweep_lookback_stateEbbT6_jjT7_P12ihipStream_tbENKUlT_T0_SG_SL_E_clIS7_S7_SB_PlEEDaSZ_S10_SG_SL_EUlSZ_E_NS1_11comp_targetILNS1_3genE8ELNS1_11target_archE1030ELNS1_3gpuE2ELNS1_3repE0EEENS1_47radix_sort_onesweep_sort_config_static_selectorELNS0_4arch9wavefront6targetE1EEEvSG_,@function
_ZN7rocprim17ROCPRIM_400000_NS6detail17trampoline_kernelINS0_14default_configENS1_35radix_sort_onesweep_config_selectorIdlEEZZNS1_29radix_sort_onesweep_iterationIS3_Lb0EPdS7_N6thrust23THRUST_200600_302600_NS10device_ptrIlEESB_jNS0_19identity_decomposerENS1_16block_id_wrapperIjLb0EEEEE10hipError_tT1_PNSt15iterator_traitsISG_E10value_typeET2_T3_PNSH_ISM_E10value_typeET4_T5_PSR_SS_PNS1_23onesweep_lookback_stateEbbT6_jjT7_P12ihipStream_tbENKUlT_T0_SG_SL_E_clIS7_S7_SB_PlEEDaSZ_S10_SG_SL_EUlSZ_E_NS1_11comp_targetILNS1_3genE8ELNS1_11target_archE1030ELNS1_3gpuE2ELNS1_3repE0EEENS1_47radix_sort_onesweep_sort_config_static_selectorELNS0_4arch9wavefront6targetE1EEEvSG_: ; @_ZN7rocprim17ROCPRIM_400000_NS6detail17trampoline_kernelINS0_14default_configENS1_35radix_sort_onesweep_config_selectorIdlEEZZNS1_29radix_sort_onesweep_iterationIS3_Lb0EPdS7_N6thrust23THRUST_200600_302600_NS10device_ptrIlEESB_jNS0_19identity_decomposerENS1_16block_id_wrapperIjLb0EEEEE10hipError_tT1_PNSt15iterator_traitsISG_E10value_typeET2_T3_PNSH_ISM_E10value_typeET4_T5_PSR_SS_PNS1_23onesweep_lookback_stateEbbT6_jjT7_P12ihipStream_tbENKUlT_T0_SG_SL_E_clIS7_S7_SB_PlEEDaSZ_S10_SG_SL_EUlSZ_E_NS1_11comp_targetILNS1_3genE8ELNS1_11target_archE1030ELNS1_3gpuE2ELNS1_3repE0EEENS1_47radix_sort_onesweep_sort_config_static_selectorELNS0_4arch9wavefront6targetE1EEEvSG_
; %bb.0:
	.section	.rodata,"a",@progbits
	.p2align	6, 0x0
	.amdhsa_kernel _ZN7rocprim17ROCPRIM_400000_NS6detail17trampoline_kernelINS0_14default_configENS1_35radix_sort_onesweep_config_selectorIdlEEZZNS1_29radix_sort_onesweep_iterationIS3_Lb0EPdS7_N6thrust23THRUST_200600_302600_NS10device_ptrIlEESB_jNS0_19identity_decomposerENS1_16block_id_wrapperIjLb0EEEEE10hipError_tT1_PNSt15iterator_traitsISG_E10value_typeET2_T3_PNSH_ISM_E10value_typeET4_T5_PSR_SS_PNS1_23onesweep_lookback_stateEbbT6_jjT7_P12ihipStream_tbENKUlT_T0_SG_SL_E_clIS7_S7_SB_PlEEDaSZ_S10_SG_SL_EUlSZ_E_NS1_11comp_targetILNS1_3genE8ELNS1_11target_archE1030ELNS1_3gpuE2ELNS1_3repE0EEENS1_47radix_sort_onesweep_sort_config_static_selectorELNS0_4arch9wavefront6targetE1EEEvSG_
		.amdhsa_group_segment_fixed_size 0
		.amdhsa_private_segment_fixed_size 0
		.amdhsa_kernarg_size 88
		.amdhsa_user_sgpr_count 6
		.amdhsa_user_sgpr_private_segment_buffer 1
		.amdhsa_user_sgpr_dispatch_ptr 0
		.amdhsa_user_sgpr_queue_ptr 0
		.amdhsa_user_sgpr_kernarg_segment_ptr 1
		.amdhsa_user_sgpr_dispatch_id 0
		.amdhsa_user_sgpr_flat_scratch_init 0
		.amdhsa_user_sgpr_kernarg_preload_length 0
		.amdhsa_user_sgpr_kernarg_preload_offset 0
		.amdhsa_user_sgpr_private_segment_size 0
		.amdhsa_uses_dynamic_stack 0
		.amdhsa_system_sgpr_private_segment_wavefront_offset 0
		.amdhsa_system_sgpr_workgroup_id_x 1
		.amdhsa_system_sgpr_workgroup_id_y 0
		.amdhsa_system_sgpr_workgroup_id_z 0
		.amdhsa_system_sgpr_workgroup_info 0
		.amdhsa_system_vgpr_workitem_id 0
		.amdhsa_next_free_vgpr 1
		.amdhsa_next_free_sgpr 0
		.amdhsa_accum_offset 4
		.amdhsa_reserve_vcc 0
		.amdhsa_reserve_flat_scratch 0
		.amdhsa_float_round_mode_32 0
		.amdhsa_float_round_mode_16_64 0
		.amdhsa_float_denorm_mode_32 3
		.amdhsa_float_denorm_mode_16_64 3
		.amdhsa_dx10_clamp 1
		.amdhsa_ieee_mode 1
		.amdhsa_fp16_overflow 0
		.amdhsa_tg_split 0
		.amdhsa_exception_fp_ieee_invalid_op 0
		.amdhsa_exception_fp_denorm_src 0
		.amdhsa_exception_fp_ieee_div_zero 0
		.amdhsa_exception_fp_ieee_overflow 0
		.amdhsa_exception_fp_ieee_underflow 0
		.amdhsa_exception_fp_ieee_inexact 0
		.amdhsa_exception_int_div_zero 0
	.end_amdhsa_kernel
	.section	.text._ZN7rocprim17ROCPRIM_400000_NS6detail17trampoline_kernelINS0_14default_configENS1_35radix_sort_onesweep_config_selectorIdlEEZZNS1_29radix_sort_onesweep_iterationIS3_Lb0EPdS7_N6thrust23THRUST_200600_302600_NS10device_ptrIlEESB_jNS0_19identity_decomposerENS1_16block_id_wrapperIjLb0EEEEE10hipError_tT1_PNSt15iterator_traitsISG_E10value_typeET2_T3_PNSH_ISM_E10value_typeET4_T5_PSR_SS_PNS1_23onesweep_lookback_stateEbbT6_jjT7_P12ihipStream_tbENKUlT_T0_SG_SL_E_clIS7_S7_SB_PlEEDaSZ_S10_SG_SL_EUlSZ_E_NS1_11comp_targetILNS1_3genE8ELNS1_11target_archE1030ELNS1_3gpuE2ELNS1_3repE0EEENS1_47radix_sort_onesweep_sort_config_static_selectorELNS0_4arch9wavefront6targetE1EEEvSG_,"axG",@progbits,_ZN7rocprim17ROCPRIM_400000_NS6detail17trampoline_kernelINS0_14default_configENS1_35radix_sort_onesweep_config_selectorIdlEEZZNS1_29radix_sort_onesweep_iterationIS3_Lb0EPdS7_N6thrust23THRUST_200600_302600_NS10device_ptrIlEESB_jNS0_19identity_decomposerENS1_16block_id_wrapperIjLb0EEEEE10hipError_tT1_PNSt15iterator_traitsISG_E10value_typeET2_T3_PNSH_ISM_E10value_typeET4_T5_PSR_SS_PNS1_23onesweep_lookback_stateEbbT6_jjT7_P12ihipStream_tbENKUlT_T0_SG_SL_E_clIS7_S7_SB_PlEEDaSZ_S10_SG_SL_EUlSZ_E_NS1_11comp_targetILNS1_3genE8ELNS1_11target_archE1030ELNS1_3gpuE2ELNS1_3repE0EEENS1_47radix_sort_onesweep_sort_config_static_selectorELNS0_4arch9wavefront6targetE1EEEvSG_,comdat
.Lfunc_end1660:
	.size	_ZN7rocprim17ROCPRIM_400000_NS6detail17trampoline_kernelINS0_14default_configENS1_35radix_sort_onesweep_config_selectorIdlEEZZNS1_29radix_sort_onesweep_iterationIS3_Lb0EPdS7_N6thrust23THRUST_200600_302600_NS10device_ptrIlEESB_jNS0_19identity_decomposerENS1_16block_id_wrapperIjLb0EEEEE10hipError_tT1_PNSt15iterator_traitsISG_E10value_typeET2_T3_PNSH_ISM_E10value_typeET4_T5_PSR_SS_PNS1_23onesweep_lookback_stateEbbT6_jjT7_P12ihipStream_tbENKUlT_T0_SG_SL_E_clIS7_S7_SB_PlEEDaSZ_S10_SG_SL_EUlSZ_E_NS1_11comp_targetILNS1_3genE8ELNS1_11target_archE1030ELNS1_3gpuE2ELNS1_3repE0EEENS1_47radix_sort_onesweep_sort_config_static_selectorELNS0_4arch9wavefront6targetE1EEEvSG_, .Lfunc_end1660-_ZN7rocprim17ROCPRIM_400000_NS6detail17trampoline_kernelINS0_14default_configENS1_35radix_sort_onesweep_config_selectorIdlEEZZNS1_29radix_sort_onesweep_iterationIS3_Lb0EPdS7_N6thrust23THRUST_200600_302600_NS10device_ptrIlEESB_jNS0_19identity_decomposerENS1_16block_id_wrapperIjLb0EEEEE10hipError_tT1_PNSt15iterator_traitsISG_E10value_typeET2_T3_PNSH_ISM_E10value_typeET4_T5_PSR_SS_PNS1_23onesweep_lookback_stateEbbT6_jjT7_P12ihipStream_tbENKUlT_T0_SG_SL_E_clIS7_S7_SB_PlEEDaSZ_S10_SG_SL_EUlSZ_E_NS1_11comp_targetILNS1_3genE8ELNS1_11target_archE1030ELNS1_3gpuE2ELNS1_3repE0EEENS1_47radix_sort_onesweep_sort_config_static_selectorELNS0_4arch9wavefront6targetE1EEEvSG_
                                        ; -- End function
	.section	.AMDGPU.csdata,"",@progbits
; Kernel info:
; codeLenInByte = 0
; NumSgprs: 4
; NumVgprs: 0
; NumAgprs: 0
; TotalNumVgprs: 0
; ScratchSize: 0
; MemoryBound: 0
; FloatMode: 240
; IeeeMode: 1
; LDSByteSize: 0 bytes/workgroup (compile time only)
; SGPRBlocks: 0
; VGPRBlocks: 0
; NumSGPRsForWavesPerEU: 4
; NumVGPRsForWavesPerEU: 1
; AccumOffset: 4
; Occupancy: 8
; WaveLimiterHint : 0
; COMPUTE_PGM_RSRC2:SCRATCH_EN: 0
; COMPUTE_PGM_RSRC2:USER_SGPR: 6
; COMPUTE_PGM_RSRC2:TRAP_HANDLER: 0
; COMPUTE_PGM_RSRC2:TGID_X_EN: 1
; COMPUTE_PGM_RSRC2:TGID_Y_EN: 0
; COMPUTE_PGM_RSRC2:TGID_Z_EN: 0
; COMPUTE_PGM_RSRC2:TIDIG_COMP_CNT: 0
; COMPUTE_PGM_RSRC3_GFX90A:ACCUM_OFFSET: 0
; COMPUTE_PGM_RSRC3_GFX90A:TG_SPLIT: 0
	.section	.text._ZN7rocprim17ROCPRIM_400000_NS6detail17trampoline_kernelINS0_14default_configENS1_35radix_sort_onesweep_config_selectorIdlEEZZNS1_29radix_sort_onesweep_iterationIS3_Lb0EPdS7_N6thrust23THRUST_200600_302600_NS10device_ptrIlEESB_jNS0_19identity_decomposerENS1_16block_id_wrapperIjLb0EEEEE10hipError_tT1_PNSt15iterator_traitsISG_E10value_typeET2_T3_PNSH_ISM_E10value_typeET4_T5_PSR_SS_PNS1_23onesweep_lookback_stateEbbT6_jjT7_P12ihipStream_tbENKUlT_T0_SG_SL_E_clIS7_S7_PlSB_EEDaSZ_S10_SG_SL_EUlSZ_E_NS1_11comp_targetILNS1_3genE0ELNS1_11target_archE4294967295ELNS1_3gpuE0ELNS1_3repE0EEENS1_47radix_sort_onesweep_sort_config_static_selectorELNS0_4arch9wavefront6targetE1EEEvSG_,"axG",@progbits,_ZN7rocprim17ROCPRIM_400000_NS6detail17trampoline_kernelINS0_14default_configENS1_35radix_sort_onesweep_config_selectorIdlEEZZNS1_29radix_sort_onesweep_iterationIS3_Lb0EPdS7_N6thrust23THRUST_200600_302600_NS10device_ptrIlEESB_jNS0_19identity_decomposerENS1_16block_id_wrapperIjLb0EEEEE10hipError_tT1_PNSt15iterator_traitsISG_E10value_typeET2_T3_PNSH_ISM_E10value_typeET4_T5_PSR_SS_PNS1_23onesweep_lookback_stateEbbT6_jjT7_P12ihipStream_tbENKUlT_T0_SG_SL_E_clIS7_S7_PlSB_EEDaSZ_S10_SG_SL_EUlSZ_E_NS1_11comp_targetILNS1_3genE0ELNS1_11target_archE4294967295ELNS1_3gpuE0ELNS1_3repE0EEENS1_47radix_sort_onesweep_sort_config_static_selectorELNS0_4arch9wavefront6targetE1EEEvSG_,comdat
	.protected	_ZN7rocprim17ROCPRIM_400000_NS6detail17trampoline_kernelINS0_14default_configENS1_35radix_sort_onesweep_config_selectorIdlEEZZNS1_29radix_sort_onesweep_iterationIS3_Lb0EPdS7_N6thrust23THRUST_200600_302600_NS10device_ptrIlEESB_jNS0_19identity_decomposerENS1_16block_id_wrapperIjLb0EEEEE10hipError_tT1_PNSt15iterator_traitsISG_E10value_typeET2_T3_PNSH_ISM_E10value_typeET4_T5_PSR_SS_PNS1_23onesweep_lookback_stateEbbT6_jjT7_P12ihipStream_tbENKUlT_T0_SG_SL_E_clIS7_S7_PlSB_EEDaSZ_S10_SG_SL_EUlSZ_E_NS1_11comp_targetILNS1_3genE0ELNS1_11target_archE4294967295ELNS1_3gpuE0ELNS1_3repE0EEENS1_47radix_sort_onesweep_sort_config_static_selectorELNS0_4arch9wavefront6targetE1EEEvSG_ ; -- Begin function _ZN7rocprim17ROCPRIM_400000_NS6detail17trampoline_kernelINS0_14default_configENS1_35radix_sort_onesweep_config_selectorIdlEEZZNS1_29radix_sort_onesweep_iterationIS3_Lb0EPdS7_N6thrust23THRUST_200600_302600_NS10device_ptrIlEESB_jNS0_19identity_decomposerENS1_16block_id_wrapperIjLb0EEEEE10hipError_tT1_PNSt15iterator_traitsISG_E10value_typeET2_T3_PNSH_ISM_E10value_typeET4_T5_PSR_SS_PNS1_23onesweep_lookback_stateEbbT6_jjT7_P12ihipStream_tbENKUlT_T0_SG_SL_E_clIS7_S7_PlSB_EEDaSZ_S10_SG_SL_EUlSZ_E_NS1_11comp_targetILNS1_3genE0ELNS1_11target_archE4294967295ELNS1_3gpuE0ELNS1_3repE0EEENS1_47radix_sort_onesweep_sort_config_static_selectorELNS0_4arch9wavefront6targetE1EEEvSG_
	.globl	_ZN7rocprim17ROCPRIM_400000_NS6detail17trampoline_kernelINS0_14default_configENS1_35radix_sort_onesweep_config_selectorIdlEEZZNS1_29radix_sort_onesweep_iterationIS3_Lb0EPdS7_N6thrust23THRUST_200600_302600_NS10device_ptrIlEESB_jNS0_19identity_decomposerENS1_16block_id_wrapperIjLb0EEEEE10hipError_tT1_PNSt15iterator_traitsISG_E10value_typeET2_T3_PNSH_ISM_E10value_typeET4_T5_PSR_SS_PNS1_23onesweep_lookback_stateEbbT6_jjT7_P12ihipStream_tbENKUlT_T0_SG_SL_E_clIS7_S7_PlSB_EEDaSZ_S10_SG_SL_EUlSZ_E_NS1_11comp_targetILNS1_3genE0ELNS1_11target_archE4294967295ELNS1_3gpuE0ELNS1_3repE0EEENS1_47radix_sort_onesweep_sort_config_static_selectorELNS0_4arch9wavefront6targetE1EEEvSG_
	.p2align	8
	.type	_ZN7rocprim17ROCPRIM_400000_NS6detail17trampoline_kernelINS0_14default_configENS1_35radix_sort_onesweep_config_selectorIdlEEZZNS1_29radix_sort_onesweep_iterationIS3_Lb0EPdS7_N6thrust23THRUST_200600_302600_NS10device_ptrIlEESB_jNS0_19identity_decomposerENS1_16block_id_wrapperIjLb0EEEEE10hipError_tT1_PNSt15iterator_traitsISG_E10value_typeET2_T3_PNSH_ISM_E10value_typeET4_T5_PSR_SS_PNS1_23onesweep_lookback_stateEbbT6_jjT7_P12ihipStream_tbENKUlT_T0_SG_SL_E_clIS7_S7_PlSB_EEDaSZ_S10_SG_SL_EUlSZ_E_NS1_11comp_targetILNS1_3genE0ELNS1_11target_archE4294967295ELNS1_3gpuE0ELNS1_3repE0EEENS1_47radix_sort_onesweep_sort_config_static_selectorELNS0_4arch9wavefront6targetE1EEEvSG_,@function
_ZN7rocprim17ROCPRIM_400000_NS6detail17trampoline_kernelINS0_14default_configENS1_35radix_sort_onesweep_config_selectorIdlEEZZNS1_29radix_sort_onesweep_iterationIS3_Lb0EPdS7_N6thrust23THRUST_200600_302600_NS10device_ptrIlEESB_jNS0_19identity_decomposerENS1_16block_id_wrapperIjLb0EEEEE10hipError_tT1_PNSt15iterator_traitsISG_E10value_typeET2_T3_PNSH_ISM_E10value_typeET4_T5_PSR_SS_PNS1_23onesweep_lookback_stateEbbT6_jjT7_P12ihipStream_tbENKUlT_T0_SG_SL_E_clIS7_S7_PlSB_EEDaSZ_S10_SG_SL_EUlSZ_E_NS1_11comp_targetILNS1_3genE0ELNS1_11target_archE4294967295ELNS1_3gpuE0ELNS1_3repE0EEENS1_47radix_sort_onesweep_sort_config_static_selectorELNS0_4arch9wavefront6targetE1EEEvSG_: ; @_ZN7rocprim17ROCPRIM_400000_NS6detail17trampoline_kernelINS0_14default_configENS1_35radix_sort_onesweep_config_selectorIdlEEZZNS1_29radix_sort_onesweep_iterationIS3_Lb0EPdS7_N6thrust23THRUST_200600_302600_NS10device_ptrIlEESB_jNS0_19identity_decomposerENS1_16block_id_wrapperIjLb0EEEEE10hipError_tT1_PNSt15iterator_traitsISG_E10value_typeET2_T3_PNSH_ISM_E10value_typeET4_T5_PSR_SS_PNS1_23onesweep_lookback_stateEbbT6_jjT7_P12ihipStream_tbENKUlT_T0_SG_SL_E_clIS7_S7_PlSB_EEDaSZ_S10_SG_SL_EUlSZ_E_NS1_11comp_targetILNS1_3genE0ELNS1_11target_archE4294967295ELNS1_3gpuE0ELNS1_3repE0EEENS1_47radix_sort_onesweep_sort_config_static_selectorELNS0_4arch9wavefront6targetE1EEEvSG_
; %bb.0:
	.section	.rodata,"a",@progbits
	.p2align	6, 0x0
	.amdhsa_kernel _ZN7rocprim17ROCPRIM_400000_NS6detail17trampoline_kernelINS0_14default_configENS1_35radix_sort_onesweep_config_selectorIdlEEZZNS1_29radix_sort_onesweep_iterationIS3_Lb0EPdS7_N6thrust23THRUST_200600_302600_NS10device_ptrIlEESB_jNS0_19identity_decomposerENS1_16block_id_wrapperIjLb0EEEEE10hipError_tT1_PNSt15iterator_traitsISG_E10value_typeET2_T3_PNSH_ISM_E10value_typeET4_T5_PSR_SS_PNS1_23onesweep_lookback_stateEbbT6_jjT7_P12ihipStream_tbENKUlT_T0_SG_SL_E_clIS7_S7_PlSB_EEDaSZ_S10_SG_SL_EUlSZ_E_NS1_11comp_targetILNS1_3genE0ELNS1_11target_archE4294967295ELNS1_3gpuE0ELNS1_3repE0EEENS1_47radix_sort_onesweep_sort_config_static_selectorELNS0_4arch9wavefront6targetE1EEEvSG_
		.amdhsa_group_segment_fixed_size 0
		.amdhsa_private_segment_fixed_size 0
		.amdhsa_kernarg_size 88
		.amdhsa_user_sgpr_count 6
		.amdhsa_user_sgpr_private_segment_buffer 1
		.amdhsa_user_sgpr_dispatch_ptr 0
		.amdhsa_user_sgpr_queue_ptr 0
		.amdhsa_user_sgpr_kernarg_segment_ptr 1
		.amdhsa_user_sgpr_dispatch_id 0
		.amdhsa_user_sgpr_flat_scratch_init 0
		.amdhsa_user_sgpr_kernarg_preload_length 0
		.amdhsa_user_sgpr_kernarg_preload_offset 0
		.amdhsa_user_sgpr_private_segment_size 0
		.amdhsa_uses_dynamic_stack 0
		.amdhsa_system_sgpr_private_segment_wavefront_offset 0
		.amdhsa_system_sgpr_workgroup_id_x 1
		.amdhsa_system_sgpr_workgroup_id_y 0
		.amdhsa_system_sgpr_workgroup_id_z 0
		.amdhsa_system_sgpr_workgroup_info 0
		.amdhsa_system_vgpr_workitem_id 0
		.amdhsa_next_free_vgpr 1
		.amdhsa_next_free_sgpr 0
		.amdhsa_accum_offset 4
		.amdhsa_reserve_vcc 0
		.amdhsa_reserve_flat_scratch 0
		.amdhsa_float_round_mode_32 0
		.amdhsa_float_round_mode_16_64 0
		.amdhsa_float_denorm_mode_32 3
		.amdhsa_float_denorm_mode_16_64 3
		.amdhsa_dx10_clamp 1
		.amdhsa_ieee_mode 1
		.amdhsa_fp16_overflow 0
		.amdhsa_tg_split 0
		.amdhsa_exception_fp_ieee_invalid_op 0
		.amdhsa_exception_fp_denorm_src 0
		.amdhsa_exception_fp_ieee_div_zero 0
		.amdhsa_exception_fp_ieee_overflow 0
		.amdhsa_exception_fp_ieee_underflow 0
		.amdhsa_exception_fp_ieee_inexact 0
		.amdhsa_exception_int_div_zero 0
	.end_amdhsa_kernel
	.section	.text._ZN7rocprim17ROCPRIM_400000_NS6detail17trampoline_kernelINS0_14default_configENS1_35radix_sort_onesweep_config_selectorIdlEEZZNS1_29radix_sort_onesweep_iterationIS3_Lb0EPdS7_N6thrust23THRUST_200600_302600_NS10device_ptrIlEESB_jNS0_19identity_decomposerENS1_16block_id_wrapperIjLb0EEEEE10hipError_tT1_PNSt15iterator_traitsISG_E10value_typeET2_T3_PNSH_ISM_E10value_typeET4_T5_PSR_SS_PNS1_23onesweep_lookback_stateEbbT6_jjT7_P12ihipStream_tbENKUlT_T0_SG_SL_E_clIS7_S7_PlSB_EEDaSZ_S10_SG_SL_EUlSZ_E_NS1_11comp_targetILNS1_3genE0ELNS1_11target_archE4294967295ELNS1_3gpuE0ELNS1_3repE0EEENS1_47radix_sort_onesweep_sort_config_static_selectorELNS0_4arch9wavefront6targetE1EEEvSG_,"axG",@progbits,_ZN7rocprim17ROCPRIM_400000_NS6detail17trampoline_kernelINS0_14default_configENS1_35radix_sort_onesweep_config_selectorIdlEEZZNS1_29radix_sort_onesweep_iterationIS3_Lb0EPdS7_N6thrust23THRUST_200600_302600_NS10device_ptrIlEESB_jNS0_19identity_decomposerENS1_16block_id_wrapperIjLb0EEEEE10hipError_tT1_PNSt15iterator_traitsISG_E10value_typeET2_T3_PNSH_ISM_E10value_typeET4_T5_PSR_SS_PNS1_23onesweep_lookback_stateEbbT6_jjT7_P12ihipStream_tbENKUlT_T0_SG_SL_E_clIS7_S7_PlSB_EEDaSZ_S10_SG_SL_EUlSZ_E_NS1_11comp_targetILNS1_3genE0ELNS1_11target_archE4294967295ELNS1_3gpuE0ELNS1_3repE0EEENS1_47radix_sort_onesweep_sort_config_static_selectorELNS0_4arch9wavefront6targetE1EEEvSG_,comdat
.Lfunc_end1661:
	.size	_ZN7rocprim17ROCPRIM_400000_NS6detail17trampoline_kernelINS0_14default_configENS1_35radix_sort_onesweep_config_selectorIdlEEZZNS1_29radix_sort_onesweep_iterationIS3_Lb0EPdS7_N6thrust23THRUST_200600_302600_NS10device_ptrIlEESB_jNS0_19identity_decomposerENS1_16block_id_wrapperIjLb0EEEEE10hipError_tT1_PNSt15iterator_traitsISG_E10value_typeET2_T3_PNSH_ISM_E10value_typeET4_T5_PSR_SS_PNS1_23onesweep_lookback_stateEbbT6_jjT7_P12ihipStream_tbENKUlT_T0_SG_SL_E_clIS7_S7_PlSB_EEDaSZ_S10_SG_SL_EUlSZ_E_NS1_11comp_targetILNS1_3genE0ELNS1_11target_archE4294967295ELNS1_3gpuE0ELNS1_3repE0EEENS1_47radix_sort_onesweep_sort_config_static_selectorELNS0_4arch9wavefront6targetE1EEEvSG_, .Lfunc_end1661-_ZN7rocprim17ROCPRIM_400000_NS6detail17trampoline_kernelINS0_14default_configENS1_35radix_sort_onesweep_config_selectorIdlEEZZNS1_29radix_sort_onesweep_iterationIS3_Lb0EPdS7_N6thrust23THRUST_200600_302600_NS10device_ptrIlEESB_jNS0_19identity_decomposerENS1_16block_id_wrapperIjLb0EEEEE10hipError_tT1_PNSt15iterator_traitsISG_E10value_typeET2_T3_PNSH_ISM_E10value_typeET4_T5_PSR_SS_PNS1_23onesweep_lookback_stateEbbT6_jjT7_P12ihipStream_tbENKUlT_T0_SG_SL_E_clIS7_S7_PlSB_EEDaSZ_S10_SG_SL_EUlSZ_E_NS1_11comp_targetILNS1_3genE0ELNS1_11target_archE4294967295ELNS1_3gpuE0ELNS1_3repE0EEENS1_47radix_sort_onesweep_sort_config_static_selectorELNS0_4arch9wavefront6targetE1EEEvSG_
                                        ; -- End function
	.section	.AMDGPU.csdata,"",@progbits
; Kernel info:
; codeLenInByte = 0
; NumSgprs: 4
; NumVgprs: 0
; NumAgprs: 0
; TotalNumVgprs: 0
; ScratchSize: 0
; MemoryBound: 0
; FloatMode: 240
; IeeeMode: 1
; LDSByteSize: 0 bytes/workgroup (compile time only)
; SGPRBlocks: 0
; VGPRBlocks: 0
; NumSGPRsForWavesPerEU: 4
; NumVGPRsForWavesPerEU: 1
; AccumOffset: 4
; Occupancy: 8
; WaveLimiterHint : 0
; COMPUTE_PGM_RSRC2:SCRATCH_EN: 0
; COMPUTE_PGM_RSRC2:USER_SGPR: 6
; COMPUTE_PGM_RSRC2:TRAP_HANDLER: 0
; COMPUTE_PGM_RSRC2:TGID_X_EN: 1
; COMPUTE_PGM_RSRC2:TGID_Y_EN: 0
; COMPUTE_PGM_RSRC2:TGID_Z_EN: 0
; COMPUTE_PGM_RSRC2:TIDIG_COMP_CNT: 0
; COMPUTE_PGM_RSRC3_GFX90A:ACCUM_OFFSET: 0
; COMPUTE_PGM_RSRC3_GFX90A:TG_SPLIT: 0
	.section	.text._ZN7rocprim17ROCPRIM_400000_NS6detail17trampoline_kernelINS0_14default_configENS1_35radix_sort_onesweep_config_selectorIdlEEZZNS1_29radix_sort_onesweep_iterationIS3_Lb0EPdS7_N6thrust23THRUST_200600_302600_NS10device_ptrIlEESB_jNS0_19identity_decomposerENS1_16block_id_wrapperIjLb0EEEEE10hipError_tT1_PNSt15iterator_traitsISG_E10value_typeET2_T3_PNSH_ISM_E10value_typeET4_T5_PSR_SS_PNS1_23onesweep_lookback_stateEbbT6_jjT7_P12ihipStream_tbENKUlT_T0_SG_SL_E_clIS7_S7_PlSB_EEDaSZ_S10_SG_SL_EUlSZ_E_NS1_11comp_targetILNS1_3genE6ELNS1_11target_archE950ELNS1_3gpuE13ELNS1_3repE0EEENS1_47radix_sort_onesweep_sort_config_static_selectorELNS0_4arch9wavefront6targetE1EEEvSG_,"axG",@progbits,_ZN7rocprim17ROCPRIM_400000_NS6detail17trampoline_kernelINS0_14default_configENS1_35radix_sort_onesweep_config_selectorIdlEEZZNS1_29radix_sort_onesweep_iterationIS3_Lb0EPdS7_N6thrust23THRUST_200600_302600_NS10device_ptrIlEESB_jNS0_19identity_decomposerENS1_16block_id_wrapperIjLb0EEEEE10hipError_tT1_PNSt15iterator_traitsISG_E10value_typeET2_T3_PNSH_ISM_E10value_typeET4_T5_PSR_SS_PNS1_23onesweep_lookback_stateEbbT6_jjT7_P12ihipStream_tbENKUlT_T0_SG_SL_E_clIS7_S7_PlSB_EEDaSZ_S10_SG_SL_EUlSZ_E_NS1_11comp_targetILNS1_3genE6ELNS1_11target_archE950ELNS1_3gpuE13ELNS1_3repE0EEENS1_47radix_sort_onesweep_sort_config_static_selectorELNS0_4arch9wavefront6targetE1EEEvSG_,comdat
	.protected	_ZN7rocprim17ROCPRIM_400000_NS6detail17trampoline_kernelINS0_14default_configENS1_35radix_sort_onesweep_config_selectorIdlEEZZNS1_29radix_sort_onesweep_iterationIS3_Lb0EPdS7_N6thrust23THRUST_200600_302600_NS10device_ptrIlEESB_jNS0_19identity_decomposerENS1_16block_id_wrapperIjLb0EEEEE10hipError_tT1_PNSt15iterator_traitsISG_E10value_typeET2_T3_PNSH_ISM_E10value_typeET4_T5_PSR_SS_PNS1_23onesweep_lookback_stateEbbT6_jjT7_P12ihipStream_tbENKUlT_T0_SG_SL_E_clIS7_S7_PlSB_EEDaSZ_S10_SG_SL_EUlSZ_E_NS1_11comp_targetILNS1_3genE6ELNS1_11target_archE950ELNS1_3gpuE13ELNS1_3repE0EEENS1_47radix_sort_onesweep_sort_config_static_selectorELNS0_4arch9wavefront6targetE1EEEvSG_ ; -- Begin function _ZN7rocprim17ROCPRIM_400000_NS6detail17trampoline_kernelINS0_14default_configENS1_35radix_sort_onesweep_config_selectorIdlEEZZNS1_29radix_sort_onesweep_iterationIS3_Lb0EPdS7_N6thrust23THRUST_200600_302600_NS10device_ptrIlEESB_jNS0_19identity_decomposerENS1_16block_id_wrapperIjLb0EEEEE10hipError_tT1_PNSt15iterator_traitsISG_E10value_typeET2_T3_PNSH_ISM_E10value_typeET4_T5_PSR_SS_PNS1_23onesweep_lookback_stateEbbT6_jjT7_P12ihipStream_tbENKUlT_T0_SG_SL_E_clIS7_S7_PlSB_EEDaSZ_S10_SG_SL_EUlSZ_E_NS1_11comp_targetILNS1_3genE6ELNS1_11target_archE950ELNS1_3gpuE13ELNS1_3repE0EEENS1_47radix_sort_onesweep_sort_config_static_selectorELNS0_4arch9wavefront6targetE1EEEvSG_
	.globl	_ZN7rocprim17ROCPRIM_400000_NS6detail17trampoline_kernelINS0_14default_configENS1_35radix_sort_onesweep_config_selectorIdlEEZZNS1_29radix_sort_onesweep_iterationIS3_Lb0EPdS7_N6thrust23THRUST_200600_302600_NS10device_ptrIlEESB_jNS0_19identity_decomposerENS1_16block_id_wrapperIjLb0EEEEE10hipError_tT1_PNSt15iterator_traitsISG_E10value_typeET2_T3_PNSH_ISM_E10value_typeET4_T5_PSR_SS_PNS1_23onesweep_lookback_stateEbbT6_jjT7_P12ihipStream_tbENKUlT_T0_SG_SL_E_clIS7_S7_PlSB_EEDaSZ_S10_SG_SL_EUlSZ_E_NS1_11comp_targetILNS1_3genE6ELNS1_11target_archE950ELNS1_3gpuE13ELNS1_3repE0EEENS1_47radix_sort_onesweep_sort_config_static_selectorELNS0_4arch9wavefront6targetE1EEEvSG_
	.p2align	8
	.type	_ZN7rocprim17ROCPRIM_400000_NS6detail17trampoline_kernelINS0_14default_configENS1_35radix_sort_onesweep_config_selectorIdlEEZZNS1_29radix_sort_onesweep_iterationIS3_Lb0EPdS7_N6thrust23THRUST_200600_302600_NS10device_ptrIlEESB_jNS0_19identity_decomposerENS1_16block_id_wrapperIjLb0EEEEE10hipError_tT1_PNSt15iterator_traitsISG_E10value_typeET2_T3_PNSH_ISM_E10value_typeET4_T5_PSR_SS_PNS1_23onesweep_lookback_stateEbbT6_jjT7_P12ihipStream_tbENKUlT_T0_SG_SL_E_clIS7_S7_PlSB_EEDaSZ_S10_SG_SL_EUlSZ_E_NS1_11comp_targetILNS1_3genE6ELNS1_11target_archE950ELNS1_3gpuE13ELNS1_3repE0EEENS1_47radix_sort_onesweep_sort_config_static_selectorELNS0_4arch9wavefront6targetE1EEEvSG_,@function
_ZN7rocprim17ROCPRIM_400000_NS6detail17trampoline_kernelINS0_14default_configENS1_35radix_sort_onesweep_config_selectorIdlEEZZNS1_29radix_sort_onesweep_iterationIS3_Lb0EPdS7_N6thrust23THRUST_200600_302600_NS10device_ptrIlEESB_jNS0_19identity_decomposerENS1_16block_id_wrapperIjLb0EEEEE10hipError_tT1_PNSt15iterator_traitsISG_E10value_typeET2_T3_PNSH_ISM_E10value_typeET4_T5_PSR_SS_PNS1_23onesweep_lookback_stateEbbT6_jjT7_P12ihipStream_tbENKUlT_T0_SG_SL_E_clIS7_S7_PlSB_EEDaSZ_S10_SG_SL_EUlSZ_E_NS1_11comp_targetILNS1_3genE6ELNS1_11target_archE950ELNS1_3gpuE13ELNS1_3repE0EEENS1_47radix_sort_onesweep_sort_config_static_selectorELNS0_4arch9wavefront6targetE1EEEvSG_: ; @_ZN7rocprim17ROCPRIM_400000_NS6detail17trampoline_kernelINS0_14default_configENS1_35radix_sort_onesweep_config_selectorIdlEEZZNS1_29radix_sort_onesweep_iterationIS3_Lb0EPdS7_N6thrust23THRUST_200600_302600_NS10device_ptrIlEESB_jNS0_19identity_decomposerENS1_16block_id_wrapperIjLb0EEEEE10hipError_tT1_PNSt15iterator_traitsISG_E10value_typeET2_T3_PNSH_ISM_E10value_typeET4_T5_PSR_SS_PNS1_23onesweep_lookback_stateEbbT6_jjT7_P12ihipStream_tbENKUlT_T0_SG_SL_E_clIS7_S7_PlSB_EEDaSZ_S10_SG_SL_EUlSZ_E_NS1_11comp_targetILNS1_3genE6ELNS1_11target_archE950ELNS1_3gpuE13ELNS1_3repE0EEENS1_47radix_sort_onesweep_sort_config_static_selectorELNS0_4arch9wavefront6targetE1EEEvSG_
; %bb.0:
	.section	.rodata,"a",@progbits
	.p2align	6, 0x0
	.amdhsa_kernel _ZN7rocprim17ROCPRIM_400000_NS6detail17trampoline_kernelINS0_14default_configENS1_35radix_sort_onesweep_config_selectorIdlEEZZNS1_29radix_sort_onesweep_iterationIS3_Lb0EPdS7_N6thrust23THRUST_200600_302600_NS10device_ptrIlEESB_jNS0_19identity_decomposerENS1_16block_id_wrapperIjLb0EEEEE10hipError_tT1_PNSt15iterator_traitsISG_E10value_typeET2_T3_PNSH_ISM_E10value_typeET4_T5_PSR_SS_PNS1_23onesweep_lookback_stateEbbT6_jjT7_P12ihipStream_tbENKUlT_T0_SG_SL_E_clIS7_S7_PlSB_EEDaSZ_S10_SG_SL_EUlSZ_E_NS1_11comp_targetILNS1_3genE6ELNS1_11target_archE950ELNS1_3gpuE13ELNS1_3repE0EEENS1_47radix_sort_onesweep_sort_config_static_selectorELNS0_4arch9wavefront6targetE1EEEvSG_
		.amdhsa_group_segment_fixed_size 0
		.amdhsa_private_segment_fixed_size 0
		.amdhsa_kernarg_size 88
		.amdhsa_user_sgpr_count 6
		.amdhsa_user_sgpr_private_segment_buffer 1
		.amdhsa_user_sgpr_dispatch_ptr 0
		.amdhsa_user_sgpr_queue_ptr 0
		.amdhsa_user_sgpr_kernarg_segment_ptr 1
		.amdhsa_user_sgpr_dispatch_id 0
		.amdhsa_user_sgpr_flat_scratch_init 0
		.amdhsa_user_sgpr_kernarg_preload_length 0
		.amdhsa_user_sgpr_kernarg_preload_offset 0
		.amdhsa_user_sgpr_private_segment_size 0
		.amdhsa_uses_dynamic_stack 0
		.amdhsa_system_sgpr_private_segment_wavefront_offset 0
		.amdhsa_system_sgpr_workgroup_id_x 1
		.amdhsa_system_sgpr_workgroup_id_y 0
		.amdhsa_system_sgpr_workgroup_id_z 0
		.amdhsa_system_sgpr_workgroup_info 0
		.amdhsa_system_vgpr_workitem_id 0
		.amdhsa_next_free_vgpr 1
		.amdhsa_next_free_sgpr 0
		.amdhsa_accum_offset 4
		.amdhsa_reserve_vcc 0
		.amdhsa_reserve_flat_scratch 0
		.amdhsa_float_round_mode_32 0
		.amdhsa_float_round_mode_16_64 0
		.amdhsa_float_denorm_mode_32 3
		.amdhsa_float_denorm_mode_16_64 3
		.amdhsa_dx10_clamp 1
		.amdhsa_ieee_mode 1
		.amdhsa_fp16_overflow 0
		.amdhsa_tg_split 0
		.amdhsa_exception_fp_ieee_invalid_op 0
		.amdhsa_exception_fp_denorm_src 0
		.amdhsa_exception_fp_ieee_div_zero 0
		.amdhsa_exception_fp_ieee_overflow 0
		.amdhsa_exception_fp_ieee_underflow 0
		.amdhsa_exception_fp_ieee_inexact 0
		.amdhsa_exception_int_div_zero 0
	.end_amdhsa_kernel
	.section	.text._ZN7rocprim17ROCPRIM_400000_NS6detail17trampoline_kernelINS0_14default_configENS1_35radix_sort_onesweep_config_selectorIdlEEZZNS1_29radix_sort_onesweep_iterationIS3_Lb0EPdS7_N6thrust23THRUST_200600_302600_NS10device_ptrIlEESB_jNS0_19identity_decomposerENS1_16block_id_wrapperIjLb0EEEEE10hipError_tT1_PNSt15iterator_traitsISG_E10value_typeET2_T3_PNSH_ISM_E10value_typeET4_T5_PSR_SS_PNS1_23onesweep_lookback_stateEbbT6_jjT7_P12ihipStream_tbENKUlT_T0_SG_SL_E_clIS7_S7_PlSB_EEDaSZ_S10_SG_SL_EUlSZ_E_NS1_11comp_targetILNS1_3genE6ELNS1_11target_archE950ELNS1_3gpuE13ELNS1_3repE0EEENS1_47radix_sort_onesweep_sort_config_static_selectorELNS0_4arch9wavefront6targetE1EEEvSG_,"axG",@progbits,_ZN7rocprim17ROCPRIM_400000_NS6detail17trampoline_kernelINS0_14default_configENS1_35radix_sort_onesweep_config_selectorIdlEEZZNS1_29radix_sort_onesweep_iterationIS3_Lb0EPdS7_N6thrust23THRUST_200600_302600_NS10device_ptrIlEESB_jNS0_19identity_decomposerENS1_16block_id_wrapperIjLb0EEEEE10hipError_tT1_PNSt15iterator_traitsISG_E10value_typeET2_T3_PNSH_ISM_E10value_typeET4_T5_PSR_SS_PNS1_23onesweep_lookback_stateEbbT6_jjT7_P12ihipStream_tbENKUlT_T0_SG_SL_E_clIS7_S7_PlSB_EEDaSZ_S10_SG_SL_EUlSZ_E_NS1_11comp_targetILNS1_3genE6ELNS1_11target_archE950ELNS1_3gpuE13ELNS1_3repE0EEENS1_47radix_sort_onesweep_sort_config_static_selectorELNS0_4arch9wavefront6targetE1EEEvSG_,comdat
.Lfunc_end1662:
	.size	_ZN7rocprim17ROCPRIM_400000_NS6detail17trampoline_kernelINS0_14default_configENS1_35radix_sort_onesweep_config_selectorIdlEEZZNS1_29radix_sort_onesweep_iterationIS3_Lb0EPdS7_N6thrust23THRUST_200600_302600_NS10device_ptrIlEESB_jNS0_19identity_decomposerENS1_16block_id_wrapperIjLb0EEEEE10hipError_tT1_PNSt15iterator_traitsISG_E10value_typeET2_T3_PNSH_ISM_E10value_typeET4_T5_PSR_SS_PNS1_23onesweep_lookback_stateEbbT6_jjT7_P12ihipStream_tbENKUlT_T0_SG_SL_E_clIS7_S7_PlSB_EEDaSZ_S10_SG_SL_EUlSZ_E_NS1_11comp_targetILNS1_3genE6ELNS1_11target_archE950ELNS1_3gpuE13ELNS1_3repE0EEENS1_47radix_sort_onesweep_sort_config_static_selectorELNS0_4arch9wavefront6targetE1EEEvSG_, .Lfunc_end1662-_ZN7rocprim17ROCPRIM_400000_NS6detail17trampoline_kernelINS0_14default_configENS1_35radix_sort_onesweep_config_selectorIdlEEZZNS1_29radix_sort_onesweep_iterationIS3_Lb0EPdS7_N6thrust23THRUST_200600_302600_NS10device_ptrIlEESB_jNS0_19identity_decomposerENS1_16block_id_wrapperIjLb0EEEEE10hipError_tT1_PNSt15iterator_traitsISG_E10value_typeET2_T3_PNSH_ISM_E10value_typeET4_T5_PSR_SS_PNS1_23onesweep_lookback_stateEbbT6_jjT7_P12ihipStream_tbENKUlT_T0_SG_SL_E_clIS7_S7_PlSB_EEDaSZ_S10_SG_SL_EUlSZ_E_NS1_11comp_targetILNS1_3genE6ELNS1_11target_archE950ELNS1_3gpuE13ELNS1_3repE0EEENS1_47radix_sort_onesweep_sort_config_static_selectorELNS0_4arch9wavefront6targetE1EEEvSG_
                                        ; -- End function
	.section	.AMDGPU.csdata,"",@progbits
; Kernel info:
; codeLenInByte = 0
; NumSgprs: 4
; NumVgprs: 0
; NumAgprs: 0
; TotalNumVgprs: 0
; ScratchSize: 0
; MemoryBound: 0
; FloatMode: 240
; IeeeMode: 1
; LDSByteSize: 0 bytes/workgroup (compile time only)
; SGPRBlocks: 0
; VGPRBlocks: 0
; NumSGPRsForWavesPerEU: 4
; NumVGPRsForWavesPerEU: 1
; AccumOffset: 4
; Occupancy: 8
; WaveLimiterHint : 0
; COMPUTE_PGM_RSRC2:SCRATCH_EN: 0
; COMPUTE_PGM_RSRC2:USER_SGPR: 6
; COMPUTE_PGM_RSRC2:TRAP_HANDLER: 0
; COMPUTE_PGM_RSRC2:TGID_X_EN: 1
; COMPUTE_PGM_RSRC2:TGID_Y_EN: 0
; COMPUTE_PGM_RSRC2:TGID_Z_EN: 0
; COMPUTE_PGM_RSRC2:TIDIG_COMP_CNT: 0
; COMPUTE_PGM_RSRC3_GFX90A:ACCUM_OFFSET: 0
; COMPUTE_PGM_RSRC3_GFX90A:TG_SPLIT: 0
	.section	.text._ZN7rocprim17ROCPRIM_400000_NS6detail17trampoline_kernelINS0_14default_configENS1_35radix_sort_onesweep_config_selectorIdlEEZZNS1_29radix_sort_onesweep_iterationIS3_Lb0EPdS7_N6thrust23THRUST_200600_302600_NS10device_ptrIlEESB_jNS0_19identity_decomposerENS1_16block_id_wrapperIjLb0EEEEE10hipError_tT1_PNSt15iterator_traitsISG_E10value_typeET2_T3_PNSH_ISM_E10value_typeET4_T5_PSR_SS_PNS1_23onesweep_lookback_stateEbbT6_jjT7_P12ihipStream_tbENKUlT_T0_SG_SL_E_clIS7_S7_PlSB_EEDaSZ_S10_SG_SL_EUlSZ_E_NS1_11comp_targetILNS1_3genE5ELNS1_11target_archE942ELNS1_3gpuE9ELNS1_3repE0EEENS1_47radix_sort_onesweep_sort_config_static_selectorELNS0_4arch9wavefront6targetE1EEEvSG_,"axG",@progbits,_ZN7rocprim17ROCPRIM_400000_NS6detail17trampoline_kernelINS0_14default_configENS1_35radix_sort_onesweep_config_selectorIdlEEZZNS1_29radix_sort_onesweep_iterationIS3_Lb0EPdS7_N6thrust23THRUST_200600_302600_NS10device_ptrIlEESB_jNS0_19identity_decomposerENS1_16block_id_wrapperIjLb0EEEEE10hipError_tT1_PNSt15iterator_traitsISG_E10value_typeET2_T3_PNSH_ISM_E10value_typeET4_T5_PSR_SS_PNS1_23onesweep_lookback_stateEbbT6_jjT7_P12ihipStream_tbENKUlT_T0_SG_SL_E_clIS7_S7_PlSB_EEDaSZ_S10_SG_SL_EUlSZ_E_NS1_11comp_targetILNS1_3genE5ELNS1_11target_archE942ELNS1_3gpuE9ELNS1_3repE0EEENS1_47radix_sort_onesweep_sort_config_static_selectorELNS0_4arch9wavefront6targetE1EEEvSG_,comdat
	.protected	_ZN7rocprim17ROCPRIM_400000_NS6detail17trampoline_kernelINS0_14default_configENS1_35radix_sort_onesweep_config_selectorIdlEEZZNS1_29radix_sort_onesweep_iterationIS3_Lb0EPdS7_N6thrust23THRUST_200600_302600_NS10device_ptrIlEESB_jNS0_19identity_decomposerENS1_16block_id_wrapperIjLb0EEEEE10hipError_tT1_PNSt15iterator_traitsISG_E10value_typeET2_T3_PNSH_ISM_E10value_typeET4_T5_PSR_SS_PNS1_23onesweep_lookback_stateEbbT6_jjT7_P12ihipStream_tbENKUlT_T0_SG_SL_E_clIS7_S7_PlSB_EEDaSZ_S10_SG_SL_EUlSZ_E_NS1_11comp_targetILNS1_3genE5ELNS1_11target_archE942ELNS1_3gpuE9ELNS1_3repE0EEENS1_47radix_sort_onesweep_sort_config_static_selectorELNS0_4arch9wavefront6targetE1EEEvSG_ ; -- Begin function _ZN7rocprim17ROCPRIM_400000_NS6detail17trampoline_kernelINS0_14default_configENS1_35radix_sort_onesweep_config_selectorIdlEEZZNS1_29radix_sort_onesweep_iterationIS3_Lb0EPdS7_N6thrust23THRUST_200600_302600_NS10device_ptrIlEESB_jNS0_19identity_decomposerENS1_16block_id_wrapperIjLb0EEEEE10hipError_tT1_PNSt15iterator_traitsISG_E10value_typeET2_T3_PNSH_ISM_E10value_typeET4_T5_PSR_SS_PNS1_23onesweep_lookback_stateEbbT6_jjT7_P12ihipStream_tbENKUlT_T0_SG_SL_E_clIS7_S7_PlSB_EEDaSZ_S10_SG_SL_EUlSZ_E_NS1_11comp_targetILNS1_3genE5ELNS1_11target_archE942ELNS1_3gpuE9ELNS1_3repE0EEENS1_47radix_sort_onesweep_sort_config_static_selectorELNS0_4arch9wavefront6targetE1EEEvSG_
	.globl	_ZN7rocprim17ROCPRIM_400000_NS6detail17trampoline_kernelINS0_14default_configENS1_35radix_sort_onesweep_config_selectorIdlEEZZNS1_29radix_sort_onesweep_iterationIS3_Lb0EPdS7_N6thrust23THRUST_200600_302600_NS10device_ptrIlEESB_jNS0_19identity_decomposerENS1_16block_id_wrapperIjLb0EEEEE10hipError_tT1_PNSt15iterator_traitsISG_E10value_typeET2_T3_PNSH_ISM_E10value_typeET4_T5_PSR_SS_PNS1_23onesweep_lookback_stateEbbT6_jjT7_P12ihipStream_tbENKUlT_T0_SG_SL_E_clIS7_S7_PlSB_EEDaSZ_S10_SG_SL_EUlSZ_E_NS1_11comp_targetILNS1_3genE5ELNS1_11target_archE942ELNS1_3gpuE9ELNS1_3repE0EEENS1_47radix_sort_onesweep_sort_config_static_selectorELNS0_4arch9wavefront6targetE1EEEvSG_
	.p2align	8
	.type	_ZN7rocprim17ROCPRIM_400000_NS6detail17trampoline_kernelINS0_14default_configENS1_35radix_sort_onesweep_config_selectorIdlEEZZNS1_29radix_sort_onesweep_iterationIS3_Lb0EPdS7_N6thrust23THRUST_200600_302600_NS10device_ptrIlEESB_jNS0_19identity_decomposerENS1_16block_id_wrapperIjLb0EEEEE10hipError_tT1_PNSt15iterator_traitsISG_E10value_typeET2_T3_PNSH_ISM_E10value_typeET4_T5_PSR_SS_PNS1_23onesweep_lookback_stateEbbT6_jjT7_P12ihipStream_tbENKUlT_T0_SG_SL_E_clIS7_S7_PlSB_EEDaSZ_S10_SG_SL_EUlSZ_E_NS1_11comp_targetILNS1_3genE5ELNS1_11target_archE942ELNS1_3gpuE9ELNS1_3repE0EEENS1_47radix_sort_onesweep_sort_config_static_selectorELNS0_4arch9wavefront6targetE1EEEvSG_,@function
_ZN7rocprim17ROCPRIM_400000_NS6detail17trampoline_kernelINS0_14default_configENS1_35radix_sort_onesweep_config_selectorIdlEEZZNS1_29radix_sort_onesweep_iterationIS3_Lb0EPdS7_N6thrust23THRUST_200600_302600_NS10device_ptrIlEESB_jNS0_19identity_decomposerENS1_16block_id_wrapperIjLb0EEEEE10hipError_tT1_PNSt15iterator_traitsISG_E10value_typeET2_T3_PNSH_ISM_E10value_typeET4_T5_PSR_SS_PNS1_23onesweep_lookback_stateEbbT6_jjT7_P12ihipStream_tbENKUlT_T0_SG_SL_E_clIS7_S7_PlSB_EEDaSZ_S10_SG_SL_EUlSZ_E_NS1_11comp_targetILNS1_3genE5ELNS1_11target_archE942ELNS1_3gpuE9ELNS1_3repE0EEENS1_47radix_sort_onesweep_sort_config_static_selectorELNS0_4arch9wavefront6targetE1EEEvSG_: ; @_ZN7rocprim17ROCPRIM_400000_NS6detail17trampoline_kernelINS0_14default_configENS1_35radix_sort_onesweep_config_selectorIdlEEZZNS1_29radix_sort_onesweep_iterationIS3_Lb0EPdS7_N6thrust23THRUST_200600_302600_NS10device_ptrIlEESB_jNS0_19identity_decomposerENS1_16block_id_wrapperIjLb0EEEEE10hipError_tT1_PNSt15iterator_traitsISG_E10value_typeET2_T3_PNSH_ISM_E10value_typeET4_T5_PSR_SS_PNS1_23onesweep_lookback_stateEbbT6_jjT7_P12ihipStream_tbENKUlT_T0_SG_SL_E_clIS7_S7_PlSB_EEDaSZ_S10_SG_SL_EUlSZ_E_NS1_11comp_targetILNS1_3genE5ELNS1_11target_archE942ELNS1_3gpuE9ELNS1_3repE0EEENS1_47radix_sort_onesweep_sort_config_static_selectorELNS0_4arch9wavefront6targetE1EEEvSG_
; %bb.0:
	.section	.rodata,"a",@progbits
	.p2align	6, 0x0
	.amdhsa_kernel _ZN7rocprim17ROCPRIM_400000_NS6detail17trampoline_kernelINS0_14default_configENS1_35radix_sort_onesweep_config_selectorIdlEEZZNS1_29radix_sort_onesweep_iterationIS3_Lb0EPdS7_N6thrust23THRUST_200600_302600_NS10device_ptrIlEESB_jNS0_19identity_decomposerENS1_16block_id_wrapperIjLb0EEEEE10hipError_tT1_PNSt15iterator_traitsISG_E10value_typeET2_T3_PNSH_ISM_E10value_typeET4_T5_PSR_SS_PNS1_23onesweep_lookback_stateEbbT6_jjT7_P12ihipStream_tbENKUlT_T0_SG_SL_E_clIS7_S7_PlSB_EEDaSZ_S10_SG_SL_EUlSZ_E_NS1_11comp_targetILNS1_3genE5ELNS1_11target_archE942ELNS1_3gpuE9ELNS1_3repE0EEENS1_47radix_sort_onesweep_sort_config_static_selectorELNS0_4arch9wavefront6targetE1EEEvSG_
		.amdhsa_group_segment_fixed_size 0
		.amdhsa_private_segment_fixed_size 0
		.amdhsa_kernarg_size 88
		.amdhsa_user_sgpr_count 6
		.amdhsa_user_sgpr_private_segment_buffer 1
		.amdhsa_user_sgpr_dispatch_ptr 0
		.amdhsa_user_sgpr_queue_ptr 0
		.amdhsa_user_sgpr_kernarg_segment_ptr 1
		.amdhsa_user_sgpr_dispatch_id 0
		.amdhsa_user_sgpr_flat_scratch_init 0
		.amdhsa_user_sgpr_kernarg_preload_length 0
		.amdhsa_user_sgpr_kernarg_preload_offset 0
		.amdhsa_user_sgpr_private_segment_size 0
		.amdhsa_uses_dynamic_stack 0
		.amdhsa_system_sgpr_private_segment_wavefront_offset 0
		.amdhsa_system_sgpr_workgroup_id_x 1
		.amdhsa_system_sgpr_workgroup_id_y 0
		.amdhsa_system_sgpr_workgroup_id_z 0
		.amdhsa_system_sgpr_workgroup_info 0
		.amdhsa_system_vgpr_workitem_id 0
		.amdhsa_next_free_vgpr 1
		.amdhsa_next_free_sgpr 0
		.amdhsa_accum_offset 4
		.amdhsa_reserve_vcc 0
		.amdhsa_reserve_flat_scratch 0
		.amdhsa_float_round_mode_32 0
		.amdhsa_float_round_mode_16_64 0
		.amdhsa_float_denorm_mode_32 3
		.amdhsa_float_denorm_mode_16_64 3
		.amdhsa_dx10_clamp 1
		.amdhsa_ieee_mode 1
		.amdhsa_fp16_overflow 0
		.amdhsa_tg_split 0
		.amdhsa_exception_fp_ieee_invalid_op 0
		.amdhsa_exception_fp_denorm_src 0
		.amdhsa_exception_fp_ieee_div_zero 0
		.amdhsa_exception_fp_ieee_overflow 0
		.amdhsa_exception_fp_ieee_underflow 0
		.amdhsa_exception_fp_ieee_inexact 0
		.amdhsa_exception_int_div_zero 0
	.end_amdhsa_kernel
	.section	.text._ZN7rocprim17ROCPRIM_400000_NS6detail17trampoline_kernelINS0_14default_configENS1_35radix_sort_onesweep_config_selectorIdlEEZZNS1_29radix_sort_onesweep_iterationIS3_Lb0EPdS7_N6thrust23THRUST_200600_302600_NS10device_ptrIlEESB_jNS0_19identity_decomposerENS1_16block_id_wrapperIjLb0EEEEE10hipError_tT1_PNSt15iterator_traitsISG_E10value_typeET2_T3_PNSH_ISM_E10value_typeET4_T5_PSR_SS_PNS1_23onesweep_lookback_stateEbbT6_jjT7_P12ihipStream_tbENKUlT_T0_SG_SL_E_clIS7_S7_PlSB_EEDaSZ_S10_SG_SL_EUlSZ_E_NS1_11comp_targetILNS1_3genE5ELNS1_11target_archE942ELNS1_3gpuE9ELNS1_3repE0EEENS1_47radix_sort_onesweep_sort_config_static_selectorELNS0_4arch9wavefront6targetE1EEEvSG_,"axG",@progbits,_ZN7rocprim17ROCPRIM_400000_NS6detail17trampoline_kernelINS0_14default_configENS1_35radix_sort_onesweep_config_selectorIdlEEZZNS1_29radix_sort_onesweep_iterationIS3_Lb0EPdS7_N6thrust23THRUST_200600_302600_NS10device_ptrIlEESB_jNS0_19identity_decomposerENS1_16block_id_wrapperIjLb0EEEEE10hipError_tT1_PNSt15iterator_traitsISG_E10value_typeET2_T3_PNSH_ISM_E10value_typeET4_T5_PSR_SS_PNS1_23onesweep_lookback_stateEbbT6_jjT7_P12ihipStream_tbENKUlT_T0_SG_SL_E_clIS7_S7_PlSB_EEDaSZ_S10_SG_SL_EUlSZ_E_NS1_11comp_targetILNS1_3genE5ELNS1_11target_archE942ELNS1_3gpuE9ELNS1_3repE0EEENS1_47radix_sort_onesweep_sort_config_static_selectorELNS0_4arch9wavefront6targetE1EEEvSG_,comdat
.Lfunc_end1663:
	.size	_ZN7rocprim17ROCPRIM_400000_NS6detail17trampoline_kernelINS0_14default_configENS1_35radix_sort_onesweep_config_selectorIdlEEZZNS1_29radix_sort_onesweep_iterationIS3_Lb0EPdS7_N6thrust23THRUST_200600_302600_NS10device_ptrIlEESB_jNS0_19identity_decomposerENS1_16block_id_wrapperIjLb0EEEEE10hipError_tT1_PNSt15iterator_traitsISG_E10value_typeET2_T3_PNSH_ISM_E10value_typeET4_T5_PSR_SS_PNS1_23onesweep_lookback_stateEbbT6_jjT7_P12ihipStream_tbENKUlT_T0_SG_SL_E_clIS7_S7_PlSB_EEDaSZ_S10_SG_SL_EUlSZ_E_NS1_11comp_targetILNS1_3genE5ELNS1_11target_archE942ELNS1_3gpuE9ELNS1_3repE0EEENS1_47radix_sort_onesweep_sort_config_static_selectorELNS0_4arch9wavefront6targetE1EEEvSG_, .Lfunc_end1663-_ZN7rocprim17ROCPRIM_400000_NS6detail17trampoline_kernelINS0_14default_configENS1_35radix_sort_onesweep_config_selectorIdlEEZZNS1_29radix_sort_onesweep_iterationIS3_Lb0EPdS7_N6thrust23THRUST_200600_302600_NS10device_ptrIlEESB_jNS0_19identity_decomposerENS1_16block_id_wrapperIjLb0EEEEE10hipError_tT1_PNSt15iterator_traitsISG_E10value_typeET2_T3_PNSH_ISM_E10value_typeET4_T5_PSR_SS_PNS1_23onesweep_lookback_stateEbbT6_jjT7_P12ihipStream_tbENKUlT_T0_SG_SL_E_clIS7_S7_PlSB_EEDaSZ_S10_SG_SL_EUlSZ_E_NS1_11comp_targetILNS1_3genE5ELNS1_11target_archE942ELNS1_3gpuE9ELNS1_3repE0EEENS1_47radix_sort_onesweep_sort_config_static_selectorELNS0_4arch9wavefront6targetE1EEEvSG_
                                        ; -- End function
	.section	.AMDGPU.csdata,"",@progbits
; Kernel info:
; codeLenInByte = 0
; NumSgprs: 4
; NumVgprs: 0
; NumAgprs: 0
; TotalNumVgprs: 0
; ScratchSize: 0
; MemoryBound: 0
; FloatMode: 240
; IeeeMode: 1
; LDSByteSize: 0 bytes/workgroup (compile time only)
; SGPRBlocks: 0
; VGPRBlocks: 0
; NumSGPRsForWavesPerEU: 4
; NumVGPRsForWavesPerEU: 1
; AccumOffset: 4
; Occupancy: 8
; WaveLimiterHint : 0
; COMPUTE_PGM_RSRC2:SCRATCH_EN: 0
; COMPUTE_PGM_RSRC2:USER_SGPR: 6
; COMPUTE_PGM_RSRC2:TRAP_HANDLER: 0
; COMPUTE_PGM_RSRC2:TGID_X_EN: 1
; COMPUTE_PGM_RSRC2:TGID_Y_EN: 0
; COMPUTE_PGM_RSRC2:TGID_Z_EN: 0
; COMPUTE_PGM_RSRC2:TIDIG_COMP_CNT: 0
; COMPUTE_PGM_RSRC3_GFX90A:ACCUM_OFFSET: 0
; COMPUTE_PGM_RSRC3_GFX90A:TG_SPLIT: 0
	.section	.text._ZN7rocprim17ROCPRIM_400000_NS6detail17trampoline_kernelINS0_14default_configENS1_35radix_sort_onesweep_config_selectorIdlEEZZNS1_29radix_sort_onesweep_iterationIS3_Lb0EPdS7_N6thrust23THRUST_200600_302600_NS10device_ptrIlEESB_jNS0_19identity_decomposerENS1_16block_id_wrapperIjLb0EEEEE10hipError_tT1_PNSt15iterator_traitsISG_E10value_typeET2_T3_PNSH_ISM_E10value_typeET4_T5_PSR_SS_PNS1_23onesweep_lookback_stateEbbT6_jjT7_P12ihipStream_tbENKUlT_T0_SG_SL_E_clIS7_S7_PlSB_EEDaSZ_S10_SG_SL_EUlSZ_E_NS1_11comp_targetILNS1_3genE2ELNS1_11target_archE906ELNS1_3gpuE6ELNS1_3repE0EEENS1_47radix_sort_onesweep_sort_config_static_selectorELNS0_4arch9wavefront6targetE1EEEvSG_,"axG",@progbits,_ZN7rocprim17ROCPRIM_400000_NS6detail17trampoline_kernelINS0_14default_configENS1_35radix_sort_onesweep_config_selectorIdlEEZZNS1_29radix_sort_onesweep_iterationIS3_Lb0EPdS7_N6thrust23THRUST_200600_302600_NS10device_ptrIlEESB_jNS0_19identity_decomposerENS1_16block_id_wrapperIjLb0EEEEE10hipError_tT1_PNSt15iterator_traitsISG_E10value_typeET2_T3_PNSH_ISM_E10value_typeET4_T5_PSR_SS_PNS1_23onesweep_lookback_stateEbbT6_jjT7_P12ihipStream_tbENKUlT_T0_SG_SL_E_clIS7_S7_PlSB_EEDaSZ_S10_SG_SL_EUlSZ_E_NS1_11comp_targetILNS1_3genE2ELNS1_11target_archE906ELNS1_3gpuE6ELNS1_3repE0EEENS1_47radix_sort_onesweep_sort_config_static_selectorELNS0_4arch9wavefront6targetE1EEEvSG_,comdat
	.protected	_ZN7rocprim17ROCPRIM_400000_NS6detail17trampoline_kernelINS0_14default_configENS1_35radix_sort_onesweep_config_selectorIdlEEZZNS1_29radix_sort_onesweep_iterationIS3_Lb0EPdS7_N6thrust23THRUST_200600_302600_NS10device_ptrIlEESB_jNS0_19identity_decomposerENS1_16block_id_wrapperIjLb0EEEEE10hipError_tT1_PNSt15iterator_traitsISG_E10value_typeET2_T3_PNSH_ISM_E10value_typeET4_T5_PSR_SS_PNS1_23onesweep_lookback_stateEbbT6_jjT7_P12ihipStream_tbENKUlT_T0_SG_SL_E_clIS7_S7_PlSB_EEDaSZ_S10_SG_SL_EUlSZ_E_NS1_11comp_targetILNS1_3genE2ELNS1_11target_archE906ELNS1_3gpuE6ELNS1_3repE0EEENS1_47radix_sort_onesweep_sort_config_static_selectorELNS0_4arch9wavefront6targetE1EEEvSG_ ; -- Begin function _ZN7rocprim17ROCPRIM_400000_NS6detail17trampoline_kernelINS0_14default_configENS1_35radix_sort_onesweep_config_selectorIdlEEZZNS1_29radix_sort_onesweep_iterationIS3_Lb0EPdS7_N6thrust23THRUST_200600_302600_NS10device_ptrIlEESB_jNS0_19identity_decomposerENS1_16block_id_wrapperIjLb0EEEEE10hipError_tT1_PNSt15iterator_traitsISG_E10value_typeET2_T3_PNSH_ISM_E10value_typeET4_T5_PSR_SS_PNS1_23onesweep_lookback_stateEbbT6_jjT7_P12ihipStream_tbENKUlT_T0_SG_SL_E_clIS7_S7_PlSB_EEDaSZ_S10_SG_SL_EUlSZ_E_NS1_11comp_targetILNS1_3genE2ELNS1_11target_archE906ELNS1_3gpuE6ELNS1_3repE0EEENS1_47radix_sort_onesweep_sort_config_static_selectorELNS0_4arch9wavefront6targetE1EEEvSG_
	.globl	_ZN7rocprim17ROCPRIM_400000_NS6detail17trampoline_kernelINS0_14default_configENS1_35radix_sort_onesweep_config_selectorIdlEEZZNS1_29radix_sort_onesweep_iterationIS3_Lb0EPdS7_N6thrust23THRUST_200600_302600_NS10device_ptrIlEESB_jNS0_19identity_decomposerENS1_16block_id_wrapperIjLb0EEEEE10hipError_tT1_PNSt15iterator_traitsISG_E10value_typeET2_T3_PNSH_ISM_E10value_typeET4_T5_PSR_SS_PNS1_23onesweep_lookback_stateEbbT6_jjT7_P12ihipStream_tbENKUlT_T0_SG_SL_E_clIS7_S7_PlSB_EEDaSZ_S10_SG_SL_EUlSZ_E_NS1_11comp_targetILNS1_3genE2ELNS1_11target_archE906ELNS1_3gpuE6ELNS1_3repE0EEENS1_47radix_sort_onesweep_sort_config_static_selectorELNS0_4arch9wavefront6targetE1EEEvSG_
	.p2align	8
	.type	_ZN7rocprim17ROCPRIM_400000_NS6detail17trampoline_kernelINS0_14default_configENS1_35radix_sort_onesweep_config_selectorIdlEEZZNS1_29radix_sort_onesweep_iterationIS3_Lb0EPdS7_N6thrust23THRUST_200600_302600_NS10device_ptrIlEESB_jNS0_19identity_decomposerENS1_16block_id_wrapperIjLb0EEEEE10hipError_tT1_PNSt15iterator_traitsISG_E10value_typeET2_T3_PNSH_ISM_E10value_typeET4_T5_PSR_SS_PNS1_23onesweep_lookback_stateEbbT6_jjT7_P12ihipStream_tbENKUlT_T0_SG_SL_E_clIS7_S7_PlSB_EEDaSZ_S10_SG_SL_EUlSZ_E_NS1_11comp_targetILNS1_3genE2ELNS1_11target_archE906ELNS1_3gpuE6ELNS1_3repE0EEENS1_47radix_sort_onesweep_sort_config_static_selectorELNS0_4arch9wavefront6targetE1EEEvSG_,@function
_ZN7rocprim17ROCPRIM_400000_NS6detail17trampoline_kernelINS0_14default_configENS1_35radix_sort_onesweep_config_selectorIdlEEZZNS1_29radix_sort_onesweep_iterationIS3_Lb0EPdS7_N6thrust23THRUST_200600_302600_NS10device_ptrIlEESB_jNS0_19identity_decomposerENS1_16block_id_wrapperIjLb0EEEEE10hipError_tT1_PNSt15iterator_traitsISG_E10value_typeET2_T3_PNSH_ISM_E10value_typeET4_T5_PSR_SS_PNS1_23onesweep_lookback_stateEbbT6_jjT7_P12ihipStream_tbENKUlT_T0_SG_SL_E_clIS7_S7_PlSB_EEDaSZ_S10_SG_SL_EUlSZ_E_NS1_11comp_targetILNS1_3genE2ELNS1_11target_archE906ELNS1_3gpuE6ELNS1_3repE0EEENS1_47radix_sort_onesweep_sort_config_static_selectorELNS0_4arch9wavefront6targetE1EEEvSG_: ; @_ZN7rocprim17ROCPRIM_400000_NS6detail17trampoline_kernelINS0_14default_configENS1_35radix_sort_onesweep_config_selectorIdlEEZZNS1_29radix_sort_onesweep_iterationIS3_Lb0EPdS7_N6thrust23THRUST_200600_302600_NS10device_ptrIlEESB_jNS0_19identity_decomposerENS1_16block_id_wrapperIjLb0EEEEE10hipError_tT1_PNSt15iterator_traitsISG_E10value_typeET2_T3_PNSH_ISM_E10value_typeET4_T5_PSR_SS_PNS1_23onesweep_lookback_stateEbbT6_jjT7_P12ihipStream_tbENKUlT_T0_SG_SL_E_clIS7_S7_PlSB_EEDaSZ_S10_SG_SL_EUlSZ_E_NS1_11comp_targetILNS1_3genE2ELNS1_11target_archE906ELNS1_3gpuE6ELNS1_3repE0EEENS1_47radix_sort_onesweep_sort_config_static_selectorELNS0_4arch9wavefront6targetE1EEEvSG_
; %bb.0:
	.section	.rodata,"a",@progbits
	.p2align	6, 0x0
	.amdhsa_kernel _ZN7rocprim17ROCPRIM_400000_NS6detail17trampoline_kernelINS0_14default_configENS1_35radix_sort_onesweep_config_selectorIdlEEZZNS1_29radix_sort_onesweep_iterationIS3_Lb0EPdS7_N6thrust23THRUST_200600_302600_NS10device_ptrIlEESB_jNS0_19identity_decomposerENS1_16block_id_wrapperIjLb0EEEEE10hipError_tT1_PNSt15iterator_traitsISG_E10value_typeET2_T3_PNSH_ISM_E10value_typeET4_T5_PSR_SS_PNS1_23onesweep_lookback_stateEbbT6_jjT7_P12ihipStream_tbENKUlT_T0_SG_SL_E_clIS7_S7_PlSB_EEDaSZ_S10_SG_SL_EUlSZ_E_NS1_11comp_targetILNS1_3genE2ELNS1_11target_archE906ELNS1_3gpuE6ELNS1_3repE0EEENS1_47radix_sort_onesweep_sort_config_static_selectorELNS0_4arch9wavefront6targetE1EEEvSG_
		.amdhsa_group_segment_fixed_size 0
		.amdhsa_private_segment_fixed_size 0
		.amdhsa_kernarg_size 88
		.amdhsa_user_sgpr_count 6
		.amdhsa_user_sgpr_private_segment_buffer 1
		.amdhsa_user_sgpr_dispatch_ptr 0
		.amdhsa_user_sgpr_queue_ptr 0
		.amdhsa_user_sgpr_kernarg_segment_ptr 1
		.amdhsa_user_sgpr_dispatch_id 0
		.amdhsa_user_sgpr_flat_scratch_init 0
		.amdhsa_user_sgpr_kernarg_preload_length 0
		.amdhsa_user_sgpr_kernarg_preload_offset 0
		.amdhsa_user_sgpr_private_segment_size 0
		.amdhsa_uses_dynamic_stack 0
		.amdhsa_system_sgpr_private_segment_wavefront_offset 0
		.amdhsa_system_sgpr_workgroup_id_x 1
		.amdhsa_system_sgpr_workgroup_id_y 0
		.amdhsa_system_sgpr_workgroup_id_z 0
		.amdhsa_system_sgpr_workgroup_info 0
		.amdhsa_system_vgpr_workitem_id 0
		.amdhsa_next_free_vgpr 1
		.amdhsa_next_free_sgpr 0
		.amdhsa_accum_offset 4
		.amdhsa_reserve_vcc 0
		.amdhsa_reserve_flat_scratch 0
		.amdhsa_float_round_mode_32 0
		.amdhsa_float_round_mode_16_64 0
		.amdhsa_float_denorm_mode_32 3
		.amdhsa_float_denorm_mode_16_64 3
		.amdhsa_dx10_clamp 1
		.amdhsa_ieee_mode 1
		.amdhsa_fp16_overflow 0
		.amdhsa_tg_split 0
		.amdhsa_exception_fp_ieee_invalid_op 0
		.amdhsa_exception_fp_denorm_src 0
		.amdhsa_exception_fp_ieee_div_zero 0
		.amdhsa_exception_fp_ieee_overflow 0
		.amdhsa_exception_fp_ieee_underflow 0
		.amdhsa_exception_fp_ieee_inexact 0
		.amdhsa_exception_int_div_zero 0
	.end_amdhsa_kernel
	.section	.text._ZN7rocprim17ROCPRIM_400000_NS6detail17trampoline_kernelINS0_14default_configENS1_35radix_sort_onesweep_config_selectorIdlEEZZNS1_29radix_sort_onesweep_iterationIS3_Lb0EPdS7_N6thrust23THRUST_200600_302600_NS10device_ptrIlEESB_jNS0_19identity_decomposerENS1_16block_id_wrapperIjLb0EEEEE10hipError_tT1_PNSt15iterator_traitsISG_E10value_typeET2_T3_PNSH_ISM_E10value_typeET4_T5_PSR_SS_PNS1_23onesweep_lookback_stateEbbT6_jjT7_P12ihipStream_tbENKUlT_T0_SG_SL_E_clIS7_S7_PlSB_EEDaSZ_S10_SG_SL_EUlSZ_E_NS1_11comp_targetILNS1_3genE2ELNS1_11target_archE906ELNS1_3gpuE6ELNS1_3repE0EEENS1_47radix_sort_onesweep_sort_config_static_selectorELNS0_4arch9wavefront6targetE1EEEvSG_,"axG",@progbits,_ZN7rocprim17ROCPRIM_400000_NS6detail17trampoline_kernelINS0_14default_configENS1_35radix_sort_onesweep_config_selectorIdlEEZZNS1_29radix_sort_onesweep_iterationIS3_Lb0EPdS7_N6thrust23THRUST_200600_302600_NS10device_ptrIlEESB_jNS0_19identity_decomposerENS1_16block_id_wrapperIjLb0EEEEE10hipError_tT1_PNSt15iterator_traitsISG_E10value_typeET2_T3_PNSH_ISM_E10value_typeET4_T5_PSR_SS_PNS1_23onesweep_lookback_stateEbbT6_jjT7_P12ihipStream_tbENKUlT_T0_SG_SL_E_clIS7_S7_PlSB_EEDaSZ_S10_SG_SL_EUlSZ_E_NS1_11comp_targetILNS1_3genE2ELNS1_11target_archE906ELNS1_3gpuE6ELNS1_3repE0EEENS1_47radix_sort_onesweep_sort_config_static_selectorELNS0_4arch9wavefront6targetE1EEEvSG_,comdat
.Lfunc_end1664:
	.size	_ZN7rocprim17ROCPRIM_400000_NS6detail17trampoline_kernelINS0_14default_configENS1_35radix_sort_onesweep_config_selectorIdlEEZZNS1_29radix_sort_onesweep_iterationIS3_Lb0EPdS7_N6thrust23THRUST_200600_302600_NS10device_ptrIlEESB_jNS0_19identity_decomposerENS1_16block_id_wrapperIjLb0EEEEE10hipError_tT1_PNSt15iterator_traitsISG_E10value_typeET2_T3_PNSH_ISM_E10value_typeET4_T5_PSR_SS_PNS1_23onesweep_lookback_stateEbbT6_jjT7_P12ihipStream_tbENKUlT_T0_SG_SL_E_clIS7_S7_PlSB_EEDaSZ_S10_SG_SL_EUlSZ_E_NS1_11comp_targetILNS1_3genE2ELNS1_11target_archE906ELNS1_3gpuE6ELNS1_3repE0EEENS1_47radix_sort_onesweep_sort_config_static_selectorELNS0_4arch9wavefront6targetE1EEEvSG_, .Lfunc_end1664-_ZN7rocprim17ROCPRIM_400000_NS6detail17trampoline_kernelINS0_14default_configENS1_35radix_sort_onesweep_config_selectorIdlEEZZNS1_29radix_sort_onesweep_iterationIS3_Lb0EPdS7_N6thrust23THRUST_200600_302600_NS10device_ptrIlEESB_jNS0_19identity_decomposerENS1_16block_id_wrapperIjLb0EEEEE10hipError_tT1_PNSt15iterator_traitsISG_E10value_typeET2_T3_PNSH_ISM_E10value_typeET4_T5_PSR_SS_PNS1_23onesweep_lookback_stateEbbT6_jjT7_P12ihipStream_tbENKUlT_T0_SG_SL_E_clIS7_S7_PlSB_EEDaSZ_S10_SG_SL_EUlSZ_E_NS1_11comp_targetILNS1_3genE2ELNS1_11target_archE906ELNS1_3gpuE6ELNS1_3repE0EEENS1_47radix_sort_onesweep_sort_config_static_selectorELNS0_4arch9wavefront6targetE1EEEvSG_
                                        ; -- End function
	.section	.AMDGPU.csdata,"",@progbits
; Kernel info:
; codeLenInByte = 0
; NumSgprs: 4
; NumVgprs: 0
; NumAgprs: 0
; TotalNumVgprs: 0
; ScratchSize: 0
; MemoryBound: 0
; FloatMode: 240
; IeeeMode: 1
; LDSByteSize: 0 bytes/workgroup (compile time only)
; SGPRBlocks: 0
; VGPRBlocks: 0
; NumSGPRsForWavesPerEU: 4
; NumVGPRsForWavesPerEU: 1
; AccumOffset: 4
; Occupancy: 8
; WaveLimiterHint : 0
; COMPUTE_PGM_RSRC2:SCRATCH_EN: 0
; COMPUTE_PGM_RSRC2:USER_SGPR: 6
; COMPUTE_PGM_RSRC2:TRAP_HANDLER: 0
; COMPUTE_PGM_RSRC2:TGID_X_EN: 1
; COMPUTE_PGM_RSRC2:TGID_Y_EN: 0
; COMPUTE_PGM_RSRC2:TGID_Z_EN: 0
; COMPUTE_PGM_RSRC2:TIDIG_COMP_CNT: 0
; COMPUTE_PGM_RSRC3_GFX90A:ACCUM_OFFSET: 0
; COMPUTE_PGM_RSRC3_GFX90A:TG_SPLIT: 0
	.section	.text._ZN7rocprim17ROCPRIM_400000_NS6detail17trampoline_kernelINS0_14default_configENS1_35radix_sort_onesweep_config_selectorIdlEEZZNS1_29radix_sort_onesweep_iterationIS3_Lb0EPdS7_N6thrust23THRUST_200600_302600_NS10device_ptrIlEESB_jNS0_19identity_decomposerENS1_16block_id_wrapperIjLb0EEEEE10hipError_tT1_PNSt15iterator_traitsISG_E10value_typeET2_T3_PNSH_ISM_E10value_typeET4_T5_PSR_SS_PNS1_23onesweep_lookback_stateEbbT6_jjT7_P12ihipStream_tbENKUlT_T0_SG_SL_E_clIS7_S7_PlSB_EEDaSZ_S10_SG_SL_EUlSZ_E_NS1_11comp_targetILNS1_3genE4ELNS1_11target_archE910ELNS1_3gpuE8ELNS1_3repE0EEENS1_47radix_sort_onesweep_sort_config_static_selectorELNS0_4arch9wavefront6targetE1EEEvSG_,"axG",@progbits,_ZN7rocprim17ROCPRIM_400000_NS6detail17trampoline_kernelINS0_14default_configENS1_35radix_sort_onesweep_config_selectorIdlEEZZNS1_29radix_sort_onesweep_iterationIS3_Lb0EPdS7_N6thrust23THRUST_200600_302600_NS10device_ptrIlEESB_jNS0_19identity_decomposerENS1_16block_id_wrapperIjLb0EEEEE10hipError_tT1_PNSt15iterator_traitsISG_E10value_typeET2_T3_PNSH_ISM_E10value_typeET4_T5_PSR_SS_PNS1_23onesweep_lookback_stateEbbT6_jjT7_P12ihipStream_tbENKUlT_T0_SG_SL_E_clIS7_S7_PlSB_EEDaSZ_S10_SG_SL_EUlSZ_E_NS1_11comp_targetILNS1_3genE4ELNS1_11target_archE910ELNS1_3gpuE8ELNS1_3repE0EEENS1_47radix_sort_onesweep_sort_config_static_selectorELNS0_4arch9wavefront6targetE1EEEvSG_,comdat
	.protected	_ZN7rocprim17ROCPRIM_400000_NS6detail17trampoline_kernelINS0_14default_configENS1_35radix_sort_onesweep_config_selectorIdlEEZZNS1_29radix_sort_onesweep_iterationIS3_Lb0EPdS7_N6thrust23THRUST_200600_302600_NS10device_ptrIlEESB_jNS0_19identity_decomposerENS1_16block_id_wrapperIjLb0EEEEE10hipError_tT1_PNSt15iterator_traitsISG_E10value_typeET2_T3_PNSH_ISM_E10value_typeET4_T5_PSR_SS_PNS1_23onesweep_lookback_stateEbbT6_jjT7_P12ihipStream_tbENKUlT_T0_SG_SL_E_clIS7_S7_PlSB_EEDaSZ_S10_SG_SL_EUlSZ_E_NS1_11comp_targetILNS1_3genE4ELNS1_11target_archE910ELNS1_3gpuE8ELNS1_3repE0EEENS1_47radix_sort_onesweep_sort_config_static_selectorELNS0_4arch9wavefront6targetE1EEEvSG_ ; -- Begin function _ZN7rocprim17ROCPRIM_400000_NS6detail17trampoline_kernelINS0_14default_configENS1_35radix_sort_onesweep_config_selectorIdlEEZZNS1_29radix_sort_onesweep_iterationIS3_Lb0EPdS7_N6thrust23THRUST_200600_302600_NS10device_ptrIlEESB_jNS0_19identity_decomposerENS1_16block_id_wrapperIjLb0EEEEE10hipError_tT1_PNSt15iterator_traitsISG_E10value_typeET2_T3_PNSH_ISM_E10value_typeET4_T5_PSR_SS_PNS1_23onesweep_lookback_stateEbbT6_jjT7_P12ihipStream_tbENKUlT_T0_SG_SL_E_clIS7_S7_PlSB_EEDaSZ_S10_SG_SL_EUlSZ_E_NS1_11comp_targetILNS1_3genE4ELNS1_11target_archE910ELNS1_3gpuE8ELNS1_3repE0EEENS1_47radix_sort_onesweep_sort_config_static_selectorELNS0_4arch9wavefront6targetE1EEEvSG_
	.globl	_ZN7rocprim17ROCPRIM_400000_NS6detail17trampoline_kernelINS0_14default_configENS1_35radix_sort_onesweep_config_selectorIdlEEZZNS1_29radix_sort_onesweep_iterationIS3_Lb0EPdS7_N6thrust23THRUST_200600_302600_NS10device_ptrIlEESB_jNS0_19identity_decomposerENS1_16block_id_wrapperIjLb0EEEEE10hipError_tT1_PNSt15iterator_traitsISG_E10value_typeET2_T3_PNSH_ISM_E10value_typeET4_T5_PSR_SS_PNS1_23onesweep_lookback_stateEbbT6_jjT7_P12ihipStream_tbENKUlT_T0_SG_SL_E_clIS7_S7_PlSB_EEDaSZ_S10_SG_SL_EUlSZ_E_NS1_11comp_targetILNS1_3genE4ELNS1_11target_archE910ELNS1_3gpuE8ELNS1_3repE0EEENS1_47radix_sort_onesweep_sort_config_static_selectorELNS0_4arch9wavefront6targetE1EEEvSG_
	.p2align	8
	.type	_ZN7rocprim17ROCPRIM_400000_NS6detail17trampoline_kernelINS0_14default_configENS1_35radix_sort_onesweep_config_selectorIdlEEZZNS1_29radix_sort_onesweep_iterationIS3_Lb0EPdS7_N6thrust23THRUST_200600_302600_NS10device_ptrIlEESB_jNS0_19identity_decomposerENS1_16block_id_wrapperIjLb0EEEEE10hipError_tT1_PNSt15iterator_traitsISG_E10value_typeET2_T3_PNSH_ISM_E10value_typeET4_T5_PSR_SS_PNS1_23onesweep_lookback_stateEbbT6_jjT7_P12ihipStream_tbENKUlT_T0_SG_SL_E_clIS7_S7_PlSB_EEDaSZ_S10_SG_SL_EUlSZ_E_NS1_11comp_targetILNS1_3genE4ELNS1_11target_archE910ELNS1_3gpuE8ELNS1_3repE0EEENS1_47radix_sort_onesweep_sort_config_static_selectorELNS0_4arch9wavefront6targetE1EEEvSG_,@function
_ZN7rocprim17ROCPRIM_400000_NS6detail17trampoline_kernelINS0_14default_configENS1_35radix_sort_onesweep_config_selectorIdlEEZZNS1_29radix_sort_onesweep_iterationIS3_Lb0EPdS7_N6thrust23THRUST_200600_302600_NS10device_ptrIlEESB_jNS0_19identity_decomposerENS1_16block_id_wrapperIjLb0EEEEE10hipError_tT1_PNSt15iterator_traitsISG_E10value_typeET2_T3_PNSH_ISM_E10value_typeET4_T5_PSR_SS_PNS1_23onesweep_lookback_stateEbbT6_jjT7_P12ihipStream_tbENKUlT_T0_SG_SL_E_clIS7_S7_PlSB_EEDaSZ_S10_SG_SL_EUlSZ_E_NS1_11comp_targetILNS1_3genE4ELNS1_11target_archE910ELNS1_3gpuE8ELNS1_3repE0EEENS1_47radix_sort_onesweep_sort_config_static_selectorELNS0_4arch9wavefront6targetE1EEEvSG_: ; @_ZN7rocprim17ROCPRIM_400000_NS6detail17trampoline_kernelINS0_14default_configENS1_35radix_sort_onesweep_config_selectorIdlEEZZNS1_29radix_sort_onesweep_iterationIS3_Lb0EPdS7_N6thrust23THRUST_200600_302600_NS10device_ptrIlEESB_jNS0_19identity_decomposerENS1_16block_id_wrapperIjLb0EEEEE10hipError_tT1_PNSt15iterator_traitsISG_E10value_typeET2_T3_PNSH_ISM_E10value_typeET4_T5_PSR_SS_PNS1_23onesweep_lookback_stateEbbT6_jjT7_P12ihipStream_tbENKUlT_T0_SG_SL_E_clIS7_S7_PlSB_EEDaSZ_S10_SG_SL_EUlSZ_E_NS1_11comp_targetILNS1_3genE4ELNS1_11target_archE910ELNS1_3gpuE8ELNS1_3repE0EEENS1_47radix_sort_onesweep_sort_config_static_selectorELNS0_4arch9wavefront6targetE1EEEvSG_
; %bb.0:
	s_load_dwordx8 s[36:43], s[4:5], 0x0
	s_load_dwordx4 s[44:47], s[4:5], 0x44
	s_load_dwordx4 s[28:31], s[4:5], 0x28
	s_load_dwordx2 s[34:35], s[4:5], 0x38
	v_mbcnt_lo_u32_b32 v1, -1, 0
	s_waitcnt lgkmcnt(0)
	s_cmp_ge_u32 s6, s46
	s_cbranch_scc0 .LBB1665_59
; %bb.1:
	s_load_dword s2, s[4:5], 0x20
	s_lshl_b32 s3, s46, 13
	s_lshl_b32 s0, s6, 13
	s_mov_b32 s1, 0
	s_lshl_b64 s[46:47], s[0:1], 3
	s_waitcnt lgkmcnt(0)
	s_sub_i32 s7, s2, s3
	v_mbcnt_hi_u32_b32 v28, -1, v1
	v_and_b32_e32 v10, 0x3ff, v0
	s_add_u32 s0, s36, s46
	v_and_b32_e32 v2, 63, v28
	s_addc_u32 s1, s37, s47
	v_lshlrev_b32_e32 v11, 3, v10
	v_lshlrev_b32_e32 v30, 3, v2
	v_and_b32_e32 v3, 0x1e00, v11
	v_mov_b32_e32 v4, s1
	v_add_co_u32_e32 v5, vcc, s0, v30
	v_addc_co_u32_e32 v4, vcc, 0, v4, vcc
	v_lshlrev_b32_e32 v31, 3, v3
	s_mov_b32 s2, -1
	v_add_co_u32_e32 v20, vcc, v5, v31
	s_brev_b32 s3, -2
	v_addc_co_u32_e32 v21, vcc, 0, v4, vcc
	v_or_b32_e32 v2, v2, v3
	v_cmp_gt_u32_e32 vcc, s7, v2
	v_pk_mov_b32 v[12:13], s[2:3], s[2:3] op_sel:[0,1]
	s_and_saveexec_b64 s[0:1], vcc
	s_cbranch_execz .LBB1665_3
; %bb.2:
	global_load_dwordx2 v[12:13], v[20:21], off
.LBB1665_3:
	s_or_b64 exec, exec, s[0:1]
	v_or_b32_e32 v3, 64, v2
	v_cmp_gt_u32_e64 s[0:1], s7, v3
	v_pk_mov_b32 v[14:15], s[2:3], s[2:3] op_sel:[0,1]
	s_and_saveexec_b64 s[2:3], s[0:1]
	s_cbranch_execz .LBB1665_5
; %bb.4:
	global_load_dwordx2 v[14:15], v[20:21], off offset:512
.LBB1665_5:
	s_or_b64 exec, exec, s[2:3]
	s_mov_b32 s8, -1
	v_or_b32_e32 v3, 0x80, v2
	s_brev_b32 s9, -2
	v_cmp_gt_u32_e64 s[2:3], s7, v3
	v_pk_mov_b32 v[16:17], s[8:9], s[8:9] op_sel:[0,1]
	s_and_saveexec_b64 s[10:11], s[2:3]
	s_cbranch_execz .LBB1665_7
; %bb.6:
	global_load_dwordx2 v[16:17], v[20:21], off offset:1024
.LBB1665_7:
	s_or_b64 exec, exec, s[10:11]
	v_or_b32_e32 v3, 0xc0, v2
	v_cmp_gt_u32_e64 s[24:25], s7, v3
	v_pk_mov_b32 v[18:19], s[8:9], s[8:9] op_sel:[0,1]
	s_and_saveexec_b64 s[8:9], s[24:25]
	s_cbranch_execz .LBB1665_9
; %bb.8:
	global_load_dwordx2 v[18:19], v[20:21], off offset:1536
.LBB1665_9:
	s_or_b64 exec, exec, s[8:9]
	s_mov_b32 s12, -1
	v_or_b32_e32 v3, 0x100, v2
	s_brev_b32 s13, -2
	v_cmp_gt_u32_e64 s[8:9], s7, v3
	v_pk_mov_b32 v[8:9], s[12:13], s[12:13] op_sel:[0,1]
	s_and_saveexec_b64 s[10:11], s[8:9]
	s_cbranch_execz .LBB1665_11
; %bb.10:
	global_load_dwordx2 v[8:9], v[20:21], off offset:2048
.LBB1665_11:
	;; [unrolled: 20-line block ×3, first 2 shown]
	s_or_b64 exec, exec, s[14:15]
	v_or_b32_e32 v2, 0x1c0, v2
	v_cmp_gt_u32_e64 s[14:15], s7, v2
	v_pk_mov_b32 v[2:3], s[16:17], s[16:17] op_sel:[0,1]
	s_and_saveexec_b64 s[16:17], s[14:15]
	s_cbranch_execz .LBB1665_17
; %bb.16:
	global_load_dwordx2 v[2:3], v[20:21], off offset:3584
.LBB1665_17:
	s_or_b64 exec, exec, s[16:17]
	s_load_dword s16, s[4:5], 0x64
	s_load_dword s33, s[4:5], 0x58
	s_add_u32 s17, s4, 0x58
	s_addc_u32 s18, s5, 0
	v_mov_b32_e32 v20, 0
	s_waitcnt lgkmcnt(0)
	s_lshr_b32 s19, s16, 16
	s_cmp_lt_u32 s6, s33
	s_cselect_b32 s16, 12, 18
	s_add_u32 s16, s17, s16
	s_addc_u32 s17, s18, 0
	global_load_ushort v25, v20, s[16:17]
	v_bfrev_b32_e32 v24, 1
	s_waitcnt vmcnt(1)
	v_cmp_lt_i64_e64 s[16:17], -1, v[12:13]
	s_mov_b32 s20, -1
	v_ashrrev_i32_e32 v21, 31, v13
	v_cndmask_b32_e64 v23, -1, v24, s[16:17]
	s_brev_b32 s21, -2
	v_xor_b32_e32 v12, v21, v12
	v_xor_b32_e32 v13, v23, v13
	v_mul_u32_u24_e32 v22, 5, v10
	v_cmp_ne_u64_e64 s[16:17], s[20:21], v[12:13]
	v_lshlrev_b32_e32 v33, 2, v22
	v_cndmask_b32_e64 v23, v24, v13, s[16:17]
	v_cndmask_b32_e64 v22, 0, v12, s[16:17]
	s_lshl_b32 s16, -1, s45
	v_bfe_u32 v26, v0, 10, 10
	v_bfe_u32 v27, v0, 20, 10
	v_lshrrev_b64 v[22:23], s44, v[22:23]
	s_not_b32 s50, s16
	v_mad_u32_u24 v23, v27, s19, v26
	v_and_b32_e32 v26, s50, v22
	v_and_b32_e32 v22, 1, v26
	v_add_co_u32_e64 v29, s[16:17], -1, v22
	v_lshlrev_b32_e32 v21, 30, v26
	v_addc_co_u32_e64 v32, s[16:17], 0, -1, s[16:17]
	v_cmp_ne_u32_e64 s[16:17], 0, v22
	v_cmp_gt_i64_e64 s[18:19], 0, v[20:21]
	v_not_b32_e32 v22, v21
	v_lshlrev_b32_e32 v21, 29, v26
	v_xor_b32_e32 v32, s17, v32
	v_xor_b32_e32 v29, s16, v29
	v_ashrrev_i32_e32 v22, 31, v22
	v_cmp_gt_i64_e64 s[16:17], 0, v[20:21]
	v_not_b32_e32 v34, v21
	v_lshlrev_b32_e32 v21, 28, v26
	v_and_b32_e32 v32, exec_hi, v32
	v_and_b32_e32 v29, exec_lo, v29
	v_xor_b32_e32 v35, s19, v22
	v_xor_b32_e32 v22, s18, v22
	v_ashrrev_i32_e32 v34, 31, v34
	v_cmp_gt_i64_e64 s[18:19], 0, v[20:21]
	v_not_b32_e32 v36, v21
	v_lshlrev_b32_e32 v21, 27, v26
	v_and_b32_e32 v32, v32, v35
	v_and_b32_e32 v22, v29, v22
	v_xor_b32_e32 v29, s17, v34
	v_xor_b32_e32 v34, s16, v34
	v_ashrrev_i32_e32 v35, 31, v36
	v_cmp_gt_i64_e64 s[16:17], 0, v[20:21]
	v_not_b32_e32 v36, v21
	v_lshlrev_b32_e32 v21, 26, v26
	v_and_b32_e32 v29, v32, v29
	v_and_b32_e32 v22, v22, v34
	v_xor_b32_e32 v32, s19, v35
	v_xor_b32_e32 v34, s18, v35
	v_ashrrev_i32_e32 v35, 31, v36
	v_not_b32_e32 v36, v21
	v_cmp_gt_i64_e64 s[18:19], 0, v[20:21]
	v_and_b32_e32 v29, v29, v32
	v_and_b32_e32 v22, v22, v34
	v_xor_b32_e32 v32, s17, v35
	v_xor_b32_e32 v34, s16, v35
	v_ashrrev_i32_e32 v35, 31, v36
	v_and_b32_e32 v29, v29, v32
	v_and_b32_e32 v22, v22, v34
	v_xor_b32_e32 v32, s19, v35
	v_xor_b32_e32 v34, s18, v35
	v_lshlrev_b32_e32 v21, 25, v26
	v_and_b32_e32 v29, v29, v32
	v_and_b32_e32 v32, v22, v34
	v_lshl_add_u32 v27, v26, 4, v26
	ds_write2_b32 v33, v20, v20 offset0:16 offset1:17
	ds_write2_b32 v33, v20, v20 offset0:18 offset1:19
	ds_write_b32 v33, v20 offset:80
	s_waitcnt lgkmcnt(0)
	s_barrier
	s_waitcnt lgkmcnt(0)
	; wave barrier
	s_waitcnt vmcnt(0)
	v_mad_u64_u32 v[22:23], s[16:17], v23, v25, v[10:11]
	v_cmp_gt_i64_e64 s[16:17], 0, v[20:21]
	v_not_b32_e32 v21, v21
	v_ashrrev_i32_e32 v21, 31, v21
	v_lshrrev_b32_e32 v41, 6, v22
	v_xor_b32_e32 v22, s17, v21
	v_xor_b32_e32 v21, s16, v21
	v_and_b32_e32 v25, v32, v21
	v_lshlrev_b32_e32 v21, 24, v26
	v_cmp_gt_i64_e64 s[16:17], 0, v[20:21]
	v_not_b32_e32 v21, v21
	v_ashrrev_i32_e32 v21, 31, v21
	v_and_b32_e32 v22, v29, v22
	v_xor_b32_e32 v23, s17, v21
	v_xor_b32_e32 v21, s16, v21
	v_and_b32_e32 v23, v22, v23
	v_and_b32_e32 v22, v25, v21
	v_mbcnt_lo_u32_b32 v21, v22, 0
	v_mbcnt_hi_u32_b32 v29, v23, v21
	v_cmp_eq_u32_e64 s[16:17], 0, v29
	v_cmp_ne_u64_e64 s[18:19], 0, v[22:23]
	v_add_lshl_u32 v35, v41, v27, 2
	s_and_b64 s[18:19], s[18:19], s[16:17]
	s_and_saveexec_b64 s[16:17], s[18:19]
	s_cbranch_execz .LBB1665_19
; %bb.18:
	v_bcnt_u32_b32 v21, v22, 0
	v_bcnt_u32_b32 v21, v23, v21
	ds_write_b32 v35, v21 offset:64
.LBB1665_19:
	s_or_b64 exec, exec, s[16:17]
	v_cmp_lt_i64_e64 s[16:17], -1, v[14:15]
	v_cndmask_b32_e64 v21, -1, v24, s[16:17]
	v_ashrrev_i32_e32 v22, 31, v15
	v_xor_b32_e32 v15, v21, v15
	v_xor_b32_e32 v14, v22, v14
	v_cmp_ne_u64_e64 s[16:17], s[20:21], v[14:15]
	v_cndmask_b32_e64 v23, v24, v15, s[16:17]
	v_cndmask_b32_e64 v22, 0, v14, s[16:17]
	v_lshrrev_b64 v[22:23], s44, v[22:23]
	v_and_b32_e32 v22, s50, v22
	v_lshl_add_u32 v21, v22, 4, v22
	v_add_lshl_u32 v37, v41, v21, 2
	v_and_b32_e32 v21, 1, v22
	v_add_co_u32_e64 v23, s[16:17], -1, v21
	v_addc_co_u32_e64 v24, s[16:17], 0, -1, s[16:17]
	v_cmp_ne_u32_e64 s[16:17], 0, v21
	v_xor_b32_e32 v21, s17, v24
	v_and_b32_e32 v24, exec_hi, v21
	v_lshlrev_b32_e32 v21, 30, v22
	v_xor_b32_e32 v23, s16, v23
	v_cmp_gt_i64_e64 s[16:17], 0, v[20:21]
	v_not_b32_e32 v21, v21
	v_ashrrev_i32_e32 v21, 31, v21
	v_and_b32_e32 v23, exec_lo, v23
	v_xor_b32_e32 v25, s17, v21
	v_xor_b32_e32 v21, s16, v21
	v_and_b32_e32 v23, v23, v21
	v_lshlrev_b32_e32 v21, 29, v22
	v_cmp_gt_i64_e64 s[16:17], 0, v[20:21]
	v_not_b32_e32 v21, v21
	v_ashrrev_i32_e32 v21, 31, v21
	v_and_b32_e32 v24, v24, v25
	v_xor_b32_e32 v25, s17, v21
	v_xor_b32_e32 v21, s16, v21
	v_and_b32_e32 v23, v23, v21
	v_lshlrev_b32_e32 v21, 28, v22
	v_cmp_gt_i64_e64 s[16:17], 0, v[20:21]
	v_not_b32_e32 v21, v21
	v_ashrrev_i32_e32 v21, 31, v21
	v_and_b32_e32 v24, v24, v25
	v_xor_b32_e32 v25, s17, v21
	v_xor_b32_e32 v21, s16, v21
	v_and_b32_e32 v23, v23, v21
	v_lshlrev_b32_e32 v21, 27, v22
	v_cmp_gt_i64_e64 s[16:17], 0, v[20:21]
	v_not_b32_e32 v21, v21
	v_ashrrev_i32_e32 v21, 31, v21
	v_and_b32_e32 v24, v24, v25
	v_xor_b32_e32 v25, s17, v21
	v_xor_b32_e32 v21, s16, v21
	v_and_b32_e32 v23, v23, v21
	v_lshlrev_b32_e32 v21, 26, v22
	v_cmp_gt_i64_e64 s[16:17], 0, v[20:21]
	v_not_b32_e32 v21, v21
	v_ashrrev_i32_e32 v21, 31, v21
	v_and_b32_e32 v24, v24, v25
	v_xor_b32_e32 v25, s17, v21
	v_xor_b32_e32 v21, s16, v21
	v_and_b32_e32 v23, v23, v21
	v_lshlrev_b32_e32 v21, 25, v22
	v_cmp_gt_i64_e64 s[16:17], 0, v[20:21]
	v_not_b32_e32 v21, v21
	v_ashrrev_i32_e32 v21, 31, v21
	v_and_b32_e32 v24, v24, v25
	v_xor_b32_e32 v25, s17, v21
	v_xor_b32_e32 v21, s16, v21
	v_and_b32_e32 v23, v23, v21
	v_lshlrev_b32_e32 v21, 24, v22
	v_cmp_gt_i64_e64 s[16:17], 0, v[20:21]
	v_not_b32_e32 v20, v21
	v_ashrrev_i32_e32 v20, 31, v20
	v_xor_b32_e32 v21, s17, v20
	v_xor_b32_e32 v20, s16, v20
	; wave barrier
	ds_read_b32 v32, v37 offset:64
	v_and_b32_e32 v24, v24, v25
	v_and_b32_e32 v20, v23, v20
	;; [unrolled: 1-line block ×3, first 2 shown]
	v_mbcnt_lo_u32_b32 v22, v20, 0
	v_mbcnt_hi_u32_b32 v34, v21, v22
	v_cmp_eq_u32_e64 s[16:17], 0, v34
	v_cmp_ne_u64_e64 s[18:19], 0, v[20:21]
	s_and_b64 s[18:19], s[18:19], s[16:17]
	; wave barrier
	s_and_saveexec_b64 s[16:17], s[18:19]
	s_cbranch_execz .LBB1665_21
; %bb.20:
	v_bcnt_u32_b32 v20, v20, 0
	v_bcnt_u32_b32 v20, v21, v20
	s_waitcnt lgkmcnt(0)
	v_add_u32_e32 v20, v32, v20
	ds_write_b32 v37, v20 offset:64
.LBB1665_21:
	s_or_b64 exec, exec, s[16:17]
	v_bfrev_b32_e32 v24, 1
	v_cmp_lt_i64_e64 s[16:17], -1, v[16:17]
	v_cndmask_b32_e64 v20, -1, v24, s[16:17]
	v_ashrrev_i32_e32 v21, 31, v17
	v_xor_b32_e32 v17, v20, v17
	v_xor_b32_e32 v16, v21, v16
	v_cmp_ne_u64_e64 s[16:17], s[20:21], v[16:17]
	v_cndmask_b32_e64 v23, v24, v17, s[16:17]
	v_cndmask_b32_e64 v22, 0, v16, s[16:17]
	v_lshrrev_b64 v[22:23], s44, v[22:23]
	v_and_b32_e32 v22, s50, v22
	v_lshl_add_u32 v21, v22, 4, v22
	v_add_lshl_u32 v40, v41, v21, 2
	v_and_b32_e32 v21, 1, v22
	v_add_co_u32_e64 v23, s[16:17], -1, v21
	v_addc_co_u32_e64 v25, s[16:17], 0, -1, s[16:17]
	v_cmp_ne_u32_e64 s[16:17], 0, v21
	v_xor_b32_e32 v21, s17, v25
	v_mov_b32_e32 v20, 0
	v_and_b32_e32 v25, exec_hi, v21
	v_lshlrev_b32_e32 v21, 30, v22
	v_xor_b32_e32 v23, s16, v23
	v_cmp_gt_i64_e64 s[16:17], 0, v[20:21]
	v_not_b32_e32 v21, v21
	v_ashrrev_i32_e32 v21, 31, v21
	v_and_b32_e32 v23, exec_lo, v23
	v_xor_b32_e32 v26, s17, v21
	v_xor_b32_e32 v21, s16, v21
	v_and_b32_e32 v23, v23, v21
	v_lshlrev_b32_e32 v21, 29, v22
	v_cmp_gt_i64_e64 s[16:17], 0, v[20:21]
	v_not_b32_e32 v21, v21
	v_ashrrev_i32_e32 v21, 31, v21
	v_and_b32_e32 v25, v25, v26
	v_xor_b32_e32 v26, s17, v21
	v_xor_b32_e32 v21, s16, v21
	v_and_b32_e32 v23, v23, v21
	v_lshlrev_b32_e32 v21, 28, v22
	v_cmp_gt_i64_e64 s[16:17], 0, v[20:21]
	v_not_b32_e32 v21, v21
	v_ashrrev_i32_e32 v21, 31, v21
	v_and_b32_e32 v25, v25, v26
	;; [unrolled: 8-line block ×5, first 2 shown]
	v_xor_b32_e32 v26, s17, v21
	v_xor_b32_e32 v21, s16, v21
	v_and_b32_e32 v25, v25, v26
	v_and_b32_e32 v26, v23, v21
	v_lshlrev_b32_e32 v21, 24, v22
	v_cmp_gt_i64_e64 s[16:17], 0, v[20:21]
	v_not_b32_e32 v21, v21
	v_ashrrev_i32_e32 v21, 31, v21
	v_xor_b32_e32 v22, s17, v21
	v_xor_b32_e32 v21, s16, v21
	; wave barrier
	ds_read_b32 v36, v40 offset:64
	v_and_b32_e32 v23, v25, v22
	v_and_b32_e32 v22, v26, v21
	v_mbcnt_lo_u32_b32 v21, v22, 0
	v_mbcnt_hi_u32_b32 v38, v23, v21
	v_cmp_eq_u32_e64 s[16:17], 0, v38
	v_cmp_ne_u64_e64 s[18:19], 0, v[22:23]
	s_and_b64 s[18:19], s[18:19], s[16:17]
	; wave barrier
	s_and_saveexec_b64 s[16:17], s[18:19]
	s_cbranch_execz .LBB1665_23
; %bb.22:
	v_bcnt_u32_b32 v21, v22, 0
	v_bcnt_u32_b32 v21, v23, v21
	s_waitcnt lgkmcnt(0)
	v_add_u32_e32 v21, v36, v21
	ds_write_b32 v40, v21 offset:64
.LBB1665_23:
	s_or_b64 exec, exec, s[16:17]
	v_cmp_lt_i64_e64 s[16:17], -1, v[18:19]
	v_cndmask_b32_e64 v21, -1, v24, s[16:17]
	v_ashrrev_i32_e32 v22, 31, v19
	v_xor_b32_e32 v19, v21, v19
	v_xor_b32_e32 v18, v22, v18
	v_cmp_ne_u64_e64 s[16:17], s[20:21], v[18:19]
	v_cndmask_b32_e64 v23, v24, v19, s[16:17]
	v_cndmask_b32_e64 v22, 0, v18, s[16:17]
	v_lshrrev_b64 v[22:23], s44, v[22:23]
	v_and_b32_e32 v22, s50, v22
	v_lshl_add_u32 v21, v22, 4, v22
	v_add_lshl_u32 v44, v41, v21, 2
	v_and_b32_e32 v21, 1, v22
	v_add_co_u32_e64 v23, s[16:17], -1, v21
	v_addc_co_u32_e64 v24, s[16:17], 0, -1, s[16:17]
	v_cmp_ne_u32_e64 s[16:17], 0, v21
	v_xor_b32_e32 v21, s17, v24
	v_and_b32_e32 v24, exec_hi, v21
	v_lshlrev_b32_e32 v21, 30, v22
	v_xor_b32_e32 v23, s16, v23
	v_cmp_gt_i64_e64 s[16:17], 0, v[20:21]
	v_not_b32_e32 v21, v21
	v_ashrrev_i32_e32 v21, 31, v21
	v_and_b32_e32 v23, exec_lo, v23
	v_xor_b32_e32 v25, s17, v21
	v_xor_b32_e32 v21, s16, v21
	v_and_b32_e32 v23, v23, v21
	v_lshlrev_b32_e32 v21, 29, v22
	v_cmp_gt_i64_e64 s[16:17], 0, v[20:21]
	v_not_b32_e32 v21, v21
	v_ashrrev_i32_e32 v21, 31, v21
	v_and_b32_e32 v24, v24, v25
	v_xor_b32_e32 v25, s17, v21
	v_xor_b32_e32 v21, s16, v21
	v_and_b32_e32 v23, v23, v21
	v_lshlrev_b32_e32 v21, 28, v22
	v_cmp_gt_i64_e64 s[16:17], 0, v[20:21]
	v_not_b32_e32 v21, v21
	v_ashrrev_i32_e32 v21, 31, v21
	v_and_b32_e32 v24, v24, v25
	;; [unrolled: 8-line block ×5, first 2 shown]
	v_xor_b32_e32 v25, s17, v21
	v_xor_b32_e32 v21, s16, v21
	v_and_b32_e32 v23, v23, v21
	v_lshlrev_b32_e32 v21, 24, v22
	v_cmp_gt_i64_e64 s[16:17], 0, v[20:21]
	v_not_b32_e32 v20, v21
	v_ashrrev_i32_e32 v20, 31, v20
	v_xor_b32_e32 v21, s17, v20
	v_xor_b32_e32 v20, s16, v20
	; wave barrier
	ds_read_b32 v39, v44 offset:64
	v_and_b32_e32 v24, v24, v25
	v_and_b32_e32 v20, v23, v20
	;; [unrolled: 1-line block ×3, first 2 shown]
	v_mbcnt_lo_u32_b32 v22, v20, 0
	v_mbcnt_hi_u32_b32 v42, v21, v22
	v_cmp_eq_u32_e64 s[16:17], 0, v42
	v_cmp_ne_u64_e64 s[18:19], 0, v[20:21]
	s_and_b64 s[18:19], s[18:19], s[16:17]
	; wave barrier
	s_and_saveexec_b64 s[16:17], s[18:19]
	s_cbranch_execz .LBB1665_25
; %bb.24:
	v_bcnt_u32_b32 v20, v20, 0
	v_bcnt_u32_b32 v20, v21, v20
	s_waitcnt lgkmcnt(0)
	v_add_u32_e32 v20, v39, v20
	ds_write_b32 v44, v20 offset:64
.LBB1665_25:
	s_or_b64 exec, exec, s[16:17]
	v_bfrev_b32_e32 v24, 1
	v_cmp_lt_i64_e64 s[16:17], -1, v[8:9]
	v_cndmask_b32_e64 v20, -1, v24, s[16:17]
	v_ashrrev_i32_e32 v22, 31, v9
	v_xor_b32_e32 v21, v20, v9
	v_xor_b32_e32 v20, v22, v8
	v_cmp_ne_u64_e64 s[16:17], s[20:21], v[20:21]
	v_cndmask_b32_e64 v23, v24, v21, s[16:17]
	v_cndmask_b32_e64 v22, 0, v20, s[16:17]
	v_lshrrev_b64 v[22:23], s44, v[22:23]
	v_and_b32_e32 v22, s50, v22
	v_lshl_add_u32 v9, v22, 4, v22
	v_add_lshl_u32 v47, v41, v9, 2
	v_and_b32_e32 v9, 1, v22
	v_add_co_u32_e64 v23, s[16:17], -1, v9
	v_addc_co_u32_e64 v25, s[16:17], 0, -1, s[16:17]
	v_cmp_ne_u32_e64 s[16:17], 0, v9
	v_xor_b32_e32 v9, s17, v25
	v_mov_b32_e32 v8, 0
	v_and_b32_e32 v25, exec_hi, v9
	v_lshlrev_b32_e32 v9, 30, v22
	v_xor_b32_e32 v23, s16, v23
	v_cmp_gt_i64_e64 s[16:17], 0, v[8:9]
	v_not_b32_e32 v9, v9
	v_ashrrev_i32_e32 v9, 31, v9
	v_and_b32_e32 v23, exec_lo, v23
	v_xor_b32_e32 v26, s17, v9
	v_xor_b32_e32 v9, s16, v9
	v_and_b32_e32 v23, v23, v9
	v_lshlrev_b32_e32 v9, 29, v22
	v_cmp_gt_i64_e64 s[16:17], 0, v[8:9]
	v_not_b32_e32 v9, v9
	v_ashrrev_i32_e32 v9, 31, v9
	v_and_b32_e32 v25, v25, v26
	v_xor_b32_e32 v26, s17, v9
	v_xor_b32_e32 v9, s16, v9
	v_and_b32_e32 v23, v23, v9
	v_lshlrev_b32_e32 v9, 28, v22
	v_cmp_gt_i64_e64 s[16:17], 0, v[8:9]
	v_not_b32_e32 v9, v9
	v_ashrrev_i32_e32 v9, 31, v9
	v_and_b32_e32 v25, v25, v26
	;; [unrolled: 8-line block ×5, first 2 shown]
	v_xor_b32_e32 v26, s17, v9
	v_xor_b32_e32 v9, s16, v9
	v_and_b32_e32 v25, v25, v26
	v_and_b32_e32 v26, v23, v9
	v_lshlrev_b32_e32 v9, 24, v22
	v_cmp_gt_i64_e64 s[16:17], 0, v[8:9]
	v_not_b32_e32 v9, v9
	v_ashrrev_i32_e32 v9, 31, v9
	v_xor_b32_e32 v22, s17, v9
	v_xor_b32_e32 v9, s16, v9
	; wave barrier
	ds_read_b32 v43, v47 offset:64
	v_and_b32_e32 v23, v25, v22
	v_and_b32_e32 v22, v26, v9
	v_mbcnt_lo_u32_b32 v9, v22, 0
	v_mbcnt_hi_u32_b32 v45, v23, v9
	v_cmp_eq_u32_e64 s[16:17], 0, v45
	v_cmp_ne_u64_e64 s[18:19], 0, v[22:23]
	s_and_b64 s[18:19], s[18:19], s[16:17]
	; wave barrier
	s_and_saveexec_b64 s[16:17], s[18:19]
	s_cbranch_execz .LBB1665_27
; %bb.26:
	v_bcnt_u32_b32 v9, v22, 0
	v_bcnt_u32_b32 v9, v23, v9
	s_waitcnt lgkmcnt(0)
	v_add_u32_e32 v9, v43, v9
	ds_write_b32 v47, v9 offset:64
.LBB1665_27:
	s_or_b64 exec, exec, s[16:17]
	v_cmp_lt_i64_e64 s[16:17], -1, v[6:7]
	v_cndmask_b32_e64 v9, -1, v24, s[16:17]
	v_ashrrev_i32_e32 v22, 31, v7
	v_xor_b32_e32 v23, v9, v7
	v_xor_b32_e32 v22, v22, v6
	v_cmp_ne_u64_e64 s[16:17], s[20:21], v[22:23]
	v_cndmask_b32_e64 v7, v24, v23, s[16:17]
	v_cndmask_b32_e64 v6, 0, v22, s[16:17]
	v_lshrrev_b64 v[6:7], s44, v[6:7]
	v_and_b32_e32 v6, s50, v6
	v_lshl_add_u32 v7, v6, 4, v6
	v_add_lshl_u32 v48, v41, v7, 2
	v_and_b32_e32 v7, 1, v6
	v_add_co_u32_e64 v9, s[16:17], -1, v7
	v_addc_co_u32_e64 v24, s[16:17], 0, -1, s[16:17]
	v_cmp_ne_u32_e64 s[16:17], 0, v7
	v_xor_b32_e32 v9, s16, v9
	v_xor_b32_e32 v7, s17, v24
	v_and_b32_e32 v24, exec_lo, v9
	v_lshlrev_b32_e32 v9, 30, v6
	v_cmp_gt_i64_e64 s[16:17], 0, v[8:9]
	v_not_b32_e32 v9, v9
	v_ashrrev_i32_e32 v9, 31, v9
	v_xor_b32_e32 v25, s17, v9
	v_xor_b32_e32 v9, s16, v9
	v_and_b32_e32 v24, v24, v9
	v_lshlrev_b32_e32 v9, 29, v6
	v_cmp_gt_i64_e64 s[16:17], 0, v[8:9]
	v_not_b32_e32 v9, v9
	v_and_b32_e32 v7, exec_hi, v7
	v_ashrrev_i32_e32 v9, 31, v9
	v_and_b32_e32 v7, v7, v25
	v_xor_b32_e32 v25, s17, v9
	v_xor_b32_e32 v9, s16, v9
	v_and_b32_e32 v24, v24, v9
	v_lshlrev_b32_e32 v9, 28, v6
	v_cmp_gt_i64_e64 s[16:17], 0, v[8:9]
	v_not_b32_e32 v9, v9
	v_ashrrev_i32_e32 v9, 31, v9
	v_and_b32_e32 v7, v7, v25
	v_xor_b32_e32 v25, s17, v9
	v_xor_b32_e32 v9, s16, v9
	v_and_b32_e32 v24, v24, v9
	v_lshlrev_b32_e32 v9, 27, v6
	v_cmp_gt_i64_e64 s[16:17], 0, v[8:9]
	v_not_b32_e32 v9, v9
	;; [unrolled: 8-line block ×4, first 2 shown]
	v_ashrrev_i32_e32 v9, 31, v9
	v_and_b32_e32 v7, v7, v25
	v_xor_b32_e32 v25, s17, v9
	v_xor_b32_e32 v9, s16, v9
	v_and_b32_e32 v24, v24, v9
	v_lshlrev_b32_e32 v9, 24, v6
	v_not_b32_e32 v6, v9
	v_cmp_gt_i64_e64 s[16:17], 0, v[8:9]
	v_ashrrev_i32_e32 v6, 31, v6
	v_xor_b32_e32 v8, s17, v6
	v_xor_b32_e32 v6, s16, v6
	; wave barrier
	ds_read_b32 v46, v48 offset:64
	v_and_b32_e32 v7, v7, v25
	v_and_b32_e32 v6, v24, v6
	;; [unrolled: 1-line block ×3, first 2 shown]
	v_mbcnt_lo_u32_b32 v8, v6, 0
	v_mbcnt_hi_u32_b32 v8, v7, v8
	v_cmp_eq_u32_e64 s[16:17], 0, v8
	v_cmp_ne_u64_e64 s[18:19], 0, v[6:7]
	s_and_b64 s[18:19], s[18:19], s[16:17]
	; wave barrier
	s_and_saveexec_b64 s[16:17], s[18:19]
	s_cbranch_execz .LBB1665_29
; %bb.28:
	v_bcnt_u32_b32 v6, v6, 0
	v_bcnt_u32_b32 v6, v7, v6
	s_waitcnt lgkmcnt(0)
	v_add_u32_e32 v6, v46, v6
	ds_write_b32 v48, v6 offset:64
.LBB1665_29:
	s_or_b64 exec, exec, s[16:17]
	v_bfrev_b32_e32 v51, 1
	v_cmp_lt_i64_e64 s[16:17], -1, v[4:5]
	v_cndmask_b32_e64 v6, -1, v51, s[16:17]
	v_ashrrev_i32_e32 v7, 31, v5
	v_xor_b32_e32 v25, v6, v5
	v_xor_b32_e32 v24, v7, v4
	v_cmp_ne_u64_e64 s[16:17], s[20:21], v[24:25]
	v_cndmask_b32_e64 v7, v51, v25, s[16:17]
	v_cndmask_b32_e64 v6, 0, v24, s[16:17]
	v_lshrrev_b64 v[6:7], s44, v[6:7]
	v_and_b32_e32 v6, s50, v6
	v_lshl_add_u32 v5, v6, 4, v6
	v_add_lshl_u32 v50, v41, v5, 2
	v_and_b32_e32 v5, 1, v6
	v_add_co_u32_e64 v7, s[16:17], -1, v5
	v_addc_co_u32_e64 v26, s[16:17], 0, -1, s[16:17]
	v_cmp_ne_u32_e64 s[16:17], 0, v5
	v_xor_b32_e32 v5, s17, v26
	v_mov_b32_e32 v4, 0
	v_and_b32_e32 v26, exec_hi, v5
	v_lshlrev_b32_e32 v5, 30, v6
	v_xor_b32_e32 v7, s16, v7
	v_cmp_gt_i64_e64 s[16:17], 0, v[4:5]
	v_not_b32_e32 v5, v5
	v_ashrrev_i32_e32 v5, 31, v5
	v_and_b32_e32 v7, exec_lo, v7
	v_xor_b32_e32 v27, s17, v5
	v_xor_b32_e32 v5, s16, v5
	v_and_b32_e32 v7, v7, v5
	v_lshlrev_b32_e32 v5, 29, v6
	v_cmp_gt_i64_e64 s[16:17], 0, v[4:5]
	v_not_b32_e32 v5, v5
	v_ashrrev_i32_e32 v5, 31, v5
	v_and_b32_e32 v26, v26, v27
	v_xor_b32_e32 v27, s17, v5
	v_xor_b32_e32 v5, s16, v5
	v_and_b32_e32 v7, v7, v5
	v_lshlrev_b32_e32 v5, 28, v6
	v_cmp_gt_i64_e64 s[16:17], 0, v[4:5]
	v_not_b32_e32 v5, v5
	v_ashrrev_i32_e32 v5, 31, v5
	v_and_b32_e32 v26, v26, v27
	;; [unrolled: 8-line block ×5, first 2 shown]
	v_xor_b32_e32 v27, s17, v5
	v_xor_b32_e32 v5, s16, v5
	v_and_b32_e32 v26, v26, v27
	v_and_b32_e32 v27, v7, v5
	v_lshlrev_b32_e32 v5, 24, v6
	v_cmp_gt_i64_e64 s[16:17], 0, v[4:5]
	v_not_b32_e32 v5, v5
	v_ashrrev_i32_e32 v5, 31, v5
	v_xor_b32_e32 v6, s17, v5
	v_xor_b32_e32 v5, s16, v5
	; wave barrier
	ds_read_b32 v9, v50 offset:64
	v_and_b32_e32 v7, v26, v6
	v_and_b32_e32 v6, v27, v5
	v_mbcnt_lo_u32_b32 v5, v6, 0
	v_mbcnt_hi_u32_b32 v49, v7, v5
	v_cmp_eq_u32_e64 s[16:17], 0, v49
	v_cmp_ne_u64_e64 s[18:19], 0, v[6:7]
	s_and_b64 s[18:19], s[18:19], s[16:17]
	; wave barrier
	s_and_saveexec_b64 s[16:17], s[18:19]
	s_cbranch_execz .LBB1665_31
; %bb.30:
	v_bcnt_u32_b32 v5, v6, 0
	v_bcnt_u32_b32 v5, v7, v5
	s_waitcnt lgkmcnt(0)
	v_add_u32_e32 v5, v9, v5
	ds_write_b32 v50, v5 offset:64
.LBB1665_31:
	s_or_b64 exec, exec, s[16:17]
	v_cmp_lt_i64_e64 s[16:17], -1, v[2:3]
	v_cndmask_b32_e64 v5, -1, v51, s[16:17]
	v_ashrrev_i32_e32 v7, 31, v3
	v_xor_b32_e32 v27, v5, v3
	v_xor_b32_e32 v26, v7, v2
	v_cmp_ne_u64_e64 s[16:17], s[20:21], v[26:27]
	v_cndmask_b32_e64 v3, v51, v27, s[16:17]
	v_cndmask_b32_e64 v2, 0, v26, s[16:17]
	v_lshrrev_b64 v[2:3], s44, v[2:3]
	v_and_b32_e32 v2, s50, v2
	v_lshl_add_u32 v3, v2, 4, v2
	v_add_lshl_u32 v7, v3, v41, 2
	v_and_b32_e32 v3, 1, v2
	v_add_co_u32_e64 v5, s[16:17], -1, v3
	v_addc_co_u32_e64 v51, s[16:17], 0, -1, s[16:17]
	v_cmp_ne_u32_e64 s[16:17], 0, v3
	v_xor_b32_e32 v5, s16, v5
	v_xor_b32_e32 v3, s17, v51
	v_and_b32_e32 v51, exec_lo, v5
	v_lshlrev_b32_e32 v5, 30, v2
	v_cmp_gt_i64_e64 s[16:17], 0, v[4:5]
	v_not_b32_e32 v5, v5
	v_ashrrev_i32_e32 v5, 31, v5
	v_xor_b32_e32 v52, s17, v5
	v_xor_b32_e32 v5, s16, v5
	v_and_b32_e32 v51, v51, v5
	v_lshlrev_b32_e32 v5, 29, v2
	v_cmp_gt_i64_e64 s[16:17], 0, v[4:5]
	v_not_b32_e32 v5, v5
	v_and_b32_e32 v3, exec_hi, v3
	v_ashrrev_i32_e32 v5, 31, v5
	v_and_b32_e32 v3, v3, v52
	v_xor_b32_e32 v52, s17, v5
	v_xor_b32_e32 v5, s16, v5
	v_and_b32_e32 v51, v51, v5
	v_lshlrev_b32_e32 v5, 28, v2
	v_cmp_gt_i64_e64 s[16:17], 0, v[4:5]
	v_not_b32_e32 v5, v5
	v_ashrrev_i32_e32 v5, 31, v5
	v_and_b32_e32 v3, v3, v52
	v_xor_b32_e32 v52, s17, v5
	v_xor_b32_e32 v5, s16, v5
	v_and_b32_e32 v51, v51, v5
	v_lshlrev_b32_e32 v5, 27, v2
	v_cmp_gt_i64_e64 s[16:17], 0, v[4:5]
	v_not_b32_e32 v5, v5
	;; [unrolled: 8-line block ×4, first 2 shown]
	v_ashrrev_i32_e32 v5, 31, v5
	v_and_b32_e32 v3, v3, v52
	v_xor_b32_e32 v52, s17, v5
	v_xor_b32_e32 v5, s16, v5
	v_and_b32_e32 v51, v51, v5
	v_lshlrev_b32_e32 v5, 24, v2
	v_not_b32_e32 v2, v5
	v_cmp_gt_i64_e64 s[16:17], 0, v[4:5]
	v_ashrrev_i32_e32 v2, 31, v2
	v_xor_b32_e32 v4, s17, v2
	v_xor_b32_e32 v2, s16, v2
	; wave barrier
	ds_read_b32 v41, v7 offset:64
	v_and_b32_e32 v3, v3, v52
	v_and_b32_e32 v2, v51, v2
	;; [unrolled: 1-line block ×3, first 2 shown]
	v_mbcnt_lo_u32_b32 v4, v2, 0
	v_mbcnt_hi_u32_b32 v51, v3, v4
	v_cmp_eq_u32_e64 s[16:17], 0, v51
	v_cmp_ne_u64_e64 s[18:19], 0, v[2:3]
	v_add_u32_e32 v6, 64, v33
	s_and_b64 s[18:19], s[18:19], s[16:17]
	; wave barrier
	s_and_saveexec_b64 s[16:17], s[18:19]
	s_cbranch_execz .LBB1665_33
; %bb.32:
	v_bcnt_u32_b32 v2, v2, 0
	v_bcnt_u32_b32 v2, v3, v2
	s_waitcnt lgkmcnt(0)
	v_add_u32_e32 v2, v41, v2
	ds_write_b32 v7, v2 offset:64
.LBB1665_33:
	s_or_b64 exec, exec, s[16:17]
	; wave barrier
	s_waitcnt lgkmcnt(0)
	s_barrier
	ds_read2_b32 v[4:5], v33 offset0:16 offset1:17
	ds_read2_b32 v[2:3], v6 offset0:2 offset1:3
	ds_read_b32 v52, v6 offset:16
	v_cmp_lt_u32_e64 s[26:27], 31, v28
	s_waitcnt lgkmcnt(1)
	v_add3_u32 v53, v5, v4, v2
	s_waitcnt lgkmcnt(0)
	v_add3_u32 v52, v53, v3, v52
	v_and_b32_e32 v53, 15, v28
	v_cmp_eq_u32_e64 s[16:17], 0, v53
	v_mov_b32_dpp v54, v52 row_shr:1 row_mask:0xf bank_mask:0xf
	v_cndmask_b32_e64 v54, v54, 0, s[16:17]
	v_add_u32_e32 v52, v54, v52
	v_cmp_lt_u32_e64 s[18:19], 1, v53
	v_cmp_lt_u32_e64 s[20:21], 3, v53
	v_mov_b32_dpp v54, v52 row_shr:2 row_mask:0xf bank_mask:0xf
	v_cndmask_b32_e64 v54, 0, v54, s[18:19]
	v_add_u32_e32 v52, v52, v54
	v_cmp_lt_u32_e64 s[22:23], 7, v53
	s_nop 0
	v_mov_b32_dpp v54, v52 row_shr:4 row_mask:0xf bank_mask:0xf
	v_cndmask_b32_e64 v54, 0, v54, s[20:21]
	v_add_u32_e32 v52, v52, v54
	s_nop 1
	v_mov_b32_dpp v54, v52 row_shr:8 row_mask:0xf bank_mask:0xf
	v_cndmask_b32_e64 v53, 0, v54, s[22:23]
	v_add_u32_e32 v52, v52, v53
	v_bfe_i32 v54, v28, 4, 1
	s_nop 0
	v_mov_b32_dpp v53, v52 row_bcast:15 row_mask:0xf bank_mask:0xf
	v_and_b32_e32 v53, v54, v53
	v_add_u32_e32 v52, v52, v53
	v_lshrrev_b32_e32 v54, 6, v10
	s_nop 0
	v_mov_b32_dpp v53, v52 row_bcast:31 row_mask:0xf bank_mask:0xf
	v_cndmask_b32_e64 v53, 0, v53, s[26:27]
	v_add_u32_e32 v53, v52, v53
	v_and_b32_e32 v52, 63, v10
	v_cmp_eq_u32_e64 s[26:27], 63, v52
	s_and_saveexec_b64 s[48:49], s[26:27]
	s_cbranch_execz .LBB1665_35
; %bb.34:
	v_lshlrev_b32_e32 v52, 2, v54
	ds_write_b32 v52, v53
.LBB1665_35:
	s_or_b64 exec, exec, s[48:49]
	v_cmp_gt_u32_e64 s[26:27], 16, v10
	v_lshlrev_b32_e32 v52, 2, v10
	s_waitcnt lgkmcnt(0)
	s_barrier
	s_and_saveexec_b64 s[48:49], s[26:27]
	s_cbranch_execz .LBB1665_37
; %bb.36:
	ds_read_b32 v55, v52
	s_waitcnt lgkmcnt(0)
	s_nop 0
	v_mov_b32_dpp v56, v55 row_shr:1 row_mask:0xf bank_mask:0xf
	v_cndmask_b32_e64 v56, v56, 0, s[16:17]
	v_add_u32_e32 v55, v56, v55
	s_nop 1
	v_mov_b32_dpp v56, v55 row_shr:2 row_mask:0xf bank_mask:0xf
	v_cndmask_b32_e64 v56, 0, v56, s[18:19]
	v_add_u32_e32 v55, v55, v56
	;; [unrolled: 4-line block ×4, first 2 shown]
	ds_write_b32 v52, v55
.LBB1665_37:
	s_or_b64 exec, exec, s[48:49]
	v_cmp_lt_u32_e64 s[16:17], 63, v10
	v_mov_b32_e32 v55, 0
	s_waitcnt lgkmcnt(0)
	s_barrier
	s_and_saveexec_b64 s[18:19], s[16:17]
	s_cbranch_execz .LBB1665_39
; %bb.38:
	v_lshl_add_u32 v54, v54, 2, -4
	ds_read_b32 v55, v54
.LBB1665_39:
	s_or_b64 exec, exec, s[18:19]
	v_add_u32_e32 v54, -1, v28
	v_and_b32_e32 v56, 64, v28
	v_cmp_lt_i32_e64 s[16:17], v54, v56
	v_cndmask_b32_e64 v54, v54, v28, s[16:17]
	s_waitcnt lgkmcnt(0)
	v_add_u32_e32 v53, v55, v53
	v_lshlrev_b32_e32 v54, 2, v54
	ds_bpermute_b32 v53, v54, v53
	v_cmp_eq_u32_e64 s[16:17], 0, v28
	s_waitcnt lgkmcnt(0)
	v_cndmask_b32_e64 v28, v53, v55, s[16:17]
	v_cmp_ne_u32_e64 s[16:17], 0, v10
	v_cndmask_b32_e64 v28, 0, v28, s[16:17]
	v_add_u32_e32 v4, v28, v4
	v_add_u32_e32 v5, v4, v5
	;; [unrolled: 1-line block ×4, first 2 shown]
	ds_write2_b32 v33, v28, v4 offset0:16 offset1:17
	ds_write2_b32 v6, v5, v2 offset0:2 offset1:3
	ds_write_b32 v6, v3 offset:16
	s_waitcnt lgkmcnt(0)
	s_barrier
	ds_read_b32 v55, v35 offset:64
	ds_read_b32 v28, v37 offset:64
	;; [unrolled: 1-line block ×8, first 2 shown]
	s_movk_i32 s16, 0x100
	v_cmp_gt_u32_e64 s[16:17], s16, v10
                                        ; implicit-def: $vgpr33
                                        ; implicit-def: $vgpr35
	s_and_saveexec_b64 s[20:21], s[16:17]
	s_cbranch_execz .LBB1665_43
; %bb.40:
	v_mul_u32_u24_e32 v2, 17, v10
	v_lshlrev_b32_e32 v3, 2, v2
	ds_read_b32 v33, v3 offset:64
	s_movk_i32 s18, 0xff
	v_cmp_ne_u32_e64 s[18:19], s18, v10
	v_mov_b32_e32 v2, 0x2000
	s_and_saveexec_b64 s[22:23], s[18:19]
	s_cbranch_execz .LBB1665_42
; %bb.41:
	ds_read_b32 v2, v3 offset:132
.LBB1665_42:
	s_or_b64 exec, exec, s[22:23]
	s_waitcnt lgkmcnt(0)
	v_sub_u32_e32 v35, v2, v33
.LBB1665_43:
	s_or_b64 exec, exec, s[20:21]
	s_waitcnt lgkmcnt(0)
	s_barrier
	s_and_saveexec_b64 s[20:21], s[16:17]
	s_cbranch_execz .LBB1665_53
; %bb.44:
	v_lshl_or_b32 v2, s6, 8, v10
	v_mov_b32_e32 v3, 0
	v_lshlrev_b64 v[4:5], 2, v[2:3]
	v_mov_b32_e32 v37, s35
	v_add_co_u32_e64 v4, s[18:19], s34, v4
	v_addc_co_u32_e64 v5, s[18:19], v37, v5, s[18:19]
	v_or_b32_e32 v2, 2.0, v35
	s_mov_b64 s[22:23], 0
	s_brev_b32 s51, 1
	s_mov_b32 s52, s6
	v_mov_b32_e32 v40, 0
	global_store_dword v[4:5], v2, off
                                        ; implicit-def: $sgpr18_sgpr19
	s_branch .LBB1665_46
.LBB1665_45:                            ;   in Loop: Header=BB1665_46 Depth=1
	s_or_b64 exec, exec, s[26:27]
	v_and_b32_e32 v6, 0x3fffffff, v56
	v_add_u32_e32 v40, v6, v40
	v_cmp_eq_u32_e64 s[18:19], s51, v2
	s_and_b64 s[26:27], exec, s[18:19]
	s_or_b64 s[22:23], s[26:27], s[22:23]
	s_andn2_b64 exec, exec, s[22:23]
	s_cbranch_execz .LBB1665_52
.LBB1665_46:                            ; =>This Loop Header: Depth=1
                                        ;     Child Loop BB1665_49 Depth 2
	s_or_b64 s[18:19], s[18:19], exec
	s_cmp_eq_u32 s52, 0
	s_cbranch_scc1 .LBB1665_51
; %bb.47:                               ;   in Loop: Header=BB1665_46 Depth=1
	s_add_i32 s52, s52, -1
	v_lshl_or_b32 v2, s52, 8, v10
	v_lshlrev_b64 v[6:7], 2, v[2:3]
	v_add_co_u32_e64 v6, s[18:19], s34, v6
	v_addc_co_u32_e64 v7, s[18:19], v37, v7, s[18:19]
	global_load_dword v56, v[6:7], off glc
	s_waitcnt vmcnt(0)
	v_and_b32_e32 v2, -2.0, v56
	v_cmp_eq_u32_e64 s[18:19], 0, v2
	s_and_saveexec_b64 s[26:27], s[18:19]
	s_cbranch_execz .LBB1665_45
; %bb.48:                               ;   in Loop: Header=BB1665_46 Depth=1
	s_mov_b64 s[48:49], 0
.LBB1665_49:                            ;   Parent Loop BB1665_46 Depth=1
                                        ; =>  This Inner Loop Header: Depth=2
	global_load_dword v56, v[6:7], off glc
	s_waitcnt vmcnt(0)
	v_and_b32_e32 v2, -2.0, v56
	v_cmp_ne_u32_e64 s[18:19], 0, v2
	s_or_b64 s[48:49], s[18:19], s[48:49]
	s_andn2_b64 exec, exec, s[48:49]
	s_cbranch_execnz .LBB1665_49
; %bb.50:                               ;   in Loop: Header=BB1665_46 Depth=1
	s_or_b64 exec, exec, s[48:49]
	s_branch .LBB1665_45
.LBB1665_51:                            ;   in Loop: Header=BB1665_46 Depth=1
                                        ; implicit-def: $sgpr52
	s_and_b64 s[26:27], exec, s[18:19]
	s_or_b64 s[22:23], s[26:27], s[22:23]
	s_andn2_b64 exec, exec, s[22:23]
	s_cbranch_execnz .LBB1665_46
.LBB1665_52:
	s_or_b64 exec, exec, s[22:23]
	v_add_u32_e32 v2, v40, v35
	v_or_b32_e32 v2, 0x80000000, v2
	global_store_dword v[4:5], v2, off
	global_load_dword v2, v52, s[28:29]
	v_sub_u32_e32 v3, v40, v33
	s_waitcnt vmcnt(0)
	v_add_u32_e32 v2, v3, v2
	ds_write_b32 v52, v2
.LBB1665_53:
	s_or_b64 exec, exec, s[20:21]
	s_mov_b32 s22, -1
	v_add_u32_e32 v37, v55, v29
	s_movk_i32 s48, 0x400
	v_add_u32_e32 v40, 0x400, v11
	v_add3_u32 v41, v51, v50, v41
	v_add3_u32 v44, v49, v44, v9
	;; [unrolled: 1-line block ×7, first 2 shown]
	s_mov_b32 s49, 0
	s_brev_b32 s23, -2
	v_mov_b32_e32 v29, 0
	v_bfrev_b32_e32 v34, 1
	v_mov_b32_e32 v38, v10
	s_mov_b32 s51, 0
                                        ; implicit-def: $vgpr2_vgpr3_vgpr4_vgpr5_vgpr6_vgpr7_vgpr8_vgpr9
	s_branch .LBB1665_55
.LBB1665_54:                            ;   in Loop: Header=BB1665_55 Depth=1
	s_or_b64 exec, exec, s[26:27]
	s_addk_i32 s51, 0xf800
	s_add_i32 s49, s49, 2
	s_cmpk_eq_i32 s51, 0xe000
	v_add_u32_e32 v38, 0x800, v38
	s_barrier
	s_cbranch_scc1 .LBB1665_60
.LBB1665_55:                            ; =>This Inner Loop Header: Depth=1
	v_add_u32_e32 v28, s51, v37
	v_min_u32_e32 v28, 0x800, v28
	v_lshlrev_b32_e32 v28, 3, v28
	ds_write_b64 v28, v[12:13] offset:1024
	v_add_u32_e32 v28, s51, v32
	v_min_u32_e32 v28, 0x800, v28
	v_lshlrev_b32_e32 v28, 3, v28
	ds_write_b64 v28, v[14:15] offset:1024
	;; [unrolled: 4-line block ×7, first 2 shown]
	v_add_u32_e32 v28, s51, v41
	v_min_u32_e32 v28, 0x800, v28
	v_lshlrev_b32_e32 v28, 3, v28
	v_cmp_gt_u32_e64 s[18:19], s7, v38
	ds_write_b64 v28, v[26:27] offset:1024
	s_waitcnt lgkmcnt(0)
	s_barrier
	s_and_saveexec_b64 s[26:27], s[18:19]
	s_cbranch_execz .LBB1665_57
; %bb.56:                               ;   in Loop: Header=BB1665_55 Depth=1
	ds_read_b64 v[48:49], v11 offset:1024
	v_mov_b32_e32 v42, s39
	s_cmp_eq_u32 s49, 7
	s_waitcnt lgkmcnt(0)
	v_cmp_ne_u64_e64 s[18:19], s[22:23], v[48:49]
	v_cndmask_b32_e64 v51, v34, v49, s[18:19]
	v_cndmask_b32_e64 v50, 0, v48, s[18:19]
	v_lshrrev_b64 v[50:51], s44, v[50:51]
	v_and_b32_e32 v45, s50, v50
	v_lshlrev_b32_e32 v47, 2, v45
	ds_read_b32 v47, v47
	v_cmp_lt_i64_e64 s[20:21], -1, v[48:49]
	v_cndmask_b32_e64 v28, v34, -1, s[20:21]
	v_ashrrev_i32_e32 v50, 31, v49
	v_not_b32_e32 v50, v50
	v_xor_b32_e32 v49, v28, v49
	s_waitcnt lgkmcnt(0)
	v_add_u32_e32 v28, v38, v47
	v_xor_b32_e32 v48, v50, v48
	v_lshlrev_b64 v[50:51], 3, v[28:29]
	v_add_co_u32_e64 v50, s[18:19], s38, v50
	v_addc_co_u32_e64 v51, s[18:19], v42, v51, s[18:19]
	s_cselect_b64 s[18:19], -1, 0
	s_cmp_eq_u32 s49, 6
	v_cndmask_b32_e64 v9, v9, v45, s[18:19]
	s_cselect_b64 s[18:19], -1, 0
	s_cmp_eq_u32 s49, 5
	v_cndmask_b32_e64 v8, v8, v45, s[18:19]
	;; [unrolled: 3-line block ×7, first 2 shown]
	s_cselect_b64 s[18:19], -1, 0
	v_cndmask_b32_e64 v2, v2, v45, s[18:19]
	global_store_dwordx2 v[50:51], v[48:49], off
.LBB1665_57:                            ;   in Loop: Header=BB1665_55 Depth=1
	s_or_b64 exec, exec, s[26:27]
	v_add_u32_e32 v28, 0x400, v38
	v_cmp_gt_u32_e64 s[18:19], s7, v28
	s_and_saveexec_b64 s[26:27], s[18:19]
	s_cbranch_execz .LBB1665_54
; %bb.58:                               ;   in Loop: Header=BB1665_55 Depth=1
	ds_read_b64 v[48:49], v40 offset:8192
	v_mov_b32_e32 v42, s39
	s_waitcnt lgkmcnt(0)
	v_cmp_ne_u64_e64 s[18:19], s[22:23], v[48:49]
	v_cndmask_b32_e64 v51, v34, v49, s[18:19]
	v_cndmask_b32_e64 v50, 0, v48, s[18:19]
	v_lshrrev_b64 v[50:51], s44, v[50:51]
	v_and_b32_e32 v45, s50, v50
	v_lshlrev_b32_e32 v47, 2, v45
	ds_read_b32 v47, v47
	v_cmp_lt_i64_e64 s[20:21], -1, v[48:49]
	v_cndmask_b32_e64 v28, v34, -1, s[20:21]
	v_ashrrev_i32_e32 v50, 31, v49
	v_not_b32_e32 v50, v50
	v_xor_b32_e32 v49, v28, v49
	s_waitcnt lgkmcnt(0)
	v_add3_u32 v28, v38, v47, s48
	v_xor_b32_e32 v48, v50, v48
	v_lshlrev_b64 v[50:51], 3, v[28:29]
	v_add_co_u32_e64 v50, s[18:19], s38, v50
	s_add_i32 s20, s49, 1
	v_addc_co_u32_e64 v51, s[18:19], v42, v51, s[18:19]
	s_cmp_eq_u32 s20, 7
	s_cselect_b64 s[18:19], -1, 0
	s_cmp_eq_u32 s20, 6
	v_cndmask_b32_e64 v9, v9, v45, s[18:19]
	s_cselect_b64 s[18:19], -1, 0
	s_cmp_eq_u32 s20, 5
	v_cndmask_b32_e64 v8, v8, v45, s[18:19]
	s_cselect_b64 s[18:19], -1, 0
	s_cmp_eq_u32 s20, 4
	v_cndmask_b32_e64 v7, v7, v45, s[18:19]
	s_cselect_b64 s[18:19], -1, 0
	s_cmp_eq_u32 s20, 3
	v_cndmask_b32_e64 v6, v6, v45, s[18:19]
	s_cselect_b64 s[18:19], -1, 0
	s_cmp_eq_u32 s20, 2
	v_cndmask_b32_e64 v5, v5, v45, s[18:19]
	s_cselect_b64 s[18:19], -1, 0
	s_cmp_eq_u32 s20, 1
	v_cndmask_b32_e64 v4, v4, v45, s[18:19]
	s_cselect_b64 s[18:19], -1, 0
	s_cmp_eq_u32 s20, 0
	v_cndmask_b32_e64 v3, v3, v45, s[18:19]
	s_cselect_b64 s[18:19], -1, 0
	v_cndmask_b32_e64 v2, v2, v45, s[18:19]
	global_store_dwordx2 v[50:51], v[48:49], off
	s_branch .LBB1665_54
.LBB1665_59:
	s_mov_b64 s[10:11], 0
                                        ; implicit-def: $vgpr2
                                        ; implicit-def: $vgpr10
	s_cbranch_execnz .LBB1665_78
	s_branch .LBB1665_121
.LBB1665_60:
	s_add_u32 s18, s40, s46
	s_addc_u32 s19, s41, s47
	v_mov_b32_e32 v12, s19
	v_add_co_u32_e64 v13, s[18:19], s18, v30
	v_addc_co_u32_e64 v12, s[18:19], 0, v12, s[18:19]
	v_add_co_u32_e64 v28, s[18:19], v13, v31
	v_addc_co_u32_e64 v29, s[18:19], 0, v12, s[18:19]
                                        ; implicit-def: $vgpr12_vgpr13
	s_and_saveexec_b64 s[18:19], vcc
	s_cbranch_execnz .LBB1665_124
; %bb.61:
	s_or_b64 exec, exec, s[18:19]
                                        ; implicit-def: $vgpr14_vgpr15
	s_and_saveexec_b64 s[18:19], s[0:1]
	s_cbranch_execnz .LBB1665_125
.LBB1665_62:
	s_or_b64 exec, exec, s[18:19]
                                        ; implicit-def: $vgpr16_vgpr17
	s_and_saveexec_b64 s[0:1], s[2:3]
	s_cbranch_execnz .LBB1665_126
.LBB1665_63:
	s_or_b64 exec, exec, s[0:1]
                                        ; implicit-def: $vgpr18_vgpr19
	s_and_saveexec_b64 s[0:1], s[24:25]
	s_cbranch_execnz .LBB1665_127
.LBB1665_64:
	s_or_b64 exec, exec, s[0:1]
                                        ; implicit-def: $vgpr20_vgpr21
	s_and_saveexec_b64 s[0:1], s[8:9]
	s_cbranch_execnz .LBB1665_128
.LBB1665_65:
	s_or_b64 exec, exec, s[0:1]
                                        ; implicit-def: $vgpr22_vgpr23
	s_and_saveexec_b64 s[0:1], s[10:11]
	s_cbranch_execnz .LBB1665_129
.LBB1665_66:
	s_or_b64 exec, exec, s[0:1]
                                        ; implicit-def: $vgpr24_vgpr25
	s_and_saveexec_b64 s[0:1], s[12:13]
	s_cbranch_execnz .LBB1665_130
.LBB1665_67:
	s_or_b64 exec, exec, s[0:1]
                                        ; implicit-def: $vgpr26_vgpr27
	s_and_saveexec_b64 s[0:1], s[14:15]
	s_cbranch_execz .LBB1665_69
.LBB1665_68:
	global_load_dwordx2 v[26:27], v[28:29], off offset:3584
.LBB1665_69:
	s_or_b64 exec, exec, s[0:1]
	s_mov_b32 s2, 0
	v_mov_b32_e32 v29, 0
	s_movk_i32 s3, 0x400
	s_mov_b32 s8, 0
	v_mov_b32_e32 v30, v10
	s_waitcnt vmcnt(0)
	s_branch .LBB1665_71
.LBB1665_70:                            ;   in Loop: Header=BB1665_71 Depth=1
	s_or_b64 exec, exec, s[0:1]
	s_addk_i32 s8, 0xf800
	s_add_i32 s2, s2, 2
	s_cmpk_eq_i32 s8, 0xe000
	v_add_u32_e32 v30, 0x800, v30
	s_barrier
	s_cbranch_scc1 .LBB1665_75
.LBB1665_71:                            ; =>This Inner Loop Header: Depth=1
	v_add_u32_e32 v28, s8, v37
	v_min_u32_e32 v28, 0x800, v28
	v_lshlrev_b32_e32 v28, 3, v28
	ds_write_b64 v28, v[12:13] offset:1024
	v_add_u32_e32 v28, s8, v32
	v_min_u32_e32 v28, 0x800, v28
	v_lshlrev_b32_e32 v28, 3, v28
	ds_write_b64 v28, v[14:15] offset:1024
	;; [unrolled: 4-line block ×7, first 2 shown]
	v_add_u32_e32 v28, s8, v41
	v_min_u32_e32 v28, 0x800, v28
	v_lshlrev_b32_e32 v28, 3, v28
	v_cmp_gt_u32_e32 vcc, s7, v30
	ds_write_b64 v28, v[26:27] offset:1024
	s_waitcnt lgkmcnt(0)
	s_barrier
	s_and_saveexec_b64 s[0:1], vcc
	s_cbranch_execz .LBB1665_73
; %bb.72:                               ;   in Loop: Header=BB1665_71 Depth=1
	s_cmp_eq_u32 s2, 1
	s_cselect_b64 vcc, -1, 0
	s_cmp_eq_u32 s2, 2
	v_cndmask_b32_e32 v28, v2, v3, vcc
	s_cselect_b64 vcc, -1, 0
	s_cmp_eq_u32 s2, 3
	v_cndmask_b32_e32 v28, v28, v4, vcc
	s_cselect_b64 vcc, -1, 0
	s_cmp_eq_u32 s2, 4
	v_cndmask_b32_e32 v28, v28, v5, vcc
	s_cselect_b64 vcc, -1, 0
	s_cmp_eq_u32 s2, 5
	v_cndmask_b32_e32 v28, v28, v6, vcc
	s_cselect_b64 vcc, -1, 0
	s_cmp_eq_u32 s2, 6
	v_cndmask_b32_e32 v28, v28, v7, vcc
	s_cselect_b64 vcc, -1, 0
	s_cmp_eq_u32 s2, 7
	v_cndmask_b32_e32 v28, v28, v8, vcc
	s_cselect_b64 vcc, -1, 0
	v_cndmask_b32_e32 v28, v28, v9, vcc
	v_lshlrev_b32_e32 v28, 2, v28
	ds_read_b32 v28, v28
	ds_read_b64 v[48:49], v11 offset:1024
	s_waitcnt lgkmcnt(1)
	v_add_u32_e32 v28, v30, v28
	v_lshlrev_b64 v[50:51], 3, v[28:29]
	v_mov_b32_e32 v28, s43
	v_add_co_u32_e32 v50, vcc, s42, v50
	v_addc_co_u32_e32 v51, vcc, v28, v51, vcc
	s_waitcnt lgkmcnt(0)
	global_store_dwordx2 v[50:51], v[48:49], off
.LBB1665_73:                            ;   in Loop: Header=BB1665_71 Depth=1
	s_or_b64 exec, exec, s[0:1]
	v_add_u32_e32 v28, 0x400, v30
	v_cmp_gt_u32_e32 vcc, s7, v28
	s_and_saveexec_b64 s[0:1], vcc
	s_cbranch_execz .LBB1665_70
; %bb.74:                               ;   in Loop: Header=BB1665_71 Depth=1
	s_add_i32 s9, s2, 1
	s_cmp_eq_u32 s9, 1
	s_cselect_b64 vcc, -1, 0
	s_cmp_eq_u32 s9, 2
	v_cndmask_b32_e32 v28, v2, v3, vcc
	s_cselect_b64 vcc, -1, 0
	s_cmp_eq_u32 s9, 3
	v_cndmask_b32_e32 v28, v28, v4, vcc
	;; [unrolled: 3-line block ×6, first 2 shown]
	s_cselect_b64 vcc, -1, 0
	v_cndmask_b32_e32 v28, v28, v9, vcc
	v_lshlrev_b32_e32 v28, 2, v28
	ds_read_b32 v28, v28
	ds_read_b64 v[48:49], v40 offset:8192
	s_waitcnt lgkmcnt(1)
	v_add3_u32 v28, v30, v28, s3
	v_lshlrev_b64 v[50:51], 3, v[28:29]
	v_mov_b32_e32 v28, s43
	v_add_co_u32_e32 v50, vcc, s42, v50
	v_addc_co_u32_e32 v51, vcc, v28, v51, vcc
	s_waitcnt lgkmcnt(0)
	global_store_dwordx2 v[50:51], v[48:49], off
	s_branch .LBB1665_70
.LBB1665_75:
	s_add_i32 s33, s33, -1
	s_cmp_eq_u32 s33, s6
	s_cselect_b64 s[0:1], -1, 0
	s_and_b64 s[2:3], s[16:17], s[0:1]
	s_mov_b64 s[0:1], 0
	s_mov_b64 s[10:11], 0
                                        ; implicit-def: $vgpr2
	s_and_saveexec_b64 s[8:9], s[2:3]
	s_xor_b64 s[2:3], exec, s[8:9]
; %bb.76:
	s_mov_b64 s[10:11], exec
	v_add_u32_e32 v2, v33, v35
; %bb.77:
	s_or_b64 exec, exec, s[2:3]
	s_and_b64 vcc, exec, s[0:1]
	s_cbranch_vccz .LBB1665_121
.LBB1665_78:
	s_lshl_b32 s0, s6, 13
	s_mov_b32 s1, 0
	s_lshl_b64 s[12:13], s[0:1], 3
	v_mbcnt_hi_u32_b32 v22, -1, v1
	v_and_b32_e32 v10, 0x3ff, v0
	s_add_u32 s0, s36, s12
	v_and_b32_e32 v1, 63, v22
	s_addc_u32 s1, s37, s13
	v_lshlrev_b32_e32 v11, 3, v10
	v_lshlrev_b32_e32 v24, 3, v1
	v_and_b32_e32 v2, 0x1e00, v11
	v_mov_b32_e32 v1, s1
	v_add_co_u32_e32 v3, vcc, s0, v24
	s_load_dword s7, s[4:5], 0x58
	s_load_dword s0, s[4:5], 0x64
	v_addc_co_u32_e32 v1, vcc, 0, v1, vcc
	v_lshlrev_b32_e32 v25, 3, v2
	v_add_co_u32_e32 v20, vcc, v3, v25
	v_addc_co_u32_e32 v21, vcc, 0, v1, vcc
	global_load_dwordx2 v[28:29], v[20:21], off
	s_add_u32 s1, s4, 0x58
	s_addc_u32 s2, s5, 0
	s_waitcnt lgkmcnt(0)
	s_lshr_b32 s4, s0, 16
	s_cmp_lt_u32 s6, s7
	s_cselect_b32 s0, 12, 18
	s_add_u32 s0, s1, s0
	v_mov_b32_e32 v4, 0
	s_addc_u32 s1, s2, 0
	global_load_ushort v5, v4, s[0:1]
	v_mul_u32_u24_e32 v2, 5, v10
	v_lshlrev_b32_e32 v23, 2, v2
	ds_write2_b32 v23, v4, v4 offset0:16 offset1:17
	ds_write2_b32 v23, v4, v4 offset0:18 offset1:19
	ds_write_b32 v23, v4 offset:80
	global_load_dwordx2 v[2:3], v[20:21], off offset:512
	global_load_dwordx2 v[18:19], v[20:21], off offset:1024
	;; [unrolled: 1-line block ×7, first 2 shown]
	v_bfrev_b32_e32 v27, 1
	v_bfe_u32 v1, v0, 10, 10
	v_bfe_u32 v0, v0, 20, 10
	s_mov_b32 s2, -1
	v_mad_u32_u24 v26, v0, s4, v1
	s_brev_b32 s3, -2
	s_lshl_b32 s0, -1, s45
	s_not_b32 s16, s0
	s_waitcnt lgkmcnt(0)
	s_barrier
	s_waitcnt lgkmcnt(0)
	; wave barrier
	s_waitcnt vmcnt(8)
	v_cmp_lt_i64_e32 vcc, -1, v[28:29]
	v_cndmask_b32_e32 v0, -1, v27, vcc
	v_ashrrev_i32_e32 v20, 31, v29
	v_xor_b32_e32 v1, v0, v29
	v_xor_b32_e32 v0, v20, v28
	v_cmp_ne_u64_e32 vcc, s[2:3], v[0:1]
	v_cndmask_b32_e32 v21, v27, v1, vcc
	v_cndmask_b32_e32 v20, 0, v0, vcc
	v_lshrrev_b64 v[20:21], s44, v[20:21]
	s_waitcnt vmcnt(7)
	v_mad_u64_u32 v[28:29], s[0:1], v26, v5, v[10:11]
	v_and_b32_e32 v20, s16, v20
	v_lshrrev_b32_e32 v34, 6, v28
	v_lshl_add_u32 v21, v20, 4, v20
	v_and_b32_e32 v26, 1, v20
	v_add_lshl_u32 v28, v34, v21, 2
	v_add_co_u32_e32 v21, vcc, -1, v26
	v_lshlrev_b32_e32 v5, 30, v20
	v_addc_co_u32_e64 v29, s[0:1], 0, -1, vcc
	v_cmp_ne_u32_e32 vcc, 0, v26
	v_cmp_gt_i64_e64 s[0:1], 0, v[4:5]
	v_not_b32_e32 v26, v5
	v_lshlrev_b32_e32 v5, 29, v20
	v_xor_b32_e32 v29, vcc_hi, v29
	v_xor_b32_e32 v21, vcc_lo, v21
	v_ashrrev_i32_e32 v26, 31, v26
	v_cmp_gt_i64_e32 vcc, 0, v[4:5]
	v_not_b32_e32 v30, v5
	v_lshlrev_b32_e32 v5, 28, v20
	v_and_b32_e32 v29, exec_hi, v29
	v_and_b32_e32 v21, exec_lo, v21
	v_xor_b32_e32 v31, s1, v26
	v_xor_b32_e32 v26, s0, v26
	v_ashrrev_i32_e32 v30, 31, v30
	v_cmp_gt_i64_e64 s[0:1], 0, v[4:5]
	v_not_b32_e32 v5, v5
	v_and_b32_e32 v29, v29, v31
	v_and_b32_e32 v21, v21, v26
	v_xor_b32_e32 v26, vcc_hi, v30
	v_xor_b32_e32 v30, vcc_lo, v30
	v_ashrrev_i32_e32 v5, 31, v5
	v_and_b32_e32 v26, v29, v26
	v_and_b32_e32 v21, v21, v30
	v_xor_b32_e32 v29, s1, v5
	v_xor_b32_e32 v5, s0, v5
	v_and_b32_e32 v21, v21, v5
	v_lshlrev_b32_e32 v5, 27, v20
	v_cmp_gt_i64_e32 vcc, 0, v[4:5]
	v_not_b32_e32 v5, v5
	v_ashrrev_i32_e32 v5, 31, v5
	v_and_b32_e32 v26, v26, v29
	v_xor_b32_e32 v29, vcc_hi, v5
	v_xor_b32_e32 v5, vcc_lo, v5
	v_and_b32_e32 v21, v21, v5
	v_lshlrev_b32_e32 v5, 26, v20
	v_cmp_gt_i64_e32 vcc, 0, v[4:5]
	v_not_b32_e32 v5, v5
	v_ashrrev_i32_e32 v5, 31, v5
	v_and_b32_e32 v26, v26, v29
	v_xor_b32_e32 v29, vcc_hi, v5
	v_xor_b32_e32 v5, vcc_lo, v5
	;; [unrolled: 8-line block ×3, first 2 shown]
	v_and_b32_e32 v26, v26, v29
	v_and_b32_e32 v29, v21, v5
	v_lshlrev_b32_e32 v5, 24, v20
	v_cmp_gt_i64_e32 vcc, 0, v[4:5]
	v_not_b32_e32 v5, v5
	v_ashrrev_i32_e32 v5, 31, v5
	v_xor_b32_e32 v20, vcc_hi, v5
	v_xor_b32_e32 v5, vcc_lo, v5
	v_and_b32_e32 v21, v26, v20
	v_and_b32_e32 v20, v29, v5
	v_mbcnt_lo_u32_b32 v5, v20, 0
	v_mbcnt_hi_u32_b32 v26, v21, v5
	v_cmp_eq_u32_e32 vcc, 0, v26
	v_cmp_ne_u64_e64 s[0:1], 0, v[20:21]
	s_and_b64 s[4:5], s[0:1], vcc
	s_and_saveexec_b64 s[0:1], s[4:5]
	s_cbranch_execz .LBB1665_80
; %bb.79:
	v_bcnt_u32_b32 v5, v20, 0
	v_bcnt_u32_b32 v5, v21, v5
	ds_write_b32 v28, v5 offset:64
.LBB1665_80:
	s_or_b64 exec, exec, s[0:1]
	s_waitcnt vmcnt(6)
	v_cmp_lt_i64_e32 vcc, -1, v[2:3]
	v_cndmask_b32_e32 v5, -1, v27, vcc
	v_ashrrev_i32_e32 v20, 31, v3
	v_xor_b32_e32 v3, v5, v3
	v_xor_b32_e32 v2, v20, v2
	v_cmp_ne_u64_e32 vcc, s[2:3], v[2:3]
	v_cndmask_b32_e32 v21, v27, v3, vcc
	v_cndmask_b32_e32 v20, 0, v2, vcc
	v_lshrrev_b64 v[20:21], s44, v[20:21]
	v_and_b32_e32 v20, s16, v20
	v_lshl_add_u32 v5, v20, 4, v20
	v_add_lshl_u32 v31, v34, v5, 2
	v_and_b32_e32 v5, 1, v20
	v_add_co_u32_e32 v21, vcc, -1, v5
	v_addc_co_u32_e64 v29, s[0:1], 0, -1, vcc
	v_cmp_ne_u32_e32 vcc, 0, v5
	v_xor_b32_e32 v5, vcc_hi, v29
	v_and_b32_e32 v29, exec_hi, v5
	v_lshlrev_b32_e32 v5, 30, v20
	v_xor_b32_e32 v21, vcc_lo, v21
	v_cmp_gt_i64_e32 vcc, 0, v[4:5]
	v_not_b32_e32 v5, v5
	v_ashrrev_i32_e32 v5, 31, v5
	v_and_b32_e32 v21, exec_lo, v21
	v_xor_b32_e32 v30, vcc_hi, v5
	v_xor_b32_e32 v5, vcc_lo, v5
	v_and_b32_e32 v21, v21, v5
	v_lshlrev_b32_e32 v5, 29, v20
	v_cmp_gt_i64_e32 vcc, 0, v[4:5]
	v_not_b32_e32 v5, v5
	v_ashrrev_i32_e32 v5, 31, v5
	v_and_b32_e32 v29, v29, v30
	v_xor_b32_e32 v30, vcc_hi, v5
	v_xor_b32_e32 v5, vcc_lo, v5
	v_and_b32_e32 v21, v21, v5
	v_lshlrev_b32_e32 v5, 28, v20
	v_cmp_gt_i64_e32 vcc, 0, v[4:5]
	v_not_b32_e32 v5, v5
	v_ashrrev_i32_e32 v5, 31, v5
	v_and_b32_e32 v29, v29, v30
	;; [unrolled: 8-line block ×5, first 2 shown]
	v_xor_b32_e32 v30, vcc_hi, v5
	v_xor_b32_e32 v5, vcc_lo, v5
	v_and_b32_e32 v21, v21, v5
	v_lshlrev_b32_e32 v5, 24, v20
	v_cmp_gt_i64_e32 vcc, 0, v[4:5]
	v_not_b32_e32 v4, v5
	v_ashrrev_i32_e32 v4, 31, v4
	v_xor_b32_e32 v5, vcc_hi, v4
	v_xor_b32_e32 v4, vcc_lo, v4
	; wave barrier
	ds_read_b32 v27, v31 offset:64
	v_and_b32_e32 v29, v29, v30
	v_and_b32_e32 v4, v21, v4
	;; [unrolled: 1-line block ×3, first 2 shown]
	v_mbcnt_lo_u32_b32 v20, v4, 0
	v_mbcnt_hi_u32_b32 v29, v5, v20
	v_cmp_eq_u32_e32 vcc, 0, v29
	v_cmp_ne_u64_e64 s[0:1], 0, v[4:5]
	s_and_b64 s[2:3], s[0:1], vcc
	; wave barrier
	s_and_saveexec_b64 s[0:1], s[2:3]
	s_cbranch_execz .LBB1665_82
; %bb.81:
	v_bcnt_u32_b32 v4, v4, 0
	v_bcnt_u32_b32 v4, v5, v4
	s_waitcnt lgkmcnt(0)
	v_add_u32_e32 v4, v27, v4
	ds_write_b32 v31, v4 offset:64
.LBB1665_82:
	s_or_b64 exec, exec, s[0:1]
	v_bfrev_b32_e32 v33, 1
	s_waitcnt vmcnt(5)
	v_cmp_lt_i64_e32 vcc, -1, v[18:19]
	s_mov_b32 s2, -1
	v_cndmask_b32_e32 v4, -1, v33, vcc
	v_ashrrev_i32_e32 v20, 31, v19
	s_brev_b32 s3, -2
	v_xor_b32_e32 v5, v4, v19
	v_xor_b32_e32 v4, v20, v18
	v_cmp_ne_u64_e32 vcc, s[2:3], v[4:5]
	v_cndmask_b32_e32 v21, v33, v5, vcc
	v_cndmask_b32_e32 v20, 0, v4, vcc
	v_lshrrev_b64 v[20:21], s44, v[20:21]
	v_and_b32_e32 v20, s16, v20
	v_lshl_add_u32 v19, v20, 4, v20
	v_add_lshl_u32 v35, v34, v19, 2
	v_and_b32_e32 v19, 1, v20
	v_add_co_u32_e32 v21, vcc, -1, v19
	v_addc_co_u32_e64 v32, s[0:1], 0, -1, vcc
	v_cmp_ne_u32_e32 vcc, 0, v19
	v_xor_b32_e32 v19, vcc_hi, v32
	v_mov_b32_e32 v18, 0
	v_and_b32_e32 v32, exec_hi, v19
	v_lshlrev_b32_e32 v19, 30, v20
	v_xor_b32_e32 v21, vcc_lo, v21
	v_cmp_gt_i64_e32 vcc, 0, v[18:19]
	v_not_b32_e32 v19, v19
	v_ashrrev_i32_e32 v19, 31, v19
	v_and_b32_e32 v21, exec_lo, v21
	v_xor_b32_e32 v36, vcc_hi, v19
	v_xor_b32_e32 v19, vcc_lo, v19
	v_and_b32_e32 v21, v21, v19
	v_lshlrev_b32_e32 v19, 29, v20
	v_cmp_gt_i64_e32 vcc, 0, v[18:19]
	v_not_b32_e32 v19, v19
	v_ashrrev_i32_e32 v19, 31, v19
	v_and_b32_e32 v32, v32, v36
	v_xor_b32_e32 v36, vcc_hi, v19
	v_xor_b32_e32 v19, vcc_lo, v19
	v_and_b32_e32 v21, v21, v19
	v_lshlrev_b32_e32 v19, 28, v20
	v_cmp_gt_i64_e32 vcc, 0, v[18:19]
	v_not_b32_e32 v19, v19
	v_ashrrev_i32_e32 v19, 31, v19
	v_and_b32_e32 v32, v32, v36
	;; [unrolled: 8-line block ×5, first 2 shown]
	v_xor_b32_e32 v36, vcc_hi, v19
	v_xor_b32_e32 v19, vcc_lo, v19
	v_and_b32_e32 v32, v32, v36
	v_and_b32_e32 v36, v21, v19
	v_lshlrev_b32_e32 v19, 24, v20
	v_cmp_gt_i64_e32 vcc, 0, v[18:19]
	v_not_b32_e32 v19, v19
	v_ashrrev_i32_e32 v19, 31, v19
	v_xor_b32_e32 v20, vcc_hi, v19
	v_xor_b32_e32 v19, vcc_lo, v19
	; wave barrier
	ds_read_b32 v30, v35 offset:64
	v_and_b32_e32 v21, v32, v20
	v_and_b32_e32 v20, v36, v19
	v_mbcnt_lo_u32_b32 v19, v20, 0
	v_mbcnt_hi_u32_b32 v32, v21, v19
	v_cmp_eq_u32_e32 vcc, 0, v32
	v_cmp_ne_u64_e64 s[0:1], 0, v[20:21]
	s_and_b64 s[4:5], s[0:1], vcc
	; wave barrier
	s_and_saveexec_b64 s[0:1], s[4:5]
	s_cbranch_execz .LBB1665_84
; %bb.83:
	v_bcnt_u32_b32 v19, v20, 0
	v_bcnt_u32_b32 v19, v21, v19
	s_waitcnt lgkmcnt(0)
	v_add_u32_e32 v19, v30, v19
	ds_write_b32 v35, v19 offset:64
.LBB1665_84:
	s_or_b64 exec, exec, s[0:1]
	s_waitcnt vmcnt(4)
	v_cmp_lt_i64_e32 vcc, -1, v[6:7]
	v_cndmask_b32_e32 v19, -1, v33, vcc
	v_ashrrev_i32_e32 v20, 31, v7
	v_xor_b32_e32 v7, v19, v7
	v_xor_b32_e32 v6, v20, v6
	v_cmp_ne_u64_e32 vcc, s[2:3], v[6:7]
	v_cndmask_b32_e32 v21, v33, v7, vcc
	v_cndmask_b32_e32 v20, 0, v6, vcc
	v_lshrrev_b64 v[20:21], s44, v[20:21]
	v_and_b32_e32 v20, s16, v20
	v_lshl_add_u32 v19, v20, 4, v20
	v_add_lshl_u32 v38, v34, v19, 2
	v_and_b32_e32 v19, 1, v20
	v_add_co_u32_e32 v21, vcc, -1, v19
	v_addc_co_u32_e64 v36, s[0:1], 0, -1, vcc
	v_cmp_ne_u32_e32 vcc, 0, v19
	v_xor_b32_e32 v19, vcc_hi, v36
	v_and_b32_e32 v36, exec_hi, v19
	v_lshlrev_b32_e32 v19, 30, v20
	v_xor_b32_e32 v21, vcc_lo, v21
	v_cmp_gt_i64_e32 vcc, 0, v[18:19]
	v_not_b32_e32 v19, v19
	v_ashrrev_i32_e32 v19, 31, v19
	v_and_b32_e32 v21, exec_lo, v21
	v_xor_b32_e32 v37, vcc_hi, v19
	v_xor_b32_e32 v19, vcc_lo, v19
	v_and_b32_e32 v21, v21, v19
	v_lshlrev_b32_e32 v19, 29, v20
	v_cmp_gt_i64_e32 vcc, 0, v[18:19]
	v_not_b32_e32 v19, v19
	v_ashrrev_i32_e32 v19, 31, v19
	v_and_b32_e32 v36, v36, v37
	v_xor_b32_e32 v37, vcc_hi, v19
	v_xor_b32_e32 v19, vcc_lo, v19
	v_and_b32_e32 v21, v21, v19
	v_lshlrev_b32_e32 v19, 28, v20
	v_cmp_gt_i64_e32 vcc, 0, v[18:19]
	v_not_b32_e32 v19, v19
	v_ashrrev_i32_e32 v19, 31, v19
	v_and_b32_e32 v36, v36, v37
	;; [unrolled: 8-line block ×5, first 2 shown]
	v_xor_b32_e32 v37, vcc_hi, v19
	v_xor_b32_e32 v19, vcc_lo, v19
	v_and_b32_e32 v21, v21, v19
	v_lshlrev_b32_e32 v19, 24, v20
	v_cmp_gt_i64_e32 vcc, 0, v[18:19]
	v_not_b32_e32 v18, v19
	v_ashrrev_i32_e32 v18, 31, v18
	v_xor_b32_e32 v19, vcc_hi, v18
	v_xor_b32_e32 v18, vcc_lo, v18
	; wave barrier
	ds_read_b32 v33, v38 offset:64
	v_and_b32_e32 v36, v36, v37
	v_and_b32_e32 v18, v21, v18
	;; [unrolled: 1-line block ×3, first 2 shown]
	v_mbcnt_lo_u32_b32 v20, v18, 0
	v_mbcnt_hi_u32_b32 v36, v19, v20
	v_cmp_eq_u32_e32 vcc, 0, v36
	v_cmp_ne_u64_e64 s[0:1], 0, v[18:19]
	s_and_b64 s[2:3], s[0:1], vcc
	; wave barrier
	s_and_saveexec_b64 s[0:1], s[2:3]
	s_cbranch_execz .LBB1665_86
; %bb.85:
	v_bcnt_u32_b32 v18, v18, 0
	v_bcnt_u32_b32 v18, v19, v18
	s_waitcnt lgkmcnt(0)
	v_add_u32_e32 v18, v33, v18
	ds_write_b32 v38, v18 offset:64
.LBB1665_86:
	s_or_b64 exec, exec, s[0:1]
	v_bfrev_b32_e32 v40, 1
	s_waitcnt vmcnt(3)
	v_cmp_lt_i64_e32 vcc, -1, v[8:9]
	s_mov_b32 s2, -1
	v_cndmask_b32_e32 v18, -1, v40, vcc
	v_ashrrev_i32_e32 v19, 31, v9
	s_brev_b32 s3, -2
	v_xor_b32_e32 v9, v18, v9
	v_xor_b32_e32 v8, v19, v8
	v_cmp_ne_u64_e32 vcc, s[2:3], v[8:9]
	v_cndmask_b32_e32 v21, v40, v9, vcc
	v_cndmask_b32_e32 v20, 0, v8, vcc
	v_lshrrev_b64 v[20:21], s44, v[20:21]
	v_and_b32_e32 v20, s16, v20
	v_lshl_add_u32 v19, v20, 4, v20
	v_add_lshl_u32 v41, v34, v19, 2
	v_and_b32_e32 v19, 1, v20
	v_add_co_u32_e32 v21, vcc, -1, v19
	v_addc_co_u32_e64 v39, s[0:1], 0, -1, vcc
	v_cmp_ne_u32_e32 vcc, 0, v19
	v_xor_b32_e32 v19, vcc_hi, v39
	v_mov_b32_e32 v18, 0
	v_and_b32_e32 v39, exec_hi, v19
	v_lshlrev_b32_e32 v19, 30, v20
	v_xor_b32_e32 v21, vcc_lo, v21
	v_cmp_gt_i64_e32 vcc, 0, v[18:19]
	v_not_b32_e32 v19, v19
	v_ashrrev_i32_e32 v19, 31, v19
	v_and_b32_e32 v21, exec_lo, v21
	v_xor_b32_e32 v42, vcc_hi, v19
	v_xor_b32_e32 v19, vcc_lo, v19
	v_and_b32_e32 v21, v21, v19
	v_lshlrev_b32_e32 v19, 29, v20
	v_cmp_gt_i64_e32 vcc, 0, v[18:19]
	v_not_b32_e32 v19, v19
	v_ashrrev_i32_e32 v19, 31, v19
	v_and_b32_e32 v39, v39, v42
	v_xor_b32_e32 v42, vcc_hi, v19
	v_xor_b32_e32 v19, vcc_lo, v19
	v_and_b32_e32 v21, v21, v19
	v_lshlrev_b32_e32 v19, 28, v20
	v_cmp_gt_i64_e32 vcc, 0, v[18:19]
	v_not_b32_e32 v19, v19
	v_ashrrev_i32_e32 v19, 31, v19
	v_and_b32_e32 v39, v39, v42
	;; [unrolled: 8-line block ×5, first 2 shown]
	v_xor_b32_e32 v42, vcc_hi, v19
	v_xor_b32_e32 v19, vcc_lo, v19
	v_and_b32_e32 v39, v39, v42
	v_and_b32_e32 v42, v21, v19
	v_lshlrev_b32_e32 v19, 24, v20
	v_cmp_gt_i64_e32 vcc, 0, v[18:19]
	v_not_b32_e32 v19, v19
	v_ashrrev_i32_e32 v19, 31, v19
	v_xor_b32_e32 v20, vcc_hi, v19
	v_xor_b32_e32 v19, vcc_lo, v19
	; wave barrier
	ds_read_b32 v37, v41 offset:64
	v_and_b32_e32 v21, v39, v20
	v_and_b32_e32 v20, v42, v19
	v_mbcnt_lo_u32_b32 v19, v20, 0
	v_mbcnt_hi_u32_b32 v39, v21, v19
	v_cmp_eq_u32_e32 vcc, 0, v39
	v_cmp_ne_u64_e64 s[0:1], 0, v[20:21]
	s_and_b64 s[4:5], s[0:1], vcc
	; wave barrier
	s_and_saveexec_b64 s[0:1], s[4:5]
	s_cbranch_execz .LBB1665_88
; %bb.87:
	v_bcnt_u32_b32 v19, v20, 0
	v_bcnt_u32_b32 v19, v21, v19
	s_waitcnt lgkmcnt(0)
	v_add_u32_e32 v19, v37, v19
	ds_write_b32 v41, v19 offset:64
.LBB1665_88:
	s_or_b64 exec, exec, s[0:1]
	s_waitcnt vmcnt(2)
	v_cmp_lt_i64_e32 vcc, -1, v[12:13]
	v_cndmask_b32_e32 v19, -1, v40, vcc
	v_ashrrev_i32_e32 v20, 31, v13
	v_xor_b32_e32 v13, v19, v13
	v_xor_b32_e32 v12, v20, v12
	v_cmp_ne_u64_e32 vcc, s[2:3], v[12:13]
	v_cndmask_b32_e32 v21, v40, v13, vcc
	v_cndmask_b32_e32 v20, 0, v12, vcc
	v_lshrrev_b64 v[20:21], s44, v[20:21]
	v_and_b32_e32 v20, s16, v20
	v_lshl_add_u32 v19, v20, 4, v20
	v_add_lshl_u32 v44, v34, v19, 2
	v_and_b32_e32 v19, 1, v20
	v_add_co_u32_e32 v21, vcc, -1, v19
	v_addc_co_u32_e64 v42, s[0:1], 0, -1, vcc
	v_cmp_ne_u32_e32 vcc, 0, v19
	v_xor_b32_e32 v19, vcc_hi, v42
	v_and_b32_e32 v42, exec_hi, v19
	v_lshlrev_b32_e32 v19, 30, v20
	v_xor_b32_e32 v21, vcc_lo, v21
	v_cmp_gt_i64_e32 vcc, 0, v[18:19]
	v_not_b32_e32 v19, v19
	v_ashrrev_i32_e32 v19, 31, v19
	v_and_b32_e32 v21, exec_lo, v21
	v_xor_b32_e32 v43, vcc_hi, v19
	v_xor_b32_e32 v19, vcc_lo, v19
	v_and_b32_e32 v21, v21, v19
	v_lshlrev_b32_e32 v19, 29, v20
	v_cmp_gt_i64_e32 vcc, 0, v[18:19]
	v_not_b32_e32 v19, v19
	v_ashrrev_i32_e32 v19, 31, v19
	v_and_b32_e32 v42, v42, v43
	v_xor_b32_e32 v43, vcc_hi, v19
	v_xor_b32_e32 v19, vcc_lo, v19
	v_and_b32_e32 v21, v21, v19
	v_lshlrev_b32_e32 v19, 28, v20
	v_cmp_gt_i64_e32 vcc, 0, v[18:19]
	v_not_b32_e32 v19, v19
	v_ashrrev_i32_e32 v19, 31, v19
	v_and_b32_e32 v42, v42, v43
	;; [unrolled: 8-line block ×5, first 2 shown]
	v_xor_b32_e32 v43, vcc_hi, v19
	v_xor_b32_e32 v19, vcc_lo, v19
	v_and_b32_e32 v21, v21, v19
	v_lshlrev_b32_e32 v19, 24, v20
	v_cmp_gt_i64_e32 vcc, 0, v[18:19]
	v_not_b32_e32 v18, v19
	v_ashrrev_i32_e32 v18, 31, v18
	v_xor_b32_e32 v19, vcc_hi, v18
	v_xor_b32_e32 v18, vcc_lo, v18
	; wave barrier
	ds_read_b32 v40, v44 offset:64
	v_and_b32_e32 v42, v42, v43
	v_and_b32_e32 v18, v21, v18
	;; [unrolled: 1-line block ×3, first 2 shown]
	v_mbcnt_lo_u32_b32 v20, v18, 0
	v_mbcnt_hi_u32_b32 v42, v19, v20
	v_cmp_eq_u32_e32 vcc, 0, v42
	v_cmp_ne_u64_e64 s[0:1], 0, v[18:19]
	s_and_b64 s[2:3], s[0:1], vcc
	; wave barrier
	s_and_saveexec_b64 s[0:1], s[2:3]
	s_cbranch_execz .LBB1665_90
; %bb.89:
	v_bcnt_u32_b32 v18, v18, 0
	v_bcnt_u32_b32 v18, v19, v18
	s_waitcnt lgkmcnt(0)
	v_add_u32_e32 v18, v40, v18
	ds_write_b32 v44, v18 offset:64
.LBB1665_90:
	s_or_b64 exec, exec, s[0:1]
	v_bfrev_b32_e32 v47, 1
	s_waitcnt vmcnt(1)
	v_cmp_lt_i64_e32 vcc, -1, v[16:17]
	s_mov_b32 s2, -1
	v_cndmask_b32_e32 v18, -1, v47, vcc
	v_ashrrev_i32_e32 v19, 31, v17
	s_brev_b32 s3, -2
	v_xor_b32_e32 v17, v18, v17
	v_xor_b32_e32 v16, v19, v16
	v_cmp_ne_u64_e32 vcc, s[2:3], v[16:17]
	v_cndmask_b32_e32 v21, v47, v17, vcc
	v_cndmask_b32_e32 v20, 0, v16, vcc
	v_lshrrev_b64 v[20:21], s44, v[20:21]
	v_and_b32_e32 v20, s16, v20
	v_lshl_add_u32 v19, v20, 4, v20
	v_add_lshl_u32 v46, v19, v34, 2
	v_and_b32_e32 v19, 1, v20
	v_add_co_u32_e32 v21, vcc, -1, v19
	v_addc_co_u32_e64 v45, s[0:1], 0, -1, vcc
	v_cmp_ne_u32_e32 vcc, 0, v19
	v_xor_b32_e32 v19, vcc_hi, v45
	v_mov_b32_e32 v18, 0
	v_and_b32_e32 v45, exec_hi, v19
	v_lshlrev_b32_e32 v19, 30, v20
	v_xor_b32_e32 v21, vcc_lo, v21
	v_cmp_gt_i64_e32 vcc, 0, v[18:19]
	v_not_b32_e32 v19, v19
	v_ashrrev_i32_e32 v19, 31, v19
	v_and_b32_e32 v21, exec_lo, v21
	v_xor_b32_e32 v48, vcc_hi, v19
	v_xor_b32_e32 v19, vcc_lo, v19
	v_and_b32_e32 v21, v21, v19
	v_lshlrev_b32_e32 v19, 29, v20
	v_cmp_gt_i64_e32 vcc, 0, v[18:19]
	v_not_b32_e32 v19, v19
	v_ashrrev_i32_e32 v19, 31, v19
	v_and_b32_e32 v45, v45, v48
	v_xor_b32_e32 v48, vcc_hi, v19
	v_xor_b32_e32 v19, vcc_lo, v19
	v_and_b32_e32 v21, v21, v19
	v_lshlrev_b32_e32 v19, 28, v20
	v_cmp_gt_i64_e32 vcc, 0, v[18:19]
	v_not_b32_e32 v19, v19
	v_ashrrev_i32_e32 v19, 31, v19
	v_and_b32_e32 v45, v45, v48
	;; [unrolled: 8-line block ×5, first 2 shown]
	v_xor_b32_e32 v48, vcc_hi, v19
	v_xor_b32_e32 v19, vcc_lo, v19
	v_and_b32_e32 v45, v45, v48
	v_and_b32_e32 v48, v21, v19
	v_lshlrev_b32_e32 v19, 24, v20
	v_cmp_gt_i64_e32 vcc, 0, v[18:19]
	v_not_b32_e32 v19, v19
	v_ashrrev_i32_e32 v19, 31, v19
	v_xor_b32_e32 v20, vcc_hi, v19
	v_xor_b32_e32 v19, vcc_lo, v19
	; wave barrier
	ds_read_b32 v43, v46 offset:64
	v_and_b32_e32 v21, v45, v20
	v_and_b32_e32 v20, v48, v19
	v_mbcnt_lo_u32_b32 v19, v20, 0
	v_mbcnt_hi_u32_b32 v45, v21, v19
	v_cmp_eq_u32_e32 vcc, 0, v45
	v_cmp_ne_u64_e64 s[0:1], 0, v[20:21]
	s_and_b64 s[4:5], s[0:1], vcc
	; wave barrier
	s_and_saveexec_b64 s[0:1], s[4:5]
	s_cbranch_execz .LBB1665_92
; %bb.91:
	v_bcnt_u32_b32 v19, v20, 0
	v_bcnt_u32_b32 v19, v21, v19
	s_waitcnt lgkmcnt(0)
	v_add_u32_e32 v19, v43, v19
	ds_write_b32 v46, v19 offset:64
.LBB1665_92:
	s_or_b64 exec, exec, s[0:1]
	s_waitcnt vmcnt(0)
	v_cmp_lt_i64_e32 vcc, -1, v[14:15]
	v_cndmask_b32_e32 v19, -1, v47, vcc
	v_ashrrev_i32_e32 v20, 31, v15
	v_xor_b32_e32 v15, v19, v15
	v_xor_b32_e32 v14, v20, v14
	v_cmp_ne_u64_e32 vcc, s[2:3], v[14:15]
	v_cndmask_b32_e32 v21, v47, v15, vcc
	v_cndmask_b32_e32 v20, 0, v14, vcc
	v_lshrrev_b64 v[20:21], s44, v[20:21]
	v_and_b32_e32 v20, s16, v20
	v_lshl_add_u32 v19, v20, 4, v20
	v_add_lshl_u32 v50, v19, v34, 2
	v_and_b32_e32 v19, 1, v20
	v_add_co_u32_e32 v21, vcc, -1, v19
	v_addc_co_u32_e64 v47, s[0:1], 0, -1, vcc
	v_cmp_ne_u32_e32 vcc, 0, v19
	v_xor_b32_e32 v19, vcc_hi, v47
	v_and_b32_e32 v47, exec_hi, v19
	v_lshlrev_b32_e32 v19, 30, v20
	v_xor_b32_e32 v21, vcc_lo, v21
	v_cmp_gt_i64_e32 vcc, 0, v[18:19]
	v_not_b32_e32 v19, v19
	v_ashrrev_i32_e32 v19, 31, v19
	v_and_b32_e32 v21, exec_lo, v21
	v_xor_b32_e32 v49, vcc_hi, v19
	v_xor_b32_e32 v19, vcc_lo, v19
	v_and_b32_e32 v21, v21, v19
	v_lshlrev_b32_e32 v19, 29, v20
	v_cmp_gt_i64_e32 vcc, 0, v[18:19]
	v_not_b32_e32 v19, v19
	v_ashrrev_i32_e32 v19, 31, v19
	v_and_b32_e32 v47, v47, v49
	v_xor_b32_e32 v49, vcc_hi, v19
	v_xor_b32_e32 v19, vcc_lo, v19
	v_and_b32_e32 v21, v21, v19
	v_lshlrev_b32_e32 v19, 28, v20
	v_cmp_gt_i64_e32 vcc, 0, v[18:19]
	v_not_b32_e32 v19, v19
	v_ashrrev_i32_e32 v19, 31, v19
	v_and_b32_e32 v47, v47, v49
	;; [unrolled: 8-line block ×5, first 2 shown]
	v_xor_b32_e32 v49, vcc_hi, v19
	v_xor_b32_e32 v19, vcc_lo, v19
	v_and_b32_e32 v21, v21, v19
	v_lshlrev_b32_e32 v19, 24, v20
	v_cmp_gt_i64_e32 vcc, 0, v[18:19]
	v_not_b32_e32 v18, v19
	v_ashrrev_i32_e32 v18, 31, v18
	v_xor_b32_e32 v19, vcc_hi, v18
	v_xor_b32_e32 v18, vcc_lo, v18
	; wave barrier
	ds_read_b32 v34, v50 offset:64
	v_and_b32_e32 v47, v47, v49
	v_and_b32_e32 v18, v21, v18
	;; [unrolled: 1-line block ×3, first 2 shown]
	v_mbcnt_lo_u32_b32 v20, v18, 0
	v_mbcnt_hi_u32_b32 v47, v19, v20
	v_cmp_eq_u32_e32 vcc, 0, v47
	v_cmp_ne_u64_e64 s[0:1], 0, v[18:19]
	v_add_u32_e32 v48, 64, v23
	s_and_b64 s[2:3], s[0:1], vcc
	; wave barrier
	s_and_saveexec_b64 s[0:1], s[2:3]
	s_cbranch_execz .LBB1665_94
; %bb.93:
	v_bcnt_u32_b32 v18, v18, 0
	v_bcnt_u32_b32 v18, v19, v18
	s_waitcnt lgkmcnt(0)
	v_add_u32_e32 v18, v34, v18
	ds_write_b32 v50, v18 offset:64
.LBB1665_94:
	s_or_b64 exec, exec, s[0:1]
	; wave barrier
	s_waitcnt lgkmcnt(0)
	s_barrier
	ds_read2_b32 v[20:21], v23 offset0:16 offset1:17
	ds_read2_b32 v[18:19], v48 offset0:2 offset1:3
	ds_read_b32 v49, v48 offset:16
	v_cmp_lt_u32_e64 s[8:9], 31, v22
	s_waitcnt lgkmcnt(1)
	v_add3_u32 v51, v21, v20, v18
	s_waitcnt lgkmcnt(0)
	v_add3_u32 v49, v51, v19, v49
	v_and_b32_e32 v51, 15, v22
	v_cmp_eq_u32_e32 vcc, 0, v51
	v_mov_b32_dpp v52, v49 row_shr:1 row_mask:0xf bank_mask:0xf
	v_cndmask_b32_e64 v52, v52, 0, vcc
	v_add_u32_e32 v49, v52, v49
	v_cmp_lt_u32_e64 s[0:1], 1, v51
	v_cmp_lt_u32_e64 s[2:3], 3, v51
	v_mov_b32_dpp v52, v49 row_shr:2 row_mask:0xf bank_mask:0xf
	v_cndmask_b32_e64 v52, 0, v52, s[0:1]
	v_add_u32_e32 v49, v49, v52
	v_cmp_lt_u32_e64 s[4:5], 7, v51
	s_nop 0
	v_mov_b32_dpp v52, v49 row_shr:4 row_mask:0xf bank_mask:0xf
	v_cndmask_b32_e64 v52, 0, v52, s[2:3]
	v_add_u32_e32 v49, v49, v52
	s_nop 1
	v_mov_b32_dpp v52, v49 row_shr:8 row_mask:0xf bank_mask:0xf
	v_cndmask_b32_e64 v51, 0, v52, s[4:5]
	v_add_u32_e32 v49, v49, v51
	v_bfe_i32 v52, v22, 4, 1
	s_nop 0
	v_mov_b32_dpp v51, v49 row_bcast:15 row_mask:0xf bank_mask:0xf
	v_and_b32_e32 v51, v52, v51
	v_add_u32_e32 v49, v49, v51
	v_lshrrev_b32_e32 v52, 6, v10
	s_nop 0
	v_mov_b32_dpp v51, v49 row_bcast:31 row_mask:0xf bank_mask:0xf
	v_cndmask_b32_e64 v51, 0, v51, s[8:9]
	v_add_u32_e32 v51, v49, v51
	v_and_b32_e32 v49, 63, v10
	v_cmp_eq_u32_e64 s[8:9], 63, v49
	s_and_saveexec_b64 s[14:15], s[8:9]
	s_cbranch_execz .LBB1665_96
; %bb.95:
	v_lshlrev_b32_e32 v49, 2, v52
	ds_write_b32 v49, v51
.LBB1665_96:
	s_or_b64 exec, exec, s[14:15]
	v_cmp_gt_u32_e64 s[8:9], 16, v10
	v_lshlrev_b32_e32 v49, 2, v10
	s_waitcnt lgkmcnt(0)
	s_barrier
	s_and_saveexec_b64 s[14:15], s[8:9]
	s_cbranch_execz .LBB1665_98
; %bb.97:
	ds_read_b32 v53, v49
	s_waitcnt lgkmcnt(0)
	s_nop 0
	v_mov_b32_dpp v54, v53 row_shr:1 row_mask:0xf bank_mask:0xf
	v_cndmask_b32_e64 v54, v54, 0, vcc
	v_add_u32_e32 v53, v54, v53
	s_nop 1
	v_mov_b32_dpp v54, v53 row_shr:2 row_mask:0xf bank_mask:0xf
	v_cndmask_b32_e64 v54, 0, v54, s[0:1]
	v_add_u32_e32 v53, v53, v54
	s_nop 1
	v_mov_b32_dpp v54, v53 row_shr:4 row_mask:0xf bank_mask:0xf
	v_cndmask_b32_e64 v54, 0, v54, s[2:3]
	;; [unrolled: 4-line block ×3, first 2 shown]
	v_add_u32_e32 v53, v53, v54
	ds_write_b32 v49, v53
.LBB1665_98:
	s_or_b64 exec, exec, s[14:15]
	v_cmp_lt_u32_e32 vcc, 63, v10
	v_mov_b32_e32 v53, 0
	s_waitcnt lgkmcnt(0)
	s_barrier
	s_and_saveexec_b64 s[0:1], vcc
	s_cbranch_execz .LBB1665_100
; %bb.99:
	v_lshl_add_u32 v52, v52, 2, -4
	ds_read_b32 v53, v52
.LBB1665_100:
	s_or_b64 exec, exec, s[0:1]
	v_add_u32_e32 v52, -1, v22
	v_and_b32_e32 v54, 64, v22
	v_cmp_lt_i32_e32 vcc, v52, v54
	v_cndmask_b32_e32 v52, v52, v22, vcc
	s_waitcnt lgkmcnt(0)
	v_add_u32_e32 v51, v53, v51
	v_lshlrev_b32_e32 v52, 2, v52
	ds_bpermute_b32 v51, v52, v51
	v_cmp_eq_u32_e32 vcc, 0, v22
	s_movk_i32 s0, 0x100
	s_waitcnt lgkmcnt(0)
	v_cndmask_b32_e32 v22, v51, v53, vcc
	v_cmp_ne_u32_e32 vcc, 0, v10
	v_cndmask_b32_e32 v22, 0, v22, vcc
	v_add_u32_e32 v20, v22, v20
	v_add_u32_e32 v21, v20, v21
	;; [unrolled: 1-line block ×4, first 2 shown]
	ds_write2_b32 v23, v22, v20 offset0:16 offset1:17
	ds_write2_b32 v48, v21, v18 offset0:2 offset1:3
	ds_write_b32 v48, v19 offset:16
	s_waitcnt lgkmcnt(0)
	s_barrier
	ds_read_b32 v51, v28 offset:64
	ds_read_b32 v48, v31 offset:64
	;; [unrolled: 1-line block ×8, first 2 shown]
	v_cmp_gt_u32_e32 vcc, s0, v10
                                        ; implicit-def: $vgpr28
                                        ; implicit-def: $vgpr31
	s_and_saveexec_b64 s[2:3], vcc
	s_cbranch_execz .LBB1665_104
; %bb.101:
	v_mul_u32_u24_e32 v18, 17, v10
	v_lshlrev_b32_e32 v19, 2, v18
	ds_read_b32 v28, v19 offset:64
	s_movk_i32 s0, 0xff
	v_cmp_ne_u32_e64 s[0:1], s0, v10
	v_mov_b32_e32 v18, 0x2000
	s_and_saveexec_b64 s[4:5], s[0:1]
	s_cbranch_execz .LBB1665_103
; %bb.102:
	ds_read_b32 v18, v19 offset:132
.LBB1665_103:
	s_or_b64 exec, exec, s[4:5]
	s_waitcnt lgkmcnt(0)
	v_sub_u32_e32 v31, v18, v28
.LBB1665_104:
	s_or_b64 exec, exec, s[2:3]
	s_waitcnt lgkmcnt(0)
	s_barrier
	s_and_saveexec_b64 s[2:3], vcc
	s_cbranch_execz .LBB1665_114
; %bb.105:
	v_lshl_or_b32 v18, s6, 8, v10
	v_mov_b32_e32 v19, 0
	v_lshlrev_b64 v[20:21], 2, v[18:19]
	v_mov_b32_e32 v52, s35
	v_add_co_u32_e64 v20, s[0:1], s34, v20
	v_addc_co_u32_e64 v21, s[0:1], v52, v21, s[0:1]
	v_or_b32_e32 v18, 2.0, v31
	s_mov_b64 s[4:5], 0
	s_brev_b32 s17, 1
	s_mov_b32 s18, s6
	v_mov_b32_e32 v53, 0
	global_store_dword v[20:21], v18, off
                                        ; implicit-def: $sgpr0_sgpr1
	s_branch .LBB1665_108
.LBB1665_106:                           ;   in Loop: Header=BB1665_108 Depth=1
	s_or_b64 exec, exec, s[14:15]
.LBB1665_107:                           ;   in Loop: Header=BB1665_108 Depth=1
	s_or_b64 exec, exec, s[8:9]
	v_and_b32_e32 v22, 0x3fffffff, v54
	v_add_u32_e32 v53, v22, v53
	v_cmp_eq_u32_e64 s[0:1], s17, v18
	s_and_b64 s[8:9], exec, s[0:1]
	s_or_b64 s[4:5], s[8:9], s[4:5]
	s_andn2_b64 exec, exec, s[4:5]
	s_cbranch_execz .LBB1665_113
.LBB1665_108:                           ; =>This Loop Header: Depth=1
                                        ;     Child Loop BB1665_111 Depth 2
	s_or_b64 s[0:1], s[0:1], exec
	s_cmp_eq_u32 s18, 0
	s_cbranch_scc1 .LBB1665_112
; %bb.109:                              ;   in Loop: Header=BB1665_108 Depth=1
	s_add_i32 s18, s18, -1
	v_lshl_or_b32 v18, s18, 8, v10
	v_lshlrev_b64 v[22:23], 2, v[18:19]
	v_add_co_u32_e64 v22, s[0:1], s34, v22
	v_addc_co_u32_e64 v23, s[0:1], v52, v23, s[0:1]
	global_load_dword v54, v[22:23], off glc
	s_waitcnt vmcnt(0)
	v_and_b32_e32 v18, -2.0, v54
	v_cmp_eq_u32_e64 s[0:1], 0, v18
	s_and_saveexec_b64 s[8:9], s[0:1]
	s_cbranch_execz .LBB1665_107
; %bb.110:                              ;   in Loop: Header=BB1665_108 Depth=1
	s_mov_b64 s[14:15], 0
.LBB1665_111:                           ;   Parent Loop BB1665_108 Depth=1
                                        ; =>  This Inner Loop Header: Depth=2
	global_load_dword v54, v[22:23], off glc
	s_waitcnt vmcnt(0)
	v_and_b32_e32 v18, -2.0, v54
	v_cmp_ne_u32_e64 s[0:1], 0, v18
	s_or_b64 s[14:15], s[0:1], s[14:15]
	s_andn2_b64 exec, exec, s[14:15]
	s_cbranch_execnz .LBB1665_111
	s_branch .LBB1665_106
.LBB1665_112:                           ;   in Loop: Header=BB1665_108 Depth=1
                                        ; implicit-def: $sgpr18
	s_and_b64 s[8:9], exec, s[0:1]
	s_or_b64 s[4:5], s[8:9], s[4:5]
	s_andn2_b64 exec, exec, s[4:5]
	s_cbranch_execnz .LBB1665_108
.LBB1665_113:
	s_or_b64 exec, exec, s[4:5]
	v_add_u32_e32 v18, v53, v31
	v_or_b32_e32 v18, 0x80000000, v18
	global_store_dword v[20:21], v18, off
	global_load_dword v18, v49, s[28:29]
	v_sub_u32_e32 v19, v53, v28
	s_waitcnt vmcnt(0)
	v_add_u32_e32 v18, v19, v18
	ds_write_b32 v49, v18
.LBB1665_114:
	s_or_b64 exec, exec, s[2:3]
	s_mov_b32 s8, -1
	v_add_u32_e32 v20, v51, v26
	s_movk_i32 s14, 0x400
	v_add_u32_e32 v21, 0x400, v11
	v_add3_u32 v22, v47, v50, v34
	v_add3_u32 v23, v45, v46, v43
	v_add3_u32 v26, v42, v44, v40
	v_add3_u32 v34, v39, v41, v37
	v_add3_u32 v33, v36, v38, v33
	v_add3_u32 v30, v32, v35, v30
	v_add3_u32 v27, v29, v48, v27
	s_mov_b32 s15, 0
	s_mov_b32 s17, 1
	s_brev_b32 s9, -2
	v_bfrev_b32_e32 v41, 1
	v_mov_b32_e32 v42, s39
	v_mov_b32_e32 v19, 0
	;; [unrolled: 1-line block ×3, first 2 shown]
                                        ; implicit-def: $vgpr40
                                        ; implicit-def: $vgpr39
                                        ; implicit-def: $vgpr38
                                        ; implicit-def: $vgpr37
                                        ; implicit-def: $vgpr36
                                        ; implicit-def: $vgpr35
                                        ; implicit-def: $vgpr32
                                        ; implicit-def: $vgpr29
.LBB1665_115:                           ; =>This Inner Loop Header: Depth=1
	v_add_u32_e32 v18, s15, v20
	v_add_u32_e32 v44, s15, v27
	;; [unrolled: 1-line block ×8, first 2 shown]
	v_min_u32_e32 v18, 0x800, v18
	v_min_u32_e32 v44, 0x800, v44
	;; [unrolled: 1-line block ×8, first 2 shown]
	v_lshlrev_b32_e32 v18, 3, v18
	v_lshlrev_b32_e32 v44, 3, v44
	;; [unrolled: 1-line block ×8, first 2 shown]
	ds_write_b64 v18, v[0:1] offset:1024
	ds_write_b64 v44, v[2:3] offset:1024
	ds_write_b64 v45, v[4:5] offset:1024
	ds_write_b64 v46, v[6:7] offset:1024
	ds_write_b64 v47, v[8:9] offset:1024
	ds_write_b64 v48, v[12:13] offset:1024
	ds_write_b64 v49, v[16:17] offset:1024
	ds_write_b64 v50, v[14:15] offset:1024
	s_waitcnt lgkmcnt(0)
	s_barrier
	ds_read_b64 v[44:45], v11 offset:1024
	ds_read_b64 v[46:47], v21 offset:8192
	s_add_i32 s18, s17, -1
	s_cmp_eq_u32 s18, 0
	s_waitcnt lgkmcnt(1)
	v_cmp_ne_u64_e64 s[0:1], s[8:9], v[44:45]
	v_cndmask_b32_e64 v49, v41, v45, s[0:1]
	v_cmp_lt_i64_e64 s[2:3], -1, v[44:45]
	v_cndmask_b32_e64 v48, 0, v44, s[0:1]
	v_cndmask_b32_e64 v18, v41, -1, s[2:3]
	v_ashrrev_i32_e32 v50, 31, v45
	s_waitcnt lgkmcnt(0)
	v_cmp_ne_u64_e64 s[2:3], s[8:9], v[46:47]
	v_lshrrev_b64 v[48:49], s44, v[48:49]
	v_cndmask_b32_e64 v51, v41, v47, s[2:3]
	v_ashrrev_i32_e32 v53, 31, v47
	v_not_b32_e32 v54, v50
	v_cndmask_b32_e64 v50, 0, v46, s[2:3]
	v_and_b32_e32 v48, s16, v48
	s_cselect_b64 s[0:1], -1, 0
	s_cmp_eq_u32 s18, 1
	v_xor_b32_e32 v45, v18, v45
	v_not_b32_e32 v18, v53
	v_lshrrev_b64 v[50:51], s44, v[50:51]
	v_cndmask_b32_e64 v40, v40, v48, s[0:1]
	s_cselect_b64 s[0:1], -1, 0
	s_cmp_eq_u32 s18, 2
	v_cmp_lt_i64_e64 s[4:5], -1, v[46:47]
	v_xor_b32_e32 v46, v18, v46
	v_and_b32_e32 v49, s16, v50
	v_lshlrev_b32_e32 v18, 2, v48
	v_cndmask_b32_e64 v50, v39, v48, s[0:1]
	s_cselect_b64 s[0:1], -1, 0
	s_cmp_eq_u32 s18, 3
	v_cndmask_b32_e64 v52, v41, -1, s[4:5]
	v_lshlrev_b32_e32 v39, 2, v49
	v_cndmask_b32_e64 v51, v38, v48, s[0:1]
	ds_read_b32 v18, v18
	ds_read_b32 v38, v39
	s_cselect_b64 s[0:1], -1, 0
	s_cmp_eq_u32 s18, 4
	v_xor_b32_e32 v47, v52, v47
	v_cndmask_b32_e64 v52, v37, v48, s[0:1]
	s_cselect_b64 s[0:1], -1, 0
	s_cmp_eq_u32 s18, 5
	v_cndmask_b32_e64 v53, v36, v48, s[0:1]
	s_cselect_b64 s[0:1], -1, 0
	s_cmp_eq_u32 s18, 6
	;; [unrolled: 3-line block ×3, first 2 shown]
	v_cndmask_b32_e64 v32, v32, v48, s[0:1]
	s_waitcnt lgkmcnt(1)
	v_add_u32_e32 v18, v43, v18
	s_cselect_b64 s[0:1], -1, 0
	s_cmp_eq_u32 s17, 7
	v_cndmask_b32_e64 v29, v29, v48, s[0:1]
	v_lshlrev_b64 v[36:37], 3, v[18:19]
	s_cselect_b64 s[0:1], -1, 0
	v_cndmask_b32_e64 v29, v29, v49, s[0:1]
	v_add_co_u32_e64 v36, s[0:1], s38, v36
	s_waitcnt lgkmcnt(0)
	v_add3_u32 v18, v43, v38, s14
	s_cmp_eq_u32 s17, 6
	v_addc_co_u32_e64 v37, s[0:1], v42, v37, s[0:1]
	v_xor_b32_e32 v44, v54, v44
	v_lshlrev_b64 v[38:39], 3, v[18:19]
	s_cselect_b64 s[0:1], -1, 0
	v_cndmask_b32_e64 v32, v32, v49, s[0:1]
	global_store_dwordx2 v[36:37], v[44:45], off
	v_add_co_u32_e64 v36, s[0:1], s38, v38
	s_cmp_eq_u32 s17, 5
	v_addc_co_u32_e64 v37, s[0:1], v42, v39, s[0:1]
	s_cselect_b64 s[0:1], -1, 0
	s_cmp_eq_u32 s17, 4
	v_cndmask_b32_e64 v35, v35, v49, s[0:1]
	s_cselect_b64 s[0:1], -1, 0
	s_cmp_eq_u32 s17, 3
	global_store_dwordx2 v[36:37], v[46:47], off
	v_cndmask_b32_e64 v36, v53, v49, s[0:1]
	s_cselect_b64 s[0:1], -1, 0
	s_cmp_eq_u32 s17, 2
	v_cndmask_b32_e64 v37, v52, v49, s[0:1]
	s_cselect_b64 s[0:1], -1, 0
	s_cmp_eq_u32 s17, 1
	v_cndmask_b32_e64 v38, v51, v49, s[0:1]
	s_cselect_b64 s[0:1], -1, 0
	s_cmp_eq_u32 s17, 0
	v_cndmask_b32_e64 v39, v50, v49, s[0:1]
	s_cselect_b64 s[0:1], -1, 0
	s_addk_i32 s15, 0xf800
	s_add_i32 s17, s17, 2
	v_add_u32_e32 v43, 0x800, v43
	s_cmpk_lg_i32 s15, 0xe000
	v_cndmask_b32_e64 v40, v40, v49, s[0:1]
	s_barrier
	s_cbranch_scc1 .LBB1665_115
; %bb.116:
	s_add_u32 s0, s40, s12
	s_addc_u32 s1, s41, s13
	v_mov_b32_e32 v0, s1
	v_add_co_u32_e64 v1, s[0:1], s0, v24
	v_addc_co_u32_e64 v0, s[0:1], 0, v0, s[0:1]
	v_add_co_u32_e64 v18, s[0:1], v1, v25
	v_addc_co_u32_e64 v19, s[0:1], 0, v0, s[0:1]
	global_load_dwordx2 v[0:1], v[18:19], off
	global_load_dwordx2 v[2:3], v[18:19], off offset:512
	global_load_dwordx2 v[4:5], v[18:19], off offset:1024
	;; [unrolled: 1-line block ×7, first 2 shown]
	s_mov_b32 s2, 0
	s_mov_b32 s3, 1
	s_movk_i32 s4, 0x400
	v_mov_b32_e32 v19, 0
	v_mov_b32_e32 v24, v10
	s_waitcnt vmcnt(0)
.LBB1665_117:                           ; =>This Inner Loop Header: Depth=1
	s_add_i32 s5, s3, -1
	v_add_u32_e32 v18, s2, v20
	s_cmp_eq_u32 s5, 1
	v_add_u32_e32 v25, s2, v27
	v_add_u32_e32 v41, s2, v30
	;; [unrolled: 1-line block ×7, first 2 shown]
	v_min_u32_e32 v18, 0x800, v18
	s_cselect_b64 s[0:1], -1, 0
	s_cmp_eq_u32 s5, 2
	v_min_u32_e32 v25, 0x800, v25
	v_min_u32_e32 v41, 0x800, v41
	;; [unrolled: 1-line block ×7, first 2 shown]
	v_lshlrev_b32_e32 v18, 3, v18
	v_cndmask_b32_e64 v47, v40, v39, s[0:1]
	s_cselect_b64 s[0:1], -1, 0
	s_cmp_eq_u32 s5, 3
	v_lshlrev_b32_e32 v25, 3, v25
	v_lshlrev_b32_e32 v41, 3, v41
	;; [unrolled: 1-line block ×7, first 2 shown]
	ds_write_b64 v18, v[0:1] offset:1024
	ds_write_b64 v25, v[2:3] offset:1024
	;; [unrolled: 1-line block ×8, first 2 shown]
	v_cndmask_b32_e64 v18, v47, v38, s[0:1]
	s_cselect_b64 s[0:1], -1, 0
	s_cmp_eq_u32 s5, 4
	v_cndmask_b32_e64 v18, v18, v37, s[0:1]
	s_cselect_b64 s[0:1], -1, 0
	s_cmp_eq_u32 s5, 5
	v_cndmask_b32_e64 v18, v18, v36, s[0:1]
	s_cselect_b64 s[0:1], -1, 0
	s_cmp_eq_u32 s5, 6
	v_cndmask_b32_e64 v18, v18, v35, s[0:1]
	s_cselect_b64 s[0:1], -1, 0
	s_cmp_eq_u32 s5, 7
	v_cndmask_b32_e64 v18, v18, v32, s[0:1]
	s_cselect_b64 s[0:1], -1, 0
	s_cmp_eq_u32 s3, 1
	v_cndmask_b32_e64 v18, v18, v29, s[0:1]
	s_cselect_b64 s[0:1], -1, 0
	s_cmp_eq_u32 s3, 2
	v_cndmask_b32_e64 v25, v40, v39, s[0:1]
	s_cselect_b64 s[0:1], -1, 0
	s_cmp_eq_u32 s3, 3
	v_cndmask_b32_e64 v25, v25, v38, s[0:1]
	s_cselect_b64 s[0:1], -1, 0
	s_cmp_eq_u32 s3, 4
	v_cndmask_b32_e64 v25, v25, v37, s[0:1]
	s_cselect_b64 s[0:1], -1, 0
	s_cmp_eq_u32 s3, 5
	v_cndmask_b32_e64 v25, v25, v36, s[0:1]
	s_cselect_b64 s[0:1], -1, 0
	s_cmp_eq_u32 s3, 6
	v_lshlrev_b32_e32 v18, 2, v18
	v_cndmask_b32_e64 v25, v25, v35, s[0:1]
	s_cselect_b64 s[0:1], -1, 0
	s_cmp_eq_u32 s3, 7
	s_waitcnt lgkmcnt(0)
	s_barrier
	ds_read_b64 v[42:43], v11 offset:1024
	ds_read_b32 v18, v18
	ds_read_b64 v[44:45], v21 offset:8192
	v_cndmask_b32_e64 v25, v25, v32, s[0:1]
	s_cselect_b64 s[0:1], -1, 0
	v_cndmask_b32_e64 v25, v25, v29, s[0:1]
	v_lshlrev_b32_e32 v25, 2, v25
	ds_read_b32 v25, v25
	s_waitcnt lgkmcnt(2)
	v_add_u32_e32 v18, v24, v18
	v_lshlrev_b64 v[46:47], 3, v[18:19]
	v_mov_b32_e32 v48, s43
	v_add_co_u32_e64 v46, s[0:1], s42, v46
	v_addc_co_u32_e64 v47, s[0:1], v48, v47, s[0:1]
	s_waitcnt lgkmcnt(0)
	v_add3_u32 v18, v24, v25, s4
	global_store_dwordx2 v[46:47], v[42:43], off
	v_lshlrev_b64 v[42:43], 3, v[18:19]
	s_addk_i32 s2, 0xf800
	s_add_i32 s3, s3, 2
	v_add_co_u32_e64 v42, s[0:1], s42, v42
	s_cmpk_lg_i32 s2, 0xe000
	v_add_u32_e32 v24, 0x800, v24
	v_addc_co_u32_e64 v43, s[0:1], v48, v43, s[0:1]
	global_store_dwordx2 v[42:43], v[44:45], off
	s_barrier
	s_cbranch_scc1 .LBB1665_117
; %bb.118:
	s_add_i32 s7, s7, -1
	s_cmp_eq_u32 s7, s6
	s_cselect_b64 s[0:1], -1, 0
	s_and_b64 s[2:3], vcc, s[0:1]
                                        ; implicit-def: $vgpr2
	s_and_saveexec_b64 s[0:1], s[2:3]
; %bb.119:
	v_add_u32_e32 v2, v28, v31
	s_or_b64 s[10:11], s[10:11], exec
; %bb.120:
	s_or_b64 exec, exec, s[0:1]
.LBB1665_121:
	s_and_saveexec_b64 s[0:1], s[10:11]
	s_cbranch_execnz .LBB1665_123
; %bb.122:
	s_endpgm
.LBB1665_123:
	v_lshlrev_b32_e32 v3, 2, v10
	ds_read_b32 v3, v3
	v_mov_b32_e32 v11, 0
	v_lshlrev_b64 v[0:1], 2, v[10:11]
	v_mov_b32_e32 v4, s31
	v_add_co_u32_e32 v0, vcc, s30, v0
	v_addc_co_u32_e32 v1, vcc, v4, v1, vcc
	s_waitcnt lgkmcnt(0)
	v_add_u32_e32 v2, v3, v2
	global_store_dword v[0:1], v2, off
	s_endpgm
.LBB1665_124:
	global_load_dwordx2 v[12:13], v[28:29], off
	s_or_b64 exec, exec, s[18:19]
                                        ; implicit-def: $vgpr14_vgpr15
	s_and_saveexec_b64 s[18:19], s[0:1]
	s_cbranch_execz .LBB1665_62
.LBB1665_125:
	global_load_dwordx2 v[14:15], v[28:29], off offset:512
	s_or_b64 exec, exec, s[18:19]
                                        ; implicit-def: $vgpr16_vgpr17
	s_and_saveexec_b64 s[0:1], s[2:3]
	s_cbranch_execz .LBB1665_63
.LBB1665_126:
	global_load_dwordx2 v[16:17], v[28:29], off offset:1024
	s_or_b64 exec, exec, s[0:1]
                                        ; implicit-def: $vgpr18_vgpr19
	s_and_saveexec_b64 s[0:1], s[24:25]
	s_cbranch_execz .LBB1665_64
.LBB1665_127:
	global_load_dwordx2 v[18:19], v[28:29], off offset:1536
	s_or_b64 exec, exec, s[0:1]
                                        ; implicit-def: $vgpr20_vgpr21
	s_and_saveexec_b64 s[0:1], s[8:9]
	s_cbranch_execz .LBB1665_65
.LBB1665_128:
	global_load_dwordx2 v[20:21], v[28:29], off offset:2048
	s_or_b64 exec, exec, s[0:1]
                                        ; implicit-def: $vgpr22_vgpr23
	s_and_saveexec_b64 s[0:1], s[10:11]
	s_cbranch_execz .LBB1665_66
.LBB1665_129:
	global_load_dwordx2 v[22:23], v[28:29], off offset:2560
	s_or_b64 exec, exec, s[0:1]
                                        ; implicit-def: $vgpr24_vgpr25
	s_and_saveexec_b64 s[0:1], s[12:13]
	s_cbranch_execz .LBB1665_67
.LBB1665_130:
	global_load_dwordx2 v[24:25], v[28:29], off offset:3072
	s_or_b64 exec, exec, s[0:1]
                                        ; implicit-def: $vgpr26_vgpr27
	s_and_saveexec_b64 s[0:1], s[14:15]
	s_cbranch_execnz .LBB1665_68
	s_branch .LBB1665_69
	.section	.rodata,"a",@progbits
	.p2align	6, 0x0
	.amdhsa_kernel _ZN7rocprim17ROCPRIM_400000_NS6detail17trampoline_kernelINS0_14default_configENS1_35radix_sort_onesweep_config_selectorIdlEEZZNS1_29radix_sort_onesweep_iterationIS3_Lb0EPdS7_N6thrust23THRUST_200600_302600_NS10device_ptrIlEESB_jNS0_19identity_decomposerENS1_16block_id_wrapperIjLb0EEEEE10hipError_tT1_PNSt15iterator_traitsISG_E10value_typeET2_T3_PNSH_ISM_E10value_typeET4_T5_PSR_SS_PNS1_23onesweep_lookback_stateEbbT6_jjT7_P12ihipStream_tbENKUlT_T0_SG_SL_E_clIS7_S7_PlSB_EEDaSZ_S10_SG_SL_EUlSZ_E_NS1_11comp_targetILNS1_3genE4ELNS1_11target_archE910ELNS1_3gpuE8ELNS1_3repE0EEENS1_47radix_sort_onesweep_sort_config_static_selectorELNS0_4arch9wavefront6targetE1EEEvSG_
		.amdhsa_group_segment_fixed_size 20552
		.amdhsa_private_segment_fixed_size 0
		.amdhsa_kernarg_size 344
		.amdhsa_user_sgpr_count 6
		.amdhsa_user_sgpr_private_segment_buffer 1
		.amdhsa_user_sgpr_dispatch_ptr 0
		.amdhsa_user_sgpr_queue_ptr 0
		.amdhsa_user_sgpr_kernarg_segment_ptr 1
		.amdhsa_user_sgpr_dispatch_id 0
		.amdhsa_user_sgpr_flat_scratch_init 0
		.amdhsa_user_sgpr_kernarg_preload_length 0
		.amdhsa_user_sgpr_kernarg_preload_offset 0
		.amdhsa_user_sgpr_private_segment_size 0
		.amdhsa_uses_dynamic_stack 0
		.amdhsa_system_sgpr_private_segment_wavefront_offset 0
		.amdhsa_system_sgpr_workgroup_id_x 1
		.amdhsa_system_sgpr_workgroup_id_y 0
		.amdhsa_system_sgpr_workgroup_id_z 0
		.amdhsa_system_sgpr_workgroup_info 0
		.amdhsa_system_vgpr_workitem_id 2
		.amdhsa_next_free_vgpr 57
		.amdhsa_next_free_sgpr 53
		.amdhsa_accum_offset 60
		.amdhsa_reserve_vcc 1
		.amdhsa_reserve_flat_scratch 0
		.amdhsa_float_round_mode_32 0
		.amdhsa_float_round_mode_16_64 0
		.amdhsa_float_denorm_mode_32 3
		.amdhsa_float_denorm_mode_16_64 3
		.amdhsa_dx10_clamp 1
		.amdhsa_ieee_mode 1
		.amdhsa_fp16_overflow 0
		.amdhsa_tg_split 0
		.amdhsa_exception_fp_ieee_invalid_op 0
		.amdhsa_exception_fp_denorm_src 0
		.amdhsa_exception_fp_ieee_div_zero 0
		.amdhsa_exception_fp_ieee_overflow 0
		.amdhsa_exception_fp_ieee_underflow 0
		.amdhsa_exception_fp_ieee_inexact 0
		.amdhsa_exception_int_div_zero 0
	.end_amdhsa_kernel
	.section	.text._ZN7rocprim17ROCPRIM_400000_NS6detail17trampoline_kernelINS0_14default_configENS1_35radix_sort_onesweep_config_selectorIdlEEZZNS1_29radix_sort_onesweep_iterationIS3_Lb0EPdS7_N6thrust23THRUST_200600_302600_NS10device_ptrIlEESB_jNS0_19identity_decomposerENS1_16block_id_wrapperIjLb0EEEEE10hipError_tT1_PNSt15iterator_traitsISG_E10value_typeET2_T3_PNSH_ISM_E10value_typeET4_T5_PSR_SS_PNS1_23onesweep_lookback_stateEbbT6_jjT7_P12ihipStream_tbENKUlT_T0_SG_SL_E_clIS7_S7_PlSB_EEDaSZ_S10_SG_SL_EUlSZ_E_NS1_11comp_targetILNS1_3genE4ELNS1_11target_archE910ELNS1_3gpuE8ELNS1_3repE0EEENS1_47radix_sort_onesweep_sort_config_static_selectorELNS0_4arch9wavefront6targetE1EEEvSG_,"axG",@progbits,_ZN7rocprim17ROCPRIM_400000_NS6detail17trampoline_kernelINS0_14default_configENS1_35radix_sort_onesweep_config_selectorIdlEEZZNS1_29radix_sort_onesweep_iterationIS3_Lb0EPdS7_N6thrust23THRUST_200600_302600_NS10device_ptrIlEESB_jNS0_19identity_decomposerENS1_16block_id_wrapperIjLb0EEEEE10hipError_tT1_PNSt15iterator_traitsISG_E10value_typeET2_T3_PNSH_ISM_E10value_typeET4_T5_PSR_SS_PNS1_23onesweep_lookback_stateEbbT6_jjT7_P12ihipStream_tbENKUlT_T0_SG_SL_E_clIS7_S7_PlSB_EEDaSZ_S10_SG_SL_EUlSZ_E_NS1_11comp_targetILNS1_3genE4ELNS1_11target_archE910ELNS1_3gpuE8ELNS1_3repE0EEENS1_47radix_sort_onesweep_sort_config_static_selectorELNS0_4arch9wavefront6targetE1EEEvSG_,comdat
.Lfunc_end1665:
	.size	_ZN7rocprim17ROCPRIM_400000_NS6detail17trampoline_kernelINS0_14default_configENS1_35radix_sort_onesweep_config_selectorIdlEEZZNS1_29radix_sort_onesweep_iterationIS3_Lb0EPdS7_N6thrust23THRUST_200600_302600_NS10device_ptrIlEESB_jNS0_19identity_decomposerENS1_16block_id_wrapperIjLb0EEEEE10hipError_tT1_PNSt15iterator_traitsISG_E10value_typeET2_T3_PNSH_ISM_E10value_typeET4_T5_PSR_SS_PNS1_23onesweep_lookback_stateEbbT6_jjT7_P12ihipStream_tbENKUlT_T0_SG_SL_E_clIS7_S7_PlSB_EEDaSZ_S10_SG_SL_EUlSZ_E_NS1_11comp_targetILNS1_3genE4ELNS1_11target_archE910ELNS1_3gpuE8ELNS1_3repE0EEENS1_47radix_sort_onesweep_sort_config_static_selectorELNS0_4arch9wavefront6targetE1EEEvSG_, .Lfunc_end1665-_ZN7rocprim17ROCPRIM_400000_NS6detail17trampoline_kernelINS0_14default_configENS1_35radix_sort_onesweep_config_selectorIdlEEZZNS1_29radix_sort_onesweep_iterationIS3_Lb0EPdS7_N6thrust23THRUST_200600_302600_NS10device_ptrIlEESB_jNS0_19identity_decomposerENS1_16block_id_wrapperIjLb0EEEEE10hipError_tT1_PNSt15iterator_traitsISG_E10value_typeET2_T3_PNSH_ISM_E10value_typeET4_T5_PSR_SS_PNS1_23onesweep_lookback_stateEbbT6_jjT7_P12ihipStream_tbENKUlT_T0_SG_SL_E_clIS7_S7_PlSB_EEDaSZ_S10_SG_SL_EUlSZ_E_NS1_11comp_targetILNS1_3genE4ELNS1_11target_archE910ELNS1_3gpuE8ELNS1_3repE0EEENS1_47radix_sort_onesweep_sort_config_static_selectorELNS0_4arch9wavefront6targetE1EEEvSG_
                                        ; -- End function
	.section	.AMDGPU.csdata,"",@progbits
; Kernel info:
; codeLenInByte = 13720
; NumSgprs: 57
; NumVgprs: 57
; NumAgprs: 0
; TotalNumVgprs: 57
; ScratchSize: 0
; MemoryBound: 0
; FloatMode: 240
; IeeeMode: 1
; LDSByteSize: 20552 bytes/workgroup (compile time only)
; SGPRBlocks: 7
; VGPRBlocks: 7
; NumSGPRsForWavesPerEU: 57
; NumVGPRsForWavesPerEU: 57
; AccumOffset: 60
; Occupancy: 8
; WaveLimiterHint : 1
; COMPUTE_PGM_RSRC2:SCRATCH_EN: 0
; COMPUTE_PGM_RSRC2:USER_SGPR: 6
; COMPUTE_PGM_RSRC2:TRAP_HANDLER: 0
; COMPUTE_PGM_RSRC2:TGID_X_EN: 1
; COMPUTE_PGM_RSRC2:TGID_Y_EN: 0
; COMPUTE_PGM_RSRC2:TGID_Z_EN: 0
; COMPUTE_PGM_RSRC2:TIDIG_COMP_CNT: 2
; COMPUTE_PGM_RSRC3_GFX90A:ACCUM_OFFSET: 14
; COMPUTE_PGM_RSRC3_GFX90A:TG_SPLIT: 0
	.section	.text._ZN7rocprim17ROCPRIM_400000_NS6detail17trampoline_kernelINS0_14default_configENS1_35radix_sort_onesweep_config_selectorIdlEEZZNS1_29radix_sort_onesweep_iterationIS3_Lb0EPdS7_N6thrust23THRUST_200600_302600_NS10device_ptrIlEESB_jNS0_19identity_decomposerENS1_16block_id_wrapperIjLb0EEEEE10hipError_tT1_PNSt15iterator_traitsISG_E10value_typeET2_T3_PNSH_ISM_E10value_typeET4_T5_PSR_SS_PNS1_23onesweep_lookback_stateEbbT6_jjT7_P12ihipStream_tbENKUlT_T0_SG_SL_E_clIS7_S7_PlSB_EEDaSZ_S10_SG_SL_EUlSZ_E_NS1_11comp_targetILNS1_3genE3ELNS1_11target_archE908ELNS1_3gpuE7ELNS1_3repE0EEENS1_47radix_sort_onesweep_sort_config_static_selectorELNS0_4arch9wavefront6targetE1EEEvSG_,"axG",@progbits,_ZN7rocprim17ROCPRIM_400000_NS6detail17trampoline_kernelINS0_14default_configENS1_35radix_sort_onesweep_config_selectorIdlEEZZNS1_29radix_sort_onesweep_iterationIS3_Lb0EPdS7_N6thrust23THRUST_200600_302600_NS10device_ptrIlEESB_jNS0_19identity_decomposerENS1_16block_id_wrapperIjLb0EEEEE10hipError_tT1_PNSt15iterator_traitsISG_E10value_typeET2_T3_PNSH_ISM_E10value_typeET4_T5_PSR_SS_PNS1_23onesweep_lookback_stateEbbT6_jjT7_P12ihipStream_tbENKUlT_T0_SG_SL_E_clIS7_S7_PlSB_EEDaSZ_S10_SG_SL_EUlSZ_E_NS1_11comp_targetILNS1_3genE3ELNS1_11target_archE908ELNS1_3gpuE7ELNS1_3repE0EEENS1_47radix_sort_onesweep_sort_config_static_selectorELNS0_4arch9wavefront6targetE1EEEvSG_,comdat
	.protected	_ZN7rocprim17ROCPRIM_400000_NS6detail17trampoline_kernelINS0_14default_configENS1_35radix_sort_onesweep_config_selectorIdlEEZZNS1_29radix_sort_onesweep_iterationIS3_Lb0EPdS7_N6thrust23THRUST_200600_302600_NS10device_ptrIlEESB_jNS0_19identity_decomposerENS1_16block_id_wrapperIjLb0EEEEE10hipError_tT1_PNSt15iterator_traitsISG_E10value_typeET2_T3_PNSH_ISM_E10value_typeET4_T5_PSR_SS_PNS1_23onesweep_lookback_stateEbbT6_jjT7_P12ihipStream_tbENKUlT_T0_SG_SL_E_clIS7_S7_PlSB_EEDaSZ_S10_SG_SL_EUlSZ_E_NS1_11comp_targetILNS1_3genE3ELNS1_11target_archE908ELNS1_3gpuE7ELNS1_3repE0EEENS1_47radix_sort_onesweep_sort_config_static_selectorELNS0_4arch9wavefront6targetE1EEEvSG_ ; -- Begin function _ZN7rocprim17ROCPRIM_400000_NS6detail17trampoline_kernelINS0_14default_configENS1_35radix_sort_onesweep_config_selectorIdlEEZZNS1_29radix_sort_onesweep_iterationIS3_Lb0EPdS7_N6thrust23THRUST_200600_302600_NS10device_ptrIlEESB_jNS0_19identity_decomposerENS1_16block_id_wrapperIjLb0EEEEE10hipError_tT1_PNSt15iterator_traitsISG_E10value_typeET2_T3_PNSH_ISM_E10value_typeET4_T5_PSR_SS_PNS1_23onesweep_lookback_stateEbbT6_jjT7_P12ihipStream_tbENKUlT_T0_SG_SL_E_clIS7_S7_PlSB_EEDaSZ_S10_SG_SL_EUlSZ_E_NS1_11comp_targetILNS1_3genE3ELNS1_11target_archE908ELNS1_3gpuE7ELNS1_3repE0EEENS1_47radix_sort_onesweep_sort_config_static_selectorELNS0_4arch9wavefront6targetE1EEEvSG_
	.globl	_ZN7rocprim17ROCPRIM_400000_NS6detail17trampoline_kernelINS0_14default_configENS1_35radix_sort_onesweep_config_selectorIdlEEZZNS1_29radix_sort_onesweep_iterationIS3_Lb0EPdS7_N6thrust23THRUST_200600_302600_NS10device_ptrIlEESB_jNS0_19identity_decomposerENS1_16block_id_wrapperIjLb0EEEEE10hipError_tT1_PNSt15iterator_traitsISG_E10value_typeET2_T3_PNSH_ISM_E10value_typeET4_T5_PSR_SS_PNS1_23onesweep_lookback_stateEbbT6_jjT7_P12ihipStream_tbENKUlT_T0_SG_SL_E_clIS7_S7_PlSB_EEDaSZ_S10_SG_SL_EUlSZ_E_NS1_11comp_targetILNS1_3genE3ELNS1_11target_archE908ELNS1_3gpuE7ELNS1_3repE0EEENS1_47radix_sort_onesweep_sort_config_static_selectorELNS0_4arch9wavefront6targetE1EEEvSG_
	.p2align	8
	.type	_ZN7rocprim17ROCPRIM_400000_NS6detail17trampoline_kernelINS0_14default_configENS1_35radix_sort_onesweep_config_selectorIdlEEZZNS1_29radix_sort_onesweep_iterationIS3_Lb0EPdS7_N6thrust23THRUST_200600_302600_NS10device_ptrIlEESB_jNS0_19identity_decomposerENS1_16block_id_wrapperIjLb0EEEEE10hipError_tT1_PNSt15iterator_traitsISG_E10value_typeET2_T3_PNSH_ISM_E10value_typeET4_T5_PSR_SS_PNS1_23onesweep_lookback_stateEbbT6_jjT7_P12ihipStream_tbENKUlT_T0_SG_SL_E_clIS7_S7_PlSB_EEDaSZ_S10_SG_SL_EUlSZ_E_NS1_11comp_targetILNS1_3genE3ELNS1_11target_archE908ELNS1_3gpuE7ELNS1_3repE0EEENS1_47radix_sort_onesweep_sort_config_static_selectorELNS0_4arch9wavefront6targetE1EEEvSG_,@function
_ZN7rocprim17ROCPRIM_400000_NS6detail17trampoline_kernelINS0_14default_configENS1_35radix_sort_onesweep_config_selectorIdlEEZZNS1_29radix_sort_onesweep_iterationIS3_Lb0EPdS7_N6thrust23THRUST_200600_302600_NS10device_ptrIlEESB_jNS0_19identity_decomposerENS1_16block_id_wrapperIjLb0EEEEE10hipError_tT1_PNSt15iterator_traitsISG_E10value_typeET2_T3_PNSH_ISM_E10value_typeET4_T5_PSR_SS_PNS1_23onesweep_lookback_stateEbbT6_jjT7_P12ihipStream_tbENKUlT_T0_SG_SL_E_clIS7_S7_PlSB_EEDaSZ_S10_SG_SL_EUlSZ_E_NS1_11comp_targetILNS1_3genE3ELNS1_11target_archE908ELNS1_3gpuE7ELNS1_3repE0EEENS1_47radix_sort_onesweep_sort_config_static_selectorELNS0_4arch9wavefront6targetE1EEEvSG_: ; @_ZN7rocprim17ROCPRIM_400000_NS6detail17trampoline_kernelINS0_14default_configENS1_35radix_sort_onesweep_config_selectorIdlEEZZNS1_29radix_sort_onesweep_iterationIS3_Lb0EPdS7_N6thrust23THRUST_200600_302600_NS10device_ptrIlEESB_jNS0_19identity_decomposerENS1_16block_id_wrapperIjLb0EEEEE10hipError_tT1_PNSt15iterator_traitsISG_E10value_typeET2_T3_PNSH_ISM_E10value_typeET4_T5_PSR_SS_PNS1_23onesweep_lookback_stateEbbT6_jjT7_P12ihipStream_tbENKUlT_T0_SG_SL_E_clIS7_S7_PlSB_EEDaSZ_S10_SG_SL_EUlSZ_E_NS1_11comp_targetILNS1_3genE3ELNS1_11target_archE908ELNS1_3gpuE7ELNS1_3repE0EEENS1_47radix_sort_onesweep_sort_config_static_selectorELNS0_4arch9wavefront6targetE1EEEvSG_
; %bb.0:
	.section	.rodata,"a",@progbits
	.p2align	6, 0x0
	.amdhsa_kernel _ZN7rocprim17ROCPRIM_400000_NS6detail17trampoline_kernelINS0_14default_configENS1_35radix_sort_onesweep_config_selectorIdlEEZZNS1_29radix_sort_onesweep_iterationIS3_Lb0EPdS7_N6thrust23THRUST_200600_302600_NS10device_ptrIlEESB_jNS0_19identity_decomposerENS1_16block_id_wrapperIjLb0EEEEE10hipError_tT1_PNSt15iterator_traitsISG_E10value_typeET2_T3_PNSH_ISM_E10value_typeET4_T5_PSR_SS_PNS1_23onesweep_lookback_stateEbbT6_jjT7_P12ihipStream_tbENKUlT_T0_SG_SL_E_clIS7_S7_PlSB_EEDaSZ_S10_SG_SL_EUlSZ_E_NS1_11comp_targetILNS1_3genE3ELNS1_11target_archE908ELNS1_3gpuE7ELNS1_3repE0EEENS1_47radix_sort_onesweep_sort_config_static_selectorELNS0_4arch9wavefront6targetE1EEEvSG_
		.amdhsa_group_segment_fixed_size 0
		.amdhsa_private_segment_fixed_size 0
		.amdhsa_kernarg_size 88
		.amdhsa_user_sgpr_count 6
		.amdhsa_user_sgpr_private_segment_buffer 1
		.amdhsa_user_sgpr_dispatch_ptr 0
		.amdhsa_user_sgpr_queue_ptr 0
		.amdhsa_user_sgpr_kernarg_segment_ptr 1
		.amdhsa_user_sgpr_dispatch_id 0
		.amdhsa_user_sgpr_flat_scratch_init 0
		.amdhsa_user_sgpr_kernarg_preload_length 0
		.amdhsa_user_sgpr_kernarg_preload_offset 0
		.amdhsa_user_sgpr_private_segment_size 0
		.amdhsa_uses_dynamic_stack 0
		.amdhsa_system_sgpr_private_segment_wavefront_offset 0
		.amdhsa_system_sgpr_workgroup_id_x 1
		.amdhsa_system_sgpr_workgroup_id_y 0
		.amdhsa_system_sgpr_workgroup_id_z 0
		.amdhsa_system_sgpr_workgroup_info 0
		.amdhsa_system_vgpr_workitem_id 0
		.amdhsa_next_free_vgpr 1
		.amdhsa_next_free_sgpr 0
		.amdhsa_accum_offset 4
		.amdhsa_reserve_vcc 0
		.amdhsa_reserve_flat_scratch 0
		.amdhsa_float_round_mode_32 0
		.amdhsa_float_round_mode_16_64 0
		.amdhsa_float_denorm_mode_32 3
		.amdhsa_float_denorm_mode_16_64 3
		.amdhsa_dx10_clamp 1
		.amdhsa_ieee_mode 1
		.amdhsa_fp16_overflow 0
		.amdhsa_tg_split 0
		.amdhsa_exception_fp_ieee_invalid_op 0
		.amdhsa_exception_fp_denorm_src 0
		.amdhsa_exception_fp_ieee_div_zero 0
		.amdhsa_exception_fp_ieee_overflow 0
		.amdhsa_exception_fp_ieee_underflow 0
		.amdhsa_exception_fp_ieee_inexact 0
		.amdhsa_exception_int_div_zero 0
	.end_amdhsa_kernel
	.section	.text._ZN7rocprim17ROCPRIM_400000_NS6detail17trampoline_kernelINS0_14default_configENS1_35radix_sort_onesweep_config_selectorIdlEEZZNS1_29radix_sort_onesweep_iterationIS3_Lb0EPdS7_N6thrust23THRUST_200600_302600_NS10device_ptrIlEESB_jNS0_19identity_decomposerENS1_16block_id_wrapperIjLb0EEEEE10hipError_tT1_PNSt15iterator_traitsISG_E10value_typeET2_T3_PNSH_ISM_E10value_typeET4_T5_PSR_SS_PNS1_23onesweep_lookback_stateEbbT6_jjT7_P12ihipStream_tbENKUlT_T0_SG_SL_E_clIS7_S7_PlSB_EEDaSZ_S10_SG_SL_EUlSZ_E_NS1_11comp_targetILNS1_3genE3ELNS1_11target_archE908ELNS1_3gpuE7ELNS1_3repE0EEENS1_47radix_sort_onesweep_sort_config_static_selectorELNS0_4arch9wavefront6targetE1EEEvSG_,"axG",@progbits,_ZN7rocprim17ROCPRIM_400000_NS6detail17trampoline_kernelINS0_14default_configENS1_35radix_sort_onesweep_config_selectorIdlEEZZNS1_29radix_sort_onesweep_iterationIS3_Lb0EPdS7_N6thrust23THRUST_200600_302600_NS10device_ptrIlEESB_jNS0_19identity_decomposerENS1_16block_id_wrapperIjLb0EEEEE10hipError_tT1_PNSt15iterator_traitsISG_E10value_typeET2_T3_PNSH_ISM_E10value_typeET4_T5_PSR_SS_PNS1_23onesweep_lookback_stateEbbT6_jjT7_P12ihipStream_tbENKUlT_T0_SG_SL_E_clIS7_S7_PlSB_EEDaSZ_S10_SG_SL_EUlSZ_E_NS1_11comp_targetILNS1_3genE3ELNS1_11target_archE908ELNS1_3gpuE7ELNS1_3repE0EEENS1_47radix_sort_onesweep_sort_config_static_selectorELNS0_4arch9wavefront6targetE1EEEvSG_,comdat
.Lfunc_end1666:
	.size	_ZN7rocprim17ROCPRIM_400000_NS6detail17trampoline_kernelINS0_14default_configENS1_35radix_sort_onesweep_config_selectorIdlEEZZNS1_29radix_sort_onesweep_iterationIS3_Lb0EPdS7_N6thrust23THRUST_200600_302600_NS10device_ptrIlEESB_jNS0_19identity_decomposerENS1_16block_id_wrapperIjLb0EEEEE10hipError_tT1_PNSt15iterator_traitsISG_E10value_typeET2_T3_PNSH_ISM_E10value_typeET4_T5_PSR_SS_PNS1_23onesweep_lookback_stateEbbT6_jjT7_P12ihipStream_tbENKUlT_T0_SG_SL_E_clIS7_S7_PlSB_EEDaSZ_S10_SG_SL_EUlSZ_E_NS1_11comp_targetILNS1_3genE3ELNS1_11target_archE908ELNS1_3gpuE7ELNS1_3repE0EEENS1_47radix_sort_onesweep_sort_config_static_selectorELNS0_4arch9wavefront6targetE1EEEvSG_, .Lfunc_end1666-_ZN7rocprim17ROCPRIM_400000_NS6detail17trampoline_kernelINS0_14default_configENS1_35radix_sort_onesweep_config_selectorIdlEEZZNS1_29radix_sort_onesweep_iterationIS3_Lb0EPdS7_N6thrust23THRUST_200600_302600_NS10device_ptrIlEESB_jNS0_19identity_decomposerENS1_16block_id_wrapperIjLb0EEEEE10hipError_tT1_PNSt15iterator_traitsISG_E10value_typeET2_T3_PNSH_ISM_E10value_typeET4_T5_PSR_SS_PNS1_23onesweep_lookback_stateEbbT6_jjT7_P12ihipStream_tbENKUlT_T0_SG_SL_E_clIS7_S7_PlSB_EEDaSZ_S10_SG_SL_EUlSZ_E_NS1_11comp_targetILNS1_3genE3ELNS1_11target_archE908ELNS1_3gpuE7ELNS1_3repE0EEENS1_47radix_sort_onesweep_sort_config_static_selectorELNS0_4arch9wavefront6targetE1EEEvSG_
                                        ; -- End function
	.section	.AMDGPU.csdata,"",@progbits
; Kernel info:
; codeLenInByte = 0
; NumSgprs: 4
; NumVgprs: 0
; NumAgprs: 0
; TotalNumVgprs: 0
; ScratchSize: 0
; MemoryBound: 0
; FloatMode: 240
; IeeeMode: 1
; LDSByteSize: 0 bytes/workgroup (compile time only)
; SGPRBlocks: 0
; VGPRBlocks: 0
; NumSGPRsForWavesPerEU: 4
; NumVGPRsForWavesPerEU: 1
; AccumOffset: 4
; Occupancy: 8
; WaveLimiterHint : 0
; COMPUTE_PGM_RSRC2:SCRATCH_EN: 0
; COMPUTE_PGM_RSRC2:USER_SGPR: 6
; COMPUTE_PGM_RSRC2:TRAP_HANDLER: 0
; COMPUTE_PGM_RSRC2:TGID_X_EN: 1
; COMPUTE_PGM_RSRC2:TGID_Y_EN: 0
; COMPUTE_PGM_RSRC2:TGID_Z_EN: 0
; COMPUTE_PGM_RSRC2:TIDIG_COMP_CNT: 0
; COMPUTE_PGM_RSRC3_GFX90A:ACCUM_OFFSET: 0
; COMPUTE_PGM_RSRC3_GFX90A:TG_SPLIT: 0
	.section	.text._ZN7rocprim17ROCPRIM_400000_NS6detail17trampoline_kernelINS0_14default_configENS1_35radix_sort_onesweep_config_selectorIdlEEZZNS1_29radix_sort_onesweep_iterationIS3_Lb0EPdS7_N6thrust23THRUST_200600_302600_NS10device_ptrIlEESB_jNS0_19identity_decomposerENS1_16block_id_wrapperIjLb0EEEEE10hipError_tT1_PNSt15iterator_traitsISG_E10value_typeET2_T3_PNSH_ISM_E10value_typeET4_T5_PSR_SS_PNS1_23onesweep_lookback_stateEbbT6_jjT7_P12ihipStream_tbENKUlT_T0_SG_SL_E_clIS7_S7_PlSB_EEDaSZ_S10_SG_SL_EUlSZ_E_NS1_11comp_targetILNS1_3genE10ELNS1_11target_archE1201ELNS1_3gpuE5ELNS1_3repE0EEENS1_47radix_sort_onesweep_sort_config_static_selectorELNS0_4arch9wavefront6targetE1EEEvSG_,"axG",@progbits,_ZN7rocprim17ROCPRIM_400000_NS6detail17trampoline_kernelINS0_14default_configENS1_35radix_sort_onesweep_config_selectorIdlEEZZNS1_29radix_sort_onesweep_iterationIS3_Lb0EPdS7_N6thrust23THRUST_200600_302600_NS10device_ptrIlEESB_jNS0_19identity_decomposerENS1_16block_id_wrapperIjLb0EEEEE10hipError_tT1_PNSt15iterator_traitsISG_E10value_typeET2_T3_PNSH_ISM_E10value_typeET4_T5_PSR_SS_PNS1_23onesweep_lookback_stateEbbT6_jjT7_P12ihipStream_tbENKUlT_T0_SG_SL_E_clIS7_S7_PlSB_EEDaSZ_S10_SG_SL_EUlSZ_E_NS1_11comp_targetILNS1_3genE10ELNS1_11target_archE1201ELNS1_3gpuE5ELNS1_3repE0EEENS1_47radix_sort_onesweep_sort_config_static_selectorELNS0_4arch9wavefront6targetE1EEEvSG_,comdat
	.protected	_ZN7rocprim17ROCPRIM_400000_NS6detail17trampoline_kernelINS0_14default_configENS1_35radix_sort_onesweep_config_selectorIdlEEZZNS1_29radix_sort_onesweep_iterationIS3_Lb0EPdS7_N6thrust23THRUST_200600_302600_NS10device_ptrIlEESB_jNS0_19identity_decomposerENS1_16block_id_wrapperIjLb0EEEEE10hipError_tT1_PNSt15iterator_traitsISG_E10value_typeET2_T3_PNSH_ISM_E10value_typeET4_T5_PSR_SS_PNS1_23onesweep_lookback_stateEbbT6_jjT7_P12ihipStream_tbENKUlT_T0_SG_SL_E_clIS7_S7_PlSB_EEDaSZ_S10_SG_SL_EUlSZ_E_NS1_11comp_targetILNS1_3genE10ELNS1_11target_archE1201ELNS1_3gpuE5ELNS1_3repE0EEENS1_47radix_sort_onesweep_sort_config_static_selectorELNS0_4arch9wavefront6targetE1EEEvSG_ ; -- Begin function _ZN7rocprim17ROCPRIM_400000_NS6detail17trampoline_kernelINS0_14default_configENS1_35radix_sort_onesweep_config_selectorIdlEEZZNS1_29radix_sort_onesweep_iterationIS3_Lb0EPdS7_N6thrust23THRUST_200600_302600_NS10device_ptrIlEESB_jNS0_19identity_decomposerENS1_16block_id_wrapperIjLb0EEEEE10hipError_tT1_PNSt15iterator_traitsISG_E10value_typeET2_T3_PNSH_ISM_E10value_typeET4_T5_PSR_SS_PNS1_23onesweep_lookback_stateEbbT6_jjT7_P12ihipStream_tbENKUlT_T0_SG_SL_E_clIS7_S7_PlSB_EEDaSZ_S10_SG_SL_EUlSZ_E_NS1_11comp_targetILNS1_3genE10ELNS1_11target_archE1201ELNS1_3gpuE5ELNS1_3repE0EEENS1_47radix_sort_onesweep_sort_config_static_selectorELNS0_4arch9wavefront6targetE1EEEvSG_
	.globl	_ZN7rocprim17ROCPRIM_400000_NS6detail17trampoline_kernelINS0_14default_configENS1_35radix_sort_onesweep_config_selectorIdlEEZZNS1_29radix_sort_onesweep_iterationIS3_Lb0EPdS7_N6thrust23THRUST_200600_302600_NS10device_ptrIlEESB_jNS0_19identity_decomposerENS1_16block_id_wrapperIjLb0EEEEE10hipError_tT1_PNSt15iterator_traitsISG_E10value_typeET2_T3_PNSH_ISM_E10value_typeET4_T5_PSR_SS_PNS1_23onesweep_lookback_stateEbbT6_jjT7_P12ihipStream_tbENKUlT_T0_SG_SL_E_clIS7_S7_PlSB_EEDaSZ_S10_SG_SL_EUlSZ_E_NS1_11comp_targetILNS1_3genE10ELNS1_11target_archE1201ELNS1_3gpuE5ELNS1_3repE0EEENS1_47radix_sort_onesweep_sort_config_static_selectorELNS0_4arch9wavefront6targetE1EEEvSG_
	.p2align	8
	.type	_ZN7rocprim17ROCPRIM_400000_NS6detail17trampoline_kernelINS0_14default_configENS1_35radix_sort_onesweep_config_selectorIdlEEZZNS1_29radix_sort_onesweep_iterationIS3_Lb0EPdS7_N6thrust23THRUST_200600_302600_NS10device_ptrIlEESB_jNS0_19identity_decomposerENS1_16block_id_wrapperIjLb0EEEEE10hipError_tT1_PNSt15iterator_traitsISG_E10value_typeET2_T3_PNSH_ISM_E10value_typeET4_T5_PSR_SS_PNS1_23onesweep_lookback_stateEbbT6_jjT7_P12ihipStream_tbENKUlT_T0_SG_SL_E_clIS7_S7_PlSB_EEDaSZ_S10_SG_SL_EUlSZ_E_NS1_11comp_targetILNS1_3genE10ELNS1_11target_archE1201ELNS1_3gpuE5ELNS1_3repE0EEENS1_47radix_sort_onesweep_sort_config_static_selectorELNS0_4arch9wavefront6targetE1EEEvSG_,@function
_ZN7rocprim17ROCPRIM_400000_NS6detail17trampoline_kernelINS0_14default_configENS1_35radix_sort_onesweep_config_selectorIdlEEZZNS1_29radix_sort_onesweep_iterationIS3_Lb0EPdS7_N6thrust23THRUST_200600_302600_NS10device_ptrIlEESB_jNS0_19identity_decomposerENS1_16block_id_wrapperIjLb0EEEEE10hipError_tT1_PNSt15iterator_traitsISG_E10value_typeET2_T3_PNSH_ISM_E10value_typeET4_T5_PSR_SS_PNS1_23onesweep_lookback_stateEbbT6_jjT7_P12ihipStream_tbENKUlT_T0_SG_SL_E_clIS7_S7_PlSB_EEDaSZ_S10_SG_SL_EUlSZ_E_NS1_11comp_targetILNS1_3genE10ELNS1_11target_archE1201ELNS1_3gpuE5ELNS1_3repE0EEENS1_47radix_sort_onesweep_sort_config_static_selectorELNS0_4arch9wavefront6targetE1EEEvSG_: ; @_ZN7rocprim17ROCPRIM_400000_NS6detail17trampoline_kernelINS0_14default_configENS1_35radix_sort_onesweep_config_selectorIdlEEZZNS1_29radix_sort_onesweep_iterationIS3_Lb0EPdS7_N6thrust23THRUST_200600_302600_NS10device_ptrIlEESB_jNS0_19identity_decomposerENS1_16block_id_wrapperIjLb0EEEEE10hipError_tT1_PNSt15iterator_traitsISG_E10value_typeET2_T3_PNSH_ISM_E10value_typeET4_T5_PSR_SS_PNS1_23onesweep_lookback_stateEbbT6_jjT7_P12ihipStream_tbENKUlT_T0_SG_SL_E_clIS7_S7_PlSB_EEDaSZ_S10_SG_SL_EUlSZ_E_NS1_11comp_targetILNS1_3genE10ELNS1_11target_archE1201ELNS1_3gpuE5ELNS1_3repE0EEENS1_47radix_sort_onesweep_sort_config_static_selectorELNS0_4arch9wavefront6targetE1EEEvSG_
; %bb.0:
	.section	.rodata,"a",@progbits
	.p2align	6, 0x0
	.amdhsa_kernel _ZN7rocprim17ROCPRIM_400000_NS6detail17trampoline_kernelINS0_14default_configENS1_35radix_sort_onesweep_config_selectorIdlEEZZNS1_29radix_sort_onesweep_iterationIS3_Lb0EPdS7_N6thrust23THRUST_200600_302600_NS10device_ptrIlEESB_jNS0_19identity_decomposerENS1_16block_id_wrapperIjLb0EEEEE10hipError_tT1_PNSt15iterator_traitsISG_E10value_typeET2_T3_PNSH_ISM_E10value_typeET4_T5_PSR_SS_PNS1_23onesweep_lookback_stateEbbT6_jjT7_P12ihipStream_tbENKUlT_T0_SG_SL_E_clIS7_S7_PlSB_EEDaSZ_S10_SG_SL_EUlSZ_E_NS1_11comp_targetILNS1_3genE10ELNS1_11target_archE1201ELNS1_3gpuE5ELNS1_3repE0EEENS1_47radix_sort_onesweep_sort_config_static_selectorELNS0_4arch9wavefront6targetE1EEEvSG_
		.amdhsa_group_segment_fixed_size 0
		.amdhsa_private_segment_fixed_size 0
		.amdhsa_kernarg_size 88
		.amdhsa_user_sgpr_count 6
		.amdhsa_user_sgpr_private_segment_buffer 1
		.amdhsa_user_sgpr_dispatch_ptr 0
		.amdhsa_user_sgpr_queue_ptr 0
		.amdhsa_user_sgpr_kernarg_segment_ptr 1
		.amdhsa_user_sgpr_dispatch_id 0
		.amdhsa_user_sgpr_flat_scratch_init 0
		.amdhsa_user_sgpr_kernarg_preload_length 0
		.amdhsa_user_sgpr_kernarg_preload_offset 0
		.amdhsa_user_sgpr_private_segment_size 0
		.amdhsa_uses_dynamic_stack 0
		.amdhsa_system_sgpr_private_segment_wavefront_offset 0
		.amdhsa_system_sgpr_workgroup_id_x 1
		.amdhsa_system_sgpr_workgroup_id_y 0
		.amdhsa_system_sgpr_workgroup_id_z 0
		.amdhsa_system_sgpr_workgroup_info 0
		.amdhsa_system_vgpr_workitem_id 0
		.amdhsa_next_free_vgpr 1
		.amdhsa_next_free_sgpr 0
		.amdhsa_accum_offset 4
		.amdhsa_reserve_vcc 0
		.amdhsa_reserve_flat_scratch 0
		.amdhsa_float_round_mode_32 0
		.amdhsa_float_round_mode_16_64 0
		.amdhsa_float_denorm_mode_32 3
		.amdhsa_float_denorm_mode_16_64 3
		.amdhsa_dx10_clamp 1
		.amdhsa_ieee_mode 1
		.amdhsa_fp16_overflow 0
		.amdhsa_tg_split 0
		.amdhsa_exception_fp_ieee_invalid_op 0
		.amdhsa_exception_fp_denorm_src 0
		.amdhsa_exception_fp_ieee_div_zero 0
		.amdhsa_exception_fp_ieee_overflow 0
		.amdhsa_exception_fp_ieee_underflow 0
		.amdhsa_exception_fp_ieee_inexact 0
		.amdhsa_exception_int_div_zero 0
	.end_amdhsa_kernel
	.section	.text._ZN7rocprim17ROCPRIM_400000_NS6detail17trampoline_kernelINS0_14default_configENS1_35radix_sort_onesweep_config_selectorIdlEEZZNS1_29radix_sort_onesweep_iterationIS3_Lb0EPdS7_N6thrust23THRUST_200600_302600_NS10device_ptrIlEESB_jNS0_19identity_decomposerENS1_16block_id_wrapperIjLb0EEEEE10hipError_tT1_PNSt15iterator_traitsISG_E10value_typeET2_T3_PNSH_ISM_E10value_typeET4_T5_PSR_SS_PNS1_23onesweep_lookback_stateEbbT6_jjT7_P12ihipStream_tbENKUlT_T0_SG_SL_E_clIS7_S7_PlSB_EEDaSZ_S10_SG_SL_EUlSZ_E_NS1_11comp_targetILNS1_3genE10ELNS1_11target_archE1201ELNS1_3gpuE5ELNS1_3repE0EEENS1_47radix_sort_onesweep_sort_config_static_selectorELNS0_4arch9wavefront6targetE1EEEvSG_,"axG",@progbits,_ZN7rocprim17ROCPRIM_400000_NS6detail17trampoline_kernelINS0_14default_configENS1_35radix_sort_onesweep_config_selectorIdlEEZZNS1_29radix_sort_onesweep_iterationIS3_Lb0EPdS7_N6thrust23THRUST_200600_302600_NS10device_ptrIlEESB_jNS0_19identity_decomposerENS1_16block_id_wrapperIjLb0EEEEE10hipError_tT1_PNSt15iterator_traitsISG_E10value_typeET2_T3_PNSH_ISM_E10value_typeET4_T5_PSR_SS_PNS1_23onesweep_lookback_stateEbbT6_jjT7_P12ihipStream_tbENKUlT_T0_SG_SL_E_clIS7_S7_PlSB_EEDaSZ_S10_SG_SL_EUlSZ_E_NS1_11comp_targetILNS1_3genE10ELNS1_11target_archE1201ELNS1_3gpuE5ELNS1_3repE0EEENS1_47radix_sort_onesweep_sort_config_static_selectorELNS0_4arch9wavefront6targetE1EEEvSG_,comdat
.Lfunc_end1667:
	.size	_ZN7rocprim17ROCPRIM_400000_NS6detail17trampoline_kernelINS0_14default_configENS1_35radix_sort_onesweep_config_selectorIdlEEZZNS1_29radix_sort_onesweep_iterationIS3_Lb0EPdS7_N6thrust23THRUST_200600_302600_NS10device_ptrIlEESB_jNS0_19identity_decomposerENS1_16block_id_wrapperIjLb0EEEEE10hipError_tT1_PNSt15iterator_traitsISG_E10value_typeET2_T3_PNSH_ISM_E10value_typeET4_T5_PSR_SS_PNS1_23onesweep_lookback_stateEbbT6_jjT7_P12ihipStream_tbENKUlT_T0_SG_SL_E_clIS7_S7_PlSB_EEDaSZ_S10_SG_SL_EUlSZ_E_NS1_11comp_targetILNS1_3genE10ELNS1_11target_archE1201ELNS1_3gpuE5ELNS1_3repE0EEENS1_47radix_sort_onesweep_sort_config_static_selectorELNS0_4arch9wavefront6targetE1EEEvSG_, .Lfunc_end1667-_ZN7rocprim17ROCPRIM_400000_NS6detail17trampoline_kernelINS0_14default_configENS1_35radix_sort_onesweep_config_selectorIdlEEZZNS1_29radix_sort_onesweep_iterationIS3_Lb0EPdS7_N6thrust23THRUST_200600_302600_NS10device_ptrIlEESB_jNS0_19identity_decomposerENS1_16block_id_wrapperIjLb0EEEEE10hipError_tT1_PNSt15iterator_traitsISG_E10value_typeET2_T3_PNSH_ISM_E10value_typeET4_T5_PSR_SS_PNS1_23onesweep_lookback_stateEbbT6_jjT7_P12ihipStream_tbENKUlT_T0_SG_SL_E_clIS7_S7_PlSB_EEDaSZ_S10_SG_SL_EUlSZ_E_NS1_11comp_targetILNS1_3genE10ELNS1_11target_archE1201ELNS1_3gpuE5ELNS1_3repE0EEENS1_47radix_sort_onesweep_sort_config_static_selectorELNS0_4arch9wavefront6targetE1EEEvSG_
                                        ; -- End function
	.section	.AMDGPU.csdata,"",@progbits
; Kernel info:
; codeLenInByte = 0
; NumSgprs: 4
; NumVgprs: 0
; NumAgprs: 0
; TotalNumVgprs: 0
; ScratchSize: 0
; MemoryBound: 0
; FloatMode: 240
; IeeeMode: 1
; LDSByteSize: 0 bytes/workgroup (compile time only)
; SGPRBlocks: 0
; VGPRBlocks: 0
; NumSGPRsForWavesPerEU: 4
; NumVGPRsForWavesPerEU: 1
; AccumOffset: 4
; Occupancy: 8
; WaveLimiterHint : 0
; COMPUTE_PGM_RSRC2:SCRATCH_EN: 0
; COMPUTE_PGM_RSRC2:USER_SGPR: 6
; COMPUTE_PGM_RSRC2:TRAP_HANDLER: 0
; COMPUTE_PGM_RSRC2:TGID_X_EN: 1
; COMPUTE_PGM_RSRC2:TGID_Y_EN: 0
; COMPUTE_PGM_RSRC2:TGID_Z_EN: 0
; COMPUTE_PGM_RSRC2:TIDIG_COMP_CNT: 0
; COMPUTE_PGM_RSRC3_GFX90A:ACCUM_OFFSET: 0
; COMPUTE_PGM_RSRC3_GFX90A:TG_SPLIT: 0
	.section	.text._ZN7rocprim17ROCPRIM_400000_NS6detail17trampoline_kernelINS0_14default_configENS1_35radix_sort_onesweep_config_selectorIdlEEZZNS1_29radix_sort_onesweep_iterationIS3_Lb0EPdS7_N6thrust23THRUST_200600_302600_NS10device_ptrIlEESB_jNS0_19identity_decomposerENS1_16block_id_wrapperIjLb0EEEEE10hipError_tT1_PNSt15iterator_traitsISG_E10value_typeET2_T3_PNSH_ISM_E10value_typeET4_T5_PSR_SS_PNS1_23onesweep_lookback_stateEbbT6_jjT7_P12ihipStream_tbENKUlT_T0_SG_SL_E_clIS7_S7_PlSB_EEDaSZ_S10_SG_SL_EUlSZ_E_NS1_11comp_targetILNS1_3genE9ELNS1_11target_archE1100ELNS1_3gpuE3ELNS1_3repE0EEENS1_47radix_sort_onesweep_sort_config_static_selectorELNS0_4arch9wavefront6targetE1EEEvSG_,"axG",@progbits,_ZN7rocprim17ROCPRIM_400000_NS6detail17trampoline_kernelINS0_14default_configENS1_35radix_sort_onesweep_config_selectorIdlEEZZNS1_29radix_sort_onesweep_iterationIS3_Lb0EPdS7_N6thrust23THRUST_200600_302600_NS10device_ptrIlEESB_jNS0_19identity_decomposerENS1_16block_id_wrapperIjLb0EEEEE10hipError_tT1_PNSt15iterator_traitsISG_E10value_typeET2_T3_PNSH_ISM_E10value_typeET4_T5_PSR_SS_PNS1_23onesweep_lookback_stateEbbT6_jjT7_P12ihipStream_tbENKUlT_T0_SG_SL_E_clIS7_S7_PlSB_EEDaSZ_S10_SG_SL_EUlSZ_E_NS1_11comp_targetILNS1_3genE9ELNS1_11target_archE1100ELNS1_3gpuE3ELNS1_3repE0EEENS1_47radix_sort_onesweep_sort_config_static_selectorELNS0_4arch9wavefront6targetE1EEEvSG_,comdat
	.protected	_ZN7rocprim17ROCPRIM_400000_NS6detail17trampoline_kernelINS0_14default_configENS1_35radix_sort_onesweep_config_selectorIdlEEZZNS1_29radix_sort_onesweep_iterationIS3_Lb0EPdS7_N6thrust23THRUST_200600_302600_NS10device_ptrIlEESB_jNS0_19identity_decomposerENS1_16block_id_wrapperIjLb0EEEEE10hipError_tT1_PNSt15iterator_traitsISG_E10value_typeET2_T3_PNSH_ISM_E10value_typeET4_T5_PSR_SS_PNS1_23onesweep_lookback_stateEbbT6_jjT7_P12ihipStream_tbENKUlT_T0_SG_SL_E_clIS7_S7_PlSB_EEDaSZ_S10_SG_SL_EUlSZ_E_NS1_11comp_targetILNS1_3genE9ELNS1_11target_archE1100ELNS1_3gpuE3ELNS1_3repE0EEENS1_47radix_sort_onesweep_sort_config_static_selectorELNS0_4arch9wavefront6targetE1EEEvSG_ ; -- Begin function _ZN7rocprim17ROCPRIM_400000_NS6detail17trampoline_kernelINS0_14default_configENS1_35radix_sort_onesweep_config_selectorIdlEEZZNS1_29radix_sort_onesweep_iterationIS3_Lb0EPdS7_N6thrust23THRUST_200600_302600_NS10device_ptrIlEESB_jNS0_19identity_decomposerENS1_16block_id_wrapperIjLb0EEEEE10hipError_tT1_PNSt15iterator_traitsISG_E10value_typeET2_T3_PNSH_ISM_E10value_typeET4_T5_PSR_SS_PNS1_23onesweep_lookback_stateEbbT6_jjT7_P12ihipStream_tbENKUlT_T0_SG_SL_E_clIS7_S7_PlSB_EEDaSZ_S10_SG_SL_EUlSZ_E_NS1_11comp_targetILNS1_3genE9ELNS1_11target_archE1100ELNS1_3gpuE3ELNS1_3repE0EEENS1_47radix_sort_onesweep_sort_config_static_selectorELNS0_4arch9wavefront6targetE1EEEvSG_
	.globl	_ZN7rocprim17ROCPRIM_400000_NS6detail17trampoline_kernelINS0_14default_configENS1_35radix_sort_onesweep_config_selectorIdlEEZZNS1_29radix_sort_onesweep_iterationIS3_Lb0EPdS7_N6thrust23THRUST_200600_302600_NS10device_ptrIlEESB_jNS0_19identity_decomposerENS1_16block_id_wrapperIjLb0EEEEE10hipError_tT1_PNSt15iterator_traitsISG_E10value_typeET2_T3_PNSH_ISM_E10value_typeET4_T5_PSR_SS_PNS1_23onesweep_lookback_stateEbbT6_jjT7_P12ihipStream_tbENKUlT_T0_SG_SL_E_clIS7_S7_PlSB_EEDaSZ_S10_SG_SL_EUlSZ_E_NS1_11comp_targetILNS1_3genE9ELNS1_11target_archE1100ELNS1_3gpuE3ELNS1_3repE0EEENS1_47radix_sort_onesweep_sort_config_static_selectorELNS0_4arch9wavefront6targetE1EEEvSG_
	.p2align	8
	.type	_ZN7rocprim17ROCPRIM_400000_NS6detail17trampoline_kernelINS0_14default_configENS1_35radix_sort_onesweep_config_selectorIdlEEZZNS1_29radix_sort_onesweep_iterationIS3_Lb0EPdS7_N6thrust23THRUST_200600_302600_NS10device_ptrIlEESB_jNS0_19identity_decomposerENS1_16block_id_wrapperIjLb0EEEEE10hipError_tT1_PNSt15iterator_traitsISG_E10value_typeET2_T3_PNSH_ISM_E10value_typeET4_T5_PSR_SS_PNS1_23onesweep_lookback_stateEbbT6_jjT7_P12ihipStream_tbENKUlT_T0_SG_SL_E_clIS7_S7_PlSB_EEDaSZ_S10_SG_SL_EUlSZ_E_NS1_11comp_targetILNS1_3genE9ELNS1_11target_archE1100ELNS1_3gpuE3ELNS1_3repE0EEENS1_47radix_sort_onesweep_sort_config_static_selectorELNS0_4arch9wavefront6targetE1EEEvSG_,@function
_ZN7rocprim17ROCPRIM_400000_NS6detail17trampoline_kernelINS0_14default_configENS1_35radix_sort_onesweep_config_selectorIdlEEZZNS1_29radix_sort_onesweep_iterationIS3_Lb0EPdS7_N6thrust23THRUST_200600_302600_NS10device_ptrIlEESB_jNS0_19identity_decomposerENS1_16block_id_wrapperIjLb0EEEEE10hipError_tT1_PNSt15iterator_traitsISG_E10value_typeET2_T3_PNSH_ISM_E10value_typeET4_T5_PSR_SS_PNS1_23onesweep_lookback_stateEbbT6_jjT7_P12ihipStream_tbENKUlT_T0_SG_SL_E_clIS7_S7_PlSB_EEDaSZ_S10_SG_SL_EUlSZ_E_NS1_11comp_targetILNS1_3genE9ELNS1_11target_archE1100ELNS1_3gpuE3ELNS1_3repE0EEENS1_47radix_sort_onesweep_sort_config_static_selectorELNS0_4arch9wavefront6targetE1EEEvSG_: ; @_ZN7rocprim17ROCPRIM_400000_NS6detail17trampoline_kernelINS0_14default_configENS1_35radix_sort_onesweep_config_selectorIdlEEZZNS1_29radix_sort_onesweep_iterationIS3_Lb0EPdS7_N6thrust23THRUST_200600_302600_NS10device_ptrIlEESB_jNS0_19identity_decomposerENS1_16block_id_wrapperIjLb0EEEEE10hipError_tT1_PNSt15iterator_traitsISG_E10value_typeET2_T3_PNSH_ISM_E10value_typeET4_T5_PSR_SS_PNS1_23onesweep_lookback_stateEbbT6_jjT7_P12ihipStream_tbENKUlT_T0_SG_SL_E_clIS7_S7_PlSB_EEDaSZ_S10_SG_SL_EUlSZ_E_NS1_11comp_targetILNS1_3genE9ELNS1_11target_archE1100ELNS1_3gpuE3ELNS1_3repE0EEENS1_47radix_sort_onesweep_sort_config_static_selectorELNS0_4arch9wavefront6targetE1EEEvSG_
; %bb.0:
	.section	.rodata,"a",@progbits
	.p2align	6, 0x0
	.amdhsa_kernel _ZN7rocprim17ROCPRIM_400000_NS6detail17trampoline_kernelINS0_14default_configENS1_35radix_sort_onesweep_config_selectorIdlEEZZNS1_29radix_sort_onesweep_iterationIS3_Lb0EPdS7_N6thrust23THRUST_200600_302600_NS10device_ptrIlEESB_jNS0_19identity_decomposerENS1_16block_id_wrapperIjLb0EEEEE10hipError_tT1_PNSt15iterator_traitsISG_E10value_typeET2_T3_PNSH_ISM_E10value_typeET4_T5_PSR_SS_PNS1_23onesweep_lookback_stateEbbT6_jjT7_P12ihipStream_tbENKUlT_T0_SG_SL_E_clIS7_S7_PlSB_EEDaSZ_S10_SG_SL_EUlSZ_E_NS1_11comp_targetILNS1_3genE9ELNS1_11target_archE1100ELNS1_3gpuE3ELNS1_3repE0EEENS1_47radix_sort_onesweep_sort_config_static_selectorELNS0_4arch9wavefront6targetE1EEEvSG_
		.amdhsa_group_segment_fixed_size 0
		.amdhsa_private_segment_fixed_size 0
		.amdhsa_kernarg_size 88
		.amdhsa_user_sgpr_count 6
		.amdhsa_user_sgpr_private_segment_buffer 1
		.amdhsa_user_sgpr_dispatch_ptr 0
		.amdhsa_user_sgpr_queue_ptr 0
		.amdhsa_user_sgpr_kernarg_segment_ptr 1
		.amdhsa_user_sgpr_dispatch_id 0
		.amdhsa_user_sgpr_flat_scratch_init 0
		.amdhsa_user_sgpr_kernarg_preload_length 0
		.amdhsa_user_sgpr_kernarg_preload_offset 0
		.amdhsa_user_sgpr_private_segment_size 0
		.amdhsa_uses_dynamic_stack 0
		.amdhsa_system_sgpr_private_segment_wavefront_offset 0
		.amdhsa_system_sgpr_workgroup_id_x 1
		.amdhsa_system_sgpr_workgroup_id_y 0
		.amdhsa_system_sgpr_workgroup_id_z 0
		.amdhsa_system_sgpr_workgroup_info 0
		.amdhsa_system_vgpr_workitem_id 0
		.amdhsa_next_free_vgpr 1
		.amdhsa_next_free_sgpr 0
		.amdhsa_accum_offset 4
		.amdhsa_reserve_vcc 0
		.amdhsa_reserve_flat_scratch 0
		.amdhsa_float_round_mode_32 0
		.amdhsa_float_round_mode_16_64 0
		.amdhsa_float_denorm_mode_32 3
		.amdhsa_float_denorm_mode_16_64 3
		.amdhsa_dx10_clamp 1
		.amdhsa_ieee_mode 1
		.amdhsa_fp16_overflow 0
		.amdhsa_tg_split 0
		.amdhsa_exception_fp_ieee_invalid_op 0
		.amdhsa_exception_fp_denorm_src 0
		.amdhsa_exception_fp_ieee_div_zero 0
		.amdhsa_exception_fp_ieee_overflow 0
		.amdhsa_exception_fp_ieee_underflow 0
		.amdhsa_exception_fp_ieee_inexact 0
		.amdhsa_exception_int_div_zero 0
	.end_amdhsa_kernel
	.section	.text._ZN7rocprim17ROCPRIM_400000_NS6detail17trampoline_kernelINS0_14default_configENS1_35radix_sort_onesweep_config_selectorIdlEEZZNS1_29radix_sort_onesweep_iterationIS3_Lb0EPdS7_N6thrust23THRUST_200600_302600_NS10device_ptrIlEESB_jNS0_19identity_decomposerENS1_16block_id_wrapperIjLb0EEEEE10hipError_tT1_PNSt15iterator_traitsISG_E10value_typeET2_T3_PNSH_ISM_E10value_typeET4_T5_PSR_SS_PNS1_23onesweep_lookback_stateEbbT6_jjT7_P12ihipStream_tbENKUlT_T0_SG_SL_E_clIS7_S7_PlSB_EEDaSZ_S10_SG_SL_EUlSZ_E_NS1_11comp_targetILNS1_3genE9ELNS1_11target_archE1100ELNS1_3gpuE3ELNS1_3repE0EEENS1_47radix_sort_onesweep_sort_config_static_selectorELNS0_4arch9wavefront6targetE1EEEvSG_,"axG",@progbits,_ZN7rocprim17ROCPRIM_400000_NS6detail17trampoline_kernelINS0_14default_configENS1_35radix_sort_onesweep_config_selectorIdlEEZZNS1_29radix_sort_onesweep_iterationIS3_Lb0EPdS7_N6thrust23THRUST_200600_302600_NS10device_ptrIlEESB_jNS0_19identity_decomposerENS1_16block_id_wrapperIjLb0EEEEE10hipError_tT1_PNSt15iterator_traitsISG_E10value_typeET2_T3_PNSH_ISM_E10value_typeET4_T5_PSR_SS_PNS1_23onesweep_lookback_stateEbbT6_jjT7_P12ihipStream_tbENKUlT_T0_SG_SL_E_clIS7_S7_PlSB_EEDaSZ_S10_SG_SL_EUlSZ_E_NS1_11comp_targetILNS1_3genE9ELNS1_11target_archE1100ELNS1_3gpuE3ELNS1_3repE0EEENS1_47radix_sort_onesweep_sort_config_static_selectorELNS0_4arch9wavefront6targetE1EEEvSG_,comdat
.Lfunc_end1668:
	.size	_ZN7rocprim17ROCPRIM_400000_NS6detail17trampoline_kernelINS0_14default_configENS1_35radix_sort_onesweep_config_selectorIdlEEZZNS1_29radix_sort_onesweep_iterationIS3_Lb0EPdS7_N6thrust23THRUST_200600_302600_NS10device_ptrIlEESB_jNS0_19identity_decomposerENS1_16block_id_wrapperIjLb0EEEEE10hipError_tT1_PNSt15iterator_traitsISG_E10value_typeET2_T3_PNSH_ISM_E10value_typeET4_T5_PSR_SS_PNS1_23onesweep_lookback_stateEbbT6_jjT7_P12ihipStream_tbENKUlT_T0_SG_SL_E_clIS7_S7_PlSB_EEDaSZ_S10_SG_SL_EUlSZ_E_NS1_11comp_targetILNS1_3genE9ELNS1_11target_archE1100ELNS1_3gpuE3ELNS1_3repE0EEENS1_47radix_sort_onesweep_sort_config_static_selectorELNS0_4arch9wavefront6targetE1EEEvSG_, .Lfunc_end1668-_ZN7rocprim17ROCPRIM_400000_NS6detail17trampoline_kernelINS0_14default_configENS1_35radix_sort_onesweep_config_selectorIdlEEZZNS1_29radix_sort_onesweep_iterationIS3_Lb0EPdS7_N6thrust23THRUST_200600_302600_NS10device_ptrIlEESB_jNS0_19identity_decomposerENS1_16block_id_wrapperIjLb0EEEEE10hipError_tT1_PNSt15iterator_traitsISG_E10value_typeET2_T3_PNSH_ISM_E10value_typeET4_T5_PSR_SS_PNS1_23onesweep_lookback_stateEbbT6_jjT7_P12ihipStream_tbENKUlT_T0_SG_SL_E_clIS7_S7_PlSB_EEDaSZ_S10_SG_SL_EUlSZ_E_NS1_11comp_targetILNS1_3genE9ELNS1_11target_archE1100ELNS1_3gpuE3ELNS1_3repE0EEENS1_47radix_sort_onesweep_sort_config_static_selectorELNS0_4arch9wavefront6targetE1EEEvSG_
                                        ; -- End function
	.section	.AMDGPU.csdata,"",@progbits
; Kernel info:
; codeLenInByte = 0
; NumSgprs: 4
; NumVgprs: 0
; NumAgprs: 0
; TotalNumVgprs: 0
; ScratchSize: 0
; MemoryBound: 0
; FloatMode: 240
; IeeeMode: 1
; LDSByteSize: 0 bytes/workgroup (compile time only)
; SGPRBlocks: 0
; VGPRBlocks: 0
; NumSGPRsForWavesPerEU: 4
; NumVGPRsForWavesPerEU: 1
; AccumOffset: 4
; Occupancy: 8
; WaveLimiterHint : 0
; COMPUTE_PGM_RSRC2:SCRATCH_EN: 0
; COMPUTE_PGM_RSRC2:USER_SGPR: 6
; COMPUTE_PGM_RSRC2:TRAP_HANDLER: 0
; COMPUTE_PGM_RSRC2:TGID_X_EN: 1
; COMPUTE_PGM_RSRC2:TGID_Y_EN: 0
; COMPUTE_PGM_RSRC2:TGID_Z_EN: 0
; COMPUTE_PGM_RSRC2:TIDIG_COMP_CNT: 0
; COMPUTE_PGM_RSRC3_GFX90A:ACCUM_OFFSET: 0
; COMPUTE_PGM_RSRC3_GFX90A:TG_SPLIT: 0
	.section	.text._ZN7rocprim17ROCPRIM_400000_NS6detail17trampoline_kernelINS0_14default_configENS1_35radix_sort_onesweep_config_selectorIdlEEZZNS1_29radix_sort_onesweep_iterationIS3_Lb0EPdS7_N6thrust23THRUST_200600_302600_NS10device_ptrIlEESB_jNS0_19identity_decomposerENS1_16block_id_wrapperIjLb0EEEEE10hipError_tT1_PNSt15iterator_traitsISG_E10value_typeET2_T3_PNSH_ISM_E10value_typeET4_T5_PSR_SS_PNS1_23onesweep_lookback_stateEbbT6_jjT7_P12ihipStream_tbENKUlT_T0_SG_SL_E_clIS7_S7_PlSB_EEDaSZ_S10_SG_SL_EUlSZ_E_NS1_11comp_targetILNS1_3genE8ELNS1_11target_archE1030ELNS1_3gpuE2ELNS1_3repE0EEENS1_47radix_sort_onesweep_sort_config_static_selectorELNS0_4arch9wavefront6targetE1EEEvSG_,"axG",@progbits,_ZN7rocprim17ROCPRIM_400000_NS6detail17trampoline_kernelINS0_14default_configENS1_35radix_sort_onesweep_config_selectorIdlEEZZNS1_29radix_sort_onesweep_iterationIS3_Lb0EPdS7_N6thrust23THRUST_200600_302600_NS10device_ptrIlEESB_jNS0_19identity_decomposerENS1_16block_id_wrapperIjLb0EEEEE10hipError_tT1_PNSt15iterator_traitsISG_E10value_typeET2_T3_PNSH_ISM_E10value_typeET4_T5_PSR_SS_PNS1_23onesweep_lookback_stateEbbT6_jjT7_P12ihipStream_tbENKUlT_T0_SG_SL_E_clIS7_S7_PlSB_EEDaSZ_S10_SG_SL_EUlSZ_E_NS1_11comp_targetILNS1_3genE8ELNS1_11target_archE1030ELNS1_3gpuE2ELNS1_3repE0EEENS1_47radix_sort_onesweep_sort_config_static_selectorELNS0_4arch9wavefront6targetE1EEEvSG_,comdat
	.protected	_ZN7rocprim17ROCPRIM_400000_NS6detail17trampoline_kernelINS0_14default_configENS1_35radix_sort_onesweep_config_selectorIdlEEZZNS1_29radix_sort_onesweep_iterationIS3_Lb0EPdS7_N6thrust23THRUST_200600_302600_NS10device_ptrIlEESB_jNS0_19identity_decomposerENS1_16block_id_wrapperIjLb0EEEEE10hipError_tT1_PNSt15iterator_traitsISG_E10value_typeET2_T3_PNSH_ISM_E10value_typeET4_T5_PSR_SS_PNS1_23onesweep_lookback_stateEbbT6_jjT7_P12ihipStream_tbENKUlT_T0_SG_SL_E_clIS7_S7_PlSB_EEDaSZ_S10_SG_SL_EUlSZ_E_NS1_11comp_targetILNS1_3genE8ELNS1_11target_archE1030ELNS1_3gpuE2ELNS1_3repE0EEENS1_47radix_sort_onesweep_sort_config_static_selectorELNS0_4arch9wavefront6targetE1EEEvSG_ ; -- Begin function _ZN7rocprim17ROCPRIM_400000_NS6detail17trampoline_kernelINS0_14default_configENS1_35radix_sort_onesweep_config_selectorIdlEEZZNS1_29radix_sort_onesweep_iterationIS3_Lb0EPdS7_N6thrust23THRUST_200600_302600_NS10device_ptrIlEESB_jNS0_19identity_decomposerENS1_16block_id_wrapperIjLb0EEEEE10hipError_tT1_PNSt15iterator_traitsISG_E10value_typeET2_T3_PNSH_ISM_E10value_typeET4_T5_PSR_SS_PNS1_23onesweep_lookback_stateEbbT6_jjT7_P12ihipStream_tbENKUlT_T0_SG_SL_E_clIS7_S7_PlSB_EEDaSZ_S10_SG_SL_EUlSZ_E_NS1_11comp_targetILNS1_3genE8ELNS1_11target_archE1030ELNS1_3gpuE2ELNS1_3repE0EEENS1_47radix_sort_onesweep_sort_config_static_selectorELNS0_4arch9wavefront6targetE1EEEvSG_
	.globl	_ZN7rocprim17ROCPRIM_400000_NS6detail17trampoline_kernelINS0_14default_configENS1_35radix_sort_onesweep_config_selectorIdlEEZZNS1_29radix_sort_onesweep_iterationIS3_Lb0EPdS7_N6thrust23THRUST_200600_302600_NS10device_ptrIlEESB_jNS0_19identity_decomposerENS1_16block_id_wrapperIjLb0EEEEE10hipError_tT1_PNSt15iterator_traitsISG_E10value_typeET2_T3_PNSH_ISM_E10value_typeET4_T5_PSR_SS_PNS1_23onesweep_lookback_stateEbbT6_jjT7_P12ihipStream_tbENKUlT_T0_SG_SL_E_clIS7_S7_PlSB_EEDaSZ_S10_SG_SL_EUlSZ_E_NS1_11comp_targetILNS1_3genE8ELNS1_11target_archE1030ELNS1_3gpuE2ELNS1_3repE0EEENS1_47radix_sort_onesweep_sort_config_static_selectorELNS0_4arch9wavefront6targetE1EEEvSG_
	.p2align	8
	.type	_ZN7rocprim17ROCPRIM_400000_NS6detail17trampoline_kernelINS0_14default_configENS1_35radix_sort_onesweep_config_selectorIdlEEZZNS1_29radix_sort_onesweep_iterationIS3_Lb0EPdS7_N6thrust23THRUST_200600_302600_NS10device_ptrIlEESB_jNS0_19identity_decomposerENS1_16block_id_wrapperIjLb0EEEEE10hipError_tT1_PNSt15iterator_traitsISG_E10value_typeET2_T3_PNSH_ISM_E10value_typeET4_T5_PSR_SS_PNS1_23onesweep_lookback_stateEbbT6_jjT7_P12ihipStream_tbENKUlT_T0_SG_SL_E_clIS7_S7_PlSB_EEDaSZ_S10_SG_SL_EUlSZ_E_NS1_11comp_targetILNS1_3genE8ELNS1_11target_archE1030ELNS1_3gpuE2ELNS1_3repE0EEENS1_47radix_sort_onesweep_sort_config_static_selectorELNS0_4arch9wavefront6targetE1EEEvSG_,@function
_ZN7rocprim17ROCPRIM_400000_NS6detail17trampoline_kernelINS0_14default_configENS1_35radix_sort_onesweep_config_selectorIdlEEZZNS1_29radix_sort_onesweep_iterationIS3_Lb0EPdS7_N6thrust23THRUST_200600_302600_NS10device_ptrIlEESB_jNS0_19identity_decomposerENS1_16block_id_wrapperIjLb0EEEEE10hipError_tT1_PNSt15iterator_traitsISG_E10value_typeET2_T3_PNSH_ISM_E10value_typeET4_T5_PSR_SS_PNS1_23onesweep_lookback_stateEbbT6_jjT7_P12ihipStream_tbENKUlT_T0_SG_SL_E_clIS7_S7_PlSB_EEDaSZ_S10_SG_SL_EUlSZ_E_NS1_11comp_targetILNS1_3genE8ELNS1_11target_archE1030ELNS1_3gpuE2ELNS1_3repE0EEENS1_47radix_sort_onesweep_sort_config_static_selectorELNS0_4arch9wavefront6targetE1EEEvSG_: ; @_ZN7rocprim17ROCPRIM_400000_NS6detail17trampoline_kernelINS0_14default_configENS1_35radix_sort_onesweep_config_selectorIdlEEZZNS1_29radix_sort_onesweep_iterationIS3_Lb0EPdS7_N6thrust23THRUST_200600_302600_NS10device_ptrIlEESB_jNS0_19identity_decomposerENS1_16block_id_wrapperIjLb0EEEEE10hipError_tT1_PNSt15iterator_traitsISG_E10value_typeET2_T3_PNSH_ISM_E10value_typeET4_T5_PSR_SS_PNS1_23onesweep_lookback_stateEbbT6_jjT7_P12ihipStream_tbENKUlT_T0_SG_SL_E_clIS7_S7_PlSB_EEDaSZ_S10_SG_SL_EUlSZ_E_NS1_11comp_targetILNS1_3genE8ELNS1_11target_archE1030ELNS1_3gpuE2ELNS1_3repE0EEENS1_47radix_sort_onesweep_sort_config_static_selectorELNS0_4arch9wavefront6targetE1EEEvSG_
; %bb.0:
	.section	.rodata,"a",@progbits
	.p2align	6, 0x0
	.amdhsa_kernel _ZN7rocprim17ROCPRIM_400000_NS6detail17trampoline_kernelINS0_14default_configENS1_35radix_sort_onesweep_config_selectorIdlEEZZNS1_29radix_sort_onesweep_iterationIS3_Lb0EPdS7_N6thrust23THRUST_200600_302600_NS10device_ptrIlEESB_jNS0_19identity_decomposerENS1_16block_id_wrapperIjLb0EEEEE10hipError_tT1_PNSt15iterator_traitsISG_E10value_typeET2_T3_PNSH_ISM_E10value_typeET4_T5_PSR_SS_PNS1_23onesweep_lookback_stateEbbT6_jjT7_P12ihipStream_tbENKUlT_T0_SG_SL_E_clIS7_S7_PlSB_EEDaSZ_S10_SG_SL_EUlSZ_E_NS1_11comp_targetILNS1_3genE8ELNS1_11target_archE1030ELNS1_3gpuE2ELNS1_3repE0EEENS1_47radix_sort_onesweep_sort_config_static_selectorELNS0_4arch9wavefront6targetE1EEEvSG_
		.amdhsa_group_segment_fixed_size 0
		.amdhsa_private_segment_fixed_size 0
		.amdhsa_kernarg_size 88
		.amdhsa_user_sgpr_count 6
		.amdhsa_user_sgpr_private_segment_buffer 1
		.amdhsa_user_sgpr_dispatch_ptr 0
		.amdhsa_user_sgpr_queue_ptr 0
		.amdhsa_user_sgpr_kernarg_segment_ptr 1
		.amdhsa_user_sgpr_dispatch_id 0
		.amdhsa_user_sgpr_flat_scratch_init 0
		.amdhsa_user_sgpr_kernarg_preload_length 0
		.amdhsa_user_sgpr_kernarg_preload_offset 0
		.amdhsa_user_sgpr_private_segment_size 0
		.amdhsa_uses_dynamic_stack 0
		.amdhsa_system_sgpr_private_segment_wavefront_offset 0
		.amdhsa_system_sgpr_workgroup_id_x 1
		.amdhsa_system_sgpr_workgroup_id_y 0
		.amdhsa_system_sgpr_workgroup_id_z 0
		.amdhsa_system_sgpr_workgroup_info 0
		.amdhsa_system_vgpr_workitem_id 0
		.amdhsa_next_free_vgpr 1
		.amdhsa_next_free_sgpr 0
		.amdhsa_accum_offset 4
		.amdhsa_reserve_vcc 0
		.amdhsa_reserve_flat_scratch 0
		.amdhsa_float_round_mode_32 0
		.amdhsa_float_round_mode_16_64 0
		.amdhsa_float_denorm_mode_32 3
		.amdhsa_float_denorm_mode_16_64 3
		.amdhsa_dx10_clamp 1
		.amdhsa_ieee_mode 1
		.amdhsa_fp16_overflow 0
		.amdhsa_tg_split 0
		.amdhsa_exception_fp_ieee_invalid_op 0
		.amdhsa_exception_fp_denorm_src 0
		.amdhsa_exception_fp_ieee_div_zero 0
		.amdhsa_exception_fp_ieee_overflow 0
		.amdhsa_exception_fp_ieee_underflow 0
		.amdhsa_exception_fp_ieee_inexact 0
		.amdhsa_exception_int_div_zero 0
	.end_amdhsa_kernel
	.section	.text._ZN7rocprim17ROCPRIM_400000_NS6detail17trampoline_kernelINS0_14default_configENS1_35radix_sort_onesweep_config_selectorIdlEEZZNS1_29radix_sort_onesweep_iterationIS3_Lb0EPdS7_N6thrust23THRUST_200600_302600_NS10device_ptrIlEESB_jNS0_19identity_decomposerENS1_16block_id_wrapperIjLb0EEEEE10hipError_tT1_PNSt15iterator_traitsISG_E10value_typeET2_T3_PNSH_ISM_E10value_typeET4_T5_PSR_SS_PNS1_23onesweep_lookback_stateEbbT6_jjT7_P12ihipStream_tbENKUlT_T0_SG_SL_E_clIS7_S7_PlSB_EEDaSZ_S10_SG_SL_EUlSZ_E_NS1_11comp_targetILNS1_3genE8ELNS1_11target_archE1030ELNS1_3gpuE2ELNS1_3repE0EEENS1_47radix_sort_onesweep_sort_config_static_selectorELNS0_4arch9wavefront6targetE1EEEvSG_,"axG",@progbits,_ZN7rocprim17ROCPRIM_400000_NS6detail17trampoline_kernelINS0_14default_configENS1_35radix_sort_onesweep_config_selectorIdlEEZZNS1_29radix_sort_onesweep_iterationIS3_Lb0EPdS7_N6thrust23THRUST_200600_302600_NS10device_ptrIlEESB_jNS0_19identity_decomposerENS1_16block_id_wrapperIjLb0EEEEE10hipError_tT1_PNSt15iterator_traitsISG_E10value_typeET2_T3_PNSH_ISM_E10value_typeET4_T5_PSR_SS_PNS1_23onesweep_lookback_stateEbbT6_jjT7_P12ihipStream_tbENKUlT_T0_SG_SL_E_clIS7_S7_PlSB_EEDaSZ_S10_SG_SL_EUlSZ_E_NS1_11comp_targetILNS1_3genE8ELNS1_11target_archE1030ELNS1_3gpuE2ELNS1_3repE0EEENS1_47radix_sort_onesweep_sort_config_static_selectorELNS0_4arch9wavefront6targetE1EEEvSG_,comdat
.Lfunc_end1669:
	.size	_ZN7rocprim17ROCPRIM_400000_NS6detail17trampoline_kernelINS0_14default_configENS1_35radix_sort_onesweep_config_selectorIdlEEZZNS1_29radix_sort_onesweep_iterationIS3_Lb0EPdS7_N6thrust23THRUST_200600_302600_NS10device_ptrIlEESB_jNS0_19identity_decomposerENS1_16block_id_wrapperIjLb0EEEEE10hipError_tT1_PNSt15iterator_traitsISG_E10value_typeET2_T3_PNSH_ISM_E10value_typeET4_T5_PSR_SS_PNS1_23onesweep_lookback_stateEbbT6_jjT7_P12ihipStream_tbENKUlT_T0_SG_SL_E_clIS7_S7_PlSB_EEDaSZ_S10_SG_SL_EUlSZ_E_NS1_11comp_targetILNS1_3genE8ELNS1_11target_archE1030ELNS1_3gpuE2ELNS1_3repE0EEENS1_47radix_sort_onesweep_sort_config_static_selectorELNS0_4arch9wavefront6targetE1EEEvSG_, .Lfunc_end1669-_ZN7rocprim17ROCPRIM_400000_NS6detail17trampoline_kernelINS0_14default_configENS1_35radix_sort_onesweep_config_selectorIdlEEZZNS1_29radix_sort_onesweep_iterationIS3_Lb0EPdS7_N6thrust23THRUST_200600_302600_NS10device_ptrIlEESB_jNS0_19identity_decomposerENS1_16block_id_wrapperIjLb0EEEEE10hipError_tT1_PNSt15iterator_traitsISG_E10value_typeET2_T3_PNSH_ISM_E10value_typeET4_T5_PSR_SS_PNS1_23onesweep_lookback_stateEbbT6_jjT7_P12ihipStream_tbENKUlT_T0_SG_SL_E_clIS7_S7_PlSB_EEDaSZ_S10_SG_SL_EUlSZ_E_NS1_11comp_targetILNS1_3genE8ELNS1_11target_archE1030ELNS1_3gpuE2ELNS1_3repE0EEENS1_47radix_sort_onesweep_sort_config_static_selectorELNS0_4arch9wavefront6targetE1EEEvSG_
                                        ; -- End function
	.section	.AMDGPU.csdata,"",@progbits
; Kernel info:
; codeLenInByte = 0
; NumSgprs: 4
; NumVgprs: 0
; NumAgprs: 0
; TotalNumVgprs: 0
; ScratchSize: 0
; MemoryBound: 0
; FloatMode: 240
; IeeeMode: 1
; LDSByteSize: 0 bytes/workgroup (compile time only)
; SGPRBlocks: 0
; VGPRBlocks: 0
; NumSGPRsForWavesPerEU: 4
; NumVGPRsForWavesPerEU: 1
; AccumOffset: 4
; Occupancy: 8
; WaveLimiterHint : 0
; COMPUTE_PGM_RSRC2:SCRATCH_EN: 0
; COMPUTE_PGM_RSRC2:USER_SGPR: 6
; COMPUTE_PGM_RSRC2:TRAP_HANDLER: 0
; COMPUTE_PGM_RSRC2:TGID_X_EN: 1
; COMPUTE_PGM_RSRC2:TGID_Y_EN: 0
; COMPUTE_PGM_RSRC2:TGID_Z_EN: 0
; COMPUTE_PGM_RSRC2:TIDIG_COMP_CNT: 0
; COMPUTE_PGM_RSRC3_GFX90A:ACCUM_OFFSET: 0
; COMPUTE_PGM_RSRC3_GFX90A:TG_SPLIT: 0
	.section	.text._ZN7rocprim17ROCPRIM_400000_NS6detail17trampoline_kernelINS0_14default_configENS1_22reduce_config_selectorIiEEZNS1_11reduce_implILb1ES3_N6thrust23THRUST_200600_302600_NS11hip_rocprim35transform_pair_of_input_iterators_tIiPdSB_NS8_12not_equal_toIdEEEEPiiNS8_4plusIiEEEE10hipError_tPvRmT1_T2_T3_mT4_P12ihipStream_tbEUlT_E0_NS1_11comp_targetILNS1_3genE0ELNS1_11target_archE4294967295ELNS1_3gpuE0ELNS1_3repE0EEENS1_30default_config_static_selectorELNS0_4arch9wavefront6targetE1EEEvSL_,"axG",@progbits,_ZN7rocprim17ROCPRIM_400000_NS6detail17trampoline_kernelINS0_14default_configENS1_22reduce_config_selectorIiEEZNS1_11reduce_implILb1ES3_N6thrust23THRUST_200600_302600_NS11hip_rocprim35transform_pair_of_input_iterators_tIiPdSB_NS8_12not_equal_toIdEEEEPiiNS8_4plusIiEEEE10hipError_tPvRmT1_T2_T3_mT4_P12ihipStream_tbEUlT_E0_NS1_11comp_targetILNS1_3genE0ELNS1_11target_archE4294967295ELNS1_3gpuE0ELNS1_3repE0EEENS1_30default_config_static_selectorELNS0_4arch9wavefront6targetE1EEEvSL_,comdat
	.protected	_ZN7rocprim17ROCPRIM_400000_NS6detail17trampoline_kernelINS0_14default_configENS1_22reduce_config_selectorIiEEZNS1_11reduce_implILb1ES3_N6thrust23THRUST_200600_302600_NS11hip_rocprim35transform_pair_of_input_iterators_tIiPdSB_NS8_12not_equal_toIdEEEEPiiNS8_4plusIiEEEE10hipError_tPvRmT1_T2_T3_mT4_P12ihipStream_tbEUlT_E0_NS1_11comp_targetILNS1_3genE0ELNS1_11target_archE4294967295ELNS1_3gpuE0ELNS1_3repE0EEENS1_30default_config_static_selectorELNS0_4arch9wavefront6targetE1EEEvSL_ ; -- Begin function _ZN7rocprim17ROCPRIM_400000_NS6detail17trampoline_kernelINS0_14default_configENS1_22reduce_config_selectorIiEEZNS1_11reduce_implILb1ES3_N6thrust23THRUST_200600_302600_NS11hip_rocprim35transform_pair_of_input_iterators_tIiPdSB_NS8_12not_equal_toIdEEEEPiiNS8_4plusIiEEEE10hipError_tPvRmT1_T2_T3_mT4_P12ihipStream_tbEUlT_E0_NS1_11comp_targetILNS1_3genE0ELNS1_11target_archE4294967295ELNS1_3gpuE0ELNS1_3repE0EEENS1_30default_config_static_selectorELNS0_4arch9wavefront6targetE1EEEvSL_
	.globl	_ZN7rocprim17ROCPRIM_400000_NS6detail17trampoline_kernelINS0_14default_configENS1_22reduce_config_selectorIiEEZNS1_11reduce_implILb1ES3_N6thrust23THRUST_200600_302600_NS11hip_rocprim35transform_pair_of_input_iterators_tIiPdSB_NS8_12not_equal_toIdEEEEPiiNS8_4plusIiEEEE10hipError_tPvRmT1_T2_T3_mT4_P12ihipStream_tbEUlT_E0_NS1_11comp_targetILNS1_3genE0ELNS1_11target_archE4294967295ELNS1_3gpuE0ELNS1_3repE0EEENS1_30default_config_static_selectorELNS0_4arch9wavefront6targetE1EEEvSL_
	.p2align	8
	.type	_ZN7rocprim17ROCPRIM_400000_NS6detail17trampoline_kernelINS0_14default_configENS1_22reduce_config_selectorIiEEZNS1_11reduce_implILb1ES3_N6thrust23THRUST_200600_302600_NS11hip_rocprim35transform_pair_of_input_iterators_tIiPdSB_NS8_12not_equal_toIdEEEEPiiNS8_4plusIiEEEE10hipError_tPvRmT1_T2_T3_mT4_P12ihipStream_tbEUlT_E0_NS1_11comp_targetILNS1_3genE0ELNS1_11target_archE4294967295ELNS1_3gpuE0ELNS1_3repE0EEENS1_30default_config_static_selectorELNS0_4arch9wavefront6targetE1EEEvSL_,@function
_ZN7rocprim17ROCPRIM_400000_NS6detail17trampoline_kernelINS0_14default_configENS1_22reduce_config_selectorIiEEZNS1_11reduce_implILb1ES3_N6thrust23THRUST_200600_302600_NS11hip_rocprim35transform_pair_of_input_iterators_tIiPdSB_NS8_12not_equal_toIdEEEEPiiNS8_4plusIiEEEE10hipError_tPvRmT1_T2_T3_mT4_P12ihipStream_tbEUlT_E0_NS1_11comp_targetILNS1_3genE0ELNS1_11target_archE4294967295ELNS1_3gpuE0ELNS1_3repE0EEENS1_30default_config_static_selectorELNS0_4arch9wavefront6targetE1EEEvSL_: ; @_ZN7rocprim17ROCPRIM_400000_NS6detail17trampoline_kernelINS0_14default_configENS1_22reduce_config_selectorIiEEZNS1_11reduce_implILb1ES3_N6thrust23THRUST_200600_302600_NS11hip_rocprim35transform_pair_of_input_iterators_tIiPdSB_NS8_12not_equal_toIdEEEEPiiNS8_4plusIiEEEE10hipError_tPvRmT1_T2_T3_mT4_P12ihipStream_tbEUlT_E0_NS1_11comp_targetILNS1_3genE0ELNS1_11target_archE4294967295ELNS1_3gpuE0ELNS1_3repE0EEENS1_30default_config_static_selectorELNS0_4arch9wavefront6targetE1EEEvSL_
; %bb.0:
	.section	.rodata,"a",@progbits
	.p2align	6, 0x0
	.amdhsa_kernel _ZN7rocprim17ROCPRIM_400000_NS6detail17trampoline_kernelINS0_14default_configENS1_22reduce_config_selectorIiEEZNS1_11reduce_implILb1ES3_N6thrust23THRUST_200600_302600_NS11hip_rocprim35transform_pair_of_input_iterators_tIiPdSB_NS8_12not_equal_toIdEEEEPiiNS8_4plusIiEEEE10hipError_tPvRmT1_T2_T3_mT4_P12ihipStream_tbEUlT_E0_NS1_11comp_targetILNS1_3genE0ELNS1_11target_archE4294967295ELNS1_3gpuE0ELNS1_3repE0EEENS1_30default_config_static_selectorELNS0_4arch9wavefront6targetE1EEEvSL_
		.amdhsa_group_segment_fixed_size 0
		.amdhsa_private_segment_fixed_size 0
		.amdhsa_kernarg_size 72
		.amdhsa_user_sgpr_count 6
		.amdhsa_user_sgpr_private_segment_buffer 1
		.amdhsa_user_sgpr_dispatch_ptr 0
		.amdhsa_user_sgpr_queue_ptr 0
		.amdhsa_user_sgpr_kernarg_segment_ptr 1
		.amdhsa_user_sgpr_dispatch_id 0
		.amdhsa_user_sgpr_flat_scratch_init 0
		.amdhsa_user_sgpr_kernarg_preload_length 0
		.amdhsa_user_sgpr_kernarg_preload_offset 0
		.amdhsa_user_sgpr_private_segment_size 0
		.amdhsa_uses_dynamic_stack 0
		.amdhsa_system_sgpr_private_segment_wavefront_offset 0
		.amdhsa_system_sgpr_workgroup_id_x 1
		.amdhsa_system_sgpr_workgroup_id_y 0
		.amdhsa_system_sgpr_workgroup_id_z 0
		.amdhsa_system_sgpr_workgroup_info 0
		.amdhsa_system_vgpr_workitem_id 0
		.amdhsa_next_free_vgpr 1
		.amdhsa_next_free_sgpr 0
		.amdhsa_accum_offset 4
		.amdhsa_reserve_vcc 0
		.amdhsa_reserve_flat_scratch 0
		.amdhsa_float_round_mode_32 0
		.amdhsa_float_round_mode_16_64 0
		.amdhsa_float_denorm_mode_32 3
		.amdhsa_float_denorm_mode_16_64 3
		.amdhsa_dx10_clamp 1
		.amdhsa_ieee_mode 1
		.amdhsa_fp16_overflow 0
		.amdhsa_tg_split 0
		.amdhsa_exception_fp_ieee_invalid_op 0
		.amdhsa_exception_fp_denorm_src 0
		.amdhsa_exception_fp_ieee_div_zero 0
		.amdhsa_exception_fp_ieee_overflow 0
		.amdhsa_exception_fp_ieee_underflow 0
		.amdhsa_exception_fp_ieee_inexact 0
		.amdhsa_exception_int_div_zero 0
	.end_amdhsa_kernel
	.section	.text._ZN7rocprim17ROCPRIM_400000_NS6detail17trampoline_kernelINS0_14default_configENS1_22reduce_config_selectorIiEEZNS1_11reduce_implILb1ES3_N6thrust23THRUST_200600_302600_NS11hip_rocprim35transform_pair_of_input_iterators_tIiPdSB_NS8_12not_equal_toIdEEEEPiiNS8_4plusIiEEEE10hipError_tPvRmT1_T2_T3_mT4_P12ihipStream_tbEUlT_E0_NS1_11comp_targetILNS1_3genE0ELNS1_11target_archE4294967295ELNS1_3gpuE0ELNS1_3repE0EEENS1_30default_config_static_selectorELNS0_4arch9wavefront6targetE1EEEvSL_,"axG",@progbits,_ZN7rocprim17ROCPRIM_400000_NS6detail17trampoline_kernelINS0_14default_configENS1_22reduce_config_selectorIiEEZNS1_11reduce_implILb1ES3_N6thrust23THRUST_200600_302600_NS11hip_rocprim35transform_pair_of_input_iterators_tIiPdSB_NS8_12not_equal_toIdEEEEPiiNS8_4plusIiEEEE10hipError_tPvRmT1_T2_T3_mT4_P12ihipStream_tbEUlT_E0_NS1_11comp_targetILNS1_3genE0ELNS1_11target_archE4294967295ELNS1_3gpuE0ELNS1_3repE0EEENS1_30default_config_static_selectorELNS0_4arch9wavefront6targetE1EEEvSL_,comdat
.Lfunc_end1670:
	.size	_ZN7rocprim17ROCPRIM_400000_NS6detail17trampoline_kernelINS0_14default_configENS1_22reduce_config_selectorIiEEZNS1_11reduce_implILb1ES3_N6thrust23THRUST_200600_302600_NS11hip_rocprim35transform_pair_of_input_iterators_tIiPdSB_NS8_12not_equal_toIdEEEEPiiNS8_4plusIiEEEE10hipError_tPvRmT1_T2_T3_mT4_P12ihipStream_tbEUlT_E0_NS1_11comp_targetILNS1_3genE0ELNS1_11target_archE4294967295ELNS1_3gpuE0ELNS1_3repE0EEENS1_30default_config_static_selectorELNS0_4arch9wavefront6targetE1EEEvSL_, .Lfunc_end1670-_ZN7rocprim17ROCPRIM_400000_NS6detail17trampoline_kernelINS0_14default_configENS1_22reduce_config_selectorIiEEZNS1_11reduce_implILb1ES3_N6thrust23THRUST_200600_302600_NS11hip_rocprim35transform_pair_of_input_iterators_tIiPdSB_NS8_12not_equal_toIdEEEEPiiNS8_4plusIiEEEE10hipError_tPvRmT1_T2_T3_mT4_P12ihipStream_tbEUlT_E0_NS1_11comp_targetILNS1_3genE0ELNS1_11target_archE4294967295ELNS1_3gpuE0ELNS1_3repE0EEENS1_30default_config_static_selectorELNS0_4arch9wavefront6targetE1EEEvSL_
                                        ; -- End function
	.section	.AMDGPU.csdata,"",@progbits
; Kernel info:
; codeLenInByte = 0
; NumSgprs: 4
; NumVgprs: 0
; NumAgprs: 0
; TotalNumVgprs: 0
; ScratchSize: 0
; MemoryBound: 0
; FloatMode: 240
; IeeeMode: 1
; LDSByteSize: 0 bytes/workgroup (compile time only)
; SGPRBlocks: 0
; VGPRBlocks: 0
; NumSGPRsForWavesPerEU: 4
; NumVGPRsForWavesPerEU: 1
; AccumOffset: 4
; Occupancy: 8
; WaveLimiterHint : 0
; COMPUTE_PGM_RSRC2:SCRATCH_EN: 0
; COMPUTE_PGM_RSRC2:USER_SGPR: 6
; COMPUTE_PGM_RSRC2:TRAP_HANDLER: 0
; COMPUTE_PGM_RSRC2:TGID_X_EN: 1
; COMPUTE_PGM_RSRC2:TGID_Y_EN: 0
; COMPUTE_PGM_RSRC2:TGID_Z_EN: 0
; COMPUTE_PGM_RSRC2:TIDIG_COMP_CNT: 0
; COMPUTE_PGM_RSRC3_GFX90A:ACCUM_OFFSET: 0
; COMPUTE_PGM_RSRC3_GFX90A:TG_SPLIT: 0
	.section	.text._ZN7rocprim17ROCPRIM_400000_NS6detail17trampoline_kernelINS0_14default_configENS1_22reduce_config_selectorIiEEZNS1_11reduce_implILb1ES3_N6thrust23THRUST_200600_302600_NS11hip_rocprim35transform_pair_of_input_iterators_tIiPdSB_NS8_12not_equal_toIdEEEEPiiNS8_4plusIiEEEE10hipError_tPvRmT1_T2_T3_mT4_P12ihipStream_tbEUlT_E0_NS1_11comp_targetILNS1_3genE5ELNS1_11target_archE942ELNS1_3gpuE9ELNS1_3repE0EEENS1_30default_config_static_selectorELNS0_4arch9wavefront6targetE1EEEvSL_,"axG",@progbits,_ZN7rocprim17ROCPRIM_400000_NS6detail17trampoline_kernelINS0_14default_configENS1_22reduce_config_selectorIiEEZNS1_11reduce_implILb1ES3_N6thrust23THRUST_200600_302600_NS11hip_rocprim35transform_pair_of_input_iterators_tIiPdSB_NS8_12not_equal_toIdEEEEPiiNS8_4plusIiEEEE10hipError_tPvRmT1_T2_T3_mT4_P12ihipStream_tbEUlT_E0_NS1_11comp_targetILNS1_3genE5ELNS1_11target_archE942ELNS1_3gpuE9ELNS1_3repE0EEENS1_30default_config_static_selectorELNS0_4arch9wavefront6targetE1EEEvSL_,comdat
	.protected	_ZN7rocprim17ROCPRIM_400000_NS6detail17trampoline_kernelINS0_14default_configENS1_22reduce_config_selectorIiEEZNS1_11reduce_implILb1ES3_N6thrust23THRUST_200600_302600_NS11hip_rocprim35transform_pair_of_input_iterators_tIiPdSB_NS8_12not_equal_toIdEEEEPiiNS8_4plusIiEEEE10hipError_tPvRmT1_T2_T3_mT4_P12ihipStream_tbEUlT_E0_NS1_11comp_targetILNS1_3genE5ELNS1_11target_archE942ELNS1_3gpuE9ELNS1_3repE0EEENS1_30default_config_static_selectorELNS0_4arch9wavefront6targetE1EEEvSL_ ; -- Begin function _ZN7rocprim17ROCPRIM_400000_NS6detail17trampoline_kernelINS0_14default_configENS1_22reduce_config_selectorIiEEZNS1_11reduce_implILb1ES3_N6thrust23THRUST_200600_302600_NS11hip_rocprim35transform_pair_of_input_iterators_tIiPdSB_NS8_12not_equal_toIdEEEEPiiNS8_4plusIiEEEE10hipError_tPvRmT1_T2_T3_mT4_P12ihipStream_tbEUlT_E0_NS1_11comp_targetILNS1_3genE5ELNS1_11target_archE942ELNS1_3gpuE9ELNS1_3repE0EEENS1_30default_config_static_selectorELNS0_4arch9wavefront6targetE1EEEvSL_
	.globl	_ZN7rocprim17ROCPRIM_400000_NS6detail17trampoline_kernelINS0_14default_configENS1_22reduce_config_selectorIiEEZNS1_11reduce_implILb1ES3_N6thrust23THRUST_200600_302600_NS11hip_rocprim35transform_pair_of_input_iterators_tIiPdSB_NS8_12not_equal_toIdEEEEPiiNS8_4plusIiEEEE10hipError_tPvRmT1_T2_T3_mT4_P12ihipStream_tbEUlT_E0_NS1_11comp_targetILNS1_3genE5ELNS1_11target_archE942ELNS1_3gpuE9ELNS1_3repE0EEENS1_30default_config_static_selectorELNS0_4arch9wavefront6targetE1EEEvSL_
	.p2align	8
	.type	_ZN7rocprim17ROCPRIM_400000_NS6detail17trampoline_kernelINS0_14default_configENS1_22reduce_config_selectorIiEEZNS1_11reduce_implILb1ES3_N6thrust23THRUST_200600_302600_NS11hip_rocprim35transform_pair_of_input_iterators_tIiPdSB_NS8_12not_equal_toIdEEEEPiiNS8_4plusIiEEEE10hipError_tPvRmT1_T2_T3_mT4_P12ihipStream_tbEUlT_E0_NS1_11comp_targetILNS1_3genE5ELNS1_11target_archE942ELNS1_3gpuE9ELNS1_3repE0EEENS1_30default_config_static_selectorELNS0_4arch9wavefront6targetE1EEEvSL_,@function
_ZN7rocprim17ROCPRIM_400000_NS6detail17trampoline_kernelINS0_14default_configENS1_22reduce_config_selectorIiEEZNS1_11reduce_implILb1ES3_N6thrust23THRUST_200600_302600_NS11hip_rocprim35transform_pair_of_input_iterators_tIiPdSB_NS8_12not_equal_toIdEEEEPiiNS8_4plusIiEEEE10hipError_tPvRmT1_T2_T3_mT4_P12ihipStream_tbEUlT_E0_NS1_11comp_targetILNS1_3genE5ELNS1_11target_archE942ELNS1_3gpuE9ELNS1_3repE0EEENS1_30default_config_static_selectorELNS0_4arch9wavefront6targetE1EEEvSL_: ; @_ZN7rocprim17ROCPRIM_400000_NS6detail17trampoline_kernelINS0_14default_configENS1_22reduce_config_selectorIiEEZNS1_11reduce_implILb1ES3_N6thrust23THRUST_200600_302600_NS11hip_rocprim35transform_pair_of_input_iterators_tIiPdSB_NS8_12not_equal_toIdEEEEPiiNS8_4plusIiEEEE10hipError_tPvRmT1_T2_T3_mT4_P12ihipStream_tbEUlT_E0_NS1_11comp_targetILNS1_3genE5ELNS1_11target_archE942ELNS1_3gpuE9ELNS1_3repE0EEENS1_30default_config_static_selectorELNS0_4arch9wavefront6targetE1EEEvSL_
; %bb.0:
	.section	.rodata,"a",@progbits
	.p2align	6, 0x0
	.amdhsa_kernel _ZN7rocprim17ROCPRIM_400000_NS6detail17trampoline_kernelINS0_14default_configENS1_22reduce_config_selectorIiEEZNS1_11reduce_implILb1ES3_N6thrust23THRUST_200600_302600_NS11hip_rocprim35transform_pair_of_input_iterators_tIiPdSB_NS8_12not_equal_toIdEEEEPiiNS8_4plusIiEEEE10hipError_tPvRmT1_T2_T3_mT4_P12ihipStream_tbEUlT_E0_NS1_11comp_targetILNS1_3genE5ELNS1_11target_archE942ELNS1_3gpuE9ELNS1_3repE0EEENS1_30default_config_static_selectorELNS0_4arch9wavefront6targetE1EEEvSL_
		.amdhsa_group_segment_fixed_size 0
		.amdhsa_private_segment_fixed_size 0
		.amdhsa_kernarg_size 72
		.amdhsa_user_sgpr_count 6
		.amdhsa_user_sgpr_private_segment_buffer 1
		.amdhsa_user_sgpr_dispatch_ptr 0
		.amdhsa_user_sgpr_queue_ptr 0
		.amdhsa_user_sgpr_kernarg_segment_ptr 1
		.amdhsa_user_sgpr_dispatch_id 0
		.amdhsa_user_sgpr_flat_scratch_init 0
		.amdhsa_user_sgpr_kernarg_preload_length 0
		.amdhsa_user_sgpr_kernarg_preload_offset 0
		.amdhsa_user_sgpr_private_segment_size 0
		.amdhsa_uses_dynamic_stack 0
		.amdhsa_system_sgpr_private_segment_wavefront_offset 0
		.amdhsa_system_sgpr_workgroup_id_x 1
		.amdhsa_system_sgpr_workgroup_id_y 0
		.amdhsa_system_sgpr_workgroup_id_z 0
		.amdhsa_system_sgpr_workgroup_info 0
		.amdhsa_system_vgpr_workitem_id 0
		.amdhsa_next_free_vgpr 1
		.amdhsa_next_free_sgpr 0
		.amdhsa_accum_offset 4
		.amdhsa_reserve_vcc 0
		.amdhsa_reserve_flat_scratch 0
		.amdhsa_float_round_mode_32 0
		.amdhsa_float_round_mode_16_64 0
		.amdhsa_float_denorm_mode_32 3
		.amdhsa_float_denorm_mode_16_64 3
		.amdhsa_dx10_clamp 1
		.amdhsa_ieee_mode 1
		.amdhsa_fp16_overflow 0
		.amdhsa_tg_split 0
		.amdhsa_exception_fp_ieee_invalid_op 0
		.amdhsa_exception_fp_denorm_src 0
		.amdhsa_exception_fp_ieee_div_zero 0
		.amdhsa_exception_fp_ieee_overflow 0
		.amdhsa_exception_fp_ieee_underflow 0
		.amdhsa_exception_fp_ieee_inexact 0
		.amdhsa_exception_int_div_zero 0
	.end_amdhsa_kernel
	.section	.text._ZN7rocprim17ROCPRIM_400000_NS6detail17trampoline_kernelINS0_14default_configENS1_22reduce_config_selectorIiEEZNS1_11reduce_implILb1ES3_N6thrust23THRUST_200600_302600_NS11hip_rocprim35transform_pair_of_input_iterators_tIiPdSB_NS8_12not_equal_toIdEEEEPiiNS8_4plusIiEEEE10hipError_tPvRmT1_T2_T3_mT4_P12ihipStream_tbEUlT_E0_NS1_11comp_targetILNS1_3genE5ELNS1_11target_archE942ELNS1_3gpuE9ELNS1_3repE0EEENS1_30default_config_static_selectorELNS0_4arch9wavefront6targetE1EEEvSL_,"axG",@progbits,_ZN7rocprim17ROCPRIM_400000_NS6detail17trampoline_kernelINS0_14default_configENS1_22reduce_config_selectorIiEEZNS1_11reduce_implILb1ES3_N6thrust23THRUST_200600_302600_NS11hip_rocprim35transform_pair_of_input_iterators_tIiPdSB_NS8_12not_equal_toIdEEEEPiiNS8_4plusIiEEEE10hipError_tPvRmT1_T2_T3_mT4_P12ihipStream_tbEUlT_E0_NS1_11comp_targetILNS1_3genE5ELNS1_11target_archE942ELNS1_3gpuE9ELNS1_3repE0EEENS1_30default_config_static_selectorELNS0_4arch9wavefront6targetE1EEEvSL_,comdat
.Lfunc_end1671:
	.size	_ZN7rocprim17ROCPRIM_400000_NS6detail17trampoline_kernelINS0_14default_configENS1_22reduce_config_selectorIiEEZNS1_11reduce_implILb1ES3_N6thrust23THRUST_200600_302600_NS11hip_rocprim35transform_pair_of_input_iterators_tIiPdSB_NS8_12not_equal_toIdEEEEPiiNS8_4plusIiEEEE10hipError_tPvRmT1_T2_T3_mT4_P12ihipStream_tbEUlT_E0_NS1_11comp_targetILNS1_3genE5ELNS1_11target_archE942ELNS1_3gpuE9ELNS1_3repE0EEENS1_30default_config_static_selectorELNS0_4arch9wavefront6targetE1EEEvSL_, .Lfunc_end1671-_ZN7rocprim17ROCPRIM_400000_NS6detail17trampoline_kernelINS0_14default_configENS1_22reduce_config_selectorIiEEZNS1_11reduce_implILb1ES3_N6thrust23THRUST_200600_302600_NS11hip_rocprim35transform_pair_of_input_iterators_tIiPdSB_NS8_12not_equal_toIdEEEEPiiNS8_4plusIiEEEE10hipError_tPvRmT1_T2_T3_mT4_P12ihipStream_tbEUlT_E0_NS1_11comp_targetILNS1_3genE5ELNS1_11target_archE942ELNS1_3gpuE9ELNS1_3repE0EEENS1_30default_config_static_selectorELNS0_4arch9wavefront6targetE1EEEvSL_
                                        ; -- End function
	.section	.AMDGPU.csdata,"",@progbits
; Kernel info:
; codeLenInByte = 0
; NumSgprs: 4
; NumVgprs: 0
; NumAgprs: 0
; TotalNumVgprs: 0
; ScratchSize: 0
; MemoryBound: 0
; FloatMode: 240
; IeeeMode: 1
; LDSByteSize: 0 bytes/workgroup (compile time only)
; SGPRBlocks: 0
; VGPRBlocks: 0
; NumSGPRsForWavesPerEU: 4
; NumVGPRsForWavesPerEU: 1
; AccumOffset: 4
; Occupancy: 8
; WaveLimiterHint : 0
; COMPUTE_PGM_RSRC2:SCRATCH_EN: 0
; COMPUTE_PGM_RSRC2:USER_SGPR: 6
; COMPUTE_PGM_RSRC2:TRAP_HANDLER: 0
; COMPUTE_PGM_RSRC2:TGID_X_EN: 1
; COMPUTE_PGM_RSRC2:TGID_Y_EN: 0
; COMPUTE_PGM_RSRC2:TGID_Z_EN: 0
; COMPUTE_PGM_RSRC2:TIDIG_COMP_CNT: 0
; COMPUTE_PGM_RSRC3_GFX90A:ACCUM_OFFSET: 0
; COMPUTE_PGM_RSRC3_GFX90A:TG_SPLIT: 0
	.section	.text._ZN7rocprim17ROCPRIM_400000_NS6detail17trampoline_kernelINS0_14default_configENS1_22reduce_config_selectorIiEEZNS1_11reduce_implILb1ES3_N6thrust23THRUST_200600_302600_NS11hip_rocprim35transform_pair_of_input_iterators_tIiPdSB_NS8_12not_equal_toIdEEEEPiiNS8_4plusIiEEEE10hipError_tPvRmT1_T2_T3_mT4_P12ihipStream_tbEUlT_E0_NS1_11comp_targetILNS1_3genE4ELNS1_11target_archE910ELNS1_3gpuE8ELNS1_3repE0EEENS1_30default_config_static_selectorELNS0_4arch9wavefront6targetE1EEEvSL_,"axG",@progbits,_ZN7rocprim17ROCPRIM_400000_NS6detail17trampoline_kernelINS0_14default_configENS1_22reduce_config_selectorIiEEZNS1_11reduce_implILb1ES3_N6thrust23THRUST_200600_302600_NS11hip_rocprim35transform_pair_of_input_iterators_tIiPdSB_NS8_12not_equal_toIdEEEEPiiNS8_4plusIiEEEE10hipError_tPvRmT1_T2_T3_mT4_P12ihipStream_tbEUlT_E0_NS1_11comp_targetILNS1_3genE4ELNS1_11target_archE910ELNS1_3gpuE8ELNS1_3repE0EEENS1_30default_config_static_selectorELNS0_4arch9wavefront6targetE1EEEvSL_,comdat
	.protected	_ZN7rocprim17ROCPRIM_400000_NS6detail17trampoline_kernelINS0_14default_configENS1_22reduce_config_selectorIiEEZNS1_11reduce_implILb1ES3_N6thrust23THRUST_200600_302600_NS11hip_rocprim35transform_pair_of_input_iterators_tIiPdSB_NS8_12not_equal_toIdEEEEPiiNS8_4plusIiEEEE10hipError_tPvRmT1_T2_T3_mT4_P12ihipStream_tbEUlT_E0_NS1_11comp_targetILNS1_3genE4ELNS1_11target_archE910ELNS1_3gpuE8ELNS1_3repE0EEENS1_30default_config_static_selectorELNS0_4arch9wavefront6targetE1EEEvSL_ ; -- Begin function _ZN7rocprim17ROCPRIM_400000_NS6detail17trampoline_kernelINS0_14default_configENS1_22reduce_config_selectorIiEEZNS1_11reduce_implILb1ES3_N6thrust23THRUST_200600_302600_NS11hip_rocprim35transform_pair_of_input_iterators_tIiPdSB_NS8_12not_equal_toIdEEEEPiiNS8_4plusIiEEEE10hipError_tPvRmT1_T2_T3_mT4_P12ihipStream_tbEUlT_E0_NS1_11comp_targetILNS1_3genE4ELNS1_11target_archE910ELNS1_3gpuE8ELNS1_3repE0EEENS1_30default_config_static_selectorELNS0_4arch9wavefront6targetE1EEEvSL_
	.globl	_ZN7rocprim17ROCPRIM_400000_NS6detail17trampoline_kernelINS0_14default_configENS1_22reduce_config_selectorIiEEZNS1_11reduce_implILb1ES3_N6thrust23THRUST_200600_302600_NS11hip_rocprim35transform_pair_of_input_iterators_tIiPdSB_NS8_12not_equal_toIdEEEEPiiNS8_4plusIiEEEE10hipError_tPvRmT1_T2_T3_mT4_P12ihipStream_tbEUlT_E0_NS1_11comp_targetILNS1_3genE4ELNS1_11target_archE910ELNS1_3gpuE8ELNS1_3repE0EEENS1_30default_config_static_selectorELNS0_4arch9wavefront6targetE1EEEvSL_
	.p2align	8
	.type	_ZN7rocprim17ROCPRIM_400000_NS6detail17trampoline_kernelINS0_14default_configENS1_22reduce_config_selectorIiEEZNS1_11reduce_implILb1ES3_N6thrust23THRUST_200600_302600_NS11hip_rocprim35transform_pair_of_input_iterators_tIiPdSB_NS8_12not_equal_toIdEEEEPiiNS8_4plusIiEEEE10hipError_tPvRmT1_T2_T3_mT4_P12ihipStream_tbEUlT_E0_NS1_11comp_targetILNS1_3genE4ELNS1_11target_archE910ELNS1_3gpuE8ELNS1_3repE0EEENS1_30default_config_static_selectorELNS0_4arch9wavefront6targetE1EEEvSL_,@function
_ZN7rocprim17ROCPRIM_400000_NS6detail17trampoline_kernelINS0_14default_configENS1_22reduce_config_selectorIiEEZNS1_11reduce_implILb1ES3_N6thrust23THRUST_200600_302600_NS11hip_rocprim35transform_pair_of_input_iterators_tIiPdSB_NS8_12not_equal_toIdEEEEPiiNS8_4plusIiEEEE10hipError_tPvRmT1_T2_T3_mT4_P12ihipStream_tbEUlT_E0_NS1_11comp_targetILNS1_3genE4ELNS1_11target_archE910ELNS1_3gpuE8ELNS1_3repE0EEENS1_30default_config_static_selectorELNS0_4arch9wavefront6targetE1EEEvSL_: ; @_ZN7rocprim17ROCPRIM_400000_NS6detail17trampoline_kernelINS0_14default_configENS1_22reduce_config_selectorIiEEZNS1_11reduce_implILb1ES3_N6thrust23THRUST_200600_302600_NS11hip_rocprim35transform_pair_of_input_iterators_tIiPdSB_NS8_12not_equal_toIdEEEEPiiNS8_4plusIiEEEE10hipError_tPvRmT1_T2_T3_mT4_P12ihipStream_tbEUlT_E0_NS1_11comp_targetILNS1_3genE4ELNS1_11target_archE910ELNS1_3gpuE8ELNS1_3repE0EEENS1_30default_config_static_selectorELNS0_4arch9wavefront6targetE1EEEvSL_
; %bb.0:
	s_load_dwordx8 s[16:23], s[4:5], 0x18
	s_load_dwordx4 s[0:3], s[4:5], 0x0
	s_load_dwordx2 s[24:25], s[4:5], 0x38
	v_lshlrev_b32_e32 v10, 3, v0
	v_mbcnt_lo_u32_b32 v1, -1, 0
	s_waitcnt lgkmcnt(0)
	s_lshl_b64 s[8:9], s[16:17], 3
	s_add_u32 s10, s0, s8
	s_addc_u32 s11, s1, s9
	s_add_u32 s12, s2, s8
	s_addc_u32 s13, s3, s9
	s_lshl_b32 s0, s6, 10
	s_mov_b32 s1, 0
	s_lshr_b64 s[2:3], s[18:19], 10
	s_lshl_b64 s[8:9], s[0:1], 3
	s_add_u32 s14, s10, s8
	s_addc_u32 s15, s11, s9
	s_add_u32 s16, s12, s8
	s_mov_b32 s7, s1
	s_addc_u32 s17, s13, s9
	s_cmp_lg_u64 s[2:3], s[6:7]
	s_cbranch_scc0 .LBB1672_6
; %bb.1:
	v_mov_b32_e32 v2, s15
	v_add_co_u32_e32 v3, vcc, s14, v10
	v_addc_co_u32_e32 v4, vcc, 0, v2, vcc
	v_mov_b32_e32 v2, s17
	v_add_co_u32_e32 v5, vcc, s16, v10
	global_load_dwordx2 v[6:7], v10, s[14:15]
	global_load_dwordx2 v[8:9], v10, s[14:15] offset:1024
	global_load_dwordx2 v[12:13], v10, s[14:15] offset:2048
	;; [unrolled: 1-line block ×3, first 2 shown]
	global_load_dwordx2 v[16:17], v10, s[16:17]
	global_load_dwordx2 v[18:19], v10, s[16:17] offset:1024
	global_load_dwordx2 v[20:21], v10, s[16:17] offset:2048
	;; [unrolled: 1-line block ×3, first 2 shown]
	v_addc_co_u32_e32 v11, vcc, 0, v2, vcc
	s_movk_i32 s1, 0x1000
	v_add_co_u32_e32 v2, vcc, s1, v3
	v_addc_co_u32_e32 v3, vcc, 0, v4, vcc
	global_load_dwordx2 v[24:25], v[2:3], off
	v_add_co_u32_e32 v4, vcc, s1, v5
	v_addc_co_u32_e32 v5, vcc, 0, v11, vcc
	global_load_dwordx2 v[26:27], v[4:5], off
	global_load_dwordx2 v[28:29], v[2:3], off offset:2048
	global_load_dwordx2 v[30:31], v[4:5], off offset:2048
	;; [unrolled: 1-line block ×6, first 2 shown]
	v_mbcnt_hi_u32_b32 v3, -1, v1
	v_lshlrev_b32_e32 v4, 2, v3
	s_waitcnt vmcnt(11)
	v_cmp_neq_f64_e32 vcc, v[6:7], v[16:17]
	v_cndmask_b32_e64 v2, 0, 1, vcc
	s_waitcnt vmcnt(9)
	v_cmp_neq_f64_e32 vcc, v[12:13], v[20:21]
	v_cndmask_b32_e64 v5, 0, 1, vcc
	v_cmp_neq_f64_e32 vcc, v[8:9], v[18:19]
	v_addc_co_u32_e32 v2, vcc, 0, v2, vcc
	s_waitcnt vmcnt(8)
	v_cmp_neq_f64_e32 vcc, v[14:15], v[22:23]
	v_addc_co_u32_e32 v2, vcc, v2, v5, vcc
	s_waitcnt vmcnt(6)
	v_cmp_neq_f64_e32 vcc, v[24:25], v[26:27]
	v_cndmask_b32_e64 v5, 0, 1, vcc
	s_waitcnt vmcnt(4)
	v_cmp_neq_f64_e32 vcc, v[28:29], v[30:31]
	v_cndmask_b32_e64 v6, 0, 1, vcc
	s_waitcnt vmcnt(2)
	v_cmp_neq_f64_e32 vcc, v[32:33], v[34:35]
	v_addc_co_u32_e32 v2, vcc, v2, v5, vcc
	s_waitcnt vmcnt(0)
	v_cmp_neq_f64_e32 vcc, v[36:37], v[38:39]
	v_addc_co_u32_e32 v2, vcc, v2, v6, vcc
	v_or_b32_e32 v5, 0xfc, v4
	s_nop 0
	v_add_u32_dpp v2, v2, v2 quad_perm:[1,0,3,2] row_mask:0xf bank_mask:0xf bound_ctrl:1
	v_cmp_eq_u32_e32 vcc, 0, v3
	s_nop 0
	v_add_u32_dpp v2, v2, v2 quad_perm:[2,3,0,1] row_mask:0xf bank_mask:0xf bound_ctrl:1
	s_nop 1
	v_add_u32_dpp v2, v2, v2 row_ror:4 row_mask:0xf bank_mask:0xf bound_ctrl:1
	s_nop 1
	v_add_u32_dpp v2, v2, v2 row_ror:8 row_mask:0xf bank_mask:0xf bound_ctrl:1
	s_nop 1
	v_add_u32_dpp v2, v2, v2 row_bcast:15 row_mask:0xf bank_mask:0xf bound_ctrl:1
	s_nop 1
	v_add_u32_dpp v2, v2, v2 row_bcast:31 row_mask:0xf bank_mask:0xf bound_ctrl:1
	ds_bpermute_b32 v2, v5, v2
	s_and_saveexec_b64 s[2:3], vcc
	s_cbranch_execz .LBB1672_3
; %bb.2:
	v_lshrrev_b32_e32 v5, 4, v0
	v_and_b32_e32 v5, 4, v5
	s_waitcnt lgkmcnt(0)
	ds_write_b32 v5, v2
.LBB1672_3:
	s_or_b64 exec, exec, s[2:3]
	v_cmp_gt_u32_e32 vcc, 64, v0
	s_waitcnt lgkmcnt(0)
	s_barrier
	s_and_saveexec_b64 s[2:3], vcc
	s_cbranch_execz .LBB1672_5
; %bb.4:
	v_and_b32_e32 v2, 1, v3
	v_lshlrev_b32_e32 v2, 2, v2
	ds_read_b32 v2, v2
	v_or_b32_e32 v3, 4, v4
	s_waitcnt lgkmcnt(0)
	ds_bpermute_b32 v3, v3, v2
	s_waitcnt lgkmcnt(0)
	v_add_u32_e32 v2, v3, v2
.LBB1672_5:
	s_or_b64 exec, exec, s[2:3]
	s_load_dword s28, s[4:5], 0x40
	s_branch .LBB1672_28
.LBB1672_6:
                                        ; implicit-def: $vgpr2
	s_load_dword s28, s[4:5], 0x40
	s_cbranch_execz .LBB1672_28
; %bb.7:
	s_sub_i32 s29, s18, s0
	v_cmp_gt_u32_e32 vcc, s29, v0
                                        ; implicit-def: $vgpr2_vgpr3_vgpr4_vgpr5_vgpr6_vgpr7_vgpr8_vgpr9
	s_and_saveexec_b64 s[0:1], vcc
	s_cbranch_execz .LBB1672_9
; %bb.8:
	global_load_dwordx2 v[2:3], v10, s[14:15]
	global_load_dwordx2 v[4:5], v10, s[16:17]
	s_waitcnt vmcnt(0)
	v_cmp_neq_f64_e32 vcc, v[2:3], v[4:5]
	v_cndmask_b32_e64 v2, 0, 1, vcc
.LBB1672_9:
	s_or_b64 exec, exec, s[0:1]
	v_or_b32_e32 v11, 0x80, v0
	v_cmp_gt_u32_e32 vcc, s29, v11
	s_and_saveexec_b64 s[2:3], vcc
	s_cbranch_execz .LBB1672_11
; %bb.10:
	global_load_dwordx2 v[12:13], v10, s[14:15] offset:1024
	global_load_dwordx2 v[14:15], v10, s[16:17] offset:1024
	s_waitcnt vmcnt(0)
	v_cmp_neq_f64_e64 s[0:1], v[12:13], v[14:15]
	v_cndmask_b32_e64 v3, 0, 1, s[0:1]
.LBB1672_11:
	s_or_b64 exec, exec, s[2:3]
	v_or_b32_e32 v11, 0x100, v0
	v_cmp_gt_u32_e64 s[0:1], s29, v11
	s_and_saveexec_b64 s[4:5], s[0:1]
	s_cbranch_execz .LBB1672_13
; %bb.12:
	global_load_dwordx2 v[12:13], v10, s[14:15] offset:2048
	global_load_dwordx2 v[14:15], v10, s[16:17] offset:2048
	s_waitcnt vmcnt(0)
	v_cmp_neq_f64_e64 s[2:3], v[12:13], v[14:15]
	v_cndmask_b32_e64 v4, 0, 1, s[2:3]
.LBB1672_13:
	s_or_b64 exec, exec, s[4:5]
	v_or_b32_e32 v11, 0x180, v0
	v_cmp_gt_u32_e64 s[2:3], s29, v11
	s_and_saveexec_b64 s[8:9], s[2:3]
	;; [unrolled: 12-line block ×3, first 2 shown]
	s_cbranch_execz .LBB1672_17
; %bb.16:
	v_lshlrev_b32_e32 v6, 3, v10
	global_load_dwordx2 v[10:11], v6, s[14:15]
	global_load_dwordx2 v[12:13], v6, s[16:17]
	s_waitcnt vmcnt(0)
	v_cmp_neq_f64_e64 s[8:9], v[10:11], v[12:13]
	v_cndmask_b32_e64 v6, 0, 1, s[8:9]
.LBB1672_17:
	s_or_b64 exec, exec, s[10:11]
	v_or_b32_e32 v10, 0x280, v0
	v_cmp_gt_u32_e64 s[8:9], s29, v10
	s_and_saveexec_b64 s[12:13], s[8:9]
	s_cbranch_execz .LBB1672_19
; %bb.18:
	v_lshlrev_b32_e32 v7, 3, v10
	global_load_dwordx2 v[10:11], v7, s[14:15]
	global_load_dwordx2 v[12:13], v7, s[16:17]
	s_waitcnt vmcnt(0)
	v_cmp_neq_f64_e64 s[10:11], v[10:11], v[12:13]
	v_cndmask_b32_e64 v7, 0, 1, s[10:11]
.LBB1672_19:
	s_or_b64 exec, exec, s[12:13]
	v_or_b32_e32 v10, 0x300, v0
	v_cmp_gt_u32_e64 s[10:11], s29, v10
	s_and_saveexec_b64 s[26:27], s[10:11]
	;; [unrolled: 13-line block ×3, first 2 shown]
	s_cbranch_execz .LBB1672_23
; %bb.22:
	v_lshlrev_b32_e32 v9, 3, v10
	global_load_dwordx2 v[10:11], v9, s[14:15]
	global_load_dwordx2 v[12:13], v9, s[16:17]
	s_waitcnt vmcnt(0)
	v_cmp_neq_f64_e64 s[14:15], v[10:11], v[12:13]
	v_cndmask_b32_e64 v9, 0, 1, s[14:15]
.LBB1672_23:
	s_or_b64 exec, exec, s[26:27]
	v_cndmask_b32_e32 v3, 0, v3, vcc
	v_add_u32_e32 v2, v3, v2
	v_cndmask_b32_e64 v3, 0, v4, s[0:1]
	v_cndmask_b32_e64 v4, 0, v5, s[2:3]
	v_add3_u32 v2, v2, v3, v4
	v_cndmask_b32_e64 v3, 0, v6, s[4:5]
	v_cndmask_b32_e64 v4, 0, v7, s[8:9]
	v_add3_u32 v2, v2, v3, v4
	v_cndmask_b32_e64 v3, 0, v8, s[10:11]
	v_cndmask_b32_e64 v4, 0, v9, s[12:13]
	v_mbcnt_hi_u32_b32 v1, -1, v1
	v_add3_u32 v2, v2, v3, v4
	v_and_b32_e32 v3, 63, v1
	v_cmp_ne_u32_e32 vcc, 63, v3
	v_addc_co_u32_e32 v4, vcc, 0, v1, vcc
	v_lshlrev_b32_e32 v4, 2, v4
	ds_bpermute_b32 v4, v4, v2
	s_min_u32 s2, s29, 0x80
	v_and_b32_e32 v5, 64, v0
	v_sub_u32_e64 v5, s2, v5 clamp
	v_add_u32_e32 v6, 1, v3
	v_cmp_lt_u32_e32 vcc, v6, v5
	s_waitcnt lgkmcnt(0)
	v_cndmask_b32_e32 v4, 0, v4, vcc
	v_cmp_gt_u32_e32 vcc, 62, v3
	v_add_u32_e32 v2, v2, v4
	v_cndmask_b32_e64 v4, 0, 1, vcc
	v_lshlrev_b32_e32 v4, 1, v4
	v_add_lshl_u32 v4, v4, v1, 2
	ds_bpermute_b32 v4, v4, v2
	v_add_u32_e32 v6, 2, v3
	v_cmp_lt_u32_e32 vcc, v6, v5
	v_add_u32_e32 v6, 4, v3
	s_waitcnt lgkmcnt(0)
	v_cndmask_b32_e32 v4, 0, v4, vcc
	v_cmp_gt_u32_e32 vcc, 60, v3
	v_add_u32_e32 v2, v2, v4
	v_cndmask_b32_e64 v4, 0, 1, vcc
	v_lshlrev_b32_e32 v4, 2, v4
	v_add_lshl_u32 v4, v4, v1, 2
	ds_bpermute_b32 v4, v4, v2
	v_cmp_lt_u32_e32 vcc, v6, v5
	v_add_u32_e32 v6, 8, v3
	s_waitcnt lgkmcnt(0)
	v_cndmask_b32_e32 v4, 0, v4, vcc
	v_cmp_gt_u32_e32 vcc, 56, v3
	v_add_u32_e32 v2, v2, v4
	v_cndmask_b32_e64 v4, 0, 1, vcc
	v_lshlrev_b32_e32 v4, 3, v4
	v_add_lshl_u32 v4, v4, v1, 2
	ds_bpermute_b32 v4, v4, v2
	;; [unrolled: 10-line block ×3, first 2 shown]
	v_cmp_lt_u32_e32 vcc, v6, v5
	s_waitcnt lgkmcnt(0)
	v_cndmask_b32_e32 v4, 0, v4, vcc
	v_cmp_gt_u32_e32 vcc, 32, v3
	v_add_u32_e32 v2, v2, v4
	v_cndmask_b32_e64 v4, 0, 1, vcc
	v_lshlrev_b32_e32 v4, 5, v4
	v_add_lshl_u32 v4, v4, v1, 2
	ds_bpermute_b32 v4, v4, v2
	v_add_u32_e32 v3, 32, v3
	v_cmp_lt_u32_e32 vcc, v3, v5
	s_waitcnt lgkmcnt(0)
	v_cndmask_b32_e32 v3, 0, v4, vcc
	v_add_u32_e32 v2, v2, v3
	v_cmp_eq_u32_e32 vcc, 0, v1
	s_and_saveexec_b64 s[0:1], vcc
	s_cbranch_execz .LBB1672_25
; %bb.24:
	v_lshrrev_b32_e32 v3, 4, v0
	v_and_b32_e32 v3, 4, v3
	ds_write_b32 v3, v2 offset:8
.LBB1672_25:
	s_or_b64 exec, exec, s[0:1]
	v_cmp_gt_u32_e32 vcc, 2, v0
	s_waitcnt lgkmcnt(0)
	s_barrier
	s_and_saveexec_b64 s[0:1], vcc
	s_cbranch_execz .LBB1672_27
; %bb.26:
	v_lshlrev_b32_e32 v2, 2, v1
	ds_read_b32 v3, v2 offset:8
	v_or_b32_e32 v2, 4, v2
	s_add_i32 s2, s2, 63
	v_and_b32_e32 v1, 1, v1
	s_lshr_b32 s2, s2, 6
	s_waitcnt lgkmcnt(0)
	ds_bpermute_b32 v2, v2, v3
	v_add_u32_e32 v1, 1, v1
	v_cmp_gt_u32_e32 vcc, s2, v1
	s_waitcnt lgkmcnt(0)
	v_cndmask_b32_e32 v1, 0, v2, vcc
	v_add_u32_e32 v2, v1, v3
.LBB1672_27:
	s_or_b64 exec, exec, s[0:1]
.LBB1672_28:
	v_cmp_eq_u32_e32 vcc, 0, v0
	s_and_saveexec_b64 s[0:1], vcc
	s_cbranch_execnz .LBB1672_30
; %bb.29:
	s_endpgm
.LBB1672_30:
	s_mul_i32 s0, s24, s23
	s_mul_hi_u32 s1, s24, s22
	s_add_i32 s0, s1, s0
	s_mul_i32 s1, s25, s22
	s_add_i32 s1, s0, s1
	s_mul_i32 s0, s24, s22
	s_lshl_b64 s[0:1], s[0:1], 2
	s_add_u32 s2, s20, s0
	s_addc_u32 s3, s21, s1
	s_cmp_eq_u64 s[18:19], 0
	s_cselect_b64 vcc, -1, 0
	s_lshl_b64 s[0:1], s[6:7], 2
	s_waitcnt lgkmcnt(0)
	v_mov_b32_e32 v0, s28
	s_add_u32 s0, s2, s0
	v_cndmask_b32_e32 v0, v2, v0, vcc
	s_addc_u32 s1, s3, s1
	v_mov_b32_e32 v1, 0
	global_store_dword v1, v0, s[0:1]
	s_endpgm
	.section	.rodata,"a",@progbits
	.p2align	6, 0x0
	.amdhsa_kernel _ZN7rocprim17ROCPRIM_400000_NS6detail17trampoline_kernelINS0_14default_configENS1_22reduce_config_selectorIiEEZNS1_11reduce_implILb1ES3_N6thrust23THRUST_200600_302600_NS11hip_rocprim35transform_pair_of_input_iterators_tIiPdSB_NS8_12not_equal_toIdEEEEPiiNS8_4plusIiEEEE10hipError_tPvRmT1_T2_T3_mT4_P12ihipStream_tbEUlT_E0_NS1_11comp_targetILNS1_3genE4ELNS1_11target_archE910ELNS1_3gpuE8ELNS1_3repE0EEENS1_30default_config_static_selectorELNS0_4arch9wavefront6targetE1EEEvSL_
		.amdhsa_group_segment_fixed_size 16
		.amdhsa_private_segment_fixed_size 0
		.amdhsa_kernarg_size 72
		.amdhsa_user_sgpr_count 6
		.amdhsa_user_sgpr_private_segment_buffer 1
		.amdhsa_user_sgpr_dispatch_ptr 0
		.amdhsa_user_sgpr_queue_ptr 0
		.amdhsa_user_sgpr_kernarg_segment_ptr 1
		.amdhsa_user_sgpr_dispatch_id 0
		.amdhsa_user_sgpr_flat_scratch_init 0
		.amdhsa_user_sgpr_kernarg_preload_length 0
		.amdhsa_user_sgpr_kernarg_preload_offset 0
		.amdhsa_user_sgpr_private_segment_size 0
		.amdhsa_uses_dynamic_stack 0
		.amdhsa_system_sgpr_private_segment_wavefront_offset 0
		.amdhsa_system_sgpr_workgroup_id_x 1
		.amdhsa_system_sgpr_workgroup_id_y 0
		.amdhsa_system_sgpr_workgroup_id_z 0
		.amdhsa_system_sgpr_workgroup_info 0
		.amdhsa_system_vgpr_workitem_id 0
		.amdhsa_next_free_vgpr 40
		.amdhsa_next_free_sgpr 30
		.amdhsa_accum_offset 40
		.amdhsa_reserve_vcc 1
		.amdhsa_reserve_flat_scratch 0
		.amdhsa_float_round_mode_32 0
		.amdhsa_float_round_mode_16_64 0
		.amdhsa_float_denorm_mode_32 3
		.amdhsa_float_denorm_mode_16_64 3
		.amdhsa_dx10_clamp 1
		.amdhsa_ieee_mode 1
		.amdhsa_fp16_overflow 0
		.amdhsa_tg_split 0
		.amdhsa_exception_fp_ieee_invalid_op 0
		.amdhsa_exception_fp_denorm_src 0
		.amdhsa_exception_fp_ieee_div_zero 0
		.amdhsa_exception_fp_ieee_overflow 0
		.amdhsa_exception_fp_ieee_underflow 0
		.amdhsa_exception_fp_ieee_inexact 0
		.amdhsa_exception_int_div_zero 0
	.end_amdhsa_kernel
	.section	.text._ZN7rocprim17ROCPRIM_400000_NS6detail17trampoline_kernelINS0_14default_configENS1_22reduce_config_selectorIiEEZNS1_11reduce_implILb1ES3_N6thrust23THRUST_200600_302600_NS11hip_rocprim35transform_pair_of_input_iterators_tIiPdSB_NS8_12not_equal_toIdEEEEPiiNS8_4plusIiEEEE10hipError_tPvRmT1_T2_T3_mT4_P12ihipStream_tbEUlT_E0_NS1_11comp_targetILNS1_3genE4ELNS1_11target_archE910ELNS1_3gpuE8ELNS1_3repE0EEENS1_30default_config_static_selectorELNS0_4arch9wavefront6targetE1EEEvSL_,"axG",@progbits,_ZN7rocprim17ROCPRIM_400000_NS6detail17trampoline_kernelINS0_14default_configENS1_22reduce_config_selectorIiEEZNS1_11reduce_implILb1ES3_N6thrust23THRUST_200600_302600_NS11hip_rocprim35transform_pair_of_input_iterators_tIiPdSB_NS8_12not_equal_toIdEEEEPiiNS8_4plusIiEEEE10hipError_tPvRmT1_T2_T3_mT4_P12ihipStream_tbEUlT_E0_NS1_11comp_targetILNS1_3genE4ELNS1_11target_archE910ELNS1_3gpuE8ELNS1_3repE0EEENS1_30default_config_static_selectorELNS0_4arch9wavefront6targetE1EEEvSL_,comdat
.Lfunc_end1672:
	.size	_ZN7rocprim17ROCPRIM_400000_NS6detail17trampoline_kernelINS0_14default_configENS1_22reduce_config_selectorIiEEZNS1_11reduce_implILb1ES3_N6thrust23THRUST_200600_302600_NS11hip_rocprim35transform_pair_of_input_iterators_tIiPdSB_NS8_12not_equal_toIdEEEEPiiNS8_4plusIiEEEE10hipError_tPvRmT1_T2_T3_mT4_P12ihipStream_tbEUlT_E0_NS1_11comp_targetILNS1_3genE4ELNS1_11target_archE910ELNS1_3gpuE8ELNS1_3repE0EEENS1_30default_config_static_selectorELNS0_4arch9wavefront6targetE1EEEvSL_, .Lfunc_end1672-_ZN7rocprim17ROCPRIM_400000_NS6detail17trampoline_kernelINS0_14default_configENS1_22reduce_config_selectorIiEEZNS1_11reduce_implILb1ES3_N6thrust23THRUST_200600_302600_NS11hip_rocprim35transform_pair_of_input_iterators_tIiPdSB_NS8_12not_equal_toIdEEEEPiiNS8_4plusIiEEEE10hipError_tPvRmT1_T2_T3_mT4_P12ihipStream_tbEUlT_E0_NS1_11comp_targetILNS1_3genE4ELNS1_11target_archE910ELNS1_3gpuE8ELNS1_3repE0EEENS1_30default_config_static_selectorELNS0_4arch9wavefront6targetE1EEEvSL_
                                        ; -- End function
	.section	.AMDGPU.csdata,"",@progbits
; Kernel info:
; codeLenInByte = 1748
; NumSgprs: 34
; NumVgprs: 40
; NumAgprs: 0
; TotalNumVgprs: 40
; ScratchSize: 0
; MemoryBound: 0
; FloatMode: 240
; IeeeMode: 1
; LDSByteSize: 16 bytes/workgroup (compile time only)
; SGPRBlocks: 4
; VGPRBlocks: 4
; NumSGPRsForWavesPerEU: 34
; NumVGPRsForWavesPerEU: 40
; AccumOffset: 40
; Occupancy: 8
; WaveLimiterHint : 0
; COMPUTE_PGM_RSRC2:SCRATCH_EN: 0
; COMPUTE_PGM_RSRC2:USER_SGPR: 6
; COMPUTE_PGM_RSRC2:TRAP_HANDLER: 0
; COMPUTE_PGM_RSRC2:TGID_X_EN: 1
; COMPUTE_PGM_RSRC2:TGID_Y_EN: 0
; COMPUTE_PGM_RSRC2:TGID_Z_EN: 0
; COMPUTE_PGM_RSRC2:TIDIG_COMP_CNT: 0
; COMPUTE_PGM_RSRC3_GFX90A:ACCUM_OFFSET: 9
; COMPUTE_PGM_RSRC3_GFX90A:TG_SPLIT: 0
	.section	.text._ZN7rocprim17ROCPRIM_400000_NS6detail17trampoline_kernelINS0_14default_configENS1_22reduce_config_selectorIiEEZNS1_11reduce_implILb1ES3_N6thrust23THRUST_200600_302600_NS11hip_rocprim35transform_pair_of_input_iterators_tIiPdSB_NS8_12not_equal_toIdEEEEPiiNS8_4plusIiEEEE10hipError_tPvRmT1_T2_T3_mT4_P12ihipStream_tbEUlT_E0_NS1_11comp_targetILNS1_3genE3ELNS1_11target_archE908ELNS1_3gpuE7ELNS1_3repE0EEENS1_30default_config_static_selectorELNS0_4arch9wavefront6targetE1EEEvSL_,"axG",@progbits,_ZN7rocprim17ROCPRIM_400000_NS6detail17trampoline_kernelINS0_14default_configENS1_22reduce_config_selectorIiEEZNS1_11reduce_implILb1ES3_N6thrust23THRUST_200600_302600_NS11hip_rocprim35transform_pair_of_input_iterators_tIiPdSB_NS8_12not_equal_toIdEEEEPiiNS8_4plusIiEEEE10hipError_tPvRmT1_T2_T3_mT4_P12ihipStream_tbEUlT_E0_NS1_11comp_targetILNS1_3genE3ELNS1_11target_archE908ELNS1_3gpuE7ELNS1_3repE0EEENS1_30default_config_static_selectorELNS0_4arch9wavefront6targetE1EEEvSL_,comdat
	.protected	_ZN7rocprim17ROCPRIM_400000_NS6detail17trampoline_kernelINS0_14default_configENS1_22reduce_config_selectorIiEEZNS1_11reduce_implILb1ES3_N6thrust23THRUST_200600_302600_NS11hip_rocprim35transform_pair_of_input_iterators_tIiPdSB_NS8_12not_equal_toIdEEEEPiiNS8_4plusIiEEEE10hipError_tPvRmT1_T2_T3_mT4_P12ihipStream_tbEUlT_E0_NS1_11comp_targetILNS1_3genE3ELNS1_11target_archE908ELNS1_3gpuE7ELNS1_3repE0EEENS1_30default_config_static_selectorELNS0_4arch9wavefront6targetE1EEEvSL_ ; -- Begin function _ZN7rocprim17ROCPRIM_400000_NS6detail17trampoline_kernelINS0_14default_configENS1_22reduce_config_selectorIiEEZNS1_11reduce_implILb1ES3_N6thrust23THRUST_200600_302600_NS11hip_rocprim35transform_pair_of_input_iterators_tIiPdSB_NS8_12not_equal_toIdEEEEPiiNS8_4plusIiEEEE10hipError_tPvRmT1_T2_T3_mT4_P12ihipStream_tbEUlT_E0_NS1_11comp_targetILNS1_3genE3ELNS1_11target_archE908ELNS1_3gpuE7ELNS1_3repE0EEENS1_30default_config_static_selectorELNS0_4arch9wavefront6targetE1EEEvSL_
	.globl	_ZN7rocprim17ROCPRIM_400000_NS6detail17trampoline_kernelINS0_14default_configENS1_22reduce_config_selectorIiEEZNS1_11reduce_implILb1ES3_N6thrust23THRUST_200600_302600_NS11hip_rocprim35transform_pair_of_input_iterators_tIiPdSB_NS8_12not_equal_toIdEEEEPiiNS8_4plusIiEEEE10hipError_tPvRmT1_T2_T3_mT4_P12ihipStream_tbEUlT_E0_NS1_11comp_targetILNS1_3genE3ELNS1_11target_archE908ELNS1_3gpuE7ELNS1_3repE0EEENS1_30default_config_static_selectorELNS0_4arch9wavefront6targetE1EEEvSL_
	.p2align	8
	.type	_ZN7rocprim17ROCPRIM_400000_NS6detail17trampoline_kernelINS0_14default_configENS1_22reduce_config_selectorIiEEZNS1_11reduce_implILb1ES3_N6thrust23THRUST_200600_302600_NS11hip_rocprim35transform_pair_of_input_iterators_tIiPdSB_NS8_12not_equal_toIdEEEEPiiNS8_4plusIiEEEE10hipError_tPvRmT1_T2_T3_mT4_P12ihipStream_tbEUlT_E0_NS1_11comp_targetILNS1_3genE3ELNS1_11target_archE908ELNS1_3gpuE7ELNS1_3repE0EEENS1_30default_config_static_selectorELNS0_4arch9wavefront6targetE1EEEvSL_,@function
_ZN7rocprim17ROCPRIM_400000_NS6detail17trampoline_kernelINS0_14default_configENS1_22reduce_config_selectorIiEEZNS1_11reduce_implILb1ES3_N6thrust23THRUST_200600_302600_NS11hip_rocprim35transform_pair_of_input_iterators_tIiPdSB_NS8_12not_equal_toIdEEEEPiiNS8_4plusIiEEEE10hipError_tPvRmT1_T2_T3_mT4_P12ihipStream_tbEUlT_E0_NS1_11comp_targetILNS1_3genE3ELNS1_11target_archE908ELNS1_3gpuE7ELNS1_3repE0EEENS1_30default_config_static_selectorELNS0_4arch9wavefront6targetE1EEEvSL_: ; @_ZN7rocprim17ROCPRIM_400000_NS6detail17trampoline_kernelINS0_14default_configENS1_22reduce_config_selectorIiEEZNS1_11reduce_implILb1ES3_N6thrust23THRUST_200600_302600_NS11hip_rocprim35transform_pair_of_input_iterators_tIiPdSB_NS8_12not_equal_toIdEEEEPiiNS8_4plusIiEEEE10hipError_tPvRmT1_T2_T3_mT4_P12ihipStream_tbEUlT_E0_NS1_11comp_targetILNS1_3genE3ELNS1_11target_archE908ELNS1_3gpuE7ELNS1_3repE0EEENS1_30default_config_static_selectorELNS0_4arch9wavefront6targetE1EEEvSL_
; %bb.0:
	.section	.rodata,"a",@progbits
	.p2align	6, 0x0
	.amdhsa_kernel _ZN7rocprim17ROCPRIM_400000_NS6detail17trampoline_kernelINS0_14default_configENS1_22reduce_config_selectorIiEEZNS1_11reduce_implILb1ES3_N6thrust23THRUST_200600_302600_NS11hip_rocprim35transform_pair_of_input_iterators_tIiPdSB_NS8_12not_equal_toIdEEEEPiiNS8_4plusIiEEEE10hipError_tPvRmT1_T2_T3_mT4_P12ihipStream_tbEUlT_E0_NS1_11comp_targetILNS1_3genE3ELNS1_11target_archE908ELNS1_3gpuE7ELNS1_3repE0EEENS1_30default_config_static_selectorELNS0_4arch9wavefront6targetE1EEEvSL_
		.amdhsa_group_segment_fixed_size 0
		.amdhsa_private_segment_fixed_size 0
		.amdhsa_kernarg_size 72
		.amdhsa_user_sgpr_count 6
		.amdhsa_user_sgpr_private_segment_buffer 1
		.amdhsa_user_sgpr_dispatch_ptr 0
		.amdhsa_user_sgpr_queue_ptr 0
		.amdhsa_user_sgpr_kernarg_segment_ptr 1
		.amdhsa_user_sgpr_dispatch_id 0
		.amdhsa_user_sgpr_flat_scratch_init 0
		.amdhsa_user_sgpr_kernarg_preload_length 0
		.amdhsa_user_sgpr_kernarg_preload_offset 0
		.amdhsa_user_sgpr_private_segment_size 0
		.amdhsa_uses_dynamic_stack 0
		.amdhsa_system_sgpr_private_segment_wavefront_offset 0
		.amdhsa_system_sgpr_workgroup_id_x 1
		.amdhsa_system_sgpr_workgroup_id_y 0
		.amdhsa_system_sgpr_workgroup_id_z 0
		.amdhsa_system_sgpr_workgroup_info 0
		.amdhsa_system_vgpr_workitem_id 0
		.amdhsa_next_free_vgpr 1
		.amdhsa_next_free_sgpr 0
		.amdhsa_accum_offset 4
		.amdhsa_reserve_vcc 0
		.amdhsa_reserve_flat_scratch 0
		.amdhsa_float_round_mode_32 0
		.amdhsa_float_round_mode_16_64 0
		.amdhsa_float_denorm_mode_32 3
		.amdhsa_float_denorm_mode_16_64 3
		.amdhsa_dx10_clamp 1
		.amdhsa_ieee_mode 1
		.amdhsa_fp16_overflow 0
		.amdhsa_tg_split 0
		.amdhsa_exception_fp_ieee_invalid_op 0
		.amdhsa_exception_fp_denorm_src 0
		.amdhsa_exception_fp_ieee_div_zero 0
		.amdhsa_exception_fp_ieee_overflow 0
		.amdhsa_exception_fp_ieee_underflow 0
		.amdhsa_exception_fp_ieee_inexact 0
		.amdhsa_exception_int_div_zero 0
	.end_amdhsa_kernel
	.section	.text._ZN7rocprim17ROCPRIM_400000_NS6detail17trampoline_kernelINS0_14default_configENS1_22reduce_config_selectorIiEEZNS1_11reduce_implILb1ES3_N6thrust23THRUST_200600_302600_NS11hip_rocprim35transform_pair_of_input_iterators_tIiPdSB_NS8_12not_equal_toIdEEEEPiiNS8_4plusIiEEEE10hipError_tPvRmT1_T2_T3_mT4_P12ihipStream_tbEUlT_E0_NS1_11comp_targetILNS1_3genE3ELNS1_11target_archE908ELNS1_3gpuE7ELNS1_3repE0EEENS1_30default_config_static_selectorELNS0_4arch9wavefront6targetE1EEEvSL_,"axG",@progbits,_ZN7rocprim17ROCPRIM_400000_NS6detail17trampoline_kernelINS0_14default_configENS1_22reduce_config_selectorIiEEZNS1_11reduce_implILb1ES3_N6thrust23THRUST_200600_302600_NS11hip_rocprim35transform_pair_of_input_iterators_tIiPdSB_NS8_12not_equal_toIdEEEEPiiNS8_4plusIiEEEE10hipError_tPvRmT1_T2_T3_mT4_P12ihipStream_tbEUlT_E0_NS1_11comp_targetILNS1_3genE3ELNS1_11target_archE908ELNS1_3gpuE7ELNS1_3repE0EEENS1_30default_config_static_selectorELNS0_4arch9wavefront6targetE1EEEvSL_,comdat
.Lfunc_end1673:
	.size	_ZN7rocprim17ROCPRIM_400000_NS6detail17trampoline_kernelINS0_14default_configENS1_22reduce_config_selectorIiEEZNS1_11reduce_implILb1ES3_N6thrust23THRUST_200600_302600_NS11hip_rocprim35transform_pair_of_input_iterators_tIiPdSB_NS8_12not_equal_toIdEEEEPiiNS8_4plusIiEEEE10hipError_tPvRmT1_T2_T3_mT4_P12ihipStream_tbEUlT_E0_NS1_11comp_targetILNS1_3genE3ELNS1_11target_archE908ELNS1_3gpuE7ELNS1_3repE0EEENS1_30default_config_static_selectorELNS0_4arch9wavefront6targetE1EEEvSL_, .Lfunc_end1673-_ZN7rocprim17ROCPRIM_400000_NS6detail17trampoline_kernelINS0_14default_configENS1_22reduce_config_selectorIiEEZNS1_11reduce_implILb1ES3_N6thrust23THRUST_200600_302600_NS11hip_rocprim35transform_pair_of_input_iterators_tIiPdSB_NS8_12not_equal_toIdEEEEPiiNS8_4plusIiEEEE10hipError_tPvRmT1_T2_T3_mT4_P12ihipStream_tbEUlT_E0_NS1_11comp_targetILNS1_3genE3ELNS1_11target_archE908ELNS1_3gpuE7ELNS1_3repE0EEENS1_30default_config_static_selectorELNS0_4arch9wavefront6targetE1EEEvSL_
                                        ; -- End function
	.section	.AMDGPU.csdata,"",@progbits
; Kernel info:
; codeLenInByte = 0
; NumSgprs: 4
; NumVgprs: 0
; NumAgprs: 0
; TotalNumVgprs: 0
; ScratchSize: 0
; MemoryBound: 0
; FloatMode: 240
; IeeeMode: 1
; LDSByteSize: 0 bytes/workgroup (compile time only)
; SGPRBlocks: 0
; VGPRBlocks: 0
; NumSGPRsForWavesPerEU: 4
; NumVGPRsForWavesPerEU: 1
; AccumOffset: 4
; Occupancy: 8
; WaveLimiterHint : 0
; COMPUTE_PGM_RSRC2:SCRATCH_EN: 0
; COMPUTE_PGM_RSRC2:USER_SGPR: 6
; COMPUTE_PGM_RSRC2:TRAP_HANDLER: 0
; COMPUTE_PGM_RSRC2:TGID_X_EN: 1
; COMPUTE_PGM_RSRC2:TGID_Y_EN: 0
; COMPUTE_PGM_RSRC2:TGID_Z_EN: 0
; COMPUTE_PGM_RSRC2:TIDIG_COMP_CNT: 0
; COMPUTE_PGM_RSRC3_GFX90A:ACCUM_OFFSET: 0
; COMPUTE_PGM_RSRC3_GFX90A:TG_SPLIT: 0
	.section	.text._ZN7rocprim17ROCPRIM_400000_NS6detail17trampoline_kernelINS0_14default_configENS1_22reduce_config_selectorIiEEZNS1_11reduce_implILb1ES3_N6thrust23THRUST_200600_302600_NS11hip_rocprim35transform_pair_of_input_iterators_tIiPdSB_NS8_12not_equal_toIdEEEEPiiNS8_4plusIiEEEE10hipError_tPvRmT1_T2_T3_mT4_P12ihipStream_tbEUlT_E0_NS1_11comp_targetILNS1_3genE2ELNS1_11target_archE906ELNS1_3gpuE6ELNS1_3repE0EEENS1_30default_config_static_selectorELNS0_4arch9wavefront6targetE1EEEvSL_,"axG",@progbits,_ZN7rocprim17ROCPRIM_400000_NS6detail17trampoline_kernelINS0_14default_configENS1_22reduce_config_selectorIiEEZNS1_11reduce_implILb1ES3_N6thrust23THRUST_200600_302600_NS11hip_rocprim35transform_pair_of_input_iterators_tIiPdSB_NS8_12not_equal_toIdEEEEPiiNS8_4plusIiEEEE10hipError_tPvRmT1_T2_T3_mT4_P12ihipStream_tbEUlT_E0_NS1_11comp_targetILNS1_3genE2ELNS1_11target_archE906ELNS1_3gpuE6ELNS1_3repE0EEENS1_30default_config_static_selectorELNS0_4arch9wavefront6targetE1EEEvSL_,comdat
	.protected	_ZN7rocprim17ROCPRIM_400000_NS6detail17trampoline_kernelINS0_14default_configENS1_22reduce_config_selectorIiEEZNS1_11reduce_implILb1ES3_N6thrust23THRUST_200600_302600_NS11hip_rocprim35transform_pair_of_input_iterators_tIiPdSB_NS8_12not_equal_toIdEEEEPiiNS8_4plusIiEEEE10hipError_tPvRmT1_T2_T3_mT4_P12ihipStream_tbEUlT_E0_NS1_11comp_targetILNS1_3genE2ELNS1_11target_archE906ELNS1_3gpuE6ELNS1_3repE0EEENS1_30default_config_static_selectorELNS0_4arch9wavefront6targetE1EEEvSL_ ; -- Begin function _ZN7rocprim17ROCPRIM_400000_NS6detail17trampoline_kernelINS0_14default_configENS1_22reduce_config_selectorIiEEZNS1_11reduce_implILb1ES3_N6thrust23THRUST_200600_302600_NS11hip_rocprim35transform_pair_of_input_iterators_tIiPdSB_NS8_12not_equal_toIdEEEEPiiNS8_4plusIiEEEE10hipError_tPvRmT1_T2_T3_mT4_P12ihipStream_tbEUlT_E0_NS1_11comp_targetILNS1_3genE2ELNS1_11target_archE906ELNS1_3gpuE6ELNS1_3repE0EEENS1_30default_config_static_selectorELNS0_4arch9wavefront6targetE1EEEvSL_
	.globl	_ZN7rocprim17ROCPRIM_400000_NS6detail17trampoline_kernelINS0_14default_configENS1_22reduce_config_selectorIiEEZNS1_11reduce_implILb1ES3_N6thrust23THRUST_200600_302600_NS11hip_rocprim35transform_pair_of_input_iterators_tIiPdSB_NS8_12not_equal_toIdEEEEPiiNS8_4plusIiEEEE10hipError_tPvRmT1_T2_T3_mT4_P12ihipStream_tbEUlT_E0_NS1_11comp_targetILNS1_3genE2ELNS1_11target_archE906ELNS1_3gpuE6ELNS1_3repE0EEENS1_30default_config_static_selectorELNS0_4arch9wavefront6targetE1EEEvSL_
	.p2align	8
	.type	_ZN7rocprim17ROCPRIM_400000_NS6detail17trampoline_kernelINS0_14default_configENS1_22reduce_config_selectorIiEEZNS1_11reduce_implILb1ES3_N6thrust23THRUST_200600_302600_NS11hip_rocprim35transform_pair_of_input_iterators_tIiPdSB_NS8_12not_equal_toIdEEEEPiiNS8_4plusIiEEEE10hipError_tPvRmT1_T2_T3_mT4_P12ihipStream_tbEUlT_E0_NS1_11comp_targetILNS1_3genE2ELNS1_11target_archE906ELNS1_3gpuE6ELNS1_3repE0EEENS1_30default_config_static_selectorELNS0_4arch9wavefront6targetE1EEEvSL_,@function
_ZN7rocprim17ROCPRIM_400000_NS6detail17trampoline_kernelINS0_14default_configENS1_22reduce_config_selectorIiEEZNS1_11reduce_implILb1ES3_N6thrust23THRUST_200600_302600_NS11hip_rocprim35transform_pair_of_input_iterators_tIiPdSB_NS8_12not_equal_toIdEEEEPiiNS8_4plusIiEEEE10hipError_tPvRmT1_T2_T3_mT4_P12ihipStream_tbEUlT_E0_NS1_11comp_targetILNS1_3genE2ELNS1_11target_archE906ELNS1_3gpuE6ELNS1_3repE0EEENS1_30default_config_static_selectorELNS0_4arch9wavefront6targetE1EEEvSL_: ; @_ZN7rocprim17ROCPRIM_400000_NS6detail17trampoline_kernelINS0_14default_configENS1_22reduce_config_selectorIiEEZNS1_11reduce_implILb1ES3_N6thrust23THRUST_200600_302600_NS11hip_rocprim35transform_pair_of_input_iterators_tIiPdSB_NS8_12not_equal_toIdEEEEPiiNS8_4plusIiEEEE10hipError_tPvRmT1_T2_T3_mT4_P12ihipStream_tbEUlT_E0_NS1_11comp_targetILNS1_3genE2ELNS1_11target_archE906ELNS1_3gpuE6ELNS1_3repE0EEENS1_30default_config_static_selectorELNS0_4arch9wavefront6targetE1EEEvSL_
; %bb.0:
	.section	.rodata,"a",@progbits
	.p2align	6, 0x0
	.amdhsa_kernel _ZN7rocprim17ROCPRIM_400000_NS6detail17trampoline_kernelINS0_14default_configENS1_22reduce_config_selectorIiEEZNS1_11reduce_implILb1ES3_N6thrust23THRUST_200600_302600_NS11hip_rocprim35transform_pair_of_input_iterators_tIiPdSB_NS8_12not_equal_toIdEEEEPiiNS8_4plusIiEEEE10hipError_tPvRmT1_T2_T3_mT4_P12ihipStream_tbEUlT_E0_NS1_11comp_targetILNS1_3genE2ELNS1_11target_archE906ELNS1_3gpuE6ELNS1_3repE0EEENS1_30default_config_static_selectorELNS0_4arch9wavefront6targetE1EEEvSL_
		.amdhsa_group_segment_fixed_size 0
		.amdhsa_private_segment_fixed_size 0
		.amdhsa_kernarg_size 72
		.amdhsa_user_sgpr_count 6
		.amdhsa_user_sgpr_private_segment_buffer 1
		.amdhsa_user_sgpr_dispatch_ptr 0
		.amdhsa_user_sgpr_queue_ptr 0
		.amdhsa_user_sgpr_kernarg_segment_ptr 1
		.amdhsa_user_sgpr_dispatch_id 0
		.amdhsa_user_sgpr_flat_scratch_init 0
		.amdhsa_user_sgpr_kernarg_preload_length 0
		.amdhsa_user_sgpr_kernarg_preload_offset 0
		.amdhsa_user_sgpr_private_segment_size 0
		.amdhsa_uses_dynamic_stack 0
		.amdhsa_system_sgpr_private_segment_wavefront_offset 0
		.amdhsa_system_sgpr_workgroup_id_x 1
		.amdhsa_system_sgpr_workgroup_id_y 0
		.amdhsa_system_sgpr_workgroup_id_z 0
		.amdhsa_system_sgpr_workgroup_info 0
		.amdhsa_system_vgpr_workitem_id 0
		.amdhsa_next_free_vgpr 1
		.amdhsa_next_free_sgpr 0
		.amdhsa_accum_offset 4
		.amdhsa_reserve_vcc 0
		.amdhsa_reserve_flat_scratch 0
		.amdhsa_float_round_mode_32 0
		.amdhsa_float_round_mode_16_64 0
		.amdhsa_float_denorm_mode_32 3
		.amdhsa_float_denorm_mode_16_64 3
		.amdhsa_dx10_clamp 1
		.amdhsa_ieee_mode 1
		.amdhsa_fp16_overflow 0
		.amdhsa_tg_split 0
		.amdhsa_exception_fp_ieee_invalid_op 0
		.amdhsa_exception_fp_denorm_src 0
		.amdhsa_exception_fp_ieee_div_zero 0
		.amdhsa_exception_fp_ieee_overflow 0
		.amdhsa_exception_fp_ieee_underflow 0
		.amdhsa_exception_fp_ieee_inexact 0
		.amdhsa_exception_int_div_zero 0
	.end_amdhsa_kernel
	.section	.text._ZN7rocprim17ROCPRIM_400000_NS6detail17trampoline_kernelINS0_14default_configENS1_22reduce_config_selectorIiEEZNS1_11reduce_implILb1ES3_N6thrust23THRUST_200600_302600_NS11hip_rocprim35transform_pair_of_input_iterators_tIiPdSB_NS8_12not_equal_toIdEEEEPiiNS8_4plusIiEEEE10hipError_tPvRmT1_T2_T3_mT4_P12ihipStream_tbEUlT_E0_NS1_11comp_targetILNS1_3genE2ELNS1_11target_archE906ELNS1_3gpuE6ELNS1_3repE0EEENS1_30default_config_static_selectorELNS0_4arch9wavefront6targetE1EEEvSL_,"axG",@progbits,_ZN7rocprim17ROCPRIM_400000_NS6detail17trampoline_kernelINS0_14default_configENS1_22reduce_config_selectorIiEEZNS1_11reduce_implILb1ES3_N6thrust23THRUST_200600_302600_NS11hip_rocprim35transform_pair_of_input_iterators_tIiPdSB_NS8_12not_equal_toIdEEEEPiiNS8_4plusIiEEEE10hipError_tPvRmT1_T2_T3_mT4_P12ihipStream_tbEUlT_E0_NS1_11comp_targetILNS1_3genE2ELNS1_11target_archE906ELNS1_3gpuE6ELNS1_3repE0EEENS1_30default_config_static_selectorELNS0_4arch9wavefront6targetE1EEEvSL_,comdat
.Lfunc_end1674:
	.size	_ZN7rocprim17ROCPRIM_400000_NS6detail17trampoline_kernelINS0_14default_configENS1_22reduce_config_selectorIiEEZNS1_11reduce_implILb1ES3_N6thrust23THRUST_200600_302600_NS11hip_rocprim35transform_pair_of_input_iterators_tIiPdSB_NS8_12not_equal_toIdEEEEPiiNS8_4plusIiEEEE10hipError_tPvRmT1_T2_T3_mT4_P12ihipStream_tbEUlT_E0_NS1_11comp_targetILNS1_3genE2ELNS1_11target_archE906ELNS1_3gpuE6ELNS1_3repE0EEENS1_30default_config_static_selectorELNS0_4arch9wavefront6targetE1EEEvSL_, .Lfunc_end1674-_ZN7rocprim17ROCPRIM_400000_NS6detail17trampoline_kernelINS0_14default_configENS1_22reduce_config_selectorIiEEZNS1_11reduce_implILb1ES3_N6thrust23THRUST_200600_302600_NS11hip_rocprim35transform_pair_of_input_iterators_tIiPdSB_NS8_12not_equal_toIdEEEEPiiNS8_4plusIiEEEE10hipError_tPvRmT1_T2_T3_mT4_P12ihipStream_tbEUlT_E0_NS1_11comp_targetILNS1_3genE2ELNS1_11target_archE906ELNS1_3gpuE6ELNS1_3repE0EEENS1_30default_config_static_selectorELNS0_4arch9wavefront6targetE1EEEvSL_
                                        ; -- End function
	.section	.AMDGPU.csdata,"",@progbits
; Kernel info:
; codeLenInByte = 0
; NumSgprs: 4
; NumVgprs: 0
; NumAgprs: 0
; TotalNumVgprs: 0
; ScratchSize: 0
; MemoryBound: 0
; FloatMode: 240
; IeeeMode: 1
; LDSByteSize: 0 bytes/workgroup (compile time only)
; SGPRBlocks: 0
; VGPRBlocks: 0
; NumSGPRsForWavesPerEU: 4
; NumVGPRsForWavesPerEU: 1
; AccumOffset: 4
; Occupancy: 8
; WaveLimiterHint : 0
; COMPUTE_PGM_RSRC2:SCRATCH_EN: 0
; COMPUTE_PGM_RSRC2:USER_SGPR: 6
; COMPUTE_PGM_RSRC2:TRAP_HANDLER: 0
; COMPUTE_PGM_RSRC2:TGID_X_EN: 1
; COMPUTE_PGM_RSRC2:TGID_Y_EN: 0
; COMPUTE_PGM_RSRC2:TGID_Z_EN: 0
; COMPUTE_PGM_RSRC2:TIDIG_COMP_CNT: 0
; COMPUTE_PGM_RSRC3_GFX90A:ACCUM_OFFSET: 0
; COMPUTE_PGM_RSRC3_GFX90A:TG_SPLIT: 0
	.section	.text._ZN7rocprim17ROCPRIM_400000_NS6detail17trampoline_kernelINS0_14default_configENS1_22reduce_config_selectorIiEEZNS1_11reduce_implILb1ES3_N6thrust23THRUST_200600_302600_NS11hip_rocprim35transform_pair_of_input_iterators_tIiPdSB_NS8_12not_equal_toIdEEEEPiiNS8_4plusIiEEEE10hipError_tPvRmT1_T2_T3_mT4_P12ihipStream_tbEUlT_E0_NS1_11comp_targetILNS1_3genE10ELNS1_11target_archE1201ELNS1_3gpuE5ELNS1_3repE0EEENS1_30default_config_static_selectorELNS0_4arch9wavefront6targetE1EEEvSL_,"axG",@progbits,_ZN7rocprim17ROCPRIM_400000_NS6detail17trampoline_kernelINS0_14default_configENS1_22reduce_config_selectorIiEEZNS1_11reduce_implILb1ES3_N6thrust23THRUST_200600_302600_NS11hip_rocprim35transform_pair_of_input_iterators_tIiPdSB_NS8_12not_equal_toIdEEEEPiiNS8_4plusIiEEEE10hipError_tPvRmT1_T2_T3_mT4_P12ihipStream_tbEUlT_E0_NS1_11comp_targetILNS1_3genE10ELNS1_11target_archE1201ELNS1_3gpuE5ELNS1_3repE0EEENS1_30default_config_static_selectorELNS0_4arch9wavefront6targetE1EEEvSL_,comdat
	.protected	_ZN7rocprim17ROCPRIM_400000_NS6detail17trampoline_kernelINS0_14default_configENS1_22reduce_config_selectorIiEEZNS1_11reduce_implILb1ES3_N6thrust23THRUST_200600_302600_NS11hip_rocprim35transform_pair_of_input_iterators_tIiPdSB_NS8_12not_equal_toIdEEEEPiiNS8_4plusIiEEEE10hipError_tPvRmT1_T2_T3_mT4_P12ihipStream_tbEUlT_E0_NS1_11comp_targetILNS1_3genE10ELNS1_11target_archE1201ELNS1_3gpuE5ELNS1_3repE0EEENS1_30default_config_static_selectorELNS0_4arch9wavefront6targetE1EEEvSL_ ; -- Begin function _ZN7rocprim17ROCPRIM_400000_NS6detail17trampoline_kernelINS0_14default_configENS1_22reduce_config_selectorIiEEZNS1_11reduce_implILb1ES3_N6thrust23THRUST_200600_302600_NS11hip_rocprim35transform_pair_of_input_iterators_tIiPdSB_NS8_12not_equal_toIdEEEEPiiNS8_4plusIiEEEE10hipError_tPvRmT1_T2_T3_mT4_P12ihipStream_tbEUlT_E0_NS1_11comp_targetILNS1_3genE10ELNS1_11target_archE1201ELNS1_3gpuE5ELNS1_3repE0EEENS1_30default_config_static_selectorELNS0_4arch9wavefront6targetE1EEEvSL_
	.globl	_ZN7rocprim17ROCPRIM_400000_NS6detail17trampoline_kernelINS0_14default_configENS1_22reduce_config_selectorIiEEZNS1_11reduce_implILb1ES3_N6thrust23THRUST_200600_302600_NS11hip_rocprim35transform_pair_of_input_iterators_tIiPdSB_NS8_12not_equal_toIdEEEEPiiNS8_4plusIiEEEE10hipError_tPvRmT1_T2_T3_mT4_P12ihipStream_tbEUlT_E0_NS1_11comp_targetILNS1_3genE10ELNS1_11target_archE1201ELNS1_3gpuE5ELNS1_3repE0EEENS1_30default_config_static_selectorELNS0_4arch9wavefront6targetE1EEEvSL_
	.p2align	8
	.type	_ZN7rocprim17ROCPRIM_400000_NS6detail17trampoline_kernelINS0_14default_configENS1_22reduce_config_selectorIiEEZNS1_11reduce_implILb1ES3_N6thrust23THRUST_200600_302600_NS11hip_rocprim35transform_pair_of_input_iterators_tIiPdSB_NS8_12not_equal_toIdEEEEPiiNS8_4plusIiEEEE10hipError_tPvRmT1_T2_T3_mT4_P12ihipStream_tbEUlT_E0_NS1_11comp_targetILNS1_3genE10ELNS1_11target_archE1201ELNS1_3gpuE5ELNS1_3repE0EEENS1_30default_config_static_selectorELNS0_4arch9wavefront6targetE1EEEvSL_,@function
_ZN7rocprim17ROCPRIM_400000_NS6detail17trampoline_kernelINS0_14default_configENS1_22reduce_config_selectorIiEEZNS1_11reduce_implILb1ES3_N6thrust23THRUST_200600_302600_NS11hip_rocprim35transform_pair_of_input_iterators_tIiPdSB_NS8_12not_equal_toIdEEEEPiiNS8_4plusIiEEEE10hipError_tPvRmT1_T2_T3_mT4_P12ihipStream_tbEUlT_E0_NS1_11comp_targetILNS1_3genE10ELNS1_11target_archE1201ELNS1_3gpuE5ELNS1_3repE0EEENS1_30default_config_static_selectorELNS0_4arch9wavefront6targetE1EEEvSL_: ; @_ZN7rocprim17ROCPRIM_400000_NS6detail17trampoline_kernelINS0_14default_configENS1_22reduce_config_selectorIiEEZNS1_11reduce_implILb1ES3_N6thrust23THRUST_200600_302600_NS11hip_rocprim35transform_pair_of_input_iterators_tIiPdSB_NS8_12not_equal_toIdEEEEPiiNS8_4plusIiEEEE10hipError_tPvRmT1_T2_T3_mT4_P12ihipStream_tbEUlT_E0_NS1_11comp_targetILNS1_3genE10ELNS1_11target_archE1201ELNS1_3gpuE5ELNS1_3repE0EEENS1_30default_config_static_selectorELNS0_4arch9wavefront6targetE1EEEvSL_
; %bb.0:
	.section	.rodata,"a",@progbits
	.p2align	6, 0x0
	.amdhsa_kernel _ZN7rocprim17ROCPRIM_400000_NS6detail17trampoline_kernelINS0_14default_configENS1_22reduce_config_selectorIiEEZNS1_11reduce_implILb1ES3_N6thrust23THRUST_200600_302600_NS11hip_rocprim35transform_pair_of_input_iterators_tIiPdSB_NS8_12not_equal_toIdEEEEPiiNS8_4plusIiEEEE10hipError_tPvRmT1_T2_T3_mT4_P12ihipStream_tbEUlT_E0_NS1_11comp_targetILNS1_3genE10ELNS1_11target_archE1201ELNS1_3gpuE5ELNS1_3repE0EEENS1_30default_config_static_selectorELNS0_4arch9wavefront6targetE1EEEvSL_
		.amdhsa_group_segment_fixed_size 0
		.amdhsa_private_segment_fixed_size 0
		.amdhsa_kernarg_size 72
		.amdhsa_user_sgpr_count 6
		.amdhsa_user_sgpr_private_segment_buffer 1
		.amdhsa_user_sgpr_dispatch_ptr 0
		.amdhsa_user_sgpr_queue_ptr 0
		.amdhsa_user_sgpr_kernarg_segment_ptr 1
		.amdhsa_user_sgpr_dispatch_id 0
		.amdhsa_user_sgpr_flat_scratch_init 0
		.amdhsa_user_sgpr_kernarg_preload_length 0
		.amdhsa_user_sgpr_kernarg_preload_offset 0
		.amdhsa_user_sgpr_private_segment_size 0
		.amdhsa_uses_dynamic_stack 0
		.amdhsa_system_sgpr_private_segment_wavefront_offset 0
		.amdhsa_system_sgpr_workgroup_id_x 1
		.amdhsa_system_sgpr_workgroup_id_y 0
		.amdhsa_system_sgpr_workgroup_id_z 0
		.amdhsa_system_sgpr_workgroup_info 0
		.amdhsa_system_vgpr_workitem_id 0
		.amdhsa_next_free_vgpr 1
		.amdhsa_next_free_sgpr 0
		.amdhsa_accum_offset 4
		.amdhsa_reserve_vcc 0
		.amdhsa_reserve_flat_scratch 0
		.amdhsa_float_round_mode_32 0
		.amdhsa_float_round_mode_16_64 0
		.amdhsa_float_denorm_mode_32 3
		.amdhsa_float_denorm_mode_16_64 3
		.amdhsa_dx10_clamp 1
		.amdhsa_ieee_mode 1
		.amdhsa_fp16_overflow 0
		.amdhsa_tg_split 0
		.amdhsa_exception_fp_ieee_invalid_op 0
		.amdhsa_exception_fp_denorm_src 0
		.amdhsa_exception_fp_ieee_div_zero 0
		.amdhsa_exception_fp_ieee_overflow 0
		.amdhsa_exception_fp_ieee_underflow 0
		.amdhsa_exception_fp_ieee_inexact 0
		.amdhsa_exception_int_div_zero 0
	.end_amdhsa_kernel
	.section	.text._ZN7rocprim17ROCPRIM_400000_NS6detail17trampoline_kernelINS0_14default_configENS1_22reduce_config_selectorIiEEZNS1_11reduce_implILb1ES3_N6thrust23THRUST_200600_302600_NS11hip_rocprim35transform_pair_of_input_iterators_tIiPdSB_NS8_12not_equal_toIdEEEEPiiNS8_4plusIiEEEE10hipError_tPvRmT1_T2_T3_mT4_P12ihipStream_tbEUlT_E0_NS1_11comp_targetILNS1_3genE10ELNS1_11target_archE1201ELNS1_3gpuE5ELNS1_3repE0EEENS1_30default_config_static_selectorELNS0_4arch9wavefront6targetE1EEEvSL_,"axG",@progbits,_ZN7rocprim17ROCPRIM_400000_NS6detail17trampoline_kernelINS0_14default_configENS1_22reduce_config_selectorIiEEZNS1_11reduce_implILb1ES3_N6thrust23THRUST_200600_302600_NS11hip_rocprim35transform_pair_of_input_iterators_tIiPdSB_NS8_12not_equal_toIdEEEEPiiNS8_4plusIiEEEE10hipError_tPvRmT1_T2_T3_mT4_P12ihipStream_tbEUlT_E0_NS1_11comp_targetILNS1_3genE10ELNS1_11target_archE1201ELNS1_3gpuE5ELNS1_3repE0EEENS1_30default_config_static_selectorELNS0_4arch9wavefront6targetE1EEEvSL_,comdat
.Lfunc_end1675:
	.size	_ZN7rocprim17ROCPRIM_400000_NS6detail17trampoline_kernelINS0_14default_configENS1_22reduce_config_selectorIiEEZNS1_11reduce_implILb1ES3_N6thrust23THRUST_200600_302600_NS11hip_rocprim35transform_pair_of_input_iterators_tIiPdSB_NS8_12not_equal_toIdEEEEPiiNS8_4plusIiEEEE10hipError_tPvRmT1_T2_T3_mT4_P12ihipStream_tbEUlT_E0_NS1_11comp_targetILNS1_3genE10ELNS1_11target_archE1201ELNS1_3gpuE5ELNS1_3repE0EEENS1_30default_config_static_selectorELNS0_4arch9wavefront6targetE1EEEvSL_, .Lfunc_end1675-_ZN7rocprim17ROCPRIM_400000_NS6detail17trampoline_kernelINS0_14default_configENS1_22reduce_config_selectorIiEEZNS1_11reduce_implILb1ES3_N6thrust23THRUST_200600_302600_NS11hip_rocprim35transform_pair_of_input_iterators_tIiPdSB_NS8_12not_equal_toIdEEEEPiiNS8_4plusIiEEEE10hipError_tPvRmT1_T2_T3_mT4_P12ihipStream_tbEUlT_E0_NS1_11comp_targetILNS1_3genE10ELNS1_11target_archE1201ELNS1_3gpuE5ELNS1_3repE0EEENS1_30default_config_static_selectorELNS0_4arch9wavefront6targetE1EEEvSL_
                                        ; -- End function
	.section	.AMDGPU.csdata,"",@progbits
; Kernel info:
; codeLenInByte = 0
; NumSgprs: 4
; NumVgprs: 0
; NumAgprs: 0
; TotalNumVgprs: 0
; ScratchSize: 0
; MemoryBound: 0
; FloatMode: 240
; IeeeMode: 1
; LDSByteSize: 0 bytes/workgroup (compile time only)
; SGPRBlocks: 0
; VGPRBlocks: 0
; NumSGPRsForWavesPerEU: 4
; NumVGPRsForWavesPerEU: 1
; AccumOffset: 4
; Occupancy: 8
; WaveLimiterHint : 0
; COMPUTE_PGM_RSRC2:SCRATCH_EN: 0
; COMPUTE_PGM_RSRC2:USER_SGPR: 6
; COMPUTE_PGM_RSRC2:TRAP_HANDLER: 0
; COMPUTE_PGM_RSRC2:TGID_X_EN: 1
; COMPUTE_PGM_RSRC2:TGID_Y_EN: 0
; COMPUTE_PGM_RSRC2:TGID_Z_EN: 0
; COMPUTE_PGM_RSRC2:TIDIG_COMP_CNT: 0
; COMPUTE_PGM_RSRC3_GFX90A:ACCUM_OFFSET: 0
; COMPUTE_PGM_RSRC3_GFX90A:TG_SPLIT: 0
	.section	.text._ZN7rocprim17ROCPRIM_400000_NS6detail17trampoline_kernelINS0_14default_configENS1_22reduce_config_selectorIiEEZNS1_11reduce_implILb1ES3_N6thrust23THRUST_200600_302600_NS11hip_rocprim35transform_pair_of_input_iterators_tIiPdSB_NS8_12not_equal_toIdEEEEPiiNS8_4plusIiEEEE10hipError_tPvRmT1_T2_T3_mT4_P12ihipStream_tbEUlT_E0_NS1_11comp_targetILNS1_3genE10ELNS1_11target_archE1200ELNS1_3gpuE4ELNS1_3repE0EEENS1_30default_config_static_selectorELNS0_4arch9wavefront6targetE1EEEvSL_,"axG",@progbits,_ZN7rocprim17ROCPRIM_400000_NS6detail17trampoline_kernelINS0_14default_configENS1_22reduce_config_selectorIiEEZNS1_11reduce_implILb1ES3_N6thrust23THRUST_200600_302600_NS11hip_rocprim35transform_pair_of_input_iterators_tIiPdSB_NS8_12not_equal_toIdEEEEPiiNS8_4plusIiEEEE10hipError_tPvRmT1_T2_T3_mT4_P12ihipStream_tbEUlT_E0_NS1_11comp_targetILNS1_3genE10ELNS1_11target_archE1200ELNS1_3gpuE4ELNS1_3repE0EEENS1_30default_config_static_selectorELNS0_4arch9wavefront6targetE1EEEvSL_,comdat
	.protected	_ZN7rocprim17ROCPRIM_400000_NS6detail17trampoline_kernelINS0_14default_configENS1_22reduce_config_selectorIiEEZNS1_11reduce_implILb1ES3_N6thrust23THRUST_200600_302600_NS11hip_rocprim35transform_pair_of_input_iterators_tIiPdSB_NS8_12not_equal_toIdEEEEPiiNS8_4plusIiEEEE10hipError_tPvRmT1_T2_T3_mT4_P12ihipStream_tbEUlT_E0_NS1_11comp_targetILNS1_3genE10ELNS1_11target_archE1200ELNS1_3gpuE4ELNS1_3repE0EEENS1_30default_config_static_selectorELNS0_4arch9wavefront6targetE1EEEvSL_ ; -- Begin function _ZN7rocprim17ROCPRIM_400000_NS6detail17trampoline_kernelINS0_14default_configENS1_22reduce_config_selectorIiEEZNS1_11reduce_implILb1ES3_N6thrust23THRUST_200600_302600_NS11hip_rocprim35transform_pair_of_input_iterators_tIiPdSB_NS8_12not_equal_toIdEEEEPiiNS8_4plusIiEEEE10hipError_tPvRmT1_T2_T3_mT4_P12ihipStream_tbEUlT_E0_NS1_11comp_targetILNS1_3genE10ELNS1_11target_archE1200ELNS1_3gpuE4ELNS1_3repE0EEENS1_30default_config_static_selectorELNS0_4arch9wavefront6targetE1EEEvSL_
	.globl	_ZN7rocprim17ROCPRIM_400000_NS6detail17trampoline_kernelINS0_14default_configENS1_22reduce_config_selectorIiEEZNS1_11reduce_implILb1ES3_N6thrust23THRUST_200600_302600_NS11hip_rocprim35transform_pair_of_input_iterators_tIiPdSB_NS8_12not_equal_toIdEEEEPiiNS8_4plusIiEEEE10hipError_tPvRmT1_T2_T3_mT4_P12ihipStream_tbEUlT_E0_NS1_11comp_targetILNS1_3genE10ELNS1_11target_archE1200ELNS1_3gpuE4ELNS1_3repE0EEENS1_30default_config_static_selectorELNS0_4arch9wavefront6targetE1EEEvSL_
	.p2align	8
	.type	_ZN7rocprim17ROCPRIM_400000_NS6detail17trampoline_kernelINS0_14default_configENS1_22reduce_config_selectorIiEEZNS1_11reduce_implILb1ES3_N6thrust23THRUST_200600_302600_NS11hip_rocprim35transform_pair_of_input_iterators_tIiPdSB_NS8_12not_equal_toIdEEEEPiiNS8_4plusIiEEEE10hipError_tPvRmT1_T2_T3_mT4_P12ihipStream_tbEUlT_E0_NS1_11comp_targetILNS1_3genE10ELNS1_11target_archE1200ELNS1_3gpuE4ELNS1_3repE0EEENS1_30default_config_static_selectorELNS0_4arch9wavefront6targetE1EEEvSL_,@function
_ZN7rocprim17ROCPRIM_400000_NS6detail17trampoline_kernelINS0_14default_configENS1_22reduce_config_selectorIiEEZNS1_11reduce_implILb1ES3_N6thrust23THRUST_200600_302600_NS11hip_rocprim35transform_pair_of_input_iterators_tIiPdSB_NS8_12not_equal_toIdEEEEPiiNS8_4plusIiEEEE10hipError_tPvRmT1_T2_T3_mT4_P12ihipStream_tbEUlT_E0_NS1_11comp_targetILNS1_3genE10ELNS1_11target_archE1200ELNS1_3gpuE4ELNS1_3repE0EEENS1_30default_config_static_selectorELNS0_4arch9wavefront6targetE1EEEvSL_: ; @_ZN7rocprim17ROCPRIM_400000_NS6detail17trampoline_kernelINS0_14default_configENS1_22reduce_config_selectorIiEEZNS1_11reduce_implILb1ES3_N6thrust23THRUST_200600_302600_NS11hip_rocprim35transform_pair_of_input_iterators_tIiPdSB_NS8_12not_equal_toIdEEEEPiiNS8_4plusIiEEEE10hipError_tPvRmT1_T2_T3_mT4_P12ihipStream_tbEUlT_E0_NS1_11comp_targetILNS1_3genE10ELNS1_11target_archE1200ELNS1_3gpuE4ELNS1_3repE0EEENS1_30default_config_static_selectorELNS0_4arch9wavefront6targetE1EEEvSL_
; %bb.0:
	.section	.rodata,"a",@progbits
	.p2align	6, 0x0
	.amdhsa_kernel _ZN7rocprim17ROCPRIM_400000_NS6detail17trampoline_kernelINS0_14default_configENS1_22reduce_config_selectorIiEEZNS1_11reduce_implILb1ES3_N6thrust23THRUST_200600_302600_NS11hip_rocprim35transform_pair_of_input_iterators_tIiPdSB_NS8_12not_equal_toIdEEEEPiiNS8_4plusIiEEEE10hipError_tPvRmT1_T2_T3_mT4_P12ihipStream_tbEUlT_E0_NS1_11comp_targetILNS1_3genE10ELNS1_11target_archE1200ELNS1_3gpuE4ELNS1_3repE0EEENS1_30default_config_static_selectorELNS0_4arch9wavefront6targetE1EEEvSL_
		.amdhsa_group_segment_fixed_size 0
		.amdhsa_private_segment_fixed_size 0
		.amdhsa_kernarg_size 72
		.amdhsa_user_sgpr_count 6
		.amdhsa_user_sgpr_private_segment_buffer 1
		.amdhsa_user_sgpr_dispatch_ptr 0
		.amdhsa_user_sgpr_queue_ptr 0
		.amdhsa_user_sgpr_kernarg_segment_ptr 1
		.amdhsa_user_sgpr_dispatch_id 0
		.amdhsa_user_sgpr_flat_scratch_init 0
		.amdhsa_user_sgpr_kernarg_preload_length 0
		.amdhsa_user_sgpr_kernarg_preload_offset 0
		.amdhsa_user_sgpr_private_segment_size 0
		.amdhsa_uses_dynamic_stack 0
		.amdhsa_system_sgpr_private_segment_wavefront_offset 0
		.amdhsa_system_sgpr_workgroup_id_x 1
		.amdhsa_system_sgpr_workgroup_id_y 0
		.amdhsa_system_sgpr_workgroup_id_z 0
		.amdhsa_system_sgpr_workgroup_info 0
		.amdhsa_system_vgpr_workitem_id 0
		.amdhsa_next_free_vgpr 1
		.amdhsa_next_free_sgpr 0
		.amdhsa_accum_offset 4
		.amdhsa_reserve_vcc 0
		.amdhsa_reserve_flat_scratch 0
		.amdhsa_float_round_mode_32 0
		.amdhsa_float_round_mode_16_64 0
		.amdhsa_float_denorm_mode_32 3
		.amdhsa_float_denorm_mode_16_64 3
		.amdhsa_dx10_clamp 1
		.amdhsa_ieee_mode 1
		.amdhsa_fp16_overflow 0
		.amdhsa_tg_split 0
		.amdhsa_exception_fp_ieee_invalid_op 0
		.amdhsa_exception_fp_denorm_src 0
		.amdhsa_exception_fp_ieee_div_zero 0
		.amdhsa_exception_fp_ieee_overflow 0
		.amdhsa_exception_fp_ieee_underflow 0
		.amdhsa_exception_fp_ieee_inexact 0
		.amdhsa_exception_int_div_zero 0
	.end_amdhsa_kernel
	.section	.text._ZN7rocprim17ROCPRIM_400000_NS6detail17trampoline_kernelINS0_14default_configENS1_22reduce_config_selectorIiEEZNS1_11reduce_implILb1ES3_N6thrust23THRUST_200600_302600_NS11hip_rocprim35transform_pair_of_input_iterators_tIiPdSB_NS8_12not_equal_toIdEEEEPiiNS8_4plusIiEEEE10hipError_tPvRmT1_T2_T3_mT4_P12ihipStream_tbEUlT_E0_NS1_11comp_targetILNS1_3genE10ELNS1_11target_archE1200ELNS1_3gpuE4ELNS1_3repE0EEENS1_30default_config_static_selectorELNS0_4arch9wavefront6targetE1EEEvSL_,"axG",@progbits,_ZN7rocprim17ROCPRIM_400000_NS6detail17trampoline_kernelINS0_14default_configENS1_22reduce_config_selectorIiEEZNS1_11reduce_implILb1ES3_N6thrust23THRUST_200600_302600_NS11hip_rocprim35transform_pair_of_input_iterators_tIiPdSB_NS8_12not_equal_toIdEEEEPiiNS8_4plusIiEEEE10hipError_tPvRmT1_T2_T3_mT4_P12ihipStream_tbEUlT_E0_NS1_11comp_targetILNS1_3genE10ELNS1_11target_archE1200ELNS1_3gpuE4ELNS1_3repE0EEENS1_30default_config_static_selectorELNS0_4arch9wavefront6targetE1EEEvSL_,comdat
.Lfunc_end1676:
	.size	_ZN7rocprim17ROCPRIM_400000_NS6detail17trampoline_kernelINS0_14default_configENS1_22reduce_config_selectorIiEEZNS1_11reduce_implILb1ES3_N6thrust23THRUST_200600_302600_NS11hip_rocprim35transform_pair_of_input_iterators_tIiPdSB_NS8_12not_equal_toIdEEEEPiiNS8_4plusIiEEEE10hipError_tPvRmT1_T2_T3_mT4_P12ihipStream_tbEUlT_E0_NS1_11comp_targetILNS1_3genE10ELNS1_11target_archE1200ELNS1_3gpuE4ELNS1_3repE0EEENS1_30default_config_static_selectorELNS0_4arch9wavefront6targetE1EEEvSL_, .Lfunc_end1676-_ZN7rocprim17ROCPRIM_400000_NS6detail17trampoline_kernelINS0_14default_configENS1_22reduce_config_selectorIiEEZNS1_11reduce_implILb1ES3_N6thrust23THRUST_200600_302600_NS11hip_rocprim35transform_pair_of_input_iterators_tIiPdSB_NS8_12not_equal_toIdEEEEPiiNS8_4plusIiEEEE10hipError_tPvRmT1_T2_T3_mT4_P12ihipStream_tbEUlT_E0_NS1_11comp_targetILNS1_3genE10ELNS1_11target_archE1200ELNS1_3gpuE4ELNS1_3repE0EEENS1_30default_config_static_selectorELNS0_4arch9wavefront6targetE1EEEvSL_
                                        ; -- End function
	.section	.AMDGPU.csdata,"",@progbits
; Kernel info:
; codeLenInByte = 0
; NumSgprs: 4
; NumVgprs: 0
; NumAgprs: 0
; TotalNumVgprs: 0
; ScratchSize: 0
; MemoryBound: 0
; FloatMode: 240
; IeeeMode: 1
; LDSByteSize: 0 bytes/workgroup (compile time only)
; SGPRBlocks: 0
; VGPRBlocks: 0
; NumSGPRsForWavesPerEU: 4
; NumVGPRsForWavesPerEU: 1
; AccumOffset: 4
; Occupancy: 8
; WaveLimiterHint : 0
; COMPUTE_PGM_RSRC2:SCRATCH_EN: 0
; COMPUTE_PGM_RSRC2:USER_SGPR: 6
; COMPUTE_PGM_RSRC2:TRAP_HANDLER: 0
; COMPUTE_PGM_RSRC2:TGID_X_EN: 1
; COMPUTE_PGM_RSRC2:TGID_Y_EN: 0
; COMPUTE_PGM_RSRC2:TGID_Z_EN: 0
; COMPUTE_PGM_RSRC2:TIDIG_COMP_CNT: 0
; COMPUTE_PGM_RSRC3_GFX90A:ACCUM_OFFSET: 0
; COMPUTE_PGM_RSRC3_GFX90A:TG_SPLIT: 0
	.section	.text._ZN7rocprim17ROCPRIM_400000_NS6detail17trampoline_kernelINS0_14default_configENS1_22reduce_config_selectorIiEEZNS1_11reduce_implILb1ES3_N6thrust23THRUST_200600_302600_NS11hip_rocprim35transform_pair_of_input_iterators_tIiPdSB_NS8_12not_equal_toIdEEEEPiiNS8_4plusIiEEEE10hipError_tPvRmT1_T2_T3_mT4_P12ihipStream_tbEUlT_E0_NS1_11comp_targetILNS1_3genE9ELNS1_11target_archE1100ELNS1_3gpuE3ELNS1_3repE0EEENS1_30default_config_static_selectorELNS0_4arch9wavefront6targetE1EEEvSL_,"axG",@progbits,_ZN7rocprim17ROCPRIM_400000_NS6detail17trampoline_kernelINS0_14default_configENS1_22reduce_config_selectorIiEEZNS1_11reduce_implILb1ES3_N6thrust23THRUST_200600_302600_NS11hip_rocprim35transform_pair_of_input_iterators_tIiPdSB_NS8_12not_equal_toIdEEEEPiiNS8_4plusIiEEEE10hipError_tPvRmT1_T2_T3_mT4_P12ihipStream_tbEUlT_E0_NS1_11comp_targetILNS1_3genE9ELNS1_11target_archE1100ELNS1_3gpuE3ELNS1_3repE0EEENS1_30default_config_static_selectorELNS0_4arch9wavefront6targetE1EEEvSL_,comdat
	.protected	_ZN7rocprim17ROCPRIM_400000_NS6detail17trampoline_kernelINS0_14default_configENS1_22reduce_config_selectorIiEEZNS1_11reduce_implILb1ES3_N6thrust23THRUST_200600_302600_NS11hip_rocprim35transform_pair_of_input_iterators_tIiPdSB_NS8_12not_equal_toIdEEEEPiiNS8_4plusIiEEEE10hipError_tPvRmT1_T2_T3_mT4_P12ihipStream_tbEUlT_E0_NS1_11comp_targetILNS1_3genE9ELNS1_11target_archE1100ELNS1_3gpuE3ELNS1_3repE0EEENS1_30default_config_static_selectorELNS0_4arch9wavefront6targetE1EEEvSL_ ; -- Begin function _ZN7rocprim17ROCPRIM_400000_NS6detail17trampoline_kernelINS0_14default_configENS1_22reduce_config_selectorIiEEZNS1_11reduce_implILb1ES3_N6thrust23THRUST_200600_302600_NS11hip_rocprim35transform_pair_of_input_iterators_tIiPdSB_NS8_12not_equal_toIdEEEEPiiNS8_4plusIiEEEE10hipError_tPvRmT1_T2_T3_mT4_P12ihipStream_tbEUlT_E0_NS1_11comp_targetILNS1_3genE9ELNS1_11target_archE1100ELNS1_3gpuE3ELNS1_3repE0EEENS1_30default_config_static_selectorELNS0_4arch9wavefront6targetE1EEEvSL_
	.globl	_ZN7rocprim17ROCPRIM_400000_NS6detail17trampoline_kernelINS0_14default_configENS1_22reduce_config_selectorIiEEZNS1_11reduce_implILb1ES3_N6thrust23THRUST_200600_302600_NS11hip_rocprim35transform_pair_of_input_iterators_tIiPdSB_NS8_12not_equal_toIdEEEEPiiNS8_4plusIiEEEE10hipError_tPvRmT1_T2_T3_mT4_P12ihipStream_tbEUlT_E0_NS1_11comp_targetILNS1_3genE9ELNS1_11target_archE1100ELNS1_3gpuE3ELNS1_3repE0EEENS1_30default_config_static_selectorELNS0_4arch9wavefront6targetE1EEEvSL_
	.p2align	8
	.type	_ZN7rocprim17ROCPRIM_400000_NS6detail17trampoline_kernelINS0_14default_configENS1_22reduce_config_selectorIiEEZNS1_11reduce_implILb1ES3_N6thrust23THRUST_200600_302600_NS11hip_rocprim35transform_pair_of_input_iterators_tIiPdSB_NS8_12not_equal_toIdEEEEPiiNS8_4plusIiEEEE10hipError_tPvRmT1_T2_T3_mT4_P12ihipStream_tbEUlT_E0_NS1_11comp_targetILNS1_3genE9ELNS1_11target_archE1100ELNS1_3gpuE3ELNS1_3repE0EEENS1_30default_config_static_selectorELNS0_4arch9wavefront6targetE1EEEvSL_,@function
_ZN7rocprim17ROCPRIM_400000_NS6detail17trampoline_kernelINS0_14default_configENS1_22reduce_config_selectorIiEEZNS1_11reduce_implILb1ES3_N6thrust23THRUST_200600_302600_NS11hip_rocprim35transform_pair_of_input_iterators_tIiPdSB_NS8_12not_equal_toIdEEEEPiiNS8_4plusIiEEEE10hipError_tPvRmT1_T2_T3_mT4_P12ihipStream_tbEUlT_E0_NS1_11comp_targetILNS1_3genE9ELNS1_11target_archE1100ELNS1_3gpuE3ELNS1_3repE0EEENS1_30default_config_static_selectorELNS0_4arch9wavefront6targetE1EEEvSL_: ; @_ZN7rocprim17ROCPRIM_400000_NS6detail17trampoline_kernelINS0_14default_configENS1_22reduce_config_selectorIiEEZNS1_11reduce_implILb1ES3_N6thrust23THRUST_200600_302600_NS11hip_rocprim35transform_pair_of_input_iterators_tIiPdSB_NS8_12not_equal_toIdEEEEPiiNS8_4plusIiEEEE10hipError_tPvRmT1_T2_T3_mT4_P12ihipStream_tbEUlT_E0_NS1_11comp_targetILNS1_3genE9ELNS1_11target_archE1100ELNS1_3gpuE3ELNS1_3repE0EEENS1_30default_config_static_selectorELNS0_4arch9wavefront6targetE1EEEvSL_
; %bb.0:
	.section	.rodata,"a",@progbits
	.p2align	6, 0x0
	.amdhsa_kernel _ZN7rocprim17ROCPRIM_400000_NS6detail17trampoline_kernelINS0_14default_configENS1_22reduce_config_selectorIiEEZNS1_11reduce_implILb1ES3_N6thrust23THRUST_200600_302600_NS11hip_rocprim35transform_pair_of_input_iterators_tIiPdSB_NS8_12not_equal_toIdEEEEPiiNS8_4plusIiEEEE10hipError_tPvRmT1_T2_T3_mT4_P12ihipStream_tbEUlT_E0_NS1_11comp_targetILNS1_3genE9ELNS1_11target_archE1100ELNS1_3gpuE3ELNS1_3repE0EEENS1_30default_config_static_selectorELNS0_4arch9wavefront6targetE1EEEvSL_
		.amdhsa_group_segment_fixed_size 0
		.amdhsa_private_segment_fixed_size 0
		.amdhsa_kernarg_size 72
		.amdhsa_user_sgpr_count 6
		.amdhsa_user_sgpr_private_segment_buffer 1
		.amdhsa_user_sgpr_dispatch_ptr 0
		.amdhsa_user_sgpr_queue_ptr 0
		.amdhsa_user_sgpr_kernarg_segment_ptr 1
		.amdhsa_user_sgpr_dispatch_id 0
		.amdhsa_user_sgpr_flat_scratch_init 0
		.amdhsa_user_sgpr_kernarg_preload_length 0
		.amdhsa_user_sgpr_kernarg_preload_offset 0
		.amdhsa_user_sgpr_private_segment_size 0
		.amdhsa_uses_dynamic_stack 0
		.amdhsa_system_sgpr_private_segment_wavefront_offset 0
		.amdhsa_system_sgpr_workgroup_id_x 1
		.amdhsa_system_sgpr_workgroup_id_y 0
		.amdhsa_system_sgpr_workgroup_id_z 0
		.amdhsa_system_sgpr_workgroup_info 0
		.amdhsa_system_vgpr_workitem_id 0
		.amdhsa_next_free_vgpr 1
		.amdhsa_next_free_sgpr 0
		.amdhsa_accum_offset 4
		.amdhsa_reserve_vcc 0
		.amdhsa_reserve_flat_scratch 0
		.amdhsa_float_round_mode_32 0
		.amdhsa_float_round_mode_16_64 0
		.amdhsa_float_denorm_mode_32 3
		.amdhsa_float_denorm_mode_16_64 3
		.amdhsa_dx10_clamp 1
		.amdhsa_ieee_mode 1
		.amdhsa_fp16_overflow 0
		.amdhsa_tg_split 0
		.amdhsa_exception_fp_ieee_invalid_op 0
		.amdhsa_exception_fp_denorm_src 0
		.amdhsa_exception_fp_ieee_div_zero 0
		.amdhsa_exception_fp_ieee_overflow 0
		.amdhsa_exception_fp_ieee_underflow 0
		.amdhsa_exception_fp_ieee_inexact 0
		.amdhsa_exception_int_div_zero 0
	.end_amdhsa_kernel
	.section	.text._ZN7rocprim17ROCPRIM_400000_NS6detail17trampoline_kernelINS0_14default_configENS1_22reduce_config_selectorIiEEZNS1_11reduce_implILb1ES3_N6thrust23THRUST_200600_302600_NS11hip_rocprim35transform_pair_of_input_iterators_tIiPdSB_NS8_12not_equal_toIdEEEEPiiNS8_4plusIiEEEE10hipError_tPvRmT1_T2_T3_mT4_P12ihipStream_tbEUlT_E0_NS1_11comp_targetILNS1_3genE9ELNS1_11target_archE1100ELNS1_3gpuE3ELNS1_3repE0EEENS1_30default_config_static_selectorELNS0_4arch9wavefront6targetE1EEEvSL_,"axG",@progbits,_ZN7rocprim17ROCPRIM_400000_NS6detail17trampoline_kernelINS0_14default_configENS1_22reduce_config_selectorIiEEZNS1_11reduce_implILb1ES3_N6thrust23THRUST_200600_302600_NS11hip_rocprim35transform_pair_of_input_iterators_tIiPdSB_NS8_12not_equal_toIdEEEEPiiNS8_4plusIiEEEE10hipError_tPvRmT1_T2_T3_mT4_P12ihipStream_tbEUlT_E0_NS1_11comp_targetILNS1_3genE9ELNS1_11target_archE1100ELNS1_3gpuE3ELNS1_3repE0EEENS1_30default_config_static_selectorELNS0_4arch9wavefront6targetE1EEEvSL_,comdat
.Lfunc_end1677:
	.size	_ZN7rocprim17ROCPRIM_400000_NS6detail17trampoline_kernelINS0_14default_configENS1_22reduce_config_selectorIiEEZNS1_11reduce_implILb1ES3_N6thrust23THRUST_200600_302600_NS11hip_rocprim35transform_pair_of_input_iterators_tIiPdSB_NS8_12not_equal_toIdEEEEPiiNS8_4plusIiEEEE10hipError_tPvRmT1_T2_T3_mT4_P12ihipStream_tbEUlT_E0_NS1_11comp_targetILNS1_3genE9ELNS1_11target_archE1100ELNS1_3gpuE3ELNS1_3repE0EEENS1_30default_config_static_selectorELNS0_4arch9wavefront6targetE1EEEvSL_, .Lfunc_end1677-_ZN7rocprim17ROCPRIM_400000_NS6detail17trampoline_kernelINS0_14default_configENS1_22reduce_config_selectorIiEEZNS1_11reduce_implILb1ES3_N6thrust23THRUST_200600_302600_NS11hip_rocprim35transform_pair_of_input_iterators_tIiPdSB_NS8_12not_equal_toIdEEEEPiiNS8_4plusIiEEEE10hipError_tPvRmT1_T2_T3_mT4_P12ihipStream_tbEUlT_E0_NS1_11comp_targetILNS1_3genE9ELNS1_11target_archE1100ELNS1_3gpuE3ELNS1_3repE0EEENS1_30default_config_static_selectorELNS0_4arch9wavefront6targetE1EEEvSL_
                                        ; -- End function
	.section	.AMDGPU.csdata,"",@progbits
; Kernel info:
; codeLenInByte = 0
; NumSgprs: 4
; NumVgprs: 0
; NumAgprs: 0
; TotalNumVgprs: 0
; ScratchSize: 0
; MemoryBound: 0
; FloatMode: 240
; IeeeMode: 1
; LDSByteSize: 0 bytes/workgroup (compile time only)
; SGPRBlocks: 0
; VGPRBlocks: 0
; NumSGPRsForWavesPerEU: 4
; NumVGPRsForWavesPerEU: 1
; AccumOffset: 4
; Occupancy: 8
; WaveLimiterHint : 0
; COMPUTE_PGM_RSRC2:SCRATCH_EN: 0
; COMPUTE_PGM_RSRC2:USER_SGPR: 6
; COMPUTE_PGM_RSRC2:TRAP_HANDLER: 0
; COMPUTE_PGM_RSRC2:TGID_X_EN: 1
; COMPUTE_PGM_RSRC2:TGID_Y_EN: 0
; COMPUTE_PGM_RSRC2:TGID_Z_EN: 0
; COMPUTE_PGM_RSRC2:TIDIG_COMP_CNT: 0
; COMPUTE_PGM_RSRC3_GFX90A:ACCUM_OFFSET: 0
; COMPUTE_PGM_RSRC3_GFX90A:TG_SPLIT: 0
	.section	.text._ZN7rocprim17ROCPRIM_400000_NS6detail17trampoline_kernelINS0_14default_configENS1_22reduce_config_selectorIiEEZNS1_11reduce_implILb1ES3_N6thrust23THRUST_200600_302600_NS11hip_rocprim35transform_pair_of_input_iterators_tIiPdSB_NS8_12not_equal_toIdEEEEPiiNS8_4plusIiEEEE10hipError_tPvRmT1_T2_T3_mT4_P12ihipStream_tbEUlT_E0_NS1_11comp_targetILNS1_3genE8ELNS1_11target_archE1030ELNS1_3gpuE2ELNS1_3repE0EEENS1_30default_config_static_selectorELNS0_4arch9wavefront6targetE1EEEvSL_,"axG",@progbits,_ZN7rocprim17ROCPRIM_400000_NS6detail17trampoline_kernelINS0_14default_configENS1_22reduce_config_selectorIiEEZNS1_11reduce_implILb1ES3_N6thrust23THRUST_200600_302600_NS11hip_rocprim35transform_pair_of_input_iterators_tIiPdSB_NS8_12not_equal_toIdEEEEPiiNS8_4plusIiEEEE10hipError_tPvRmT1_T2_T3_mT4_P12ihipStream_tbEUlT_E0_NS1_11comp_targetILNS1_3genE8ELNS1_11target_archE1030ELNS1_3gpuE2ELNS1_3repE0EEENS1_30default_config_static_selectorELNS0_4arch9wavefront6targetE1EEEvSL_,comdat
	.protected	_ZN7rocprim17ROCPRIM_400000_NS6detail17trampoline_kernelINS0_14default_configENS1_22reduce_config_selectorIiEEZNS1_11reduce_implILb1ES3_N6thrust23THRUST_200600_302600_NS11hip_rocprim35transform_pair_of_input_iterators_tIiPdSB_NS8_12not_equal_toIdEEEEPiiNS8_4plusIiEEEE10hipError_tPvRmT1_T2_T3_mT4_P12ihipStream_tbEUlT_E0_NS1_11comp_targetILNS1_3genE8ELNS1_11target_archE1030ELNS1_3gpuE2ELNS1_3repE0EEENS1_30default_config_static_selectorELNS0_4arch9wavefront6targetE1EEEvSL_ ; -- Begin function _ZN7rocprim17ROCPRIM_400000_NS6detail17trampoline_kernelINS0_14default_configENS1_22reduce_config_selectorIiEEZNS1_11reduce_implILb1ES3_N6thrust23THRUST_200600_302600_NS11hip_rocprim35transform_pair_of_input_iterators_tIiPdSB_NS8_12not_equal_toIdEEEEPiiNS8_4plusIiEEEE10hipError_tPvRmT1_T2_T3_mT4_P12ihipStream_tbEUlT_E0_NS1_11comp_targetILNS1_3genE8ELNS1_11target_archE1030ELNS1_3gpuE2ELNS1_3repE0EEENS1_30default_config_static_selectorELNS0_4arch9wavefront6targetE1EEEvSL_
	.globl	_ZN7rocprim17ROCPRIM_400000_NS6detail17trampoline_kernelINS0_14default_configENS1_22reduce_config_selectorIiEEZNS1_11reduce_implILb1ES3_N6thrust23THRUST_200600_302600_NS11hip_rocprim35transform_pair_of_input_iterators_tIiPdSB_NS8_12not_equal_toIdEEEEPiiNS8_4plusIiEEEE10hipError_tPvRmT1_T2_T3_mT4_P12ihipStream_tbEUlT_E0_NS1_11comp_targetILNS1_3genE8ELNS1_11target_archE1030ELNS1_3gpuE2ELNS1_3repE0EEENS1_30default_config_static_selectorELNS0_4arch9wavefront6targetE1EEEvSL_
	.p2align	8
	.type	_ZN7rocprim17ROCPRIM_400000_NS6detail17trampoline_kernelINS0_14default_configENS1_22reduce_config_selectorIiEEZNS1_11reduce_implILb1ES3_N6thrust23THRUST_200600_302600_NS11hip_rocprim35transform_pair_of_input_iterators_tIiPdSB_NS8_12not_equal_toIdEEEEPiiNS8_4plusIiEEEE10hipError_tPvRmT1_T2_T3_mT4_P12ihipStream_tbEUlT_E0_NS1_11comp_targetILNS1_3genE8ELNS1_11target_archE1030ELNS1_3gpuE2ELNS1_3repE0EEENS1_30default_config_static_selectorELNS0_4arch9wavefront6targetE1EEEvSL_,@function
_ZN7rocprim17ROCPRIM_400000_NS6detail17trampoline_kernelINS0_14default_configENS1_22reduce_config_selectorIiEEZNS1_11reduce_implILb1ES3_N6thrust23THRUST_200600_302600_NS11hip_rocprim35transform_pair_of_input_iterators_tIiPdSB_NS8_12not_equal_toIdEEEEPiiNS8_4plusIiEEEE10hipError_tPvRmT1_T2_T3_mT4_P12ihipStream_tbEUlT_E0_NS1_11comp_targetILNS1_3genE8ELNS1_11target_archE1030ELNS1_3gpuE2ELNS1_3repE0EEENS1_30default_config_static_selectorELNS0_4arch9wavefront6targetE1EEEvSL_: ; @_ZN7rocprim17ROCPRIM_400000_NS6detail17trampoline_kernelINS0_14default_configENS1_22reduce_config_selectorIiEEZNS1_11reduce_implILb1ES3_N6thrust23THRUST_200600_302600_NS11hip_rocprim35transform_pair_of_input_iterators_tIiPdSB_NS8_12not_equal_toIdEEEEPiiNS8_4plusIiEEEE10hipError_tPvRmT1_T2_T3_mT4_P12ihipStream_tbEUlT_E0_NS1_11comp_targetILNS1_3genE8ELNS1_11target_archE1030ELNS1_3gpuE2ELNS1_3repE0EEENS1_30default_config_static_selectorELNS0_4arch9wavefront6targetE1EEEvSL_
; %bb.0:
	.section	.rodata,"a",@progbits
	.p2align	6, 0x0
	.amdhsa_kernel _ZN7rocprim17ROCPRIM_400000_NS6detail17trampoline_kernelINS0_14default_configENS1_22reduce_config_selectorIiEEZNS1_11reduce_implILb1ES3_N6thrust23THRUST_200600_302600_NS11hip_rocprim35transform_pair_of_input_iterators_tIiPdSB_NS8_12not_equal_toIdEEEEPiiNS8_4plusIiEEEE10hipError_tPvRmT1_T2_T3_mT4_P12ihipStream_tbEUlT_E0_NS1_11comp_targetILNS1_3genE8ELNS1_11target_archE1030ELNS1_3gpuE2ELNS1_3repE0EEENS1_30default_config_static_selectorELNS0_4arch9wavefront6targetE1EEEvSL_
		.amdhsa_group_segment_fixed_size 0
		.amdhsa_private_segment_fixed_size 0
		.amdhsa_kernarg_size 72
		.amdhsa_user_sgpr_count 6
		.amdhsa_user_sgpr_private_segment_buffer 1
		.amdhsa_user_sgpr_dispatch_ptr 0
		.amdhsa_user_sgpr_queue_ptr 0
		.amdhsa_user_sgpr_kernarg_segment_ptr 1
		.amdhsa_user_sgpr_dispatch_id 0
		.amdhsa_user_sgpr_flat_scratch_init 0
		.amdhsa_user_sgpr_kernarg_preload_length 0
		.amdhsa_user_sgpr_kernarg_preload_offset 0
		.amdhsa_user_sgpr_private_segment_size 0
		.amdhsa_uses_dynamic_stack 0
		.amdhsa_system_sgpr_private_segment_wavefront_offset 0
		.amdhsa_system_sgpr_workgroup_id_x 1
		.amdhsa_system_sgpr_workgroup_id_y 0
		.amdhsa_system_sgpr_workgroup_id_z 0
		.amdhsa_system_sgpr_workgroup_info 0
		.amdhsa_system_vgpr_workitem_id 0
		.amdhsa_next_free_vgpr 1
		.amdhsa_next_free_sgpr 0
		.amdhsa_accum_offset 4
		.amdhsa_reserve_vcc 0
		.amdhsa_reserve_flat_scratch 0
		.amdhsa_float_round_mode_32 0
		.amdhsa_float_round_mode_16_64 0
		.amdhsa_float_denorm_mode_32 3
		.amdhsa_float_denorm_mode_16_64 3
		.amdhsa_dx10_clamp 1
		.amdhsa_ieee_mode 1
		.amdhsa_fp16_overflow 0
		.amdhsa_tg_split 0
		.amdhsa_exception_fp_ieee_invalid_op 0
		.amdhsa_exception_fp_denorm_src 0
		.amdhsa_exception_fp_ieee_div_zero 0
		.amdhsa_exception_fp_ieee_overflow 0
		.amdhsa_exception_fp_ieee_underflow 0
		.amdhsa_exception_fp_ieee_inexact 0
		.amdhsa_exception_int_div_zero 0
	.end_amdhsa_kernel
	.section	.text._ZN7rocprim17ROCPRIM_400000_NS6detail17trampoline_kernelINS0_14default_configENS1_22reduce_config_selectorIiEEZNS1_11reduce_implILb1ES3_N6thrust23THRUST_200600_302600_NS11hip_rocprim35transform_pair_of_input_iterators_tIiPdSB_NS8_12not_equal_toIdEEEEPiiNS8_4plusIiEEEE10hipError_tPvRmT1_T2_T3_mT4_P12ihipStream_tbEUlT_E0_NS1_11comp_targetILNS1_3genE8ELNS1_11target_archE1030ELNS1_3gpuE2ELNS1_3repE0EEENS1_30default_config_static_selectorELNS0_4arch9wavefront6targetE1EEEvSL_,"axG",@progbits,_ZN7rocprim17ROCPRIM_400000_NS6detail17trampoline_kernelINS0_14default_configENS1_22reduce_config_selectorIiEEZNS1_11reduce_implILb1ES3_N6thrust23THRUST_200600_302600_NS11hip_rocprim35transform_pair_of_input_iterators_tIiPdSB_NS8_12not_equal_toIdEEEEPiiNS8_4plusIiEEEE10hipError_tPvRmT1_T2_T3_mT4_P12ihipStream_tbEUlT_E0_NS1_11comp_targetILNS1_3genE8ELNS1_11target_archE1030ELNS1_3gpuE2ELNS1_3repE0EEENS1_30default_config_static_selectorELNS0_4arch9wavefront6targetE1EEEvSL_,comdat
.Lfunc_end1678:
	.size	_ZN7rocprim17ROCPRIM_400000_NS6detail17trampoline_kernelINS0_14default_configENS1_22reduce_config_selectorIiEEZNS1_11reduce_implILb1ES3_N6thrust23THRUST_200600_302600_NS11hip_rocprim35transform_pair_of_input_iterators_tIiPdSB_NS8_12not_equal_toIdEEEEPiiNS8_4plusIiEEEE10hipError_tPvRmT1_T2_T3_mT4_P12ihipStream_tbEUlT_E0_NS1_11comp_targetILNS1_3genE8ELNS1_11target_archE1030ELNS1_3gpuE2ELNS1_3repE0EEENS1_30default_config_static_selectorELNS0_4arch9wavefront6targetE1EEEvSL_, .Lfunc_end1678-_ZN7rocprim17ROCPRIM_400000_NS6detail17trampoline_kernelINS0_14default_configENS1_22reduce_config_selectorIiEEZNS1_11reduce_implILb1ES3_N6thrust23THRUST_200600_302600_NS11hip_rocprim35transform_pair_of_input_iterators_tIiPdSB_NS8_12not_equal_toIdEEEEPiiNS8_4plusIiEEEE10hipError_tPvRmT1_T2_T3_mT4_P12ihipStream_tbEUlT_E0_NS1_11comp_targetILNS1_3genE8ELNS1_11target_archE1030ELNS1_3gpuE2ELNS1_3repE0EEENS1_30default_config_static_selectorELNS0_4arch9wavefront6targetE1EEEvSL_
                                        ; -- End function
	.section	.AMDGPU.csdata,"",@progbits
; Kernel info:
; codeLenInByte = 0
; NumSgprs: 4
; NumVgprs: 0
; NumAgprs: 0
; TotalNumVgprs: 0
; ScratchSize: 0
; MemoryBound: 0
; FloatMode: 240
; IeeeMode: 1
; LDSByteSize: 0 bytes/workgroup (compile time only)
; SGPRBlocks: 0
; VGPRBlocks: 0
; NumSGPRsForWavesPerEU: 4
; NumVGPRsForWavesPerEU: 1
; AccumOffset: 4
; Occupancy: 8
; WaveLimiterHint : 0
; COMPUTE_PGM_RSRC2:SCRATCH_EN: 0
; COMPUTE_PGM_RSRC2:USER_SGPR: 6
; COMPUTE_PGM_RSRC2:TRAP_HANDLER: 0
; COMPUTE_PGM_RSRC2:TGID_X_EN: 1
; COMPUTE_PGM_RSRC2:TGID_Y_EN: 0
; COMPUTE_PGM_RSRC2:TGID_Z_EN: 0
; COMPUTE_PGM_RSRC2:TIDIG_COMP_CNT: 0
; COMPUTE_PGM_RSRC3_GFX90A:ACCUM_OFFSET: 0
; COMPUTE_PGM_RSRC3_GFX90A:TG_SPLIT: 0
	.section	.text._ZN7rocprim17ROCPRIM_400000_NS6detail17trampoline_kernelINS0_14default_configENS1_22reduce_config_selectorIiEEZNS1_11reduce_implILb1ES3_N6thrust23THRUST_200600_302600_NS11hip_rocprim35transform_pair_of_input_iterators_tIiPdSB_NS8_12not_equal_toIdEEEEPiiNS8_4plusIiEEEE10hipError_tPvRmT1_T2_T3_mT4_P12ihipStream_tbEUlT_E1_NS1_11comp_targetILNS1_3genE0ELNS1_11target_archE4294967295ELNS1_3gpuE0ELNS1_3repE0EEENS1_30default_config_static_selectorELNS0_4arch9wavefront6targetE1EEEvSL_,"axG",@progbits,_ZN7rocprim17ROCPRIM_400000_NS6detail17trampoline_kernelINS0_14default_configENS1_22reduce_config_selectorIiEEZNS1_11reduce_implILb1ES3_N6thrust23THRUST_200600_302600_NS11hip_rocprim35transform_pair_of_input_iterators_tIiPdSB_NS8_12not_equal_toIdEEEEPiiNS8_4plusIiEEEE10hipError_tPvRmT1_T2_T3_mT4_P12ihipStream_tbEUlT_E1_NS1_11comp_targetILNS1_3genE0ELNS1_11target_archE4294967295ELNS1_3gpuE0ELNS1_3repE0EEENS1_30default_config_static_selectorELNS0_4arch9wavefront6targetE1EEEvSL_,comdat
	.protected	_ZN7rocprim17ROCPRIM_400000_NS6detail17trampoline_kernelINS0_14default_configENS1_22reduce_config_selectorIiEEZNS1_11reduce_implILb1ES3_N6thrust23THRUST_200600_302600_NS11hip_rocprim35transform_pair_of_input_iterators_tIiPdSB_NS8_12not_equal_toIdEEEEPiiNS8_4plusIiEEEE10hipError_tPvRmT1_T2_T3_mT4_P12ihipStream_tbEUlT_E1_NS1_11comp_targetILNS1_3genE0ELNS1_11target_archE4294967295ELNS1_3gpuE0ELNS1_3repE0EEENS1_30default_config_static_selectorELNS0_4arch9wavefront6targetE1EEEvSL_ ; -- Begin function _ZN7rocprim17ROCPRIM_400000_NS6detail17trampoline_kernelINS0_14default_configENS1_22reduce_config_selectorIiEEZNS1_11reduce_implILb1ES3_N6thrust23THRUST_200600_302600_NS11hip_rocprim35transform_pair_of_input_iterators_tIiPdSB_NS8_12not_equal_toIdEEEEPiiNS8_4plusIiEEEE10hipError_tPvRmT1_T2_T3_mT4_P12ihipStream_tbEUlT_E1_NS1_11comp_targetILNS1_3genE0ELNS1_11target_archE4294967295ELNS1_3gpuE0ELNS1_3repE0EEENS1_30default_config_static_selectorELNS0_4arch9wavefront6targetE1EEEvSL_
	.globl	_ZN7rocprim17ROCPRIM_400000_NS6detail17trampoline_kernelINS0_14default_configENS1_22reduce_config_selectorIiEEZNS1_11reduce_implILb1ES3_N6thrust23THRUST_200600_302600_NS11hip_rocprim35transform_pair_of_input_iterators_tIiPdSB_NS8_12not_equal_toIdEEEEPiiNS8_4plusIiEEEE10hipError_tPvRmT1_T2_T3_mT4_P12ihipStream_tbEUlT_E1_NS1_11comp_targetILNS1_3genE0ELNS1_11target_archE4294967295ELNS1_3gpuE0ELNS1_3repE0EEENS1_30default_config_static_selectorELNS0_4arch9wavefront6targetE1EEEvSL_
	.p2align	8
	.type	_ZN7rocprim17ROCPRIM_400000_NS6detail17trampoline_kernelINS0_14default_configENS1_22reduce_config_selectorIiEEZNS1_11reduce_implILb1ES3_N6thrust23THRUST_200600_302600_NS11hip_rocprim35transform_pair_of_input_iterators_tIiPdSB_NS8_12not_equal_toIdEEEEPiiNS8_4plusIiEEEE10hipError_tPvRmT1_T2_T3_mT4_P12ihipStream_tbEUlT_E1_NS1_11comp_targetILNS1_3genE0ELNS1_11target_archE4294967295ELNS1_3gpuE0ELNS1_3repE0EEENS1_30default_config_static_selectorELNS0_4arch9wavefront6targetE1EEEvSL_,@function
_ZN7rocprim17ROCPRIM_400000_NS6detail17trampoline_kernelINS0_14default_configENS1_22reduce_config_selectorIiEEZNS1_11reduce_implILb1ES3_N6thrust23THRUST_200600_302600_NS11hip_rocprim35transform_pair_of_input_iterators_tIiPdSB_NS8_12not_equal_toIdEEEEPiiNS8_4plusIiEEEE10hipError_tPvRmT1_T2_T3_mT4_P12ihipStream_tbEUlT_E1_NS1_11comp_targetILNS1_3genE0ELNS1_11target_archE4294967295ELNS1_3gpuE0ELNS1_3repE0EEENS1_30default_config_static_selectorELNS0_4arch9wavefront6targetE1EEEvSL_: ; @_ZN7rocprim17ROCPRIM_400000_NS6detail17trampoline_kernelINS0_14default_configENS1_22reduce_config_selectorIiEEZNS1_11reduce_implILb1ES3_N6thrust23THRUST_200600_302600_NS11hip_rocprim35transform_pair_of_input_iterators_tIiPdSB_NS8_12not_equal_toIdEEEEPiiNS8_4plusIiEEEE10hipError_tPvRmT1_T2_T3_mT4_P12ihipStream_tbEUlT_E1_NS1_11comp_targetILNS1_3genE0ELNS1_11target_archE4294967295ELNS1_3gpuE0ELNS1_3repE0EEENS1_30default_config_static_selectorELNS0_4arch9wavefront6targetE1EEEvSL_
; %bb.0:
	.section	.rodata,"a",@progbits
	.p2align	6, 0x0
	.amdhsa_kernel _ZN7rocprim17ROCPRIM_400000_NS6detail17trampoline_kernelINS0_14default_configENS1_22reduce_config_selectorIiEEZNS1_11reduce_implILb1ES3_N6thrust23THRUST_200600_302600_NS11hip_rocprim35transform_pair_of_input_iterators_tIiPdSB_NS8_12not_equal_toIdEEEEPiiNS8_4plusIiEEEE10hipError_tPvRmT1_T2_T3_mT4_P12ihipStream_tbEUlT_E1_NS1_11comp_targetILNS1_3genE0ELNS1_11target_archE4294967295ELNS1_3gpuE0ELNS1_3repE0EEENS1_30default_config_static_selectorELNS0_4arch9wavefront6targetE1EEEvSL_
		.amdhsa_group_segment_fixed_size 0
		.amdhsa_private_segment_fixed_size 0
		.amdhsa_kernarg_size 56
		.amdhsa_user_sgpr_count 6
		.amdhsa_user_sgpr_private_segment_buffer 1
		.amdhsa_user_sgpr_dispatch_ptr 0
		.amdhsa_user_sgpr_queue_ptr 0
		.amdhsa_user_sgpr_kernarg_segment_ptr 1
		.amdhsa_user_sgpr_dispatch_id 0
		.amdhsa_user_sgpr_flat_scratch_init 0
		.amdhsa_user_sgpr_kernarg_preload_length 0
		.amdhsa_user_sgpr_kernarg_preload_offset 0
		.amdhsa_user_sgpr_private_segment_size 0
		.amdhsa_uses_dynamic_stack 0
		.amdhsa_system_sgpr_private_segment_wavefront_offset 0
		.amdhsa_system_sgpr_workgroup_id_x 1
		.amdhsa_system_sgpr_workgroup_id_y 0
		.amdhsa_system_sgpr_workgroup_id_z 0
		.amdhsa_system_sgpr_workgroup_info 0
		.amdhsa_system_vgpr_workitem_id 0
		.amdhsa_next_free_vgpr 1
		.amdhsa_next_free_sgpr 0
		.amdhsa_accum_offset 4
		.amdhsa_reserve_vcc 0
		.amdhsa_reserve_flat_scratch 0
		.amdhsa_float_round_mode_32 0
		.amdhsa_float_round_mode_16_64 0
		.amdhsa_float_denorm_mode_32 3
		.amdhsa_float_denorm_mode_16_64 3
		.amdhsa_dx10_clamp 1
		.amdhsa_ieee_mode 1
		.amdhsa_fp16_overflow 0
		.amdhsa_tg_split 0
		.amdhsa_exception_fp_ieee_invalid_op 0
		.amdhsa_exception_fp_denorm_src 0
		.amdhsa_exception_fp_ieee_div_zero 0
		.amdhsa_exception_fp_ieee_overflow 0
		.amdhsa_exception_fp_ieee_underflow 0
		.amdhsa_exception_fp_ieee_inexact 0
		.amdhsa_exception_int_div_zero 0
	.end_amdhsa_kernel
	.section	.text._ZN7rocprim17ROCPRIM_400000_NS6detail17trampoline_kernelINS0_14default_configENS1_22reduce_config_selectorIiEEZNS1_11reduce_implILb1ES3_N6thrust23THRUST_200600_302600_NS11hip_rocprim35transform_pair_of_input_iterators_tIiPdSB_NS8_12not_equal_toIdEEEEPiiNS8_4plusIiEEEE10hipError_tPvRmT1_T2_T3_mT4_P12ihipStream_tbEUlT_E1_NS1_11comp_targetILNS1_3genE0ELNS1_11target_archE4294967295ELNS1_3gpuE0ELNS1_3repE0EEENS1_30default_config_static_selectorELNS0_4arch9wavefront6targetE1EEEvSL_,"axG",@progbits,_ZN7rocprim17ROCPRIM_400000_NS6detail17trampoline_kernelINS0_14default_configENS1_22reduce_config_selectorIiEEZNS1_11reduce_implILb1ES3_N6thrust23THRUST_200600_302600_NS11hip_rocprim35transform_pair_of_input_iterators_tIiPdSB_NS8_12not_equal_toIdEEEEPiiNS8_4plusIiEEEE10hipError_tPvRmT1_T2_T3_mT4_P12ihipStream_tbEUlT_E1_NS1_11comp_targetILNS1_3genE0ELNS1_11target_archE4294967295ELNS1_3gpuE0ELNS1_3repE0EEENS1_30default_config_static_selectorELNS0_4arch9wavefront6targetE1EEEvSL_,comdat
.Lfunc_end1679:
	.size	_ZN7rocprim17ROCPRIM_400000_NS6detail17trampoline_kernelINS0_14default_configENS1_22reduce_config_selectorIiEEZNS1_11reduce_implILb1ES3_N6thrust23THRUST_200600_302600_NS11hip_rocprim35transform_pair_of_input_iterators_tIiPdSB_NS8_12not_equal_toIdEEEEPiiNS8_4plusIiEEEE10hipError_tPvRmT1_T2_T3_mT4_P12ihipStream_tbEUlT_E1_NS1_11comp_targetILNS1_3genE0ELNS1_11target_archE4294967295ELNS1_3gpuE0ELNS1_3repE0EEENS1_30default_config_static_selectorELNS0_4arch9wavefront6targetE1EEEvSL_, .Lfunc_end1679-_ZN7rocprim17ROCPRIM_400000_NS6detail17trampoline_kernelINS0_14default_configENS1_22reduce_config_selectorIiEEZNS1_11reduce_implILb1ES3_N6thrust23THRUST_200600_302600_NS11hip_rocprim35transform_pair_of_input_iterators_tIiPdSB_NS8_12not_equal_toIdEEEEPiiNS8_4plusIiEEEE10hipError_tPvRmT1_T2_T3_mT4_P12ihipStream_tbEUlT_E1_NS1_11comp_targetILNS1_3genE0ELNS1_11target_archE4294967295ELNS1_3gpuE0ELNS1_3repE0EEENS1_30default_config_static_selectorELNS0_4arch9wavefront6targetE1EEEvSL_
                                        ; -- End function
	.section	.AMDGPU.csdata,"",@progbits
; Kernel info:
; codeLenInByte = 0
; NumSgprs: 4
; NumVgprs: 0
; NumAgprs: 0
; TotalNumVgprs: 0
; ScratchSize: 0
; MemoryBound: 0
; FloatMode: 240
; IeeeMode: 1
; LDSByteSize: 0 bytes/workgroup (compile time only)
; SGPRBlocks: 0
; VGPRBlocks: 0
; NumSGPRsForWavesPerEU: 4
; NumVGPRsForWavesPerEU: 1
; AccumOffset: 4
; Occupancy: 8
; WaveLimiterHint : 0
; COMPUTE_PGM_RSRC2:SCRATCH_EN: 0
; COMPUTE_PGM_RSRC2:USER_SGPR: 6
; COMPUTE_PGM_RSRC2:TRAP_HANDLER: 0
; COMPUTE_PGM_RSRC2:TGID_X_EN: 1
; COMPUTE_PGM_RSRC2:TGID_Y_EN: 0
; COMPUTE_PGM_RSRC2:TGID_Z_EN: 0
; COMPUTE_PGM_RSRC2:TIDIG_COMP_CNT: 0
; COMPUTE_PGM_RSRC3_GFX90A:ACCUM_OFFSET: 0
; COMPUTE_PGM_RSRC3_GFX90A:TG_SPLIT: 0
	.section	.text._ZN7rocprim17ROCPRIM_400000_NS6detail17trampoline_kernelINS0_14default_configENS1_22reduce_config_selectorIiEEZNS1_11reduce_implILb1ES3_N6thrust23THRUST_200600_302600_NS11hip_rocprim35transform_pair_of_input_iterators_tIiPdSB_NS8_12not_equal_toIdEEEEPiiNS8_4plusIiEEEE10hipError_tPvRmT1_T2_T3_mT4_P12ihipStream_tbEUlT_E1_NS1_11comp_targetILNS1_3genE5ELNS1_11target_archE942ELNS1_3gpuE9ELNS1_3repE0EEENS1_30default_config_static_selectorELNS0_4arch9wavefront6targetE1EEEvSL_,"axG",@progbits,_ZN7rocprim17ROCPRIM_400000_NS6detail17trampoline_kernelINS0_14default_configENS1_22reduce_config_selectorIiEEZNS1_11reduce_implILb1ES3_N6thrust23THRUST_200600_302600_NS11hip_rocprim35transform_pair_of_input_iterators_tIiPdSB_NS8_12not_equal_toIdEEEEPiiNS8_4plusIiEEEE10hipError_tPvRmT1_T2_T3_mT4_P12ihipStream_tbEUlT_E1_NS1_11comp_targetILNS1_3genE5ELNS1_11target_archE942ELNS1_3gpuE9ELNS1_3repE0EEENS1_30default_config_static_selectorELNS0_4arch9wavefront6targetE1EEEvSL_,comdat
	.protected	_ZN7rocprim17ROCPRIM_400000_NS6detail17trampoline_kernelINS0_14default_configENS1_22reduce_config_selectorIiEEZNS1_11reduce_implILb1ES3_N6thrust23THRUST_200600_302600_NS11hip_rocprim35transform_pair_of_input_iterators_tIiPdSB_NS8_12not_equal_toIdEEEEPiiNS8_4plusIiEEEE10hipError_tPvRmT1_T2_T3_mT4_P12ihipStream_tbEUlT_E1_NS1_11comp_targetILNS1_3genE5ELNS1_11target_archE942ELNS1_3gpuE9ELNS1_3repE0EEENS1_30default_config_static_selectorELNS0_4arch9wavefront6targetE1EEEvSL_ ; -- Begin function _ZN7rocprim17ROCPRIM_400000_NS6detail17trampoline_kernelINS0_14default_configENS1_22reduce_config_selectorIiEEZNS1_11reduce_implILb1ES3_N6thrust23THRUST_200600_302600_NS11hip_rocprim35transform_pair_of_input_iterators_tIiPdSB_NS8_12not_equal_toIdEEEEPiiNS8_4plusIiEEEE10hipError_tPvRmT1_T2_T3_mT4_P12ihipStream_tbEUlT_E1_NS1_11comp_targetILNS1_3genE5ELNS1_11target_archE942ELNS1_3gpuE9ELNS1_3repE0EEENS1_30default_config_static_selectorELNS0_4arch9wavefront6targetE1EEEvSL_
	.globl	_ZN7rocprim17ROCPRIM_400000_NS6detail17trampoline_kernelINS0_14default_configENS1_22reduce_config_selectorIiEEZNS1_11reduce_implILb1ES3_N6thrust23THRUST_200600_302600_NS11hip_rocprim35transform_pair_of_input_iterators_tIiPdSB_NS8_12not_equal_toIdEEEEPiiNS8_4plusIiEEEE10hipError_tPvRmT1_T2_T3_mT4_P12ihipStream_tbEUlT_E1_NS1_11comp_targetILNS1_3genE5ELNS1_11target_archE942ELNS1_3gpuE9ELNS1_3repE0EEENS1_30default_config_static_selectorELNS0_4arch9wavefront6targetE1EEEvSL_
	.p2align	8
	.type	_ZN7rocprim17ROCPRIM_400000_NS6detail17trampoline_kernelINS0_14default_configENS1_22reduce_config_selectorIiEEZNS1_11reduce_implILb1ES3_N6thrust23THRUST_200600_302600_NS11hip_rocprim35transform_pair_of_input_iterators_tIiPdSB_NS8_12not_equal_toIdEEEEPiiNS8_4plusIiEEEE10hipError_tPvRmT1_T2_T3_mT4_P12ihipStream_tbEUlT_E1_NS1_11comp_targetILNS1_3genE5ELNS1_11target_archE942ELNS1_3gpuE9ELNS1_3repE0EEENS1_30default_config_static_selectorELNS0_4arch9wavefront6targetE1EEEvSL_,@function
_ZN7rocprim17ROCPRIM_400000_NS6detail17trampoline_kernelINS0_14default_configENS1_22reduce_config_selectorIiEEZNS1_11reduce_implILb1ES3_N6thrust23THRUST_200600_302600_NS11hip_rocprim35transform_pair_of_input_iterators_tIiPdSB_NS8_12not_equal_toIdEEEEPiiNS8_4plusIiEEEE10hipError_tPvRmT1_T2_T3_mT4_P12ihipStream_tbEUlT_E1_NS1_11comp_targetILNS1_3genE5ELNS1_11target_archE942ELNS1_3gpuE9ELNS1_3repE0EEENS1_30default_config_static_selectorELNS0_4arch9wavefront6targetE1EEEvSL_: ; @_ZN7rocprim17ROCPRIM_400000_NS6detail17trampoline_kernelINS0_14default_configENS1_22reduce_config_selectorIiEEZNS1_11reduce_implILb1ES3_N6thrust23THRUST_200600_302600_NS11hip_rocprim35transform_pair_of_input_iterators_tIiPdSB_NS8_12not_equal_toIdEEEEPiiNS8_4plusIiEEEE10hipError_tPvRmT1_T2_T3_mT4_P12ihipStream_tbEUlT_E1_NS1_11comp_targetILNS1_3genE5ELNS1_11target_archE942ELNS1_3gpuE9ELNS1_3repE0EEENS1_30default_config_static_selectorELNS0_4arch9wavefront6targetE1EEEvSL_
; %bb.0:
	.section	.rodata,"a",@progbits
	.p2align	6, 0x0
	.amdhsa_kernel _ZN7rocprim17ROCPRIM_400000_NS6detail17trampoline_kernelINS0_14default_configENS1_22reduce_config_selectorIiEEZNS1_11reduce_implILb1ES3_N6thrust23THRUST_200600_302600_NS11hip_rocprim35transform_pair_of_input_iterators_tIiPdSB_NS8_12not_equal_toIdEEEEPiiNS8_4plusIiEEEE10hipError_tPvRmT1_T2_T3_mT4_P12ihipStream_tbEUlT_E1_NS1_11comp_targetILNS1_3genE5ELNS1_11target_archE942ELNS1_3gpuE9ELNS1_3repE0EEENS1_30default_config_static_selectorELNS0_4arch9wavefront6targetE1EEEvSL_
		.amdhsa_group_segment_fixed_size 0
		.amdhsa_private_segment_fixed_size 0
		.amdhsa_kernarg_size 56
		.amdhsa_user_sgpr_count 6
		.amdhsa_user_sgpr_private_segment_buffer 1
		.amdhsa_user_sgpr_dispatch_ptr 0
		.amdhsa_user_sgpr_queue_ptr 0
		.amdhsa_user_sgpr_kernarg_segment_ptr 1
		.amdhsa_user_sgpr_dispatch_id 0
		.amdhsa_user_sgpr_flat_scratch_init 0
		.amdhsa_user_sgpr_kernarg_preload_length 0
		.amdhsa_user_sgpr_kernarg_preload_offset 0
		.amdhsa_user_sgpr_private_segment_size 0
		.amdhsa_uses_dynamic_stack 0
		.amdhsa_system_sgpr_private_segment_wavefront_offset 0
		.amdhsa_system_sgpr_workgroup_id_x 1
		.amdhsa_system_sgpr_workgroup_id_y 0
		.amdhsa_system_sgpr_workgroup_id_z 0
		.amdhsa_system_sgpr_workgroup_info 0
		.amdhsa_system_vgpr_workitem_id 0
		.amdhsa_next_free_vgpr 1
		.amdhsa_next_free_sgpr 0
		.amdhsa_accum_offset 4
		.amdhsa_reserve_vcc 0
		.amdhsa_reserve_flat_scratch 0
		.amdhsa_float_round_mode_32 0
		.amdhsa_float_round_mode_16_64 0
		.amdhsa_float_denorm_mode_32 3
		.amdhsa_float_denorm_mode_16_64 3
		.amdhsa_dx10_clamp 1
		.amdhsa_ieee_mode 1
		.amdhsa_fp16_overflow 0
		.amdhsa_tg_split 0
		.amdhsa_exception_fp_ieee_invalid_op 0
		.amdhsa_exception_fp_denorm_src 0
		.amdhsa_exception_fp_ieee_div_zero 0
		.amdhsa_exception_fp_ieee_overflow 0
		.amdhsa_exception_fp_ieee_underflow 0
		.amdhsa_exception_fp_ieee_inexact 0
		.amdhsa_exception_int_div_zero 0
	.end_amdhsa_kernel
	.section	.text._ZN7rocprim17ROCPRIM_400000_NS6detail17trampoline_kernelINS0_14default_configENS1_22reduce_config_selectorIiEEZNS1_11reduce_implILb1ES3_N6thrust23THRUST_200600_302600_NS11hip_rocprim35transform_pair_of_input_iterators_tIiPdSB_NS8_12not_equal_toIdEEEEPiiNS8_4plusIiEEEE10hipError_tPvRmT1_T2_T3_mT4_P12ihipStream_tbEUlT_E1_NS1_11comp_targetILNS1_3genE5ELNS1_11target_archE942ELNS1_3gpuE9ELNS1_3repE0EEENS1_30default_config_static_selectorELNS0_4arch9wavefront6targetE1EEEvSL_,"axG",@progbits,_ZN7rocprim17ROCPRIM_400000_NS6detail17trampoline_kernelINS0_14default_configENS1_22reduce_config_selectorIiEEZNS1_11reduce_implILb1ES3_N6thrust23THRUST_200600_302600_NS11hip_rocprim35transform_pair_of_input_iterators_tIiPdSB_NS8_12not_equal_toIdEEEEPiiNS8_4plusIiEEEE10hipError_tPvRmT1_T2_T3_mT4_P12ihipStream_tbEUlT_E1_NS1_11comp_targetILNS1_3genE5ELNS1_11target_archE942ELNS1_3gpuE9ELNS1_3repE0EEENS1_30default_config_static_selectorELNS0_4arch9wavefront6targetE1EEEvSL_,comdat
.Lfunc_end1680:
	.size	_ZN7rocprim17ROCPRIM_400000_NS6detail17trampoline_kernelINS0_14default_configENS1_22reduce_config_selectorIiEEZNS1_11reduce_implILb1ES3_N6thrust23THRUST_200600_302600_NS11hip_rocprim35transform_pair_of_input_iterators_tIiPdSB_NS8_12not_equal_toIdEEEEPiiNS8_4plusIiEEEE10hipError_tPvRmT1_T2_T3_mT4_P12ihipStream_tbEUlT_E1_NS1_11comp_targetILNS1_3genE5ELNS1_11target_archE942ELNS1_3gpuE9ELNS1_3repE0EEENS1_30default_config_static_selectorELNS0_4arch9wavefront6targetE1EEEvSL_, .Lfunc_end1680-_ZN7rocprim17ROCPRIM_400000_NS6detail17trampoline_kernelINS0_14default_configENS1_22reduce_config_selectorIiEEZNS1_11reduce_implILb1ES3_N6thrust23THRUST_200600_302600_NS11hip_rocprim35transform_pair_of_input_iterators_tIiPdSB_NS8_12not_equal_toIdEEEEPiiNS8_4plusIiEEEE10hipError_tPvRmT1_T2_T3_mT4_P12ihipStream_tbEUlT_E1_NS1_11comp_targetILNS1_3genE5ELNS1_11target_archE942ELNS1_3gpuE9ELNS1_3repE0EEENS1_30default_config_static_selectorELNS0_4arch9wavefront6targetE1EEEvSL_
                                        ; -- End function
	.section	.AMDGPU.csdata,"",@progbits
; Kernel info:
; codeLenInByte = 0
; NumSgprs: 4
; NumVgprs: 0
; NumAgprs: 0
; TotalNumVgprs: 0
; ScratchSize: 0
; MemoryBound: 0
; FloatMode: 240
; IeeeMode: 1
; LDSByteSize: 0 bytes/workgroup (compile time only)
; SGPRBlocks: 0
; VGPRBlocks: 0
; NumSGPRsForWavesPerEU: 4
; NumVGPRsForWavesPerEU: 1
; AccumOffset: 4
; Occupancy: 8
; WaveLimiterHint : 0
; COMPUTE_PGM_RSRC2:SCRATCH_EN: 0
; COMPUTE_PGM_RSRC2:USER_SGPR: 6
; COMPUTE_PGM_RSRC2:TRAP_HANDLER: 0
; COMPUTE_PGM_RSRC2:TGID_X_EN: 1
; COMPUTE_PGM_RSRC2:TGID_Y_EN: 0
; COMPUTE_PGM_RSRC2:TGID_Z_EN: 0
; COMPUTE_PGM_RSRC2:TIDIG_COMP_CNT: 0
; COMPUTE_PGM_RSRC3_GFX90A:ACCUM_OFFSET: 0
; COMPUTE_PGM_RSRC3_GFX90A:TG_SPLIT: 0
	.section	.text._ZN7rocprim17ROCPRIM_400000_NS6detail17trampoline_kernelINS0_14default_configENS1_22reduce_config_selectorIiEEZNS1_11reduce_implILb1ES3_N6thrust23THRUST_200600_302600_NS11hip_rocprim35transform_pair_of_input_iterators_tIiPdSB_NS8_12not_equal_toIdEEEEPiiNS8_4plusIiEEEE10hipError_tPvRmT1_T2_T3_mT4_P12ihipStream_tbEUlT_E1_NS1_11comp_targetILNS1_3genE4ELNS1_11target_archE910ELNS1_3gpuE8ELNS1_3repE0EEENS1_30default_config_static_selectorELNS0_4arch9wavefront6targetE1EEEvSL_,"axG",@progbits,_ZN7rocprim17ROCPRIM_400000_NS6detail17trampoline_kernelINS0_14default_configENS1_22reduce_config_selectorIiEEZNS1_11reduce_implILb1ES3_N6thrust23THRUST_200600_302600_NS11hip_rocprim35transform_pair_of_input_iterators_tIiPdSB_NS8_12not_equal_toIdEEEEPiiNS8_4plusIiEEEE10hipError_tPvRmT1_T2_T3_mT4_P12ihipStream_tbEUlT_E1_NS1_11comp_targetILNS1_3genE4ELNS1_11target_archE910ELNS1_3gpuE8ELNS1_3repE0EEENS1_30default_config_static_selectorELNS0_4arch9wavefront6targetE1EEEvSL_,comdat
	.protected	_ZN7rocprim17ROCPRIM_400000_NS6detail17trampoline_kernelINS0_14default_configENS1_22reduce_config_selectorIiEEZNS1_11reduce_implILb1ES3_N6thrust23THRUST_200600_302600_NS11hip_rocprim35transform_pair_of_input_iterators_tIiPdSB_NS8_12not_equal_toIdEEEEPiiNS8_4plusIiEEEE10hipError_tPvRmT1_T2_T3_mT4_P12ihipStream_tbEUlT_E1_NS1_11comp_targetILNS1_3genE4ELNS1_11target_archE910ELNS1_3gpuE8ELNS1_3repE0EEENS1_30default_config_static_selectorELNS0_4arch9wavefront6targetE1EEEvSL_ ; -- Begin function _ZN7rocprim17ROCPRIM_400000_NS6detail17trampoline_kernelINS0_14default_configENS1_22reduce_config_selectorIiEEZNS1_11reduce_implILb1ES3_N6thrust23THRUST_200600_302600_NS11hip_rocprim35transform_pair_of_input_iterators_tIiPdSB_NS8_12not_equal_toIdEEEEPiiNS8_4plusIiEEEE10hipError_tPvRmT1_T2_T3_mT4_P12ihipStream_tbEUlT_E1_NS1_11comp_targetILNS1_3genE4ELNS1_11target_archE910ELNS1_3gpuE8ELNS1_3repE0EEENS1_30default_config_static_selectorELNS0_4arch9wavefront6targetE1EEEvSL_
	.globl	_ZN7rocprim17ROCPRIM_400000_NS6detail17trampoline_kernelINS0_14default_configENS1_22reduce_config_selectorIiEEZNS1_11reduce_implILb1ES3_N6thrust23THRUST_200600_302600_NS11hip_rocprim35transform_pair_of_input_iterators_tIiPdSB_NS8_12not_equal_toIdEEEEPiiNS8_4plusIiEEEE10hipError_tPvRmT1_T2_T3_mT4_P12ihipStream_tbEUlT_E1_NS1_11comp_targetILNS1_3genE4ELNS1_11target_archE910ELNS1_3gpuE8ELNS1_3repE0EEENS1_30default_config_static_selectorELNS0_4arch9wavefront6targetE1EEEvSL_
	.p2align	8
	.type	_ZN7rocprim17ROCPRIM_400000_NS6detail17trampoline_kernelINS0_14default_configENS1_22reduce_config_selectorIiEEZNS1_11reduce_implILb1ES3_N6thrust23THRUST_200600_302600_NS11hip_rocprim35transform_pair_of_input_iterators_tIiPdSB_NS8_12not_equal_toIdEEEEPiiNS8_4plusIiEEEE10hipError_tPvRmT1_T2_T3_mT4_P12ihipStream_tbEUlT_E1_NS1_11comp_targetILNS1_3genE4ELNS1_11target_archE910ELNS1_3gpuE8ELNS1_3repE0EEENS1_30default_config_static_selectorELNS0_4arch9wavefront6targetE1EEEvSL_,@function
_ZN7rocprim17ROCPRIM_400000_NS6detail17trampoline_kernelINS0_14default_configENS1_22reduce_config_selectorIiEEZNS1_11reduce_implILb1ES3_N6thrust23THRUST_200600_302600_NS11hip_rocprim35transform_pair_of_input_iterators_tIiPdSB_NS8_12not_equal_toIdEEEEPiiNS8_4plusIiEEEE10hipError_tPvRmT1_T2_T3_mT4_P12ihipStream_tbEUlT_E1_NS1_11comp_targetILNS1_3genE4ELNS1_11target_archE910ELNS1_3gpuE8ELNS1_3repE0EEENS1_30default_config_static_selectorELNS0_4arch9wavefront6targetE1EEEvSL_: ; @_ZN7rocprim17ROCPRIM_400000_NS6detail17trampoline_kernelINS0_14default_configENS1_22reduce_config_selectorIiEEZNS1_11reduce_implILb1ES3_N6thrust23THRUST_200600_302600_NS11hip_rocprim35transform_pair_of_input_iterators_tIiPdSB_NS8_12not_equal_toIdEEEEPiiNS8_4plusIiEEEE10hipError_tPvRmT1_T2_T3_mT4_P12ihipStream_tbEUlT_E1_NS1_11comp_targetILNS1_3genE4ELNS1_11target_archE910ELNS1_3gpuE8ELNS1_3repE0EEENS1_30default_config_static_selectorELNS0_4arch9wavefront6targetE1EEEvSL_
; %bb.0:
	s_load_dword s33, s[4:5], 0x4
	s_load_dwordx4 s[40:43], s[4:5], 0x8
	s_load_dwordx4 s[36:39], s[4:5], 0x20
	s_waitcnt lgkmcnt(0)
	s_cmp_lt_i32 s33, 8
	s_cbranch_scc1 .LBB1681_11
; %bb.1:
	s_cmp_gt_i32 s33, 15
	s_cbranch_scc0 .LBB1681_12
; %bb.2:
	s_cmp_gt_i32 s33, 31
	s_cbranch_scc0 .LBB1681_13
; %bb.3:
	s_cmp_eq_u32 s33, 32
	s_mov_b64 s[20:21], 0
	s_cbranch_scc0 .LBB1681_14
; %bb.4:
	s_mov_b32 s7, 0
	s_lshl_b32 s26, s6, 12
	s_mov_b32 s27, s7
	s_lshr_b64 s[0:1], s[36:37], 12
	s_lshl_b64 s[2:3], s[26:27], 3
	s_add_u32 s22, s40, s2
	s_addc_u32 s23, s41, s3
	s_add_u32 s24, s42, s2
	s_addc_u32 s25, s43, s3
	s_cmp_lg_u64 s[0:1], s[6:7]
	s_cbranch_scc0 .LBB1681_23
; %bb.5:
	v_lshlrev_b32_e32 v1, 3, v0
	v_mov_b32_e32 v2, s23
	v_add_co_u32_e32 v54, vcc, s22, v1
	v_addc_co_u32_e32 v55, vcc, 0, v2, vcc
	v_mov_b32_e32 v2, s25
	v_add_co_u32_e32 v56, vcc, s24, v1
	v_addc_co_u32_e32 v57, vcc, 0, v2, vcc
	s_movk_i32 s0, 0x1000
	v_add_co_u32_e32 v16, vcc, s0, v54
	global_load_dwordx2 v[4:5], v1, s[22:23]
	global_load_dwordx2 v[6:7], v1, s[22:23] offset:1024
	global_load_dwordx2 v[8:9], v1, s[22:23] offset:2048
	global_load_dwordx2 v[10:11], v1, s[24:25]
	global_load_dwordx2 v[12:13], v1, s[24:25] offset:1024
	global_load_dwordx2 v[14:15], v1, s[24:25] offset:2048
	v_addc_co_u32_e32 v17, vcc, 0, v55, vcc
	s_movk_i32 s1, 0x2000
	v_add_co_u32_e32 v2, vcc, s1, v54
	v_addc_co_u32_e32 v3, vcc, 0, v55, vcc
	global_load_dwordx2 v[18:19], v[2:3], off offset:-4096
	v_add_co_u32_e32 v20, vcc, s0, v56
	v_addc_co_u32_e32 v21, vcc, 0, v57, vcc
	v_add_co_u32_e32 v22, vcc, s1, v56
	v_addc_co_u32_e32 v23, vcc, 0, v57, vcc
	global_load_dwordx2 v[24:25], v[22:23], off offset:-4096
	global_load_dwordx2 v[26:27], v[16:17], off offset:2048
	global_load_dwordx2 v[28:29], v[20:21], off offset:2048
	global_load_dwordx2 v[30:31], v[2:3], off
	global_load_dwordx2 v[32:33], v[22:23], off
	global_load_dwordx2 v[34:35], v1, s[22:23] offset:3072
	global_load_dwordx2 v[36:37], v1, s[24:25] offset:3072
	global_load_dwordx2 v[38:39], v[16:17], off offset:1024
	global_load_dwordx2 v[40:41], v[20:21], off offset:1024
	;; [unrolled: 1-line block ×6, first 2 shown]
	s_movk_i32 s0, 0x3000
	v_add_co_u32_e32 v16, vcc, s0, v54
	s_movk_i32 s2, 0x4000
	v_addc_co_u32_e32 v17, vcc, 0, v55, vcc
	v_add_co_u32_e32 v20, vcc, s2, v54
	v_addc_co_u32_e32 v21, vcc, 0, v55, vcc
	s_movk_i32 s3, 0x6000
	global_load_dwordx2 v[50:51], v[2:3], off offset:2048
	global_load_dwordx2 v[52:53], v[22:23], off offset:2048
	s_waitcnt vmcnt(18)
	v_cmp_neq_f64_e32 vcc, v[4:5], v[10:11]
	v_cndmask_b32_e64 v1, 0, 1, vcc
	s_waitcnt vmcnt(16)
	v_cmp_neq_f64_e32 vcc, v[8:9], v[14:15]
	v_cndmask_b32_e64 v4, 0, 1, vcc
	v_cmp_neq_f64_e32 vcc, v[6:7], v[12:13]
	v_addc_co_u32_e32 v1, vcc, 0, v1, vcc
	s_waitcnt vmcnt(14)
	v_cmp_neq_f64_e32 vcc, v[18:19], v[24:25]
	v_cndmask_b32_e64 v5, 0, 1, vcc
	s_waitcnt vmcnt(12)
	v_cmp_neq_f64_e32 vcc, v[26:27], v[28:29]
	v_cndmask_b32_e64 v6, 0, 1, vcc
	;; [unrolled: 3-line block ×3, first 2 shown]
	s_waitcnt vmcnt(8)
	v_cmp_neq_f64_e32 vcc, v[34:35], v[36:37]
	v_addc_co_u32_e32 v1, vcc, v1, v4, vcc
	s_waitcnt vmcnt(6)
	v_cmp_neq_f64_e32 vcc, v[38:39], v[40:41]
	v_addc_co_u32_e32 v1, vcc, v1, v5, vcc
	v_add_co_u32_e64 v4, s[0:1], s0, v56
	s_waitcnt vmcnt(4)
	v_cmp_neq_f64_e32 vcc, v[42:43], v[44:45]
	v_addc_co_u32_e64 v5, s[0:1], 0, v57, s[0:1]
	v_addc_co_u32_e32 v1, vcc, v1, v6, vcc
	v_add_co_u32_e64 v6, s[0:1], s2, v56
	v_addc_co_u32_e64 v7, s[0:1], 0, v57, s[0:1]
	s_movk_i32 s2, 0x5000
	v_add_co_u32_e64 v26, s[0:1], s2, v54
	v_addc_co_u32_e64 v27, s[0:1], 0, v55, s[0:1]
	v_add_co_u32_e64 v28, s[0:1], s3, v54
	v_addc_co_u32_e64 v29, s[0:1], 0, v55, s[0:1]
	global_load_dwordx2 v[8:9], v[16:17], off offset:2048
	global_load_dwordx2 v[10:11], v[4:5], off offset:2048
	global_load_dwordx2 v[12:13], v[20:21], off
	global_load_dwordx2 v[14:15], v[6:7], off
	global_load_dwordx2 v[18:19], v[20:21], off offset:2048
	global_load_dwordx2 v[24:25], v[6:7], off offset:2048
	v_add_co_u32_e64 v30, s[0:1], s2, v56
	v_addc_co_u32_e64 v31, s[0:1], 0, v57, s[0:1]
	v_add_co_u32_e64 v32, s[0:1], s3, v56
	v_addc_co_u32_e64 v33, s[0:1], 0, v57, s[0:1]
	s_movk_i32 s2, 0x7000
	s_waitcnt vmcnt(8)
	v_cmp_neq_f64_e32 vcc, v[46:47], v[48:49]
	v_add_co_u32_e64 v46, s[0:1], s2, v54
	v_addc_co_u32_e64 v47, s[0:1], 0, v55, s[0:1]
	v_add_co_u32_e64 v48, s[0:1], s2, v56
	global_load_dwordx2 v[34:35], v[26:27], off offset:2048
	global_load_dwordx2 v[36:37], v[30:31], off offset:2048
	global_load_dwordx2 v[38:39], v[28:29], off
	global_load_dwordx2 v[40:41], v[32:33], off
	global_load_dwordx2 v[42:43], v[28:29], off offset:2048
	global_load_dwordx2 v[44:45], v[32:33], off offset:2048
	v_addc_co_u32_e64 v49, s[0:1], 0, v57, s[0:1]
	global_load_dwordx2 v[54:55], v[46:47], off offset:2048
	global_load_dwordx2 v[56:57], v[48:49], off offset:2048
	s_waitcnt vmcnt(14)
	v_cmp_neq_f64_e64 s[0:1], v[50:51], v[52:53]
	global_load_dwordx2 v[50:51], v[16:17], off offset:3072
	global_load_dwordx2 v[52:53], v[4:5], off offset:3072
	v_addc_co_u32_e32 v1, vcc, v1, v82, vcc
	s_waitcnt vmcnt(14)
	v_cmp_neq_f64_e64 s[2:3], v[8:9], v[10:11]
	global_load_dwordx2 v[8:9], v[20:21], off offset:1024
	global_load_dwordx2 v[10:11], v[6:7], off offset:1024
	s_waitcnt vmcnt(14)
	v_cmp_neq_f64_e64 s[8:9], v[12:13], v[14:15]
	global_load_dwordx2 v[12:13], v[20:21], off offset:-4096
	global_load_dwordx2 v[14:15], v[6:7], off offset:-4096
	s_waitcnt vmcnt(14)
	v_cmp_neq_f64_e64 s[10:11], v[18:19], v[24:25]
	global_load_dwordx2 v[18:19], v[26:27], off offset:3072
	global_load_dwordx2 v[24:25], v[30:31], off offset:3072
	s_waitcnt vmcnt(14)
	v_cmp_neq_f64_e64 s[12:13], v[34:35], v[36:37]
	global_load_dwordx2 v[34:35], v[28:29], off offset:1024
	global_load_dwordx2 v[36:37], v[32:33], off offset:1024
	s_waitcnt vmcnt(14)
	v_cmp_neq_f64_e64 s[14:15], v[38:39], v[40:41]
	global_load_dwordx2 v[38:39], v[28:29], off offset:-4096
	global_load_dwordx2 v[40:41], v[32:33], off offset:-4096
	s_waitcnt vmcnt(14)
	v_cmp_neq_f64_e64 s[16:17], v[42:43], v[44:45]
	global_load_dwordx2 v[42:43], v[46:47], off offset:3072
	global_load_dwordx2 v[44:45], v[48:49], off offset:3072
	s_waitcnt vmcnt(14)
	v_cmp_neq_f64_e64 s[18:19], v[54:55], v[56:57]
	global_load_dwordx2 v[54:55], v[48:49], off
	global_load_dwordx2 v[56:57], v[46:47], off
	global_load_dwordx2 v[58:59], v[2:3], off offset:3072
	global_load_dwordx2 v[60:61], v[22:23], off offset:3072
	;; [unrolled: 1-line block ×12, first 2 shown]
	v_cndmask_b32_e64 v2, 0, 1, s[0:1]
	v_cndmask_b32_e64 v4, 0, 1, s[2:3]
	;; [unrolled: 1-line block ×5, first 2 shown]
	s_waitcnt vmcnt(22)
	v_cmp_neq_f64_e64 s[0:1], v[12:13], v[14:15]
	v_cndmask_b32_e64 v3, 0, 1, s[0:1]
	v_cndmask_b32_e64 v12, 0, 1, s[12:13]
	;; [unrolled: 1-line block ×4, first 2 shown]
	s_waitcnt vmcnt(10)
	v_cmp_neq_f64_e32 vcc, v[58:59], v[60:61]
	v_addc_co_u32_e32 v1, vcc, v1, v2, vcc
	s_waitcnt vmcnt(8)
	v_cmp_neq_f64_e32 vcc, v[62:63], v[64:65]
	v_addc_co_u32_e32 v1, vcc, v1, v3, vcc
	v_cmp_neq_f64_e32 vcc, v[50:51], v[52:53]
	v_addc_co_u32_e32 v1, vcc, v1, v4, vcc
	;; [unrolled: 2-line block ×3, first 2 shown]
	s_waitcnt vmcnt(6)
	v_cmp_neq_f64_e32 vcc, v[66:67], v[68:69]
	v_cmp_neq_f64_e64 s[0:1], v[38:39], v[40:41]
	v_addc_co_u32_e32 v1, vcc, v1, v6, vcc
	v_cndmask_b32_e64 v7, 0, 1, s[0:1]
	s_waitcnt vmcnt(4)
	v_cmp_neq_f64_e32 vcc, v[70:71], v[72:73]
	v_addc_co_u32_e32 v1, vcc, v1, v7, vcc
	v_cmp_neq_f64_e32 vcc, v[18:19], v[24:25]
	v_addc_co_u32_e32 v1, vcc, v1, v12, vcc
	;; [unrolled: 2-line block ×3, first 2 shown]
	s_waitcnt vmcnt(2)
	v_cmp_neq_f64_e32 vcc, v[74:75], v[76:77]
	v_cmp_neq_f64_e64 s[0:1], v[56:57], v[54:55]
	v_addc_co_u32_e32 v1, vcc, v1, v14, vcc
	v_cndmask_b32_e64 v15, 0, 1, s[0:1]
	s_waitcnt vmcnt(0)
	v_cmp_neq_f64_e32 vcc, v[78:79], v[80:81]
	v_addc_co_u32_e32 v1, vcc, v1, v15, vcc
	v_cmp_neq_f64_e32 vcc, v[42:43], v[44:45]
	v_addc_co_u32_e32 v1, vcc, v1, v16, vcc
	v_mbcnt_lo_u32_b32 v2, -1, 0
	s_nop 0
	v_add_u32_dpp v1, v1, v1 quad_perm:[1,0,3,2] row_mask:0xf bank_mask:0xf bound_ctrl:1
	v_mbcnt_hi_u32_b32 v2, -1, v2
	v_lshlrev_b32_e32 v3, 2, v2
	v_add_u32_dpp v1, v1, v1 quad_perm:[2,3,0,1] row_mask:0xf bank_mask:0xf bound_ctrl:1
	v_or_b32_e32 v4, 0xfc, v3
	v_cmp_eq_u32_e32 vcc, 0, v2
	v_add_u32_dpp v1, v1, v1 row_ror:4 row_mask:0xf bank_mask:0xf bound_ctrl:1
	s_nop 1
	v_add_u32_dpp v1, v1, v1 row_ror:8 row_mask:0xf bank_mask:0xf bound_ctrl:1
	s_nop 1
	v_add_u32_dpp v1, v1, v1 row_bcast:15 row_mask:0xf bank_mask:0xf bound_ctrl:1
	s_nop 1
	v_add_u32_dpp v1, v1, v1 row_bcast:31 row_mask:0xf bank_mask:0xf bound_ctrl:1
	ds_bpermute_b32 v1, v4, v1
	s_and_saveexec_b64 s[0:1], vcc
	s_cbranch_execz .LBB1681_7
; %bb.6:
	v_lshrrev_b32_e32 v4, 4, v0
	v_and_b32_e32 v4, 4, v4
	s_waitcnt lgkmcnt(0)
	ds_write_b32 v4, v1 offset:24
.LBB1681_7:
	s_or_b64 exec, exec, s[0:1]
	v_cmp_gt_u32_e32 vcc, 64, v0
	s_waitcnt lgkmcnt(0)
	s_barrier
	s_and_saveexec_b64 s[0:1], vcc
	s_cbranch_execz .LBB1681_9
; %bb.8:
	v_and_b32_e32 v1, 1, v2
	v_lshlrev_b32_e32 v1, 2, v1
	ds_read_b32 v1, v1 offset:24
	v_or_b32_e32 v2, 4, v3
	s_waitcnt lgkmcnt(0)
	ds_bpermute_b32 v2, v2, v1
	s_waitcnt lgkmcnt(0)
	v_add_u32_e32 v1, v2, v1
.LBB1681_9:
	s_or_b64 exec, exec, s[0:1]
.LBB1681_10:
	v_cmp_eq_u32_e64 s[0:1], 0, v0
	s_and_b64 vcc, exec, s[20:21]
	s_cbranch_vccnz .LBB1681_15
	s_branch .LBB1681_93
.LBB1681_11:
	s_mov_b64 s[0:1], 0
                                        ; implicit-def: $vgpr1
	s_cbranch_execnz .LBB1681_166
	s_branch .LBB1681_224
.LBB1681_12:
	s_mov_b64 s[0:1], 0
                                        ; implicit-def: $vgpr1
	s_cbranch_execnz .LBB1681_134
	s_branch .LBB1681_142
.LBB1681_13:
	s_mov_b64 s[20:21], -1
.LBB1681_14:
	s_mov_b64 s[0:1], 0
                                        ; implicit-def: $vgpr1
	s_and_b64 vcc, exec, s[20:21]
	s_cbranch_vccz .LBB1681_93
.LBB1681_15:
	s_cmp_eq_u32 s33, 16
	s_cbranch_scc0 .LBB1681_22
; %bb.16:
	s_mov_b32 s7, 0
	s_lshl_b32 s2, s6, 11
	s_mov_b32 s3, s7
	s_lshr_b64 s[0:1], s[36:37], 11
	s_lshl_b64 s[8:9], s[2:3], 3
	s_add_u32 s34, s40, s8
	s_addc_u32 s35, s41, s9
	s_add_u32 s44, s42, s8
	s_addc_u32 s45, s43, s9
	s_cmp_lg_u64 s[0:1], s[6:7]
	s_cbranch_scc0 .LBB1681_94
; %bb.17:
	v_lshlrev_b32_e32 v1, 3, v0
	global_load_dwordx2 v[2:3], v1, s[34:35]
	global_load_dwordx2 v[4:5], v1, s[44:45]
	global_load_dwordx2 v[6:7], v1, s[34:35] offset:2048
	global_load_dwordx2 v[8:9], v1, s[44:45] offset:2048
	v_mov_b32_e32 v10, s35
	v_add_co_u32_e32 v18, vcc, s34, v1
	v_addc_co_u32_e32 v19, vcc, 0, v10, vcc
	v_mov_b32_e32 v11, s45
	v_add_co_u32_e32 v20, vcc, s44, v1
	s_movk_i32 s0, 0x1000
	v_addc_co_u32_e32 v21, vcc, 0, v11, vcc
	v_add_co_u32_e32 v10, vcc, s0, v18
	s_movk_i32 s1, 0x2000
	v_addc_co_u32_e32 v11, vcc, 0, v19, vcc
	v_add_co_u32_e32 v12, vcc, s1, v18
	v_addc_co_u32_e32 v13, vcc, 0, v19, vcc
	v_add_co_u32_e32 v14, vcc, s0, v20
	;; [unrolled: 2-line block ×3, first 2 shown]
	s_movk_i32 s3, 0x3000
	v_addc_co_u32_e32 v17, vcc, 0, v21, vcc
	v_add_co_u32_e32 v18, vcc, s3, v18
	v_addc_co_u32_e32 v19, vcc, 0, v19, vcc
	v_add_co_u32_e32 v20, vcc, s3, v20
	v_addc_co_u32_e32 v21, vcc, 0, v21, vcc
	global_load_dwordx2 v[22:23], v[12:13], off offset:-4096
	global_load_dwordx2 v[24:25], v[16:17], off offset:-4096
	global_load_dwordx2 v[26:27], v[10:11], off offset:2048
	global_load_dwordx2 v[28:29], v[14:15], off offset:2048
	global_load_dwordx2 v[30:31], v[12:13], off
	global_load_dwordx2 v[32:33], v[16:17], off
	global_load_dwordx2 v[34:35], v[12:13], off offset:2048
	global_load_dwordx2 v[36:37], v[16:17], off offset:2048
	global_load_dwordx2 v[38:39], v[18:19], off
	global_load_dwordx2 v[40:41], v[20:21], off
	global_load_dwordx2 v[42:43], v[18:19], off offset:2048
	global_load_dwordx2 v[44:45], v[20:21], off offset:2048
	global_load_dwordx2 v[46:47], v1, s[34:35] offset:1024
	global_load_dwordx2 v[48:49], v1, s[44:45] offset:1024
	;; [unrolled: 1-line block ×4, first 2 shown]
	global_load_dwordx2 v[54:55], v[10:11], off offset:1024
	global_load_dwordx2 v[56:57], v[14:15], off offset:1024
	;; [unrolled: 1-line block ×5, first 2 shown]
	s_waitcnt vmcnt(23)
	v_cmp_neq_f64_e32 vcc, v[2:3], v[4:5]
	global_load_dwordx2 v[2:3], v[16:17], off offset:1024
	global_load_dwordx2 v[4:5], v[12:13], off offset:3072
	;; [unrolled: 1-line block ×4, first 2 shown]
	s_waitcnt vmcnt(25)
	v_cmp_neq_f64_e64 s[0:1], v[6:7], v[8:9]
	global_load_dwordx2 v[6:7], v[20:21], off offset:1024
	global_load_dwordx2 v[8:9], v[18:19], off offset:3072
	;; [unrolled: 1-line block ×3, first 2 shown]
	v_cndmask_b32_e64 v1, 0, 1, vcc
	v_cndmask_b32_e64 v16, 0, 1, s[0:1]
	s_waitcnt vmcnt(26)
	v_cmp_neq_f64_e32 vcc, v[22:23], v[24:25]
	v_cndmask_b32_e64 v17, 0, 1, vcc
	s_waitcnt vmcnt(24)
	v_cmp_neq_f64_e32 vcc, v[26:27], v[28:29]
	v_cndmask_b32_e64 v18, 0, 1, vcc
	;; [unrolled: 3-line block ×6, first 2 shown]
	s_waitcnt vmcnt(14)
	v_cmp_neq_f64_e32 vcc, v[46:47], v[48:49]
	v_addc_co_u32_e32 v1, vcc, 0, v1, vcc
	s_waitcnt vmcnt(12)
	v_cmp_neq_f64_e32 vcc, v[50:51], v[52:53]
	v_addc_co_u32_e32 v1, vcc, v1, v16, vcc
	s_waitcnt vmcnt(10)
	v_cmp_neq_f64_e32 vcc, v[54:55], v[56:57]
	v_addc_co_u32_e32 v1, vcc, v1, v17, vcc
	s_waitcnt vmcnt(8)
	v_cmp_neq_f64_e32 vcc, v[58:59], v[60:61]
	v_addc_co_u32_e32 v1, vcc, v1, v18, vcc
	s_waitcnt vmcnt(6)
	v_cmp_neq_f64_e32 vcc, v[62:63], v[2:3]
	v_addc_co_u32_e32 v1, vcc, v1, v19, vcc
	s_waitcnt vmcnt(4)
	v_cmp_neq_f64_e32 vcc, v[4:5], v[10:11]
	v_addc_co_u32_e32 v1, vcc, v1, v20, vcc
	s_waitcnt vmcnt(2)
	v_cmp_neq_f64_e32 vcc, v[14:15], v[6:7]
	v_addc_co_u32_e32 v1, vcc, v1, v21, vcc
	s_waitcnt vmcnt(0)
	v_cmp_neq_f64_e32 vcc, v[8:9], v[12:13]
	v_addc_co_u32_e32 v1, vcc, v1, v22, vcc
	v_mbcnt_lo_u32_b32 v2, -1, 0
	s_nop 0
	v_add_u32_dpp v1, v1, v1 quad_perm:[1,0,3,2] row_mask:0xf bank_mask:0xf bound_ctrl:1
	v_mbcnt_hi_u32_b32 v2, -1, v2
	v_lshlrev_b32_e32 v3, 2, v2
	v_add_u32_dpp v1, v1, v1 quad_perm:[2,3,0,1] row_mask:0xf bank_mask:0xf bound_ctrl:1
	v_or_b32_e32 v4, 0xfc, v3
	v_cmp_eq_u32_e32 vcc, 0, v2
	v_add_u32_dpp v1, v1, v1 row_ror:4 row_mask:0xf bank_mask:0xf bound_ctrl:1
	s_nop 1
	v_add_u32_dpp v1, v1, v1 row_ror:8 row_mask:0xf bank_mask:0xf bound_ctrl:1
	s_nop 1
	v_add_u32_dpp v1, v1, v1 row_bcast:15 row_mask:0xf bank_mask:0xf bound_ctrl:1
	s_nop 1
	v_add_u32_dpp v1, v1, v1 row_bcast:31 row_mask:0xf bank_mask:0xf bound_ctrl:1
	ds_bpermute_b32 v1, v4, v1
	s_and_saveexec_b64 s[0:1], vcc
	s_cbranch_execz .LBB1681_19
; %bb.18:
	v_lshrrev_b32_e32 v4, 4, v0
	v_and_b32_e32 v4, 4, v4
	s_waitcnt lgkmcnt(0)
	ds_write_b32 v4, v1
.LBB1681_19:
	s_or_b64 exec, exec, s[0:1]
	v_cmp_gt_u32_e32 vcc, 64, v0
	s_waitcnt lgkmcnt(0)
	s_barrier
	s_and_saveexec_b64 s[0:1], vcc
	s_cbranch_execz .LBB1681_21
; %bb.20:
	v_and_b32_e32 v1, 1, v2
	v_lshlrev_b32_e32 v1, 2, v1
	ds_read_b32 v1, v1
	v_or_b32_e32 v2, 4, v3
	s_waitcnt lgkmcnt(0)
	ds_bpermute_b32 v2, v2, v1
	s_waitcnt lgkmcnt(0)
	v_add_u32_e32 v1, v2, v1
.LBB1681_21:
	s_or_b64 exec, exec, s[0:1]
	s_mov_b64 s[0:1], 0
	s_branch .LBB1681_95
.LBB1681_22:
                                        ; implicit-def: $vgpr1
	s_branch .LBB1681_142
.LBB1681_23:
                                        ; implicit-def: $vgpr1
	s_cbranch_execz .LBB1681_10
; %bb.24:
	s_sub_i32 s2, s36, s26
	v_cmp_gt_u32_e32 vcc, s2, v0
                                        ; implicit-def: $vgpr1
	s_and_saveexec_b64 s[0:1], vcc
	s_cbranch_execz .LBB1681_26
; %bb.25:
	v_lshlrev_b32_e32 v1, 3, v0
	global_load_dwordx2 v[2:3], v1, s[22:23]
	global_load_dwordx2 v[4:5], v1, s[24:25]
	s_waitcnt vmcnt(0)
	v_cmp_neq_f64_e32 vcc, v[2:3], v[4:5]
	v_cndmask_b32_e64 v1, 0, 1, vcc
.LBB1681_26:
	s_or_b64 exec, exec, s[0:1]
	v_or_b32_e32 v2, 0x80, v0
	v_cmp_gt_u32_e32 vcc, s2, v2
	v_mov_b32_e32 v2, 0
	v_mov_b32_e32 v3, 0
	s_and_saveexec_b64 s[0:1], vcc
	s_cbranch_execz .LBB1681_28
; %bb.27:
	v_lshlrev_b32_e32 v3, 3, v0
	global_load_dwordx2 v[4:5], v3, s[22:23] offset:1024
	global_load_dwordx2 v[6:7], v3, s[24:25] offset:1024
	s_waitcnt vmcnt(0)
	v_cmp_neq_f64_e32 vcc, v[4:5], v[6:7]
	v_cndmask_b32_e64 v3, 0, 1, vcc
.LBB1681_28:
	s_or_b64 exec, exec, s[0:1]
	v_or_b32_e32 v4, 0x100, v0
	v_cmp_gt_u32_e32 vcc, s2, v4
	s_and_saveexec_b64 s[0:1], vcc
	s_cbranch_execz .LBB1681_30
; %bb.29:
	v_lshlrev_b32_e32 v2, 3, v0
	global_load_dwordx2 v[4:5], v2, s[22:23] offset:2048
	global_load_dwordx2 v[6:7], v2, s[24:25] offset:2048
	s_waitcnt vmcnt(0)
	v_cmp_neq_f64_e32 vcc, v[4:5], v[6:7]
	v_cndmask_b32_e64 v2, 0, 1, vcc
.LBB1681_30:
	s_or_b64 exec, exec, s[0:1]
	v_or_b32_e32 v4, 0x180, v0
	v_cmp_gt_u32_e32 vcc, s2, v4
	v_mov_b32_e32 v4, 0
	v_mov_b32_e32 v5, 0
	s_and_saveexec_b64 s[0:1], vcc
	s_cbranch_execz .LBB1681_32
; %bb.31:
	v_lshlrev_b32_e32 v5, 3, v0
	global_load_dwordx2 v[6:7], v5, s[22:23] offset:3072
	global_load_dwordx2 v[8:9], v5, s[24:25] offset:3072
	s_waitcnt vmcnt(0)
	v_cmp_neq_f64_e32 vcc, v[6:7], v[8:9]
	v_cndmask_b32_e64 v5, 0, 1, vcc
.LBB1681_32:
	s_or_b64 exec, exec, s[0:1]
	v_or_b32_e32 v6, 0x200, v0
	v_cmp_gt_u32_e32 vcc, s2, v6
	s_and_saveexec_b64 s[0:1], vcc
	s_cbranch_execz .LBB1681_34
; %bb.33:
	v_lshlrev_b32_e32 v4, 3, v6
	global_load_dwordx2 v[6:7], v4, s[22:23]
	global_load_dwordx2 v[8:9], v4, s[24:25]
	s_waitcnt vmcnt(0)
	v_cmp_neq_f64_e32 vcc, v[6:7], v[8:9]
	v_cndmask_b32_e64 v4, 0, 1, vcc
.LBB1681_34:
	s_or_b64 exec, exec, s[0:1]
	v_or_b32_e32 v8, 0x280, v0
	v_cmp_gt_u32_e32 vcc, s2, v8
	v_mov_b32_e32 v6, 0
	v_mov_b32_e32 v7, 0
	s_and_saveexec_b64 s[0:1], vcc
	s_cbranch_execz .LBB1681_36
; %bb.35:
	v_lshlrev_b32_e32 v7, 3, v8
	global_load_dwordx2 v[8:9], v7, s[22:23]
	global_load_dwordx2 v[10:11], v7, s[24:25]
	s_waitcnt vmcnt(0)
	v_cmp_neq_f64_e32 vcc, v[8:9], v[10:11]
	v_cndmask_b32_e64 v7, 0, 1, vcc
.LBB1681_36:
	s_or_b64 exec, exec, s[0:1]
	v_or_b32_e32 v8, 0x300, v0
	v_cmp_gt_u32_e32 vcc, s2, v8
	s_and_saveexec_b64 s[0:1], vcc
	s_cbranch_execz .LBB1681_38
; %bb.37:
	v_lshlrev_b32_e32 v6, 3, v8
	global_load_dwordx2 v[8:9], v6, s[22:23]
	global_load_dwordx2 v[10:11], v6, s[24:25]
	s_waitcnt vmcnt(0)
	v_cmp_neq_f64_e32 vcc, v[8:9], v[10:11]
	v_cndmask_b32_e64 v6, 0, 1, vcc
.LBB1681_38:
	s_or_b64 exec, exec, s[0:1]
	v_or_b32_e32 v10, 0x380, v0
	v_cmp_gt_u32_e32 vcc, s2, v10
	v_mov_b32_e32 v8, 0
	v_mov_b32_e32 v9, 0
	s_and_saveexec_b64 s[0:1], vcc
	s_cbranch_execz .LBB1681_40
; %bb.39:
	v_lshlrev_b32_e32 v9, 3, v10
	global_load_dwordx2 v[10:11], v9, s[22:23]
	global_load_dwordx2 v[12:13], v9, s[24:25]
	s_waitcnt vmcnt(0)
	v_cmp_neq_f64_e32 vcc, v[10:11], v[12:13]
	v_cndmask_b32_e64 v9, 0, 1, vcc
.LBB1681_40:
	;; [unrolled: 28-line block ×13, first 2 shown]
	s_or_b64 exec, exec, s[0:1]
	v_or_b32_e32 v32, 0xf00, v0
	v_cmp_gt_u32_e32 vcc, s2, v32
	s_and_saveexec_b64 s[0:1], vcc
	s_cbranch_execz .LBB1681_86
; %bb.85:
	v_lshlrev_b32_e32 v30, 3, v32
	global_load_dwordx2 v[32:33], v30, s[22:23]
	global_load_dwordx2 v[34:35], v30, s[24:25]
	s_waitcnt vmcnt(0)
	v_cmp_neq_f64_e32 vcc, v[32:33], v[34:35]
	v_cndmask_b32_e64 v30, 0, 1, vcc
.LBB1681_86:
	s_or_b64 exec, exec, s[0:1]
	v_or_b32_e32 v33, 0xf80, v0
	v_cmp_gt_u32_e32 vcc, s2, v33
	v_mov_b32_e32 v32, 0
	s_and_saveexec_b64 s[0:1], vcc
	s_cbranch_execz .LBB1681_88
; %bb.87:
	v_lshlrev_b32_e32 v36, 3, v33
	global_load_dwordx2 v[32:33], v36, s[22:23]
	global_load_dwordx2 v[34:35], v36, s[24:25]
	s_waitcnt vmcnt(0)
	v_cmp_neq_f64_e32 vcc, v[32:33], v[34:35]
	v_cndmask_b32_e64 v32, 0, 1, vcc
.LBB1681_88:
	s_or_b64 exec, exec, s[0:1]
	v_add_u32_e32 v1, v3, v1
	v_add3_u32 v1, v1, v2, v5
	v_add3_u32 v1, v1, v4, v7
	;; [unrolled: 1-line block ×10, first 2 shown]
	v_mbcnt_lo_u32_b32 v2, -1, 0
	v_add3_u32 v1, v1, v22, v25
	v_mbcnt_hi_u32_b32 v2, -1, v2
	v_add3_u32 v1, v1, v24, v27
	v_and_b32_e32 v3, 63, v2
	v_add3_u32 v1, v1, v26, v29
	v_cmp_ne_u32_e32 vcc, 63, v3
	v_add3_u32 v1, v1, v28, v31
	v_addc_co_u32_e32 v4, vcc, 0, v2, vcc
	v_add3_u32 v1, v1, v30, v32
	v_lshlrev_b32_e32 v4, 2, v4
	ds_bpermute_b32 v4, v4, v1
	s_min_u32 s2, s2, 0x80
	v_and_b32_e32 v5, 64, v0
	v_sub_u32_e64 v5, s2, v5 clamp
	v_add_u32_e32 v6, 1, v3
	v_cmp_lt_u32_e32 vcc, v6, v5
	s_waitcnt lgkmcnt(0)
	v_cndmask_b32_e32 v4, 0, v4, vcc
	v_cmp_gt_u32_e32 vcc, 62, v3
	v_add_u32_e32 v1, v4, v1
	v_cndmask_b32_e64 v4, 0, 1, vcc
	v_lshlrev_b32_e32 v4, 1, v4
	v_add_lshl_u32 v4, v4, v2, 2
	ds_bpermute_b32 v4, v4, v1
	v_add_u32_e32 v6, 2, v3
	v_cmp_lt_u32_e32 vcc, v6, v5
	v_add_u32_e32 v6, 4, v3
	s_waitcnt lgkmcnt(0)
	v_cndmask_b32_e32 v4, 0, v4, vcc
	v_cmp_gt_u32_e32 vcc, 60, v3
	v_add_u32_e32 v1, v1, v4
	v_cndmask_b32_e64 v4, 0, 1, vcc
	v_lshlrev_b32_e32 v4, 2, v4
	v_add_lshl_u32 v4, v4, v2, 2
	ds_bpermute_b32 v4, v4, v1
	v_cmp_lt_u32_e32 vcc, v6, v5
	v_add_u32_e32 v6, 8, v3
	s_waitcnt lgkmcnt(0)
	v_cndmask_b32_e32 v4, 0, v4, vcc
	v_cmp_gt_u32_e32 vcc, 56, v3
	v_add_u32_e32 v1, v1, v4
	v_cndmask_b32_e64 v4, 0, 1, vcc
	v_lshlrev_b32_e32 v4, 3, v4
	v_add_lshl_u32 v4, v4, v2, 2
	ds_bpermute_b32 v4, v4, v1
	;; [unrolled: 10-line block ×3, first 2 shown]
	v_cmp_lt_u32_e32 vcc, v6, v5
	s_waitcnt lgkmcnt(0)
	v_cndmask_b32_e32 v4, 0, v4, vcc
	v_cmp_gt_u32_e32 vcc, 32, v3
	v_add_u32_e32 v1, v1, v4
	v_cndmask_b32_e64 v4, 0, 1, vcc
	v_lshlrev_b32_e32 v4, 5, v4
	v_add_lshl_u32 v4, v4, v2, 2
	ds_bpermute_b32 v4, v4, v1
	v_add_u32_e32 v3, 32, v3
	v_cmp_lt_u32_e32 vcc, v3, v5
	s_waitcnt lgkmcnt(0)
	v_cndmask_b32_e32 v3, 0, v4, vcc
	v_add_u32_e32 v1, v1, v3
	v_cmp_eq_u32_e32 vcc, 0, v2
	s_and_saveexec_b64 s[0:1], vcc
	s_cbranch_execz .LBB1681_90
; %bb.89:
	v_lshrrev_b32_e32 v3, 4, v0
	v_and_b32_e32 v3, 4, v3
	ds_write_b32 v3, v1 offset:48
.LBB1681_90:
	s_or_b64 exec, exec, s[0:1]
	v_cmp_gt_u32_e32 vcc, 2, v0
	s_waitcnt lgkmcnt(0)
	s_barrier
	s_and_saveexec_b64 s[0:1], vcc
	s_cbranch_execz .LBB1681_92
; %bb.91:
	v_lshlrev_b32_e32 v1, 2, v2
	ds_read_b32 v3, v1 offset:48
	v_or_b32_e32 v1, 4, v1
	s_add_i32 s2, s2, 63
	v_and_b32_e32 v2, 1, v2
	s_lshr_b32 s2, s2, 6
	s_waitcnt lgkmcnt(0)
	ds_bpermute_b32 v1, v1, v3
	v_add_u32_e32 v2, 1, v2
	v_cmp_gt_u32_e32 vcc, s2, v2
	s_waitcnt lgkmcnt(0)
	v_cndmask_b32_e32 v1, 0, v1, vcc
	v_add_u32_e32 v1, v1, v3
.LBB1681_92:
	s_or_b64 exec, exec, s[0:1]
	v_cmp_eq_u32_e64 s[0:1], 0, v0
	s_and_b64 vcc, exec, s[20:21]
	s_cbranch_vccnz .LBB1681_15
.LBB1681_93:
	s_branch .LBB1681_142
.LBB1681_94:
	s_mov_b64 s[0:1], -1
                                        ; implicit-def: $vgpr1
.LBB1681_95:
	s_and_b64 vcc, exec, s[0:1]
	s_cbranch_vccz .LBB1681_133
; %bb.96:
	s_sub_i32 s48, s36, s2
	v_cmp_gt_u32_e32 vcc, s48, v0
                                        ; implicit-def: $vgpr2_vgpr3_vgpr4_vgpr5_vgpr6_vgpr7_vgpr8_vgpr9_vgpr10_vgpr11_vgpr12_vgpr13_vgpr14_vgpr15_vgpr16_vgpr17
	s_and_saveexec_b64 s[0:1], vcc
	s_cbranch_execz .LBB1681_98
; %bb.97:
	v_lshlrev_b32_e32 v1, 3, v0
	global_load_dwordx2 v[2:3], v1, s[34:35]
	global_load_dwordx2 v[4:5], v1, s[44:45]
	s_waitcnt vmcnt(0)
	v_cmp_neq_f64_e32 vcc, v[2:3], v[4:5]
	v_cndmask_b32_e64 v2, 0, 1, vcc
.LBB1681_98:
	s_or_b64 exec, exec, s[0:1]
	v_or_b32_e32 v1, 0x80, v0
	v_cmp_gt_u32_e32 vcc, s48, v1
	s_and_saveexec_b64 s[2:3], vcc
	s_cbranch_execz .LBB1681_100
; %bb.99:
	v_lshlrev_b32_e32 v1, 3, v0
	global_load_dwordx2 v[18:19], v1, s[34:35] offset:1024
	global_load_dwordx2 v[20:21], v1, s[44:45] offset:1024
	s_waitcnt vmcnt(0)
	v_cmp_neq_f64_e64 s[0:1], v[18:19], v[20:21]
	v_cndmask_b32_e64 v3, 0, 1, s[0:1]
.LBB1681_100:
	s_or_b64 exec, exec, s[2:3]
	v_or_b32_e32 v1, 0x100, v0
	v_cmp_gt_u32_e64 s[0:1], s48, v1
	s_and_saveexec_b64 s[8:9], s[0:1]
	s_cbranch_execz .LBB1681_102
; %bb.101:
	v_lshlrev_b32_e32 v1, 3, v0
	global_load_dwordx2 v[18:19], v1, s[34:35] offset:2048
	global_load_dwordx2 v[20:21], v1, s[44:45] offset:2048
	s_waitcnt vmcnt(0)
	v_cmp_neq_f64_e64 s[2:3], v[18:19], v[20:21]
	v_cndmask_b32_e64 v4, 0, 1, s[2:3]
.LBB1681_102:
	s_or_b64 exec, exec, s[8:9]
	v_or_b32_e32 v1, 0x180, v0
	v_cmp_gt_u32_e64 s[2:3], s48, v1
	s_and_saveexec_b64 s[10:11], s[2:3]
	;; [unrolled: 13-line block ×3, first 2 shown]
	s_cbranch_execz .LBB1681_106
; %bb.105:
	v_lshlrev_b32_e32 v1, 3, v1
	global_load_dwordx2 v[18:19], v1, s[34:35]
	global_load_dwordx2 v[20:21], v1, s[44:45]
	s_waitcnt vmcnt(0)
	v_cmp_neq_f64_e64 s[10:11], v[18:19], v[20:21]
	v_cndmask_b32_e64 v6, 0, 1, s[10:11]
.LBB1681_106:
	s_or_b64 exec, exec, s[12:13]
	v_or_b32_e32 v1, 0x280, v0
	v_cmp_gt_u32_e64 s[10:11], s48, v1
	s_and_saveexec_b64 s[14:15], s[10:11]
	s_cbranch_execz .LBB1681_108
; %bb.107:
	v_lshlrev_b32_e32 v1, 3, v1
	global_load_dwordx2 v[18:19], v1, s[34:35]
	global_load_dwordx2 v[20:21], v1, s[44:45]
	s_waitcnt vmcnt(0)
	v_cmp_neq_f64_e64 s[12:13], v[18:19], v[20:21]
	v_cndmask_b32_e64 v7, 0, 1, s[12:13]
.LBB1681_108:
	s_or_b64 exec, exec, s[14:15]
	v_or_b32_e32 v1, 0x300, v0
	v_cmp_gt_u32_e64 s[12:13], s48, v1
	s_and_saveexec_b64 s[16:17], s[12:13]
	;; [unrolled: 13-line block ×11, first 2 shown]
	s_cbranch_execz .LBB1681_128
; %bb.127:
	v_lshlrev_b32_e32 v1, 3, v1
	global_load_dwordx2 v[18:19], v1, s[34:35]
	global_load_dwordx2 v[20:21], v1, s[44:45]
	s_waitcnt vmcnt(0)
	v_cmp_neq_f64_e64 s[34:35], v[18:19], v[20:21]
	v_cndmask_b32_e64 v17, 0, 1, s[34:35]
.LBB1681_128:
	s_or_b64 exec, exec, s[46:47]
	v_cndmask_b32_e32 v1, 0, v3, vcc
	v_add_u32_e32 v1, v1, v2
	v_cndmask_b32_e64 v2, 0, v4, s[0:1]
	v_cndmask_b32_e64 v3, 0, v5, s[2:3]
	v_add3_u32 v1, v1, v2, v3
	v_cndmask_b32_e64 v2, 0, v6, s[8:9]
	v_cndmask_b32_e64 v3, 0, v7, s[10:11]
	v_add3_u32 v1, v1, v2, v3
	;; [unrolled: 3-line block ×7, first 2 shown]
	v_mbcnt_lo_u32_b32 v2, -1, 0
	v_mbcnt_hi_u32_b32 v2, -1, v2
	v_and_b32_e32 v3, 63, v2
	v_cmp_ne_u32_e32 vcc, 63, v3
	v_addc_co_u32_e32 v4, vcc, 0, v2, vcc
	v_lshlrev_b32_e32 v4, 2, v4
	ds_bpermute_b32 v4, v4, v1
	s_min_u32 s2, s48, 0x80
	v_and_b32_e32 v5, 64, v0
	v_sub_u32_e64 v5, s2, v5 clamp
	v_add_u32_e32 v6, 1, v3
	v_cmp_lt_u32_e32 vcc, v6, v5
	s_waitcnt lgkmcnt(0)
	v_cndmask_b32_e32 v4, 0, v4, vcc
	v_cmp_gt_u32_e32 vcc, 62, v3
	v_add_u32_e32 v1, v1, v4
	v_cndmask_b32_e64 v4, 0, 1, vcc
	v_lshlrev_b32_e32 v4, 1, v4
	v_add_lshl_u32 v4, v4, v2, 2
	ds_bpermute_b32 v4, v4, v1
	v_add_u32_e32 v6, 2, v3
	v_cmp_lt_u32_e32 vcc, v6, v5
	v_add_u32_e32 v6, 4, v3
	s_waitcnt lgkmcnt(0)
	v_cndmask_b32_e32 v4, 0, v4, vcc
	v_cmp_gt_u32_e32 vcc, 60, v3
	v_add_u32_e32 v1, v1, v4
	v_cndmask_b32_e64 v4, 0, 1, vcc
	v_lshlrev_b32_e32 v4, 2, v4
	v_add_lshl_u32 v4, v4, v2, 2
	ds_bpermute_b32 v4, v4, v1
	v_cmp_lt_u32_e32 vcc, v6, v5
	v_add_u32_e32 v6, 8, v3
	s_waitcnt lgkmcnt(0)
	v_cndmask_b32_e32 v4, 0, v4, vcc
	v_cmp_gt_u32_e32 vcc, 56, v3
	v_add_u32_e32 v1, v1, v4
	v_cndmask_b32_e64 v4, 0, 1, vcc
	v_lshlrev_b32_e32 v4, 3, v4
	v_add_lshl_u32 v4, v4, v2, 2
	ds_bpermute_b32 v4, v4, v1
	;; [unrolled: 10-line block ×3, first 2 shown]
	v_cmp_lt_u32_e32 vcc, v6, v5
	s_waitcnt lgkmcnt(0)
	v_cndmask_b32_e32 v4, 0, v4, vcc
	v_cmp_gt_u32_e32 vcc, 32, v3
	v_add_u32_e32 v1, v1, v4
	v_cndmask_b32_e64 v4, 0, 1, vcc
	v_lshlrev_b32_e32 v4, 5, v4
	v_add_lshl_u32 v4, v4, v2, 2
	ds_bpermute_b32 v4, v4, v1
	v_add_u32_e32 v3, 32, v3
	v_cmp_lt_u32_e32 vcc, v3, v5
	s_waitcnt lgkmcnt(0)
	v_cndmask_b32_e32 v3, 0, v4, vcc
	v_add_u32_e32 v1, v1, v3
	v_cmp_eq_u32_e32 vcc, 0, v2
	s_and_saveexec_b64 s[0:1], vcc
	s_cbranch_execz .LBB1681_130
; %bb.129:
	v_lshrrev_b32_e32 v3, 4, v0
	v_and_b32_e32 v3, 4, v3
	ds_write_b32 v3, v1 offset:48
.LBB1681_130:
	s_or_b64 exec, exec, s[0:1]
	v_cmp_gt_u32_e32 vcc, 2, v0
	s_waitcnt lgkmcnt(0)
	s_barrier
	s_and_saveexec_b64 s[0:1], vcc
	s_cbranch_execz .LBB1681_132
; %bb.131:
	v_lshlrev_b32_e32 v1, 2, v2
	ds_read_b32 v3, v1 offset:48
	v_or_b32_e32 v1, 4, v1
	s_add_i32 s2, s2, 63
	v_and_b32_e32 v2, 1, v2
	s_lshr_b32 s2, s2, 6
	s_waitcnt lgkmcnt(0)
	ds_bpermute_b32 v1, v1, v3
	v_add_u32_e32 v2, 1, v2
	v_cmp_gt_u32_e32 vcc, s2, v2
	s_waitcnt lgkmcnt(0)
	v_cndmask_b32_e32 v1, 0, v1, vcc
	v_add_u32_e32 v1, v1, v3
.LBB1681_132:
	s_or_b64 exec, exec, s[0:1]
.LBB1681_133:
	v_cmp_eq_u32_e64 s[0:1], 0, v0
	s_branch .LBB1681_142
.LBB1681_134:
	s_cmp_eq_u32 s33, 8
	s_cbranch_scc0 .LBB1681_141
; %bb.135:
	s_mov_b32 s7, 0
	s_lshl_b32 s0, s6, 10
	s_mov_b32 s1, s7
	s_lshr_b64 s[2:3], s[36:37], 10
	s_lshl_b64 s[8:9], s[0:1], 3
	s_add_u32 s16, s40, s8
	s_addc_u32 s17, s41, s9
	s_add_u32 s18, s42, s8
	s_addc_u32 s19, s43, s9
	s_cmp_lg_u64 s[2:3], s[6:7]
	s_cbranch_scc0 .LBB1681_143
; %bb.136:
	v_lshlrev_b32_e32 v1, 3, v0
	v_mov_b32_e32 v2, s17
	v_add_co_u32_e32 v3, vcc, s16, v1
	v_addc_co_u32_e32 v16, vcc, 0, v2, vcc
	v_mov_b32_e32 v2, s19
	v_add_co_u32_e32 v18, vcc, s18, v1
	v_addc_co_u32_e32 v19, vcc, 0, v2, vcc
	global_load_dwordx2 v[4:5], v1, s[16:17]
	global_load_dwordx2 v[6:7], v1, s[16:17] offset:1024
	global_load_dwordx2 v[8:9], v1, s[16:17] offset:2048
	global_load_dwordx2 v[10:11], v1, s[18:19]
	global_load_dwordx2 v[12:13], v1, s[18:19] offset:1024
	global_load_dwordx2 v[14:15], v1, s[18:19] offset:2048
	s_movk_i32 s1, 0x1000
	v_add_co_u32_e32 v2, vcc, s1, v3
	v_addc_co_u32_e32 v3, vcc, 0, v16, vcc
	global_load_dwordx2 v[16:17], v[2:3], off
	v_add_co_u32_e32 v18, vcc, s1, v18
	v_addc_co_u32_e32 v19, vcc, 0, v19, vcc
	global_load_dwordx2 v[20:21], v[18:19], off
	global_load_dwordx2 v[22:23], v[2:3], off offset:2048
	global_load_dwordx2 v[24:25], v[18:19], off offset:2048
	global_load_dwordx2 v[26:27], v1, s[16:17] offset:3072
	global_load_dwordx2 v[28:29], v1, s[18:19] offset:3072
	global_load_dwordx2 v[30:31], v[2:3], off offset:1024
	global_load_dwordx2 v[32:33], v[18:19], off offset:1024
	;; [unrolled: 1-line block ×4, first 2 shown]
	v_mbcnt_lo_u32_b32 v1, -1, 0
	v_mbcnt_hi_u32_b32 v2, -1, v1
	v_lshlrev_b32_e32 v3, 2, v2
	s_waitcnt vmcnt(12)
	v_cmp_neq_f64_e32 vcc, v[4:5], v[10:11]
	v_cndmask_b32_e64 v1, 0, 1, vcc
	s_waitcnt vmcnt(10)
	v_cmp_neq_f64_e32 vcc, v[8:9], v[14:15]
	v_cndmask_b32_e64 v4, 0, 1, vcc
	v_cmp_neq_f64_e32 vcc, v[6:7], v[12:13]
	v_addc_co_u32_e32 v1, vcc, 0, v1, vcc
	s_waitcnt vmcnt(8)
	v_cmp_neq_f64_e32 vcc, v[16:17], v[20:21]
	v_cndmask_b32_e64 v5, 0, 1, vcc
	s_waitcnt vmcnt(6)
	v_cmp_neq_f64_e32 vcc, v[22:23], v[24:25]
	v_cndmask_b32_e64 v6, 0, 1, vcc
	s_waitcnt vmcnt(4)
	v_cmp_neq_f64_e32 vcc, v[26:27], v[28:29]
	v_addc_co_u32_e32 v1, vcc, v1, v4, vcc
	s_waitcnt vmcnt(2)
	v_cmp_neq_f64_e32 vcc, v[30:31], v[32:33]
	v_addc_co_u32_e32 v1, vcc, v1, v5, vcc
	;; [unrolled: 3-line block ×3, first 2 shown]
	v_or_b32_e32 v4, 0xfc, v3
	s_nop 0
	v_add_u32_dpp v1, v1, v1 quad_perm:[1,0,3,2] row_mask:0xf bank_mask:0xf bound_ctrl:1
	v_cmp_eq_u32_e32 vcc, 0, v2
	s_nop 0
	v_add_u32_dpp v1, v1, v1 quad_perm:[2,3,0,1] row_mask:0xf bank_mask:0xf bound_ctrl:1
	s_nop 1
	v_add_u32_dpp v1, v1, v1 row_ror:4 row_mask:0xf bank_mask:0xf bound_ctrl:1
	s_nop 1
	v_add_u32_dpp v1, v1, v1 row_ror:8 row_mask:0xf bank_mask:0xf bound_ctrl:1
	s_nop 1
	v_add_u32_dpp v1, v1, v1 row_bcast:15 row_mask:0xf bank_mask:0xf bound_ctrl:1
	s_nop 1
	v_add_u32_dpp v1, v1, v1 row_bcast:31 row_mask:0xf bank_mask:0xf bound_ctrl:1
	ds_bpermute_b32 v1, v4, v1
	s_and_saveexec_b64 s[2:3], vcc
	s_cbranch_execz .LBB1681_138
; %bb.137:
	v_lshrrev_b32_e32 v4, 4, v0
	v_and_b32_e32 v4, 4, v4
	s_waitcnt lgkmcnt(0)
	ds_write_b32 v4, v1 offset:40
.LBB1681_138:
	s_or_b64 exec, exec, s[2:3]
	v_cmp_gt_u32_e32 vcc, 64, v0
	s_waitcnt lgkmcnt(0)
	s_barrier
	s_and_saveexec_b64 s[2:3], vcc
	s_cbranch_execz .LBB1681_140
; %bb.139:
	v_and_b32_e32 v1, 1, v2
	v_lshlrev_b32_e32 v1, 2, v1
	ds_read_b32 v1, v1 offset:40
	v_or_b32_e32 v2, 4, v3
	s_waitcnt lgkmcnt(0)
	ds_bpermute_b32 v2, v2, v1
	s_waitcnt lgkmcnt(0)
	v_add_u32_e32 v1, v2, v1
.LBB1681_140:
	s_or_b64 exec, exec, s[2:3]
	s_branch .LBB1681_165
.LBB1681_141:
                                        ; implicit-def: $vgpr1
.LBB1681_142:
	s_branch .LBB1681_224
.LBB1681_143:
                                        ; implicit-def: $vgpr1
	s_cbranch_execz .LBB1681_165
; %bb.144:
	s_sub_i32 s22, s36, s0
	v_cmp_gt_u32_e32 vcc, s22, v0
                                        ; implicit-def: $vgpr2_vgpr3_vgpr4_vgpr5_vgpr6_vgpr7_vgpr8_vgpr9
	s_and_saveexec_b64 s[0:1], vcc
	s_cbranch_execz .LBB1681_146
; %bb.145:
	v_lshlrev_b32_e32 v1, 3, v0
	global_load_dwordx2 v[2:3], v1, s[16:17]
	global_load_dwordx2 v[4:5], v1, s[18:19]
	s_waitcnt vmcnt(0)
	v_cmp_neq_f64_e32 vcc, v[2:3], v[4:5]
	v_cndmask_b32_e64 v2, 0, 1, vcc
.LBB1681_146:
	s_or_b64 exec, exec, s[0:1]
	v_or_b32_e32 v1, 0x80, v0
	v_cmp_gt_u32_e32 vcc, s22, v1
	s_and_saveexec_b64 s[2:3], vcc
	s_cbranch_execz .LBB1681_148
; %bb.147:
	v_lshlrev_b32_e32 v1, 3, v0
	global_load_dwordx2 v[10:11], v1, s[16:17] offset:1024
	global_load_dwordx2 v[12:13], v1, s[18:19] offset:1024
	s_waitcnt vmcnt(0)
	v_cmp_neq_f64_e64 s[0:1], v[10:11], v[12:13]
	v_cndmask_b32_e64 v3, 0, 1, s[0:1]
.LBB1681_148:
	s_or_b64 exec, exec, s[2:3]
	v_or_b32_e32 v1, 0x100, v0
	v_cmp_gt_u32_e64 s[0:1], s22, v1
	s_and_saveexec_b64 s[8:9], s[0:1]
	s_cbranch_execz .LBB1681_150
; %bb.149:
	v_lshlrev_b32_e32 v1, 3, v0
	global_load_dwordx2 v[10:11], v1, s[16:17] offset:2048
	global_load_dwordx2 v[12:13], v1, s[18:19] offset:2048
	s_waitcnt vmcnt(0)
	v_cmp_neq_f64_e64 s[2:3], v[10:11], v[12:13]
	v_cndmask_b32_e64 v4, 0, 1, s[2:3]
.LBB1681_150:
	s_or_b64 exec, exec, s[8:9]
	v_or_b32_e32 v1, 0x180, v0
	v_cmp_gt_u32_e64 s[2:3], s22, v1
	s_and_saveexec_b64 s[10:11], s[2:3]
	;; [unrolled: 13-line block ×3, first 2 shown]
	s_cbranch_execz .LBB1681_154
; %bb.153:
	v_lshlrev_b32_e32 v1, 3, v1
	global_load_dwordx2 v[10:11], v1, s[16:17]
	global_load_dwordx2 v[12:13], v1, s[18:19]
	s_waitcnt vmcnt(0)
	v_cmp_neq_f64_e64 s[10:11], v[10:11], v[12:13]
	v_cndmask_b32_e64 v6, 0, 1, s[10:11]
.LBB1681_154:
	s_or_b64 exec, exec, s[12:13]
	v_or_b32_e32 v1, 0x280, v0
	v_cmp_gt_u32_e64 s[10:11], s22, v1
	s_and_saveexec_b64 s[14:15], s[10:11]
	s_cbranch_execz .LBB1681_156
; %bb.155:
	v_lshlrev_b32_e32 v1, 3, v1
	global_load_dwordx2 v[10:11], v1, s[16:17]
	global_load_dwordx2 v[12:13], v1, s[18:19]
	s_waitcnt vmcnt(0)
	v_cmp_neq_f64_e64 s[12:13], v[10:11], v[12:13]
	v_cndmask_b32_e64 v7, 0, 1, s[12:13]
.LBB1681_156:
	s_or_b64 exec, exec, s[14:15]
	v_or_b32_e32 v1, 0x300, v0
	v_cmp_gt_u32_e64 s[12:13], s22, v1
	s_and_saveexec_b64 s[20:21], s[12:13]
	;; [unrolled: 13-line block ×3, first 2 shown]
	s_cbranch_execz .LBB1681_160
; %bb.159:
	v_lshlrev_b32_e32 v1, 3, v1
	global_load_dwordx2 v[10:11], v1, s[16:17]
	global_load_dwordx2 v[12:13], v1, s[18:19]
	s_waitcnt vmcnt(0)
	v_cmp_neq_f64_e64 s[16:17], v[10:11], v[12:13]
	v_cndmask_b32_e64 v9, 0, 1, s[16:17]
.LBB1681_160:
	s_or_b64 exec, exec, s[20:21]
	v_cndmask_b32_e32 v1, 0, v3, vcc
	v_add_u32_e32 v1, v1, v2
	v_cndmask_b32_e64 v2, 0, v4, s[0:1]
	v_cndmask_b32_e64 v3, 0, v5, s[2:3]
	v_add3_u32 v1, v1, v2, v3
	v_cndmask_b32_e64 v2, 0, v6, s[8:9]
	v_cndmask_b32_e64 v3, 0, v7, s[10:11]
	v_add3_u32 v1, v1, v2, v3
	;; [unrolled: 3-line block ×3, first 2 shown]
	v_mbcnt_lo_u32_b32 v2, -1, 0
	v_mbcnt_hi_u32_b32 v2, -1, v2
	v_and_b32_e32 v3, 63, v2
	v_cmp_ne_u32_e32 vcc, 63, v3
	v_addc_co_u32_e32 v4, vcc, 0, v2, vcc
	v_lshlrev_b32_e32 v4, 2, v4
	ds_bpermute_b32 v4, v4, v1
	s_min_u32 s2, s22, 0x80
	v_and_b32_e32 v5, 64, v0
	v_sub_u32_e64 v5, s2, v5 clamp
	v_add_u32_e32 v6, 1, v3
	v_cmp_lt_u32_e32 vcc, v6, v5
	s_waitcnt lgkmcnt(0)
	v_cndmask_b32_e32 v4, 0, v4, vcc
	v_cmp_gt_u32_e32 vcc, 62, v3
	v_add_u32_e32 v1, v1, v4
	v_cndmask_b32_e64 v4, 0, 1, vcc
	v_lshlrev_b32_e32 v4, 1, v4
	v_add_lshl_u32 v4, v4, v2, 2
	ds_bpermute_b32 v4, v4, v1
	v_add_u32_e32 v6, 2, v3
	v_cmp_lt_u32_e32 vcc, v6, v5
	v_add_u32_e32 v6, 4, v3
	s_waitcnt lgkmcnt(0)
	v_cndmask_b32_e32 v4, 0, v4, vcc
	v_cmp_gt_u32_e32 vcc, 60, v3
	v_add_u32_e32 v1, v1, v4
	v_cndmask_b32_e64 v4, 0, 1, vcc
	v_lshlrev_b32_e32 v4, 2, v4
	v_add_lshl_u32 v4, v4, v2, 2
	ds_bpermute_b32 v4, v4, v1
	v_cmp_lt_u32_e32 vcc, v6, v5
	v_add_u32_e32 v6, 8, v3
	s_waitcnt lgkmcnt(0)
	v_cndmask_b32_e32 v4, 0, v4, vcc
	v_cmp_gt_u32_e32 vcc, 56, v3
	v_add_u32_e32 v1, v1, v4
	v_cndmask_b32_e64 v4, 0, 1, vcc
	v_lshlrev_b32_e32 v4, 3, v4
	v_add_lshl_u32 v4, v4, v2, 2
	ds_bpermute_b32 v4, v4, v1
	;; [unrolled: 10-line block ×3, first 2 shown]
	v_cmp_lt_u32_e32 vcc, v6, v5
	s_waitcnt lgkmcnt(0)
	v_cndmask_b32_e32 v4, 0, v4, vcc
	v_cmp_gt_u32_e32 vcc, 32, v3
	v_add_u32_e32 v1, v1, v4
	v_cndmask_b32_e64 v4, 0, 1, vcc
	v_lshlrev_b32_e32 v4, 5, v4
	v_add_lshl_u32 v4, v4, v2, 2
	ds_bpermute_b32 v4, v4, v1
	v_add_u32_e32 v3, 32, v3
	v_cmp_lt_u32_e32 vcc, v3, v5
	s_waitcnt lgkmcnt(0)
	v_cndmask_b32_e32 v3, 0, v4, vcc
	v_add_u32_e32 v1, v1, v3
	v_cmp_eq_u32_e32 vcc, 0, v2
	s_and_saveexec_b64 s[0:1], vcc
	s_cbranch_execz .LBB1681_162
; %bb.161:
	v_lshrrev_b32_e32 v3, 4, v0
	v_and_b32_e32 v3, 4, v3
	ds_write_b32 v3, v1 offset:48
.LBB1681_162:
	s_or_b64 exec, exec, s[0:1]
	v_cmp_gt_u32_e32 vcc, 2, v0
	s_waitcnt lgkmcnt(0)
	s_barrier
	s_and_saveexec_b64 s[0:1], vcc
	s_cbranch_execz .LBB1681_164
; %bb.163:
	v_lshlrev_b32_e32 v1, 2, v2
	ds_read_b32 v3, v1 offset:48
	v_or_b32_e32 v1, 4, v1
	s_add_i32 s2, s2, 63
	v_and_b32_e32 v2, 1, v2
	s_lshr_b32 s2, s2, 6
	s_waitcnt lgkmcnt(0)
	ds_bpermute_b32 v1, v1, v3
	v_add_u32_e32 v2, 1, v2
	v_cmp_gt_u32_e32 vcc, s2, v2
	s_waitcnt lgkmcnt(0)
	v_cndmask_b32_e32 v1, 0, v1, vcc
	v_add_u32_e32 v1, v1, v3
.LBB1681_164:
	s_or_b64 exec, exec, s[0:1]
.LBB1681_165:
	v_cmp_eq_u32_e64 s[0:1], 0, v0
	s_branch .LBB1681_224
.LBB1681_166:
	s_cmp_gt_i32 s33, 1
	s_cbranch_scc0 .LBB1681_175
; %bb.167:
	s_cmp_gt_i32 s33, 3
	s_cbranch_scc0 .LBB1681_176
; %bb.168:
	s_cmp_eq_u32 s33, 4
	s_cbranch_scc0 .LBB1681_177
; %bb.169:
	s_mov_b32 s7, 0
	s_lshl_b32 s0, s6, 9
	s_mov_b32 s1, s7
	s_lshr_b64 s[2:3], s[36:37], 9
	s_lshl_b64 s[10:11], s[0:1], 3
	s_add_u32 s8, s40, s10
	s_addc_u32 s9, s41, s11
	s_add_u32 s10, s42, s10
	s_addc_u32 s11, s43, s11
	s_cmp_lg_u64 s[2:3], s[6:7]
	s_cbranch_scc0 .LBB1681_179
; %bb.170:
	v_lshlrev_b32_e32 v1, 3, v0
	global_load_dwordx2 v[4:5], v1, s[8:9]
	global_load_dwordx2 v[6:7], v1, s[10:11]
	global_load_dwordx2 v[8:9], v1, s[8:9] offset:2048
	global_load_dwordx2 v[10:11], v1, s[10:11] offset:2048
	;; [unrolled: 1-line block ×6, first 2 shown]
	v_mbcnt_lo_u32_b32 v1, -1, 0
	v_mbcnt_hi_u32_b32 v2, -1, v1
	v_lshlrev_b32_e32 v3, 2, v2
	s_waitcnt vmcnt(6)
	v_cmp_neq_f64_e32 vcc, v[4:5], v[6:7]
	v_cndmask_b32_e64 v1, 0, 1, vcc
	s_waitcnt vmcnt(4)
	v_cmp_neq_f64_e32 vcc, v[8:9], v[10:11]
	v_cndmask_b32_e64 v4, 0, 1, vcc
	s_waitcnt vmcnt(2)
	v_cmp_neq_f64_e32 vcc, v[12:13], v[14:15]
	v_addc_co_u32_e32 v1, vcc, 0, v1, vcc
	s_waitcnt vmcnt(0)
	v_cmp_neq_f64_e32 vcc, v[16:17], v[18:19]
	v_addc_co_u32_e32 v1, vcc, v1, v4, vcc
	v_or_b32_e32 v4, 0xfc, v3
	s_nop 0
	v_add_u32_dpp v1, v1, v1 quad_perm:[1,0,3,2] row_mask:0xf bank_mask:0xf bound_ctrl:1
	v_cmp_eq_u32_e32 vcc, 0, v2
	s_nop 0
	v_add_u32_dpp v1, v1, v1 quad_perm:[2,3,0,1] row_mask:0xf bank_mask:0xf bound_ctrl:1
	s_nop 1
	v_add_u32_dpp v1, v1, v1 row_ror:4 row_mask:0xf bank_mask:0xf bound_ctrl:1
	s_nop 1
	v_add_u32_dpp v1, v1, v1 row_ror:8 row_mask:0xf bank_mask:0xf bound_ctrl:1
	s_nop 1
	v_add_u32_dpp v1, v1, v1 row_bcast:15 row_mask:0xf bank_mask:0xf bound_ctrl:1
	s_nop 1
	v_add_u32_dpp v1, v1, v1 row_bcast:31 row_mask:0xf bank_mask:0xf bound_ctrl:1
	ds_bpermute_b32 v1, v4, v1
	s_and_saveexec_b64 s[2:3], vcc
	s_cbranch_execz .LBB1681_172
; %bb.171:
	v_lshrrev_b32_e32 v4, 4, v0
	v_and_b32_e32 v4, 4, v4
	s_waitcnt lgkmcnt(0)
	ds_write_b32 v4, v1 offset:32
.LBB1681_172:
	s_or_b64 exec, exec, s[2:3]
	v_cmp_gt_u32_e32 vcc, 64, v0
	s_waitcnt lgkmcnt(0)
	s_barrier
	s_and_saveexec_b64 s[2:3], vcc
	s_cbranch_execz .LBB1681_174
; %bb.173:
	v_and_b32_e32 v1, 1, v2
	v_lshlrev_b32_e32 v1, 2, v1
	ds_read_b32 v1, v1 offset:32
	v_or_b32_e32 v2, 4, v3
	s_waitcnt lgkmcnt(0)
	ds_bpermute_b32 v2, v2, v1
	s_waitcnt lgkmcnt(0)
	v_add_u32_e32 v1, v2, v1
.LBB1681_174:
	s_or_b64 exec, exec, s[2:3]
	s_mov_b64 s[2:3], 0
	s_branch .LBB1681_180
.LBB1681_175:
                                        ; implicit-def: $vgpr1
	s_cbranch_execnz .LBB1681_215
	s_branch .LBB1681_224
.LBB1681_176:
                                        ; implicit-def: $vgpr1
	s_cbranch_execz .LBB1681_178
	s_branch .LBB1681_195
.LBB1681_177:
                                        ; implicit-def: $vgpr1
.LBB1681_178:
	s_branch .LBB1681_224
.LBB1681_179:
	s_mov_b64 s[2:3], -1
                                        ; implicit-def: $vgpr1
.LBB1681_180:
	s_and_b64 vcc, exec, s[2:3]
	s_cbranch_vccz .LBB1681_194
; %bb.181:
	s_sub_i32 s14, s36, s0
	v_cmp_gt_u32_e32 vcc, s14, v0
                                        ; implicit-def: $vgpr2_vgpr3_vgpr4_vgpr5
	s_and_saveexec_b64 s[0:1], vcc
	s_cbranch_execz .LBB1681_183
; %bb.182:
	v_lshlrev_b32_e32 v1, 3, v0
	global_load_dwordx2 v[2:3], v1, s[8:9]
	global_load_dwordx2 v[4:5], v1, s[10:11]
	s_waitcnt vmcnt(0)
	v_cmp_neq_f64_e32 vcc, v[2:3], v[4:5]
	v_cndmask_b32_e64 v2, 0, 1, vcc
.LBB1681_183:
	s_or_b64 exec, exec, s[0:1]
	v_or_b32_e32 v1, 0x80, v0
	v_cmp_gt_u32_e32 vcc, s14, v1
	s_and_saveexec_b64 s[2:3], vcc
	s_cbranch_execz .LBB1681_185
; %bb.184:
	v_lshlrev_b32_e32 v1, 3, v0
	global_load_dwordx2 v[6:7], v1, s[8:9] offset:1024
	global_load_dwordx2 v[8:9], v1, s[10:11] offset:1024
	s_waitcnt vmcnt(0)
	v_cmp_neq_f64_e64 s[0:1], v[6:7], v[8:9]
	v_cndmask_b32_e64 v3, 0, 1, s[0:1]
.LBB1681_185:
	s_or_b64 exec, exec, s[2:3]
	v_or_b32_e32 v1, 0x100, v0
	v_cmp_gt_u32_e64 s[0:1], s14, v1
	s_and_saveexec_b64 s[12:13], s[0:1]
	s_cbranch_execz .LBB1681_187
; %bb.186:
	v_lshlrev_b32_e32 v1, 3, v0
	global_load_dwordx2 v[6:7], v1, s[8:9] offset:2048
	global_load_dwordx2 v[8:9], v1, s[10:11] offset:2048
	s_waitcnt vmcnt(0)
	v_cmp_neq_f64_e64 s[2:3], v[6:7], v[8:9]
	v_cndmask_b32_e64 v4, 0, 1, s[2:3]
.LBB1681_187:
	s_or_b64 exec, exec, s[12:13]
	v_or_b32_e32 v1, 0x180, v0
	v_cmp_gt_u32_e64 s[2:3], s14, v1
	s_and_saveexec_b64 s[12:13], s[2:3]
	s_cbranch_execz .LBB1681_189
; %bb.188:
	v_lshlrev_b32_e32 v1, 3, v0
	global_load_dwordx2 v[6:7], v1, s[8:9] offset:3072
	global_load_dwordx2 v[8:9], v1, s[10:11] offset:3072
	s_waitcnt vmcnt(0)
	v_cmp_neq_f64_e64 s[8:9], v[6:7], v[8:9]
	v_cndmask_b32_e64 v5, 0, 1, s[8:9]
.LBB1681_189:
	s_or_b64 exec, exec, s[12:13]
	v_cndmask_b32_e32 v1, 0, v3, vcc
	v_add_u32_e32 v1, v1, v2
	v_cndmask_b32_e64 v2, 0, v4, s[0:1]
	v_cndmask_b32_e64 v3, 0, v5, s[2:3]
	v_add3_u32 v1, v1, v2, v3
	v_mbcnt_lo_u32_b32 v2, -1, 0
	v_mbcnt_hi_u32_b32 v2, -1, v2
	v_and_b32_e32 v3, 63, v2
	v_cmp_ne_u32_e32 vcc, 63, v3
	v_addc_co_u32_e32 v4, vcc, 0, v2, vcc
	v_lshlrev_b32_e32 v4, 2, v4
	ds_bpermute_b32 v4, v4, v1
	s_min_u32 s2, s14, 0x80
	v_and_b32_e32 v5, 64, v0
	v_sub_u32_e64 v5, s2, v5 clamp
	v_add_u32_e32 v6, 1, v3
	v_cmp_lt_u32_e32 vcc, v6, v5
	s_waitcnt lgkmcnt(0)
	v_cndmask_b32_e32 v4, 0, v4, vcc
	v_cmp_gt_u32_e32 vcc, 62, v3
	v_add_u32_e32 v1, v4, v1
	v_cndmask_b32_e64 v4, 0, 1, vcc
	v_lshlrev_b32_e32 v4, 1, v4
	v_add_lshl_u32 v4, v4, v2, 2
	ds_bpermute_b32 v4, v4, v1
	v_add_u32_e32 v6, 2, v3
	v_cmp_lt_u32_e32 vcc, v6, v5
	v_add_u32_e32 v6, 4, v3
	s_waitcnt lgkmcnt(0)
	v_cndmask_b32_e32 v4, 0, v4, vcc
	v_cmp_gt_u32_e32 vcc, 60, v3
	v_add_u32_e32 v1, v1, v4
	v_cndmask_b32_e64 v4, 0, 1, vcc
	v_lshlrev_b32_e32 v4, 2, v4
	v_add_lshl_u32 v4, v4, v2, 2
	ds_bpermute_b32 v4, v4, v1
	v_cmp_lt_u32_e32 vcc, v6, v5
	v_add_u32_e32 v6, 8, v3
	s_waitcnt lgkmcnt(0)
	v_cndmask_b32_e32 v4, 0, v4, vcc
	v_cmp_gt_u32_e32 vcc, 56, v3
	v_add_u32_e32 v1, v1, v4
	v_cndmask_b32_e64 v4, 0, 1, vcc
	v_lshlrev_b32_e32 v4, 3, v4
	v_add_lshl_u32 v4, v4, v2, 2
	ds_bpermute_b32 v4, v4, v1
	;; [unrolled: 10-line block ×3, first 2 shown]
	v_cmp_lt_u32_e32 vcc, v6, v5
	s_waitcnt lgkmcnt(0)
	v_cndmask_b32_e32 v4, 0, v4, vcc
	v_cmp_gt_u32_e32 vcc, 32, v3
	v_add_u32_e32 v1, v1, v4
	v_cndmask_b32_e64 v4, 0, 1, vcc
	v_lshlrev_b32_e32 v4, 5, v4
	v_add_lshl_u32 v4, v4, v2, 2
	ds_bpermute_b32 v4, v4, v1
	v_add_u32_e32 v3, 32, v3
	v_cmp_lt_u32_e32 vcc, v3, v5
	s_waitcnt lgkmcnt(0)
	v_cndmask_b32_e32 v3, 0, v4, vcc
	v_add_u32_e32 v1, v1, v3
	v_cmp_eq_u32_e32 vcc, 0, v2
	s_and_saveexec_b64 s[0:1], vcc
	s_cbranch_execz .LBB1681_191
; %bb.190:
	v_lshrrev_b32_e32 v3, 4, v0
	v_and_b32_e32 v3, 4, v3
	ds_write_b32 v3, v1 offset:48
.LBB1681_191:
	s_or_b64 exec, exec, s[0:1]
	v_cmp_gt_u32_e32 vcc, 2, v0
	s_waitcnt lgkmcnt(0)
	s_barrier
	s_and_saveexec_b64 s[0:1], vcc
	s_cbranch_execz .LBB1681_193
; %bb.192:
	v_lshlrev_b32_e32 v1, 2, v2
	ds_read_b32 v3, v1 offset:48
	v_or_b32_e32 v1, 4, v1
	s_add_i32 s2, s2, 63
	v_and_b32_e32 v2, 1, v2
	s_lshr_b32 s2, s2, 6
	s_waitcnt lgkmcnt(0)
	ds_bpermute_b32 v1, v1, v3
	v_add_u32_e32 v2, 1, v2
	v_cmp_gt_u32_e32 vcc, s2, v2
	s_waitcnt lgkmcnt(0)
	v_cndmask_b32_e32 v1, 0, v1, vcc
	v_add_u32_e32 v1, v1, v3
.LBB1681_193:
	s_or_b64 exec, exec, s[0:1]
.LBB1681_194:
	v_cmp_eq_u32_e64 s[0:1], 0, v0
	s_branch .LBB1681_178
.LBB1681_195:
	s_cmp_eq_u32 s33, 2
	s_cbranch_scc0 .LBB1681_202
; %bb.196:
	s_mov_b32 s7, 0
	s_lshl_b32 s10, s6, 8
	s_mov_b32 s11, s7
	s_lshr_b64 s[0:1], s[36:37], 8
	s_lshl_b64 s[8:9], s[10:11], 3
	s_add_u32 s2, s40, s8
	s_addc_u32 s3, s41, s9
	s_add_u32 s8, s42, s8
	s_addc_u32 s9, s43, s9
	s_cmp_lg_u64 s[0:1], s[6:7]
	s_cbranch_scc0 .LBB1681_203
; %bb.197:
	v_lshlrev_b32_e32 v1, 3, v0
	global_load_dwordx2 v[4:5], v1, s[2:3]
	global_load_dwordx2 v[6:7], v1, s[8:9]
	global_load_dwordx2 v[8:9], v1, s[8:9] offset:1024
	global_load_dwordx2 v[10:11], v1, s[2:3] offset:1024
	v_mbcnt_lo_u32_b32 v1, -1, 0
	v_mbcnt_hi_u32_b32 v2, -1, v1
	v_lshlrev_b32_e32 v3, 2, v2
	s_waitcnt vmcnt(2)
	v_cmp_neq_f64_e32 vcc, v[4:5], v[6:7]
	v_cndmask_b32_e64 v1, 0, 1, vcc
	s_waitcnt vmcnt(0)
	v_cmp_neq_f64_e32 vcc, v[10:11], v[8:9]
	v_addc_co_u32_e64 v4, s[0:1], 0, v1, vcc
	s_nop 1
	v_mov_b32_dpp v4, v4 quad_perm:[1,0,3,2] row_mask:0xf bank_mask:0xf bound_ctrl:1
	v_addc_co_u32_e32 v1, vcc, v4, v1, vcc
	v_or_b32_e32 v4, 0xfc, v3
	s_nop 0
	v_add_u32_dpp v1, v1, v1 quad_perm:[2,3,0,1] row_mask:0xf bank_mask:0xf bound_ctrl:1
	v_cmp_eq_u32_e32 vcc, 0, v2
	s_nop 0
	v_add_u32_dpp v1, v1, v1 row_ror:4 row_mask:0xf bank_mask:0xf bound_ctrl:1
	s_nop 1
	v_add_u32_dpp v1, v1, v1 row_ror:8 row_mask:0xf bank_mask:0xf bound_ctrl:1
	s_nop 1
	v_add_u32_dpp v1, v1, v1 row_bcast:15 row_mask:0xf bank_mask:0xf bound_ctrl:1
	s_nop 1
	v_add_u32_dpp v1, v1, v1 row_bcast:31 row_mask:0xf bank_mask:0xf bound_ctrl:1
	ds_bpermute_b32 v1, v4, v1
	s_and_saveexec_b64 s[0:1], vcc
	s_cbranch_execz .LBB1681_199
; %bb.198:
	v_lshrrev_b32_e32 v4, 4, v0
	v_and_b32_e32 v4, 4, v4
	s_waitcnt lgkmcnt(0)
	ds_write_b32 v4, v1 offset:16
.LBB1681_199:
	s_or_b64 exec, exec, s[0:1]
	v_cmp_gt_u32_e32 vcc, 64, v0
	s_waitcnt lgkmcnt(0)
	s_barrier
	s_and_saveexec_b64 s[0:1], vcc
	s_cbranch_execz .LBB1681_201
; %bb.200:
	v_and_b32_e32 v1, 1, v2
	v_lshlrev_b32_e32 v1, 2, v1
	ds_read_b32 v1, v1 offset:16
	v_or_b32_e32 v2, 4, v3
	s_waitcnt lgkmcnt(0)
	ds_bpermute_b32 v2, v2, v1
	s_waitcnt lgkmcnt(0)
	v_add_u32_e32 v1, v2, v1
.LBB1681_201:
	s_or_b64 exec, exec, s[0:1]
	s_mov_b64 s[0:1], 0
	s_branch .LBB1681_204
.LBB1681_202:
                                        ; implicit-def: $vgpr1
	s_branch .LBB1681_224
.LBB1681_203:
	s_mov_b64 s[0:1], -1
                                        ; implicit-def: $vgpr1
.LBB1681_204:
	s_and_b64 vcc, exec, s[0:1]
	s_cbranch_vccz .LBB1681_214
; %bb.205:
	s_sub_i32 s12, s36, s10
	v_cmp_gt_u32_e32 vcc, s12, v0
                                        ; implicit-def: $vgpr2_vgpr3
	s_and_saveexec_b64 s[0:1], vcc
	s_cbranch_execz .LBB1681_207
; %bb.206:
	v_lshlrev_b32_e32 v1, 3, v0
	global_load_dwordx2 v[2:3], v1, s[2:3]
	global_load_dwordx2 v[4:5], v1, s[8:9]
	s_waitcnt vmcnt(0)
	v_cmp_neq_f64_e32 vcc, v[2:3], v[4:5]
	v_cndmask_b32_e64 v2, 0, 1, vcc
.LBB1681_207:
	s_or_b64 exec, exec, s[0:1]
	v_or_b32_e32 v1, 0x80, v0
	v_cmp_gt_u32_e32 vcc, s12, v1
	s_and_saveexec_b64 s[10:11], vcc
	s_cbranch_execz .LBB1681_209
; %bb.208:
	v_lshlrev_b32_e32 v1, 3, v0
	global_load_dwordx2 v[4:5], v1, s[2:3] offset:1024
	global_load_dwordx2 v[6:7], v1, s[8:9] offset:1024
	s_waitcnt vmcnt(0)
	v_cmp_neq_f64_e64 s[0:1], v[4:5], v[6:7]
	v_cndmask_b32_e64 v3, 0, 1, s[0:1]
.LBB1681_209:
	s_or_b64 exec, exec, s[10:11]
	v_cndmask_b32_e32 v1, 0, v3, vcc
	v_add_u32_e32 v1, v1, v2
	v_mbcnt_lo_u32_b32 v2, -1, 0
	v_mbcnt_hi_u32_b32 v2, -1, v2
	v_and_b32_e32 v3, 63, v2
	v_cmp_ne_u32_e32 vcc, 63, v3
	v_addc_co_u32_e32 v4, vcc, 0, v2, vcc
	v_lshlrev_b32_e32 v4, 2, v4
	ds_bpermute_b32 v4, v4, v1
	s_min_u32 s2, s12, 0x80
	v_and_b32_e32 v5, 64, v0
	v_sub_u32_e64 v5, s2, v5 clamp
	v_add_u32_e32 v6, 1, v3
	v_cmp_lt_u32_e32 vcc, v6, v5
	s_waitcnt lgkmcnt(0)
	v_cndmask_b32_e32 v4, 0, v4, vcc
	v_cmp_gt_u32_e32 vcc, 62, v3
	v_add_u32_e32 v1, v4, v1
	v_cndmask_b32_e64 v4, 0, 1, vcc
	v_lshlrev_b32_e32 v4, 1, v4
	v_add_lshl_u32 v4, v4, v2, 2
	ds_bpermute_b32 v4, v4, v1
	v_add_u32_e32 v6, 2, v3
	v_cmp_lt_u32_e32 vcc, v6, v5
	v_add_u32_e32 v6, 4, v3
	s_waitcnt lgkmcnt(0)
	v_cndmask_b32_e32 v4, 0, v4, vcc
	v_cmp_gt_u32_e32 vcc, 60, v3
	v_add_u32_e32 v1, v1, v4
	v_cndmask_b32_e64 v4, 0, 1, vcc
	v_lshlrev_b32_e32 v4, 2, v4
	v_add_lshl_u32 v4, v4, v2, 2
	ds_bpermute_b32 v4, v4, v1
	v_cmp_lt_u32_e32 vcc, v6, v5
	v_add_u32_e32 v6, 8, v3
	s_waitcnt lgkmcnt(0)
	v_cndmask_b32_e32 v4, 0, v4, vcc
	v_cmp_gt_u32_e32 vcc, 56, v3
	v_add_u32_e32 v1, v1, v4
	v_cndmask_b32_e64 v4, 0, 1, vcc
	v_lshlrev_b32_e32 v4, 3, v4
	v_add_lshl_u32 v4, v4, v2, 2
	ds_bpermute_b32 v4, v4, v1
	;; [unrolled: 10-line block ×3, first 2 shown]
	v_cmp_lt_u32_e32 vcc, v6, v5
	s_waitcnt lgkmcnt(0)
	v_cndmask_b32_e32 v4, 0, v4, vcc
	v_cmp_gt_u32_e32 vcc, 32, v3
	v_add_u32_e32 v1, v1, v4
	v_cndmask_b32_e64 v4, 0, 1, vcc
	v_lshlrev_b32_e32 v4, 5, v4
	v_add_lshl_u32 v4, v4, v2, 2
	ds_bpermute_b32 v4, v4, v1
	v_add_u32_e32 v3, 32, v3
	v_cmp_lt_u32_e32 vcc, v3, v5
	s_waitcnt lgkmcnt(0)
	v_cndmask_b32_e32 v3, 0, v4, vcc
	v_add_u32_e32 v1, v1, v3
	v_cmp_eq_u32_e32 vcc, 0, v2
	s_and_saveexec_b64 s[0:1], vcc
	s_cbranch_execz .LBB1681_211
; %bb.210:
	v_lshrrev_b32_e32 v3, 4, v0
	v_and_b32_e32 v3, 4, v3
	ds_write_b32 v3, v1 offset:48
.LBB1681_211:
	s_or_b64 exec, exec, s[0:1]
	v_cmp_gt_u32_e32 vcc, 2, v0
	s_waitcnt lgkmcnt(0)
	s_barrier
	s_and_saveexec_b64 s[0:1], vcc
	s_cbranch_execz .LBB1681_213
; %bb.212:
	v_lshlrev_b32_e32 v1, 2, v2
	ds_read_b32 v3, v1 offset:48
	v_or_b32_e32 v1, 4, v1
	s_add_i32 s2, s2, 63
	v_and_b32_e32 v2, 1, v2
	s_lshr_b32 s2, s2, 6
	s_waitcnt lgkmcnt(0)
	ds_bpermute_b32 v1, v1, v3
	v_add_u32_e32 v2, 1, v2
	v_cmp_gt_u32_e32 vcc, s2, v2
	s_waitcnt lgkmcnt(0)
	v_cndmask_b32_e32 v1, 0, v1, vcc
	v_add_u32_e32 v1, v1, v3
.LBB1681_213:
	s_or_b64 exec, exec, s[0:1]
.LBB1681_214:
	v_cmp_eq_u32_e64 s[0:1], 0, v0
	s_branch .LBB1681_224
.LBB1681_215:
	s_cmp_eq_u32 s33, 1
	s_cbranch_scc0 .LBB1681_223
; %bb.216:
	s_mov_b32 s3, 0
	s_lshl_b32 s2, s6, 7
	s_mov_b32 s7, s3
	s_lshr_b64 s[0:1], s[36:37], 7
	s_cmp_lg_u64 s[0:1], s[6:7]
	v_mbcnt_lo_u32_b32 v2, -1, 0
	s_cbranch_scc0 .LBB1681_227
; %bb.217:
	s_lshl_b64 s[0:1], s[2:3], 3
	s_add_u32 s8, s40, s0
	s_addc_u32 s9, s41, s1
	s_add_u32 s0, s42, s0
	v_lshlrev_b32_e32 v1, 3, v0
	s_addc_u32 s1, s43, s1
	global_load_dwordx2 v[6:7], v1, s[8:9]
	global_load_dwordx2 v[8:9], v1, s[0:1]
	v_mbcnt_hi_u32_b32 v3, -1, v2
	v_lshlrev_b32_e32 v4, 2, v3
	s_waitcnt vmcnt(0)
	v_cmp_neq_f64_e32 vcc, v[6:7], v[8:9]
	v_cndmask_b32_e64 v1, 0, 1, vcc
	s_nop 1
	v_mov_b32_dpp v1, v1 quad_perm:[1,0,3,2] row_mask:0xf bank_mask:0xf bound_ctrl:1
	v_addc_co_u32_e64 v5, s[0:1], 0, v1, vcc
	s_nop 1
	v_mov_b32_dpp v5, v5 quad_perm:[2,3,0,1] row_mask:0xf bank_mask:0xf bound_ctrl:1
	v_addc_co_u32_e32 v1, vcc, v5, v1, vcc
	v_or_b32_e32 v5, 0xfc, v4
	s_nop 0
	v_add_u32_dpp v1, v1, v1 row_ror:4 row_mask:0xf bank_mask:0xf bound_ctrl:1
	v_cmp_eq_u32_e32 vcc, 0, v3
	s_nop 0
	v_add_u32_dpp v1, v1, v1 row_ror:8 row_mask:0xf bank_mask:0xf bound_ctrl:1
	s_nop 1
	v_add_u32_dpp v1, v1, v1 row_bcast:15 row_mask:0xf bank_mask:0xf bound_ctrl:1
	s_nop 1
	v_add_u32_dpp v1, v1, v1 row_bcast:31 row_mask:0xf bank_mask:0xf bound_ctrl:1
	ds_bpermute_b32 v1, v5, v1
	s_and_saveexec_b64 s[0:1], vcc
	s_cbranch_execz .LBB1681_219
; %bb.218:
	v_lshrrev_b32_e32 v5, 4, v0
	v_and_b32_e32 v5, 4, v5
	s_waitcnt lgkmcnt(0)
	ds_write_b32 v5, v1 offset:8
.LBB1681_219:
	s_or_b64 exec, exec, s[0:1]
	v_cmp_gt_u32_e32 vcc, 64, v0
	s_waitcnt lgkmcnt(0)
	s_barrier
	s_and_saveexec_b64 s[0:1], vcc
	s_cbranch_execz .LBB1681_221
; %bb.220:
	v_and_b32_e32 v1, 1, v3
	v_lshlrev_b32_e32 v1, 2, v1
	ds_read_b32 v1, v1 offset:8
	v_or_b32_e32 v3, 4, v4
	s_waitcnt lgkmcnt(0)
	ds_bpermute_b32 v3, v3, v1
	s_waitcnt lgkmcnt(0)
	v_add_u32_e32 v1, v3, v1
.LBB1681_221:
	s_or_b64 exec, exec, s[0:1]
.LBB1681_222:
	v_cmp_eq_u32_e64 s[0:1], 0, v0
	s_and_saveexec_b64 s[2:3], s[0:1]
	s_cbranch_execnz .LBB1681_225
	s_branch .LBB1681_226
.LBB1681_223:
                                        ; implicit-def: $vgpr1
                                        ; implicit-def: $sgpr6_sgpr7
.LBB1681_224:
	s_and_saveexec_b64 s[2:3], s[0:1]
	s_cbranch_execz .LBB1681_226
.LBB1681_225:
	s_lshl_b64 s[0:1], s[6:7], 2
	s_load_dword s2, s[4:5], 0x30
	s_add_u32 s0, s38, s0
	s_addc_u32 s1, s39, s1
	s_cmp_lg_u64 s[36:37], 0
	s_cselect_b64 vcc, -1, 0
	v_cndmask_b32_e32 v1, 0, v1, vcc
	v_mov_b32_e32 v0, 0
	s_waitcnt lgkmcnt(0)
	v_add_u32_e32 v1, s2, v1
	global_store_dword v0, v1, s[0:1]
.LBB1681_226:
	s_endpgm
.LBB1681_227:
                                        ; implicit-def: $vgpr1
	s_cbranch_execz .LBB1681_222
; %bb.228:
	s_sub_i32 s8, s36, s2
	v_cmp_gt_u32_e32 vcc, s8, v0
                                        ; implicit-def: $vgpr1
	s_and_saveexec_b64 s[0:1], vcc
	s_cbranch_execz .LBB1681_230
; %bb.229:
	s_lshl_b64 s[2:3], s[2:3], 3
	s_add_u32 s10, s40, s2
	s_addc_u32 s11, s41, s3
	v_lshlrev_b32_e32 v1, 3, v0
	s_add_u32 s2, s42, s2
	s_addc_u32 s3, s43, s3
	global_load_dwordx2 v[4:5], v1, s[10:11]
	global_load_dwordx2 v[6:7], v1, s[2:3]
	s_waitcnt vmcnt(0)
	v_cmp_neq_f64_e32 vcc, v[4:5], v[6:7]
	v_cndmask_b32_e64 v1, 0, 1, vcc
.LBB1681_230:
	s_or_b64 exec, exec, s[0:1]
	v_mbcnt_hi_u32_b32 v2, -1, v2
	v_and_b32_e32 v3, 63, v2
	v_cmp_ne_u32_e32 vcc, 63, v3
	v_addc_co_u32_e32 v4, vcc, 0, v2, vcc
	v_lshlrev_b32_e32 v4, 2, v4
	ds_bpermute_b32 v4, v4, v1
	s_min_u32 s2, s8, 0x80
	v_and_b32_e32 v5, 64, v0
	v_sub_u32_e64 v5, s2, v5 clamp
	v_add_u32_e32 v6, 1, v3
	v_cmp_lt_u32_e32 vcc, v6, v5
	s_waitcnt lgkmcnt(0)
	v_cndmask_b32_e32 v4, 0, v4, vcc
	v_cmp_gt_u32_e32 vcc, 62, v3
	v_add_u32_e32 v1, v4, v1
	v_cndmask_b32_e64 v4, 0, 1, vcc
	v_lshlrev_b32_e32 v4, 1, v4
	v_add_lshl_u32 v4, v4, v2, 2
	ds_bpermute_b32 v4, v4, v1
	v_add_u32_e32 v6, 2, v3
	v_cmp_lt_u32_e32 vcc, v6, v5
	v_add_u32_e32 v6, 4, v3
	s_waitcnt lgkmcnt(0)
	v_cndmask_b32_e32 v4, 0, v4, vcc
	v_cmp_gt_u32_e32 vcc, 60, v3
	v_add_u32_e32 v1, v1, v4
	v_cndmask_b32_e64 v4, 0, 1, vcc
	v_lshlrev_b32_e32 v4, 2, v4
	v_add_lshl_u32 v4, v4, v2, 2
	ds_bpermute_b32 v4, v4, v1
	v_cmp_lt_u32_e32 vcc, v6, v5
	v_add_u32_e32 v6, 8, v3
	s_waitcnt lgkmcnt(0)
	v_cndmask_b32_e32 v4, 0, v4, vcc
	v_cmp_gt_u32_e32 vcc, 56, v3
	v_add_u32_e32 v1, v1, v4
	v_cndmask_b32_e64 v4, 0, 1, vcc
	v_lshlrev_b32_e32 v4, 3, v4
	v_add_lshl_u32 v4, v4, v2, 2
	ds_bpermute_b32 v4, v4, v1
	v_cmp_lt_u32_e32 vcc, v6, v5
	v_add_u32_e32 v6, 16, v3
	s_waitcnt lgkmcnt(0)
	v_cndmask_b32_e32 v4, 0, v4, vcc
	v_cmp_gt_u32_e32 vcc, 48, v3
	v_add_u32_e32 v1, v1, v4
	v_cndmask_b32_e64 v4, 0, 1, vcc
	v_lshlrev_b32_e32 v4, 4, v4
	v_add_lshl_u32 v4, v4, v2, 2
	ds_bpermute_b32 v4, v4, v1
	v_cmp_lt_u32_e32 vcc, v6, v5
	s_waitcnt lgkmcnt(0)
	v_cndmask_b32_e32 v4, 0, v4, vcc
	v_cmp_gt_u32_e32 vcc, 32, v3
	v_add_u32_e32 v1, v1, v4
	v_cndmask_b32_e64 v4, 0, 1, vcc
	v_lshlrev_b32_e32 v4, 5, v4
	v_add_lshl_u32 v4, v4, v2, 2
	ds_bpermute_b32 v4, v4, v1
	v_add_u32_e32 v3, 32, v3
	v_cmp_lt_u32_e32 vcc, v3, v5
	s_waitcnt lgkmcnt(0)
	v_cndmask_b32_e32 v3, 0, v4, vcc
	v_add_u32_e32 v1, v1, v3
	v_cmp_eq_u32_e32 vcc, 0, v2
	s_and_saveexec_b64 s[0:1], vcc
	s_cbranch_execz .LBB1681_232
; %bb.231:
	v_lshrrev_b32_e32 v3, 4, v0
	v_and_b32_e32 v3, 4, v3
	ds_write_b32 v3, v1 offset:48
.LBB1681_232:
	s_or_b64 exec, exec, s[0:1]
	v_cmp_gt_u32_e32 vcc, 2, v0
	s_waitcnt lgkmcnt(0)
	s_barrier
	s_and_saveexec_b64 s[0:1], vcc
	s_cbranch_execz .LBB1681_234
; %bb.233:
	v_lshlrev_b32_e32 v1, 2, v2
	ds_read_b32 v3, v1 offset:48
	v_or_b32_e32 v1, 4, v1
	s_add_i32 s2, s2, 63
	v_and_b32_e32 v2, 1, v2
	s_lshr_b32 s2, s2, 6
	s_waitcnt lgkmcnt(0)
	ds_bpermute_b32 v1, v1, v3
	v_add_u32_e32 v2, 1, v2
	v_cmp_gt_u32_e32 vcc, s2, v2
	s_waitcnt lgkmcnt(0)
	v_cndmask_b32_e32 v1, 0, v1, vcc
	v_add_u32_e32 v1, v1, v3
.LBB1681_234:
	s_or_b64 exec, exec, s[0:1]
	v_cmp_eq_u32_e64 s[0:1], 0, v0
	s_and_saveexec_b64 s[2:3], s[0:1]
	s_cbranch_execnz .LBB1681_225
	s_branch .LBB1681_226
	.section	.rodata,"a",@progbits
	.p2align	6, 0x0
	.amdhsa_kernel _ZN7rocprim17ROCPRIM_400000_NS6detail17trampoline_kernelINS0_14default_configENS1_22reduce_config_selectorIiEEZNS1_11reduce_implILb1ES3_N6thrust23THRUST_200600_302600_NS11hip_rocprim35transform_pair_of_input_iterators_tIiPdSB_NS8_12not_equal_toIdEEEEPiiNS8_4plusIiEEEE10hipError_tPvRmT1_T2_T3_mT4_P12ihipStream_tbEUlT_E1_NS1_11comp_targetILNS1_3genE4ELNS1_11target_archE910ELNS1_3gpuE8ELNS1_3repE0EEENS1_30default_config_static_selectorELNS0_4arch9wavefront6targetE1EEEvSL_
		.amdhsa_group_segment_fixed_size 56
		.amdhsa_private_segment_fixed_size 0
		.amdhsa_kernarg_size 56
		.amdhsa_user_sgpr_count 6
		.amdhsa_user_sgpr_private_segment_buffer 1
		.amdhsa_user_sgpr_dispatch_ptr 0
		.amdhsa_user_sgpr_queue_ptr 0
		.amdhsa_user_sgpr_kernarg_segment_ptr 1
		.amdhsa_user_sgpr_dispatch_id 0
		.amdhsa_user_sgpr_flat_scratch_init 0
		.amdhsa_user_sgpr_kernarg_preload_length 0
		.amdhsa_user_sgpr_kernarg_preload_offset 0
		.amdhsa_user_sgpr_private_segment_size 0
		.amdhsa_uses_dynamic_stack 0
		.amdhsa_system_sgpr_private_segment_wavefront_offset 0
		.amdhsa_system_sgpr_workgroup_id_x 1
		.amdhsa_system_sgpr_workgroup_id_y 0
		.amdhsa_system_sgpr_workgroup_id_z 0
		.amdhsa_system_sgpr_workgroup_info 0
		.amdhsa_system_vgpr_workitem_id 0
		.amdhsa_next_free_vgpr 83
		.amdhsa_next_free_sgpr 49
		.amdhsa_accum_offset 84
		.amdhsa_reserve_vcc 1
		.amdhsa_reserve_flat_scratch 0
		.amdhsa_float_round_mode_32 0
		.amdhsa_float_round_mode_16_64 0
		.amdhsa_float_denorm_mode_32 3
		.amdhsa_float_denorm_mode_16_64 3
		.amdhsa_dx10_clamp 1
		.amdhsa_ieee_mode 1
		.amdhsa_fp16_overflow 0
		.amdhsa_tg_split 0
		.amdhsa_exception_fp_ieee_invalid_op 0
		.amdhsa_exception_fp_denorm_src 0
		.amdhsa_exception_fp_ieee_div_zero 0
		.amdhsa_exception_fp_ieee_overflow 0
		.amdhsa_exception_fp_ieee_underflow 0
		.amdhsa_exception_fp_ieee_inexact 0
		.amdhsa_exception_int_div_zero 0
	.end_amdhsa_kernel
	.section	.text._ZN7rocprim17ROCPRIM_400000_NS6detail17trampoline_kernelINS0_14default_configENS1_22reduce_config_selectorIiEEZNS1_11reduce_implILb1ES3_N6thrust23THRUST_200600_302600_NS11hip_rocprim35transform_pair_of_input_iterators_tIiPdSB_NS8_12not_equal_toIdEEEEPiiNS8_4plusIiEEEE10hipError_tPvRmT1_T2_T3_mT4_P12ihipStream_tbEUlT_E1_NS1_11comp_targetILNS1_3genE4ELNS1_11target_archE910ELNS1_3gpuE8ELNS1_3repE0EEENS1_30default_config_static_selectorELNS0_4arch9wavefront6targetE1EEEvSL_,"axG",@progbits,_ZN7rocprim17ROCPRIM_400000_NS6detail17trampoline_kernelINS0_14default_configENS1_22reduce_config_selectorIiEEZNS1_11reduce_implILb1ES3_N6thrust23THRUST_200600_302600_NS11hip_rocprim35transform_pair_of_input_iterators_tIiPdSB_NS8_12not_equal_toIdEEEEPiiNS8_4plusIiEEEE10hipError_tPvRmT1_T2_T3_mT4_P12ihipStream_tbEUlT_E1_NS1_11comp_targetILNS1_3genE4ELNS1_11target_archE910ELNS1_3gpuE8ELNS1_3repE0EEENS1_30default_config_static_selectorELNS0_4arch9wavefront6targetE1EEEvSL_,comdat
.Lfunc_end1681:
	.size	_ZN7rocprim17ROCPRIM_400000_NS6detail17trampoline_kernelINS0_14default_configENS1_22reduce_config_selectorIiEEZNS1_11reduce_implILb1ES3_N6thrust23THRUST_200600_302600_NS11hip_rocprim35transform_pair_of_input_iterators_tIiPdSB_NS8_12not_equal_toIdEEEEPiiNS8_4plusIiEEEE10hipError_tPvRmT1_T2_T3_mT4_P12ihipStream_tbEUlT_E1_NS1_11comp_targetILNS1_3genE4ELNS1_11target_archE910ELNS1_3gpuE8ELNS1_3repE0EEENS1_30default_config_static_selectorELNS0_4arch9wavefront6targetE1EEEvSL_, .Lfunc_end1681-_ZN7rocprim17ROCPRIM_400000_NS6detail17trampoline_kernelINS0_14default_configENS1_22reduce_config_selectorIiEEZNS1_11reduce_implILb1ES3_N6thrust23THRUST_200600_302600_NS11hip_rocprim35transform_pair_of_input_iterators_tIiPdSB_NS8_12not_equal_toIdEEEEPiiNS8_4plusIiEEEE10hipError_tPvRmT1_T2_T3_mT4_P12ihipStream_tbEUlT_E1_NS1_11comp_targetILNS1_3genE4ELNS1_11target_archE910ELNS1_3gpuE8ELNS1_3repE0EEENS1_30default_config_static_selectorELNS0_4arch9wavefront6targetE1EEEvSL_
                                        ; -- End function
	.section	.AMDGPU.csdata,"",@progbits
; Kernel info:
; codeLenInByte = 11500
; NumSgprs: 53
; NumVgprs: 83
; NumAgprs: 0
; TotalNumVgprs: 83
; ScratchSize: 0
; MemoryBound: 1
; FloatMode: 240
; IeeeMode: 1
; LDSByteSize: 56 bytes/workgroup (compile time only)
; SGPRBlocks: 6
; VGPRBlocks: 10
; NumSGPRsForWavesPerEU: 53
; NumVGPRsForWavesPerEU: 83
; AccumOffset: 84
; Occupancy: 5
; WaveLimiterHint : 0
; COMPUTE_PGM_RSRC2:SCRATCH_EN: 0
; COMPUTE_PGM_RSRC2:USER_SGPR: 6
; COMPUTE_PGM_RSRC2:TRAP_HANDLER: 0
; COMPUTE_PGM_RSRC2:TGID_X_EN: 1
; COMPUTE_PGM_RSRC2:TGID_Y_EN: 0
; COMPUTE_PGM_RSRC2:TGID_Z_EN: 0
; COMPUTE_PGM_RSRC2:TIDIG_COMP_CNT: 0
; COMPUTE_PGM_RSRC3_GFX90A:ACCUM_OFFSET: 20
; COMPUTE_PGM_RSRC3_GFX90A:TG_SPLIT: 0
	.section	.text._ZN7rocprim17ROCPRIM_400000_NS6detail17trampoline_kernelINS0_14default_configENS1_22reduce_config_selectorIiEEZNS1_11reduce_implILb1ES3_N6thrust23THRUST_200600_302600_NS11hip_rocprim35transform_pair_of_input_iterators_tIiPdSB_NS8_12not_equal_toIdEEEEPiiNS8_4plusIiEEEE10hipError_tPvRmT1_T2_T3_mT4_P12ihipStream_tbEUlT_E1_NS1_11comp_targetILNS1_3genE3ELNS1_11target_archE908ELNS1_3gpuE7ELNS1_3repE0EEENS1_30default_config_static_selectorELNS0_4arch9wavefront6targetE1EEEvSL_,"axG",@progbits,_ZN7rocprim17ROCPRIM_400000_NS6detail17trampoline_kernelINS0_14default_configENS1_22reduce_config_selectorIiEEZNS1_11reduce_implILb1ES3_N6thrust23THRUST_200600_302600_NS11hip_rocprim35transform_pair_of_input_iterators_tIiPdSB_NS8_12not_equal_toIdEEEEPiiNS8_4plusIiEEEE10hipError_tPvRmT1_T2_T3_mT4_P12ihipStream_tbEUlT_E1_NS1_11comp_targetILNS1_3genE3ELNS1_11target_archE908ELNS1_3gpuE7ELNS1_3repE0EEENS1_30default_config_static_selectorELNS0_4arch9wavefront6targetE1EEEvSL_,comdat
	.protected	_ZN7rocprim17ROCPRIM_400000_NS6detail17trampoline_kernelINS0_14default_configENS1_22reduce_config_selectorIiEEZNS1_11reduce_implILb1ES3_N6thrust23THRUST_200600_302600_NS11hip_rocprim35transform_pair_of_input_iterators_tIiPdSB_NS8_12not_equal_toIdEEEEPiiNS8_4plusIiEEEE10hipError_tPvRmT1_T2_T3_mT4_P12ihipStream_tbEUlT_E1_NS1_11comp_targetILNS1_3genE3ELNS1_11target_archE908ELNS1_3gpuE7ELNS1_3repE0EEENS1_30default_config_static_selectorELNS0_4arch9wavefront6targetE1EEEvSL_ ; -- Begin function _ZN7rocprim17ROCPRIM_400000_NS6detail17trampoline_kernelINS0_14default_configENS1_22reduce_config_selectorIiEEZNS1_11reduce_implILb1ES3_N6thrust23THRUST_200600_302600_NS11hip_rocprim35transform_pair_of_input_iterators_tIiPdSB_NS8_12not_equal_toIdEEEEPiiNS8_4plusIiEEEE10hipError_tPvRmT1_T2_T3_mT4_P12ihipStream_tbEUlT_E1_NS1_11comp_targetILNS1_3genE3ELNS1_11target_archE908ELNS1_3gpuE7ELNS1_3repE0EEENS1_30default_config_static_selectorELNS0_4arch9wavefront6targetE1EEEvSL_
	.globl	_ZN7rocprim17ROCPRIM_400000_NS6detail17trampoline_kernelINS0_14default_configENS1_22reduce_config_selectorIiEEZNS1_11reduce_implILb1ES3_N6thrust23THRUST_200600_302600_NS11hip_rocprim35transform_pair_of_input_iterators_tIiPdSB_NS8_12not_equal_toIdEEEEPiiNS8_4plusIiEEEE10hipError_tPvRmT1_T2_T3_mT4_P12ihipStream_tbEUlT_E1_NS1_11comp_targetILNS1_3genE3ELNS1_11target_archE908ELNS1_3gpuE7ELNS1_3repE0EEENS1_30default_config_static_selectorELNS0_4arch9wavefront6targetE1EEEvSL_
	.p2align	8
	.type	_ZN7rocprim17ROCPRIM_400000_NS6detail17trampoline_kernelINS0_14default_configENS1_22reduce_config_selectorIiEEZNS1_11reduce_implILb1ES3_N6thrust23THRUST_200600_302600_NS11hip_rocprim35transform_pair_of_input_iterators_tIiPdSB_NS8_12not_equal_toIdEEEEPiiNS8_4plusIiEEEE10hipError_tPvRmT1_T2_T3_mT4_P12ihipStream_tbEUlT_E1_NS1_11comp_targetILNS1_3genE3ELNS1_11target_archE908ELNS1_3gpuE7ELNS1_3repE0EEENS1_30default_config_static_selectorELNS0_4arch9wavefront6targetE1EEEvSL_,@function
_ZN7rocprim17ROCPRIM_400000_NS6detail17trampoline_kernelINS0_14default_configENS1_22reduce_config_selectorIiEEZNS1_11reduce_implILb1ES3_N6thrust23THRUST_200600_302600_NS11hip_rocprim35transform_pair_of_input_iterators_tIiPdSB_NS8_12not_equal_toIdEEEEPiiNS8_4plusIiEEEE10hipError_tPvRmT1_T2_T3_mT4_P12ihipStream_tbEUlT_E1_NS1_11comp_targetILNS1_3genE3ELNS1_11target_archE908ELNS1_3gpuE7ELNS1_3repE0EEENS1_30default_config_static_selectorELNS0_4arch9wavefront6targetE1EEEvSL_: ; @_ZN7rocprim17ROCPRIM_400000_NS6detail17trampoline_kernelINS0_14default_configENS1_22reduce_config_selectorIiEEZNS1_11reduce_implILb1ES3_N6thrust23THRUST_200600_302600_NS11hip_rocprim35transform_pair_of_input_iterators_tIiPdSB_NS8_12not_equal_toIdEEEEPiiNS8_4plusIiEEEE10hipError_tPvRmT1_T2_T3_mT4_P12ihipStream_tbEUlT_E1_NS1_11comp_targetILNS1_3genE3ELNS1_11target_archE908ELNS1_3gpuE7ELNS1_3repE0EEENS1_30default_config_static_selectorELNS0_4arch9wavefront6targetE1EEEvSL_
; %bb.0:
	.section	.rodata,"a",@progbits
	.p2align	6, 0x0
	.amdhsa_kernel _ZN7rocprim17ROCPRIM_400000_NS6detail17trampoline_kernelINS0_14default_configENS1_22reduce_config_selectorIiEEZNS1_11reduce_implILb1ES3_N6thrust23THRUST_200600_302600_NS11hip_rocprim35transform_pair_of_input_iterators_tIiPdSB_NS8_12not_equal_toIdEEEEPiiNS8_4plusIiEEEE10hipError_tPvRmT1_T2_T3_mT4_P12ihipStream_tbEUlT_E1_NS1_11comp_targetILNS1_3genE3ELNS1_11target_archE908ELNS1_3gpuE7ELNS1_3repE0EEENS1_30default_config_static_selectorELNS0_4arch9wavefront6targetE1EEEvSL_
		.amdhsa_group_segment_fixed_size 0
		.amdhsa_private_segment_fixed_size 0
		.amdhsa_kernarg_size 56
		.amdhsa_user_sgpr_count 6
		.amdhsa_user_sgpr_private_segment_buffer 1
		.amdhsa_user_sgpr_dispatch_ptr 0
		.amdhsa_user_sgpr_queue_ptr 0
		.amdhsa_user_sgpr_kernarg_segment_ptr 1
		.amdhsa_user_sgpr_dispatch_id 0
		.amdhsa_user_sgpr_flat_scratch_init 0
		.amdhsa_user_sgpr_kernarg_preload_length 0
		.amdhsa_user_sgpr_kernarg_preload_offset 0
		.amdhsa_user_sgpr_private_segment_size 0
		.amdhsa_uses_dynamic_stack 0
		.amdhsa_system_sgpr_private_segment_wavefront_offset 0
		.amdhsa_system_sgpr_workgroup_id_x 1
		.amdhsa_system_sgpr_workgroup_id_y 0
		.amdhsa_system_sgpr_workgroup_id_z 0
		.amdhsa_system_sgpr_workgroup_info 0
		.amdhsa_system_vgpr_workitem_id 0
		.amdhsa_next_free_vgpr 1
		.amdhsa_next_free_sgpr 0
		.amdhsa_accum_offset 4
		.amdhsa_reserve_vcc 0
		.amdhsa_reserve_flat_scratch 0
		.amdhsa_float_round_mode_32 0
		.amdhsa_float_round_mode_16_64 0
		.amdhsa_float_denorm_mode_32 3
		.amdhsa_float_denorm_mode_16_64 3
		.amdhsa_dx10_clamp 1
		.amdhsa_ieee_mode 1
		.amdhsa_fp16_overflow 0
		.amdhsa_tg_split 0
		.amdhsa_exception_fp_ieee_invalid_op 0
		.amdhsa_exception_fp_denorm_src 0
		.amdhsa_exception_fp_ieee_div_zero 0
		.amdhsa_exception_fp_ieee_overflow 0
		.amdhsa_exception_fp_ieee_underflow 0
		.amdhsa_exception_fp_ieee_inexact 0
		.amdhsa_exception_int_div_zero 0
	.end_amdhsa_kernel
	.section	.text._ZN7rocprim17ROCPRIM_400000_NS6detail17trampoline_kernelINS0_14default_configENS1_22reduce_config_selectorIiEEZNS1_11reduce_implILb1ES3_N6thrust23THRUST_200600_302600_NS11hip_rocprim35transform_pair_of_input_iterators_tIiPdSB_NS8_12not_equal_toIdEEEEPiiNS8_4plusIiEEEE10hipError_tPvRmT1_T2_T3_mT4_P12ihipStream_tbEUlT_E1_NS1_11comp_targetILNS1_3genE3ELNS1_11target_archE908ELNS1_3gpuE7ELNS1_3repE0EEENS1_30default_config_static_selectorELNS0_4arch9wavefront6targetE1EEEvSL_,"axG",@progbits,_ZN7rocprim17ROCPRIM_400000_NS6detail17trampoline_kernelINS0_14default_configENS1_22reduce_config_selectorIiEEZNS1_11reduce_implILb1ES3_N6thrust23THRUST_200600_302600_NS11hip_rocprim35transform_pair_of_input_iterators_tIiPdSB_NS8_12not_equal_toIdEEEEPiiNS8_4plusIiEEEE10hipError_tPvRmT1_T2_T3_mT4_P12ihipStream_tbEUlT_E1_NS1_11comp_targetILNS1_3genE3ELNS1_11target_archE908ELNS1_3gpuE7ELNS1_3repE0EEENS1_30default_config_static_selectorELNS0_4arch9wavefront6targetE1EEEvSL_,comdat
.Lfunc_end1682:
	.size	_ZN7rocprim17ROCPRIM_400000_NS6detail17trampoline_kernelINS0_14default_configENS1_22reduce_config_selectorIiEEZNS1_11reduce_implILb1ES3_N6thrust23THRUST_200600_302600_NS11hip_rocprim35transform_pair_of_input_iterators_tIiPdSB_NS8_12not_equal_toIdEEEEPiiNS8_4plusIiEEEE10hipError_tPvRmT1_T2_T3_mT4_P12ihipStream_tbEUlT_E1_NS1_11comp_targetILNS1_3genE3ELNS1_11target_archE908ELNS1_3gpuE7ELNS1_3repE0EEENS1_30default_config_static_selectorELNS0_4arch9wavefront6targetE1EEEvSL_, .Lfunc_end1682-_ZN7rocprim17ROCPRIM_400000_NS6detail17trampoline_kernelINS0_14default_configENS1_22reduce_config_selectorIiEEZNS1_11reduce_implILb1ES3_N6thrust23THRUST_200600_302600_NS11hip_rocprim35transform_pair_of_input_iterators_tIiPdSB_NS8_12not_equal_toIdEEEEPiiNS8_4plusIiEEEE10hipError_tPvRmT1_T2_T3_mT4_P12ihipStream_tbEUlT_E1_NS1_11comp_targetILNS1_3genE3ELNS1_11target_archE908ELNS1_3gpuE7ELNS1_3repE0EEENS1_30default_config_static_selectorELNS0_4arch9wavefront6targetE1EEEvSL_
                                        ; -- End function
	.section	.AMDGPU.csdata,"",@progbits
; Kernel info:
; codeLenInByte = 0
; NumSgprs: 4
; NumVgprs: 0
; NumAgprs: 0
; TotalNumVgprs: 0
; ScratchSize: 0
; MemoryBound: 0
; FloatMode: 240
; IeeeMode: 1
; LDSByteSize: 0 bytes/workgroup (compile time only)
; SGPRBlocks: 0
; VGPRBlocks: 0
; NumSGPRsForWavesPerEU: 4
; NumVGPRsForWavesPerEU: 1
; AccumOffset: 4
; Occupancy: 8
; WaveLimiterHint : 0
; COMPUTE_PGM_RSRC2:SCRATCH_EN: 0
; COMPUTE_PGM_RSRC2:USER_SGPR: 6
; COMPUTE_PGM_RSRC2:TRAP_HANDLER: 0
; COMPUTE_PGM_RSRC2:TGID_X_EN: 1
; COMPUTE_PGM_RSRC2:TGID_Y_EN: 0
; COMPUTE_PGM_RSRC2:TGID_Z_EN: 0
; COMPUTE_PGM_RSRC2:TIDIG_COMP_CNT: 0
; COMPUTE_PGM_RSRC3_GFX90A:ACCUM_OFFSET: 0
; COMPUTE_PGM_RSRC3_GFX90A:TG_SPLIT: 0
	.section	.text._ZN7rocprim17ROCPRIM_400000_NS6detail17trampoline_kernelINS0_14default_configENS1_22reduce_config_selectorIiEEZNS1_11reduce_implILb1ES3_N6thrust23THRUST_200600_302600_NS11hip_rocprim35transform_pair_of_input_iterators_tIiPdSB_NS8_12not_equal_toIdEEEEPiiNS8_4plusIiEEEE10hipError_tPvRmT1_T2_T3_mT4_P12ihipStream_tbEUlT_E1_NS1_11comp_targetILNS1_3genE2ELNS1_11target_archE906ELNS1_3gpuE6ELNS1_3repE0EEENS1_30default_config_static_selectorELNS0_4arch9wavefront6targetE1EEEvSL_,"axG",@progbits,_ZN7rocprim17ROCPRIM_400000_NS6detail17trampoline_kernelINS0_14default_configENS1_22reduce_config_selectorIiEEZNS1_11reduce_implILb1ES3_N6thrust23THRUST_200600_302600_NS11hip_rocprim35transform_pair_of_input_iterators_tIiPdSB_NS8_12not_equal_toIdEEEEPiiNS8_4plusIiEEEE10hipError_tPvRmT1_T2_T3_mT4_P12ihipStream_tbEUlT_E1_NS1_11comp_targetILNS1_3genE2ELNS1_11target_archE906ELNS1_3gpuE6ELNS1_3repE0EEENS1_30default_config_static_selectorELNS0_4arch9wavefront6targetE1EEEvSL_,comdat
	.protected	_ZN7rocprim17ROCPRIM_400000_NS6detail17trampoline_kernelINS0_14default_configENS1_22reduce_config_selectorIiEEZNS1_11reduce_implILb1ES3_N6thrust23THRUST_200600_302600_NS11hip_rocprim35transform_pair_of_input_iterators_tIiPdSB_NS8_12not_equal_toIdEEEEPiiNS8_4plusIiEEEE10hipError_tPvRmT1_T2_T3_mT4_P12ihipStream_tbEUlT_E1_NS1_11comp_targetILNS1_3genE2ELNS1_11target_archE906ELNS1_3gpuE6ELNS1_3repE0EEENS1_30default_config_static_selectorELNS0_4arch9wavefront6targetE1EEEvSL_ ; -- Begin function _ZN7rocprim17ROCPRIM_400000_NS6detail17trampoline_kernelINS0_14default_configENS1_22reduce_config_selectorIiEEZNS1_11reduce_implILb1ES3_N6thrust23THRUST_200600_302600_NS11hip_rocprim35transform_pair_of_input_iterators_tIiPdSB_NS8_12not_equal_toIdEEEEPiiNS8_4plusIiEEEE10hipError_tPvRmT1_T2_T3_mT4_P12ihipStream_tbEUlT_E1_NS1_11comp_targetILNS1_3genE2ELNS1_11target_archE906ELNS1_3gpuE6ELNS1_3repE0EEENS1_30default_config_static_selectorELNS0_4arch9wavefront6targetE1EEEvSL_
	.globl	_ZN7rocprim17ROCPRIM_400000_NS6detail17trampoline_kernelINS0_14default_configENS1_22reduce_config_selectorIiEEZNS1_11reduce_implILb1ES3_N6thrust23THRUST_200600_302600_NS11hip_rocprim35transform_pair_of_input_iterators_tIiPdSB_NS8_12not_equal_toIdEEEEPiiNS8_4plusIiEEEE10hipError_tPvRmT1_T2_T3_mT4_P12ihipStream_tbEUlT_E1_NS1_11comp_targetILNS1_3genE2ELNS1_11target_archE906ELNS1_3gpuE6ELNS1_3repE0EEENS1_30default_config_static_selectorELNS0_4arch9wavefront6targetE1EEEvSL_
	.p2align	8
	.type	_ZN7rocprim17ROCPRIM_400000_NS6detail17trampoline_kernelINS0_14default_configENS1_22reduce_config_selectorIiEEZNS1_11reduce_implILb1ES3_N6thrust23THRUST_200600_302600_NS11hip_rocprim35transform_pair_of_input_iterators_tIiPdSB_NS8_12not_equal_toIdEEEEPiiNS8_4plusIiEEEE10hipError_tPvRmT1_T2_T3_mT4_P12ihipStream_tbEUlT_E1_NS1_11comp_targetILNS1_3genE2ELNS1_11target_archE906ELNS1_3gpuE6ELNS1_3repE0EEENS1_30default_config_static_selectorELNS0_4arch9wavefront6targetE1EEEvSL_,@function
_ZN7rocprim17ROCPRIM_400000_NS6detail17trampoline_kernelINS0_14default_configENS1_22reduce_config_selectorIiEEZNS1_11reduce_implILb1ES3_N6thrust23THRUST_200600_302600_NS11hip_rocprim35transform_pair_of_input_iterators_tIiPdSB_NS8_12not_equal_toIdEEEEPiiNS8_4plusIiEEEE10hipError_tPvRmT1_T2_T3_mT4_P12ihipStream_tbEUlT_E1_NS1_11comp_targetILNS1_3genE2ELNS1_11target_archE906ELNS1_3gpuE6ELNS1_3repE0EEENS1_30default_config_static_selectorELNS0_4arch9wavefront6targetE1EEEvSL_: ; @_ZN7rocprim17ROCPRIM_400000_NS6detail17trampoline_kernelINS0_14default_configENS1_22reduce_config_selectorIiEEZNS1_11reduce_implILb1ES3_N6thrust23THRUST_200600_302600_NS11hip_rocprim35transform_pair_of_input_iterators_tIiPdSB_NS8_12not_equal_toIdEEEEPiiNS8_4plusIiEEEE10hipError_tPvRmT1_T2_T3_mT4_P12ihipStream_tbEUlT_E1_NS1_11comp_targetILNS1_3genE2ELNS1_11target_archE906ELNS1_3gpuE6ELNS1_3repE0EEENS1_30default_config_static_selectorELNS0_4arch9wavefront6targetE1EEEvSL_
; %bb.0:
	.section	.rodata,"a",@progbits
	.p2align	6, 0x0
	.amdhsa_kernel _ZN7rocprim17ROCPRIM_400000_NS6detail17trampoline_kernelINS0_14default_configENS1_22reduce_config_selectorIiEEZNS1_11reduce_implILb1ES3_N6thrust23THRUST_200600_302600_NS11hip_rocprim35transform_pair_of_input_iterators_tIiPdSB_NS8_12not_equal_toIdEEEEPiiNS8_4plusIiEEEE10hipError_tPvRmT1_T2_T3_mT4_P12ihipStream_tbEUlT_E1_NS1_11comp_targetILNS1_3genE2ELNS1_11target_archE906ELNS1_3gpuE6ELNS1_3repE0EEENS1_30default_config_static_selectorELNS0_4arch9wavefront6targetE1EEEvSL_
		.amdhsa_group_segment_fixed_size 0
		.amdhsa_private_segment_fixed_size 0
		.amdhsa_kernarg_size 56
		.amdhsa_user_sgpr_count 6
		.amdhsa_user_sgpr_private_segment_buffer 1
		.amdhsa_user_sgpr_dispatch_ptr 0
		.amdhsa_user_sgpr_queue_ptr 0
		.amdhsa_user_sgpr_kernarg_segment_ptr 1
		.amdhsa_user_sgpr_dispatch_id 0
		.amdhsa_user_sgpr_flat_scratch_init 0
		.amdhsa_user_sgpr_kernarg_preload_length 0
		.amdhsa_user_sgpr_kernarg_preload_offset 0
		.amdhsa_user_sgpr_private_segment_size 0
		.amdhsa_uses_dynamic_stack 0
		.amdhsa_system_sgpr_private_segment_wavefront_offset 0
		.amdhsa_system_sgpr_workgroup_id_x 1
		.amdhsa_system_sgpr_workgroup_id_y 0
		.amdhsa_system_sgpr_workgroup_id_z 0
		.amdhsa_system_sgpr_workgroup_info 0
		.amdhsa_system_vgpr_workitem_id 0
		.amdhsa_next_free_vgpr 1
		.amdhsa_next_free_sgpr 0
		.amdhsa_accum_offset 4
		.amdhsa_reserve_vcc 0
		.amdhsa_reserve_flat_scratch 0
		.amdhsa_float_round_mode_32 0
		.amdhsa_float_round_mode_16_64 0
		.amdhsa_float_denorm_mode_32 3
		.amdhsa_float_denorm_mode_16_64 3
		.amdhsa_dx10_clamp 1
		.amdhsa_ieee_mode 1
		.amdhsa_fp16_overflow 0
		.amdhsa_tg_split 0
		.amdhsa_exception_fp_ieee_invalid_op 0
		.amdhsa_exception_fp_denorm_src 0
		.amdhsa_exception_fp_ieee_div_zero 0
		.amdhsa_exception_fp_ieee_overflow 0
		.amdhsa_exception_fp_ieee_underflow 0
		.amdhsa_exception_fp_ieee_inexact 0
		.amdhsa_exception_int_div_zero 0
	.end_amdhsa_kernel
	.section	.text._ZN7rocprim17ROCPRIM_400000_NS6detail17trampoline_kernelINS0_14default_configENS1_22reduce_config_selectorIiEEZNS1_11reduce_implILb1ES3_N6thrust23THRUST_200600_302600_NS11hip_rocprim35transform_pair_of_input_iterators_tIiPdSB_NS8_12not_equal_toIdEEEEPiiNS8_4plusIiEEEE10hipError_tPvRmT1_T2_T3_mT4_P12ihipStream_tbEUlT_E1_NS1_11comp_targetILNS1_3genE2ELNS1_11target_archE906ELNS1_3gpuE6ELNS1_3repE0EEENS1_30default_config_static_selectorELNS0_4arch9wavefront6targetE1EEEvSL_,"axG",@progbits,_ZN7rocprim17ROCPRIM_400000_NS6detail17trampoline_kernelINS0_14default_configENS1_22reduce_config_selectorIiEEZNS1_11reduce_implILb1ES3_N6thrust23THRUST_200600_302600_NS11hip_rocprim35transform_pair_of_input_iterators_tIiPdSB_NS8_12not_equal_toIdEEEEPiiNS8_4plusIiEEEE10hipError_tPvRmT1_T2_T3_mT4_P12ihipStream_tbEUlT_E1_NS1_11comp_targetILNS1_3genE2ELNS1_11target_archE906ELNS1_3gpuE6ELNS1_3repE0EEENS1_30default_config_static_selectorELNS0_4arch9wavefront6targetE1EEEvSL_,comdat
.Lfunc_end1683:
	.size	_ZN7rocprim17ROCPRIM_400000_NS6detail17trampoline_kernelINS0_14default_configENS1_22reduce_config_selectorIiEEZNS1_11reduce_implILb1ES3_N6thrust23THRUST_200600_302600_NS11hip_rocprim35transform_pair_of_input_iterators_tIiPdSB_NS8_12not_equal_toIdEEEEPiiNS8_4plusIiEEEE10hipError_tPvRmT1_T2_T3_mT4_P12ihipStream_tbEUlT_E1_NS1_11comp_targetILNS1_3genE2ELNS1_11target_archE906ELNS1_3gpuE6ELNS1_3repE0EEENS1_30default_config_static_selectorELNS0_4arch9wavefront6targetE1EEEvSL_, .Lfunc_end1683-_ZN7rocprim17ROCPRIM_400000_NS6detail17trampoline_kernelINS0_14default_configENS1_22reduce_config_selectorIiEEZNS1_11reduce_implILb1ES3_N6thrust23THRUST_200600_302600_NS11hip_rocprim35transform_pair_of_input_iterators_tIiPdSB_NS8_12not_equal_toIdEEEEPiiNS8_4plusIiEEEE10hipError_tPvRmT1_T2_T3_mT4_P12ihipStream_tbEUlT_E1_NS1_11comp_targetILNS1_3genE2ELNS1_11target_archE906ELNS1_3gpuE6ELNS1_3repE0EEENS1_30default_config_static_selectorELNS0_4arch9wavefront6targetE1EEEvSL_
                                        ; -- End function
	.section	.AMDGPU.csdata,"",@progbits
; Kernel info:
; codeLenInByte = 0
; NumSgprs: 4
; NumVgprs: 0
; NumAgprs: 0
; TotalNumVgprs: 0
; ScratchSize: 0
; MemoryBound: 0
; FloatMode: 240
; IeeeMode: 1
; LDSByteSize: 0 bytes/workgroup (compile time only)
; SGPRBlocks: 0
; VGPRBlocks: 0
; NumSGPRsForWavesPerEU: 4
; NumVGPRsForWavesPerEU: 1
; AccumOffset: 4
; Occupancy: 8
; WaveLimiterHint : 0
; COMPUTE_PGM_RSRC2:SCRATCH_EN: 0
; COMPUTE_PGM_RSRC2:USER_SGPR: 6
; COMPUTE_PGM_RSRC2:TRAP_HANDLER: 0
; COMPUTE_PGM_RSRC2:TGID_X_EN: 1
; COMPUTE_PGM_RSRC2:TGID_Y_EN: 0
; COMPUTE_PGM_RSRC2:TGID_Z_EN: 0
; COMPUTE_PGM_RSRC2:TIDIG_COMP_CNT: 0
; COMPUTE_PGM_RSRC3_GFX90A:ACCUM_OFFSET: 0
; COMPUTE_PGM_RSRC3_GFX90A:TG_SPLIT: 0
	.section	.text._ZN7rocprim17ROCPRIM_400000_NS6detail17trampoline_kernelINS0_14default_configENS1_22reduce_config_selectorIiEEZNS1_11reduce_implILb1ES3_N6thrust23THRUST_200600_302600_NS11hip_rocprim35transform_pair_of_input_iterators_tIiPdSB_NS8_12not_equal_toIdEEEEPiiNS8_4plusIiEEEE10hipError_tPvRmT1_T2_T3_mT4_P12ihipStream_tbEUlT_E1_NS1_11comp_targetILNS1_3genE10ELNS1_11target_archE1201ELNS1_3gpuE5ELNS1_3repE0EEENS1_30default_config_static_selectorELNS0_4arch9wavefront6targetE1EEEvSL_,"axG",@progbits,_ZN7rocprim17ROCPRIM_400000_NS6detail17trampoline_kernelINS0_14default_configENS1_22reduce_config_selectorIiEEZNS1_11reduce_implILb1ES3_N6thrust23THRUST_200600_302600_NS11hip_rocprim35transform_pair_of_input_iterators_tIiPdSB_NS8_12not_equal_toIdEEEEPiiNS8_4plusIiEEEE10hipError_tPvRmT1_T2_T3_mT4_P12ihipStream_tbEUlT_E1_NS1_11comp_targetILNS1_3genE10ELNS1_11target_archE1201ELNS1_3gpuE5ELNS1_3repE0EEENS1_30default_config_static_selectorELNS0_4arch9wavefront6targetE1EEEvSL_,comdat
	.protected	_ZN7rocprim17ROCPRIM_400000_NS6detail17trampoline_kernelINS0_14default_configENS1_22reduce_config_selectorIiEEZNS1_11reduce_implILb1ES3_N6thrust23THRUST_200600_302600_NS11hip_rocprim35transform_pair_of_input_iterators_tIiPdSB_NS8_12not_equal_toIdEEEEPiiNS8_4plusIiEEEE10hipError_tPvRmT1_T2_T3_mT4_P12ihipStream_tbEUlT_E1_NS1_11comp_targetILNS1_3genE10ELNS1_11target_archE1201ELNS1_3gpuE5ELNS1_3repE0EEENS1_30default_config_static_selectorELNS0_4arch9wavefront6targetE1EEEvSL_ ; -- Begin function _ZN7rocprim17ROCPRIM_400000_NS6detail17trampoline_kernelINS0_14default_configENS1_22reduce_config_selectorIiEEZNS1_11reduce_implILb1ES3_N6thrust23THRUST_200600_302600_NS11hip_rocprim35transform_pair_of_input_iterators_tIiPdSB_NS8_12not_equal_toIdEEEEPiiNS8_4plusIiEEEE10hipError_tPvRmT1_T2_T3_mT4_P12ihipStream_tbEUlT_E1_NS1_11comp_targetILNS1_3genE10ELNS1_11target_archE1201ELNS1_3gpuE5ELNS1_3repE0EEENS1_30default_config_static_selectorELNS0_4arch9wavefront6targetE1EEEvSL_
	.globl	_ZN7rocprim17ROCPRIM_400000_NS6detail17trampoline_kernelINS0_14default_configENS1_22reduce_config_selectorIiEEZNS1_11reduce_implILb1ES3_N6thrust23THRUST_200600_302600_NS11hip_rocprim35transform_pair_of_input_iterators_tIiPdSB_NS8_12not_equal_toIdEEEEPiiNS8_4plusIiEEEE10hipError_tPvRmT1_T2_T3_mT4_P12ihipStream_tbEUlT_E1_NS1_11comp_targetILNS1_3genE10ELNS1_11target_archE1201ELNS1_3gpuE5ELNS1_3repE0EEENS1_30default_config_static_selectorELNS0_4arch9wavefront6targetE1EEEvSL_
	.p2align	8
	.type	_ZN7rocprim17ROCPRIM_400000_NS6detail17trampoline_kernelINS0_14default_configENS1_22reduce_config_selectorIiEEZNS1_11reduce_implILb1ES3_N6thrust23THRUST_200600_302600_NS11hip_rocprim35transform_pair_of_input_iterators_tIiPdSB_NS8_12not_equal_toIdEEEEPiiNS8_4plusIiEEEE10hipError_tPvRmT1_T2_T3_mT4_P12ihipStream_tbEUlT_E1_NS1_11comp_targetILNS1_3genE10ELNS1_11target_archE1201ELNS1_3gpuE5ELNS1_3repE0EEENS1_30default_config_static_selectorELNS0_4arch9wavefront6targetE1EEEvSL_,@function
_ZN7rocprim17ROCPRIM_400000_NS6detail17trampoline_kernelINS0_14default_configENS1_22reduce_config_selectorIiEEZNS1_11reduce_implILb1ES3_N6thrust23THRUST_200600_302600_NS11hip_rocprim35transform_pair_of_input_iterators_tIiPdSB_NS8_12not_equal_toIdEEEEPiiNS8_4plusIiEEEE10hipError_tPvRmT1_T2_T3_mT4_P12ihipStream_tbEUlT_E1_NS1_11comp_targetILNS1_3genE10ELNS1_11target_archE1201ELNS1_3gpuE5ELNS1_3repE0EEENS1_30default_config_static_selectorELNS0_4arch9wavefront6targetE1EEEvSL_: ; @_ZN7rocprim17ROCPRIM_400000_NS6detail17trampoline_kernelINS0_14default_configENS1_22reduce_config_selectorIiEEZNS1_11reduce_implILb1ES3_N6thrust23THRUST_200600_302600_NS11hip_rocprim35transform_pair_of_input_iterators_tIiPdSB_NS8_12not_equal_toIdEEEEPiiNS8_4plusIiEEEE10hipError_tPvRmT1_T2_T3_mT4_P12ihipStream_tbEUlT_E1_NS1_11comp_targetILNS1_3genE10ELNS1_11target_archE1201ELNS1_3gpuE5ELNS1_3repE0EEENS1_30default_config_static_selectorELNS0_4arch9wavefront6targetE1EEEvSL_
; %bb.0:
	.section	.rodata,"a",@progbits
	.p2align	6, 0x0
	.amdhsa_kernel _ZN7rocprim17ROCPRIM_400000_NS6detail17trampoline_kernelINS0_14default_configENS1_22reduce_config_selectorIiEEZNS1_11reduce_implILb1ES3_N6thrust23THRUST_200600_302600_NS11hip_rocprim35transform_pair_of_input_iterators_tIiPdSB_NS8_12not_equal_toIdEEEEPiiNS8_4plusIiEEEE10hipError_tPvRmT1_T2_T3_mT4_P12ihipStream_tbEUlT_E1_NS1_11comp_targetILNS1_3genE10ELNS1_11target_archE1201ELNS1_3gpuE5ELNS1_3repE0EEENS1_30default_config_static_selectorELNS0_4arch9wavefront6targetE1EEEvSL_
		.amdhsa_group_segment_fixed_size 0
		.amdhsa_private_segment_fixed_size 0
		.amdhsa_kernarg_size 56
		.amdhsa_user_sgpr_count 6
		.amdhsa_user_sgpr_private_segment_buffer 1
		.amdhsa_user_sgpr_dispatch_ptr 0
		.amdhsa_user_sgpr_queue_ptr 0
		.amdhsa_user_sgpr_kernarg_segment_ptr 1
		.amdhsa_user_sgpr_dispatch_id 0
		.amdhsa_user_sgpr_flat_scratch_init 0
		.amdhsa_user_sgpr_kernarg_preload_length 0
		.amdhsa_user_sgpr_kernarg_preload_offset 0
		.amdhsa_user_sgpr_private_segment_size 0
		.amdhsa_uses_dynamic_stack 0
		.amdhsa_system_sgpr_private_segment_wavefront_offset 0
		.amdhsa_system_sgpr_workgroup_id_x 1
		.amdhsa_system_sgpr_workgroup_id_y 0
		.amdhsa_system_sgpr_workgroup_id_z 0
		.amdhsa_system_sgpr_workgroup_info 0
		.amdhsa_system_vgpr_workitem_id 0
		.amdhsa_next_free_vgpr 1
		.amdhsa_next_free_sgpr 0
		.amdhsa_accum_offset 4
		.amdhsa_reserve_vcc 0
		.amdhsa_reserve_flat_scratch 0
		.amdhsa_float_round_mode_32 0
		.amdhsa_float_round_mode_16_64 0
		.amdhsa_float_denorm_mode_32 3
		.amdhsa_float_denorm_mode_16_64 3
		.amdhsa_dx10_clamp 1
		.amdhsa_ieee_mode 1
		.amdhsa_fp16_overflow 0
		.amdhsa_tg_split 0
		.amdhsa_exception_fp_ieee_invalid_op 0
		.amdhsa_exception_fp_denorm_src 0
		.amdhsa_exception_fp_ieee_div_zero 0
		.amdhsa_exception_fp_ieee_overflow 0
		.amdhsa_exception_fp_ieee_underflow 0
		.amdhsa_exception_fp_ieee_inexact 0
		.amdhsa_exception_int_div_zero 0
	.end_amdhsa_kernel
	.section	.text._ZN7rocprim17ROCPRIM_400000_NS6detail17trampoline_kernelINS0_14default_configENS1_22reduce_config_selectorIiEEZNS1_11reduce_implILb1ES3_N6thrust23THRUST_200600_302600_NS11hip_rocprim35transform_pair_of_input_iterators_tIiPdSB_NS8_12not_equal_toIdEEEEPiiNS8_4plusIiEEEE10hipError_tPvRmT1_T2_T3_mT4_P12ihipStream_tbEUlT_E1_NS1_11comp_targetILNS1_3genE10ELNS1_11target_archE1201ELNS1_3gpuE5ELNS1_3repE0EEENS1_30default_config_static_selectorELNS0_4arch9wavefront6targetE1EEEvSL_,"axG",@progbits,_ZN7rocprim17ROCPRIM_400000_NS6detail17trampoline_kernelINS0_14default_configENS1_22reduce_config_selectorIiEEZNS1_11reduce_implILb1ES3_N6thrust23THRUST_200600_302600_NS11hip_rocprim35transform_pair_of_input_iterators_tIiPdSB_NS8_12not_equal_toIdEEEEPiiNS8_4plusIiEEEE10hipError_tPvRmT1_T2_T3_mT4_P12ihipStream_tbEUlT_E1_NS1_11comp_targetILNS1_3genE10ELNS1_11target_archE1201ELNS1_3gpuE5ELNS1_3repE0EEENS1_30default_config_static_selectorELNS0_4arch9wavefront6targetE1EEEvSL_,comdat
.Lfunc_end1684:
	.size	_ZN7rocprim17ROCPRIM_400000_NS6detail17trampoline_kernelINS0_14default_configENS1_22reduce_config_selectorIiEEZNS1_11reduce_implILb1ES3_N6thrust23THRUST_200600_302600_NS11hip_rocprim35transform_pair_of_input_iterators_tIiPdSB_NS8_12not_equal_toIdEEEEPiiNS8_4plusIiEEEE10hipError_tPvRmT1_T2_T3_mT4_P12ihipStream_tbEUlT_E1_NS1_11comp_targetILNS1_3genE10ELNS1_11target_archE1201ELNS1_3gpuE5ELNS1_3repE0EEENS1_30default_config_static_selectorELNS0_4arch9wavefront6targetE1EEEvSL_, .Lfunc_end1684-_ZN7rocprim17ROCPRIM_400000_NS6detail17trampoline_kernelINS0_14default_configENS1_22reduce_config_selectorIiEEZNS1_11reduce_implILb1ES3_N6thrust23THRUST_200600_302600_NS11hip_rocprim35transform_pair_of_input_iterators_tIiPdSB_NS8_12not_equal_toIdEEEEPiiNS8_4plusIiEEEE10hipError_tPvRmT1_T2_T3_mT4_P12ihipStream_tbEUlT_E1_NS1_11comp_targetILNS1_3genE10ELNS1_11target_archE1201ELNS1_3gpuE5ELNS1_3repE0EEENS1_30default_config_static_selectorELNS0_4arch9wavefront6targetE1EEEvSL_
                                        ; -- End function
	.section	.AMDGPU.csdata,"",@progbits
; Kernel info:
; codeLenInByte = 0
; NumSgprs: 4
; NumVgprs: 0
; NumAgprs: 0
; TotalNumVgprs: 0
; ScratchSize: 0
; MemoryBound: 0
; FloatMode: 240
; IeeeMode: 1
; LDSByteSize: 0 bytes/workgroup (compile time only)
; SGPRBlocks: 0
; VGPRBlocks: 0
; NumSGPRsForWavesPerEU: 4
; NumVGPRsForWavesPerEU: 1
; AccumOffset: 4
; Occupancy: 8
; WaveLimiterHint : 0
; COMPUTE_PGM_RSRC2:SCRATCH_EN: 0
; COMPUTE_PGM_RSRC2:USER_SGPR: 6
; COMPUTE_PGM_RSRC2:TRAP_HANDLER: 0
; COMPUTE_PGM_RSRC2:TGID_X_EN: 1
; COMPUTE_PGM_RSRC2:TGID_Y_EN: 0
; COMPUTE_PGM_RSRC2:TGID_Z_EN: 0
; COMPUTE_PGM_RSRC2:TIDIG_COMP_CNT: 0
; COMPUTE_PGM_RSRC3_GFX90A:ACCUM_OFFSET: 0
; COMPUTE_PGM_RSRC3_GFX90A:TG_SPLIT: 0
	.section	.text._ZN7rocprim17ROCPRIM_400000_NS6detail17trampoline_kernelINS0_14default_configENS1_22reduce_config_selectorIiEEZNS1_11reduce_implILb1ES3_N6thrust23THRUST_200600_302600_NS11hip_rocprim35transform_pair_of_input_iterators_tIiPdSB_NS8_12not_equal_toIdEEEEPiiNS8_4plusIiEEEE10hipError_tPvRmT1_T2_T3_mT4_P12ihipStream_tbEUlT_E1_NS1_11comp_targetILNS1_3genE10ELNS1_11target_archE1200ELNS1_3gpuE4ELNS1_3repE0EEENS1_30default_config_static_selectorELNS0_4arch9wavefront6targetE1EEEvSL_,"axG",@progbits,_ZN7rocprim17ROCPRIM_400000_NS6detail17trampoline_kernelINS0_14default_configENS1_22reduce_config_selectorIiEEZNS1_11reduce_implILb1ES3_N6thrust23THRUST_200600_302600_NS11hip_rocprim35transform_pair_of_input_iterators_tIiPdSB_NS8_12not_equal_toIdEEEEPiiNS8_4plusIiEEEE10hipError_tPvRmT1_T2_T3_mT4_P12ihipStream_tbEUlT_E1_NS1_11comp_targetILNS1_3genE10ELNS1_11target_archE1200ELNS1_3gpuE4ELNS1_3repE0EEENS1_30default_config_static_selectorELNS0_4arch9wavefront6targetE1EEEvSL_,comdat
	.protected	_ZN7rocprim17ROCPRIM_400000_NS6detail17trampoline_kernelINS0_14default_configENS1_22reduce_config_selectorIiEEZNS1_11reduce_implILb1ES3_N6thrust23THRUST_200600_302600_NS11hip_rocprim35transform_pair_of_input_iterators_tIiPdSB_NS8_12not_equal_toIdEEEEPiiNS8_4plusIiEEEE10hipError_tPvRmT1_T2_T3_mT4_P12ihipStream_tbEUlT_E1_NS1_11comp_targetILNS1_3genE10ELNS1_11target_archE1200ELNS1_3gpuE4ELNS1_3repE0EEENS1_30default_config_static_selectorELNS0_4arch9wavefront6targetE1EEEvSL_ ; -- Begin function _ZN7rocprim17ROCPRIM_400000_NS6detail17trampoline_kernelINS0_14default_configENS1_22reduce_config_selectorIiEEZNS1_11reduce_implILb1ES3_N6thrust23THRUST_200600_302600_NS11hip_rocprim35transform_pair_of_input_iterators_tIiPdSB_NS8_12not_equal_toIdEEEEPiiNS8_4plusIiEEEE10hipError_tPvRmT1_T2_T3_mT4_P12ihipStream_tbEUlT_E1_NS1_11comp_targetILNS1_3genE10ELNS1_11target_archE1200ELNS1_3gpuE4ELNS1_3repE0EEENS1_30default_config_static_selectorELNS0_4arch9wavefront6targetE1EEEvSL_
	.globl	_ZN7rocprim17ROCPRIM_400000_NS6detail17trampoline_kernelINS0_14default_configENS1_22reduce_config_selectorIiEEZNS1_11reduce_implILb1ES3_N6thrust23THRUST_200600_302600_NS11hip_rocprim35transform_pair_of_input_iterators_tIiPdSB_NS8_12not_equal_toIdEEEEPiiNS8_4plusIiEEEE10hipError_tPvRmT1_T2_T3_mT4_P12ihipStream_tbEUlT_E1_NS1_11comp_targetILNS1_3genE10ELNS1_11target_archE1200ELNS1_3gpuE4ELNS1_3repE0EEENS1_30default_config_static_selectorELNS0_4arch9wavefront6targetE1EEEvSL_
	.p2align	8
	.type	_ZN7rocprim17ROCPRIM_400000_NS6detail17trampoline_kernelINS0_14default_configENS1_22reduce_config_selectorIiEEZNS1_11reduce_implILb1ES3_N6thrust23THRUST_200600_302600_NS11hip_rocprim35transform_pair_of_input_iterators_tIiPdSB_NS8_12not_equal_toIdEEEEPiiNS8_4plusIiEEEE10hipError_tPvRmT1_T2_T3_mT4_P12ihipStream_tbEUlT_E1_NS1_11comp_targetILNS1_3genE10ELNS1_11target_archE1200ELNS1_3gpuE4ELNS1_3repE0EEENS1_30default_config_static_selectorELNS0_4arch9wavefront6targetE1EEEvSL_,@function
_ZN7rocprim17ROCPRIM_400000_NS6detail17trampoline_kernelINS0_14default_configENS1_22reduce_config_selectorIiEEZNS1_11reduce_implILb1ES3_N6thrust23THRUST_200600_302600_NS11hip_rocprim35transform_pair_of_input_iterators_tIiPdSB_NS8_12not_equal_toIdEEEEPiiNS8_4plusIiEEEE10hipError_tPvRmT1_T2_T3_mT4_P12ihipStream_tbEUlT_E1_NS1_11comp_targetILNS1_3genE10ELNS1_11target_archE1200ELNS1_3gpuE4ELNS1_3repE0EEENS1_30default_config_static_selectorELNS0_4arch9wavefront6targetE1EEEvSL_: ; @_ZN7rocprim17ROCPRIM_400000_NS6detail17trampoline_kernelINS0_14default_configENS1_22reduce_config_selectorIiEEZNS1_11reduce_implILb1ES3_N6thrust23THRUST_200600_302600_NS11hip_rocprim35transform_pair_of_input_iterators_tIiPdSB_NS8_12not_equal_toIdEEEEPiiNS8_4plusIiEEEE10hipError_tPvRmT1_T2_T3_mT4_P12ihipStream_tbEUlT_E1_NS1_11comp_targetILNS1_3genE10ELNS1_11target_archE1200ELNS1_3gpuE4ELNS1_3repE0EEENS1_30default_config_static_selectorELNS0_4arch9wavefront6targetE1EEEvSL_
; %bb.0:
	.section	.rodata,"a",@progbits
	.p2align	6, 0x0
	.amdhsa_kernel _ZN7rocprim17ROCPRIM_400000_NS6detail17trampoline_kernelINS0_14default_configENS1_22reduce_config_selectorIiEEZNS1_11reduce_implILb1ES3_N6thrust23THRUST_200600_302600_NS11hip_rocprim35transform_pair_of_input_iterators_tIiPdSB_NS8_12not_equal_toIdEEEEPiiNS8_4plusIiEEEE10hipError_tPvRmT1_T2_T3_mT4_P12ihipStream_tbEUlT_E1_NS1_11comp_targetILNS1_3genE10ELNS1_11target_archE1200ELNS1_3gpuE4ELNS1_3repE0EEENS1_30default_config_static_selectorELNS0_4arch9wavefront6targetE1EEEvSL_
		.amdhsa_group_segment_fixed_size 0
		.amdhsa_private_segment_fixed_size 0
		.amdhsa_kernarg_size 56
		.amdhsa_user_sgpr_count 6
		.amdhsa_user_sgpr_private_segment_buffer 1
		.amdhsa_user_sgpr_dispatch_ptr 0
		.amdhsa_user_sgpr_queue_ptr 0
		.amdhsa_user_sgpr_kernarg_segment_ptr 1
		.amdhsa_user_sgpr_dispatch_id 0
		.amdhsa_user_sgpr_flat_scratch_init 0
		.amdhsa_user_sgpr_kernarg_preload_length 0
		.amdhsa_user_sgpr_kernarg_preload_offset 0
		.amdhsa_user_sgpr_private_segment_size 0
		.amdhsa_uses_dynamic_stack 0
		.amdhsa_system_sgpr_private_segment_wavefront_offset 0
		.amdhsa_system_sgpr_workgroup_id_x 1
		.amdhsa_system_sgpr_workgroup_id_y 0
		.amdhsa_system_sgpr_workgroup_id_z 0
		.amdhsa_system_sgpr_workgroup_info 0
		.amdhsa_system_vgpr_workitem_id 0
		.amdhsa_next_free_vgpr 1
		.amdhsa_next_free_sgpr 0
		.amdhsa_accum_offset 4
		.amdhsa_reserve_vcc 0
		.amdhsa_reserve_flat_scratch 0
		.amdhsa_float_round_mode_32 0
		.amdhsa_float_round_mode_16_64 0
		.amdhsa_float_denorm_mode_32 3
		.amdhsa_float_denorm_mode_16_64 3
		.amdhsa_dx10_clamp 1
		.amdhsa_ieee_mode 1
		.amdhsa_fp16_overflow 0
		.amdhsa_tg_split 0
		.amdhsa_exception_fp_ieee_invalid_op 0
		.amdhsa_exception_fp_denorm_src 0
		.amdhsa_exception_fp_ieee_div_zero 0
		.amdhsa_exception_fp_ieee_overflow 0
		.amdhsa_exception_fp_ieee_underflow 0
		.amdhsa_exception_fp_ieee_inexact 0
		.amdhsa_exception_int_div_zero 0
	.end_amdhsa_kernel
	.section	.text._ZN7rocprim17ROCPRIM_400000_NS6detail17trampoline_kernelINS0_14default_configENS1_22reduce_config_selectorIiEEZNS1_11reduce_implILb1ES3_N6thrust23THRUST_200600_302600_NS11hip_rocprim35transform_pair_of_input_iterators_tIiPdSB_NS8_12not_equal_toIdEEEEPiiNS8_4plusIiEEEE10hipError_tPvRmT1_T2_T3_mT4_P12ihipStream_tbEUlT_E1_NS1_11comp_targetILNS1_3genE10ELNS1_11target_archE1200ELNS1_3gpuE4ELNS1_3repE0EEENS1_30default_config_static_selectorELNS0_4arch9wavefront6targetE1EEEvSL_,"axG",@progbits,_ZN7rocprim17ROCPRIM_400000_NS6detail17trampoline_kernelINS0_14default_configENS1_22reduce_config_selectorIiEEZNS1_11reduce_implILb1ES3_N6thrust23THRUST_200600_302600_NS11hip_rocprim35transform_pair_of_input_iterators_tIiPdSB_NS8_12not_equal_toIdEEEEPiiNS8_4plusIiEEEE10hipError_tPvRmT1_T2_T3_mT4_P12ihipStream_tbEUlT_E1_NS1_11comp_targetILNS1_3genE10ELNS1_11target_archE1200ELNS1_3gpuE4ELNS1_3repE0EEENS1_30default_config_static_selectorELNS0_4arch9wavefront6targetE1EEEvSL_,comdat
.Lfunc_end1685:
	.size	_ZN7rocprim17ROCPRIM_400000_NS6detail17trampoline_kernelINS0_14default_configENS1_22reduce_config_selectorIiEEZNS1_11reduce_implILb1ES3_N6thrust23THRUST_200600_302600_NS11hip_rocprim35transform_pair_of_input_iterators_tIiPdSB_NS8_12not_equal_toIdEEEEPiiNS8_4plusIiEEEE10hipError_tPvRmT1_T2_T3_mT4_P12ihipStream_tbEUlT_E1_NS1_11comp_targetILNS1_3genE10ELNS1_11target_archE1200ELNS1_3gpuE4ELNS1_3repE0EEENS1_30default_config_static_selectorELNS0_4arch9wavefront6targetE1EEEvSL_, .Lfunc_end1685-_ZN7rocprim17ROCPRIM_400000_NS6detail17trampoline_kernelINS0_14default_configENS1_22reduce_config_selectorIiEEZNS1_11reduce_implILb1ES3_N6thrust23THRUST_200600_302600_NS11hip_rocprim35transform_pair_of_input_iterators_tIiPdSB_NS8_12not_equal_toIdEEEEPiiNS8_4plusIiEEEE10hipError_tPvRmT1_T2_T3_mT4_P12ihipStream_tbEUlT_E1_NS1_11comp_targetILNS1_3genE10ELNS1_11target_archE1200ELNS1_3gpuE4ELNS1_3repE0EEENS1_30default_config_static_selectorELNS0_4arch9wavefront6targetE1EEEvSL_
                                        ; -- End function
	.section	.AMDGPU.csdata,"",@progbits
; Kernel info:
; codeLenInByte = 0
; NumSgprs: 4
; NumVgprs: 0
; NumAgprs: 0
; TotalNumVgprs: 0
; ScratchSize: 0
; MemoryBound: 0
; FloatMode: 240
; IeeeMode: 1
; LDSByteSize: 0 bytes/workgroup (compile time only)
; SGPRBlocks: 0
; VGPRBlocks: 0
; NumSGPRsForWavesPerEU: 4
; NumVGPRsForWavesPerEU: 1
; AccumOffset: 4
; Occupancy: 8
; WaveLimiterHint : 0
; COMPUTE_PGM_RSRC2:SCRATCH_EN: 0
; COMPUTE_PGM_RSRC2:USER_SGPR: 6
; COMPUTE_PGM_RSRC2:TRAP_HANDLER: 0
; COMPUTE_PGM_RSRC2:TGID_X_EN: 1
; COMPUTE_PGM_RSRC2:TGID_Y_EN: 0
; COMPUTE_PGM_RSRC2:TGID_Z_EN: 0
; COMPUTE_PGM_RSRC2:TIDIG_COMP_CNT: 0
; COMPUTE_PGM_RSRC3_GFX90A:ACCUM_OFFSET: 0
; COMPUTE_PGM_RSRC3_GFX90A:TG_SPLIT: 0
	.section	.text._ZN7rocprim17ROCPRIM_400000_NS6detail17trampoline_kernelINS0_14default_configENS1_22reduce_config_selectorIiEEZNS1_11reduce_implILb1ES3_N6thrust23THRUST_200600_302600_NS11hip_rocprim35transform_pair_of_input_iterators_tIiPdSB_NS8_12not_equal_toIdEEEEPiiNS8_4plusIiEEEE10hipError_tPvRmT1_T2_T3_mT4_P12ihipStream_tbEUlT_E1_NS1_11comp_targetILNS1_3genE9ELNS1_11target_archE1100ELNS1_3gpuE3ELNS1_3repE0EEENS1_30default_config_static_selectorELNS0_4arch9wavefront6targetE1EEEvSL_,"axG",@progbits,_ZN7rocprim17ROCPRIM_400000_NS6detail17trampoline_kernelINS0_14default_configENS1_22reduce_config_selectorIiEEZNS1_11reduce_implILb1ES3_N6thrust23THRUST_200600_302600_NS11hip_rocprim35transform_pair_of_input_iterators_tIiPdSB_NS8_12not_equal_toIdEEEEPiiNS8_4plusIiEEEE10hipError_tPvRmT1_T2_T3_mT4_P12ihipStream_tbEUlT_E1_NS1_11comp_targetILNS1_3genE9ELNS1_11target_archE1100ELNS1_3gpuE3ELNS1_3repE0EEENS1_30default_config_static_selectorELNS0_4arch9wavefront6targetE1EEEvSL_,comdat
	.protected	_ZN7rocprim17ROCPRIM_400000_NS6detail17trampoline_kernelINS0_14default_configENS1_22reduce_config_selectorIiEEZNS1_11reduce_implILb1ES3_N6thrust23THRUST_200600_302600_NS11hip_rocprim35transform_pair_of_input_iterators_tIiPdSB_NS8_12not_equal_toIdEEEEPiiNS8_4plusIiEEEE10hipError_tPvRmT1_T2_T3_mT4_P12ihipStream_tbEUlT_E1_NS1_11comp_targetILNS1_3genE9ELNS1_11target_archE1100ELNS1_3gpuE3ELNS1_3repE0EEENS1_30default_config_static_selectorELNS0_4arch9wavefront6targetE1EEEvSL_ ; -- Begin function _ZN7rocprim17ROCPRIM_400000_NS6detail17trampoline_kernelINS0_14default_configENS1_22reduce_config_selectorIiEEZNS1_11reduce_implILb1ES3_N6thrust23THRUST_200600_302600_NS11hip_rocprim35transform_pair_of_input_iterators_tIiPdSB_NS8_12not_equal_toIdEEEEPiiNS8_4plusIiEEEE10hipError_tPvRmT1_T2_T3_mT4_P12ihipStream_tbEUlT_E1_NS1_11comp_targetILNS1_3genE9ELNS1_11target_archE1100ELNS1_3gpuE3ELNS1_3repE0EEENS1_30default_config_static_selectorELNS0_4arch9wavefront6targetE1EEEvSL_
	.globl	_ZN7rocprim17ROCPRIM_400000_NS6detail17trampoline_kernelINS0_14default_configENS1_22reduce_config_selectorIiEEZNS1_11reduce_implILb1ES3_N6thrust23THRUST_200600_302600_NS11hip_rocprim35transform_pair_of_input_iterators_tIiPdSB_NS8_12not_equal_toIdEEEEPiiNS8_4plusIiEEEE10hipError_tPvRmT1_T2_T3_mT4_P12ihipStream_tbEUlT_E1_NS1_11comp_targetILNS1_3genE9ELNS1_11target_archE1100ELNS1_3gpuE3ELNS1_3repE0EEENS1_30default_config_static_selectorELNS0_4arch9wavefront6targetE1EEEvSL_
	.p2align	8
	.type	_ZN7rocprim17ROCPRIM_400000_NS6detail17trampoline_kernelINS0_14default_configENS1_22reduce_config_selectorIiEEZNS1_11reduce_implILb1ES3_N6thrust23THRUST_200600_302600_NS11hip_rocprim35transform_pair_of_input_iterators_tIiPdSB_NS8_12not_equal_toIdEEEEPiiNS8_4plusIiEEEE10hipError_tPvRmT1_T2_T3_mT4_P12ihipStream_tbEUlT_E1_NS1_11comp_targetILNS1_3genE9ELNS1_11target_archE1100ELNS1_3gpuE3ELNS1_3repE0EEENS1_30default_config_static_selectorELNS0_4arch9wavefront6targetE1EEEvSL_,@function
_ZN7rocprim17ROCPRIM_400000_NS6detail17trampoline_kernelINS0_14default_configENS1_22reduce_config_selectorIiEEZNS1_11reduce_implILb1ES3_N6thrust23THRUST_200600_302600_NS11hip_rocprim35transform_pair_of_input_iterators_tIiPdSB_NS8_12not_equal_toIdEEEEPiiNS8_4plusIiEEEE10hipError_tPvRmT1_T2_T3_mT4_P12ihipStream_tbEUlT_E1_NS1_11comp_targetILNS1_3genE9ELNS1_11target_archE1100ELNS1_3gpuE3ELNS1_3repE0EEENS1_30default_config_static_selectorELNS0_4arch9wavefront6targetE1EEEvSL_: ; @_ZN7rocprim17ROCPRIM_400000_NS6detail17trampoline_kernelINS0_14default_configENS1_22reduce_config_selectorIiEEZNS1_11reduce_implILb1ES3_N6thrust23THRUST_200600_302600_NS11hip_rocprim35transform_pair_of_input_iterators_tIiPdSB_NS8_12not_equal_toIdEEEEPiiNS8_4plusIiEEEE10hipError_tPvRmT1_T2_T3_mT4_P12ihipStream_tbEUlT_E1_NS1_11comp_targetILNS1_3genE9ELNS1_11target_archE1100ELNS1_3gpuE3ELNS1_3repE0EEENS1_30default_config_static_selectorELNS0_4arch9wavefront6targetE1EEEvSL_
; %bb.0:
	.section	.rodata,"a",@progbits
	.p2align	6, 0x0
	.amdhsa_kernel _ZN7rocprim17ROCPRIM_400000_NS6detail17trampoline_kernelINS0_14default_configENS1_22reduce_config_selectorIiEEZNS1_11reduce_implILb1ES3_N6thrust23THRUST_200600_302600_NS11hip_rocprim35transform_pair_of_input_iterators_tIiPdSB_NS8_12not_equal_toIdEEEEPiiNS8_4plusIiEEEE10hipError_tPvRmT1_T2_T3_mT4_P12ihipStream_tbEUlT_E1_NS1_11comp_targetILNS1_3genE9ELNS1_11target_archE1100ELNS1_3gpuE3ELNS1_3repE0EEENS1_30default_config_static_selectorELNS0_4arch9wavefront6targetE1EEEvSL_
		.amdhsa_group_segment_fixed_size 0
		.amdhsa_private_segment_fixed_size 0
		.amdhsa_kernarg_size 56
		.amdhsa_user_sgpr_count 6
		.amdhsa_user_sgpr_private_segment_buffer 1
		.amdhsa_user_sgpr_dispatch_ptr 0
		.amdhsa_user_sgpr_queue_ptr 0
		.amdhsa_user_sgpr_kernarg_segment_ptr 1
		.amdhsa_user_sgpr_dispatch_id 0
		.amdhsa_user_sgpr_flat_scratch_init 0
		.amdhsa_user_sgpr_kernarg_preload_length 0
		.amdhsa_user_sgpr_kernarg_preload_offset 0
		.amdhsa_user_sgpr_private_segment_size 0
		.amdhsa_uses_dynamic_stack 0
		.amdhsa_system_sgpr_private_segment_wavefront_offset 0
		.amdhsa_system_sgpr_workgroup_id_x 1
		.amdhsa_system_sgpr_workgroup_id_y 0
		.amdhsa_system_sgpr_workgroup_id_z 0
		.amdhsa_system_sgpr_workgroup_info 0
		.amdhsa_system_vgpr_workitem_id 0
		.amdhsa_next_free_vgpr 1
		.amdhsa_next_free_sgpr 0
		.amdhsa_accum_offset 4
		.amdhsa_reserve_vcc 0
		.amdhsa_reserve_flat_scratch 0
		.amdhsa_float_round_mode_32 0
		.amdhsa_float_round_mode_16_64 0
		.amdhsa_float_denorm_mode_32 3
		.amdhsa_float_denorm_mode_16_64 3
		.amdhsa_dx10_clamp 1
		.amdhsa_ieee_mode 1
		.amdhsa_fp16_overflow 0
		.amdhsa_tg_split 0
		.amdhsa_exception_fp_ieee_invalid_op 0
		.amdhsa_exception_fp_denorm_src 0
		.amdhsa_exception_fp_ieee_div_zero 0
		.amdhsa_exception_fp_ieee_overflow 0
		.amdhsa_exception_fp_ieee_underflow 0
		.amdhsa_exception_fp_ieee_inexact 0
		.amdhsa_exception_int_div_zero 0
	.end_amdhsa_kernel
	.section	.text._ZN7rocprim17ROCPRIM_400000_NS6detail17trampoline_kernelINS0_14default_configENS1_22reduce_config_selectorIiEEZNS1_11reduce_implILb1ES3_N6thrust23THRUST_200600_302600_NS11hip_rocprim35transform_pair_of_input_iterators_tIiPdSB_NS8_12not_equal_toIdEEEEPiiNS8_4plusIiEEEE10hipError_tPvRmT1_T2_T3_mT4_P12ihipStream_tbEUlT_E1_NS1_11comp_targetILNS1_3genE9ELNS1_11target_archE1100ELNS1_3gpuE3ELNS1_3repE0EEENS1_30default_config_static_selectorELNS0_4arch9wavefront6targetE1EEEvSL_,"axG",@progbits,_ZN7rocprim17ROCPRIM_400000_NS6detail17trampoline_kernelINS0_14default_configENS1_22reduce_config_selectorIiEEZNS1_11reduce_implILb1ES3_N6thrust23THRUST_200600_302600_NS11hip_rocprim35transform_pair_of_input_iterators_tIiPdSB_NS8_12not_equal_toIdEEEEPiiNS8_4plusIiEEEE10hipError_tPvRmT1_T2_T3_mT4_P12ihipStream_tbEUlT_E1_NS1_11comp_targetILNS1_3genE9ELNS1_11target_archE1100ELNS1_3gpuE3ELNS1_3repE0EEENS1_30default_config_static_selectorELNS0_4arch9wavefront6targetE1EEEvSL_,comdat
.Lfunc_end1686:
	.size	_ZN7rocprim17ROCPRIM_400000_NS6detail17trampoline_kernelINS0_14default_configENS1_22reduce_config_selectorIiEEZNS1_11reduce_implILb1ES3_N6thrust23THRUST_200600_302600_NS11hip_rocprim35transform_pair_of_input_iterators_tIiPdSB_NS8_12not_equal_toIdEEEEPiiNS8_4plusIiEEEE10hipError_tPvRmT1_T2_T3_mT4_P12ihipStream_tbEUlT_E1_NS1_11comp_targetILNS1_3genE9ELNS1_11target_archE1100ELNS1_3gpuE3ELNS1_3repE0EEENS1_30default_config_static_selectorELNS0_4arch9wavefront6targetE1EEEvSL_, .Lfunc_end1686-_ZN7rocprim17ROCPRIM_400000_NS6detail17trampoline_kernelINS0_14default_configENS1_22reduce_config_selectorIiEEZNS1_11reduce_implILb1ES3_N6thrust23THRUST_200600_302600_NS11hip_rocprim35transform_pair_of_input_iterators_tIiPdSB_NS8_12not_equal_toIdEEEEPiiNS8_4plusIiEEEE10hipError_tPvRmT1_T2_T3_mT4_P12ihipStream_tbEUlT_E1_NS1_11comp_targetILNS1_3genE9ELNS1_11target_archE1100ELNS1_3gpuE3ELNS1_3repE0EEENS1_30default_config_static_selectorELNS0_4arch9wavefront6targetE1EEEvSL_
                                        ; -- End function
	.section	.AMDGPU.csdata,"",@progbits
; Kernel info:
; codeLenInByte = 0
; NumSgprs: 4
; NumVgprs: 0
; NumAgprs: 0
; TotalNumVgprs: 0
; ScratchSize: 0
; MemoryBound: 0
; FloatMode: 240
; IeeeMode: 1
; LDSByteSize: 0 bytes/workgroup (compile time only)
; SGPRBlocks: 0
; VGPRBlocks: 0
; NumSGPRsForWavesPerEU: 4
; NumVGPRsForWavesPerEU: 1
; AccumOffset: 4
; Occupancy: 8
; WaveLimiterHint : 0
; COMPUTE_PGM_RSRC2:SCRATCH_EN: 0
; COMPUTE_PGM_RSRC2:USER_SGPR: 6
; COMPUTE_PGM_RSRC2:TRAP_HANDLER: 0
; COMPUTE_PGM_RSRC2:TGID_X_EN: 1
; COMPUTE_PGM_RSRC2:TGID_Y_EN: 0
; COMPUTE_PGM_RSRC2:TGID_Z_EN: 0
; COMPUTE_PGM_RSRC2:TIDIG_COMP_CNT: 0
; COMPUTE_PGM_RSRC3_GFX90A:ACCUM_OFFSET: 0
; COMPUTE_PGM_RSRC3_GFX90A:TG_SPLIT: 0
	.section	.text._ZN7rocprim17ROCPRIM_400000_NS6detail17trampoline_kernelINS0_14default_configENS1_22reduce_config_selectorIiEEZNS1_11reduce_implILb1ES3_N6thrust23THRUST_200600_302600_NS11hip_rocprim35transform_pair_of_input_iterators_tIiPdSB_NS8_12not_equal_toIdEEEEPiiNS8_4plusIiEEEE10hipError_tPvRmT1_T2_T3_mT4_P12ihipStream_tbEUlT_E1_NS1_11comp_targetILNS1_3genE8ELNS1_11target_archE1030ELNS1_3gpuE2ELNS1_3repE0EEENS1_30default_config_static_selectorELNS0_4arch9wavefront6targetE1EEEvSL_,"axG",@progbits,_ZN7rocprim17ROCPRIM_400000_NS6detail17trampoline_kernelINS0_14default_configENS1_22reduce_config_selectorIiEEZNS1_11reduce_implILb1ES3_N6thrust23THRUST_200600_302600_NS11hip_rocprim35transform_pair_of_input_iterators_tIiPdSB_NS8_12not_equal_toIdEEEEPiiNS8_4plusIiEEEE10hipError_tPvRmT1_T2_T3_mT4_P12ihipStream_tbEUlT_E1_NS1_11comp_targetILNS1_3genE8ELNS1_11target_archE1030ELNS1_3gpuE2ELNS1_3repE0EEENS1_30default_config_static_selectorELNS0_4arch9wavefront6targetE1EEEvSL_,comdat
	.protected	_ZN7rocprim17ROCPRIM_400000_NS6detail17trampoline_kernelINS0_14default_configENS1_22reduce_config_selectorIiEEZNS1_11reduce_implILb1ES3_N6thrust23THRUST_200600_302600_NS11hip_rocprim35transform_pair_of_input_iterators_tIiPdSB_NS8_12not_equal_toIdEEEEPiiNS8_4plusIiEEEE10hipError_tPvRmT1_T2_T3_mT4_P12ihipStream_tbEUlT_E1_NS1_11comp_targetILNS1_3genE8ELNS1_11target_archE1030ELNS1_3gpuE2ELNS1_3repE0EEENS1_30default_config_static_selectorELNS0_4arch9wavefront6targetE1EEEvSL_ ; -- Begin function _ZN7rocprim17ROCPRIM_400000_NS6detail17trampoline_kernelINS0_14default_configENS1_22reduce_config_selectorIiEEZNS1_11reduce_implILb1ES3_N6thrust23THRUST_200600_302600_NS11hip_rocprim35transform_pair_of_input_iterators_tIiPdSB_NS8_12not_equal_toIdEEEEPiiNS8_4plusIiEEEE10hipError_tPvRmT1_T2_T3_mT4_P12ihipStream_tbEUlT_E1_NS1_11comp_targetILNS1_3genE8ELNS1_11target_archE1030ELNS1_3gpuE2ELNS1_3repE0EEENS1_30default_config_static_selectorELNS0_4arch9wavefront6targetE1EEEvSL_
	.globl	_ZN7rocprim17ROCPRIM_400000_NS6detail17trampoline_kernelINS0_14default_configENS1_22reduce_config_selectorIiEEZNS1_11reduce_implILb1ES3_N6thrust23THRUST_200600_302600_NS11hip_rocprim35transform_pair_of_input_iterators_tIiPdSB_NS8_12not_equal_toIdEEEEPiiNS8_4plusIiEEEE10hipError_tPvRmT1_T2_T3_mT4_P12ihipStream_tbEUlT_E1_NS1_11comp_targetILNS1_3genE8ELNS1_11target_archE1030ELNS1_3gpuE2ELNS1_3repE0EEENS1_30default_config_static_selectorELNS0_4arch9wavefront6targetE1EEEvSL_
	.p2align	8
	.type	_ZN7rocprim17ROCPRIM_400000_NS6detail17trampoline_kernelINS0_14default_configENS1_22reduce_config_selectorIiEEZNS1_11reduce_implILb1ES3_N6thrust23THRUST_200600_302600_NS11hip_rocprim35transform_pair_of_input_iterators_tIiPdSB_NS8_12not_equal_toIdEEEEPiiNS8_4plusIiEEEE10hipError_tPvRmT1_T2_T3_mT4_P12ihipStream_tbEUlT_E1_NS1_11comp_targetILNS1_3genE8ELNS1_11target_archE1030ELNS1_3gpuE2ELNS1_3repE0EEENS1_30default_config_static_selectorELNS0_4arch9wavefront6targetE1EEEvSL_,@function
_ZN7rocprim17ROCPRIM_400000_NS6detail17trampoline_kernelINS0_14default_configENS1_22reduce_config_selectorIiEEZNS1_11reduce_implILb1ES3_N6thrust23THRUST_200600_302600_NS11hip_rocprim35transform_pair_of_input_iterators_tIiPdSB_NS8_12not_equal_toIdEEEEPiiNS8_4plusIiEEEE10hipError_tPvRmT1_T2_T3_mT4_P12ihipStream_tbEUlT_E1_NS1_11comp_targetILNS1_3genE8ELNS1_11target_archE1030ELNS1_3gpuE2ELNS1_3repE0EEENS1_30default_config_static_selectorELNS0_4arch9wavefront6targetE1EEEvSL_: ; @_ZN7rocprim17ROCPRIM_400000_NS6detail17trampoline_kernelINS0_14default_configENS1_22reduce_config_selectorIiEEZNS1_11reduce_implILb1ES3_N6thrust23THRUST_200600_302600_NS11hip_rocprim35transform_pair_of_input_iterators_tIiPdSB_NS8_12not_equal_toIdEEEEPiiNS8_4plusIiEEEE10hipError_tPvRmT1_T2_T3_mT4_P12ihipStream_tbEUlT_E1_NS1_11comp_targetILNS1_3genE8ELNS1_11target_archE1030ELNS1_3gpuE2ELNS1_3repE0EEENS1_30default_config_static_selectorELNS0_4arch9wavefront6targetE1EEEvSL_
; %bb.0:
	.section	.rodata,"a",@progbits
	.p2align	6, 0x0
	.amdhsa_kernel _ZN7rocprim17ROCPRIM_400000_NS6detail17trampoline_kernelINS0_14default_configENS1_22reduce_config_selectorIiEEZNS1_11reduce_implILb1ES3_N6thrust23THRUST_200600_302600_NS11hip_rocprim35transform_pair_of_input_iterators_tIiPdSB_NS8_12not_equal_toIdEEEEPiiNS8_4plusIiEEEE10hipError_tPvRmT1_T2_T3_mT4_P12ihipStream_tbEUlT_E1_NS1_11comp_targetILNS1_3genE8ELNS1_11target_archE1030ELNS1_3gpuE2ELNS1_3repE0EEENS1_30default_config_static_selectorELNS0_4arch9wavefront6targetE1EEEvSL_
		.amdhsa_group_segment_fixed_size 0
		.amdhsa_private_segment_fixed_size 0
		.amdhsa_kernarg_size 56
		.amdhsa_user_sgpr_count 6
		.amdhsa_user_sgpr_private_segment_buffer 1
		.amdhsa_user_sgpr_dispatch_ptr 0
		.amdhsa_user_sgpr_queue_ptr 0
		.amdhsa_user_sgpr_kernarg_segment_ptr 1
		.amdhsa_user_sgpr_dispatch_id 0
		.amdhsa_user_sgpr_flat_scratch_init 0
		.amdhsa_user_sgpr_kernarg_preload_length 0
		.amdhsa_user_sgpr_kernarg_preload_offset 0
		.amdhsa_user_sgpr_private_segment_size 0
		.amdhsa_uses_dynamic_stack 0
		.amdhsa_system_sgpr_private_segment_wavefront_offset 0
		.amdhsa_system_sgpr_workgroup_id_x 1
		.amdhsa_system_sgpr_workgroup_id_y 0
		.amdhsa_system_sgpr_workgroup_id_z 0
		.amdhsa_system_sgpr_workgroup_info 0
		.amdhsa_system_vgpr_workitem_id 0
		.amdhsa_next_free_vgpr 1
		.amdhsa_next_free_sgpr 0
		.amdhsa_accum_offset 4
		.amdhsa_reserve_vcc 0
		.amdhsa_reserve_flat_scratch 0
		.amdhsa_float_round_mode_32 0
		.amdhsa_float_round_mode_16_64 0
		.amdhsa_float_denorm_mode_32 3
		.amdhsa_float_denorm_mode_16_64 3
		.amdhsa_dx10_clamp 1
		.amdhsa_ieee_mode 1
		.amdhsa_fp16_overflow 0
		.amdhsa_tg_split 0
		.amdhsa_exception_fp_ieee_invalid_op 0
		.amdhsa_exception_fp_denorm_src 0
		.amdhsa_exception_fp_ieee_div_zero 0
		.amdhsa_exception_fp_ieee_overflow 0
		.amdhsa_exception_fp_ieee_underflow 0
		.amdhsa_exception_fp_ieee_inexact 0
		.amdhsa_exception_int_div_zero 0
	.end_amdhsa_kernel
	.section	.text._ZN7rocprim17ROCPRIM_400000_NS6detail17trampoline_kernelINS0_14default_configENS1_22reduce_config_selectorIiEEZNS1_11reduce_implILb1ES3_N6thrust23THRUST_200600_302600_NS11hip_rocprim35transform_pair_of_input_iterators_tIiPdSB_NS8_12not_equal_toIdEEEEPiiNS8_4plusIiEEEE10hipError_tPvRmT1_T2_T3_mT4_P12ihipStream_tbEUlT_E1_NS1_11comp_targetILNS1_3genE8ELNS1_11target_archE1030ELNS1_3gpuE2ELNS1_3repE0EEENS1_30default_config_static_selectorELNS0_4arch9wavefront6targetE1EEEvSL_,"axG",@progbits,_ZN7rocprim17ROCPRIM_400000_NS6detail17trampoline_kernelINS0_14default_configENS1_22reduce_config_selectorIiEEZNS1_11reduce_implILb1ES3_N6thrust23THRUST_200600_302600_NS11hip_rocprim35transform_pair_of_input_iterators_tIiPdSB_NS8_12not_equal_toIdEEEEPiiNS8_4plusIiEEEE10hipError_tPvRmT1_T2_T3_mT4_P12ihipStream_tbEUlT_E1_NS1_11comp_targetILNS1_3genE8ELNS1_11target_archE1030ELNS1_3gpuE2ELNS1_3repE0EEENS1_30default_config_static_selectorELNS0_4arch9wavefront6targetE1EEEvSL_,comdat
.Lfunc_end1687:
	.size	_ZN7rocprim17ROCPRIM_400000_NS6detail17trampoline_kernelINS0_14default_configENS1_22reduce_config_selectorIiEEZNS1_11reduce_implILb1ES3_N6thrust23THRUST_200600_302600_NS11hip_rocprim35transform_pair_of_input_iterators_tIiPdSB_NS8_12not_equal_toIdEEEEPiiNS8_4plusIiEEEE10hipError_tPvRmT1_T2_T3_mT4_P12ihipStream_tbEUlT_E1_NS1_11comp_targetILNS1_3genE8ELNS1_11target_archE1030ELNS1_3gpuE2ELNS1_3repE0EEENS1_30default_config_static_selectorELNS0_4arch9wavefront6targetE1EEEvSL_, .Lfunc_end1687-_ZN7rocprim17ROCPRIM_400000_NS6detail17trampoline_kernelINS0_14default_configENS1_22reduce_config_selectorIiEEZNS1_11reduce_implILb1ES3_N6thrust23THRUST_200600_302600_NS11hip_rocprim35transform_pair_of_input_iterators_tIiPdSB_NS8_12not_equal_toIdEEEEPiiNS8_4plusIiEEEE10hipError_tPvRmT1_T2_T3_mT4_P12ihipStream_tbEUlT_E1_NS1_11comp_targetILNS1_3genE8ELNS1_11target_archE1030ELNS1_3gpuE2ELNS1_3repE0EEENS1_30default_config_static_selectorELNS0_4arch9wavefront6targetE1EEEvSL_
                                        ; -- End function
	.section	.AMDGPU.csdata,"",@progbits
; Kernel info:
; codeLenInByte = 0
; NumSgprs: 4
; NumVgprs: 0
; NumAgprs: 0
; TotalNumVgprs: 0
; ScratchSize: 0
; MemoryBound: 0
; FloatMode: 240
; IeeeMode: 1
; LDSByteSize: 0 bytes/workgroup (compile time only)
; SGPRBlocks: 0
; VGPRBlocks: 0
; NumSGPRsForWavesPerEU: 4
; NumVGPRsForWavesPerEU: 1
; AccumOffset: 4
; Occupancy: 8
; WaveLimiterHint : 0
; COMPUTE_PGM_RSRC2:SCRATCH_EN: 0
; COMPUTE_PGM_RSRC2:USER_SGPR: 6
; COMPUTE_PGM_RSRC2:TRAP_HANDLER: 0
; COMPUTE_PGM_RSRC2:TGID_X_EN: 1
; COMPUTE_PGM_RSRC2:TGID_Y_EN: 0
; COMPUTE_PGM_RSRC2:TGID_Z_EN: 0
; COMPUTE_PGM_RSRC2:TIDIG_COMP_CNT: 0
; COMPUTE_PGM_RSRC3_GFX90A:ACCUM_OFFSET: 0
; COMPUTE_PGM_RSRC3_GFX90A:TG_SPLIT: 0
	.section	.text._ZN7rocprim17ROCPRIM_400000_NS6detail17trampoline_kernelINS0_14default_configENS1_29reduce_by_key_config_selectorIdlN6thrust23THRUST_200600_302600_NS4plusIlEEEEZZNS1_33reduce_by_key_impl_wrapped_configILNS1_25lookback_scan_determinismE0ES3_S9_PdNS6_17constant_iteratorIiNS6_11use_defaultESE_EENS6_10device_ptrIdEENSG_IlEEPmS8_NS6_8equal_toIdEEEE10hipError_tPvRmT2_T3_mT4_T5_T6_T7_T8_P12ihipStream_tbENKUlT_T0_E_clISt17integral_constantIbLb0EES13_EEDaSY_SZ_EUlSY_E_NS1_11comp_targetILNS1_3genE0ELNS1_11target_archE4294967295ELNS1_3gpuE0ELNS1_3repE0EEENS1_30default_config_static_selectorELNS0_4arch9wavefront6targetE1EEEvT1_,"axG",@progbits,_ZN7rocprim17ROCPRIM_400000_NS6detail17trampoline_kernelINS0_14default_configENS1_29reduce_by_key_config_selectorIdlN6thrust23THRUST_200600_302600_NS4plusIlEEEEZZNS1_33reduce_by_key_impl_wrapped_configILNS1_25lookback_scan_determinismE0ES3_S9_PdNS6_17constant_iteratorIiNS6_11use_defaultESE_EENS6_10device_ptrIdEENSG_IlEEPmS8_NS6_8equal_toIdEEEE10hipError_tPvRmT2_T3_mT4_T5_T6_T7_T8_P12ihipStream_tbENKUlT_T0_E_clISt17integral_constantIbLb0EES13_EEDaSY_SZ_EUlSY_E_NS1_11comp_targetILNS1_3genE0ELNS1_11target_archE4294967295ELNS1_3gpuE0ELNS1_3repE0EEENS1_30default_config_static_selectorELNS0_4arch9wavefront6targetE1EEEvT1_,comdat
	.protected	_ZN7rocprim17ROCPRIM_400000_NS6detail17trampoline_kernelINS0_14default_configENS1_29reduce_by_key_config_selectorIdlN6thrust23THRUST_200600_302600_NS4plusIlEEEEZZNS1_33reduce_by_key_impl_wrapped_configILNS1_25lookback_scan_determinismE0ES3_S9_PdNS6_17constant_iteratorIiNS6_11use_defaultESE_EENS6_10device_ptrIdEENSG_IlEEPmS8_NS6_8equal_toIdEEEE10hipError_tPvRmT2_T3_mT4_T5_T6_T7_T8_P12ihipStream_tbENKUlT_T0_E_clISt17integral_constantIbLb0EES13_EEDaSY_SZ_EUlSY_E_NS1_11comp_targetILNS1_3genE0ELNS1_11target_archE4294967295ELNS1_3gpuE0ELNS1_3repE0EEENS1_30default_config_static_selectorELNS0_4arch9wavefront6targetE1EEEvT1_ ; -- Begin function _ZN7rocprim17ROCPRIM_400000_NS6detail17trampoline_kernelINS0_14default_configENS1_29reduce_by_key_config_selectorIdlN6thrust23THRUST_200600_302600_NS4plusIlEEEEZZNS1_33reduce_by_key_impl_wrapped_configILNS1_25lookback_scan_determinismE0ES3_S9_PdNS6_17constant_iteratorIiNS6_11use_defaultESE_EENS6_10device_ptrIdEENSG_IlEEPmS8_NS6_8equal_toIdEEEE10hipError_tPvRmT2_T3_mT4_T5_T6_T7_T8_P12ihipStream_tbENKUlT_T0_E_clISt17integral_constantIbLb0EES13_EEDaSY_SZ_EUlSY_E_NS1_11comp_targetILNS1_3genE0ELNS1_11target_archE4294967295ELNS1_3gpuE0ELNS1_3repE0EEENS1_30default_config_static_selectorELNS0_4arch9wavefront6targetE1EEEvT1_
	.globl	_ZN7rocprim17ROCPRIM_400000_NS6detail17trampoline_kernelINS0_14default_configENS1_29reduce_by_key_config_selectorIdlN6thrust23THRUST_200600_302600_NS4plusIlEEEEZZNS1_33reduce_by_key_impl_wrapped_configILNS1_25lookback_scan_determinismE0ES3_S9_PdNS6_17constant_iteratorIiNS6_11use_defaultESE_EENS6_10device_ptrIdEENSG_IlEEPmS8_NS6_8equal_toIdEEEE10hipError_tPvRmT2_T3_mT4_T5_T6_T7_T8_P12ihipStream_tbENKUlT_T0_E_clISt17integral_constantIbLb0EES13_EEDaSY_SZ_EUlSY_E_NS1_11comp_targetILNS1_3genE0ELNS1_11target_archE4294967295ELNS1_3gpuE0ELNS1_3repE0EEENS1_30default_config_static_selectorELNS0_4arch9wavefront6targetE1EEEvT1_
	.p2align	8
	.type	_ZN7rocprim17ROCPRIM_400000_NS6detail17trampoline_kernelINS0_14default_configENS1_29reduce_by_key_config_selectorIdlN6thrust23THRUST_200600_302600_NS4plusIlEEEEZZNS1_33reduce_by_key_impl_wrapped_configILNS1_25lookback_scan_determinismE0ES3_S9_PdNS6_17constant_iteratorIiNS6_11use_defaultESE_EENS6_10device_ptrIdEENSG_IlEEPmS8_NS6_8equal_toIdEEEE10hipError_tPvRmT2_T3_mT4_T5_T6_T7_T8_P12ihipStream_tbENKUlT_T0_E_clISt17integral_constantIbLb0EES13_EEDaSY_SZ_EUlSY_E_NS1_11comp_targetILNS1_3genE0ELNS1_11target_archE4294967295ELNS1_3gpuE0ELNS1_3repE0EEENS1_30default_config_static_selectorELNS0_4arch9wavefront6targetE1EEEvT1_,@function
_ZN7rocprim17ROCPRIM_400000_NS6detail17trampoline_kernelINS0_14default_configENS1_29reduce_by_key_config_selectorIdlN6thrust23THRUST_200600_302600_NS4plusIlEEEEZZNS1_33reduce_by_key_impl_wrapped_configILNS1_25lookback_scan_determinismE0ES3_S9_PdNS6_17constant_iteratorIiNS6_11use_defaultESE_EENS6_10device_ptrIdEENSG_IlEEPmS8_NS6_8equal_toIdEEEE10hipError_tPvRmT2_T3_mT4_T5_T6_T7_T8_P12ihipStream_tbENKUlT_T0_E_clISt17integral_constantIbLb0EES13_EEDaSY_SZ_EUlSY_E_NS1_11comp_targetILNS1_3genE0ELNS1_11target_archE4294967295ELNS1_3gpuE0ELNS1_3repE0EEENS1_30default_config_static_selectorELNS0_4arch9wavefront6targetE1EEEvT1_: ; @_ZN7rocprim17ROCPRIM_400000_NS6detail17trampoline_kernelINS0_14default_configENS1_29reduce_by_key_config_selectorIdlN6thrust23THRUST_200600_302600_NS4plusIlEEEEZZNS1_33reduce_by_key_impl_wrapped_configILNS1_25lookback_scan_determinismE0ES3_S9_PdNS6_17constant_iteratorIiNS6_11use_defaultESE_EENS6_10device_ptrIdEENSG_IlEEPmS8_NS6_8equal_toIdEEEE10hipError_tPvRmT2_T3_mT4_T5_T6_T7_T8_P12ihipStream_tbENKUlT_T0_E_clISt17integral_constantIbLb0EES13_EEDaSY_SZ_EUlSY_E_NS1_11comp_targetILNS1_3genE0ELNS1_11target_archE4294967295ELNS1_3gpuE0ELNS1_3repE0EEENS1_30default_config_static_selectorELNS0_4arch9wavefront6targetE1EEEvT1_
; %bb.0:
	.section	.rodata,"a",@progbits
	.p2align	6, 0x0
	.amdhsa_kernel _ZN7rocprim17ROCPRIM_400000_NS6detail17trampoline_kernelINS0_14default_configENS1_29reduce_by_key_config_selectorIdlN6thrust23THRUST_200600_302600_NS4plusIlEEEEZZNS1_33reduce_by_key_impl_wrapped_configILNS1_25lookback_scan_determinismE0ES3_S9_PdNS6_17constant_iteratorIiNS6_11use_defaultESE_EENS6_10device_ptrIdEENSG_IlEEPmS8_NS6_8equal_toIdEEEE10hipError_tPvRmT2_T3_mT4_T5_T6_T7_T8_P12ihipStream_tbENKUlT_T0_E_clISt17integral_constantIbLb0EES13_EEDaSY_SZ_EUlSY_E_NS1_11comp_targetILNS1_3genE0ELNS1_11target_archE4294967295ELNS1_3gpuE0ELNS1_3repE0EEENS1_30default_config_static_selectorELNS0_4arch9wavefront6targetE1EEEvT1_
		.amdhsa_group_segment_fixed_size 0
		.amdhsa_private_segment_fixed_size 0
		.amdhsa_kernarg_size 144
		.amdhsa_user_sgpr_count 6
		.amdhsa_user_sgpr_private_segment_buffer 1
		.amdhsa_user_sgpr_dispatch_ptr 0
		.amdhsa_user_sgpr_queue_ptr 0
		.amdhsa_user_sgpr_kernarg_segment_ptr 1
		.amdhsa_user_sgpr_dispatch_id 0
		.amdhsa_user_sgpr_flat_scratch_init 0
		.amdhsa_user_sgpr_kernarg_preload_length 0
		.amdhsa_user_sgpr_kernarg_preload_offset 0
		.amdhsa_user_sgpr_private_segment_size 0
		.amdhsa_uses_dynamic_stack 0
		.amdhsa_system_sgpr_private_segment_wavefront_offset 0
		.amdhsa_system_sgpr_workgroup_id_x 1
		.amdhsa_system_sgpr_workgroup_id_y 0
		.amdhsa_system_sgpr_workgroup_id_z 0
		.amdhsa_system_sgpr_workgroup_info 0
		.amdhsa_system_vgpr_workitem_id 0
		.amdhsa_next_free_vgpr 1
		.amdhsa_next_free_sgpr 0
		.amdhsa_accum_offset 4
		.amdhsa_reserve_vcc 0
		.amdhsa_reserve_flat_scratch 0
		.amdhsa_float_round_mode_32 0
		.amdhsa_float_round_mode_16_64 0
		.amdhsa_float_denorm_mode_32 3
		.amdhsa_float_denorm_mode_16_64 3
		.amdhsa_dx10_clamp 1
		.amdhsa_ieee_mode 1
		.amdhsa_fp16_overflow 0
		.amdhsa_tg_split 0
		.amdhsa_exception_fp_ieee_invalid_op 0
		.amdhsa_exception_fp_denorm_src 0
		.amdhsa_exception_fp_ieee_div_zero 0
		.amdhsa_exception_fp_ieee_overflow 0
		.amdhsa_exception_fp_ieee_underflow 0
		.amdhsa_exception_fp_ieee_inexact 0
		.amdhsa_exception_int_div_zero 0
	.end_amdhsa_kernel
	.section	.text._ZN7rocprim17ROCPRIM_400000_NS6detail17trampoline_kernelINS0_14default_configENS1_29reduce_by_key_config_selectorIdlN6thrust23THRUST_200600_302600_NS4plusIlEEEEZZNS1_33reduce_by_key_impl_wrapped_configILNS1_25lookback_scan_determinismE0ES3_S9_PdNS6_17constant_iteratorIiNS6_11use_defaultESE_EENS6_10device_ptrIdEENSG_IlEEPmS8_NS6_8equal_toIdEEEE10hipError_tPvRmT2_T3_mT4_T5_T6_T7_T8_P12ihipStream_tbENKUlT_T0_E_clISt17integral_constantIbLb0EES13_EEDaSY_SZ_EUlSY_E_NS1_11comp_targetILNS1_3genE0ELNS1_11target_archE4294967295ELNS1_3gpuE0ELNS1_3repE0EEENS1_30default_config_static_selectorELNS0_4arch9wavefront6targetE1EEEvT1_,"axG",@progbits,_ZN7rocprim17ROCPRIM_400000_NS6detail17trampoline_kernelINS0_14default_configENS1_29reduce_by_key_config_selectorIdlN6thrust23THRUST_200600_302600_NS4plusIlEEEEZZNS1_33reduce_by_key_impl_wrapped_configILNS1_25lookback_scan_determinismE0ES3_S9_PdNS6_17constant_iteratorIiNS6_11use_defaultESE_EENS6_10device_ptrIdEENSG_IlEEPmS8_NS6_8equal_toIdEEEE10hipError_tPvRmT2_T3_mT4_T5_T6_T7_T8_P12ihipStream_tbENKUlT_T0_E_clISt17integral_constantIbLb0EES13_EEDaSY_SZ_EUlSY_E_NS1_11comp_targetILNS1_3genE0ELNS1_11target_archE4294967295ELNS1_3gpuE0ELNS1_3repE0EEENS1_30default_config_static_selectorELNS0_4arch9wavefront6targetE1EEEvT1_,comdat
.Lfunc_end1688:
	.size	_ZN7rocprim17ROCPRIM_400000_NS6detail17trampoline_kernelINS0_14default_configENS1_29reduce_by_key_config_selectorIdlN6thrust23THRUST_200600_302600_NS4plusIlEEEEZZNS1_33reduce_by_key_impl_wrapped_configILNS1_25lookback_scan_determinismE0ES3_S9_PdNS6_17constant_iteratorIiNS6_11use_defaultESE_EENS6_10device_ptrIdEENSG_IlEEPmS8_NS6_8equal_toIdEEEE10hipError_tPvRmT2_T3_mT4_T5_T6_T7_T8_P12ihipStream_tbENKUlT_T0_E_clISt17integral_constantIbLb0EES13_EEDaSY_SZ_EUlSY_E_NS1_11comp_targetILNS1_3genE0ELNS1_11target_archE4294967295ELNS1_3gpuE0ELNS1_3repE0EEENS1_30default_config_static_selectorELNS0_4arch9wavefront6targetE1EEEvT1_, .Lfunc_end1688-_ZN7rocprim17ROCPRIM_400000_NS6detail17trampoline_kernelINS0_14default_configENS1_29reduce_by_key_config_selectorIdlN6thrust23THRUST_200600_302600_NS4plusIlEEEEZZNS1_33reduce_by_key_impl_wrapped_configILNS1_25lookback_scan_determinismE0ES3_S9_PdNS6_17constant_iteratorIiNS6_11use_defaultESE_EENS6_10device_ptrIdEENSG_IlEEPmS8_NS6_8equal_toIdEEEE10hipError_tPvRmT2_T3_mT4_T5_T6_T7_T8_P12ihipStream_tbENKUlT_T0_E_clISt17integral_constantIbLb0EES13_EEDaSY_SZ_EUlSY_E_NS1_11comp_targetILNS1_3genE0ELNS1_11target_archE4294967295ELNS1_3gpuE0ELNS1_3repE0EEENS1_30default_config_static_selectorELNS0_4arch9wavefront6targetE1EEEvT1_
                                        ; -- End function
	.section	.AMDGPU.csdata,"",@progbits
; Kernel info:
; codeLenInByte = 0
; NumSgprs: 4
; NumVgprs: 0
; NumAgprs: 0
; TotalNumVgprs: 0
; ScratchSize: 0
; MemoryBound: 0
; FloatMode: 240
; IeeeMode: 1
; LDSByteSize: 0 bytes/workgroup (compile time only)
; SGPRBlocks: 0
; VGPRBlocks: 0
; NumSGPRsForWavesPerEU: 4
; NumVGPRsForWavesPerEU: 1
; AccumOffset: 4
; Occupancy: 8
; WaveLimiterHint : 0
; COMPUTE_PGM_RSRC2:SCRATCH_EN: 0
; COMPUTE_PGM_RSRC2:USER_SGPR: 6
; COMPUTE_PGM_RSRC2:TRAP_HANDLER: 0
; COMPUTE_PGM_RSRC2:TGID_X_EN: 1
; COMPUTE_PGM_RSRC2:TGID_Y_EN: 0
; COMPUTE_PGM_RSRC2:TGID_Z_EN: 0
; COMPUTE_PGM_RSRC2:TIDIG_COMP_CNT: 0
; COMPUTE_PGM_RSRC3_GFX90A:ACCUM_OFFSET: 0
; COMPUTE_PGM_RSRC3_GFX90A:TG_SPLIT: 0
	.section	.text._ZN7rocprim17ROCPRIM_400000_NS6detail17trampoline_kernelINS0_14default_configENS1_29reduce_by_key_config_selectorIdlN6thrust23THRUST_200600_302600_NS4plusIlEEEEZZNS1_33reduce_by_key_impl_wrapped_configILNS1_25lookback_scan_determinismE0ES3_S9_PdNS6_17constant_iteratorIiNS6_11use_defaultESE_EENS6_10device_ptrIdEENSG_IlEEPmS8_NS6_8equal_toIdEEEE10hipError_tPvRmT2_T3_mT4_T5_T6_T7_T8_P12ihipStream_tbENKUlT_T0_E_clISt17integral_constantIbLb0EES13_EEDaSY_SZ_EUlSY_E_NS1_11comp_targetILNS1_3genE5ELNS1_11target_archE942ELNS1_3gpuE9ELNS1_3repE0EEENS1_30default_config_static_selectorELNS0_4arch9wavefront6targetE1EEEvT1_,"axG",@progbits,_ZN7rocprim17ROCPRIM_400000_NS6detail17trampoline_kernelINS0_14default_configENS1_29reduce_by_key_config_selectorIdlN6thrust23THRUST_200600_302600_NS4plusIlEEEEZZNS1_33reduce_by_key_impl_wrapped_configILNS1_25lookback_scan_determinismE0ES3_S9_PdNS6_17constant_iteratorIiNS6_11use_defaultESE_EENS6_10device_ptrIdEENSG_IlEEPmS8_NS6_8equal_toIdEEEE10hipError_tPvRmT2_T3_mT4_T5_T6_T7_T8_P12ihipStream_tbENKUlT_T0_E_clISt17integral_constantIbLb0EES13_EEDaSY_SZ_EUlSY_E_NS1_11comp_targetILNS1_3genE5ELNS1_11target_archE942ELNS1_3gpuE9ELNS1_3repE0EEENS1_30default_config_static_selectorELNS0_4arch9wavefront6targetE1EEEvT1_,comdat
	.protected	_ZN7rocprim17ROCPRIM_400000_NS6detail17trampoline_kernelINS0_14default_configENS1_29reduce_by_key_config_selectorIdlN6thrust23THRUST_200600_302600_NS4plusIlEEEEZZNS1_33reduce_by_key_impl_wrapped_configILNS1_25lookback_scan_determinismE0ES3_S9_PdNS6_17constant_iteratorIiNS6_11use_defaultESE_EENS6_10device_ptrIdEENSG_IlEEPmS8_NS6_8equal_toIdEEEE10hipError_tPvRmT2_T3_mT4_T5_T6_T7_T8_P12ihipStream_tbENKUlT_T0_E_clISt17integral_constantIbLb0EES13_EEDaSY_SZ_EUlSY_E_NS1_11comp_targetILNS1_3genE5ELNS1_11target_archE942ELNS1_3gpuE9ELNS1_3repE0EEENS1_30default_config_static_selectorELNS0_4arch9wavefront6targetE1EEEvT1_ ; -- Begin function _ZN7rocprim17ROCPRIM_400000_NS6detail17trampoline_kernelINS0_14default_configENS1_29reduce_by_key_config_selectorIdlN6thrust23THRUST_200600_302600_NS4plusIlEEEEZZNS1_33reduce_by_key_impl_wrapped_configILNS1_25lookback_scan_determinismE0ES3_S9_PdNS6_17constant_iteratorIiNS6_11use_defaultESE_EENS6_10device_ptrIdEENSG_IlEEPmS8_NS6_8equal_toIdEEEE10hipError_tPvRmT2_T3_mT4_T5_T6_T7_T8_P12ihipStream_tbENKUlT_T0_E_clISt17integral_constantIbLb0EES13_EEDaSY_SZ_EUlSY_E_NS1_11comp_targetILNS1_3genE5ELNS1_11target_archE942ELNS1_3gpuE9ELNS1_3repE0EEENS1_30default_config_static_selectorELNS0_4arch9wavefront6targetE1EEEvT1_
	.globl	_ZN7rocprim17ROCPRIM_400000_NS6detail17trampoline_kernelINS0_14default_configENS1_29reduce_by_key_config_selectorIdlN6thrust23THRUST_200600_302600_NS4plusIlEEEEZZNS1_33reduce_by_key_impl_wrapped_configILNS1_25lookback_scan_determinismE0ES3_S9_PdNS6_17constant_iteratorIiNS6_11use_defaultESE_EENS6_10device_ptrIdEENSG_IlEEPmS8_NS6_8equal_toIdEEEE10hipError_tPvRmT2_T3_mT4_T5_T6_T7_T8_P12ihipStream_tbENKUlT_T0_E_clISt17integral_constantIbLb0EES13_EEDaSY_SZ_EUlSY_E_NS1_11comp_targetILNS1_3genE5ELNS1_11target_archE942ELNS1_3gpuE9ELNS1_3repE0EEENS1_30default_config_static_selectorELNS0_4arch9wavefront6targetE1EEEvT1_
	.p2align	8
	.type	_ZN7rocprim17ROCPRIM_400000_NS6detail17trampoline_kernelINS0_14default_configENS1_29reduce_by_key_config_selectorIdlN6thrust23THRUST_200600_302600_NS4plusIlEEEEZZNS1_33reduce_by_key_impl_wrapped_configILNS1_25lookback_scan_determinismE0ES3_S9_PdNS6_17constant_iteratorIiNS6_11use_defaultESE_EENS6_10device_ptrIdEENSG_IlEEPmS8_NS6_8equal_toIdEEEE10hipError_tPvRmT2_T3_mT4_T5_T6_T7_T8_P12ihipStream_tbENKUlT_T0_E_clISt17integral_constantIbLb0EES13_EEDaSY_SZ_EUlSY_E_NS1_11comp_targetILNS1_3genE5ELNS1_11target_archE942ELNS1_3gpuE9ELNS1_3repE0EEENS1_30default_config_static_selectorELNS0_4arch9wavefront6targetE1EEEvT1_,@function
_ZN7rocprim17ROCPRIM_400000_NS6detail17trampoline_kernelINS0_14default_configENS1_29reduce_by_key_config_selectorIdlN6thrust23THRUST_200600_302600_NS4plusIlEEEEZZNS1_33reduce_by_key_impl_wrapped_configILNS1_25lookback_scan_determinismE0ES3_S9_PdNS6_17constant_iteratorIiNS6_11use_defaultESE_EENS6_10device_ptrIdEENSG_IlEEPmS8_NS6_8equal_toIdEEEE10hipError_tPvRmT2_T3_mT4_T5_T6_T7_T8_P12ihipStream_tbENKUlT_T0_E_clISt17integral_constantIbLb0EES13_EEDaSY_SZ_EUlSY_E_NS1_11comp_targetILNS1_3genE5ELNS1_11target_archE942ELNS1_3gpuE9ELNS1_3repE0EEENS1_30default_config_static_selectorELNS0_4arch9wavefront6targetE1EEEvT1_: ; @_ZN7rocprim17ROCPRIM_400000_NS6detail17trampoline_kernelINS0_14default_configENS1_29reduce_by_key_config_selectorIdlN6thrust23THRUST_200600_302600_NS4plusIlEEEEZZNS1_33reduce_by_key_impl_wrapped_configILNS1_25lookback_scan_determinismE0ES3_S9_PdNS6_17constant_iteratorIiNS6_11use_defaultESE_EENS6_10device_ptrIdEENSG_IlEEPmS8_NS6_8equal_toIdEEEE10hipError_tPvRmT2_T3_mT4_T5_T6_T7_T8_P12ihipStream_tbENKUlT_T0_E_clISt17integral_constantIbLb0EES13_EEDaSY_SZ_EUlSY_E_NS1_11comp_targetILNS1_3genE5ELNS1_11target_archE942ELNS1_3gpuE9ELNS1_3repE0EEENS1_30default_config_static_selectorELNS0_4arch9wavefront6targetE1EEEvT1_
; %bb.0:
	.section	.rodata,"a",@progbits
	.p2align	6, 0x0
	.amdhsa_kernel _ZN7rocprim17ROCPRIM_400000_NS6detail17trampoline_kernelINS0_14default_configENS1_29reduce_by_key_config_selectorIdlN6thrust23THRUST_200600_302600_NS4plusIlEEEEZZNS1_33reduce_by_key_impl_wrapped_configILNS1_25lookback_scan_determinismE0ES3_S9_PdNS6_17constant_iteratorIiNS6_11use_defaultESE_EENS6_10device_ptrIdEENSG_IlEEPmS8_NS6_8equal_toIdEEEE10hipError_tPvRmT2_T3_mT4_T5_T6_T7_T8_P12ihipStream_tbENKUlT_T0_E_clISt17integral_constantIbLb0EES13_EEDaSY_SZ_EUlSY_E_NS1_11comp_targetILNS1_3genE5ELNS1_11target_archE942ELNS1_3gpuE9ELNS1_3repE0EEENS1_30default_config_static_selectorELNS0_4arch9wavefront6targetE1EEEvT1_
		.amdhsa_group_segment_fixed_size 0
		.amdhsa_private_segment_fixed_size 0
		.amdhsa_kernarg_size 144
		.amdhsa_user_sgpr_count 6
		.amdhsa_user_sgpr_private_segment_buffer 1
		.amdhsa_user_sgpr_dispatch_ptr 0
		.amdhsa_user_sgpr_queue_ptr 0
		.amdhsa_user_sgpr_kernarg_segment_ptr 1
		.amdhsa_user_sgpr_dispatch_id 0
		.amdhsa_user_sgpr_flat_scratch_init 0
		.amdhsa_user_sgpr_kernarg_preload_length 0
		.amdhsa_user_sgpr_kernarg_preload_offset 0
		.amdhsa_user_sgpr_private_segment_size 0
		.amdhsa_uses_dynamic_stack 0
		.amdhsa_system_sgpr_private_segment_wavefront_offset 0
		.amdhsa_system_sgpr_workgroup_id_x 1
		.amdhsa_system_sgpr_workgroup_id_y 0
		.amdhsa_system_sgpr_workgroup_id_z 0
		.amdhsa_system_sgpr_workgroup_info 0
		.amdhsa_system_vgpr_workitem_id 0
		.amdhsa_next_free_vgpr 1
		.amdhsa_next_free_sgpr 0
		.amdhsa_accum_offset 4
		.amdhsa_reserve_vcc 0
		.amdhsa_reserve_flat_scratch 0
		.amdhsa_float_round_mode_32 0
		.amdhsa_float_round_mode_16_64 0
		.amdhsa_float_denorm_mode_32 3
		.amdhsa_float_denorm_mode_16_64 3
		.amdhsa_dx10_clamp 1
		.amdhsa_ieee_mode 1
		.amdhsa_fp16_overflow 0
		.amdhsa_tg_split 0
		.amdhsa_exception_fp_ieee_invalid_op 0
		.amdhsa_exception_fp_denorm_src 0
		.amdhsa_exception_fp_ieee_div_zero 0
		.amdhsa_exception_fp_ieee_overflow 0
		.amdhsa_exception_fp_ieee_underflow 0
		.amdhsa_exception_fp_ieee_inexact 0
		.amdhsa_exception_int_div_zero 0
	.end_amdhsa_kernel
	.section	.text._ZN7rocprim17ROCPRIM_400000_NS6detail17trampoline_kernelINS0_14default_configENS1_29reduce_by_key_config_selectorIdlN6thrust23THRUST_200600_302600_NS4plusIlEEEEZZNS1_33reduce_by_key_impl_wrapped_configILNS1_25lookback_scan_determinismE0ES3_S9_PdNS6_17constant_iteratorIiNS6_11use_defaultESE_EENS6_10device_ptrIdEENSG_IlEEPmS8_NS6_8equal_toIdEEEE10hipError_tPvRmT2_T3_mT4_T5_T6_T7_T8_P12ihipStream_tbENKUlT_T0_E_clISt17integral_constantIbLb0EES13_EEDaSY_SZ_EUlSY_E_NS1_11comp_targetILNS1_3genE5ELNS1_11target_archE942ELNS1_3gpuE9ELNS1_3repE0EEENS1_30default_config_static_selectorELNS0_4arch9wavefront6targetE1EEEvT1_,"axG",@progbits,_ZN7rocprim17ROCPRIM_400000_NS6detail17trampoline_kernelINS0_14default_configENS1_29reduce_by_key_config_selectorIdlN6thrust23THRUST_200600_302600_NS4plusIlEEEEZZNS1_33reduce_by_key_impl_wrapped_configILNS1_25lookback_scan_determinismE0ES3_S9_PdNS6_17constant_iteratorIiNS6_11use_defaultESE_EENS6_10device_ptrIdEENSG_IlEEPmS8_NS6_8equal_toIdEEEE10hipError_tPvRmT2_T3_mT4_T5_T6_T7_T8_P12ihipStream_tbENKUlT_T0_E_clISt17integral_constantIbLb0EES13_EEDaSY_SZ_EUlSY_E_NS1_11comp_targetILNS1_3genE5ELNS1_11target_archE942ELNS1_3gpuE9ELNS1_3repE0EEENS1_30default_config_static_selectorELNS0_4arch9wavefront6targetE1EEEvT1_,comdat
.Lfunc_end1689:
	.size	_ZN7rocprim17ROCPRIM_400000_NS6detail17trampoline_kernelINS0_14default_configENS1_29reduce_by_key_config_selectorIdlN6thrust23THRUST_200600_302600_NS4plusIlEEEEZZNS1_33reduce_by_key_impl_wrapped_configILNS1_25lookback_scan_determinismE0ES3_S9_PdNS6_17constant_iteratorIiNS6_11use_defaultESE_EENS6_10device_ptrIdEENSG_IlEEPmS8_NS6_8equal_toIdEEEE10hipError_tPvRmT2_T3_mT4_T5_T6_T7_T8_P12ihipStream_tbENKUlT_T0_E_clISt17integral_constantIbLb0EES13_EEDaSY_SZ_EUlSY_E_NS1_11comp_targetILNS1_3genE5ELNS1_11target_archE942ELNS1_3gpuE9ELNS1_3repE0EEENS1_30default_config_static_selectorELNS0_4arch9wavefront6targetE1EEEvT1_, .Lfunc_end1689-_ZN7rocprim17ROCPRIM_400000_NS6detail17trampoline_kernelINS0_14default_configENS1_29reduce_by_key_config_selectorIdlN6thrust23THRUST_200600_302600_NS4plusIlEEEEZZNS1_33reduce_by_key_impl_wrapped_configILNS1_25lookback_scan_determinismE0ES3_S9_PdNS6_17constant_iteratorIiNS6_11use_defaultESE_EENS6_10device_ptrIdEENSG_IlEEPmS8_NS6_8equal_toIdEEEE10hipError_tPvRmT2_T3_mT4_T5_T6_T7_T8_P12ihipStream_tbENKUlT_T0_E_clISt17integral_constantIbLb0EES13_EEDaSY_SZ_EUlSY_E_NS1_11comp_targetILNS1_3genE5ELNS1_11target_archE942ELNS1_3gpuE9ELNS1_3repE0EEENS1_30default_config_static_selectorELNS0_4arch9wavefront6targetE1EEEvT1_
                                        ; -- End function
	.section	.AMDGPU.csdata,"",@progbits
; Kernel info:
; codeLenInByte = 0
; NumSgprs: 4
; NumVgprs: 0
; NumAgprs: 0
; TotalNumVgprs: 0
; ScratchSize: 0
; MemoryBound: 0
; FloatMode: 240
; IeeeMode: 1
; LDSByteSize: 0 bytes/workgroup (compile time only)
; SGPRBlocks: 0
; VGPRBlocks: 0
; NumSGPRsForWavesPerEU: 4
; NumVGPRsForWavesPerEU: 1
; AccumOffset: 4
; Occupancy: 8
; WaveLimiterHint : 0
; COMPUTE_PGM_RSRC2:SCRATCH_EN: 0
; COMPUTE_PGM_RSRC2:USER_SGPR: 6
; COMPUTE_PGM_RSRC2:TRAP_HANDLER: 0
; COMPUTE_PGM_RSRC2:TGID_X_EN: 1
; COMPUTE_PGM_RSRC2:TGID_Y_EN: 0
; COMPUTE_PGM_RSRC2:TGID_Z_EN: 0
; COMPUTE_PGM_RSRC2:TIDIG_COMP_CNT: 0
; COMPUTE_PGM_RSRC3_GFX90A:ACCUM_OFFSET: 0
; COMPUTE_PGM_RSRC3_GFX90A:TG_SPLIT: 0
	.section	.text._ZN7rocprim17ROCPRIM_400000_NS6detail17trampoline_kernelINS0_14default_configENS1_29reduce_by_key_config_selectorIdlN6thrust23THRUST_200600_302600_NS4plusIlEEEEZZNS1_33reduce_by_key_impl_wrapped_configILNS1_25lookback_scan_determinismE0ES3_S9_PdNS6_17constant_iteratorIiNS6_11use_defaultESE_EENS6_10device_ptrIdEENSG_IlEEPmS8_NS6_8equal_toIdEEEE10hipError_tPvRmT2_T3_mT4_T5_T6_T7_T8_P12ihipStream_tbENKUlT_T0_E_clISt17integral_constantIbLb0EES13_EEDaSY_SZ_EUlSY_E_NS1_11comp_targetILNS1_3genE4ELNS1_11target_archE910ELNS1_3gpuE8ELNS1_3repE0EEENS1_30default_config_static_selectorELNS0_4arch9wavefront6targetE1EEEvT1_,"axG",@progbits,_ZN7rocprim17ROCPRIM_400000_NS6detail17trampoline_kernelINS0_14default_configENS1_29reduce_by_key_config_selectorIdlN6thrust23THRUST_200600_302600_NS4plusIlEEEEZZNS1_33reduce_by_key_impl_wrapped_configILNS1_25lookback_scan_determinismE0ES3_S9_PdNS6_17constant_iteratorIiNS6_11use_defaultESE_EENS6_10device_ptrIdEENSG_IlEEPmS8_NS6_8equal_toIdEEEE10hipError_tPvRmT2_T3_mT4_T5_T6_T7_T8_P12ihipStream_tbENKUlT_T0_E_clISt17integral_constantIbLb0EES13_EEDaSY_SZ_EUlSY_E_NS1_11comp_targetILNS1_3genE4ELNS1_11target_archE910ELNS1_3gpuE8ELNS1_3repE0EEENS1_30default_config_static_selectorELNS0_4arch9wavefront6targetE1EEEvT1_,comdat
	.protected	_ZN7rocprim17ROCPRIM_400000_NS6detail17trampoline_kernelINS0_14default_configENS1_29reduce_by_key_config_selectorIdlN6thrust23THRUST_200600_302600_NS4plusIlEEEEZZNS1_33reduce_by_key_impl_wrapped_configILNS1_25lookback_scan_determinismE0ES3_S9_PdNS6_17constant_iteratorIiNS6_11use_defaultESE_EENS6_10device_ptrIdEENSG_IlEEPmS8_NS6_8equal_toIdEEEE10hipError_tPvRmT2_T3_mT4_T5_T6_T7_T8_P12ihipStream_tbENKUlT_T0_E_clISt17integral_constantIbLb0EES13_EEDaSY_SZ_EUlSY_E_NS1_11comp_targetILNS1_3genE4ELNS1_11target_archE910ELNS1_3gpuE8ELNS1_3repE0EEENS1_30default_config_static_selectorELNS0_4arch9wavefront6targetE1EEEvT1_ ; -- Begin function _ZN7rocprim17ROCPRIM_400000_NS6detail17trampoline_kernelINS0_14default_configENS1_29reduce_by_key_config_selectorIdlN6thrust23THRUST_200600_302600_NS4plusIlEEEEZZNS1_33reduce_by_key_impl_wrapped_configILNS1_25lookback_scan_determinismE0ES3_S9_PdNS6_17constant_iteratorIiNS6_11use_defaultESE_EENS6_10device_ptrIdEENSG_IlEEPmS8_NS6_8equal_toIdEEEE10hipError_tPvRmT2_T3_mT4_T5_T6_T7_T8_P12ihipStream_tbENKUlT_T0_E_clISt17integral_constantIbLb0EES13_EEDaSY_SZ_EUlSY_E_NS1_11comp_targetILNS1_3genE4ELNS1_11target_archE910ELNS1_3gpuE8ELNS1_3repE0EEENS1_30default_config_static_selectorELNS0_4arch9wavefront6targetE1EEEvT1_
	.globl	_ZN7rocprim17ROCPRIM_400000_NS6detail17trampoline_kernelINS0_14default_configENS1_29reduce_by_key_config_selectorIdlN6thrust23THRUST_200600_302600_NS4plusIlEEEEZZNS1_33reduce_by_key_impl_wrapped_configILNS1_25lookback_scan_determinismE0ES3_S9_PdNS6_17constant_iteratorIiNS6_11use_defaultESE_EENS6_10device_ptrIdEENSG_IlEEPmS8_NS6_8equal_toIdEEEE10hipError_tPvRmT2_T3_mT4_T5_T6_T7_T8_P12ihipStream_tbENKUlT_T0_E_clISt17integral_constantIbLb0EES13_EEDaSY_SZ_EUlSY_E_NS1_11comp_targetILNS1_3genE4ELNS1_11target_archE910ELNS1_3gpuE8ELNS1_3repE0EEENS1_30default_config_static_selectorELNS0_4arch9wavefront6targetE1EEEvT1_
	.p2align	8
	.type	_ZN7rocprim17ROCPRIM_400000_NS6detail17trampoline_kernelINS0_14default_configENS1_29reduce_by_key_config_selectorIdlN6thrust23THRUST_200600_302600_NS4plusIlEEEEZZNS1_33reduce_by_key_impl_wrapped_configILNS1_25lookback_scan_determinismE0ES3_S9_PdNS6_17constant_iteratorIiNS6_11use_defaultESE_EENS6_10device_ptrIdEENSG_IlEEPmS8_NS6_8equal_toIdEEEE10hipError_tPvRmT2_T3_mT4_T5_T6_T7_T8_P12ihipStream_tbENKUlT_T0_E_clISt17integral_constantIbLb0EES13_EEDaSY_SZ_EUlSY_E_NS1_11comp_targetILNS1_3genE4ELNS1_11target_archE910ELNS1_3gpuE8ELNS1_3repE0EEENS1_30default_config_static_selectorELNS0_4arch9wavefront6targetE1EEEvT1_,@function
_ZN7rocprim17ROCPRIM_400000_NS6detail17trampoline_kernelINS0_14default_configENS1_29reduce_by_key_config_selectorIdlN6thrust23THRUST_200600_302600_NS4plusIlEEEEZZNS1_33reduce_by_key_impl_wrapped_configILNS1_25lookback_scan_determinismE0ES3_S9_PdNS6_17constant_iteratorIiNS6_11use_defaultESE_EENS6_10device_ptrIdEENSG_IlEEPmS8_NS6_8equal_toIdEEEE10hipError_tPvRmT2_T3_mT4_T5_T6_T7_T8_P12ihipStream_tbENKUlT_T0_E_clISt17integral_constantIbLb0EES13_EEDaSY_SZ_EUlSY_E_NS1_11comp_targetILNS1_3genE4ELNS1_11target_archE910ELNS1_3gpuE8ELNS1_3repE0EEENS1_30default_config_static_selectorELNS0_4arch9wavefront6targetE1EEEvT1_: ; @_ZN7rocprim17ROCPRIM_400000_NS6detail17trampoline_kernelINS0_14default_configENS1_29reduce_by_key_config_selectorIdlN6thrust23THRUST_200600_302600_NS4plusIlEEEEZZNS1_33reduce_by_key_impl_wrapped_configILNS1_25lookback_scan_determinismE0ES3_S9_PdNS6_17constant_iteratorIiNS6_11use_defaultESE_EENS6_10device_ptrIdEENSG_IlEEPmS8_NS6_8equal_toIdEEEE10hipError_tPvRmT2_T3_mT4_T5_T6_T7_T8_P12ihipStream_tbENKUlT_T0_E_clISt17integral_constantIbLb0EES13_EEDaSY_SZ_EUlSY_E_NS1_11comp_targetILNS1_3genE4ELNS1_11target_archE910ELNS1_3gpuE8ELNS1_3repE0EEENS1_30default_config_static_selectorELNS0_4arch9wavefront6targetE1EEEvT1_
; %bb.0:
	s_load_dwordx16 s[36:51], s[4:5], 0x40
	s_load_dwordx4 s[8:11], s[4:5], 0x0
	s_load_dword s2, s[4:5], 0x18
	s_load_dwordx4 s[52:55], s[4:5], 0x20
	s_load_dwordx2 s[34:35], s[4:5], 0x30
	s_waitcnt lgkmcnt(0)
	s_mul_i32 s0, s44, s43
	s_mul_hi_u32 s1, s44, s42
	s_add_i32 s0, s1, s0
	s_mul_i32 s1, s45, s42
	s_add_i32 s3, s0, s1
	s_lshl_b64 s[0:1], s[10:11], 3
	s_add_u32 s8, s8, s0
	s_addc_u32 s9, s9, s1
	s_mul_i32 s0, s6, 0xf00
	s_mov_b32 s1, 0
	s_lshl_b64 s[0:1], s[0:1], 3
	s_add_u32 s58, s8, s0
	s_mul_i32 s7, s44, s42
	s_addc_u32 s59, s9, s1
	s_add_u32 s30, s7, s6
	s_addc_u32 s31, s3, 0
	s_add_u32 s10, s46, -1
	s_addc_u32 s11, s47, -1
	s_cmp_eq_u64 s[30:31], s[10:11]
	s_cselect_b64 s[44:45], -1, 0
	s_cmp_lg_u64 s[30:31], s[10:11]
	s_mov_b64 s[8:9], -1
	s_cselect_b64 s[0:1], -1, 0
	s_mul_i32 s33, s10, 0xfffff100
	s_and_b64 vcc, exec, s[44:45]
	s_cbranch_vccnz .LBB1690_2
; %bb.1:
	v_lshlrev_b32_e32 v38, 3, v0
	v_mov_b32_e32 v1, s59
	v_add_co_u32_e32 v30, vcc, s58, v38
	v_addc_co_u32_e32 v1, vcc, 0, v1, vcc
	v_add_co_u32_e32 v2, vcc, 0x1000, v30
	v_addc_co_u32_e32 v3, vcc, 0, v1, vcc
	global_load_dwordx2 v[4:5], v38, s[58:59]
	global_load_dwordx2 v[6:7], v38, s[58:59] offset:2048
	global_load_dwordx2 v[8:9], v[2:3], off
	global_load_dwordx2 v[10:11], v[2:3], off offset:2048
	v_add_co_u32_e32 v2, vcc, 0x2000, v30
	v_addc_co_u32_e32 v3, vcc, 0, v1, vcc
	v_add_co_u32_e32 v12, vcc, 0x3000, v30
	v_addc_co_u32_e32 v13, vcc, 0, v1, vcc
	global_load_dwordx2 v[14:15], v[2:3], off
	global_load_dwordx2 v[16:17], v[2:3], off offset:2048
	global_load_dwordx2 v[18:19], v[12:13], off
	global_load_dwordx2 v[20:21], v[12:13], off offset:2048
	v_add_co_u32_e32 v2, vcc, 0x4000, v30
	v_addc_co_u32_e32 v3, vcc, 0, v1, vcc
	v_add_co_u32_e32 v12, vcc, 0x5000, v30
	v_addc_co_u32_e32 v13, vcc, 0, v1, vcc
	global_load_dwordx2 v[22:23], v[2:3], off
	global_load_dwordx2 v[24:25], v[2:3], off offset:2048
	;; [unrolled: 8-line block ×3, first 2 shown]
	global_load_dwordx2 v[34:35], v[12:13], off
	s_movk_i32 s7, 0x70
	v_mad_u32_u24 v1, v0, s7, v38
	s_ashr_i32 s3, s2, 31
	v_pk_mov_b32 v[36:37], s[2:3], s[2:3] op_sel:[0,1]
	s_waitcnt vmcnt(13)
	ds_write2st64_b64 v38, v[4:5], v[6:7] offset1:4
	s_waitcnt vmcnt(11)
	ds_write2st64_b64 v38, v[8:9], v[10:11] offset0:8 offset1:12
	s_waitcnt vmcnt(9)
	ds_write2st64_b64 v38, v[14:15], v[16:17] offset0:16 offset1:20
	;; [unrolled: 2-line block ×6, first 2 shown]
	s_waitcnt vmcnt(0)
	ds_write_b64 v38, v[34:35] offset:28672
	s_waitcnt lgkmcnt(0)
	s_barrier
	ds_read2_b64 v[26:29], v1 offset1:1
	ds_read2_b64 v[22:25], v1 offset0:2 offset1:3
	ds_read2_b64 v[18:21], v1 offset0:4 offset1:5
	;; [unrolled: 1-line block ×6, first 2 shown]
	ds_read_b64 v[74:75], v1 offset:112
	s_waitcnt lgkmcnt(7)
	v_mov_b32_e32 v58, v26
	v_mov_b32_e32 v59, v27
	s_waitcnt lgkmcnt(6)
	v_mov_b32_e32 v60, v22
	v_mov_b32_e32 v61, v23
	;; [unrolled: 3-line block ×7, first 2 shown]
	s_waitcnt lgkmcnt(0)
	s_barrier
	ds_write2st64_b64 v38, v[36:37], v[36:37] offset1:4
	ds_write2st64_b64 v38, v[36:37], v[36:37] offset0:8 offset1:12
	ds_write2st64_b64 v38, v[36:37], v[36:37] offset0:16 offset1:20
	;; [unrolled: 1-line block ×6, first 2 shown]
	ds_write_b64 v38, v[36:37] offset:28672
	s_waitcnt lgkmcnt(0)
	s_barrier
	s_load_dwordx2 s[56:57], s[4:5], 0x80
	s_add_i32 s33, s33, s48
	s_cbranch_execz .LBB1690_3
	s_branch .LBB1690_34
.LBB1690_2:
                                        ; implicit-def: $vgpr74_vgpr75
                                        ; implicit-def: $vgpr2_vgpr3
                                        ; implicit-def: $vgpr6_vgpr7
                                        ; implicit-def: $vgpr10_vgpr11
                                        ; implicit-def: $vgpr14_vgpr15
                                        ; implicit-def: $vgpr18_vgpr19
                                        ; implicit-def: $vgpr22_vgpr23
                                        ; implicit-def: $vgpr26_vgpr27
                                        ; implicit-def: $vgpr1
                                        ; implicit-def: $vgpr66_vgpr67_vgpr68_vgpr69
                                        ; implicit-def: $vgpr62_vgpr63_vgpr64_vgpr65
                                        ; implicit-def: $vgpr58_vgpr59_vgpr60_vgpr61
                                        ; implicit-def: $vgpr70_vgpr71_vgpr72_vgpr73
	s_load_dwordx2 s[56:57], s[4:5], 0x80
	s_andn2_b64 vcc, exec, s[8:9]
	s_add_i32 s33, s33, s48
	s_cbranch_vccnz .LBB1690_34
.LBB1690_3:
	v_cmp_gt_u32_e32 vcc, s33, v0
                                        ; implicit-def: $vgpr2_vgpr3
	s_and_saveexec_b64 s[4:5], vcc
	s_cbranch_execz .LBB1690_5
; %bb.4:
	v_lshlrev_b32_e32 v1, 3, v0
	global_load_dwordx2 v[2:3], v1, s[58:59]
.LBB1690_5:
	s_or_b64 exec, exec, s[4:5]
	v_or_b32_e32 v1, 0x100, v0
	v_cmp_gt_u32_e32 vcc, s33, v1
                                        ; implicit-def: $vgpr4_vgpr5
	s_and_saveexec_b64 s[4:5], vcc
	s_cbranch_execz .LBB1690_7
; %bb.6:
	v_lshlrev_b32_e32 v1, 3, v0
	global_load_dwordx2 v[4:5], v1, s[58:59] offset:2048
.LBB1690_7:
	s_or_b64 exec, exec, s[4:5]
	v_or_b32_e32 v1, 0x200, v0
	v_cmp_gt_u32_e32 vcc, s33, v1
                                        ; implicit-def: $vgpr6_vgpr7
	s_and_saveexec_b64 s[4:5], vcc
	s_cbranch_execz .LBB1690_9
; %bb.8:
	v_lshlrev_b32_e32 v1, 3, v1
	global_load_dwordx2 v[6:7], v1, s[58:59]
.LBB1690_9:
	s_or_b64 exec, exec, s[4:5]
	v_or_b32_e32 v1, 0x300, v0
	v_cmp_gt_u32_e32 vcc, s33, v1
                                        ; implicit-def: $vgpr8_vgpr9
	s_and_saveexec_b64 s[4:5], vcc
	s_cbranch_execz .LBB1690_11
; %bb.10:
	v_lshlrev_b32_e32 v1, 3, v1
	global_load_dwordx2 v[8:9], v1, s[58:59]
.LBB1690_11:
	s_or_b64 exec, exec, s[4:5]
	v_or_b32_e32 v1, 0x400, v0
	v_cmp_gt_u32_e32 vcc, s33, v1
                                        ; implicit-def: $vgpr10_vgpr11
	s_and_saveexec_b64 s[4:5], vcc
	s_cbranch_execz .LBB1690_13
; %bb.12:
	v_lshlrev_b32_e32 v1, 3, v1
	global_load_dwordx2 v[10:11], v1, s[58:59]
.LBB1690_13:
	s_or_b64 exec, exec, s[4:5]
	v_or_b32_e32 v1, 0x500, v0
	v_cmp_gt_u32_e32 vcc, s33, v1
                                        ; implicit-def: $vgpr12_vgpr13
	s_and_saveexec_b64 s[4:5], vcc
	s_cbranch_execz .LBB1690_15
; %bb.14:
	v_lshlrev_b32_e32 v1, 3, v1
	global_load_dwordx2 v[12:13], v1, s[58:59]
.LBB1690_15:
	s_or_b64 exec, exec, s[4:5]
	v_or_b32_e32 v1, 0x600, v0
	v_cmp_gt_u32_e32 vcc, s33, v1
                                        ; implicit-def: $vgpr14_vgpr15
	s_and_saveexec_b64 s[4:5], vcc
	s_cbranch_execz .LBB1690_17
; %bb.16:
	v_lshlrev_b32_e32 v1, 3, v1
	global_load_dwordx2 v[14:15], v1, s[58:59]
.LBB1690_17:
	s_or_b64 exec, exec, s[4:5]
	v_or_b32_e32 v1, 0x700, v0
	v_cmp_gt_u32_e32 vcc, s33, v1
                                        ; implicit-def: $vgpr16_vgpr17
	s_and_saveexec_b64 s[4:5], vcc
	s_cbranch_execz .LBB1690_19
; %bb.18:
	v_lshlrev_b32_e32 v1, 3, v1
	global_load_dwordx2 v[16:17], v1, s[58:59]
.LBB1690_19:
	s_or_b64 exec, exec, s[4:5]
	v_or_b32_e32 v1, 0x800, v0
	v_cmp_gt_u32_e32 vcc, s33, v1
                                        ; implicit-def: $vgpr18_vgpr19
	s_and_saveexec_b64 s[4:5], vcc
	s_cbranch_execz .LBB1690_21
; %bb.20:
	v_lshlrev_b32_e32 v1, 3, v1
	global_load_dwordx2 v[18:19], v1, s[58:59]
.LBB1690_21:
	s_or_b64 exec, exec, s[4:5]
	v_or_b32_e32 v1, 0x900, v0
	v_cmp_gt_u32_e32 vcc, s33, v1
                                        ; implicit-def: $vgpr20_vgpr21
	s_and_saveexec_b64 s[4:5], vcc
	s_cbranch_execz .LBB1690_23
; %bb.22:
	v_lshlrev_b32_e32 v1, 3, v1
	global_load_dwordx2 v[20:21], v1, s[58:59]
.LBB1690_23:
	s_or_b64 exec, exec, s[4:5]
	v_or_b32_e32 v1, 0xa00, v0
	v_cmp_gt_u32_e32 vcc, s33, v1
                                        ; implicit-def: $vgpr22_vgpr23
	s_and_saveexec_b64 s[4:5], vcc
	s_cbranch_execz .LBB1690_25
; %bb.24:
	v_lshlrev_b32_e32 v1, 3, v1
	global_load_dwordx2 v[22:23], v1, s[58:59]
.LBB1690_25:
	s_or_b64 exec, exec, s[4:5]
	v_or_b32_e32 v1, 0xb00, v0
	v_cmp_gt_u32_e32 vcc, s33, v1
                                        ; implicit-def: $vgpr24_vgpr25
	s_and_saveexec_b64 s[4:5], vcc
	s_cbranch_execz .LBB1690_27
; %bb.26:
	v_lshlrev_b32_e32 v1, 3, v1
	global_load_dwordx2 v[24:25], v1, s[58:59]
.LBB1690_27:
	s_or_b64 exec, exec, s[4:5]
	v_or_b32_e32 v1, 0xc00, v0
	v_cmp_gt_u32_e32 vcc, s33, v1
                                        ; implicit-def: $vgpr26_vgpr27
	s_and_saveexec_b64 s[4:5], vcc
	s_cbranch_execz .LBB1690_29
; %bb.28:
	v_lshlrev_b32_e32 v1, 3, v1
	global_load_dwordx2 v[26:27], v1, s[58:59]
.LBB1690_29:
	s_or_b64 exec, exec, s[4:5]
	v_or_b32_e32 v1, 0xd00, v0
	v_cmp_gt_u32_e32 vcc, s33, v1
                                        ; implicit-def: $vgpr28_vgpr29
	s_and_saveexec_b64 s[4:5], vcc
	s_cbranch_execz .LBB1690_31
; %bb.30:
	v_lshlrev_b32_e32 v1, 3, v1
	global_load_dwordx2 v[28:29], v1, s[58:59]
.LBB1690_31:
	s_or_b64 exec, exec, s[4:5]
	v_or_b32_e32 v1, 0xe00, v0
	v_cmp_gt_u32_e32 vcc, s33, v1
                                        ; implicit-def: $vgpr30_vgpr31
	s_and_saveexec_b64 s[4:5], vcc
	s_cbranch_execz .LBB1690_33
; %bb.32:
	v_lshlrev_b32_e32 v1, 3, v1
	global_load_dwordx2 v[30:31], v1, s[58:59]
.LBB1690_33:
	s_or_b64 exec, exec, s[4:5]
	v_lshlrev_b32_e32 v32, 3, v0
	s_movk_i32 s3, 0x70
	v_mad_u32_u24 v1, v0, s3, v32
	s_waitcnt vmcnt(0)
	ds_write2st64_b64 v32, v[2:3], v[4:5] offset1:4
	ds_write2st64_b64 v32, v[6:7], v[8:9] offset0:8 offset1:12
	ds_write2st64_b64 v32, v[10:11], v[12:13] offset0:16 offset1:20
	;; [unrolled: 1-line block ×6, first 2 shown]
	ds_write_b64 v32, v[30:31] offset:28672
	s_waitcnt lgkmcnt(0)
	s_barrier
	ds_read2_b64 v[26:29], v1 offset1:1
	ds_read2_b64 v[22:25], v1 offset0:2 offset1:3
	ds_read2_b64 v[18:21], v1 offset0:4 offset1:5
	;; [unrolled: 1-line block ×6, first 2 shown]
	ds_read_b64 v[74:75], v1 offset:112
	s_ashr_i32 s3, s2, 31
	v_pk_mov_b32 v[30:31], s[2:3], s[2:3] op_sel:[0,1]
	s_waitcnt lgkmcnt(7)
	v_mov_b32_e32 v58, v26
	v_mov_b32_e32 v59, v27
	s_waitcnt lgkmcnt(6)
	v_mov_b32_e32 v60, v22
	v_mov_b32_e32 v61, v23
	;; [unrolled: 3-line block ×7, first 2 shown]
	s_waitcnt lgkmcnt(0)
	s_barrier
	ds_write2st64_b64 v32, v[30:31], v[30:31] offset1:4
	ds_write2st64_b64 v32, v[30:31], v[30:31] offset0:8 offset1:12
	ds_write2st64_b64 v32, v[30:31], v[30:31] offset0:16 offset1:20
	;; [unrolled: 1-line block ×6, first 2 shown]
	ds_write_b64 v32, v[30:31] offset:28672
	s_waitcnt lgkmcnt(0)
	s_barrier
.LBB1690_34:
	s_waitcnt lgkmcnt(0)
	ds_read2_b64 v[54:57], v1 offset1:1
	ds_read2_b64 v[50:53], v1 offset0:2 offset1:3
	ds_read2_b64 v[46:49], v1 offset0:4 offset1:5
	;; [unrolled: 1-line block ×6, first 2 shown]
	ds_read_b64 v[72:73], v1 offset:112
	s_cmp_eq_u64 s[30:31], 0
	s_cselect_b64 s[46:47], -1, 0
	s_cmp_lg_u64 s[30:31], 0
	s_mov_b64 s[60:61], 0
	s_cselect_b64 s[62:63], -1, 0
	s_and_b64 vcc, exec, s[0:1]
	s_waitcnt lgkmcnt(0)
	s_barrier
	s_cbranch_vccz .LBB1690_40
; %bb.35:
	s_and_b64 vcc, exec, s[62:63]
	s_cbranch_vccz .LBB1690_41
; %bb.36:
	s_add_u32 s0, s58, -8
	s_addc_u32 s1, s59, -1
	s_load_dwordx2 s[60:61], s[0:1], 0x0
	v_lshlrev_b32_e32 v1, 3, v0
	v_cmp_neq_f64_e32 vcc, v[4:5], v[74:75]
	v_cmp_neq_f64_e64 s[0:1], v[2:3], v[4:5]
	v_cmp_neq_f64_e64 s[2:3], v[8:9], v[2:3]
	;; [unrolled: 1-line block ×13, first 2 shown]
	v_cmp_ne_u32_e64 s[28:29], 0, v0
	s_waitcnt lgkmcnt(0)
	v_pk_mov_b32 v[76:77], s[60:61], s[60:61] op_sel:[0,1]
	ds_write_b64 v1, v[74:75]
	s_waitcnt lgkmcnt(0)
	s_barrier
	s_and_saveexec_b64 s[60:61], s[28:29]
	s_cbranch_execz .LBB1690_38
; %bb.37:
	v_add_u32_e32 v1, -8, v1
	ds_read_b64 v[76:77], v1
.LBB1690_38:
	s_or_b64 exec, exec, s[60:61]
	v_cndmask_b32_e64 v1, 0, 1, vcc
	v_cndmask_b32_e64 v100, 0, 1, s[0:1]
	v_cndmask_b32_e64 v101, 0, 1, s[2:3]
	;; [unrolled: 1-line block ×13, first 2 shown]
	s_waitcnt lgkmcnt(0)
	v_cmp_neq_f64_e64 s[0:1], v[76:77], v[26:27]
	s_mov_b64 s[60:61], -1
.LBB1690_39:
                                        ; implicit-def: $sgpr4
	s_branch .LBB1690_53
.LBB1690_40:
                                        ; implicit-def: $sgpr0_sgpr1
                                        ; implicit-def: $vgpr1
                                        ; implicit-def: $vgpr100
                                        ; implicit-def: $vgpr101
                                        ; implicit-def: $vgpr102
                                        ; implicit-def: $vgpr103
                                        ; implicit-def: $vgpr104
                                        ; implicit-def: $vgpr105
                                        ; implicit-def: $vgpr106
                                        ; implicit-def: $vgpr107
                                        ; implicit-def: $vgpr108
                                        ; implicit-def: $vgpr109
                                        ; implicit-def: $vgpr110
                                        ; implicit-def: $vgpr111
                                        ; implicit-def: $vgpr112
                                        ; implicit-def: $sgpr4
	s_cbranch_execnz .LBB1690_45
	s_branch .LBB1690_53
.LBB1690_41:
                                        ; implicit-def: $sgpr0_sgpr1
                                        ; implicit-def: $vgpr1
                                        ; implicit-def: $vgpr100
                                        ; implicit-def: $vgpr101
                                        ; implicit-def: $vgpr102
                                        ; implicit-def: $vgpr103
                                        ; implicit-def: $vgpr104
                                        ; implicit-def: $vgpr105
                                        ; implicit-def: $vgpr106
                                        ; implicit-def: $vgpr107
                                        ; implicit-def: $vgpr108
                                        ; implicit-def: $vgpr109
                                        ; implicit-def: $vgpr110
                                        ; implicit-def: $vgpr111
                                        ; implicit-def: $vgpr112
	s_cbranch_execz .LBB1690_39
; %bb.42:
	v_cmp_neq_f64_e32 vcc, v[28:29], v[58:59]
	v_cndmask_b32_e64 v112, 0, 1, vcc
	v_cmp_neq_f64_e32 vcc, v[28:29], v[60:61]
	v_cndmask_b32_e64 v111, 0, 1, vcc
	;; [unrolled: 2-line block ×13, first 2 shown]
	v_cmp_neq_f64_e32 vcc, v[4:5], v[74:75]
	v_lshlrev_b32_e32 v76, 3, v0
	v_cndmask_b32_e64 v1, 0, 1, vcc
	v_cmp_ne_u32_e32 vcc, 0, v0
	ds_write_b64 v76, v[74:75]
	s_waitcnt lgkmcnt(0)
	s_barrier
	s_waitcnt lgkmcnt(0)
                                        ; implicit-def: $sgpr0_sgpr1
	s_and_saveexec_b64 s[2:3], vcc
	s_xor_b64 s[2:3], exec, s[2:3]
	s_cbranch_execz .LBB1690_44
; %bb.43:
	v_add_u32_e32 v58, -8, v76
	ds_read_b64 v[58:59], v58
	s_or_b64 s[60:61], s[60:61], exec
	s_waitcnt lgkmcnt(0)
	v_cmp_neq_f64_e32 vcc, v[58:59], v[26:27]
	s_and_b64 s[0:1], vcc, exec
.LBB1690_44:
	s_or_b64 exec, exec, s[2:3]
	s_mov_b32 s4, 1
	s_branch .LBB1690_53
.LBB1690_45:
	s_mul_hi_u32 s1, s30, 0xfffff100
	s_mul_i32 s0, s31, 0xfffff100
	s_sub_i32 s1, s1, s30
	s_add_i32 s1, s1, s0
	s_mul_i32 s0, s30, 0xfffff100
	s_add_u32 s48, s0, s48
	s_addc_u32 s49, s1, s49
	s_and_b64 vcc, exec, s[62:63]
	v_cmp_neq_f64_e64 s[28:29], v[4:5], v[74:75]
	v_cmp_neq_f64_e64 s[26:27], v[2:3], v[4:5]
	;; [unrolled: 1-line block ×14, first 2 shown]
	v_mad_u32_u24 v58, v0, 15, 14
	v_mad_u32_u24 v88, v0, 15, 13
	;; [unrolled: 1-line block ×14, first 2 shown]
	v_cmp_ne_u32_e64 s[30:31], 0, v0
	s_cbranch_vccz .LBB1690_50
; %bb.46:
	v_mov_b32_e32 v59, 0
	s_add_u32 s58, s58, -8
	v_cmp_gt_u64_e32 vcc, s[48:49], v[58:59]
	v_mov_b32_e32 v89, v59
	s_addc_u32 s59, s59, -1
	s_and_b64 s[28:29], vcc, s[28:29]
	v_cmp_gt_u64_e32 vcc, s[48:49], v[88:89]
	v_mov_b32_e32 v87, v59
	s_and_b64 s[26:27], vcc, s[26:27]
	v_cmp_gt_u64_e32 vcc, s[48:49], v[86:87]
	v_mov_b32_e32 v85, v59
	;; [unrolled: 3-line block ×8, first 2 shown]
	s_load_dwordx2 s[58:59], s[58:59], 0x0
	s_and_b64 s[12:13], vcc, s[12:13]
	v_cmp_gt_u64_e32 vcc, s[48:49], v[68:69]
	v_mov_b32_e32 v67, v59
	s_and_b64 s[10:11], vcc, s[10:11]
	v_cmp_gt_u64_e32 vcc, s[48:49], v[66:67]
	v_mov_b32_e32 v65, v59
	;; [unrolled: 3-line block ×4, first 2 shown]
	s_and_b64 s[2:3], vcc, s[2:3]
	v_cmp_gt_u64_e32 vcc, s[48:49], v[60:61]
	v_lshlrev_b32_e32 v1, 3, v0
	v_mul_u32_u24_e32 v90, 15, v0
	s_and_b64 s[0:1], vcc, s[0:1]
	s_waitcnt lgkmcnt(0)
	v_pk_mov_b32 v[92:93], s[58:59], s[58:59] op_sel:[0,1]
	ds_write_b64 v1, v[74:75]
	s_waitcnt lgkmcnt(0)
	s_barrier
	s_and_saveexec_b64 s[58:59], s[30:31]
	s_cbranch_execz .LBB1690_48
; %bb.47:
	v_add_u32_e32 v1, -8, v1
	ds_read_b64 v[92:93], v1
.LBB1690_48:
	s_or_b64 exec, exec, s[58:59]
	v_mov_b32_e32 v91, v59
	v_cndmask_b32_e64 v112, 0, 1, s[0:1]
	v_cmp_gt_u64_e32 vcc, s[48:49], v[90:91]
	s_waitcnt lgkmcnt(0)
	v_cmp_neq_f64_e64 s[0:1], v[92:93], v[26:27]
	v_cndmask_b32_e64 v1, 0, 1, s[28:29]
	v_cndmask_b32_e64 v100, 0, 1, s[26:27]
	;; [unrolled: 1-line block ×13, first 2 shown]
	s_and_b64 s[0:1], vcc, s[0:1]
	s_mov_b64 s[60:61], -1
.LBB1690_49:
                                        ; implicit-def: $sgpr4
	v_mov_b32_e32 v113, s4
	s_and_saveexec_b64 s[2:3], s[60:61]
	s_cbranch_execnz .LBB1690_54
	s_branch .LBB1690_55
.LBB1690_50:
                                        ; implicit-def: $sgpr0_sgpr1
                                        ; implicit-def: $vgpr1
                                        ; implicit-def: $vgpr100
                                        ; implicit-def: $vgpr101
                                        ; implicit-def: $vgpr102
                                        ; implicit-def: $vgpr103
                                        ; implicit-def: $vgpr104
                                        ; implicit-def: $vgpr105
                                        ; implicit-def: $vgpr106
                                        ; implicit-def: $vgpr107
                                        ; implicit-def: $vgpr108
                                        ; implicit-def: $vgpr109
                                        ; implicit-def: $vgpr110
                                        ; implicit-def: $vgpr111
                                        ; implicit-def: $vgpr112
	s_cbranch_execz .LBB1690_49
; %bb.51:
	v_mov_b32_e32 v59, 0
	v_cmp_gt_u64_e32 vcc, s[48:49], v[58:59]
	v_cmp_neq_f64_e64 s[0:1], v[4:5], v[74:75]
	s_and_b64 s[0:1], vcc, s[0:1]
	v_mov_b32_e32 v89, v59
	v_cndmask_b32_e64 v1, 0, 1, s[0:1]
	v_cmp_gt_u64_e32 vcc, s[48:49], v[88:89]
	v_cmp_neq_f64_e64 s[0:1], v[2:3], v[4:5]
	s_and_b64 s[0:1], vcc, s[0:1]
	v_mov_b32_e32 v87, v59
	v_cndmask_b32_e64 v100, 0, 1, s[0:1]
	;; [unrolled: 5-line block ×13, first 2 shown]
	v_cmp_gt_u64_e32 vcc, s[48:49], v[60:61]
	v_cmp_neq_f64_e64 s[0:1], v[26:27], v[28:29]
	s_and_b64 s[0:1], vcc, s[0:1]
	v_lshlrev_b32_e32 v90, 3, v0
	s_mov_b32 s4, 1
	v_cndmask_b32_e64 v112, 0, 1, s[0:1]
	v_cmp_ne_u32_e32 vcc, 0, v0
	ds_write_b64 v90, v[74:75]
	s_waitcnt lgkmcnt(0)
	s_barrier
	s_waitcnt lgkmcnt(0)
                                        ; implicit-def: $sgpr0_sgpr1
	s_and_saveexec_b64 s[2:3], vcc
	s_cbranch_execz .LBB1690_190
; %bb.52:
	v_add_u32_e32 v58, -8, v90
	ds_read_b64 v[60:61], v58
	v_mul_u32_u24_e32 v58, 15, v0
	v_cmp_gt_u64_e32 vcc, s[48:49], v[58:59]
	s_or_b64 s[60:61], s[60:61], exec
	s_waitcnt lgkmcnt(0)
	v_cmp_neq_f64_e64 s[0:1], v[60:61], v[26:27]
	s_and_b64 s[0:1], vcc, s[0:1]
	s_and_b64 s[0:1], s[0:1], exec
	s_or_b64 exec, exec, s[2:3]
.LBB1690_53:
	v_mov_b32_e32 v113, s4
	s_and_saveexec_b64 s[2:3], s[60:61]
.LBB1690_54:
	v_cndmask_b32_e64 v113, 0, 1, s[0:1]
.LBB1690_55:
	s_or_b64 exec, exec, s[2:3]
	s_cmp_eq_u64 s[42:43], 0
	v_add3_u32 v58, v112, v113, v111
	v_mov_b32_e32 v96, v54
	v_mov_b32_e32 v97, v55
	s_cselect_b64 s[30:31], -1, 0
	s_cmp_lg_u32 s6, 0
	v_cmp_eq_u32_e64 s[24:25], 0, v112
	v_cmp_eq_u32_e64 s[22:23], 0, v111
	;; [unrolled: 1-line block ×3, first 2 shown]
	v_add3_u32 v115, v58, v110, v109
	v_cmp_eq_u32_e64 s[18:19], 0, v109
	v_cmp_eq_u32_e64 s[16:17], 0, v108
	;; [unrolled: 1-line block ×10, first 2 shown]
	v_cmp_eq_u32_e32 vcc, 0, v1
	v_mbcnt_lo_u32_b32 v114, -1, 0
	s_cbranch_scc0 .LBB1690_122
; %bb.56:
	v_cndmask_b32_e64 v59, 0, v54, s[24:25]
	v_cndmask_b32_e64 v58, 0, v55, s[24:25]
	v_add_co_u32_e64 v59, s[26:27], v59, v56
	v_addc_co_u32_e64 v58, s[26:27], v58, v57, s[26:27]
	v_cndmask_b32_e64 v59, 0, v59, s[22:23]
	v_cndmask_b32_e64 v58, 0, v58, s[22:23]
	v_add_co_u32_e64 v59, s[26:27], v59, v50
	v_addc_co_u32_e64 v58, s[26:27], v58, v51, s[26:27]
	;; [unrolled: 4-line block ×11, first 2 shown]
	v_cndmask_b32_e64 v59, 0, v59, s[2:3]
	v_add3_u32 v60, v115, v108, v107
	v_cndmask_b32_e64 v58, 0, v58, s[2:3]
	v_add_co_u32_e64 v59, s[26:27], v59, v30
	v_add3_u32 v60, v60, v106, v105
	v_addc_co_u32_e64 v58, s[26:27], v58, v31, s[26:27]
	v_cndmask_b32_e64 v59, 0, v59, s[0:1]
	v_add3_u32 v60, v60, v104, v103
	v_cndmask_b32_e64 v58, 0, v58, s[0:1]
	v_add_co_u32_e64 v59, s[26:27], v59, v32
	v_add3_u32 v60, v60, v102, v101
	v_addc_co_u32_e64 v58, s[26:27], v58, v33, s[26:27]
	v_cndmask_b32_e32 v59, 0, v59, vcc
	v_add3_u32 v62, v60, v100, v1
	v_cndmask_b32_e32 v58, 0, v58, vcc
	v_add_co_u32_e32 v60, vcc, v59, v72
	v_mbcnt_hi_u32_b32 v63, -1, v114
	v_addc_co_u32_e32 v61, vcc, v58, v73, vcc
	v_and_b32_e32 v58, 15, v63
	v_mov_b32_dpp v64, v62 row_shr:1 row_mask:0xf bank_mask:0xf
	v_mov_b32_dpp v59, v60 row_shr:1 row_mask:0xf bank_mask:0xf
	v_mov_b32_dpp v65, v61 row_shr:1 row_mask:0xf bank_mask:0xf
	v_cmp_ne_u32_e32 vcc, 0, v58
	s_and_saveexec_b64 s[26:27], vcc
; %bb.57:
	v_cmp_eq_u32_e32 vcc, 0, v62
	v_cndmask_b32_e32 v59, 0, v59, vcc
	v_add_u32_e32 v64, v64, v62
	v_cndmask_b32_e32 v62, 0, v65, vcc
	v_add_co_u32_e32 v60, vcc, v59, v60
	v_addc_co_u32_e32 v61, vcc, v62, v61, vcc
	v_mov_b32_e32 v62, v64
; %bb.58:
	s_or_b64 exec, exec, s[26:27]
	s_nop 0
	v_mov_b32_dpp v64, v62 row_shr:2 row_mask:0xf bank_mask:0xf
	v_mov_b32_dpp v59, v60 row_shr:2 row_mask:0xf bank_mask:0xf
	v_mov_b32_dpp v65, v61 row_shr:2 row_mask:0xf bank_mask:0xf
	v_cmp_lt_u32_e32 vcc, 1, v58
	s_and_saveexec_b64 s[26:27], vcc
; %bb.59:
	v_cmp_eq_u32_e32 vcc, 0, v62
	v_cndmask_b32_e32 v59, 0, v59, vcc
	v_add_u32_e32 v64, v64, v62
	v_cndmask_b32_e32 v62, 0, v65, vcc
	v_add_co_u32_e32 v60, vcc, v59, v60
	v_addc_co_u32_e32 v61, vcc, v62, v61, vcc
	v_mov_b32_e32 v62, v64
; %bb.60:
	s_or_b64 exec, exec, s[26:27]
	s_nop 0
	v_mov_b32_dpp v64, v62 row_shr:4 row_mask:0xf bank_mask:0xf
	v_mov_b32_dpp v59, v60 row_shr:4 row_mask:0xf bank_mask:0xf
	v_mov_b32_dpp v65, v61 row_shr:4 row_mask:0xf bank_mask:0xf
	v_cmp_lt_u32_e32 vcc, 3, v58
	;; [unrolled: 16-line block ×3, first 2 shown]
	s_and_saveexec_b64 s[26:27], vcc
; %bb.63:
	v_cmp_eq_u32_e32 vcc, 0, v62
	v_cndmask_b32_e32 v59, 0, v59, vcc
	v_add_u32_e32 v58, v64, v62
	v_cndmask_b32_e32 v62, 0, v65, vcc
	v_add_co_u32_e32 v60, vcc, v59, v60
	v_addc_co_u32_e32 v61, vcc, v62, v61, vcc
	v_mov_b32_e32 v62, v58
; %bb.64:
	s_or_b64 exec, exec, s[26:27]
	v_and_b32_e32 v65, 16, v63
	v_mov_b32_dpp v59, v62 row_bcast:15 row_mask:0xf bank_mask:0xf
	v_mov_b32_dpp v58, v60 row_bcast:15 row_mask:0xf bank_mask:0xf
	;; [unrolled: 1-line block ×3, first 2 shown]
	v_cmp_ne_u32_e32 vcc, 0, v65
	s_and_saveexec_b64 s[26:27], vcc
; %bb.65:
	v_cmp_eq_u32_e32 vcc, 0, v62
	v_cndmask_b32_e32 v58, 0, v58, vcc
	v_add_u32_e32 v59, v59, v62
	v_cndmask_b32_e32 v62, 0, v64, vcc
	v_add_co_u32_e32 v60, vcc, v58, v60
	v_addc_co_u32_e32 v61, vcc, v62, v61, vcc
	v_mov_b32_e32 v62, v59
; %bb.66:
	s_or_b64 exec, exec, s[26:27]
	s_nop 0
	v_mov_b32_dpp v59, v62 row_bcast:31 row_mask:0xf bank_mask:0xf
	v_mov_b32_dpp v58, v60 row_bcast:31 row_mask:0xf bank_mask:0xf
	;; [unrolled: 1-line block ×3, first 2 shown]
	v_cmp_lt_u32_e32 vcc, 31, v63
	s_and_saveexec_b64 s[26:27], vcc
; %bb.67:
	v_cmp_eq_u32_e32 vcc, 0, v62
	v_cndmask_b32_e32 v58, 0, v58, vcc
	v_add_u32_e32 v59, v59, v62
	v_cndmask_b32_e32 v62, 0, v64, vcc
	v_add_co_u32_e32 v60, vcc, v58, v60
	v_addc_co_u32_e32 v61, vcc, v62, v61, vcc
	v_mov_b32_e32 v62, v59
; %bb.68:
	s_or_b64 exec, exec, s[26:27]
	v_lshrrev_b32_e32 v58, 6, v0
	v_or_b32_e32 v59, 63, v0
	v_cmp_eq_u32_e32 vcc, v59, v0
	v_lshlrev_b32_e32 v64, 4, v58
	s_and_saveexec_b64 s[26:27], vcc
	s_cbranch_execz .LBB1690_70
; %bb.69:
	ds_write_b32 v64, v62 offset:4128
	ds_write_b64 v64, v[60:61] offset:4136
.LBB1690_70:
	s_or_b64 exec, exec, s[26:27]
	v_cmp_gt_u32_e32 vcc, 4, v0
	s_waitcnt lgkmcnt(0)
	s_barrier
	s_and_saveexec_b64 s[26:27], vcc
	s_cbranch_execz .LBB1690_76
; %bb.71:
	v_lshlrev_b32_e32 v65, 4, v0
	ds_read_b32 v66, v65 offset:4128
	ds_read_b64 v[58:59], v65 offset:4136
	v_and_b32_e32 v67, 3, v63
	v_cmp_ne_u32_e32 vcc, 0, v67
	s_waitcnt lgkmcnt(1)
	v_mov_b32_dpp v69, v66 row_shr:1 row_mask:0xf bank_mask:0xf
	s_waitcnt lgkmcnt(0)
	v_mov_b32_dpp v68, v58 row_shr:1 row_mask:0xf bank_mask:0xf
	v_mov_b32_dpp v70, v59 row_shr:1 row_mask:0xf bank_mask:0xf
	s_and_saveexec_b64 s[42:43], vcc
; %bb.72:
	v_cmp_eq_u32_e32 vcc, 0, v66
	v_cndmask_b32_e32 v68, 0, v68, vcc
	v_add_u32_e32 v69, v69, v66
	v_cndmask_b32_e32 v66, 0, v70, vcc
	v_add_co_u32_e32 v58, vcc, v68, v58
	v_addc_co_u32_e32 v59, vcc, v66, v59, vcc
	v_mov_b32_e32 v66, v69
; %bb.73:
	s_or_b64 exec, exec, s[42:43]
	s_nop 0
	v_mov_b32_dpp v69, v66 row_shr:2 row_mask:0xf bank_mask:0xf
	v_mov_b32_dpp v68, v58 row_shr:2 row_mask:0xf bank_mask:0xf
	;; [unrolled: 1-line block ×3, first 2 shown]
	v_cmp_lt_u32_e32 vcc, 1, v67
	s_and_saveexec_b64 s[42:43], vcc
; %bb.74:
	v_cmp_eq_u32_e32 vcc, 0, v66
	v_cndmask_b32_e32 v68, 0, v68, vcc
	v_add_u32_e32 v67, v69, v66
	v_cndmask_b32_e32 v66, 0, v70, vcc
	v_add_co_u32_e32 v58, vcc, v68, v58
	v_addc_co_u32_e32 v59, vcc, v66, v59, vcc
	v_mov_b32_e32 v66, v67
; %bb.75:
	s_or_b64 exec, exec, s[42:43]
	ds_write_b32 v65, v66 offset:4128
	ds_write_b64 v65, v[58:59] offset:4136
.LBB1690_76:
	s_or_b64 exec, exec, s[26:27]
	v_cmp_gt_u32_e32 vcc, 64, v0
	v_cmp_lt_u32_e64 s[26:27], 63, v0
	v_pk_mov_b32 v[58:59], 0, 0
	v_mov_b32_e32 v70, 0
	s_waitcnt lgkmcnt(0)
	s_barrier
	s_and_saveexec_b64 s[42:43], s[26:27]
	s_cbranch_execz .LBB1690_78
; %bb.77:
	ds_read_b32 v70, v64 offset:4112
	ds_read_b64 v[58:59], v64 offset:4120
	v_cmp_eq_u32_e64 s[26:27], 0, v62
	s_waitcnt lgkmcnt(1)
	v_add_u32_e32 v64, v70, v62
	s_waitcnt lgkmcnt(0)
	v_cndmask_b32_e64 v65, 0, v58, s[26:27]
	v_cndmask_b32_e64 v62, 0, v59, s[26:27]
	v_add_co_u32_e64 v60, s[26:27], v65, v60
	v_addc_co_u32_e64 v61, s[26:27], v62, v61, s[26:27]
	v_mov_b32_e32 v62, v64
.LBB1690_78:
	s_or_b64 exec, exec, s[42:43]
	v_add_u32_e32 v64, -1, v63
	v_and_b32_e32 v65, 64, v63
	v_cmp_lt_i32_e64 s[26:27], v64, v65
	v_cndmask_b32_e64 v64, v64, v63, s[26:27]
	v_lshlrev_b32_e32 v64, 2, v64
	ds_bpermute_b32 v71, v64, v62
	ds_bpermute_b32 v76, v64, v60
	;; [unrolled: 1-line block ×3, first 2 shown]
	v_cmp_eq_u32_e64 s[26:27], 0, v63
	s_and_saveexec_b64 s[42:43], vcc
	s_cbranch_execz .LBB1690_121
; %bb.79:
	v_mov_b32_e32 v65, 0
	ds_read_b32 v78, v65 offset:4176
	ds_read_b64 v[60:61], v65 offset:4184
	s_and_saveexec_b64 s[48:49], s[26:27]
	s_cbranch_execz .LBB1690_81
; %bb.80:
	s_add_i32 s58, s6, 64
	s_mov_b32 s59, 0
	s_lshl_b64 s[60:61], s[58:59], 4
	s_add_u32 s60, s36, s60
	s_addc_u32 s61, s37, s61
	v_mov_b32_e32 v62, s58
	v_mov_b32_e32 v64, 1
	s_waitcnt lgkmcnt(1)
	global_store_dword v65, v78, s[60:61]
	s_waitcnt lgkmcnt(0)
	global_store_dwordx2 v65, v[60:61], s[60:61] offset:8
	s_waitcnt vmcnt(0)
	buffer_wbinvl1_vol
	global_store_byte v62, v64, s[40:41]
.LBB1690_81:
	s_or_b64 exec, exec, s[48:49]
	v_xad_u32 v62, v63, -1, s6
	v_add_u32_e32 v64, 64, v62
	global_load_ubyte v79, v64, s[40:41] glc
	s_waitcnt vmcnt(0)
	v_cmp_eq_u16_e32 vcc, 0, v79
	s_and_saveexec_b64 s[48:49], vcc
	s_cbranch_execz .LBB1690_85
; %bb.82:
	v_mov_b32_e32 v67, s41
	v_add_co_u32_e32 v66, vcc, s40, v64
	v_addc_co_u32_e32 v67, vcc, 0, v67, vcc
	s_mov_b64 s[58:59], 0
.LBB1690_83:                            ; =>This Inner Loop Header: Depth=1
	global_load_ubyte v79, v[66:67], off glc
	s_waitcnt vmcnt(0)
	v_cmp_ne_u16_e32 vcc, 0, v79
	s_or_b64 s[58:59], vcc, s[58:59]
	s_andn2_b64 exec, exec, s[58:59]
	s_cbranch_execnz .LBB1690_83
; %bb.84:
	s_or_b64 exec, exec, s[58:59]
.LBB1690_85:
	s_or_b64 exec, exec, s[48:49]
	v_mov_b32_e32 v66, s39
	v_mov_b32_e32 v67, s37
	v_cmp_eq_u16_e32 vcc, 1, v79
	v_cndmask_b32_e32 v66, v66, v67, vcc
	v_mov_b32_e32 v67, s38
	v_mov_b32_e32 v68, s36
	v_cndmask_b32_e32 v67, v67, v68, vcc
	v_lshlrev_b64 v[64:65], 4, v[64:65]
	v_add_co_u32_e32 v64, vcc, v67, v64
	v_addc_co_u32_e32 v65, vcc, v66, v65, vcc
	s_waitcnt lgkmcnt(0)
	buffer_wbinvl1_vol
	global_load_dword v94, v[64:65], off
	global_load_dwordx2 v[68:69], v[64:65], off offset:8
	v_cmp_eq_u16_e32 vcc, 2, v79
	v_lshlrev_b64 v[64:65], v63, -1
	v_and_b32_e32 v80, 63, v63
	v_and_b32_e32 v66, vcc_hi, v65
	v_and_b32_e32 v84, vcc_lo, v64
	v_cmp_ne_u32_e32 vcc, 63, v80
	v_addc_co_u32_e32 v67, vcc, 0, v63, vcc
	v_lshlrev_b32_e32 v81, 2, v67
	v_or_b32_e32 v66, 0x80000000, v66
	v_ffbl_b32_e32 v66, v66
	v_add_u32_e32 v66, 32, v66
	v_ffbl_b32_e32 v84, v84
	v_min_u32_e32 v66, v84, v66
	v_cmp_lt_u32_e32 vcc, v80, v66
	s_waitcnt vmcnt(1)
	ds_bpermute_b32 v82, v81, v94
	s_waitcnt vmcnt(0)
	ds_bpermute_b32 v67, v81, v68
	ds_bpermute_b32 v83, v81, v69
	s_and_saveexec_b64 s[48:49], vcc
	s_cbranch_execz .LBB1690_87
; %bb.86:
	v_cmp_eq_u32_e32 vcc, 0, v94
	s_waitcnt lgkmcnt(1)
	v_cndmask_b32_e32 v67, 0, v67, vcc
	v_add_u32_e32 v82, v82, v94
	s_waitcnt lgkmcnt(0)
	v_cndmask_b32_e32 v83, 0, v83, vcc
	v_add_co_u32_e32 v68, vcc, v67, v68
	v_addc_co_u32_e32 v69, vcc, v83, v69, vcc
	v_mov_b32_e32 v94, v82
.LBB1690_87:
	s_or_b64 exec, exec, s[48:49]
	v_cmp_gt_u32_e32 vcc, 62, v80
	s_waitcnt lgkmcnt(1)
	v_cndmask_b32_e64 v67, 0, 1, vcc
	v_lshlrev_b32_e32 v67, 1, v67
	v_add_lshl_u32 v82, v67, v63, 2
	ds_bpermute_b32 v84, v82, v94
	ds_bpermute_b32 v67, v82, v68
	ds_bpermute_b32 v85, v82, v69
	s_waitcnt lgkmcnt(3)
	v_add_u32_e32 v83, 2, v80
	v_cmp_le_u32_e32 vcc, v83, v66
	s_and_saveexec_b64 s[48:49], vcc
	s_cbranch_execz .LBB1690_89
; %bb.88:
	v_cmp_eq_u32_e32 vcc, 0, v94
	s_waitcnt lgkmcnt(1)
	v_cndmask_b32_e32 v67, 0, v67, vcc
	v_add_u32_e32 v84, v84, v94
	s_waitcnt lgkmcnt(0)
	v_cndmask_b32_e32 v85, 0, v85, vcc
	v_add_co_u32_e32 v68, vcc, v67, v68
	v_addc_co_u32_e32 v69, vcc, v85, v69, vcc
	v_mov_b32_e32 v94, v84
.LBB1690_89:
	s_or_b64 exec, exec, s[48:49]
	v_cmp_gt_u32_e32 vcc, 60, v80
	s_waitcnt lgkmcnt(1)
	v_cndmask_b32_e64 v67, 0, 1, vcc
	v_lshlrev_b32_e32 v67, 2, v67
	v_add_lshl_u32 v84, v67, v63, 2
	ds_bpermute_b32 v86, v84, v94
	ds_bpermute_b32 v67, v84, v68
	ds_bpermute_b32 v87, v84, v69
	s_waitcnt lgkmcnt(3)
	v_add_u32_e32 v85, 4, v80
	v_cmp_le_u32_e32 vcc, v85, v66
	;; [unrolled: 25-line block ×4, first 2 shown]
	s_and_saveexec_b64 s[48:49], vcc
	s_cbranch_execz .LBB1690_95
; %bb.94:
	v_cmp_eq_u32_e32 vcc, 0, v94
	s_waitcnt lgkmcnt(1)
	v_cndmask_b32_e32 v67, 0, v67, vcc
	v_add_u32_e32 v90, v90, v94
	s_waitcnt lgkmcnt(0)
	v_cndmask_b32_e32 v91, 0, v91, vcc
	v_add_co_u32_e32 v68, vcc, v67, v68
	v_addc_co_u32_e32 v69, vcc, v91, v69, vcc
	v_mov_b32_e32 v94, v90
.LBB1690_95:
	s_or_b64 exec, exec, s[48:49]
	v_cmp_gt_u32_e32 vcc, 32, v80
	s_waitcnt lgkmcnt(1)
	v_cndmask_b32_e64 v67, 0, 1, vcc
	v_lshlrev_b32_e32 v67, 5, v67
	v_add_lshl_u32 v90, v67, v63, 2
	ds_bpermute_b32 v67, v90, v94
	ds_bpermute_b32 v63, v90, v68
	s_waitcnt lgkmcnt(2)
	ds_bpermute_b32 v91, v90, v69
	v_add_u32_e32 v92, 32, v80
	v_cmp_le_u32_e32 vcc, v92, v66
	s_and_saveexec_b64 s[48:49], vcc
	s_cbranch_execz .LBB1690_97
; %bb.96:
	v_cmp_eq_u32_e32 vcc, 0, v94
	s_waitcnt lgkmcnt(1)
	v_cndmask_b32_e32 v63, 0, v63, vcc
	v_add_u32_e32 v66, v67, v94
	s_waitcnt lgkmcnt(0)
	v_cndmask_b32_e32 v67, 0, v91, vcc
	v_add_co_u32_e32 v68, vcc, v63, v68
	v_addc_co_u32_e32 v69, vcc, v67, v69, vcc
	v_mov_b32_e32 v94, v66
.LBB1690_97:
	s_or_b64 exec, exec, s[48:49]
	s_waitcnt lgkmcnt(1)
	v_mov_b32_e32 v63, 0
	v_mov_b32_e32 v93, 2
	s_branch .LBB1690_99
.LBB1690_98:                            ;   in Loop: Header=BB1690_99 Depth=1
	s_or_b64 exec, exec, s[48:49]
	v_cmp_eq_u32_e32 vcc, 0, v91
	v_cndmask_b32_e32 v68, 0, v68, vcc
	v_cndmask_b32_e32 v69, 0, v69, vcc
	v_add_co_u32_e32 v68, vcc, v68, v66
	v_subrev_u32_e32 v62, 64, v62
	v_add_u32_e32 v94, v95, v91
	v_addc_co_u32_e32 v69, vcc, v69, v67, vcc
.LBB1690_99:                            ; =>This Loop Header: Depth=1
                                        ;     Child Loop BB1690_102 Depth 2
	v_cmp_ne_u16_sdwa s[48:49], v79, v93 src0_sel:BYTE_0 src1_sel:DWORD
	v_pk_mov_b32 v[66:67], v[68:69], v[68:69] op_sel:[0,1]
	v_cndmask_b32_e64 v68, 0, 1, s[48:49]
	;;#ASMSTART
	;;#ASMEND
	v_cmp_ne_u32_e32 vcc, 0, v68
	s_cmp_lg_u64 vcc, exec
	s_waitcnt lgkmcnt(0)
	v_mov_b32_e32 v91, v94
	s_cbranch_scc1 .LBB1690_116
; %bb.100:                              ;   in Loop: Header=BB1690_99 Depth=1
	global_load_ubyte v79, v62, s[40:41] glc
	s_waitcnt vmcnt(0)
	v_cmp_eq_u16_e32 vcc, 0, v79
	s_and_saveexec_b64 s[48:49], vcc
	s_cbranch_execz .LBB1690_104
; %bb.101:                              ;   in Loop: Header=BB1690_99 Depth=1
	v_mov_b32_e32 v69, s41
	v_add_co_u32_e32 v68, vcc, s40, v62
	v_addc_co_u32_e32 v69, vcc, 0, v69, vcc
	s_mov_b64 s[58:59], 0
.LBB1690_102:                           ;   Parent Loop BB1690_99 Depth=1
                                        ; =>  This Inner Loop Header: Depth=2
	global_load_ubyte v79, v[68:69], off glc
	s_waitcnt vmcnt(0)
	v_cmp_ne_u16_e32 vcc, 0, v79
	s_or_b64 s[58:59], vcc, s[58:59]
	s_andn2_b64 exec, exec, s[58:59]
	s_cbranch_execnz .LBB1690_102
; %bb.103:                              ;   in Loop: Header=BB1690_99 Depth=1
	s_or_b64 exec, exec, s[58:59]
.LBB1690_104:                           ;   in Loop: Header=BB1690_99 Depth=1
	s_or_b64 exec, exec, s[48:49]
	v_mov_b32_e32 v68, s39
	v_mov_b32_e32 v69, s37
	v_cmp_eq_u16_e32 vcc, 1, v79
	v_cndmask_b32_e32 v94, v68, v69, vcc
	v_mov_b32_e32 v68, s38
	v_mov_b32_e32 v69, s36
	v_cndmask_b32_e32 v95, v68, v69, vcc
	v_lshlrev_b64 v[68:69], 4, v[62:63]
	v_add_co_u32_e32 v68, vcc, v95, v68
	v_addc_co_u32_e32 v69, vcc, v94, v69, vcc
	buffer_wbinvl1_vol
	global_load_dword v95, v[68:69], off
	s_nop 0
	global_load_dwordx2 v[68:69], v[68:69], off offset:8
	v_cmp_eq_u16_e32 vcc, 2, v79
	v_and_b32_e32 v94, vcc_hi, v65
	v_or_b32_e32 v94, 0x80000000, v94
	v_and_b32_e32 v117, vcc_lo, v64
	v_ffbl_b32_e32 v94, v94
	v_add_u32_e32 v94, 32, v94
	v_ffbl_b32_e32 v117, v117
	v_min_u32_e32 v94, v117, v94
	v_cmp_lt_u32_e32 vcc, v80, v94
	s_waitcnt vmcnt(1)
	ds_bpermute_b32 v99, v81, v95
	s_waitcnt vmcnt(0)
	ds_bpermute_b32 v98, v81, v68
	ds_bpermute_b32 v116, v81, v69
	s_and_saveexec_b64 s[48:49], vcc
	s_cbranch_execz .LBB1690_106
; %bb.105:                              ;   in Loop: Header=BB1690_99 Depth=1
	v_cmp_eq_u32_e32 vcc, 0, v95
	s_waitcnt lgkmcnt(1)
	v_cndmask_b32_e32 v98, 0, v98, vcc
	v_add_u32_e32 v99, v99, v95
	s_waitcnt lgkmcnt(0)
	v_cndmask_b32_e32 v95, 0, v116, vcc
	v_add_co_u32_e32 v68, vcc, v98, v68
	v_addc_co_u32_e32 v69, vcc, v95, v69, vcc
	v_mov_b32_e32 v95, v99
.LBB1690_106:                           ;   in Loop: Header=BB1690_99 Depth=1
	s_or_b64 exec, exec, s[48:49]
	s_waitcnt lgkmcnt(2)
	ds_bpermute_b32 v99, v82, v95
	s_waitcnt lgkmcnt(2)
	ds_bpermute_b32 v98, v82, v68
	s_waitcnt lgkmcnt(2)
	ds_bpermute_b32 v116, v82, v69
	v_cmp_le_u32_e32 vcc, v83, v94
	s_and_saveexec_b64 s[48:49], vcc
	s_cbranch_execz .LBB1690_108
; %bb.107:                              ;   in Loop: Header=BB1690_99 Depth=1
	v_cmp_eq_u32_e32 vcc, 0, v95
	s_waitcnt lgkmcnt(1)
	v_cndmask_b32_e32 v98, 0, v98, vcc
	v_add_u32_e32 v99, v99, v95
	s_waitcnt lgkmcnt(0)
	v_cndmask_b32_e32 v95, 0, v116, vcc
	v_add_co_u32_e32 v68, vcc, v98, v68
	v_addc_co_u32_e32 v69, vcc, v95, v69, vcc
	v_mov_b32_e32 v95, v99
.LBB1690_108:                           ;   in Loop: Header=BB1690_99 Depth=1
	s_or_b64 exec, exec, s[48:49]
	s_waitcnt lgkmcnt(2)
	ds_bpermute_b32 v99, v84, v95
	s_waitcnt lgkmcnt(2)
	ds_bpermute_b32 v98, v84, v68
	s_waitcnt lgkmcnt(2)
	ds_bpermute_b32 v116, v84, v69
	v_cmp_le_u32_e32 vcc, v85, v94
	;; [unrolled: 21-line block ×5, first 2 shown]
	s_and_saveexec_b64 s[48:49], vcc
	s_cbranch_execz .LBB1690_98
; %bb.115:                              ;   in Loop: Header=BB1690_99 Depth=1
	v_cmp_eq_u32_e32 vcc, 0, v95
	s_waitcnt lgkmcnt(1)
	v_cndmask_b32_e32 v98, 0, v98, vcc
	v_add_u32_e32 v94, v99, v95
	s_waitcnt lgkmcnt(0)
	v_cndmask_b32_e32 v95, 0, v116, vcc
	v_add_co_u32_e32 v68, vcc, v98, v68
	v_addc_co_u32_e32 v69, vcc, v95, v69, vcc
	v_mov_b32_e32 v95, v94
	s_branch .LBB1690_98
.LBB1690_116:                           ;   in Loop: Header=BB1690_99 Depth=1
                                        ; implicit-def: $vgpr68_vgpr69
                                        ; implicit-def: $vgpr94
                                        ; implicit-def: $vgpr79
	s_cbranch_execz .LBB1690_99
; %bb.117:
	s_and_saveexec_b64 s[36:37], s[26:27]
	s_cbranch_execz .LBB1690_119
; %bb.118:
	s_mov_b32 s7, 0
	v_cmp_eq_u32_e32 vcc, 0, v78
	s_add_i32 s6, s6, 64
	v_cndmask_b32_e32 v62, 0, v66, vcc
	s_lshl_b64 s[48:49], s[6:7], 4
	v_cndmask_b32_e32 v63, 0, v67, vcc
	v_add_co_u32_e32 v62, vcc, v62, v60
	s_add_u32 s48, s38, s48
	v_add_u32_e32 v64, v91, v78
	v_addc_co_u32_e32 v63, vcc, v63, v61, vcc
	s_addc_u32 s49, s39, s49
	v_mov_b32_e32 v65, 0
	global_store_dword v65, v64, s[48:49]
	global_store_dwordx2 v65, v[62:63], s[48:49] offset:8
	v_mov_b32_e32 v62, s6
	v_mov_b32_e32 v63, 2
	s_waitcnt vmcnt(0) lgkmcnt(0)
	buffer_wbinvl1_vol
	global_store_byte v62, v63, s[40:41]
	ds_write_b32 v65, v78 offset:4096
	ds_write_b64 v65, v[60:61] offset:4104
	ds_write_b32 v65, v91 offset:4112
	ds_write_b64 v65, v[66:67] offset:4120
.LBB1690_119:
	s_or_b64 exec, exec, s[36:37]
	v_cmp_eq_u32_e32 vcc, 0, v0
	s_and_b64 exec, exec, vcc
	s_cbranch_execz .LBB1690_121
; %bb.120:
	v_mov_b32_e32 v60, 0
	ds_write_b32 v60, v91 offset:4176
	ds_write_b64 v60, v[66:67] offset:4184
.LBB1690_121:
	s_or_b64 exec, exec, s[42:43]
	v_mov_b32_e32 v63, 0
	s_waitcnt lgkmcnt(0)
	s_barrier
	ds_read_b32 v62, v63 offset:4176
	ds_read_b64 v[60:61], v63 offset:4184
	v_cndmask_b32_e64 v64, v71, v70, s[26:27]
	v_cmp_eq_u32_e32 vcc, 0, v64
	v_cndmask_b32_e64 v58, v76, v58, s[26:27]
	v_cndmask_b32_e64 v59, v77, v59, s[26:27]
	s_waitcnt lgkmcnt(0)
	v_cndmask_b32_e32 v66, 0, v60, vcc
	v_cndmask_b32_e32 v65, 0, v61, vcc
	v_add_co_u32_e32 v58, vcc, v66, v58
	v_addc_co_u32_e32 v65, vcc, v65, v59, vcc
	v_cmp_eq_u32_e32 vcc, 0, v0
	v_cndmask_b32_e64 v59, v64, 0, vcc
	v_cndmask_b32_e32 v93, v65, v61, vcc
	v_cndmask_b32_e32 v92, v58, v60, vcc
	v_cmp_eq_u32_e32 vcc, 0, v113
	v_cndmask_b32_e32 v60, 0, v92, vcc
	v_cndmask_b32_e32 v58, 0, v93, vcc
	v_add_co_u32_e32 v64, vcc, v60, v54
	v_addc_co_u32_e32 v65, vcc, v58, v55, vcc
	v_cndmask_b32_e64 v60, 0, v64, s[24:25]
	v_cndmask_b32_e64 v58, 0, v65, s[24:25]
	v_add_co_u32_e32 v66, vcc, v60, v56
	v_addc_co_u32_e32 v67, vcc, v58, v57, vcc
	v_cndmask_b32_e64 v60, 0, v66, s[22:23]
	v_cndmask_b32_e64 v58, 0, v67, s[22:23]
	;; [unrolled: 4-line block ×11, first 2 shown]
	v_add_co_u32_e32 v90, vcc, v60, v36
	v_add_u32_e32 v59, v62, v59
	v_addc_co_u32_e32 v91, vcc, v58, v37, vcc
	s_barrier
	ds_read_b32 v58, v63 offset:4096
	ds_read_b64 v[60:61], v63 offset:4104
	ds_read_b32 v62, v63 offset:4112
	ds_read_b64 v[116:117], v63 offset:4120
	v_cndmask_b32_e64 v94, 0, v90, s[2:3]
	v_cndmask_b32_e64 v95, 0, v91, s[2:3]
	v_add_co_u32_e32 v94, vcc, v94, v30
	v_addc_co_u32_e32 v95, vcc, v95, v31, vcc
	s_waitcnt lgkmcnt(3)
	v_cmp_eq_u32_e32 vcc, 0, v58
	s_waitcnt lgkmcnt(0)
	v_cndmask_b32_e32 v116, 0, v116, vcc
	v_cndmask_b32_e32 v63, 0, v117, vcc
	v_add_co_u32_e32 v60, vcc, v116, v60
	v_cndmask_b32_e64 v99, 0, v95, s[0:1]
	v_cndmask_b32_e64 v98, 0, v94, s[0:1]
	v_addc_co_u32_e32 v61, vcc, v63, v61, vcc
	s_branch .LBB1690_150
.LBB1690_122:
                                        ; implicit-def: $vgpr58
                                        ; implicit-def: $vgpr60_vgpr61
                                        ; implicit-def: $vgpr62
                                        ; implicit-def: $vgpr92_vgpr93
                                        ; implicit-def: $vgpr64_vgpr65
                                        ; implicit-def: $vgpr66_vgpr67
                                        ; implicit-def: $vgpr68_vgpr69
                                        ; implicit-def: $vgpr70_vgpr71
                                        ; implicit-def: $vgpr76_vgpr77
                                        ; implicit-def: $vgpr78_vgpr79
                                        ; implicit-def: $vgpr80_vgpr81
                                        ; implicit-def: $vgpr82_vgpr83
                                        ; implicit-def: $vgpr84_vgpr85
                                        ; implicit-def: $vgpr86_vgpr87
                                        ; implicit-def: $vgpr88_vgpr89
                                        ; implicit-def: $vgpr90_vgpr91
                                        ; implicit-def: $vgpr94_vgpr95
                                        ; implicit-def: $vgpr98_vgpr99
                                        ; implicit-def: $vgpr59
	s_cbranch_execz .LBB1690_150
; %bb.123:
	s_and_b64 s[0:1], s[30:31], exec
	s_cselect_b32 s1, 0, s57
	s_cselect_b32 s0, 0, s56
	s_cmp_eq_u64 s[0:1], 0
	s_cbranch_scc1 .LBB1690_125
; %bb.124:
	v_mov_b32_e32 v58, 0
	global_load_dwordx2 v[96:97], v58, s[0:1]
.LBB1690_125:
	v_cmp_eq_u32_e64 s[22:23], 0, v112
	v_cndmask_b32_e64 v59, 0, v54, s[22:23]
	v_cndmask_b32_e64 v58, 0, v55, s[22:23]
	v_add_co_u32_e32 v59, vcc, v59, v56
	v_cmp_eq_u32_e64 s[20:21], 0, v111
	v_addc_co_u32_e32 v58, vcc, v58, v57, vcc
	v_cndmask_b32_e64 v59, 0, v59, s[20:21]
	v_cndmask_b32_e64 v58, 0, v58, s[20:21]
	v_add_co_u32_e32 v59, vcc, v59, v50
	v_cmp_eq_u32_e64 s[18:19], 0, v110
	v_addc_co_u32_e32 v58, vcc, v58, v51, vcc
	v_cndmask_b32_e64 v59, 0, v59, s[18:19]
	v_cndmask_b32_e64 v58, 0, v58, s[18:19]
	v_add_co_u32_e32 v59, vcc, v59, v52
	v_cmp_eq_u32_e64 s[16:17], 0, v109
	v_addc_co_u32_e32 v58, vcc, v58, v53, vcc
	v_cndmask_b32_e64 v59, 0, v59, s[16:17]
	v_cndmask_b32_e64 v58, 0, v58, s[16:17]
	v_add_co_u32_e32 v59, vcc, v59, v46
	v_cmp_eq_u32_e64 s[12:13], 0, v108
	v_addc_co_u32_e32 v58, vcc, v58, v47, vcc
	v_cndmask_b32_e64 v59, 0, v59, s[12:13]
	v_cndmask_b32_e64 v58, 0, v58, s[12:13]
	v_add_co_u32_e32 v59, vcc, v59, v48
	v_cmp_eq_u32_e64 s[14:15], 0, v107
	v_addc_co_u32_e32 v58, vcc, v58, v49, vcc
	v_cndmask_b32_e64 v59, 0, v59, s[14:15]
	v_cndmask_b32_e64 v58, 0, v58, s[14:15]
	v_add_co_u32_e32 v59, vcc, v59, v42
	v_cmp_eq_u32_e64 s[8:9], 0, v106
	v_addc_co_u32_e32 v58, vcc, v58, v43, vcc
	v_cndmask_b32_e64 v59, 0, v59, s[8:9]
	v_cndmask_b32_e64 v58, 0, v58, s[8:9]
	v_add_co_u32_e32 v59, vcc, v59, v44
	v_cmp_eq_u32_e64 s[10:11], 0, v105
	v_addc_co_u32_e32 v58, vcc, v58, v45, vcc
	v_cndmask_b32_e64 v59, 0, v59, s[10:11]
	v_cndmask_b32_e64 v58, 0, v58, s[10:11]
	v_add_co_u32_e32 v59, vcc, v59, v38
	v_cmp_eq_u32_e64 s[4:5], 0, v104
	v_addc_co_u32_e32 v58, vcc, v58, v39, vcc
	v_cndmask_b32_e64 v59, 0, v59, s[4:5]
	v_cndmask_b32_e64 v58, 0, v58, s[4:5]
	v_add_co_u32_e32 v59, vcc, v59, v40
	v_cmp_eq_u32_e64 s[6:7], 0, v103
	v_addc_co_u32_e32 v58, vcc, v58, v41, vcc
	v_cndmask_b32_e64 v59, 0, v59, s[6:7]
	v_cndmask_b32_e64 v58, 0, v58, s[6:7]
	v_add_co_u32_e32 v59, vcc, v59, v34
	v_cmp_eq_u32_e64 s[0:1], 0, v102
	v_addc_co_u32_e32 v58, vcc, v58, v35, vcc
	v_cndmask_b32_e64 v59, 0, v59, s[0:1]
	v_cndmask_b32_e64 v58, 0, v58, s[0:1]
	v_add_co_u32_e32 v59, vcc, v59, v36
	v_cmp_eq_u32_e64 s[2:3], 0, v101
	v_addc_co_u32_e32 v58, vcc, v58, v37, vcc
	v_cndmask_b32_e64 v59, 0, v59, s[2:3]
	v_cndmask_b32_e64 v58, 0, v58, s[2:3]
	v_add_co_u32_e32 v59, vcc, v59, v30
	v_addc_co_u32_e32 v58, vcc, v58, v31, vcc
	v_cmp_eq_u32_e32 vcc, 0, v100
	v_add3_u32 v60, v115, v108, v107
	v_cndmask_b32_e32 v59, 0, v59, vcc
	v_add3_u32 v60, v60, v106, v105
	v_cndmask_b32_e32 v58, 0, v58, vcc
	v_add_co_u32_e64 v59, s[24:25], v59, v32
	v_add3_u32 v60, v60, v104, v103
	v_addc_co_u32_e64 v58, s[24:25], v58, v33, s[24:25]
	v_add3_u32 v60, v60, v102, v101
	v_cmp_eq_u32_e64 s[24:25], 0, v1
	v_add3_u32 v63, v60, v100, v1
	v_cndmask_b32_e64 v60, 0, v58, s[24:25]
	v_cndmask_b32_e64 v58, 0, v59, s[24:25]
	v_add_co_u32_e64 v58, s[24:25], v58, v72
	v_mbcnt_hi_u32_b32 v62, -1, v114
	v_addc_co_u32_e64 v59, s[24:25], v60, v73, s[24:25]
	v_and_b32_e32 v60, 15, v62
	v_mov_b32_dpp v64, v63 row_shr:1 row_mask:0xf bank_mask:0xf
	v_mov_b32_dpp v61, v58 row_shr:1 row_mask:0xf bank_mask:0xf
	v_mov_b32_dpp v65, v59 row_shr:1 row_mask:0xf bank_mask:0xf
	v_cmp_ne_u32_e64 s[24:25], 0, v60
	s_and_saveexec_b64 s[26:27], s[24:25]
; %bb.126:
	v_cmp_eq_u32_e64 s[24:25], 0, v63
	v_cndmask_b32_e64 v61, 0, v61, s[24:25]
	v_add_u32_e32 v64, v64, v63
	v_cndmask_b32_e64 v63, 0, v65, s[24:25]
	v_add_co_u32_e64 v58, s[24:25], v61, v58
	v_addc_co_u32_e64 v59, s[24:25], v63, v59, s[24:25]
	v_mov_b32_e32 v63, v64
; %bb.127:
	s_or_b64 exec, exec, s[26:27]
	s_nop 0
	v_mov_b32_dpp v64, v63 row_shr:2 row_mask:0xf bank_mask:0xf
	v_mov_b32_dpp v61, v58 row_shr:2 row_mask:0xf bank_mask:0xf
	v_mov_b32_dpp v65, v59 row_shr:2 row_mask:0xf bank_mask:0xf
	v_cmp_lt_u32_e64 s[24:25], 1, v60
	s_and_saveexec_b64 s[26:27], s[24:25]
; %bb.128:
	v_cmp_eq_u32_e64 s[24:25], 0, v63
	v_cndmask_b32_e64 v61, 0, v61, s[24:25]
	v_add_u32_e32 v64, v64, v63
	v_cndmask_b32_e64 v63, 0, v65, s[24:25]
	v_add_co_u32_e64 v58, s[24:25], v61, v58
	v_addc_co_u32_e64 v59, s[24:25], v63, v59, s[24:25]
	v_mov_b32_e32 v63, v64
; %bb.129:
	s_or_b64 exec, exec, s[26:27]
	s_nop 0
	v_mov_b32_dpp v64, v63 row_shr:4 row_mask:0xf bank_mask:0xf
	v_mov_b32_dpp v61, v58 row_shr:4 row_mask:0xf bank_mask:0xf
	v_mov_b32_dpp v65, v59 row_shr:4 row_mask:0xf bank_mask:0xf
	v_cmp_lt_u32_e64 s[24:25], 3, v60
	;; [unrolled: 16-line block ×3, first 2 shown]
	s_and_saveexec_b64 s[26:27], s[24:25]
; %bb.132:
	v_cmp_eq_u32_e64 s[24:25], 0, v63
	v_cndmask_b32_e64 v61, 0, v61, s[24:25]
	v_add_u32_e32 v60, v64, v63
	v_cndmask_b32_e64 v63, 0, v65, s[24:25]
	v_add_co_u32_e64 v58, s[24:25], v61, v58
	v_addc_co_u32_e64 v59, s[24:25], v63, v59, s[24:25]
	v_mov_b32_e32 v63, v60
; %bb.133:
	s_or_b64 exec, exec, s[26:27]
	v_and_b32_e32 v65, 16, v62
	v_mov_b32_dpp v61, v63 row_bcast:15 row_mask:0xf bank_mask:0xf
	v_mov_b32_dpp v60, v58 row_bcast:15 row_mask:0xf bank_mask:0xf
	;; [unrolled: 1-line block ×3, first 2 shown]
	v_cmp_ne_u32_e64 s[24:25], 0, v65
	s_and_saveexec_b64 s[26:27], s[24:25]
; %bb.134:
	v_cmp_eq_u32_e64 s[24:25], 0, v63
	v_cndmask_b32_e64 v60, 0, v60, s[24:25]
	v_add_u32_e32 v61, v61, v63
	v_cndmask_b32_e64 v63, 0, v64, s[24:25]
	v_add_co_u32_e64 v58, s[24:25], v60, v58
	v_addc_co_u32_e64 v59, s[24:25], v63, v59, s[24:25]
	v_mov_b32_e32 v63, v61
; %bb.135:
	s_or_b64 exec, exec, s[26:27]
	s_nop 0
	v_mov_b32_dpp v61, v63 row_bcast:31 row_mask:0xf bank_mask:0xf
	v_mov_b32_dpp v60, v58 row_bcast:31 row_mask:0xf bank_mask:0xf
	v_mov_b32_dpp v64, v59 row_bcast:31 row_mask:0xf bank_mask:0xf
	v_cmp_lt_u32_e64 s[24:25], 31, v62
	s_and_saveexec_b64 s[26:27], s[24:25]
; %bb.136:
	v_cmp_eq_u32_e64 s[24:25], 0, v63
	v_cndmask_b32_e64 v60, 0, v60, s[24:25]
	v_add_u32_e32 v61, v61, v63
	v_cndmask_b32_e64 v63, 0, v64, s[24:25]
	v_add_co_u32_e64 v58, s[24:25], v60, v58
	v_addc_co_u32_e64 v59, s[24:25], v63, v59, s[24:25]
	v_mov_b32_e32 v63, v61
; %bb.137:
	s_or_b64 exec, exec, s[26:27]
	v_lshrrev_b32_e32 v60, 6, v0
	v_or_b32_e32 v61, 63, v0
	v_cmp_eq_u32_e64 s[24:25], v61, v0
	v_lshlrev_b32_e32 v64, 4, v60
	s_and_saveexec_b64 s[26:27], s[24:25]
	s_cbranch_execz .LBB1690_139
; %bb.138:
	ds_write_b32 v64, v63 offset:4128
	ds_write_b64 v64, v[58:59] offset:4136
.LBB1690_139:
	s_or_b64 exec, exec, s[26:27]
	v_cmp_gt_u32_e64 s[24:25], 4, v0
	s_waitcnt lgkmcnt(0)
	s_barrier
	s_and_saveexec_b64 s[26:27], s[24:25]
	s_cbranch_execz .LBB1690_145
; %bb.140:
	v_lshlrev_b32_e32 v65, 4, v0
	ds_read_b32 v66, v65 offset:4128
	ds_read_b64 v[60:61], v65 offset:4136
	v_and_b32_e32 v67, 3, v62
	v_cmp_ne_u32_e64 s[24:25], 0, v67
	s_waitcnt lgkmcnt(1)
	v_mov_b32_dpp v69, v66 row_shr:1 row_mask:0xf bank_mask:0xf
	s_waitcnt lgkmcnt(0)
	v_mov_b32_dpp v68, v60 row_shr:1 row_mask:0xf bank_mask:0xf
	v_mov_b32_dpp v70, v61 row_shr:1 row_mask:0xf bank_mask:0xf
	s_and_saveexec_b64 s[28:29], s[24:25]
; %bb.141:
	v_cmp_eq_u32_e64 s[24:25], 0, v66
	v_cndmask_b32_e64 v68, 0, v68, s[24:25]
	v_add_u32_e32 v69, v69, v66
	v_cndmask_b32_e64 v66, 0, v70, s[24:25]
	v_add_co_u32_e64 v60, s[24:25], v68, v60
	v_addc_co_u32_e64 v61, s[24:25], v66, v61, s[24:25]
	v_mov_b32_e32 v66, v69
; %bb.142:
	s_or_b64 exec, exec, s[28:29]
	s_nop 0
	v_mov_b32_dpp v69, v66 row_shr:2 row_mask:0xf bank_mask:0xf
	v_mov_b32_dpp v68, v60 row_shr:2 row_mask:0xf bank_mask:0xf
	;; [unrolled: 1-line block ×3, first 2 shown]
	v_cmp_lt_u32_e64 s[24:25], 1, v67
	s_and_saveexec_b64 s[28:29], s[24:25]
; %bb.143:
	v_cmp_eq_u32_e64 s[24:25], 0, v66
	v_cndmask_b32_e64 v68, 0, v68, s[24:25]
	v_add_u32_e32 v67, v69, v66
	v_cndmask_b32_e64 v66, 0, v70, s[24:25]
	v_add_co_u32_e64 v60, s[24:25], v68, v60
	v_addc_co_u32_e64 v61, s[24:25], v66, v61, s[24:25]
	v_mov_b32_e32 v66, v67
; %bb.144:
	s_or_b64 exec, exec, s[28:29]
	ds_write_b32 v65, v66 offset:4128
	ds_write_b64 v65, v[60:61] offset:4136
.LBB1690_145:
	s_or_b64 exec, exec, s[26:27]
	v_cmp_lt_u32_e64 s[24:25], 63, v0
	v_mov_b32_e32 v72, 0
	v_mov_b32_e32 v65, 0
	s_waitcnt vmcnt(0)
	v_pk_mov_b32 v[60:61], v[96:97], v[96:97] op_sel:[0,1]
	s_waitcnt lgkmcnt(0)
	s_barrier
	s_and_saveexec_b64 s[26:27], s[24:25]
	s_cbranch_execz .LBB1690_147
; %bb.146:
	ds_read_b32 v65, v64 offset:4112
	ds_read_b64 v[60:61], v64 offset:4120
	s_waitcnt lgkmcnt(1)
	v_cmp_eq_u32_e64 s[24:25], 0, v65
	v_cndmask_b32_e64 v66, 0, v96, s[24:25]
	v_cndmask_b32_e64 v64, 0, v97, s[24:25]
	s_waitcnt lgkmcnt(0)
	v_add_co_u32_e64 v60, s[24:25], v66, v60
	v_addc_co_u32_e64 v61, s[24:25], v64, v61, s[24:25]
.LBB1690_147:
	s_or_b64 exec, exec, s[26:27]
	v_cmp_eq_u32_e64 s[24:25], 0, v63
	v_cndmask_b32_e64 v66, 0, v60, s[24:25]
	v_add_u32_e32 v64, v65, v63
	v_cndmask_b32_e64 v63, 0, v61, s[24:25]
	v_add_co_u32_e64 v58, s[24:25], v66, v58
	v_addc_co_u32_e64 v59, s[24:25], v63, v59, s[24:25]
	v_add_u32_e32 v63, -1, v62
	v_and_b32_e32 v66, 64, v62
	v_cmp_lt_i32_e64 s[24:25], v63, v66
	v_cndmask_b32_e64 v63, v63, v62, s[24:25]
	v_lshlrev_b32_e32 v63, 2, v63
	ds_bpermute_b32 v64, v63, v64
	ds_bpermute_b32 v66, v63, v59
	;; [unrolled: 1-line block ×3, first 2 shown]
	v_cmp_eq_u32_e64 s[24:25], 0, v62
	v_cmp_eq_u32_e64 s[26:27], 0, v113
	s_waitcnt lgkmcnt(2)
	v_cndmask_b32_e64 v59, v64, v65, s[24:25]
	s_waitcnt lgkmcnt(1)
	v_cndmask_b32_e64 v93, v66, v61, s[24:25]
	;; [unrolled: 2-line block ×3, first 2 shown]
	v_cmp_eq_u32_e64 s[24:25], 0, v0
	v_cndmask_b32_e64 v58, v92, v96, s[24:25]
	v_cndmask_b32_e64 v60, v93, v97, s[24:25]
	;; [unrolled: 1-line block ×4, first 2 shown]
	v_add_co_u32_e64 v64, s[26:27], v58, v54
	v_addc_co_u32_e64 v65, s[26:27], v60, v55, s[26:27]
	v_cndmask_b32_e64 v55, 0, v64, s[22:23]
	v_cndmask_b32_e64 v54, 0, v65, s[22:23]
	v_add_co_u32_e64 v66, s[22:23], v55, v56
	v_addc_co_u32_e64 v67, s[22:23], v54, v57, s[22:23]
	v_cndmask_b32_e64 v55, 0, v66, s[20:21]
	v_cndmask_b32_e64 v54, 0, v67, s[20:21]
	;; [unrolled: 4-line block ×11, first 2 shown]
	v_add_co_u32_e64 v90, s[0:1], v35, v36
	v_addc_co_u32_e64 v91, s[0:1], v34, v37, s[0:1]
	v_cndmask_b32_e64 v35, 0, v90, s[2:3]
	ds_read_b32 v58, v72 offset:4176
	v_cndmask_b32_e64 v34, 0, v91, s[2:3]
	v_add_co_u32_e64 v94, s[0:1], v35, v30
	v_addc_co_u32_e64 v95, s[0:1], v34, v31, s[0:1]
	ds_read_b64 v[30:31], v72 offset:4184
	v_cndmask_b32_e32 v99, 0, v95, vcc
	v_cndmask_b32_e32 v98, 0, v94, vcc
	s_waitcnt lgkmcnt(1)
	v_cmp_eq_u32_e32 vcc, 0, v58
	v_cndmask_b32_e32 v35, 0, v96, vcc
	v_cndmask_b32_e32 v34, 0, v97, vcc
	s_waitcnt lgkmcnt(0)
	v_add_co_u32_e32 v60, vcc, v35, v30
	v_addc_co_u32_e32 v61, vcc, v34, v31, vcc
	s_and_saveexec_b64 s[0:1], s[24:25]
	s_cbranch_execz .LBB1690_149
; %bb.148:
	v_mov_b32_e32 v59, 0
	v_mov_b32_e32 v30, 2
	v_pk_mov_b32 v[92:93], v[96:97], v[96:97] op_sel:[0,1]
	global_store_dword v59, v58, s[38:39] offset:1024
	global_store_dwordx2 v59, v[60:61], s[38:39] offset:1032
	s_waitcnt vmcnt(0)
	buffer_wbinvl1_vol
	global_store_byte v59, v30, s[40:41] offset:64
.LBB1690_149:
	s_or_b64 exec, exec, s[0:1]
	v_mov_b32_e32 v62, 0
.LBB1690_150:
	s_and_b64 s[0:1], s[30:31], exec
	s_cselect_b32 s1, 0, s51
	s_cselect_b32 s0, 0, s50
	s_cmp_eq_u64 s[0:1], 0
	v_pk_mov_b32 v[30:31], 0, 0
	s_barrier
	s_cbranch_scc1 .LBB1690_152
; %bb.151:
	v_mov_b32_e32 v30, 0
	global_load_dwordx2 v[30:31], v30, s[0:1]
.LBB1690_152:
	s_waitcnt vmcnt(0)
	v_lshlrev_b64 v[34:35], 3, v[30:31]
	v_mov_b32_e32 v36, s53
	v_add_co_u32_e32 v52, vcc, s52, v34
	v_mov_b32_e32 v63, 0
	v_addc_co_u32_e32 v53, vcc, v36, v35, vcc
	v_lshlrev_b64 v[36:37], 3, v[62:63]
	v_add_co_u32_e32 v52, vcc, v52, v36
	v_addc_co_u32_e32 v53, vcc, v53, v37, vcc
	v_cmp_eq_u32_e32 vcc, 0, v113
	v_cndmask_b32_e64 v54, 1, 2, vcc
	v_cmp_eq_u32_e32 vcc, 0, v112
	v_cndmask_b32_e64 v55, 1, 2, vcc
	v_cmp_eq_u32_e32 vcc, 0, v111
	v_and_b32_e32 v54, v55, v54
	v_cndmask_b32_e64 v55, 1, 2, vcc
	v_cmp_eq_u32_e32 vcc, 0, v110
	v_add_u32_e32 v51, v59, v113
	v_and_b32_e32 v54, v54, v55
	v_cndmask_b32_e64 v55, 1, 2, vcc
	v_cmp_eq_u32_e32 vcc, 0, v109
	v_add_u32_e32 v50, v51, v112
	;; [unrolled: 4-line block ×12, first 2 shown]
	v_and_b32_e32 v54, v54, v55
	v_cndmask_b32_e64 v55, 1, 2, vcc
	s_movk_i32 s30, 0x100
	v_add_u32_e32 v39, v40, v101
	v_and_b32_e32 v54, v54, v55
	v_cmp_gt_u32_e32 vcc, s30, v58
	v_add_u32_e32 v38, v39, v100
	v_cmp_ne_u32_e64 s[28:29], 0, v113
	v_cmp_ne_u32_e64 s[26:27], 0, v112
	;; [unrolled: 1-line block ×15, first 2 shown]
	s_mov_b64 s[36:37], -1
	v_cmp_gt_i16_e64 s[30:31], 2, v54
	s_cbranch_vccz .LBB1690_159
; %bb.153:
	s_and_saveexec_b64 s[36:37], s[30:31]
	s_cbranch_execz .LBB1690_158
; %bb.154:
	v_cmp_ne_u16_e32 vcc, 1, v54
	s_mov_b64 s[38:39], 0
	s_and_saveexec_b64 s[30:31], vcc
	s_xor_b64 s[30:31], exec, s[30:31]
	s_cbranch_execnz .LBB1690_191
; %bb.155:
	s_andn2_saveexec_b64 s[30:31], s[30:31]
	s_cbranch_execnz .LBB1690_207
.LBB1690_156:
	s_or_b64 exec, exec, s[30:31]
	s_and_b64 exec, exec, s[38:39]
	s_cbranch_execz .LBB1690_158
.LBB1690_157:
	v_sub_u32_e32 v56, v38, v62
	v_mov_b32_e32 v57, 0
	v_lshlrev_b64 v[56:57], 3, v[56:57]
	v_add_co_u32_e32 v56, vcc, v52, v56
	v_addc_co_u32_e32 v57, vcc, v53, v57, vcc
	global_store_dwordx2 v[56:57], v[74:75], off
.LBB1690_158:
	s_or_b64 exec, exec, s[36:37]
	s_mov_b64 s[36:37], 0
.LBB1690_159:
	s_and_b64 vcc, exec, s[36:37]
	s_cbranch_vccz .LBB1690_169
; %bb.160:
	v_cmp_gt_i16_e32 vcc, 2, v54
	s_and_saveexec_b64 s[30:31], vcc
	s_cbranch_execz .LBB1690_165
; %bb.161:
	v_cmp_ne_u16_e32 vcc, 1, v54
	s_mov_b64 s[38:39], 0
	s_and_saveexec_b64 s[36:37], vcc
	s_xor_b64 s[36:37], exec, s[36:37]
	s_cbranch_execnz .LBB1690_208
; %bb.162:
	s_andn2_saveexec_b64 s[0:1], s[36:37]
	s_cbranch_execnz .LBB1690_224
.LBB1690_163:
	s_or_b64 exec, exec, s[0:1]
	s_and_b64 exec, exec, s[38:39]
	s_cbranch_execz .LBB1690_165
.LBB1690_164:
	v_sub_u32_e32 v2, v38, v62
	v_lshlrev_b32_e32 v2, 3, v2
	ds_write_b64 v2, v[74:75]
.LBB1690_165:
	s_or_b64 exec, exec, s[30:31]
	v_cmp_lt_u32_e32 vcc, v0, v58
	s_waitcnt lgkmcnt(0)
	s_barrier
	s_and_saveexec_b64 s[0:1], vcc
	s_cbranch_execz .LBB1690_168
; %bb.166:
	v_lshlrev_b32_e32 v4, 3, v0
	s_mov_b64 s[2:3], 0
	v_mov_b32_e32 v3, 0
	v_mov_b32_e32 v2, v0
.LBB1690_167:                           ; =>This Inner Loop Header: Depth=1
	v_lshlrev_b64 v[6:7], 3, v[2:3]
	ds_read_b64 v[8:9], v4
	v_add_co_u32_e32 v6, vcc, v52, v6
	v_add_u32_e32 v2, 0x100, v2
	v_addc_co_u32_e32 v7, vcc, v53, v7, vcc
	v_cmp_ge_u32_e32 vcc, v2, v58
	v_add_u32_e32 v4, 0x800, v4
	s_or_b64 s[2:3], vcc, s[2:3]
	s_waitcnt lgkmcnt(0)
	global_store_dwordx2 v[6:7], v[8:9], off
	s_andn2_b64 exec, exec, s[2:3]
	s_cbranch_execnz .LBB1690_167
.LBB1690_168:
	s_or_b64 exec, exec, s[0:1]
.LBB1690_169:
	v_add_co_u32_e32 v2, vcc, v98, v32
	s_cmpk_lg_i32 s33, 0xf00
	v_addc_co_u32_e32 v3, vcc, v99, v33, vcc
	s_cselect_b64 s[0:1], -1, 0
	v_cndmask_b32_e64 v8, 0, 1, s[46:47]
	s_and_b64 s[0:1], s[44:45], s[0:1]
	v_cmp_eq_u32_e32 vcc, 0, v0
	v_sub_u32_e32 v4, v58, v8
	v_cndmask_b32_e64 v5, 0, 1, s[0:1]
	s_and_b64 s[0:1], vcc, s[46:47]
	v_add_u32_e32 v4, v4, v5
	v_cndmask_b32_e64 v5, v113, 0, s[0:1]
	s_mul_hi_u32 s0, s33, 0x88888889
	s_lshr_b32 s0, s0, 3
	v_mad_i32_i24 v6, v0, -15, s33
	v_cmp_eq_u32_e32 vcc, s0, v0
	v_cmp_ne_u32_e64 s[0:1], 0, v6
	v_cndmask_b32_e64 v7, 1, v5, s[0:1]
	v_cmp_ne_u32_e64 s[0:1], 1, v6
	v_cndmask_b32_e64 v9, 1, v112, s[0:1]
	v_cmp_ne_u32_e64 s[0:1], 2, v6
	v_cndmask_b32_e64 v10, 1, v111, s[0:1]
	v_cmp_ne_u32_e64 s[0:1], 3, v6
	v_cndmask_b32_e64 v11, 1, v110, s[0:1]
	v_cmp_ne_u32_e64 s[0:1], 4, v6
	v_cndmask_b32_e64 v12, 1, v109, s[0:1]
	v_cmp_ne_u32_e64 s[0:1], 5, v6
	v_cndmask_b32_e64 v13, 1, v108, s[0:1]
	v_cmp_ne_u32_e64 s[0:1], 6, v6
	v_cndmask_b32_e64 v14, 1, v107, s[0:1]
	v_cmp_ne_u32_e64 s[0:1], 7, v6
	v_cndmask_b32_e64 v15, 1, v106, s[0:1]
	v_cmp_ne_u32_e64 s[0:1], 8, v6
	v_cndmask_b32_e64 v16, 1, v105, s[0:1]
	v_cmp_ne_u32_e64 s[0:1], 9, v6
	v_cndmask_b32_e64 v17, 1, v104, s[0:1]
	v_cmp_ne_u32_e64 s[0:1], 10, v6
	v_cndmask_b32_e64 v18, 1, v103, s[0:1]
	v_cmp_ne_u32_e64 s[0:1], 11, v6
	v_cndmask_b32_e64 v19, 1, v102, s[0:1]
	v_cmp_ne_u32_e64 s[0:1], 12, v6
	v_cndmask_b32_e64 v20, 1, v101, s[0:1]
	v_cmp_ne_u32_e64 s[0:1], 13, v6
	v_cndmask_b32_e64 v21, 1, v100, s[0:1]
	v_cmp_ne_u32_e64 s[0:1], 14, v6
	v_cndmask_b32_e64 v6, 1, v1, s[0:1]
	s_and_b64 vcc, s[44:45], vcc
	v_cndmask_b32_e32 v22, v1, v6, vcc
	v_cndmask_b32_e32 v21, v100, v21, vcc
	v_cndmask_b32_e32 v20, v101, v20, vcc
	v_cndmask_b32_e32 v19, v102, v19, vcc
	v_cndmask_b32_e32 v18, v103, v18, vcc
	v_cndmask_b32_e32 v17, v104, v17, vcc
	v_cndmask_b32_e32 v16, v105, v16, vcc
	v_cndmask_b32_e32 v15, v106, v15, vcc
	v_cndmask_b32_e32 v14, v107, v14, vcc
	v_cndmask_b32_e32 v13, v108, v13, vcc
	v_cndmask_b32_e32 v12, v109, v12, vcc
	v_cndmask_b32_e32 v11, v110, v11, vcc
	v_cndmask_b32_e32 v10, v111, v10, vcc
	v_cndmask_b32_e32 v9, v112, v9, vcc
	v_cndmask_b32_e32 v23, v5, v7, vcc
	v_mov_b32_e32 v1, s55
	v_add_co_u32_e32 v5, vcc, s54, v34
	v_addc_co_u32_e32 v6, vcc, v1, v35, vcc
	v_add_co_u32_e32 v1, vcc, v5, v36
	v_addc_co_u32_e32 v5, vcc, v6, v37, vcc
	v_lshlrev_b32_e32 v6, 3, v8
	v_add_co_u32_e32 v6, vcc, v6, v1
	v_addc_co_u32_e32 v7, vcc, 0, v5, vcc
	v_add_co_u32_e32 v6, vcc, -8, v6
	v_addc_co_u32_e32 v7, vcc, -1, v7, vcc
	v_cmp_eq_u32_e32 vcc, 0, v23
	v_cmp_ne_u32_e64 s[28:29], 0, v23
	v_cndmask_b32_e64 v23, 1, 2, vcc
	v_cmp_eq_u32_e32 vcc, 0, v9
	v_cmp_ne_u32_e64 s[26:27], 0, v9
	v_cndmask_b32_e64 v9, 1, 2, vcc
	v_cmp_eq_u32_e32 vcc, 0, v10
	v_and_b32_e32 v9, v9, v23
	v_cmp_ne_u32_e64 s[24:25], 0, v10
	v_cndmask_b32_e64 v10, 1, 2, vcc
	v_cmp_eq_u32_e32 vcc, 0, v11
	v_and_b32_e32 v9, v9, v10
	v_cndmask_b32_e64 v10, 1, 2, vcc
	v_cmp_eq_u32_e32 vcc, 0, v12
	v_and_b32_e32 v9, v9, v10
	;; [unrolled: 3-line block ×12, first 2 shown]
	v_cndmask_b32_e64 v10, 1, 2, vcc
	s_movk_i32 s30, 0x100
	v_and_b32_e32 v9, v9, v10
	v_cmp_gt_u32_e32 vcc, s30, v4
	v_add_u32_e32 v8, v62, v8
	v_cmp_ne_u32_e64 s[22:23], 0, v11
	v_cmp_ne_u32_e64 s[20:21], 0, v12
	v_cmp_ne_u32_e64 s[18:19], 0, v13
	v_cmp_ne_u32_e64 s[16:17], 0, v14
	v_cmp_ne_u32_e64 s[14:15], 0, v15
	v_cmp_ne_u32_e64 s[12:13], 0, v16
	v_cmp_ne_u32_e64 s[10:11], 0, v17
	v_cmp_ne_u32_e64 s[8:9], 0, v18
	v_cmp_ne_u32_e64 s[6:7], 0, v19
	v_cmp_ne_u32_e64 s[4:5], 0, v20
	v_cmp_ne_u32_e64 s[2:3], 0, v21
	v_cmp_ne_u32_e64 s[0:1], 0, v22
	s_mov_b64 s[36:37], -1
	v_cmp_gt_i16_e64 s[30:31], 2, v9
	s_barrier
	s_cbranch_vccz .LBB1690_176
; %bb.170:
	s_and_saveexec_b64 s[36:37], s[30:31]
	s_cbranch_execz .LBB1690_175
; %bb.171:
	v_cmp_ne_u16_e32 vcc, 1, v9
	s_mov_b64 s[38:39], 0
	s_and_saveexec_b64 s[30:31], vcc
	s_xor_b64 s[30:31], exec, s[30:31]
	s_cbranch_execnz .LBB1690_225
; %bb.172:
	s_andn2_saveexec_b64 s[30:31], s[30:31]
	s_cbranch_execnz .LBB1690_241
.LBB1690_173:
	s_or_b64 exec, exec, s[30:31]
	s_and_b64 exec, exec, s[38:39]
	s_cbranch_execz .LBB1690_175
.LBB1690_174:
	v_sub_u32_e32 v10, v38, v8
	v_mov_b32_e32 v11, 0
	v_lshlrev_b64 v[10:11], 3, v[10:11]
	v_add_co_u32_e32 v10, vcc, v6, v10
	v_addc_co_u32_e32 v11, vcc, v7, v11, vcc
	global_store_dwordx2 v[10:11], v[2:3], off
.LBB1690_175:
	s_or_b64 exec, exec, s[36:37]
	s_mov_b64 s[36:37], 0
.LBB1690_176:
	s_and_b64 vcc, exec, s[36:37]
	s_cbranch_vccz .LBB1690_186
; %bb.177:
	v_cmp_gt_i16_e32 vcc, 2, v9
	s_and_saveexec_b64 s[30:31], vcc
	s_cbranch_execz .LBB1690_182
; %bb.178:
	v_cmp_ne_u16_e32 vcc, 1, v9
	s_mov_b64 s[38:39], 0
	s_and_saveexec_b64 s[36:37], vcc
	s_xor_b64 s[36:37], exec, s[36:37]
	s_cbranch_execnz .LBB1690_242
; %bb.179:
	s_andn2_saveexec_b64 s[0:1], s[36:37]
	s_cbranch_execnz .LBB1690_258
.LBB1690_180:
	s_or_b64 exec, exec, s[0:1]
	s_and_b64 exec, exec, s[38:39]
	s_cbranch_execz .LBB1690_182
.LBB1690_181:
	v_sub_u32_e32 v8, v38, v8
	v_lshlrev_b32_e32 v8, 3, v8
	ds_write_b64 v8, v[2:3]
.LBB1690_182:
	s_or_b64 exec, exec, s[30:31]
	v_cmp_lt_u32_e32 vcc, v0, v4
	s_waitcnt lgkmcnt(0)
	s_barrier
	s_and_saveexec_b64 s[0:1], vcc
	s_cbranch_execz .LBB1690_185
; %bb.183:
	v_lshlrev_b32_e32 v8, 3, v0
	s_mov_b64 s[2:3], 0
	v_mov_b32_e32 v3, 0
	v_mov_b32_e32 v2, v0
.LBB1690_184:                           ; =>This Inner Loop Header: Depth=1
	v_lshlrev_b64 v[10:11], 3, v[2:3]
	ds_read_b64 v[12:13], v8
	v_add_co_u32_e32 v10, vcc, v6, v10
	v_add_u32_e32 v2, 0x100, v2
	v_addc_co_u32_e32 v11, vcc, v7, v11, vcc
	v_cmp_ge_u32_e32 vcc, v2, v4
	v_add_u32_e32 v8, 0x800, v8
	s_or_b64 s[2:3], vcc, s[2:3]
	s_waitcnt lgkmcnt(0)
	global_store_dwordx2 v[10:11], v[12:13], off
	s_andn2_b64 exec, exec, s[2:3]
	s_cbranch_execnz .LBB1690_184
.LBB1690_185:
	s_or_b64 exec, exec, s[0:1]
.LBB1690_186:
	s_movk_i32 s0, 0xff
	v_cmp_eq_u32_e32 vcc, s0, v0
	s_and_b64 s[0:1], vcc, s[44:45]
	s_and_saveexec_b64 s[2:3], s[0:1]
	s_cbranch_execz .LBB1690_189
; %bb.187:
	v_add_co_u32_e32 v0, vcc, v58, v62
	v_addc_co_u32_e64 v3, s[0:1], 0, 0, vcc
	v_add_co_u32_e32 v2, vcc, v0, v30
	v_mov_b32_e32 v59, 0
	v_addc_co_u32_e32 v3, vcc, v3, v31, vcc
	s_cmpk_lg_i32 s33, 0xf00
	global_store_dwordx2 v59, v[2:3], s[34:35]
	s_cbranch_scc1 .LBB1690_189
; %bb.188:
	v_lshlrev_b64 v[2:3], 3, v[58:59]
	v_add_co_u32_e32 v0, vcc, v1, v2
	v_addc_co_u32_e32 v1, vcc, v5, v3, vcc
	global_store_dwordx2 v[0:1], v[60:61], off offset:-8
.LBB1690_189:
	s_endpgm
.LBB1690_190:
	s_or_b64 exec, exec, s[2:3]
	v_mov_b32_e32 v113, s4
	s_and_saveexec_b64 s[2:3], s[60:61]
	s_cbranch_execnz .LBB1690_54
	s_branch .LBB1690_55
.LBB1690_191:
	s_and_saveexec_b64 s[38:39], s[28:29]
	s_cbranch_execnz .LBB1690_259
; %bb.192:
	s_or_b64 exec, exec, s[38:39]
	s_and_saveexec_b64 s[38:39], s[26:27]
	s_cbranch_execnz .LBB1690_260
.LBB1690_193:
	s_or_b64 exec, exec, s[38:39]
	s_and_saveexec_b64 s[38:39], s[24:25]
	s_cbranch_execnz .LBB1690_261
.LBB1690_194:
	s_or_b64 exec, exec, s[38:39]
	s_and_saveexec_b64 s[38:39], s[22:23]
	s_cbranch_execnz .LBB1690_262
.LBB1690_195:
	s_or_b64 exec, exec, s[38:39]
	s_and_saveexec_b64 s[38:39], s[20:21]
	s_cbranch_execnz .LBB1690_263
.LBB1690_196:
	s_or_b64 exec, exec, s[38:39]
	s_and_saveexec_b64 s[38:39], s[18:19]
	s_cbranch_execnz .LBB1690_264
.LBB1690_197:
	s_or_b64 exec, exec, s[38:39]
	s_and_saveexec_b64 s[38:39], s[16:17]
	s_cbranch_execnz .LBB1690_265
.LBB1690_198:
	s_or_b64 exec, exec, s[38:39]
	s_and_saveexec_b64 s[38:39], s[14:15]
	s_cbranch_execnz .LBB1690_266
.LBB1690_199:
	s_or_b64 exec, exec, s[38:39]
	s_and_saveexec_b64 s[38:39], s[12:13]
	s_cbranch_execnz .LBB1690_267
.LBB1690_200:
	s_or_b64 exec, exec, s[38:39]
	s_and_saveexec_b64 s[38:39], s[10:11]
	s_cbranch_execnz .LBB1690_268
.LBB1690_201:
	s_or_b64 exec, exec, s[38:39]
	s_and_saveexec_b64 s[38:39], s[8:9]
	s_cbranch_execnz .LBB1690_269
.LBB1690_202:
	s_or_b64 exec, exec, s[38:39]
	s_and_saveexec_b64 s[38:39], s[6:7]
	s_cbranch_execnz .LBB1690_270
.LBB1690_203:
	s_or_b64 exec, exec, s[38:39]
	s_and_saveexec_b64 s[38:39], s[4:5]
	s_cbranch_execnz .LBB1690_271
.LBB1690_204:
	s_or_b64 exec, exec, s[38:39]
	s_and_saveexec_b64 s[38:39], s[2:3]
	s_cbranch_execz .LBB1690_206
.LBB1690_205:
	v_sub_u32_e32 v56, v39, v62
	v_mov_b32_e32 v57, 0
	v_lshlrev_b64 v[56:57], 3, v[56:57]
	v_add_co_u32_e32 v56, vcc, v52, v56
	v_addc_co_u32_e32 v57, vcc, v53, v57, vcc
	global_store_dwordx2 v[56:57], v[4:5], off
.LBB1690_206:
	s_or_b64 exec, exec, s[38:39]
	s_and_b64 s[38:39], s[0:1], exec
	s_andn2_saveexec_b64 s[30:31], s[30:31]
	s_cbranch_execz .LBB1690_156
.LBB1690_207:
	v_sub_u32_e32 v56, v59, v62
	v_mov_b32_e32 v57, 0
	v_lshlrev_b64 v[72:73], 3, v[56:57]
	v_add_co_u32_e32 v72, vcc, v52, v72
	v_addc_co_u32_e32 v73, vcc, v53, v73, vcc
	v_sub_u32_e32 v56, v51, v62
	global_store_dwordx2 v[72:73], v[26:27], off
	v_lshlrev_b64 v[72:73], 3, v[56:57]
	v_add_co_u32_e32 v72, vcc, v52, v72
	v_addc_co_u32_e32 v73, vcc, v53, v73, vcc
	v_sub_u32_e32 v56, v50, v62
	global_store_dwordx2 v[72:73], v[28:29], off
	;; [unrolled: 5-line block ×12, first 2 shown]
	v_lshlrev_b64 v[72:73], 3, v[56:57]
	v_add_co_u32_e32 v72, vcc, v52, v72
	v_sub_u32_e32 v56, v39, v62
	v_addc_co_u32_e32 v73, vcc, v53, v73, vcc
	v_lshlrev_b64 v[56:57], 3, v[56:57]
	v_add_co_u32_e32 v56, vcc, v52, v56
	v_addc_co_u32_e32 v57, vcc, v53, v57, vcc
	s_or_b64 s[38:39], s[38:39], exec
	global_store_dwordx2 v[72:73], v[2:3], off
	global_store_dwordx2 v[56:57], v[4:5], off
	s_or_b64 exec, exec, s[30:31]
	s_and_b64 exec, exec, s[38:39]
	s_cbranch_execnz .LBB1690_157
	s_branch .LBB1690_158
.LBB1690_208:
	s_and_saveexec_b64 s[38:39], s[28:29]
	s_cbranch_execnz .LBB1690_272
; %bb.209:
	s_or_b64 exec, exec, s[38:39]
	s_and_saveexec_b64 s[28:29], s[26:27]
	s_cbranch_execnz .LBB1690_273
.LBB1690_210:
	s_or_b64 exec, exec, s[28:29]
	s_and_saveexec_b64 s[26:27], s[24:25]
	s_cbranch_execnz .LBB1690_274
.LBB1690_211:
	s_or_b64 exec, exec, s[26:27]
	s_and_saveexec_b64 s[24:25], s[22:23]
	s_cbranch_execnz .LBB1690_275
.LBB1690_212:
	s_or_b64 exec, exec, s[24:25]
	s_and_saveexec_b64 s[22:23], s[20:21]
	s_cbranch_execnz .LBB1690_276
.LBB1690_213:
	s_or_b64 exec, exec, s[22:23]
	s_and_saveexec_b64 s[20:21], s[18:19]
	s_cbranch_execnz .LBB1690_277
.LBB1690_214:
	s_or_b64 exec, exec, s[20:21]
	s_and_saveexec_b64 s[18:19], s[16:17]
	s_cbranch_execnz .LBB1690_278
.LBB1690_215:
	s_or_b64 exec, exec, s[18:19]
	s_and_saveexec_b64 s[16:17], s[14:15]
	s_cbranch_execnz .LBB1690_279
.LBB1690_216:
	s_or_b64 exec, exec, s[16:17]
	s_and_saveexec_b64 s[14:15], s[12:13]
	s_cbranch_execnz .LBB1690_280
.LBB1690_217:
	s_or_b64 exec, exec, s[14:15]
	s_and_saveexec_b64 s[12:13], s[10:11]
	s_cbranch_execnz .LBB1690_281
.LBB1690_218:
	s_or_b64 exec, exec, s[12:13]
	s_and_saveexec_b64 s[10:11], s[8:9]
	s_cbranch_execnz .LBB1690_282
.LBB1690_219:
	s_or_b64 exec, exec, s[10:11]
	s_and_saveexec_b64 s[8:9], s[6:7]
	s_cbranch_execnz .LBB1690_283
.LBB1690_220:
	s_or_b64 exec, exec, s[8:9]
	s_and_saveexec_b64 s[6:7], s[4:5]
	s_cbranch_execnz .LBB1690_284
.LBB1690_221:
	s_or_b64 exec, exec, s[6:7]
	s_and_saveexec_b64 s[4:5], s[2:3]
	s_cbranch_execz .LBB1690_223
.LBB1690_222:
	v_sub_u32_e32 v2, v39, v62
	v_lshlrev_b32_e32 v2, 3, v2
	ds_write_b64 v2, v[4:5]
.LBB1690_223:
	s_or_b64 exec, exec, s[4:5]
	s_and_b64 s[38:39], s[0:1], exec
                                        ; implicit-def: $vgpr2_vgpr3
                                        ; implicit-def: $vgpr6_vgpr7
                                        ; implicit-def: $vgpr10_vgpr11
                                        ; implicit-def: $vgpr14_vgpr15
                                        ; implicit-def: $vgpr18_vgpr19
                                        ; implicit-def: $vgpr22_vgpr23
                                        ; implicit-def: $vgpr26_vgpr27
	s_andn2_saveexec_b64 s[0:1], s[36:37]
	s_cbranch_execz .LBB1690_163
.LBB1690_224:
	v_sub_u32_e32 v54, v59, v62
	v_lshlrev_b32_e32 v54, 3, v54
	ds_write_b64 v54, v[26:27]
	v_sub_u32_e32 v26, v51, v62
	v_lshlrev_b32_e32 v26, 3, v26
	ds_write_b64 v26, v[28:29]
	;; [unrolled: 3-line block ×13, first 2 shown]
	v_sub_u32_e32 v2, v39, v62
	v_lshlrev_b32_e32 v2, 3, v2
	s_or_b64 s[38:39], s[38:39], exec
	ds_write_b64 v2, v[4:5]
	s_or_b64 exec, exec, s[0:1]
	s_and_b64 exec, exec, s[38:39]
	s_cbranch_execnz .LBB1690_164
	s_branch .LBB1690_165
.LBB1690_225:
	s_and_saveexec_b64 s[38:39], s[28:29]
	s_cbranch_execnz .LBB1690_285
; %bb.226:
	s_or_b64 exec, exec, s[38:39]
	s_and_saveexec_b64 s[38:39], s[26:27]
	s_cbranch_execnz .LBB1690_286
.LBB1690_227:
	s_or_b64 exec, exec, s[38:39]
	s_and_saveexec_b64 s[38:39], s[24:25]
	s_cbranch_execnz .LBB1690_287
.LBB1690_228:
	s_or_b64 exec, exec, s[38:39]
	s_and_saveexec_b64 s[38:39], s[22:23]
	s_cbranch_execnz .LBB1690_288
.LBB1690_229:
	s_or_b64 exec, exec, s[38:39]
	s_and_saveexec_b64 s[38:39], s[20:21]
	s_cbranch_execnz .LBB1690_289
.LBB1690_230:
	s_or_b64 exec, exec, s[38:39]
	s_and_saveexec_b64 s[38:39], s[18:19]
	s_cbranch_execnz .LBB1690_290
.LBB1690_231:
	s_or_b64 exec, exec, s[38:39]
	s_and_saveexec_b64 s[38:39], s[16:17]
	s_cbranch_execnz .LBB1690_291
.LBB1690_232:
	s_or_b64 exec, exec, s[38:39]
	s_and_saveexec_b64 s[38:39], s[14:15]
	s_cbranch_execnz .LBB1690_292
.LBB1690_233:
	s_or_b64 exec, exec, s[38:39]
	s_and_saveexec_b64 s[38:39], s[12:13]
	s_cbranch_execnz .LBB1690_293
.LBB1690_234:
	s_or_b64 exec, exec, s[38:39]
	s_and_saveexec_b64 s[38:39], s[10:11]
	s_cbranch_execnz .LBB1690_294
.LBB1690_235:
	s_or_b64 exec, exec, s[38:39]
	s_and_saveexec_b64 s[38:39], s[8:9]
	s_cbranch_execnz .LBB1690_295
.LBB1690_236:
	s_or_b64 exec, exec, s[38:39]
	s_and_saveexec_b64 s[38:39], s[6:7]
	s_cbranch_execnz .LBB1690_296
.LBB1690_237:
	s_or_b64 exec, exec, s[38:39]
	s_and_saveexec_b64 s[38:39], s[4:5]
	s_cbranch_execnz .LBB1690_297
.LBB1690_238:
	s_or_b64 exec, exec, s[38:39]
	s_and_saveexec_b64 s[38:39], s[2:3]
	s_cbranch_execz .LBB1690_240
.LBB1690_239:
	v_sub_u32_e32 v10, v39, v8
	v_mov_b32_e32 v11, 0
	v_lshlrev_b64 v[10:11], 3, v[10:11]
	v_add_co_u32_e32 v10, vcc, v6, v10
	v_addc_co_u32_e32 v11, vcc, v7, v11, vcc
	global_store_dwordx2 v[10:11], v[94:95], off
.LBB1690_240:
	s_or_b64 exec, exec, s[38:39]
	s_and_b64 s[38:39], s[0:1], exec
	s_andn2_saveexec_b64 s[30:31], s[30:31]
	s_cbranch_execz .LBB1690_173
.LBB1690_241:
	v_sub_u32_e32 v10, v59, v8
	v_mov_b32_e32 v11, 0
	v_lshlrev_b64 v[12:13], 3, v[10:11]
	v_add_co_u32_e32 v12, vcc, v6, v12
	v_addc_co_u32_e32 v13, vcc, v7, v13, vcc
	v_sub_u32_e32 v10, v51, v8
	global_store_dwordx2 v[12:13], v[92:93], off
	v_lshlrev_b64 v[12:13], 3, v[10:11]
	v_add_co_u32_e32 v12, vcc, v6, v12
	v_addc_co_u32_e32 v13, vcc, v7, v13, vcc
	v_sub_u32_e32 v10, v50, v8
	global_store_dwordx2 v[12:13], v[64:65], off
	v_lshlrev_b64 v[12:13], 3, v[10:11]
	v_add_co_u32_e32 v12, vcc, v6, v12
	v_addc_co_u32_e32 v13, vcc, v7, v13, vcc
	v_sub_u32_e32 v10, v49, v8
	global_store_dwordx2 v[12:13], v[66:67], off
	v_lshlrev_b64 v[12:13], 3, v[10:11]
	v_add_co_u32_e32 v12, vcc, v6, v12
	v_addc_co_u32_e32 v13, vcc, v7, v13, vcc
	v_sub_u32_e32 v10, v48, v8
	global_store_dwordx2 v[12:13], v[68:69], off
	v_lshlrev_b64 v[12:13], 3, v[10:11]
	v_add_co_u32_e32 v12, vcc, v6, v12
	v_addc_co_u32_e32 v13, vcc, v7, v13, vcc
	v_sub_u32_e32 v10, v47, v8
	global_store_dwordx2 v[12:13], v[70:71], off
	v_lshlrev_b64 v[12:13], 3, v[10:11]
	v_add_co_u32_e32 v12, vcc, v6, v12
	v_addc_co_u32_e32 v13, vcc, v7, v13, vcc
	v_sub_u32_e32 v10, v46, v8
	global_store_dwordx2 v[12:13], v[76:77], off
	v_lshlrev_b64 v[12:13], 3, v[10:11]
	v_add_co_u32_e32 v12, vcc, v6, v12
	v_addc_co_u32_e32 v13, vcc, v7, v13, vcc
	v_sub_u32_e32 v10, v45, v8
	global_store_dwordx2 v[12:13], v[78:79], off
	v_lshlrev_b64 v[12:13], 3, v[10:11]
	v_add_co_u32_e32 v12, vcc, v6, v12
	v_addc_co_u32_e32 v13, vcc, v7, v13, vcc
	v_sub_u32_e32 v10, v44, v8
	global_store_dwordx2 v[12:13], v[80:81], off
	v_lshlrev_b64 v[12:13], 3, v[10:11]
	v_add_co_u32_e32 v12, vcc, v6, v12
	v_addc_co_u32_e32 v13, vcc, v7, v13, vcc
	v_sub_u32_e32 v10, v43, v8
	global_store_dwordx2 v[12:13], v[82:83], off
	v_lshlrev_b64 v[12:13], 3, v[10:11]
	v_add_co_u32_e32 v12, vcc, v6, v12
	v_addc_co_u32_e32 v13, vcc, v7, v13, vcc
	v_sub_u32_e32 v10, v42, v8
	global_store_dwordx2 v[12:13], v[84:85], off
	v_lshlrev_b64 v[12:13], 3, v[10:11]
	v_add_co_u32_e32 v12, vcc, v6, v12
	v_addc_co_u32_e32 v13, vcc, v7, v13, vcc
	v_sub_u32_e32 v10, v41, v8
	global_store_dwordx2 v[12:13], v[86:87], off
	v_lshlrev_b64 v[12:13], 3, v[10:11]
	v_add_co_u32_e32 v12, vcc, v6, v12
	v_addc_co_u32_e32 v13, vcc, v7, v13, vcc
	v_sub_u32_e32 v10, v40, v8
	global_store_dwordx2 v[12:13], v[88:89], off
	v_lshlrev_b64 v[12:13], 3, v[10:11]
	v_add_co_u32_e32 v12, vcc, v6, v12
	v_sub_u32_e32 v10, v39, v8
	v_addc_co_u32_e32 v13, vcc, v7, v13, vcc
	v_lshlrev_b64 v[10:11], 3, v[10:11]
	v_add_co_u32_e32 v10, vcc, v6, v10
	v_addc_co_u32_e32 v11, vcc, v7, v11, vcc
	s_or_b64 s[38:39], s[38:39], exec
	global_store_dwordx2 v[12:13], v[90:91], off
	global_store_dwordx2 v[10:11], v[94:95], off
	s_or_b64 exec, exec, s[30:31]
	s_and_b64 exec, exec, s[38:39]
	s_cbranch_execnz .LBB1690_174
	s_branch .LBB1690_175
.LBB1690_242:
	s_and_saveexec_b64 s[38:39], s[28:29]
	s_cbranch_execnz .LBB1690_298
; %bb.243:
	s_or_b64 exec, exec, s[38:39]
	s_and_saveexec_b64 s[28:29], s[26:27]
	s_cbranch_execnz .LBB1690_299
.LBB1690_244:
	s_or_b64 exec, exec, s[28:29]
	s_and_saveexec_b64 s[26:27], s[24:25]
	s_cbranch_execnz .LBB1690_300
.LBB1690_245:
	s_or_b64 exec, exec, s[26:27]
	s_and_saveexec_b64 s[24:25], s[22:23]
	s_cbranch_execnz .LBB1690_301
.LBB1690_246:
	s_or_b64 exec, exec, s[24:25]
	s_and_saveexec_b64 s[22:23], s[20:21]
	s_cbranch_execnz .LBB1690_302
.LBB1690_247:
	s_or_b64 exec, exec, s[22:23]
	s_and_saveexec_b64 s[20:21], s[18:19]
	s_cbranch_execnz .LBB1690_303
.LBB1690_248:
	s_or_b64 exec, exec, s[20:21]
	s_and_saveexec_b64 s[18:19], s[16:17]
	s_cbranch_execnz .LBB1690_304
.LBB1690_249:
	s_or_b64 exec, exec, s[18:19]
	s_and_saveexec_b64 s[16:17], s[14:15]
	s_cbranch_execnz .LBB1690_305
.LBB1690_250:
	s_or_b64 exec, exec, s[16:17]
	s_and_saveexec_b64 s[14:15], s[12:13]
	s_cbranch_execnz .LBB1690_306
.LBB1690_251:
	s_or_b64 exec, exec, s[14:15]
	s_and_saveexec_b64 s[12:13], s[10:11]
	s_cbranch_execnz .LBB1690_307
.LBB1690_252:
	s_or_b64 exec, exec, s[12:13]
	s_and_saveexec_b64 s[10:11], s[8:9]
	s_cbranch_execnz .LBB1690_308
.LBB1690_253:
	s_or_b64 exec, exec, s[10:11]
	s_and_saveexec_b64 s[8:9], s[6:7]
	s_cbranch_execnz .LBB1690_309
.LBB1690_254:
	s_or_b64 exec, exec, s[8:9]
	s_and_saveexec_b64 s[6:7], s[4:5]
	s_cbranch_execnz .LBB1690_310
.LBB1690_255:
	s_or_b64 exec, exec, s[6:7]
	s_and_saveexec_b64 s[4:5], s[2:3]
	s_cbranch_execz .LBB1690_257
.LBB1690_256:
	v_sub_u32_e32 v9, v39, v8
	v_lshlrev_b32_e32 v9, 3, v9
	ds_write_b64 v9, v[94:95]
.LBB1690_257:
	s_or_b64 exec, exec, s[4:5]
	s_and_b64 s[38:39], s[0:1], exec
                                        ; implicit-def: $vgpr92_vgpr93
                                        ; implicit-def: $vgpr64_vgpr65
                                        ; implicit-def: $vgpr66_vgpr67
                                        ; implicit-def: $vgpr68_vgpr69
                                        ; implicit-def: $vgpr70_vgpr71
                                        ; implicit-def: $vgpr76_vgpr77
                                        ; implicit-def: $vgpr78_vgpr79
                                        ; implicit-def: $vgpr80_vgpr81
                                        ; implicit-def: $vgpr82_vgpr83
                                        ; implicit-def: $vgpr84_vgpr85
                                        ; implicit-def: $vgpr86_vgpr87
                                        ; implicit-def: $vgpr88_vgpr89
                                        ; implicit-def: $vgpr90_vgpr91
                                        ; implicit-def: $vgpr94_vgpr95
                                        ; implicit-def: $vgpr59
                                        ; implicit-def: $vgpr51
                                        ; implicit-def: $vgpr50
                                        ; implicit-def: $vgpr49
                                        ; implicit-def: $vgpr48
                                        ; implicit-def: $vgpr47
                                        ; implicit-def: $vgpr46
                                        ; implicit-def: $vgpr45
                                        ; implicit-def: $vgpr44
                                        ; implicit-def: $vgpr43
                                        ; implicit-def: $vgpr42
                                        ; implicit-def: $vgpr41
                                        ; implicit-def: $vgpr40
                                        ; implicit-def: $vgpr39
	s_andn2_saveexec_b64 s[0:1], s[36:37]
	s_cbranch_execz .LBB1690_180
.LBB1690_258:
	v_sub_u32_e32 v9, v59, v8
	v_lshlrev_b32_e32 v9, 3, v9
	ds_write_b64 v9, v[92:93]
	v_sub_u32_e32 v9, v51, v8
	v_lshlrev_b32_e32 v9, 3, v9
	ds_write_b64 v9, v[64:65]
	;; [unrolled: 3-line block ×13, first 2 shown]
	v_sub_u32_e32 v9, v39, v8
	v_lshlrev_b32_e32 v9, 3, v9
	s_or_b64 s[38:39], s[38:39], exec
	ds_write_b64 v9, v[94:95]
	s_or_b64 exec, exec, s[0:1]
	s_and_b64 exec, exec, s[38:39]
	s_cbranch_execnz .LBB1690_181
	s_branch .LBB1690_182
.LBB1690_259:
	v_sub_u32_e32 v56, v59, v62
	v_mov_b32_e32 v57, 0
	v_lshlrev_b64 v[56:57], 3, v[56:57]
	v_add_co_u32_e32 v56, vcc, v52, v56
	v_addc_co_u32_e32 v57, vcc, v53, v57, vcc
	global_store_dwordx2 v[56:57], v[26:27], off
	s_or_b64 exec, exec, s[38:39]
	s_and_saveexec_b64 s[38:39], s[26:27]
	s_cbranch_execz .LBB1690_193
.LBB1690_260:
	v_sub_u32_e32 v56, v51, v62
	v_mov_b32_e32 v57, 0
	v_lshlrev_b64 v[56:57], 3, v[56:57]
	v_add_co_u32_e32 v56, vcc, v52, v56
	v_addc_co_u32_e32 v57, vcc, v53, v57, vcc
	global_store_dwordx2 v[56:57], v[28:29], off
	s_or_b64 exec, exec, s[38:39]
	s_and_saveexec_b64 s[38:39], s[24:25]
	s_cbranch_execz .LBB1690_194
.LBB1690_261:
	v_sub_u32_e32 v56, v50, v62
	v_mov_b32_e32 v57, 0
	v_lshlrev_b64 v[56:57], 3, v[56:57]
	v_add_co_u32_e32 v56, vcc, v52, v56
	v_addc_co_u32_e32 v57, vcc, v53, v57, vcc
	global_store_dwordx2 v[56:57], v[22:23], off
	s_or_b64 exec, exec, s[38:39]
	s_and_saveexec_b64 s[38:39], s[22:23]
	s_cbranch_execz .LBB1690_195
.LBB1690_262:
	v_sub_u32_e32 v56, v49, v62
	v_mov_b32_e32 v57, 0
	v_lshlrev_b64 v[56:57], 3, v[56:57]
	v_add_co_u32_e32 v56, vcc, v52, v56
	v_addc_co_u32_e32 v57, vcc, v53, v57, vcc
	global_store_dwordx2 v[56:57], v[24:25], off
	s_or_b64 exec, exec, s[38:39]
	s_and_saveexec_b64 s[38:39], s[20:21]
	s_cbranch_execz .LBB1690_196
.LBB1690_263:
	v_sub_u32_e32 v56, v48, v62
	v_mov_b32_e32 v57, 0
	v_lshlrev_b64 v[56:57], 3, v[56:57]
	v_add_co_u32_e32 v56, vcc, v52, v56
	v_addc_co_u32_e32 v57, vcc, v53, v57, vcc
	global_store_dwordx2 v[56:57], v[18:19], off
	s_or_b64 exec, exec, s[38:39]
	s_and_saveexec_b64 s[38:39], s[18:19]
	s_cbranch_execz .LBB1690_197
.LBB1690_264:
	v_sub_u32_e32 v56, v47, v62
	v_mov_b32_e32 v57, 0
	v_lshlrev_b64 v[56:57], 3, v[56:57]
	v_add_co_u32_e32 v56, vcc, v52, v56
	v_addc_co_u32_e32 v57, vcc, v53, v57, vcc
	global_store_dwordx2 v[56:57], v[20:21], off
	s_or_b64 exec, exec, s[38:39]
	s_and_saveexec_b64 s[38:39], s[16:17]
	s_cbranch_execz .LBB1690_198
.LBB1690_265:
	v_sub_u32_e32 v56, v46, v62
	v_mov_b32_e32 v57, 0
	v_lshlrev_b64 v[56:57], 3, v[56:57]
	v_add_co_u32_e32 v56, vcc, v52, v56
	v_addc_co_u32_e32 v57, vcc, v53, v57, vcc
	global_store_dwordx2 v[56:57], v[14:15], off
	s_or_b64 exec, exec, s[38:39]
	s_and_saveexec_b64 s[38:39], s[14:15]
	s_cbranch_execz .LBB1690_199
.LBB1690_266:
	v_sub_u32_e32 v56, v45, v62
	v_mov_b32_e32 v57, 0
	v_lshlrev_b64 v[56:57], 3, v[56:57]
	v_add_co_u32_e32 v56, vcc, v52, v56
	v_addc_co_u32_e32 v57, vcc, v53, v57, vcc
	global_store_dwordx2 v[56:57], v[16:17], off
	s_or_b64 exec, exec, s[38:39]
	s_and_saveexec_b64 s[38:39], s[12:13]
	s_cbranch_execz .LBB1690_200
.LBB1690_267:
	v_sub_u32_e32 v56, v44, v62
	v_mov_b32_e32 v57, 0
	v_lshlrev_b64 v[56:57], 3, v[56:57]
	v_add_co_u32_e32 v56, vcc, v52, v56
	v_addc_co_u32_e32 v57, vcc, v53, v57, vcc
	global_store_dwordx2 v[56:57], v[10:11], off
	s_or_b64 exec, exec, s[38:39]
	s_and_saveexec_b64 s[38:39], s[10:11]
	s_cbranch_execz .LBB1690_201
.LBB1690_268:
	v_sub_u32_e32 v56, v43, v62
	v_mov_b32_e32 v57, 0
	v_lshlrev_b64 v[56:57], 3, v[56:57]
	v_add_co_u32_e32 v56, vcc, v52, v56
	v_addc_co_u32_e32 v57, vcc, v53, v57, vcc
	global_store_dwordx2 v[56:57], v[12:13], off
	s_or_b64 exec, exec, s[38:39]
	s_and_saveexec_b64 s[38:39], s[8:9]
	s_cbranch_execz .LBB1690_202
.LBB1690_269:
	v_sub_u32_e32 v56, v42, v62
	v_mov_b32_e32 v57, 0
	v_lshlrev_b64 v[56:57], 3, v[56:57]
	v_add_co_u32_e32 v56, vcc, v52, v56
	v_addc_co_u32_e32 v57, vcc, v53, v57, vcc
	global_store_dwordx2 v[56:57], v[6:7], off
	s_or_b64 exec, exec, s[38:39]
	s_and_saveexec_b64 s[38:39], s[6:7]
	s_cbranch_execz .LBB1690_203
.LBB1690_270:
	v_sub_u32_e32 v56, v41, v62
	v_mov_b32_e32 v57, 0
	v_lshlrev_b64 v[56:57], 3, v[56:57]
	v_add_co_u32_e32 v56, vcc, v52, v56
	v_addc_co_u32_e32 v57, vcc, v53, v57, vcc
	global_store_dwordx2 v[56:57], v[8:9], off
	s_or_b64 exec, exec, s[38:39]
	s_and_saveexec_b64 s[38:39], s[4:5]
	s_cbranch_execz .LBB1690_204
.LBB1690_271:
	v_sub_u32_e32 v56, v40, v62
	v_mov_b32_e32 v57, 0
	v_lshlrev_b64 v[56:57], 3, v[56:57]
	v_add_co_u32_e32 v56, vcc, v52, v56
	v_addc_co_u32_e32 v57, vcc, v53, v57, vcc
	global_store_dwordx2 v[56:57], v[2:3], off
	s_or_b64 exec, exec, s[38:39]
	s_and_saveexec_b64 s[38:39], s[2:3]
	s_cbranch_execnz .LBB1690_205
	s_branch .LBB1690_206
.LBB1690_272:
	v_sub_u32_e32 v54, v59, v62
	v_lshlrev_b32_e32 v54, 3, v54
	ds_write_b64 v54, v[26:27]
	s_or_b64 exec, exec, s[38:39]
	s_and_saveexec_b64 s[28:29], s[26:27]
	s_cbranch_execz .LBB1690_210
.LBB1690_273:
	v_sub_u32_e32 v26, v51, v62
	v_lshlrev_b32_e32 v26, 3, v26
	ds_write_b64 v26, v[28:29]
	s_or_b64 exec, exec, s[28:29]
	s_and_saveexec_b64 s[26:27], s[24:25]
	s_cbranch_execz .LBB1690_211
.LBB1690_274:
	v_sub_u32_e32 v26, v50, v62
	v_lshlrev_b32_e32 v26, 3, v26
	ds_write_b64 v26, v[22:23]
	s_or_b64 exec, exec, s[26:27]
	s_and_saveexec_b64 s[24:25], s[22:23]
	s_cbranch_execz .LBB1690_212
.LBB1690_275:
	v_sub_u32_e32 v22, v49, v62
	v_lshlrev_b32_e32 v22, 3, v22
	ds_write_b64 v22, v[24:25]
	s_or_b64 exec, exec, s[24:25]
	s_and_saveexec_b64 s[22:23], s[20:21]
	s_cbranch_execz .LBB1690_213
.LBB1690_276:
	v_sub_u32_e32 v22, v48, v62
	v_lshlrev_b32_e32 v22, 3, v22
	ds_write_b64 v22, v[18:19]
	s_or_b64 exec, exec, s[22:23]
	s_and_saveexec_b64 s[20:21], s[18:19]
	s_cbranch_execz .LBB1690_214
.LBB1690_277:
	v_sub_u32_e32 v18, v47, v62
	v_lshlrev_b32_e32 v18, 3, v18
	ds_write_b64 v18, v[20:21]
	s_or_b64 exec, exec, s[20:21]
	s_and_saveexec_b64 s[18:19], s[16:17]
	s_cbranch_execz .LBB1690_215
.LBB1690_278:
	v_sub_u32_e32 v18, v46, v62
	v_lshlrev_b32_e32 v18, 3, v18
	ds_write_b64 v18, v[14:15]
	s_or_b64 exec, exec, s[18:19]
	s_and_saveexec_b64 s[16:17], s[14:15]
	s_cbranch_execz .LBB1690_216
.LBB1690_279:
	v_sub_u32_e32 v14, v45, v62
	v_lshlrev_b32_e32 v14, 3, v14
	ds_write_b64 v14, v[16:17]
	s_or_b64 exec, exec, s[16:17]
	s_and_saveexec_b64 s[14:15], s[12:13]
	s_cbranch_execz .LBB1690_217
.LBB1690_280:
	v_sub_u32_e32 v14, v44, v62
	v_lshlrev_b32_e32 v14, 3, v14
	ds_write_b64 v14, v[10:11]
	s_or_b64 exec, exec, s[14:15]
	s_and_saveexec_b64 s[12:13], s[10:11]
	s_cbranch_execz .LBB1690_218
.LBB1690_281:
	v_sub_u32_e32 v10, v43, v62
	v_lshlrev_b32_e32 v10, 3, v10
	ds_write_b64 v10, v[12:13]
	s_or_b64 exec, exec, s[12:13]
	s_and_saveexec_b64 s[10:11], s[8:9]
	s_cbranch_execz .LBB1690_219
.LBB1690_282:
	v_sub_u32_e32 v10, v42, v62
	v_lshlrev_b32_e32 v10, 3, v10
	ds_write_b64 v10, v[6:7]
	s_or_b64 exec, exec, s[10:11]
	s_and_saveexec_b64 s[8:9], s[6:7]
	s_cbranch_execz .LBB1690_220
.LBB1690_283:
	v_sub_u32_e32 v6, v41, v62
	v_lshlrev_b32_e32 v6, 3, v6
	ds_write_b64 v6, v[8:9]
	s_or_b64 exec, exec, s[8:9]
	s_and_saveexec_b64 s[6:7], s[4:5]
	s_cbranch_execz .LBB1690_221
.LBB1690_284:
	v_sub_u32_e32 v6, v40, v62
	v_lshlrev_b32_e32 v6, 3, v6
	ds_write_b64 v6, v[2:3]
	s_or_b64 exec, exec, s[6:7]
	s_and_saveexec_b64 s[4:5], s[2:3]
	s_cbranch_execnz .LBB1690_222
	s_branch .LBB1690_223
.LBB1690_285:
	v_sub_u32_e32 v10, v59, v8
	v_mov_b32_e32 v11, 0
	v_lshlrev_b64 v[10:11], 3, v[10:11]
	v_add_co_u32_e32 v10, vcc, v6, v10
	v_addc_co_u32_e32 v11, vcc, v7, v11, vcc
	global_store_dwordx2 v[10:11], v[92:93], off
	s_or_b64 exec, exec, s[38:39]
	s_and_saveexec_b64 s[38:39], s[26:27]
	s_cbranch_execz .LBB1690_227
.LBB1690_286:
	v_sub_u32_e32 v10, v51, v8
	v_mov_b32_e32 v11, 0
	v_lshlrev_b64 v[10:11], 3, v[10:11]
	v_add_co_u32_e32 v10, vcc, v6, v10
	v_addc_co_u32_e32 v11, vcc, v7, v11, vcc
	global_store_dwordx2 v[10:11], v[64:65], off
	s_or_b64 exec, exec, s[38:39]
	s_and_saveexec_b64 s[38:39], s[24:25]
	s_cbranch_execz .LBB1690_228
.LBB1690_287:
	v_sub_u32_e32 v10, v50, v8
	v_mov_b32_e32 v11, 0
	v_lshlrev_b64 v[10:11], 3, v[10:11]
	v_add_co_u32_e32 v10, vcc, v6, v10
	v_addc_co_u32_e32 v11, vcc, v7, v11, vcc
	global_store_dwordx2 v[10:11], v[66:67], off
	s_or_b64 exec, exec, s[38:39]
	s_and_saveexec_b64 s[38:39], s[22:23]
	s_cbranch_execz .LBB1690_229
.LBB1690_288:
	v_sub_u32_e32 v10, v49, v8
	v_mov_b32_e32 v11, 0
	v_lshlrev_b64 v[10:11], 3, v[10:11]
	v_add_co_u32_e32 v10, vcc, v6, v10
	v_addc_co_u32_e32 v11, vcc, v7, v11, vcc
	global_store_dwordx2 v[10:11], v[68:69], off
	s_or_b64 exec, exec, s[38:39]
	s_and_saveexec_b64 s[38:39], s[20:21]
	s_cbranch_execz .LBB1690_230
.LBB1690_289:
	v_sub_u32_e32 v10, v48, v8
	v_mov_b32_e32 v11, 0
	v_lshlrev_b64 v[10:11], 3, v[10:11]
	v_add_co_u32_e32 v10, vcc, v6, v10
	v_addc_co_u32_e32 v11, vcc, v7, v11, vcc
	global_store_dwordx2 v[10:11], v[70:71], off
	s_or_b64 exec, exec, s[38:39]
	s_and_saveexec_b64 s[38:39], s[18:19]
	s_cbranch_execz .LBB1690_231
.LBB1690_290:
	v_sub_u32_e32 v10, v47, v8
	v_mov_b32_e32 v11, 0
	v_lshlrev_b64 v[10:11], 3, v[10:11]
	v_add_co_u32_e32 v10, vcc, v6, v10
	v_addc_co_u32_e32 v11, vcc, v7, v11, vcc
	global_store_dwordx2 v[10:11], v[76:77], off
	s_or_b64 exec, exec, s[38:39]
	s_and_saveexec_b64 s[38:39], s[16:17]
	s_cbranch_execz .LBB1690_232
.LBB1690_291:
	v_sub_u32_e32 v10, v46, v8
	v_mov_b32_e32 v11, 0
	v_lshlrev_b64 v[10:11], 3, v[10:11]
	v_add_co_u32_e32 v10, vcc, v6, v10
	v_addc_co_u32_e32 v11, vcc, v7, v11, vcc
	global_store_dwordx2 v[10:11], v[78:79], off
	s_or_b64 exec, exec, s[38:39]
	s_and_saveexec_b64 s[38:39], s[14:15]
	s_cbranch_execz .LBB1690_233
.LBB1690_292:
	v_sub_u32_e32 v10, v45, v8
	v_mov_b32_e32 v11, 0
	v_lshlrev_b64 v[10:11], 3, v[10:11]
	v_add_co_u32_e32 v10, vcc, v6, v10
	v_addc_co_u32_e32 v11, vcc, v7, v11, vcc
	global_store_dwordx2 v[10:11], v[80:81], off
	s_or_b64 exec, exec, s[38:39]
	s_and_saveexec_b64 s[38:39], s[12:13]
	s_cbranch_execz .LBB1690_234
.LBB1690_293:
	v_sub_u32_e32 v10, v44, v8
	v_mov_b32_e32 v11, 0
	v_lshlrev_b64 v[10:11], 3, v[10:11]
	v_add_co_u32_e32 v10, vcc, v6, v10
	v_addc_co_u32_e32 v11, vcc, v7, v11, vcc
	global_store_dwordx2 v[10:11], v[82:83], off
	s_or_b64 exec, exec, s[38:39]
	s_and_saveexec_b64 s[38:39], s[10:11]
	s_cbranch_execz .LBB1690_235
.LBB1690_294:
	v_sub_u32_e32 v10, v43, v8
	v_mov_b32_e32 v11, 0
	v_lshlrev_b64 v[10:11], 3, v[10:11]
	v_add_co_u32_e32 v10, vcc, v6, v10
	v_addc_co_u32_e32 v11, vcc, v7, v11, vcc
	global_store_dwordx2 v[10:11], v[84:85], off
	s_or_b64 exec, exec, s[38:39]
	s_and_saveexec_b64 s[38:39], s[8:9]
	s_cbranch_execz .LBB1690_236
.LBB1690_295:
	v_sub_u32_e32 v10, v42, v8
	v_mov_b32_e32 v11, 0
	v_lshlrev_b64 v[10:11], 3, v[10:11]
	v_add_co_u32_e32 v10, vcc, v6, v10
	v_addc_co_u32_e32 v11, vcc, v7, v11, vcc
	global_store_dwordx2 v[10:11], v[86:87], off
	s_or_b64 exec, exec, s[38:39]
	s_and_saveexec_b64 s[38:39], s[6:7]
	s_cbranch_execz .LBB1690_237
.LBB1690_296:
	v_sub_u32_e32 v10, v41, v8
	v_mov_b32_e32 v11, 0
	v_lshlrev_b64 v[10:11], 3, v[10:11]
	v_add_co_u32_e32 v10, vcc, v6, v10
	v_addc_co_u32_e32 v11, vcc, v7, v11, vcc
	global_store_dwordx2 v[10:11], v[88:89], off
	s_or_b64 exec, exec, s[38:39]
	s_and_saveexec_b64 s[38:39], s[4:5]
	s_cbranch_execz .LBB1690_238
.LBB1690_297:
	v_sub_u32_e32 v10, v40, v8
	v_mov_b32_e32 v11, 0
	v_lshlrev_b64 v[10:11], 3, v[10:11]
	v_add_co_u32_e32 v10, vcc, v6, v10
	v_addc_co_u32_e32 v11, vcc, v7, v11, vcc
	global_store_dwordx2 v[10:11], v[90:91], off
	s_or_b64 exec, exec, s[38:39]
	s_and_saveexec_b64 s[38:39], s[2:3]
	s_cbranch_execnz .LBB1690_239
	s_branch .LBB1690_240
.LBB1690_298:
	v_sub_u32_e32 v9, v59, v8
	v_lshlrev_b32_e32 v9, 3, v9
	ds_write_b64 v9, v[92:93]
	s_or_b64 exec, exec, s[38:39]
	s_and_saveexec_b64 s[28:29], s[26:27]
	s_cbranch_execz .LBB1690_244
.LBB1690_299:
	v_sub_u32_e32 v9, v51, v8
	v_lshlrev_b32_e32 v9, 3, v9
	ds_write_b64 v9, v[64:65]
	s_or_b64 exec, exec, s[28:29]
	s_and_saveexec_b64 s[26:27], s[24:25]
	s_cbranch_execz .LBB1690_245
.LBB1690_300:
	v_sub_u32_e32 v9, v50, v8
	v_lshlrev_b32_e32 v9, 3, v9
	ds_write_b64 v9, v[66:67]
	s_or_b64 exec, exec, s[26:27]
	s_and_saveexec_b64 s[24:25], s[22:23]
	s_cbranch_execz .LBB1690_246
.LBB1690_301:
	v_sub_u32_e32 v9, v49, v8
	v_lshlrev_b32_e32 v9, 3, v9
	ds_write_b64 v9, v[68:69]
	s_or_b64 exec, exec, s[24:25]
	s_and_saveexec_b64 s[22:23], s[20:21]
	s_cbranch_execz .LBB1690_247
.LBB1690_302:
	v_sub_u32_e32 v9, v48, v8
	v_lshlrev_b32_e32 v9, 3, v9
	ds_write_b64 v9, v[70:71]
	s_or_b64 exec, exec, s[22:23]
	s_and_saveexec_b64 s[20:21], s[18:19]
	s_cbranch_execz .LBB1690_248
.LBB1690_303:
	v_sub_u32_e32 v9, v47, v8
	v_lshlrev_b32_e32 v9, 3, v9
	ds_write_b64 v9, v[76:77]
	s_or_b64 exec, exec, s[20:21]
	s_and_saveexec_b64 s[18:19], s[16:17]
	s_cbranch_execz .LBB1690_249
.LBB1690_304:
	v_sub_u32_e32 v9, v46, v8
	v_lshlrev_b32_e32 v9, 3, v9
	ds_write_b64 v9, v[78:79]
	s_or_b64 exec, exec, s[18:19]
	s_and_saveexec_b64 s[16:17], s[14:15]
	s_cbranch_execz .LBB1690_250
.LBB1690_305:
	v_sub_u32_e32 v9, v45, v8
	v_lshlrev_b32_e32 v9, 3, v9
	ds_write_b64 v9, v[80:81]
	s_or_b64 exec, exec, s[16:17]
	s_and_saveexec_b64 s[14:15], s[12:13]
	s_cbranch_execz .LBB1690_251
.LBB1690_306:
	v_sub_u32_e32 v9, v44, v8
	v_lshlrev_b32_e32 v9, 3, v9
	ds_write_b64 v9, v[82:83]
	s_or_b64 exec, exec, s[14:15]
	s_and_saveexec_b64 s[12:13], s[10:11]
	s_cbranch_execz .LBB1690_252
.LBB1690_307:
	v_sub_u32_e32 v9, v43, v8
	v_lshlrev_b32_e32 v9, 3, v9
	ds_write_b64 v9, v[84:85]
	s_or_b64 exec, exec, s[12:13]
	s_and_saveexec_b64 s[10:11], s[8:9]
	s_cbranch_execz .LBB1690_253
.LBB1690_308:
	v_sub_u32_e32 v9, v42, v8
	v_lshlrev_b32_e32 v9, 3, v9
	ds_write_b64 v9, v[86:87]
	s_or_b64 exec, exec, s[10:11]
	s_and_saveexec_b64 s[8:9], s[6:7]
	s_cbranch_execz .LBB1690_254
.LBB1690_309:
	v_sub_u32_e32 v9, v41, v8
	v_lshlrev_b32_e32 v9, 3, v9
	ds_write_b64 v9, v[88:89]
	s_or_b64 exec, exec, s[8:9]
	s_and_saveexec_b64 s[6:7], s[4:5]
	s_cbranch_execz .LBB1690_255
.LBB1690_310:
	v_sub_u32_e32 v9, v40, v8
	v_lshlrev_b32_e32 v9, 3, v9
	ds_write_b64 v9, v[90:91]
	s_or_b64 exec, exec, s[6:7]
	s_and_saveexec_b64 s[4:5], s[2:3]
	s_cbranch_execnz .LBB1690_256
	s_branch .LBB1690_257
	.section	.rodata,"a",@progbits
	.p2align	6, 0x0
	.amdhsa_kernel _ZN7rocprim17ROCPRIM_400000_NS6detail17trampoline_kernelINS0_14default_configENS1_29reduce_by_key_config_selectorIdlN6thrust23THRUST_200600_302600_NS4plusIlEEEEZZNS1_33reduce_by_key_impl_wrapped_configILNS1_25lookback_scan_determinismE0ES3_S9_PdNS6_17constant_iteratorIiNS6_11use_defaultESE_EENS6_10device_ptrIdEENSG_IlEEPmS8_NS6_8equal_toIdEEEE10hipError_tPvRmT2_T3_mT4_T5_T6_T7_T8_P12ihipStream_tbENKUlT_T0_E_clISt17integral_constantIbLb0EES13_EEDaSY_SZ_EUlSY_E_NS1_11comp_targetILNS1_3genE4ELNS1_11target_archE910ELNS1_3gpuE8ELNS1_3repE0EEENS1_30default_config_static_selectorELNS0_4arch9wavefront6targetE1EEEvT1_
		.amdhsa_group_segment_fixed_size 30720
		.amdhsa_private_segment_fixed_size 0
		.amdhsa_kernarg_size 144
		.amdhsa_user_sgpr_count 6
		.amdhsa_user_sgpr_private_segment_buffer 1
		.amdhsa_user_sgpr_dispatch_ptr 0
		.amdhsa_user_sgpr_queue_ptr 0
		.amdhsa_user_sgpr_kernarg_segment_ptr 1
		.amdhsa_user_sgpr_dispatch_id 0
		.amdhsa_user_sgpr_flat_scratch_init 0
		.amdhsa_user_sgpr_kernarg_preload_length 0
		.amdhsa_user_sgpr_kernarg_preload_offset 0
		.amdhsa_user_sgpr_private_segment_size 0
		.amdhsa_uses_dynamic_stack 0
		.amdhsa_system_sgpr_private_segment_wavefront_offset 0
		.amdhsa_system_sgpr_workgroup_id_x 1
		.amdhsa_system_sgpr_workgroup_id_y 0
		.amdhsa_system_sgpr_workgroup_id_z 0
		.amdhsa_system_sgpr_workgroup_info 0
		.amdhsa_system_vgpr_workitem_id 0
		.amdhsa_next_free_vgpr 118
		.amdhsa_next_free_sgpr 64
		.amdhsa_accum_offset 120
		.amdhsa_reserve_vcc 1
		.amdhsa_reserve_flat_scratch 0
		.amdhsa_float_round_mode_32 0
		.amdhsa_float_round_mode_16_64 0
		.amdhsa_float_denorm_mode_32 3
		.amdhsa_float_denorm_mode_16_64 3
		.amdhsa_dx10_clamp 1
		.amdhsa_ieee_mode 1
		.amdhsa_fp16_overflow 0
		.amdhsa_tg_split 0
		.amdhsa_exception_fp_ieee_invalid_op 0
		.amdhsa_exception_fp_denorm_src 0
		.amdhsa_exception_fp_ieee_div_zero 0
		.amdhsa_exception_fp_ieee_overflow 0
		.amdhsa_exception_fp_ieee_underflow 0
		.amdhsa_exception_fp_ieee_inexact 0
		.amdhsa_exception_int_div_zero 0
	.end_amdhsa_kernel
	.section	.text._ZN7rocprim17ROCPRIM_400000_NS6detail17trampoline_kernelINS0_14default_configENS1_29reduce_by_key_config_selectorIdlN6thrust23THRUST_200600_302600_NS4plusIlEEEEZZNS1_33reduce_by_key_impl_wrapped_configILNS1_25lookback_scan_determinismE0ES3_S9_PdNS6_17constant_iteratorIiNS6_11use_defaultESE_EENS6_10device_ptrIdEENSG_IlEEPmS8_NS6_8equal_toIdEEEE10hipError_tPvRmT2_T3_mT4_T5_T6_T7_T8_P12ihipStream_tbENKUlT_T0_E_clISt17integral_constantIbLb0EES13_EEDaSY_SZ_EUlSY_E_NS1_11comp_targetILNS1_3genE4ELNS1_11target_archE910ELNS1_3gpuE8ELNS1_3repE0EEENS1_30default_config_static_selectorELNS0_4arch9wavefront6targetE1EEEvT1_,"axG",@progbits,_ZN7rocprim17ROCPRIM_400000_NS6detail17trampoline_kernelINS0_14default_configENS1_29reduce_by_key_config_selectorIdlN6thrust23THRUST_200600_302600_NS4plusIlEEEEZZNS1_33reduce_by_key_impl_wrapped_configILNS1_25lookback_scan_determinismE0ES3_S9_PdNS6_17constant_iteratorIiNS6_11use_defaultESE_EENS6_10device_ptrIdEENSG_IlEEPmS8_NS6_8equal_toIdEEEE10hipError_tPvRmT2_T3_mT4_T5_T6_T7_T8_P12ihipStream_tbENKUlT_T0_E_clISt17integral_constantIbLb0EES13_EEDaSY_SZ_EUlSY_E_NS1_11comp_targetILNS1_3genE4ELNS1_11target_archE910ELNS1_3gpuE8ELNS1_3repE0EEENS1_30default_config_static_selectorELNS0_4arch9wavefront6targetE1EEEvT1_,comdat
.Lfunc_end1690:
	.size	_ZN7rocprim17ROCPRIM_400000_NS6detail17trampoline_kernelINS0_14default_configENS1_29reduce_by_key_config_selectorIdlN6thrust23THRUST_200600_302600_NS4plusIlEEEEZZNS1_33reduce_by_key_impl_wrapped_configILNS1_25lookback_scan_determinismE0ES3_S9_PdNS6_17constant_iteratorIiNS6_11use_defaultESE_EENS6_10device_ptrIdEENSG_IlEEPmS8_NS6_8equal_toIdEEEE10hipError_tPvRmT2_T3_mT4_T5_T6_T7_T8_P12ihipStream_tbENKUlT_T0_E_clISt17integral_constantIbLb0EES13_EEDaSY_SZ_EUlSY_E_NS1_11comp_targetILNS1_3genE4ELNS1_11target_archE910ELNS1_3gpuE8ELNS1_3repE0EEENS1_30default_config_static_selectorELNS0_4arch9wavefront6targetE1EEEvT1_, .Lfunc_end1690-_ZN7rocprim17ROCPRIM_400000_NS6detail17trampoline_kernelINS0_14default_configENS1_29reduce_by_key_config_selectorIdlN6thrust23THRUST_200600_302600_NS4plusIlEEEEZZNS1_33reduce_by_key_impl_wrapped_configILNS1_25lookback_scan_determinismE0ES3_S9_PdNS6_17constant_iteratorIiNS6_11use_defaultESE_EENS6_10device_ptrIdEENSG_IlEEPmS8_NS6_8equal_toIdEEEE10hipError_tPvRmT2_T3_mT4_T5_T6_T7_T8_P12ihipStream_tbENKUlT_T0_E_clISt17integral_constantIbLb0EES13_EEDaSY_SZ_EUlSY_E_NS1_11comp_targetILNS1_3genE4ELNS1_11target_archE910ELNS1_3gpuE8ELNS1_3repE0EEENS1_30default_config_static_selectorELNS0_4arch9wavefront6targetE1EEEvT1_
                                        ; -- End function
	.section	.AMDGPU.csdata,"",@progbits
; Kernel info:
; codeLenInByte = 15660
; NumSgprs: 68
; NumVgprs: 118
; NumAgprs: 0
; TotalNumVgprs: 118
; ScratchSize: 0
; MemoryBound: 0
; FloatMode: 240
; IeeeMode: 1
; LDSByteSize: 30720 bytes/workgroup (compile time only)
; SGPRBlocks: 8
; VGPRBlocks: 14
; NumSGPRsForWavesPerEU: 68
; NumVGPRsForWavesPerEU: 118
; AccumOffset: 120
; Occupancy: 2
; WaveLimiterHint : 1
; COMPUTE_PGM_RSRC2:SCRATCH_EN: 0
; COMPUTE_PGM_RSRC2:USER_SGPR: 6
; COMPUTE_PGM_RSRC2:TRAP_HANDLER: 0
; COMPUTE_PGM_RSRC2:TGID_X_EN: 1
; COMPUTE_PGM_RSRC2:TGID_Y_EN: 0
; COMPUTE_PGM_RSRC2:TGID_Z_EN: 0
; COMPUTE_PGM_RSRC2:TIDIG_COMP_CNT: 0
; COMPUTE_PGM_RSRC3_GFX90A:ACCUM_OFFSET: 29
; COMPUTE_PGM_RSRC3_GFX90A:TG_SPLIT: 0
	.section	.text._ZN7rocprim17ROCPRIM_400000_NS6detail17trampoline_kernelINS0_14default_configENS1_29reduce_by_key_config_selectorIdlN6thrust23THRUST_200600_302600_NS4plusIlEEEEZZNS1_33reduce_by_key_impl_wrapped_configILNS1_25lookback_scan_determinismE0ES3_S9_PdNS6_17constant_iteratorIiNS6_11use_defaultESE_EENS6_10device_ptrIdEENSG_IlEEPmS8_NS6_8equal_toIdEEEE10hipError_tPvRmT2_T3_mT4_T5_T6_T7_T8_P12ihipStream_tbENKUlT_T0_E_clISt17integral_constantIbLb0EES13_EEDaSY_SZ_EUlSY_E_NS1_11comp_targetILNS1_3genE3ELNS1_11target_archE908ELNS1_3gpuE7ELNS1_3repE0EEENS1_30default_config_static_selectorELNS0_4arch9wavefront6targetE1EEEvT1_,"axG",@progbits,_ZN7rocprim17ROCPRIM_400000_NS6detail17trampoline_kernelINS0_14default_configENS1_29reduce_by_key_config_selectorIdlN6thrust23THRUST_200600_302600_NS4plusIlEEEEZZNS1_33reduce_by_key_impl_wrapped_configILNS1_25lookback_scan_determinismE0ES3_S9_PdNS6_17constant_iteratorIiNS6_11use_defaultESE_EENS6_10device_ptrIdEENSG_IlEEPmS8_NS6_8equal_toIdEEEE10hipError_tPvRmT2_T3_mT4_T5_T6_T7_T8_P12ihipStream_tbENKUlT_T0_E_clISt17integral_constantIbLb0EES13_EEDaSY_SZ_EUlSY_E_NS1_11comp_targetILNS1_3genE3ELNS1_11target_archE908ELNS1_3gpuE7ELNS1_3repE0EEENS1_30default_config_static_selectorELNS0_4arch9wavefront6targetE1EEEvT1_,comdat
	.protected	_ZN7rocprim17ROCPRIM_400000_NS6detail17trampoline_kernelINS0_14default_configENS1_29reduce_by_key_config_selectorIdlN6thrust23THRUST_200600_302600_NS4plusIlEEEEZZNS1_33reduce_by_key_impl_wrapped_configILNS1_25lookback_scan_determinismE0ES3_S9_PdNS6_17constant_iteratorIiNS6_11use_defaultESE_EENS6_10device_ptrIdEENSG_IlEEPmS8_NS6_8equal_toIdEEEE10hipError_tPvRmT2_T3_mT4_T5_T6_T7_T8_P12ihipStream_tbENKUlT_T0_E_clISt17integral_constantIbLb0EES13_EEDaSY_SZ_EUlSY_E_NS1_11comp_targetILNS1_3genE3ELNS1_11target_archE908ELNS1_3gpuE7ELNS1_3repE0EEENS1_30default_config_static_selectorELNS0_4arch9wavefront6targetE1EEEvT1_ ; -- Begin function _ZN7rocprim17ROCPRIM_400000_NS6detail17trampoline_kernelINS0_14default_configENS1_29reduce_by_key_config_selectorIdlN6thrust23THRUST_200600_302600_NS4plusIlEEEEZZNS1_33reduce_by_key_impl_wrapped_configILNS1_25lookback_scan_determinismE0ES3_S9_PdNS6_17constant_iteratorIiNS6_11use_defaultESE_EENS6_10device_ptrIdEENSG_IlEEPmS8_NS6_8equal_toIdEEEE10hipError_tPvRmT2_T3_mT4_T5_T6_T7_T8_P12ihipStream_tbENKUlT_T0_E_clISt17integral_constantIbLb0EES13_EEDaSY_SZ_EUlSY_E_NS1_11comp_targetILNS1_3genE3ELNS1_11target_archE908ELNS1_3gpuE7ELNS1_3repE0EEENS1_30default_config_static_selectorELNS0_4arch9wavefront6targetE1EEEvT1_
	.globl	_ZN7rocprim17ROCPRIM_400000_NS6detail17trampoline_kernelINS0_14default_configENS1_29reduce_by_key_config_selectorIdlN6thrust23THRUST_200600_302600_NS4plusIlEEEEZZNS1_33reduce_by_key_impl_wrapped_configILNS1_25lookback_scan_determinismE0ES3_S9_PdNS6_17constant_iteratorIiNS6_11use_defaultESE_EENS6_10device_ptrIdEENSG_IlEEPmS8_NS6_8equal_toIdEEEE10hipError_tPvRmT2_T3_mT4_T5_T6_T7_T8_P12ihipStream_tbENKUlT_T0_E_clISt17integral_constantIbLb0EES13_EEDaSY_SZ_EUlSY_E_NS1_11comp_targetILNS1_3genE3ELNS1_11target_archE908ELNS1_3gpuE7ELNS1_3repE0EEENS1_30default_config_static_selectorELNS0_4arch9wavefront6targetE1EEEvT1_
	.p2align	8
	.type	_ZN7rocprim17ROCPRIM_400000_NS6detail17trampoline_kernelINS0_14default_configENS1_29reduce_by_key_config_selectorIdlN6thrust23THRUST_200600_302600_NS4plusIlEEEEZZNS1_33reduce_by_key_impl_wrapped_configILNS1_25lookback_scan_determinismE0ES3_S9_PdNS6_17constant_iteratorIiNS6_11use_defaultESE_EENS6_10device_ptrIdEENSG_IlEEPmS8_NS6_8equal_toIdEEEE10hipError_tPvRmT2_T3_mT4_T5_T6_T7_T8_P12ihipStream_tbENKUlT_T0_E_clISt17integral_constantIbLb0EES13_EEDaSY_SZ_EUlSY_E_NS1_11comp_targetILNS1_3genE3ELNS1_11target_archE908ELNS1_3gpuE7ELNS1_3repE0EEENS1_30default_config_static_selectorELNS0_4arch9wavefront6targetE1EEEvT1_,@function
_ZN7rocprim17ROCPRIM_400000_NS6detail17trampoline_kernelINS0_14default_configENS1_29reduce_by_key_config_selectorIdlN6thrust23THRUST_200600_302600_NS4plusIlEEEEZZNS1_33reduce_by_key_impl_wrapped_configILNS1_25lookback_scan_determinismE0ES3_S9_PdNS6_17constant_iteratorIiNS6_11use_defaultESE_EENS6_10device_ptrIdEENSG_IlEEPmS8_NS6_8equal_toIdEEEE10hipError_tPvRmT2_T3_mT4_T5_T6_T7_T8_P12ihipStream_tbENKUlT_T0_E_clISt17integral_constantIbLb0EES13_EEDaSY_SZ_EUlSY_E_NS1_11comp_targetILNS1_3genE3ELNS1_11target_archE908ELNS1_3gpuE7ELNS1_3repE0EEENS1_30default_config_static_selectorELNS0_4arch9wavefront6targetE1EEEvT1_: ; @_ZN7rocprim17ROCPRIM_400000_NS6detail17trampoline_kernelINS0_14default_configENS1_29reduce_by_key_config_selectorIdlN6thrust23THRUST_200600_302600_NS4plusIlEEEEZZNS1_33reduce_by_key_impl_wrapped_configILNS1_25lookback_scan_determinismE0ES3_S9_PdNS6_17constant_iteratorIiNS6_11use_defaultESE_EENS6_10device_ptrIdEENSG_IlEEPmS8_NS6_8equal_toIdEEEE10hipError_tPvRmT2_T3_mT4_T5_T6_T7_T8_P12ihipStream_tbENKUlT_T0_E_clISt17integral_constantIbLb0EES13_EEDaSY_SZ_EUlSY_E_NS1_11comp_targetILNS1_3genE3ELNS1_11target_archE908ELNS1_3gpuE7ELNS1_3repE0EEENS1_30default_config_static_selectorELNS0_4arch9wavefront6targetE1EEEvT1_
; %bb.0:
	.section	.rodata,"a",@progbits
	.p2align	6, 0x0
	.amdhsa_kernel _ZN7rocprim17ROCPRIM_400000_NS6detail17trampoline_kernelINS0_14default_configENS1_29reduce_by_key_config_selectorIdlN6thrust23THRUST_200600_302600_NS4plusIlEEEEZZNS1_33reduce_by_key_impl_wrapped_configILNS1_25lookback_scan_determinismE0ES3_S9_PdNS6_17constant_iteratorIiNS6_11use_defaultESE_EENS6_10device_ptrIdEENSG_IlEEPmS8_NS6_8equal_toIdEEEE10hipError_tPvRmT2_T3_mT4_T5_T6_T7_T8_P12ihipStream_tbENKUlT_T0_E_clISt17integral_constantIbLb0EES13_EEDaSY_SZ_EUlSY_E_NS1_11comp_targetILNS1_3genE3ELNS1_11target_archE908ELNS1_3gpuE7ELNS1_3repE0EEENS1_30default_config_static_selectorELNS0_4arch9wavefront6targetE1EEEvT1_
		.amdhsa_group_segment_fixed_size 0
		.amdhsa_private_segment_fixed_size 0
		.amdhsa_kernarg_size 144
		.amdhsa_user_sgpr_count 6
		.amdhsa_user_sgpr_private_segment_buffer 1
		.amdhsa_user_sgpr_dispatch_ptr 0
		.amdhsa_user_sgpr_queue_ptr 0
		.amdhsa_user_sgpr_kernarg_segment_ptr 1
		.amdhsa_user_sgpr_dispatch_id 0
		.amdhsa_user_sgpr_flat_scratch_init 0
		.amdhsa_user_sgpr_kernarg_preload_length 0
		.amdhsa_user_sgpr_kernarg_preload_offset 0
		.amdhsa_user_sgpr_private_segment_size 0
		.amdhsa_uses_dynamic_stack 0
		.amdhsa_system_sgpr_private_segment_wavefront_offset 0
		.amdhsa_system_sgpr_workgroup_id_x 1
		.amdhsa_system_sgpr_workgroup_id_y 0
		.amdhsa_system_sgpr_workgroup_id_z 0
		.amdhsa_system_sgpr_workgroup_info 0
		.amdhsa_system_vgpr_workitem_id 0
		.amdhsa_next_free_vgpr 1
		.amdhsa_next_free_sgpr 0
		.amdhsa_accum_offset 4
		.amdhsa_reserve_vcc 0
		.amdhsa_reserve_flat_scratch 0
		.amdhsa_float_round_mode_32 0
		.amdhsa_float_round_mode_16_64 0
		.amdhsa_float_denorm_mode_32 3
		.amdhsa_float_denorm_mode_16_64 3
		.amdhsa_dx10_clamp 1
		.amdhsa_ieee_mode 1
		.amdhsa_fp16_overflow 0
		.amdhsa_tg_split 0
		.amdhsa_exception_fp_ieee_invalid_op 0
		.amdhsa_exception_fp_denorm_src 0
		.amdhsa_exception_fp_ieee_div_zero 0
		.amdhsa_exception_fp_ieee_overflow 0
		.amdhsa_exception_fp_ieee_underflow 0
		.amdhsa_exception_fp_ieee_inexact 0
		.amdhsa_exception_int_div_zero 0
	.end_amdhsa_kernel
	.section	.text._ZN7rocprim17ROCPRIM_400000_NS6detail17trampoline_kernelINS0_14default_configENS1_29reduce_by_key_config_selectorIdlN6thrust23THRUST_200600_302600_NS4plusIlEEEEZZNS1_33reduce_by_key_impl_wrapped_configILNS1_25lookback_scan_determinismE0ES3_S9_PdNS6_17constant_iteratorIiNS6_11use_defaultESE_EENS6_10device_ptrIdEENSG_IlEEPmS8_NS6_8equal_toIdEEEE10hipError_tPvRmT2_T3_mT4_T5_T6_T7_T8_P12ihipStream_tbENKUlT_T0_E_clISt17integral_constantIbLb0EES13_EEDaSY_SZ_EUlSY_E_NS1_11comp_targetILNS1_3genE3ELNS1_11target_archE908ELNS1_3gpuE7ELNS1_3repE0EEENS1_30default_config_static_selectorELNS0_4arch9wavefront6targetE1EEEvT1_,"axG",@progbits,_ZN7rocprim17ROCPRIM_400000_NS6detail17trampoline_kernelINS0_14default_configENS1_29reduce_by_key_config_selectorIdlN6thrust23THRUST_200600_302600_NS4plusIlEEEEZZNS1_33reduce_by_key_impl_wrapped_configILNS1_25lookback_scan_determinismE0ES3_S9_PdNS6_17constant_iteratorIiNS6_11use_defaultESE_EENS6_10device_ptrIdEENSG_IlEEPmS8_NS6_8equal_toIdEEEE10hipError_tPvRmT2_T3_mT4_T5_T6_T7_T8_P12ihipStream_tbENKUlT_T0_E_clISt17integral_constantIbLb0EES13_EEDaSY_SZ_EUlSY_E_NS1_11comp_targetILNS1_3genE3ELNS1_11target_archE908ELNS1_3gpuE7ELNS1_3repE0EEENS1_30default_config_static_selectorELNS0_4arch9wavefront6targetE1EEEvT1_,comdat
.Lfunc_end1691:
	.size	_ZN7rocprim17ROCPRIM_400000_NS6detail17trampoline_kernelINS0_14default_configENS1_29reduce_by_key_config_selectorIdlN6thrust23THRUST_200600_302600_NS4plusIlEEEEZZNS1_33reduce_by_key_impl_wrapped_configILNS1_25lookback_scan_determinismE0ES3_S9_PdNS6_17constant_iteratorIiNS6_11use_defaultESE_EENS6_10device_ptrIdEENSG_IlEEPmS8_NS6_8equal_toIdEEEE10hipError_tPvRmT2_T3_mT4_T5_T6_T7_T8_P12ihipStream_tbENKUlT_T0_E_clISt17integral_constantIbLb0EES13_EEDaSY_SZ_EUlSY_E_NS1_11comp_targetILNS1_3genE3ELNS1_11target_archE908ELNS1_3gpuE7ELNS1_3repE0EEENS1_30default_config_static_selectorELNS0_4arch9wavefront6targetE1EEEvT1_, .Lfunc_end1691-_ZN7rocprim17ROCPRIM_400000_NS6detail17trampoline_kernelINS0_14default_configENS1_29reduce_by_key_config_selectorIdlN6thrust23THRUST_200600_302600_NS4plusIlEEEEZZNS1_33reduce_by_key_impl_wrapped_configILNS1_25lookback_scan_determinismE0ES3_S9_PdNS6_17constant_iteratorIiNS6_11use_defaultESE_EENS6_10device_ptrIdEENSG_IlEEPmS8_NS6_8equal_toIdEEEE10hipError_tPvRmT2_T3_mT4_T5_T6_T7_T8_P12ihipStream_tbENKUlT_T0_E_clISt17integral_constantIbLb0EES13_EEDaSY_SZ_EUlSY_E_NS1_11comp_targetILNS1_3genE3ELNS1_11target_archE908ELNS1_3gpuE7ELNS1_3repE0EEENS1_30default_config_static_selectorELNS0_4arch9wavefront6targetE1EEEvT1_
                                        ; -- End function
	.section	.AMDGPU.csdata,"",@progbits
; Kernel info:
; codeLenInByte = 0
; NumSgprs: 4
; NumVgprs: 0
; NumAgprs: 0
; TotalNumVgprs: 0
; ScratchSize: 0
; MemoryBound: 0
; FloatMode: 240
; IeeeMode: 1
; LDSByteSize: 0 bytes/workgroup (compile time only)
; SGPRBlocks: 0
; VGPRBlocks: 0
; NumSGPRsForWavesPerEU: 4
; NumVGPRsForWavesPerEU: 1
; AccumOffset: 4
; Occupancy: 8
; WaveLimiterHint : 0
; COMPUTE_PGM_RSRC2:SCRATCH_EN: 0
; COMPUTE_PGM_RSRC2:USER_SGPR: 6
; COMPUTE_PGM_RSRC2:TRAP_HANDLER: 0
; COMPUTE_PGM_RSRC2:TGID_X_EN: 1
; COMPUTE_PGM_RSRC2:TGID_Y_EN: 0
; COMPUTE_PGM_RSRC2:TGID_Z_EN: 0
; COMPUTE_PGM_RSRC2:TIDIG_COMP_CNT: 0
; COMPUTE_PGM_RSRC3_GFX90A:ACCUM_OFFSET: 0
; COMPUTE_PGM_RSRC3_GFX90A:TG_SPLIT: 0
	.section	.text._ZN7rocprim17ROCPRIM_400000_NS6detail17trampoline_kernelINS0_14default_configENS1_29reduce_by_key_config_selectorIdlN6thrust23THRUST_200600_302600_NS4plusIlEEEEZZNS1_33reduce_by_key_impl_wrapped_configILNS1_25lookback_scan_determinismE0ES3_S9_PdNS6_17constant_iteratorIiNS6_11use_defaultESE_EENS6_10device_ptrIdEENSG_IlEEPmS8_NS6_8equal_toIdEEEE10hipError_tPvRmT2_T3_mT4_T5_T6_T7_T8_P12ihipStream_tbENKUlT_T0_E_clISt17integral_constantIbLb0EES13_EEDaSY_SZ_EUlSY_E_NS1_11comp_targetILNS1_3genE2ELNS1_11target_archE906ELNS1_3gpuE6ELNS1_3repE0EEENS1_30default_config_static_selectorELNS0_4arch9wavefront6targetE1EEEvT1_,"axG",@progbits,_ZN7rocprim17ROCPRIM_400000_NS6detail17trampoline_kernelINS0_14default_configENS1_29reduce_by_key_config_selectorIdlN6thrust23THRUST_200600_302600_NS4plusIlEEEEZZNS1_33reduce_by_key_impl_wrapped_configILNS1_25lookback_scan_determinismE0ES3_S9_PdNS6_17constant_iteratorIiNS6_11use_defaultESE_EENS6_10device_ptrIdEENSG_IlEEPmS8_NS6_8equal_toIdEEEE10hipError_tPvRmT2_T3_mT4_T5_T6_T7_T8_P12ihipStream_tbENKUlT_T0_E_clISt17integral_constantIbLb0EES13_EEDaSY_SZ_EUlSY_E_NS1_11comp_targetILNS1_3genE2ELNS1_11target_archE906ELNS1_3gpuE6ELNS1_3repE0EEENS1_30default_config_static_selectorELNS0_4arch9wavefront6targetE1EEEvT1_,comdat
	.protected	_ZN7rocprim17ROCPRIM_400000_NS6detail17trampoline_kernelINS0_14default_configENS1_29reduce_by_key_config_selectorIdlN6thrust23THRUST_200600_302600_NS4plusIlEEEEZZNS1_33reduce_by_key_impl_wrapped_configILNS1_25lookback_scan_determinismE0ES3_S9_PdNS6_17constant_iteratorIiNS6_11use_defaultESE_EENS6_10device_ptrIdEENSG_IlEEPmS8_NS6_8equal_toIdEEEE10hipError_tPvRmT2_T3_mT4_T5_T6_T7_T8_P12ihipStream_tbENKUlT_T0_E_clISt17integral_constantIbLb0EES13_EEDaSY_SZ_EUlSY_E_NS1_11comp_targetILNS1_3genE2ELNS1_11target_archE906ELNS1_3gpuE6ELNS1_3repE0EEENS1_30default_config_static_selectorELNS0_4arch9wavefront6targetE1EEEvT1_ ; -- Begin function _ZN7rocprim17ROCPRIM_400000_NS6detail17trampoline_kernelINS0_14default_configENS1_29reduce_by_key_config_selectorIdlN6thrust23THRUST_200600_302600_NS4plusIlEEEEZZNS1_33reduce_by_key_impl_wrapped_configILNS1_25lookback_scan_determinismE0ES3_S9_PdNS6_17constant_iteratorIiNS6_11use_defaultESE_EENS6_10device_ptrIdEENSG_IlEEPmS8_NS6_8equal_toIdEEEE10hipError_tPvRmT2_T3_mT4_T5_T6_T7_T8_P12ihipStream_tbENKUlT_T0_E_clISt17integral_constantIbLb0EES13_EEDaSY_SZ_EUlSY_E_NS1_11comp_targetILNS1_3genE2ELNS1_11target_archE906ELNS1_3gpuE6ELNS1_3repE0EEENS1_30default_config_static_selectorELNS0_4arch9wavefront6targetE1EEEvT1_
	.globl	_ZN7rocprim17ROCPRIM_400000_NS6detail17trampoline_kernelINS0_14default_configENS1_29reduce_by_key_config_selectorIdlN6thrust23THRUST_200600_302600_NS4plusIlEEEEZZNS1_33reduce_by_key_impl_wrapped_configILNS1_25lookback_scan_determinismE0ES3_S9_PdNS6_17constant_iteratorIiNS6_11use_defaultESE_EENS6_10device_ptrIdEENSG_IlEEPmS8_NS6_8equal_toIdEEEE10hipError_tPvRmT2_T3_mT4_T5_T6_T7_T8_P12ihipStream_tbENKUlT_T0_E_clISt17integral_constantIbLb0EES13_EEDaSY_SZ_EUlSY_E_NS1_11comp_targetILNS1_3genE2ELNS1_11target_archE906ELNS1_3gpuE6ELNS1_3repE0EEENS1_30default_config_static_selectorELNS0_4arch9wavefront6targetE1EEEvT1_
	.p2align	8
	.type	_ZN7rocprim17ROCPRIM_400000_NS6detail17trampoline_kernelINS0_14default_configENS1_29reduce_by_key_config_selectorIdlN6thrust23THRUST_200600_302600_NS4plusIlEEEEZZNS1_33reduce_by_key_impl_wrapped_configILNS1_25lookback_scan_determinismE0ES3_S9_PdNS6_17constant_iteratorIiNS6_11use_defaultESE_EENS6_10device_ptrIdEENSG_IlEEPmS8_NS6_8equal_toIdEEEE10hipError_tPvRmT2_T3_mT4_T5_T6_T7_T8_P12ihipStream_tbENKUlT_T0_E_clISt17integral_constantIbLb0EES13_EEDaSY_SZ_EUlSY_E_NS1_11comp_targetILNS1_3genE2ELNS1_11target_archE906ELNS1_3gpuE6ELNS1_3repE0EEENS1_30default_config_static_selectorELNS0_4arch9wavefront6targetE1EEEvT1_,@function
_ZN7rocprim17ROCPRIM_400000_NS6detail17trampoline_kernelINS0_14default_configENS1_29reduce_by_key_config_selectorIdlN6thrust23THRUST_200600_302600_NS4plusIlEEEEZZNS1_33reduce_by_key_impl_wrapped_configILNS1_25lookback_scan_determinismE0ES3_S9_PdNS6_17constant_iteratorIiNS6_11use_defaultESE_EENS6_10device_ptrIdEENSG_IlEEPmS8_NS6_8equal_toIdEEEE10hipError_tPvRmT2_T3_mT4_T5_T6_T7_T8_P12ihipStream_tbENKUlT_T0_E_clISt17integral_constantIbLb0EES13_EEDaSY_SZ_EUlSY_E_NS1_11comp_targetILNS1_3genE2ELNS1_11target_archE906ELNS1_3gpuE6ELNS1_3repE0EEENS1_30default_config_static_selectorELNS0_4arch9wavefront6targetE1EEEvT1_: ; @_ZN7rocprim17ROCPRIM_400000_NS6detail17trampoline_kernelINS0_14default_configENS1_29reduce_by_key_config_selectorIdlN6thrust23THRUST_200600_302600_NS4plusIlEEEEZZNS1_33reduce_by_key_impl_wrapped_configILNS1_25lookback_scan_determinismE0ES3_S9_PdNS6_17constant_iteratorIiNS6_11use_defaultESE_EENS6_10device_ptrIdEENSG_IlEEPmS8_NS6_8equal_toIdEEEE10hipError_tPvRmT2_T3_mT4_T5_T6_T7_T8_P12ihipStream_tbENKUlT_T0_E_clISt17integral_constantIbLb0EES13_EEDaSY_SZ_EUlSY_E_NS1_11comp_targetILNS1_3genE2ELNS1_11target_archE906ELNS1_3gpuE6ELNS1_3repE0EEENS1_30default_config_static_selectorELNS0_4arch9wavefront6targetE1EEEvT1_
; %bb.0:
	.section	.rodata,"a",@progbits
	.p2align	6, 0x0
	.amdhsa_kernel _ZN7rocprim17ROCPRIM_400000_NS6detail17trampoline_kernelINS0_14default_configENS1_29reduce_by_key_config_selectorIdlN6thrust23THRUST_200600_302600_NS4plusIlEEEEZZNS1_33reduce_by_key_impl_wrapped_configILNS1_25lookback_scan_determinismE0ES3_S9_PdNS6_17constant_iteratorIiNS6_11use_defaultESE_EENS6_10device_ptrIdEENSG_IlEEPmS8_NS6_8equal_toIdEEEE10hipError_tPvRmT2_T3_mT4_T5_T6_T7_T8_P12ihipStream_tbENKUlT_T0_E_clISt17integral_constantIbLb0EES13_EEDaSY_SZ_EUlSY_E_NS1_11comp_targetILNS1_3genE2ELNS1_11target_archE906ELNS1_3gpuE6ELNS1_3repE0EEENS1_30default_config_static_selectorELNS0_4arch9wavefront6targetE1EEEvT1_
		.amdhsa_group_segment_fixed_size 0
		.amdhsa_private_segment_fixed_size 0
		.amdhsa_kernarg_size 144
		.amdhsa_user_sgpr_count 6
		.amdhsa_user_sgpr_private_segment_buffer 1
		.amdhsa_user_sgpr_dispatch_ptr 0
		.amdhsa_user_sgpr_queue_ptr 0
		.amdhsa_user_sgpr_kernarg_segment_ptr 1
		.amdhsa_user_sgpr_dispatch_id 0
		.amdhsa_user_sgpr_flat_scratch_init 0
		.amdhsa_user_sgpr_kernarg_preload_length 0
		.amdhsa_user_sgpr_kernarg_preload_offset 0
		.amdhsa_user_sgpr_private_segment_size 0
		.amdhsa_uses_dynamic_stack 0
		.amdhsa_system_sgpr_private_segment_wavefront_offset 0
		.amdhsa_system_sgpr_workgroup_id_x 1
		.amdhsa_system_sgpr_workgroup_id_y 0
		.amdhsa_system_sgpr_workgroup_id_z 0
		.amdhsa_system_sgpr_workgroup_info 0
		.amdhsa_system_vgpr_workitem_id 0
		.amdhsa_next_free_vgpr 1
		.amdhsa_next_free_sgpr 0
		.amdhsa_accum_offset 4
		.amdhsa_reserve_vcc 0
		.amdhsa_reserve_flat_scratch 0
		.amdhsa_float_round_mode_32 0
		.amdhsa_float_round_mode_16_64 0
		.amdhsa_float_denorm_mode_32 3
		.amdhsa_float_denorm_mode_16_64 3
		.amdhsa_dx10_clamp 1
		.amdhsa_ieee_mode 1
		.amdhsa_fp16_overflow 0
		.amdhsa_tg_split 0
		.amdhsa_exception_fp_ieee_invalid_op 0
		.amdhsa_exception_fp_denorm_src 0
		.amdhsa_exception_fp_ieee_div_zero 0
		.amdhsa_exception_fp_ieee_overflow 0
		.amdhsa_exception_fp_ieee_underflow 0
		.amdhsa_exception_fp_ieee_inexact 0
		.amdhsa_exception_int_div_zero 0
	.end_amdhsa_kernel
	.section	.text._ZN7rocprim17ROCPRIM_400000_NS6detail17trampoline_kernelINS0_14default_configENS1_29reduce_by_key_config_selectorIdlN6thrust23THRUST_200600_302600_NS4plusIlEEEEZZNS1_33reduce_by_key_impl_wrapped_configILNS1_25lookback_scan_determinismE0ES3_S9_PdNS6_17constant_iteratorIiNS6_11use_defaultESE_EENS6_10device_ptrIdEENSG_IlEEPmS8_NS6_8equal_toIdEEEE10hipError_tPvRmT2_T3_mT4_T5_T6_T7_T8_P12ihipStream_tbENKUlT_T0_E_clISt17integral_constantIbLb0EES13_EEDaSY_SZ_EUlSY_E_NS1_11comp_targetILNS1_3genE2ELNS1_11target_archE906ELNS1_3gpuE6ELNS1_3repE0EEENS1_30default_config_static_selectorELNS0_4arch9wavefront6targetE1EEEvT1_,"axG",@progbits,_ZN7rocprim17ROCPRIM_400000_NS6detail17trampoline_kernelINS0_14default_configENS1_29reduce_by_key_config_selectorIdlN6thrust23THRUST_200600_302600_NS4plusIlEEEEZZNS1_33reduce_by_key_impl_wrapped_configILNS1_25lookback_scan_determinismE0ES3_S9_PdNS6_17constant_iteratorIiNS6_11use_defaultESE_EENS6_10device_ptrIdEENSG_IlEEPmS8_NS6_8equal_toIdEEEE10hipError_tPvRmT2_T3_mT4_T5_T6_T7_T8_P12ihipStream_tbENKUlT_T0_E_clISt17integral_constantIbLb0EES13_EEDaSY_SZ_EUlSY_E_NS1_11comp_targetILNS1_3genE2ELNS1_11target_archE906ELNS1_3gpuE6ELNS1_3repE0EEENS1_30default_config_static_selectorELNS0_4arch9wavefront6targetE1EEEvT1_,comdat
.Lfunc_end1692:
	.size	_ZN7rocprim17ROCPRIM_400000_NS6detail17trampoline_kernelINS0_14default_configENS1_29reduce_by_key_config_selectorIdlN6thrust23THRUST_200600_302600_NS4plusIlEEEEZZNS1_33reduce_by_key_impl_wrapped_configILNS1_25lookback_scan_determinismE0ES3_S9_PdNS6_17constant_iteratorIiNS6_11use_defaultESE_EENS6_10device_ptrIdEENSG_IlEEPmS8_NS6_8equal_toIdEEEE10hipError_tPvRmT2_T3_mT4_T5_T6_T7_T8_P12ihipStream_tbENKUlT_T0_E_clISt17integral_constantIbLb0EES13_EEDaSY_SZ_EUlSY_E_NS1_11comp_targetILNS1_3genE2ELNS1_11target_archE906ELNS1_3gpuE6ELNS1_3repE0EEENS1_30default_config_static_selectorELNS0_4arch9wavefront6targetE1EEEvT1_, .Lfunc_end1692-_ZN7rocprim17ROCPRIM_400000_NS6detail17trampoline_kernelINS0_14default_configENS1_29reduce_by_key_config_selectorIdlN6thrust23THRUST_200600_302600_NS4plusIlEEEEZZNS1_33reduce_by_key_impl_wrapped_configILNS1_25lookback_scan_determinismE0ES3_S9_PdNS6_17constant_iteratorIiNS6_11use_defaultESE_EENS6_10device_ptrIdEENSG_IlEEPmS8_NS6_8equal_toIdEEEE10hipError_tPvRmT2_T3_mT4_T5_T6_T7_T8_P12ihipStream_tbENKUlT_T0_E_clISt17integral_constantIbLb0EES13_EEDaSY_SZ_EUlSY_E_NS1_11comp_targetILNS1_3genE2ELNS1_11target_archE906ELNS1_3gpuE6ELNS1_3repE0EEENS1_30default_config_static_selectorELNS0_4arch9wavefront6targetE1EEEvT1_
                                        ; -- End function
	.section	.AMDGPU.csdata,"",@progbits
; Kernel info:
; codeLenInByte = 0
; NumSgprs: 4
; NumVgprs: 0
; NumAgprs: 0
; TotalNumVgprs: 0
; ScratchSize: 0
; MemoryBound: 0
; FloatMode: 240
; IeeeMode: 1
; LDSByteSize: 0 bytes/workgroup (compile time only)
; SGPRBlocks: 0
; VGPRBlocks: 0
; NumSGPRsForWavesPerEU: 4
; NumVGPRsForWavesPerEU: 1
; AccumOffset: 4
; Occupancy: 8
; WaveLimiterHint : 0
; COMPUTE_PGM_RSRC2:SCRATCH_EN: 0
; COMPUTE_PGM_RSRC2:USER_SGPR: 6
; COMPUTE_PGM_RSRC2:TRAP_HANDLER: 0
; COMPUTE_PGM_RSRC2:TGID_X_EN: 1
; COMPUTE_PGM_RSRC2:TGID_Y_EN: 0
; COMPUTE_PGM_RSRC2:TGID_Z_EN: 0
; COMPUTE_PGM_RSRC2:TIDIG_COMP_CNT: 0
; COMPUTE_PGM_RSRC3_GFX90A:ACCUM_OFFSET: 0
; COMPUTE_PGM_RSRC3_GFX90A:TG_SPLIT: 0
	.section	.text._ZN7rocprim17ROCPRIM_400000_NS6detail17trampoline_kernelINS0_14default_configENS1_29reduce_by_key_config_selectorIdlN6thrust23THRUST_200600_302600_NS4plusIlEEEEZZNS1_33reduce_by_key_impl_wrapped_configILNS1_25lookback_scan_determinismE0ES3_S9_PdNS6_17constant_iteratorIiNS6_11use_defaultESE_EENS6_10device_ptrIdEENSG_IlEEPmS8_NS6_8equal_toIdEEEE10hipError_tPvRmT2_T3_mT4_T5_T6_T7_T8_P12ihipStream_tbENKUlT_T0_E_clISt17integral_constantIbLb0EES13_EEDaSY_SZ_EUlSY_E_NS1_11comp_targetILNS1_3genE10ELNS1_11target_archE1201ELNS1_3gpuE5ELNS1_3repE0EEENS1_30default_config_static_selectorELNS0_4arch9wavefront6targetE1EEEvT1_,"axG",@progbits,_ZN7rocprim17ROCPRIM_400000_NS6detail17trampoline_kernelINS0_14default_configENS1_29reduce_by_key_config_selectorIdlN6thrust23THRUST_200600_302600_NS4plusIlEEEEZZNS1_33reduce_by_key_impl_wrapped_configILNS1_25lookback_scan_determinismE0ES3_S9_PdNS6_17constant_iteratorIiNS6_11use_defaultESE_EENS6_10device_ptrIdEENSG_IlEEPmS8_NS6_8equal_toIdEEEE10hipError_tPvRmT2_T3_mT4_T5_T6_T7_T8_P12ihipStream_tbENKUlT_T0_E_clISt17integral_constantIbLb0EES13_EEDaSY_SZ_EUlSY_E_NS1_11comp_targetILNS1_3genE10ELNS1_11target_archE1201ELNS1_3gpuE5ELNS1_3repE0EEENS1_30default_config_static_selectorELNS0_4arch9wavefront6targetE1EEEvT1_,comdat
	.protected	_ZN7rocprim17ROCPRIM_400000_NS6detail17trampoline_kernelINS0_14default_configENS1_29reduce_by_key_config_selectorIdlN6thrust23THRUST_200600_302600_NS4plusIlEEEEZZNS1_33reduce_by_key_impl_wrapped_configILNS1_25lookback_scan_determinismE0ES3_S9_PdNS6_17constant_iteratorIiNS6_11use_defaultESE_EENS6_10device_ptrIdEENSG_IlEEPmS8_NS6_8equal_toIdEEEE10hipError_tPvRmT2_T3_mT4_T5_T6_T7_T8_P12ihipStream_tbENKUlT_T0_E_clISt17integral_constantIbLb0EES13_EEDaSY_SZ_EUlSY_E_NS1_11comp_targetILNS1_3genE10ELNS1_11target_archE1201ELNS1_3gpuE5ELNS1_3repE0EEENS1_30default_config_static_selectorELNS0_4arch9wavefront6targetE1EEEvT1_ ; -- Begin function _ZN7rocprim17ROCPRIM_400000_NS6detail17trampoline_kernelINS0_14default_configENS1_29reduce_by_key_config_selectorIdlN6thrust23THRUST_200600_302600_NS4plusIlEEEEZZNS1_33reduce_by_key_impl_wrapped_configILNS1_25lookback_scan_determinismE0ES3_S9_PdNS6_17constant_iteratorIiNS6_11use_defaultESE_EENS6_10device_ptrIdEENSG_IlEEPmS8_NS6_8equal_toIdEEEE10hipError_tPvRmT2_T3_mT4_T5_T6_T7_T8_P12ihipStream_tbENKUlT_T0_E_clISt17integral_constantIbLb0EES13_EEDaSY_SZ_EUlSY_E_NS1_11comp_targetILNS1_3genE10ELNS1_11target_archE1201ELNS1_3gpuE5ELNS1_3repE0EEENS1_30default_config_static_selectorELNS0_4arch9wavefront6targetE1EEEvT1_
	.globl	_ZN7rocprim17ROCPRIM_400000_NS6detail17trampoline_kernelINS0_14default_configENS1_29reduce_by_key_config_selectorIdlN6thrust23THRUST_200600_302600_NS4plusIlEEEEZZNS1_33reduce_by_key_impl_wrapped_configILNS1_25lookback_scan_determinismE0ES3_S9_PdNS6_17constant_iteratorIiNS6_11use_defaultESE_EENS6_10device_ptrIdEENSG_IlEEPmS8_NS6_8equal_toIdEEEE10hipError_tPvRmT2_T3_mT4_T5_T6_T7_T8_P12ihipStream_tbENKUlT_T0_E_clISt17integral_constantIbLb0EES13_EEDaSY_SZ_EUlSY_E_NS1_11comp_targetILNS1_3genE10ELNS1_11target_archE1201ELNS1_3gpuE5ELNS1_3repE0EEENS1_30default_config_static_selectorELNS0_4arch9wavefront6targetE1EEEvT1_
	.p2align	8
	.type	_ZN7rocprim17ROCPRIM_400000_NS6detail17trampoline_kernelINS0_14default_configENS1_29reduce_by_key_config_selectorIdlN6thrust23THRUST_200600_302600_NS4plusIlEEEEZZNS1_33reduce_by_key_impl_wrapped_configILNS1_25lookback_scan_determinismE0ES3_S9_PdNS6_17constant_iteratorIiNS6_11use_defaultESE_EENS6_10device_ptrIdEENSG_IlEEPmS8_NS6_8equal_toIdEEEE10hipError_tPvRmT2_T3_mT4_T5_T6_T7_T8_P12ihipStream_tbENKUlT_T0_E_clISt17integral_constantIbLb0EES13_EEDaSY_SZ_EUlSY_E_NS1_11comp_targetILNS1_3genE10ELNS1_11target_archE1201ELNS1_3gpuE5ELNS1_3repE0EEENS1_30default_config_static_selectorELNS0_4arch9wavefront6targetE1EEEvT1_,@function
_ZN7rocprim17ROCPRIM_400000_NS6detail17trampoline_kernelINS0_14default_configENS1_29reduce_by_key_config_selectorIdlN6thrust23THRUST_200600_302600_NS4plusIlEEEEZZNS1_33reduce_by_key_impl_wrapped_configILNS1_25lookback_scan_determinismE0ES3_S9_PdNS6_17constant_iteratorIiNS6_11use_defaultESE_EENS6_10device_ptrIdEENSG_IlEEPmS8_NS6_8equal_toIdEEEE10hipError_tPvRmT2_T3_mT4_T5_T6_T7_T8_P12ihipStream_tbENKUlT_T0_E_clISt17integral_constantIbLb0EES13_EEDaSY_SZ_EUlSY_E_NS1_11comp_targetILNS1_3genE10ELNS1_11target_archE1201ELNS1_3gpuE5ELNS1_3repE0EEENS1_30default_config_static_selectorELNS0_4arch9wavefront6targetE1EEEvT1_: ; @_ZN7rocprim17ROCPRIM_400000_NS6detail17trampoline_kernelINS0_14default_configENS1_29reduce_by_key_config_selectorIdlN6thrust23THRUST_200600_302600_NS4plusIlEEEEZZNS1_33reduce_by_key_impl_wrapped_configILNS1_25lookback_scan_determinismE0ES3_S9_PdNS6_17constant_iteratorIiNS6_11use_defaultESE_EENS6_10device_ptrIdEENSG_IlEEPmS8_NS6_8equal_toIdEEEE10hipError_tPvRmT2_T3_mT4_T5_T6_T7_T8_P12ihipStream_tbENKUlT_T0_E_clISt17integral_constantIbLb0EES13_EEDaSY_SZ_EUlSY_E_NS1_11comp_targetILNS1_3genE10ELNS1_11target_archE1201ELNS1_3gpuE5ELNS1_3repE0EEENS1_30default_config_static_selectorELNS0_4arch9wavefront6targetE1EEEvT1_
; %bb.0:
	.section	.rodata,"a",@progbits
	.p2align	6, 0x0
	.amdhsa_kernel _ZN7rocprim17ROCPRIM_400000_NS6detail17trampoline_kernelINS0_14default_configENS1_29reduce_by_key_config_selectorIdlN6thrust23THRUST_200600_302600_NS4plusIlEEEEZZNS1_33reduce_by_key_impl_wrapped_configILNS1_25lookback_scan_determinismE0ES3_S9_PdNS6_17constant_iteratorIiNS6_11use_defaultESE_EENS6_10device_ptrIdEENSG_IlEEPmS8_NS6_8equal_toIdEEEE10hipError_tPvRmT2_T3_mT4_T5_T6_T7_T8_P12ihipStream_tbENKUlT_T0_E_clISt17integral_constantIbLb0EES13_EEDaSY_SZ_EUlSY_E_NS1_11comp_targetILNS1_3genE10ELNS1_11target_archE1201ELNS1_3gpuE5ELNS1_3repE0EEENS1_30default_config_static_selectorELNS0_4arch9wavefront6targetE1EEEvT1_
		.amdhsa_group_segment_fixed_size 0
		.amdhsa_private_segment_fixed_size 0
		.amdhsa_kernarg_size 144
		.amdhsa_user_sgpr_count 6
		.amdhsa_user_sgpr_private_segment_buffer 1
		.amdhsa_user_sgpr_dispatch_ptr 0
		.amdhsa_user_sgpr_queue_ptr 0
		.amdhsa_user_sgpr_kernarg_segment_ptr 1
		.amdhsa_user_sgpr_dispatch_id 0
		.amdhsa_user_sgpr_flat_scratch_init 0
		.amdhsa_user_sgpr_kernarg_preload_length 0
		.amdhsa_user_sgpr_kernarg_preload_offset 0
		.amdhsa_user_sgpr_private_segment_size 0
		.amdhsa_uses_dynamic_stack 0
		.amdhsa_system_sgpr_private_segment_wavefront_offset 0
		.amdhsa_system_sgpr_workgroup_id_x 1
		.amdhsa_system_sgpr_workgroup_id_y 0
		.amdhsa_system_sgpr_workgroup_id_z 0
		.amdhsa_system_sgpr_workgroup_info 0
		.amdhsa_system_vgpr_workitem_id 0
		.amdhsa_next_free_vgpr 1
		.amdhsa_next_free_sgpr 0
		.amdhsa_accum_offset 4
		.amdhsa_reserve_vcc 0
		.amdhsa_reserve_flat_scratch 0
		.amdhsa_float_round_mode_32 0
		.amdhsa_float_round_mode_16_64 0
		.amdhsa_float_denorm_mode_32 3
		.amdhsa_float_denorm_mode_16_64 3
		.amdhsa_dx10_clamp 1
		.amdhsa_ieee_mode 1
		.amdhsa_fp16_overflow 0
		.amdhsa_tg_split 0
		.amdhsa_exception_fp_ieee_invalid_op 0
		.amdhsa_exception_fp_denorm_src 0
		.amdhsa_exception_fp_ieee_div_zero 0
		.amdhsa_exception_fp_ieee_overflow 0
		.amdhsa_exception_fp_ieee_underflow 0
		.amdhsa_exception_fp_ieee_inexact 0
		.amdhsa_exception_int_div_zero 0
	.end_amdhsa_kernel
	.section	.text._ZN7rocprim17ROCPRIM_400000_NS6detail17trampoline_kernelINS0_14default_configENS1_29reduce_by_key_config_selectorIdlN6thrust23THRUST_200600_302600_NS4plusIlEEEEZZNS1_33reduce_by_key_impl_wrapped_configILNS1_25lookback_scan_determinismE0ES3_S9_PdNS6_17constant_iteratorIiNS6_11use_defaultESE_EENS6_10device_ptrIdEENSG_IlEEPmS8_NS6_8equal_toIdEEEE10hipError_tPvRmT2_T3_mT4_T5_T6_T7_T8_P12ihipStream_tbENKUlT_T0_E_clISt17integral_constantIbLb0EES13_EEDaSY_SZ_EUlSY_E_NS1_11comp_targetILNS1_3genE10ELNS1_11target_archE1201ELNS1_3gpuE5ELNS1_3repE0EEENS1_30default_config_static_selectorELNS0_4arch9wavefront6targetE1EEEvT1_,"axG",@progbits,_ZN7rocprim17ROCPRIM_400000_NS6detail17trampoline_kernelINS0_14default_configENS1_29reduce_by_key_config_selectorIdlN6thrust23THRUST_200600_302600_NS4plusIlEEEEZZNS1_33reduce_by_key_impl_wrapped_configILNS1_25lookback_scan_determinismE0ES3_S9_PdNS6_17constant_iteratorIiNS6_11use_defaultESE_EENS6_10device_ptrIdEENSG_IlEEPmS8_NS6_8equal_toIdEEEE10hipError_tPvRmT2_T3_mT4_T5_T6_T7_T8_P12ihipStream_tbENKUlT_T0_E_clISt17integral_constantIbLb0EES13_EEDaSY_SZ_EUlSY_E_NS1_11comp_targetILNS1_3genE10ELNS1_11target_archE1201ELNS1_3gpuE5ELNS1_3repE0EEENS1_30default_config_static_selectorELNS0_4arch9wavefront6targetE1EEEvT1_,comdat
.Lfunc_end1693:
	.size	_ZN7rocprim17ROCPRIM_400000_NS6detail17trampoline_kernelINS0_14default_configENS1_29reduce_by_key_config_selectorIdlN6thrust23THRUST_200600_302600_NS4plusIlEEEEZZNS1_33reduce_by_key_impl_wrapped_configILNS1_25lookback_scan_determinismE0ES3_S9_PdNS6_17constant_iteratorIiNS6_11use_defaultESE_EENS6_10device_ptrIdEENSG_IlEEPmS8_NS6_8equal_toIdEEEE10hipError_tPvRmT2_T3_mT4_T5_T6_T7_T8_P12ihipStream_tbENKUlT_T0_E_clISt17integral_constantIbLb0EES13_EEDaSY_SZ_EUlSY_E_NS1_11comp_targetILNS1_3genE10ELNS1_11target_archE1201ELNS1_3gpuE5ELNS1_3repE0EEENS1_30default_config_static_selectorELNS0_4arch9wavefront6targetE1EEEvT1_, .Lfunc_end1693-_ZN7rocprim17ROCPRIM_400000_NS6detail17trampoline_kernelINS0_14default_configENS1_29reduce_by_key_config_selectorIdlN6thrust23THRUST_200600_302600_NS4plusIlEEEEZZNS1_33reduce_by_key_impl_wrapped_configILNS1_25lookback_scan_determinismE0ES3_S9_PdNS6_17constant_iteratorIiNS6_11use_defaultESE_EENS6_10device_ptrIdEENSG_IlEEPmS8_NS6_8equal_toIdEEEE10hipError_tPvRmT2_T3_mT4_T5_T6_T7_T8_P12ihipStream_tbENKUlT_T0_E_clISt17integral_constantIbLb0EES13_EEDaSY_SZ_EUlSY_E_NS1_11comp_targetILNS1_3genE10ELNS1_11target_archE1201ELNS1_3gpuE5ELNS1_3repE0EEENS1_30default_config_static_selectorELNS0_4arch9wavefront6targetE1EEEvT1_
                                        ; -- End function
	.section	.AMDGPU.csdata,"",@progbits
; Kernel info:
; codeLenInByte = 0
; NumSgprs: 4
; NumVgprs: 0
; NumAgprs: 0
; TotalNumVgprs: 0
; ScratchSize: 0
; MemoryBound: 0
; FloatMode: 240
; IeeeMode: 1
; LDSByteSize: 0 bytes/workgroup (compile time only)
; SGPRBlocks: 0
; VGPRBlocks: 0
; NumSGPRsForWavesPerEU: 4
; NumVGPRsForWavesPerEU: 1
; AccumOffset: 4
; Occupancy: 8
; WaveLimiterHint : 0
; COMPUTE_PGM_RSRC2:SCRATCH_EN: 0
; COMPUTE_PGM_RSRC2:USER_SGPR: 6
; COMPUTE_PGM_RSRC2:TRAP_HANDLER: 0
; COMPUTE_PGM_RSRC2:TGID_X_EN: 1
; COMPUTE_PGM_RSRC2:TGID_Y_EN: 0
; COMPUTE_PGM_RSRC2:TGID_Z_EN: 0
; COMPUTE_PGM_RSRC2:TIDIG_COMP_CNT: 0
; COMPUTE_PGM_RSRC3_GFX90A:ACCUM_OFFSET: 0
; COMPUTE_PGM_RSRC3_GFX90A:TG_SPLIT: 0
	.section	.text._ZN7rocprim17ROCPRIM_400000_NS6detail17trampoline_kernelINS0_14default_configENS1_29reduce_by_key_config_selectorIdlN6thrust23THRUST_200600_302600_NS4plusIlEEEEZZNS1_33reduce_by_key_impl_wrapped_configILNS1_25lookback_scan_determinismE0ES3_S9_PdNS6_17constant_iteratorIiNS6_11use_defaultESE_EENS6_10device_ptrIdEENSG_IlEEPmS8_NS6_8equal_toIdEEEE10hipError_tPvRmT2_T3_mT4_T5_T6_T7_T8_P12ihipStream_tbENKUlT_T0_E_clISt17integral_constantIbLb0EES13_EEDaSY_SZ_EUlSY_E_NS1_11comp_targetILNS1_3genE10ELNS1_11target_archE1200ELNS1_3gpuE4ELNS1_3repE0EEENS1_30default_config_static_selectorELNS0_4arch9wavefront6targetE1EEEvT1_,"axG",@progbits,_ZN7rocprim17ROCPRIM_400000_NS6detail17trampoline_kernelINS0_14default_configENS1_29reduce_by_key_config_selectorIdlN6thrust23THRUST_200600_302600_NS4plusIlEEEEZZNS1_33reduce_by_key_impl_wrapped_configILNS1_25lookback_scan_determinismE0ES3_S9_PdNS6_17constant_iteratorIiNS6_11use_defaultESE_EENS6_10device_ptrIdEENSG_IlEEPmS8_NS6_8equal_toIdEEEE10hipError_tPvRmT2_T3_mT4_T5_T6_T7_T8_P12ihipStream_tbENKUlT_T0_E_clISt17integral_constantIbLb0EES13_EEDaSY_SZ_EUlSY_E_NS1_11comp_targetILNS1_3genE10ELNS1_11target_archE1200ELNS1_3gpuE4ELNS1_3repE0EEENS1_30default_config_static_selectorELNS0_4arch9wavefront6targetE1EEEvT1_,comdat
	.protected	_ZN7rocprim17ROCPRIM_400000_NS6detail17trampoline_kernelINS0_14default_configENS1_29reduce_by_key_config_selectorIdlN6thrust23THRUST_200600_302600_NS4plusIlEEEEZZNS1_33reduce_by_key_impl_wrapped_configILNS1_25lookback_scan_determinismE0ES3_S9_PdNS6_17constant_iteratorIiNS6_11use_defaultESE_EENS6_10device_ptrIdEENSG_IlEEPmS8_NS6_8equal_toIdEEEE10hipError_tPvRmT2_T3_mT4_T5_T6_T7_T8_P12ihipStream_tbENKUlT_T0_E_clISt17integral_constantIbLb0EES13_EEDaSY_SZ_EUlSY_E_NS1_11comp_targetILNS1_3genE10ELNS1_11target_archE1200ELNS1_3gpuE4ELNS1_3repE0EEENS1_30default_config_static_selectorELNS0_4arch9wavefront6targetE1EEEvT1_ ; -- Begin function _ZN7rocprim17ROCPRIM_400000_NS6detail17trampoline_kernelINS0_14default_configENS1_29reduce_by_key_config_selectorIdlN6thrust23THRUST_200600_302600_NS4plusIlEEEEZZNS1_33reduce_by_key_impl_wrapped_configILNS1_25lookback_scan_determinismE0ES3_S9_PdNS6_17constant_iteratorIiNS6_11use_defaultESE_EENS6_10device_ptrIdEENSG_IlEEPmS8_NS6_8equal_toIdEEEE10hipError_tPvRmT2_T3_mT4_T5_T6_T7_T8_P12ihipStream_tbENKUlT_T0_E_clISt17integral_constantIbLb0EES13_EEDaSY_SZ_EUlSY_E_NS1_11comp_targetILNS1_3genE10ELNS1_11target_archE1200ELNS1_3gpuE4ELNS1_3repE0EEENS1_30default_config_static_selectorELNS0_4arch9wavefront6targetE1EEEvT1_
	.globl	_ZN7rocprim17ROCPRIM_400000_NS6detail17trampoline_kernelINS0_14default_configENS1_29reduce_by_key_config_selectorIdlN6thrust23THRUST_200600_302600_NS4plusIlEEEEZZNS1_33reduce_by_key_impl_wrapped_configILNS1_25lookback_scan_determinismE0ES3_S9_PdNS6_17constant_iteratorIiNS6_11use_defaultESE_EENS6_10device_ptrIdEENSG_IlEEPmS8_NS6_8equal_toIdEEEE10hipError_tPvRmT2_T3_mT4_T5_T6_T7_T8_P12ihipStream_tbENKUlT_T0_E_clISt17integral_constantIbLb0EES13_EEDaSY_SZ_EUlSY_E_NS1_11comp_targetILNS1_3genE10ELNS1_11target_archE1200ELNS1_3gpuE4ELNS1_3repE0EEENS1_30default_config_static_selectorELNS0_4arch9wavefront6targetE1EEEvT1_
	.p2align	8
	.type	_ZN7rocprim17ROCPRIM_400000_NS6detail17trampoline_kernelINS0_14default_configENS1_29reduce_by_key_config_selectorIdlN6thrust23THRUST_200600_302600_NS4plusIlEEEEZZNS1_33reduce_by_key_impl_wrapped_configILNS1_25lookback_scan_determinismE0ES3_S9_PdNS6_17constant_iteratorIiNS6_11use_defaultESE_EENS6_10device_ptrIdEENSG_IlEEPmS8_NS6_8equal_toIdEEEE10hipError_tPvRmT2_T3_mT4_T5_T6_T7_T8_P12ihipStream_tbENKUlT_T0_E_clISt17integral_constantIbLb0EES13_EEDaSY_SZ_EUlSY_E_NS1_11comp_targetILNS1_3genE10ELNS1_11target_archE1200ELNS1_3gpuE4ELNS1_3repE0EEENS1_30default_config_static_selectorELNS0_4arch9wavefront6targetE1EEEvT1_,@function
_ZN7rocprim17ROCPRIM_400000_NS6detail17trampoline_kernelINS0_14default_configENS1_29reduce_by_key_config_selectorIdlN6thrust23THRUST_200600_302600_NS4plusIlEEEEZZNS1_33reduce_by_key_impl_wrapped_configILNS1_25lookback_scan_determinismE0ES3_S9_PdNS6_17constant_iteratorIiNS6_11use_defaultESE_EENS6_10device_ptrIdEENSG_IlEEPmS8_NS6_8equal_toIdEEEE10hipError_tPvRmT2_T3_mT4_T5_T6_T7_T8_P12ihipStream_tbENKUlT_T0_E_clISt17integral_constantIbLb0EES13_EEDaSY_SZ_EUlSY_E_NS1_11comp_targetILNS1_3genE10ELNS1_11target_archE1200ELNS1_3gpuE4ELNS1_3repE0EEENS1_30default_config_static_selectorELNS0_4arch9wavefront6targetE1EEEvT1_: ; @_ZN7rocprim17ROCPRIM_400000_NS6detail17trampoline_kernelINS0_14default_configENS1_29reduce_by_key_config_selectorIdlN6thrust23THRUST_200600_302600_NS4plusIlEEEEZZNS1_33reduce_by_key_impl_wrapped_configILNS1_25lookback_scan_determinismE0ES3_S9_PdNS6_17constant_iteratorIiNS6_11use_defaultESE_EENS6_10device_ptrIdEENSG_IlEEPmS8_NS6_8equal_toIdEEEE10hipError_tPvRmT2_T3_mT4_T5_T6_T7_T8_P12ihipStream_tbENKUlT_T0_E_clISt17integral_constantIbLb0EES13_EEDaSY_SZ_EUlSY_E_NS1_11comp_targetILNS1_3genE10ELNS1_11target_archE1200ELNS1_3gpuE4ELNS1_3repE0EEENS1_30default_config_static_selectorELNS0_4arch9wavefront6targetE1EEEvT1_
; %bb.0:
	.section	.rodata,"a",@progbits
	.p2align	6, 0x0
	.amdhsa_kernel _ZN7rocprim17ROCPRIM_400000_NS6detail17trampoline_kernelINS0_14default_configENS1_29reduce_by_key_config_selectorIdlN6thrust23THRUST_200600_302600_NS4plusIlEEEEZZNS1_33reduce_by_key_impl_wrapped_configILNS1_25lookback_scan_determinismE0ES3_S9_PdNS6_17constant_iteratorIiNS6_11use_defaultESE_EENS6_10device_ptrIdEENSG_IlEEPmS8_NS6_8equal_toIdEEEE10hipError_tPvRmT2_T3_mT4_T5_T6_T7_T8_P12ihipStream_tbENKUlT_T0_E_clISt17integral_constantIbLb0EES13_EEDaSY_SZ_EUlSY_E_NS1_11comp_targetILNS1_3genE10ELNS1_11target_archE1200ELNS1_3gpuE4ELNS1_3repE0EEENS1_30default_config_static_selectorELNS0_4arch9wavefront6targetE1EEEvT1_
		.amdhsa_group_segment_fixed_size 0
		.amdhsa_private_segment_fixed_size 0
		.amdhsa_kernarg_size 144
		.amdhsa_user_sgpr_count 6
		.amdhsa_user_sgpr_private_segment_buffer 1
		.amdhsa_user_sgpr_dispatch_ptr 0
		.amdhsa_user_sgpr_queue_ptr 0
		.amdhsa_user_sgpr_kernarg_segment_ptr 1
		.amdhsa_user_sgpr_dispatch_id 0
		.amdhsa_user_sgpr_flat_scratch_init 0
		.amdhsa_user_sgpr_kernarg_preload_length 0
		.amdhsa_user_sgpr_kernarg_preload_offset 0
		.amdhsa_user_sgpr_private_segment_size 0
		.amdhsa_uses_dynamic_stack 0
		.amdhsa_system_sgpr_private_segment_wavefront_offset 0
		.amdhsa_system_sgpr_workgroup_id_x 1
		.amdhsa_system_sgpr_workgroup_id_y 0
		.amdhsa_system_sgpr_workgroup_id_z 0
		.amdhsa_system_sgpr_workgroup_info 0
		.amdhsa_system_vgpr_workitem_id 0
		.amdhsa_next_free_vgpr 1
		.amdhsa_next_free_sgpr 0
		.amdhsa_accum_offset 4
		.amdhsa_reserve_vcc 0
		.amdhsa_reserve_flat_scratch 0
		.amdhsa_float_round_mode_32 0
		.amdhsa_float_round_mode_16_64 0
		.amdhsa_float_denorm_mode_32 3
		.amdhsa_float_denorm_mode_16_64 3
		.amdhsa_dx10_clamp 1
		.amdhsa_ieee_mode 1
		.amdhsa_fp16_overflow 0
		.amdhsa_tg_split 0
		.amdhsa_exception_fp_ieee_invalid_op 0
		.amdhsa_exception_fp_denorm_src 0
		.amdhsa_exception_fp_ieee_div_zero 0
		.amdhsa_exception_fp_ieee_overflow 0
		.amdhsa_exception_fp_ieee_underflow 0
		.amdhsa_exception_fp_ieee_inexact 0
		.amdhsa_exception_int_div_zero 0
	.end_amdhsa_kernel
	.section	.text._ZN7rocprim17ROCPRIM_400000_NS6detail17trampoline_kernelINS0_14default_configENS1_29reduce_by_key_config_selectorIdlN6thrust23THRUST_200600_302600_NS4plusIlEEEEZZNS1_33reduce_by_key_impl_wrapped_configILNS1_25lookback_scan_determinismE0ES3_S9_PdNS6_17constant_iteratorIiNS6_11use_defaultESE_EENS6_10device_ptrIdEENSG_IlEEPmS8_NS6_8equal_toIdEEEE10hipError_tPvRmT2_T3_mT4_T5_T6_T7_T8_P12ihipStream_tbENKUlT_T0_E_clISt17integral_constantIbLb0EES13_EEDaSY_SZ_EUlSY_E_NS1_11comp_targetILNS1_3genE10ELNS1_11target_archE1200ELNS1_3gpuE4ELNS1_3repE0EEENS1_30default_config_static_selectorELNS0_4arch9wavefront6targetE1EEEvT1_,"axG",@progbits,_ZN7rocprim17ROCPRIM_400000_NS6detail17trampoline_kernelINS0_14default_configENS1_29reduce_by_key_config_selectorIdlN6thrust23THRUST_200600_302600_NS4plusIlEEEEZZNS1_33reduce_by_key_impl_wrapped_configILNS1_25lookback_scan_determinismE0ES3_S9_PdNS6_17constant_iteratorIiNS6_11use_defaultESE_EENS6_10device_ptrIdEENSG_IlEEPmS8_NS6_8equal_toIdEEEE10hipError_tPvRmT2_T3_mT4_T5_T6_T7_T8_P12ihipStream_tbENKUlT_T0_E_clISt17integral_constantIbLb0EES13_EEDaSY_SZ_EUlSY_E_NS1_11comp_targetILNS1_3genE10ELNS1_11target_archE1200ELNS1_3gpuE4ELNS1_3repE0EEENS1_30default_config_static_selectorELNS0_4arch9wavefront6targetE1EEEvT1_,comdat
.Lfunc_end1694:
	.size	_ZN7rocprim17ROCPRIM_400000_NS6detail17trampoline_kernelINS0_14default_configENS1_29reduce_by_key_config_selectorIdlN6thrust23THRUST_200600_302600_NS4plusIlEEEEZZNS1_33reduce_by_key_impl_wrapped_configILNS1_25lookback_scan_determinismE0ES3_S9_PdNS6_17constant_iteratorIiNS6_11use_defaultESE_EENS6_10device_ptrIdEENSG_IlEEPmS8_NS6_8equal_toIdEEEE10hipError_tPvRmT2_T3_mT4_T5_T6_T7_T8_P12ihipStream_tbENKUlT_T0_E_clISt17integral_constantIbLb0EES13_EEDaSY_SZ_EUlSY_E_NS1_11comp_targetILNS1_3genE10ELNS1_11target_archE1200ELNS1_3gpuE4ELNS1_3repE0EEENS1_30default_config_static_selectorELNS0_4arch9wavefront6targetE1EEEvT1_, .Lfunc_end1694-_ZN7rocprim17ROCPRIM_400000_NS6detail17trampoline_kernelINS0_14default_configENS1_29reduce_by_key_config_selectorIdlN6thrust23THRUST_200600_302600_NS4plusIlEEEEZZNS1_33reduce_by_key_impl_wrapped_configILNS1_25lookback_scan_determinismE0ES3_S9_PdNS6_17constant_iteratorIiNS6_11use_defaultESE_EENS6_10device_ptrIdEENSG_IlEEPmS8_NS6_8equal_toIdEEEE10hipError_tPvRmT2_T3_mT4_T5_T6_T7_T8_P12ihipStream_tbENKUlT_T0_E_clISt17integral_constantIbLb0EES13_EEDaSY_SZ_EUlSY_E_NS1_11comp_targetILNS1_3genE10ELNS1_11target_archE1200ELNS1_3gpuE4ELNS1_3repE0EEENS1_30default_config_static_selectorELNS0_4arch9wavefront6targetE1EEEvT1_
                                        ; -- End function
	.section	.AMDGPU.csdata,"",@progbits
; Kernel info:
; codeLenInByte = 0
; NumSgprs: 4
; NumVgprs: 0
; NumAgprs: 0
; TotalNumVgprs: 0
; ScratchSize: 0
; MemoryBound: 0
; FloatMode: 240
; IeeeMode: 1
; LDSByteSize: 0 bytes/workgroup (compile time only)
; SGPRBlocks: 0
; VGPRBlocks: 0
; NumSGPRsForWavesPerEU: 4
; NumVGPRsForWavesPerEU: 1
; AccumOffset: 4
; Occupancy: 8
; WaveLimiterHint : 0
; COMPUTE_PGM_RSRC2:SCRATCH_EN: 0
; COMPUTE_PGM_RSRC2:USER_SGPR: 6
; COMPUTE_PGM_RSRC2:TRAP_HANDLER: 0
; COMPUTE_PGM_RSRC2:TGID_X_EN: 1
; COMPUTE_PGM_RSRC2:TGID_Y_EN: 0
; COMPUTE_PGM_RSRC2:TGID_Z_EN: 0
; COMPUTE_PGM_RSRC2:TIDIG_COMP_CNT: 0
; COMPUTE_PGM_RSRC3_GFX90A:ACCUM_OFFSET: 0
; COMPUTE_PGM_RSRC3_GFX90A:TG_SPLIT: 0
	.section	.text._ZN7rocprim17ROCPRIM_400000_NS6detail17trampoline_kernelINS0_14default_configENS1_29reduce_by_key_config_selectorIdlN6thrust23THRUST_200600_302600_NS4plusIlEEEEZZNS1_33reduce_by_key_impl_wrapped_configILNS1_25lookback_scan_determinismE0ES3_S9_PdNS6_17constant_iteratorIiNS6_11use_defaultESE_EENS6_10device_ptrIdEENSG_IlEEPmS8_NS6_8equal_toIdEEEE10hipError_tPvRmT2_T3_mT4_T5_T6_T7_T8_P12ihipStream_tbENKUlT_T0_E_clISt17integral_constantIbLb0EES13_EEDaSY_SZ_EUlSY_E_NS1_11comp_targetILNS1_3genE9ELNS1_11target_archE1100ELNS1_3gpuE3ELNS1_3repE0EEENS1_30default_config_static_selectorELNS0_4arch9wavefront6targetE1EEEvT1_,"axG",@progbits,_ZN7rocprim17ROCPRIM_400000_NS6detail17trampoline_kernelINS0_14default_configENS1_29reduce_by_key_config_selectorIdlN6thrust23THRUST_200600_302600_NS4plusIlEEEEZZNS1_33reduce_by_key_impl_wrapped_configILNS1_25lookback_scan_determinismE0ES3_S9_PdNS6_17constant_iteratorIiNS6_11use_defaultESE_EENS6_10device_ptrIdEENSG_IlEEPmS8_NS6_8equal_toIdEEEE10hipError_tPvRmT2_T3_mT4_T5_T6_T7_T8_P12ihipStream_tbENKUlT_T0_E_clISt17integral_constantIbLb0EES13_EEDaSY_SZ_EUlSY_E_NS1_11comp_targetILNS1_3genE9ELNS1_11target_archE1100ELNS1_3gpuE3ELNS1_3repE0EEENS1_30default_config_static_selectorELNS0_4arch9wavefront6targetE1EEEvT1_,comdat
	.protected	_ZN7rocprim17ROCPRIM_400000_NS6detail17trampoline_kernelINS0_14default_configENS1_29reduce_by_key_config_selectorIdlN6thrust23THRUST_200600_302600_NS4plusIlEEEEZZNS1_33reduce_by_key_impl_wrapped_configILNS1_25lookback_scan_determinismE0ES3_S9_PdNS6_17constant_iteratorIiNS6_11use_defaultESE_EENS6_10device_ptrIdEENSG_IlEEPmS8_NS6_8equal_toIdEEEE10hipError_tPvRmT2_T3_mT4_T5_T6_T7_T8_P12ihipStream_tbENKUlT_T0_E_clISt17integral_constantIbLb0EES13_EEDaSY_SZ_EUlSY_E_NS1_11comp_targetILNS1_3genE9ELNS1_11target_archE1100ELNS1_3gpuE3ELNS1_3repE0EEENS1_30default_config_static_selectorELNS0_4arch9wavefront6targetE1EEEvT1_ ; -- Begin function _ZN7rocprim17ROCPRIM_400000_NS6detail17trampoline_kernelINS0_14default_configENS1_29reduce_by_key_config_selectorIdlN6thrust23THRUST_200600_302600_NS4plusIlEEEEZZNS1_33reduce_by_key_impl_wrapped_configILNS1_25lookback_scan_determinismE0ES3_S9_PdNS6_17constant_iteratorIiNS6_11use_defaultESE_EENS6_10device_ptrIdEENSG_IlEEPmS8_NS6_8equal_toIdEEEE10hipError_tPvRmT2_T3_mT4_T5_T6_T7_T8_P12ihipStream_tbENKUlT_T0_E_clISt17integral_constantIbLb0EES13_EEDaSY_SZ_EUlSY_E_NS1_11comp_targetILNS1_3genE9ELNS1_11target_archE1100ELNS1_3gpuE3ELNS1_3repE0EEENS1_30default_config_static_selectorELNS0_4arch9wavefront6targetE1EEEvT1_
	.globl	_ZN7rocprim17ROCPRIM_400000_NS6detail17trampoline_kernelINS0_14default_configENS1_29reduce_by_key_config_selectorIdlN6thrust23THRUST_200600_302600_NS4plusIlEEEEZZNS1_33reduce_by_key_impl_wrapped_configILNS1_25lookback_scan_determinismE0ES3_S9_PdNS6_17constant_iteratorIiNS6_11use_defaultESE_EENS6_10device_ptrIdEENSG_IlEEPmS8_NS6_8equal_toIdEEEE10hipError_tPvRmT2_T3_mT4_T5_T6_T7_T8_P12ihipStream_tbENKUlT_T0_E_clISt17integral_constantIbLb0EES13_EEDaSY_SZ_EUlSY_E_NS1_11comp_targetILNS1_3genE9ELNS1_11target_archE1100ELNS1_3gpuE3ELNS1_3repE0EEENS1_30default_config_static_selectorELNS0_4arch9wavefront6targetE1EEEvT1_
	.p2align	8
	.type	_ZN7rocprim17ROCPRIM_400000_NS6detail17trampoline_kernelINS0_14default_configENS1_29reduce_by_key_config_selectorIdlN6thrust23THRUST_200600_302600_NS4plusIlEEEEZZNS1_33reduce_by_key_impl_wrapped_configILNS1_25lookback_scan_determinismE0ES3_S9_PdNS6_17constant_iteratorIiNS6_11use_defaultESE_EENS6_10device_ptrIdEENSG_IlEEPmS8_NS6_8equal_toIdEEEE10hipError_tPvRmT2_T3_mT4_T5_T6_T7_T8_P12ihipStream_tbENKUlT_T0_E_clISt17integral_constantIbLb0EES13_EEDaSY_SZ_EUlSY_E_NS1_11comp_targetILNS1_3genE9ELNS1_11target_archE1100ELNS1_3gpuE3ELNS1_3repE0EEENS1_30default_config_static_selectorELNS0_4arch9wavefront6targetE1EEEvT1_,@function
_ZN7rocprim17ROCPRIM_400000_NS6detail17trampoline_kernelINS0_14default_configENS1_29reduce_by_key_config_selectorIdlN6thrust23THRUST_200600_302600_NS4plusIlEEEEZZNS1_33reduce_by_key_impl_wrapped_configILNS1_25lookback_scan_determinismE0ES3_S9_PdNS6_17constant_iteratorIiNS6_11use_defaultESE_EENS6_10device_ptrIdEENSG_IlEEPmS8_NS6_8equal_toIdEEEE10hipError_tPvRmT2_T3_mT4_T5_T6_T7_T8_P12ihipStream_tbENKUlT_T0_E_clISt17integral_constantIbLb0EES13_EEDaSY_SZ_EUlSY_E_NS1_11comp_targetILNS1_3genE9ELNS1_11target_archE1100ELNS1_3gpuE3ELNS1_3repE0EEENS1_30default_config_static_selectorELNS0_4arch9wavefront6targetE1EEEvT1_: ; @_ZN7rocprim17ROCPRIM_400000_NS6detail17trampoline_kernelINS0_14default_configENS1_29reduce_by_key_config_selectorIdlN6thrust23THRUST_200600_302600_NS4plusIlEEEEZZNS1_33reduce_by_key_impl_wrapped_configILNS1_25lookback_scan_determinismE0ES3_S9_PdNS6_17constant_iteratorIiNS6_11use_defaultESE_EENS6_10device_ptrIdEENSG_IlEEPmS8_NS6_8equal_toIdEEEE10hipError_tPvRmT2_T3_mT4_T5_T6_T7_T8_P12ihipStream_tbENKUlT_T0_E_clISt17integral_constantIbLb0EES13_EEDaSY_SZ_EUlSY_E_NS1_11comp_targetILNS1_3genE9ELNS1_11target_archE1100ELNS1_3gpuE3ELNS1_3repE0EEENS1_30default_config_static_selectorELNS0_4arch9wavefront6targetE1EEEvT1_
; %bb.0:
	.section	.rodata,"a",@progbits
	.p2align	6, 0x0
	.amdhsa_kernel _ZN7rocprim17ROCPRIM_400000_NS6detail17trampoline_kernelINS0_14default_configENS1_29reduce_by_key_config_selectorIdlN6thrust23THRUST_200600_302600_NS4plusIlEEEEZZNS1_33reduce_by_key_impl_wrapped_configILNS1_25lookback_scan_determinismE0ES3_S9_PdNS6_17constant_iteratorIiNS6_11use_defaultESE_EENS6_10device_ptrIdEENSG_IlEEPmS8_NS6_8equal_toIdEEEE10hipError_tPvRmT2_T3_mT4_T5_T6_T7_T8_P12ihipStream_tbENKUlT_T0_E_clISt17integral_constantIbLb0EES13_EEDaSY_SZ_EUlSY_E_NS1_11comp_targetILNS1_3genE9ELNS1_11target_archE1100ELNS1_3gpuE3ELNS1_3repE0EEENS1_30default_config_static_selectorELNS0_4arch9wavefront6targetE1EEEvT1_
		.amdhsa_group_segment_fixed_size 0
		.amdhsa_private_segment_fixed_size 0
		.amdhsa_kernarg_size 144
		.amdhsa_user_sgpr_count 6
		.amdhsa_user_sgpr_private_segment_buffer 1
		.amdhsa_user_sgpr_dispatch_ptr 0
		.amdhsa_user_sgpr_queue_ptr 0
		.amdhsa_user_sgpr_kernarg_segment_ptr 1
		.amdhsa_user_sgpr_dispatch_id 0
		.amdhsa_user_sgpr_flat_scratch_init 0
		.amdhsa_user_sgpr_kernarg_preload_length 0
		.amdhsa_user_sgpr_kernarg_preload_offset 0
		.amdhsa_user_sgpr_private_segment_size 0
		.amdhsa_uses_dynamic_stack 0
		.amdhsa_system_sgpr_private_segment_wavefront_offset 0
		.amdhsa_system_sgpr_workgroup_id_x 1
		.amdhsa_system_sgpr_workgroup_id_y 0
		.amdhsa_system_sgpr_workgroup_id_z 0
		.amdhsa_system_sgpr_workgroup_info 0
		.amdhsa_system_vgpr_workitem_id 0
		.amdhsa_next_free_vgpr 1
		.amdhsa_next_free_sgpr 0
		.amdhsa_accum_offset 4
		.amdhsa_reserve_vcc 0
		.amdhsa_reserve_flat_scratch 0
		.amdhsa_float_round_mode_32 0
		.amdhsa_float_round_mode_16_64 0
		.amdhsa_float_denorm_mode_32 3
		.amdhsa_float_denorm_mode_16_64 3
		.amdhsa_dx10_clamp 1
		.amdhsa_ieee_mode 1
		.amdhsa_fp16_overflow 0
		.amdhsa_tg_split 0
		.amdhsa_exception_fp_ieee_invalid_op 0
		.amdhsa_exception_fp_denorm_src 0
		.amdhsa_exception_fp_ieee_div_zero 0
		.amdhsa_exception_fp_ieee_overflow 0
		.amdhsa_exception_fp_ieee_underflow 0
		.amdhsa_exception_fp_ieee_inexact 0
		.amdhsa_exception_int_div_zero 0
	.end_amdhsa_kernel
	.section	.text._ZN7rocprim17ROCPRIM_400000_NS6detail17trampoline_kernelINS0_14default_configENS1_29reduce_by_key_config_selectorIdlN6thrust23THRUST_200600_302600_NS4plusIlEEEEZZNS1_33reduce_by_key_impl_wrapped_configILNS1_25lookback_scan_determinismE0ES3_S9_PdNS6_17constant_iteratorIiNS6_11use_defaultESE_EENS6_10device_ptrIdEENSG_IlEEPmS8_NS6_8equal_toIdEEEE10hipError_tPvRmT2_T3_mT4_T5_T6_T7_T8_P12ihipStream_tbENKUlT_T0_E_clISt17integral_constantIbLb0EES13_EEDaSY_SZ_EUlSY_E_NS1_11comp_targetILNS1_3genE9ELNS1_11target_archE1100ELNS1_3gpuE3ELNS1_3repE0EEENS1_30default_config_static_selectorELNS0_4arch9wavefront6targetE1EEEvT1_,"axG",@progbits,_ZN7rocprim17ROCPRIM_400000_NS6detail17trampoline_kernelINS0_14default_configENS1_29reduce_by_key_config_selectorIdlN6thrust23THRUST_200600_302600_NS4plusIlEEEEZZNS1_33reduce_by_key_impl_wrapped_configILNS1_25lookback_scan_determinismE0ES3_S9_PdNS6_17constant_iteratorIiNS6_11use_defaultESE_EENS6_10device_ptrIdEENSG_IlEEPmS8_NS6_8equal_toIdEEEE10hipError_tPvRmT2_T3_mT4_T5_T6_T7_T8_P12ihipStream_tbENKUlT_T0_E_clISt17integral_constantIbLb0EES13_EEDaSY_SZ_EUlSY_E_NS1_11comp_targetILNS1_3genE9ELNS1_11target_archE1100ELNS1_3gpuE3ELNS1_3repE0EEENS1_30default_config_static_selectorELNS0_4arch9wavefront6targetE1EEEvT1_,comdat
.Lfunc_end1695:
	.size	_ZN7rocprim17ROCPRIM_400000_NS6detail17trampoline_kernelINS0_14default_configENS1_29reduce_by_key_config_selectorIdlN6thrust23THRUST_200600_302600_NS4plusIlEEEEZZNS1_33reduce_by_key_impl_wrapped_configILNS1_25lookback_scan_determinismE0ES3_S9_PdNS6_17constant_iteratorIiNS6_11use_defaultESE_EENS6_10device_ptrIdEENSG_IlEEPmS8_NS6_8equal_toIdEEEE10hipError_tPvRmT2_T3_mT4_T5_T6_T7_T8_P12ihipStream_tbENKUlT_T0_E_clISt17integral_constantIbLb0EES13_EEDaSY_SZ_EUlSY_E_NS1_11comp_targetILNS1_3genE9ELNS1_11target_archE1100ELNS1_3gpuE3ELNS1_3repE0EEENS1_30default_config_static_selectorELNS0_4arch9wavefront6targetE1EEEvT1_, .Lfunc_end1695-_ZN7rocprim17ROCPRIM_400000_NS6detail17trampoline_kernelINS0_14default_configENS1_29reduce_by_key_config_selectorIdlN6thrust23THRUST_200600_302600_NS4plusIlEEEEZZNS1_33reduce_by_key_impl_wrapped_configILNS1_25lookback_scan_determinismE0ES3_S9_PdNS6_17constant_iteratorIiNS6_11use_defaultESE_EENS6_10device_ptrIdEENSG_IlEEPmS8_NS6_8equal_toIdEEEE10hipError_tPvRmT2_T3_mT4_T5_T6_T7_T8_P12ihipStream_tbENKUlT_T0_E_clISt17integral_constantIbLb0EES13_EEDaSY_SZ_EUlSY_E_NS1_11comp_targetILNS1_3genE9ELNS1_11target_archE1100ELNS1_3gpuE3ELNS1_3repE0EEENS1_30default_config_static_selectorELNS0_4arch9wavefront6targetE1EEEvT1_
                                        ; -- End function
	.section	.AMDGPU.csdata,"",@progbits
; Kernel info:
; codeLenInByte = 0
; NumSgprs: 4
; NumVgprs: 0
; NumAgprs: 0
; TotalNumVgprs: 0
; ScratchSize: 0
; MemoryBound: 0
; FloatMode: 240
; IeeeMode: 1
; LDSByteSize: 0 bytes/workgroup (compile time only)
; SGPRBlocks: 0
; VGPRBlocks: 0
; NumSGPRsForWavesPerEU: 4
; NumVGPRsForWavesPerEU: 1
; AccumOffset: 4
; Occupancy: 8
; WaveLimiterHint : 0
; COMPUTE_PGM_RSRC2:SCRATCH_EN: 0
; COMPUTE_PGM_RSRC2:USER_SGPR: 6
; COMPUTE_PGM_RSRC2:TRAP_HANDLER: 0
; COMPUTE_PGM_RSRC2:TGID_X_EN: 1
; COMPUTE_PGM_RSRC2:TGID_Y_EN: 0
; COMPUTE_PGM_RSRC2:TGID_Z_EN: 0
; COMPUTE_PGM_RSRC2:TIDIG_COMP_CNT: 0
; COMPUTE_PGM_RSRC3_GFX90A:ACCUM_OFFSET: 0
; COMPUTE_PGM_RSRC3_GFX90A:TG_SPLIT: 0
	.section	.text._ZN7rocprim17ROCPRIM_400000_NS6detail17trampoline_kernelINS0_14default_configENS1_29reduce_by_key_config_selectorIdlN6thrust23THRUST_200600_302600_NS4plusIlEEEEZZNS1_33reduce_by_key_impl_wrapped_configILNS1_25lookback_scan_determinismE0ES3_S9_PdNS6_17constant_iteratorIiNS6_11use_defaultESE_EENS6_10device_ptrIdEENSG_IlEEPmS8_NS6_8equal_toIdEEEE10hipError_tPvRmT2_T3_mT4_T5_T6_T7_T8_P12ihipStream_tbENKUlT_T0_E_clISt17integral_constantIbLb0EES13_EEDaSY_SZ_EUlSY_E_NS1_11comp_targetILNS1_3genE8ELNS1_11target_archE1030ELNS1_3gpuE2ELNS1_3repE0EEENS1_30default_config_static_selectorELNS0_4arch9wavefront6targetE1EEEvT1_,"axG",@progbits,_ZN7rocprim17ROCPRIM_400000_NS6detail17trampoline_kernelINS0_14default_configENS1_29reduce_by_key_config_selectorIdlN6thrust23THRUST_200600_302600_NS4plusIlEEEEZZNS1_33reduce_by_key_impl_wrapped_configILNS1_25lookback_scan_determinismE0ES3_S9_PdNS6_17constant_iteratorIiNS6_11use_defaultESE_EENS6_10device_ptrIdEENSG_IlEEPmS8_NS6_8equal_toIdEEEE10hipError_tPvRmT2_T3_mT4_T5_T6_T7_T8_P12ihipStream_tbENKUlT_T0_E_clISt17integral_constantIbLb0EES13_EEDaSY_SZ_EUlSY_E_NS1_11comp_targetILNS1_3genE8ELNS1_11target_archE1030ELNS1_3gpuE2ELNS1_3repE0EEENS1_30default_config_static_selectorELNS0_4arch9wavefront6targetE1EEEvT1_,comdat
	.protected	_ZN7rocprim17ROCPRIM_400000_NS6detail17trampoline_kernelINS0_14default_configENS1_29reduce_by_key_config_selectorIdlN6thrust23THRUST_200600_302600_NS4plusIlEEEEZZNS1_33reduce_by_key_impl_wrapped_configILNS1_25lookback_scan_determinismE0ES3_S9_PdNS6_17constant_iteratorIiNS6_11use_defaultESE_EENS6_10device_ptrIdEENSG_IlEEPmS8_NS6_8equal_toIdEEEE10hipError_tPvRmT2_T3_mT4_T5_T6_T7_T8_P12ihipStream_tbENKUlT_T0_E_clISt17integral_constantIbLb0EES13_EEDaSY_SZ_EUlSY_E_NS1_11comp_targetILNS1_3genE8ELNS1_11target_archE1030ELNS1_3gpuE2ELNS1_3repE0EEENS1_30default_config_static_selectorELNS0_4arch9wavefront6targetE1EEEvT1_ ; -- Begin function _ZN7rocprim17ROCPRIM_400000_NS6detail17trampoline_kernelINS0_14default_configENS1_29reduce_by_key_config_selectorIdlN6thrust23THRUST_200600_302600_NS4plusIlEEEEZZNS1_33reduce_by_key_impl_wrapped_configILNS1_25lookback_scan_determinismE0ES3_S9_PdNS6_17constant_iteratorIiNS6_11use_defaultESE_EENS6_10device_ptrIdEENSG_IlEEPmS8_NS6_8equal_toIdEEEE10hipError_tPvRmT2_T3_mT4_T5_T6_T7_T8_P12ihipStream_tbENKUlT_T0_E_clISt17integral_constantIbLb0EES13_EEDaSY_SZ_EUlSY_E_NS1_11comp_targetILNS1_3genE8ELNS1_11target_archE1030ELNS1_3gpuE2ELNS1_3repE0EEENS1_30default_config_static_selectorELNS0_4arch9wavefront6targetE1EEEvT1_
	.globl	_ZN7rocprim17ROCPRIM_400000_NS6detail17trampoline_kernelINS0_14default_configENS1_29reduce_by_key_config_selectorIdlN6thrust23THRUST_200600_302600_NS4plusIlEEEEZZNS1_33reduce_by_key_impl_wrapped_configILNS1_25lookback_scan_determinismE0ES3_S9_PdNS6_17constant_iteratorIiNS6_11use_defaultESE_EENS6_10device_ptrIdEENSG_IlEEPmS8_NS6_8equal_toIdEEEE10hipError_tPvRmT2_T3_mT4_T5_T6_T7_T8_P12ihipStream_tbENKUlT_T0_E_clISt17integral_constantIbLb0EES13_EEDaSY_SZ_EUlSY_E_NS1_11comp_targetILNS1_3genE8ELNS1_11target_archE1030ELNS1_3gpuE2ELNS1_3repE0EEENS1_30default_config_static_selectorELNS0_4arch9wavefront6targetE1EEEvT1_
	.p2align	8
	.type	_ZN7rocprim17ROCPRIM_400000_NS6detail17trampoline_kernelINS0_14default_configENS1_29reduce_by_key_config_selectorIdlN6thrust23THRUST_200600_302600_NS4plusIlEEEEZZNS1_33reduce_by_key_impl_wrapped_configILNS1_25lookback_scan_determinismE0ES3_S9_PdNS6_17constant_iteratorIiNS6_11use_defaultESE_EENS6_10device_ptrIdEENSG_IlEEPmS8_NS6_8equal_toIdEEEE10hipError_tPvRmT2_T3_mT4_T5_T6_T7_T8_P12ihipStream_tbENKUlT_T0_E_clISt17integral_constantIbLb0EES13_EEDaSY_SZ_EUlSY_E_NS1_11comp_targetILNS1_3genE8ELNS1_11target_archE1030ELNS1_3gpuE2ELNS1_3repE0EEENS1_30default_config_static_selectorELNS0_4arch9wavefront6targetE1EEEvT1_,@function
_ZN7rocprim17ROCPRIM_400000_NS6detail17trampoline_kernelINS0_14default_configENS1_29reduce_by_key_config_selectorIdlN6thrust23THRUST_200600_302600_NS4plusIlEEEEZZNS1_33reduce_by_key_impl_wrapped_configILNS1_25lookback_scan_determinismE0ES3_S9_PdNS6_17constant_iteratorIiNS6_11use_defaultESE_EENS6_10device_ptrIdEENSG_IlEEPmS8_NS6_8equal_toIdEEEE10hipError_tPvRmT2_T3_mT4_T5_T6_T7_T8_P12ihipStream_tbENKUlT_T0_E_clISt17integral_constantIbLb0EES13_EEDaSY_SZ_EUlSY_E_NS1_11comp_targetILNS1_3genE8ELNS1_11target_archE1030ELNS1_3gpuE2ELNS1_3repE0EEENS1_30default_config_static_selectorELNS0_4arch9wavefront6targetE1EEEvT1_: ; @_ZN7rocprim17ROCPRIM_400000_NS6detail17trampoline_kernelINS0_14default_configENS1_29reduce_by_key_config_selectorIdlN6thrust23THRUST_200600_302600_NS4plusIlEEEEZZNS1_33reduce_by_key_impl_wrapped_configILNS1_25lookback_scan_determinismE0ES3_S9_PdNS6_17constant_iteratorIiNS6_11use_defaultESE_EENS6_10device_ptrIdEENSG_IlEEPmS8_NS6_8equal_toIdEEEE10hipError_tPvRmT2_T3_mT4_T5_T6_T7_T8_P12ihipStream_tbENKUlT_T0_E_clISt17integral_constantIbLb0EES13_EEDaSY_SZ_EUlSY_E_NS1_11comp_targetILNS1_3genE8ELNS1_11target_archE1030ELNS1_3gpuE2ELNS1_3repE0EEENS1_30default_config_static_selectorELNS0_4arch9wavefront6targetE1EEEvT1_
; %bb.0:
	.section	.rodata,"a",@progbits
	.p2align	6, 0x0
	.amdhsa_kernel _ZN7rocprim17ROCPRIM_400000_NS6detail17trampoline_kernelINS0_14default_configENS1_29reduce_by_key_config_selectorIdlN6thrust23THRUST_200600_302600_NS4plusIlEEEEZZNS1_33reduce_by_key_impl_wrapped_configILNS1_25lookback_scan_determinismE0ES3_S9_PdNS6_17constant_iteratorIiNS6_11use_defaultESE_EENS6_10device_ptrIdEENSG_IlEEPmS8_NS6_8equal_toIdEEEE10hipError_tPvRmT2_T3_mT4_T5_T6_T7_T8_P12ihipStream_tbENKUlT_T0_E_clISt17integral_constantIbLb0EES13_EEDaSY_SZ_EUlSY_E_NS1_11comp_targetILNS1_3genE8ELNS1_11target_archE1030ELNS1_3gpuE2ELNS1_3repE0EEENS1_30default_config_static_selectorELNS0_4arch9wavefront6targetE1EEEvT1_
		.amdhsa_group_segment_fixed_size 0
		.amdhsa_private_segment_fixed_size 0
		.amdhsa_kernarg_size 144
		.amdhsa_user_sgpr_count 6
		.amdhsa_user_sgpr_private_segment_buffer 1
		.amdhsa_user_sgpr_dispatch_ptr 0
		.amdhsa_user_sgpr_queue_ptr 0
		.amdhsa_user_sgpr_kernarg_segment_ptr 1
		.amdhsa_user_sgpr_dispatch_id 0
		.amdhsa_user_sgpr_flat_scratch_init 0
		.amdhsa_user_sgpr_kernarg_preload_length 0
		.amdhsa_user_sgpr_kernarg_preload_offset 0
		.amdhsa_user_sgpr_private_segment_size 0
		.amdhsa_uses_dynamic_stack 0
		.amdhsa_system_sgpr_private_segment_wavefront_offset 0
		.amdhsa_system_sgpr_workgroup_id_x 1
		.amdhsa_system_sgpr_workgroup_id_y 0
		.amdhsa_system_sgpr_workgroup_id_z 0
		.amdhsa_system_sgpr_workgroup_info 0
		.amdhsa_system_vgpr_workitem_id 0
		.amdhsa_next_free_vgpr 1
		.amdhsa_next_free_sgpr 0
		.amdhsa_accum_offset 4
		.amdhsa_reserve_vcc 0
		.amdhsa_reserve_flat_scratch 0
		.amdhsa_float_round_mode_32 0
		.amdhsa_float_round_mode_16_64 0
		.amdhsa_float_denorm_mode_32 3
		.amdhsa_float_denorm_mode_16_64 3
		.amdhsa_dx10_clamp 1
		.amdhsa_ieee_mode 1
		.amdhsa_fp16_overflow 0
		.amdhsa_tg_split 0
		.amdhsa_exception_fp_ieee_invalid_op 0
		.amdhsa_exception_fp_denorm_src 0
		.amdhsa_exception_fp_ieee_div_zero 0
		.amdhsa_exception_fp_ieee_overflow 0
		.amdhsa_exception_fp_ieee_underflow 0
		.amdhsa_exception_fp_ieee_inexact 0
		.amdhsa_exception_int_div_zero 0
	.end_amdhsa_kernel
	.section	.text._ZN7rocprim17ROCPRIM_400000_NS6detail17trampoline_kernelINS0_14default_configENS1_29reduce_by_key_config_selectorIdlN6thrust23THRUST_200600_302600_NS4plusIlEEEEZZNS1_33reduce_by_key_impl_wrapped_configILNS1_25lookback_scan_determinismE0ES3_S9_PdNS6_17constant_iteratorIiNS6_11use_defaultESE_EENS6_10device_ptrIdEENSG_IlEEPmS8_NS6_8equal_toIdEEEE10hipError_tPvRmT2_T3_mT4_T5_T6_T7_T8_P12ihipStream_tbENKUlT_T0_E_clISt17integral_constantIbLb0EES13_EEDaSY_SZ_EUlSY_E_NS1_11comp_targetILNS1_3genE8ELNS1_11target_archE1030ELNS1_3gpuE2ELNS1_3repE0EEENS1_30default_config_static_selectorELNS0_4arch9wavefront6targetE1EEEvT1_,"axG",@progbits,_ZN7rocprim17ROCPRIM_400000_NS6detail17trampoline_kernelINS0_14default_configENS1_29reduce_by_key_config_selectorIdlN6thrust23THRUST_200600_302600_NS4plusIlEEEEZZNS1_33reduce_by_key_impl_wrapped_configILNS1_25lookback_scan_determinismE0ES3_S9_PdNS6_17constant_iteratorIiNS6_11use_defaultESE_EENS6_10device_ptrIdEENSG_IlEEPmS8_NS6_8equal_toIdEEEE10hipError_tPvRmT2_T3_mT4_T5_T6_T7_T8_P12ihipStream_tbENKUlT_T0_E_clISt17integral_constantIbLb0EES13_EEDaSY_SZ_EUlSY_E_NS1_11comp_targetILNS1_3genE8ELNS1_11target_archE1030ELNS1_3gpuE2ELNS1_3repE0EEENS1_30default_config_static_selectorELNS0_4arch9wavefront6targetE1EEEvT1_,comdat
.Lfunc_end1696:
	.size	_ZN7rocprim17ROCPRIM_400000_NS6detail17trampoline_kernelINS0_14default_configENS1_29reduce_by_key_config_selectorIdlN6thrust23THRUST_200600_302600_NS4plusIlEEEEZZNS1_33reduce_by_key_impl_wrapped_configILNS1_25lookback_scan_determinismE0ES3_S9_PdNS6_17constant_iteratorIiNS6_11use_defaultESE_EENS6_10device_ptrIdEENSG_IlEEPmS8_NS6_8equal_toIdEEEE10hipError_tPvRmT2_T3_mT4_T5_T6_T7_T8_P12ihipStream_tbENKUlT_T0_E_clISt17integral_constantIbLb0EES13_EEDaSY_SZ_EUlSY_E_NS1_11comp_targetILNS1_3genE8ELNS1_11target_archE1030ELNS1_3gpuE2ELNS1_3repE0EEENS1_30default_config_static_selectorELNS0_4arch9wavefront6targetE1EEEvT1_, .Lfunc_end1696-_ZN7rocprim17ROCPRIM_400000_NS6detail17trampoline_kernelINS0_14default_configENS1_29reduce_by_key_config_selectorIdlN6thrust23THRUST_200600_302600_NS4plusIlEEEEZZNS1_33reduce_by_key_impl_wrapped_configILNS1_25lookback_scan_determinismE0ES3_S9_PdNS6_17constant_iteratorIiNS6_11use_defaultESE_EENS6_10device_ptrIdEENSG_IlEEPmS8_NS6_8equal_toIdEEEE10hipError_tPvRmT2_T3_mT4_T5_T6_T7_T8_P12ihipStream_tbENKUlT_T0_E_clISt17integral_constantIbLb0EES13_EEDaSY_SZ_EUlSY_E_NS1_11comp_targetILNS1_3genE8ELNS1_11target_archE1030ELNS1_3gpuE2ELNS1_3repE0EEENS1_30default_config_static_selectorELNS0_4arch9wavefront6targetE1EEEvT1_
                                        ; -- End function
	.section	.AMDGPU.csdata,"",@progbits
; Kernel info:
; codeLenInByte = 0
; NumSgprs: 4
; NumVgprs: 0
; NumAgprs: 0
; TotalNumVgprs: 0
; ScratchSize: 0
; MemoryBound: 0
; FloatMode: 240
; IeeeMode: 1
; LDSByteSize: 0 bytes/workgroup (compile time only)
; SGPRBlocks: 0
; VGPRBlocks: 0
; NumSGPRsForWavesPerEU: 4
; NumVGPRsForWavesPerEU: 1
; AccumOffset: 4
; Occupancy: 8
; WaveLimiterHint : 0
; COMPUTE_PGM_RSRC2:SCRATCH_EN: 0
; COMPUTE_PGM_RSRC2:USER_SGPR: 6
; COMPUTE_PGM_RSRC2:TRAP_HANDLER: 0
; COMPUTE_PGM_RSRC2:TGID_X_EN: 1
; COMPUTE_PGM_RSRC2:TGID_Y_EN: 0
; COMPUTE_PGM_RSRC2:TGID_Z_EN: 0
; COMPUTE_PGM_RSRC2:TIDIG_COMP_CNT: 0
; COMPUTE_PGM_RSRC3_GFX90A:ACCUM_OFFSET: 0
; COMPUTE_PGM_RSRC3_GFX90A:TG_SPLIT: 0
	.section	.text._ZN7rocprim17ROCPRIM_400000_NS6detail17trampoline_kernelINS0_14default_configENS1_29reduce_by_key_config_selectorIdlN6thrust23THRUST_200600_302600_NS4plusIlEEEEZZNS1_33reduce_by_key_impl_wrapped_configILNS1_25lookback_scan_determinismE0ES3_S9_PdNS6_17constant_iteratorIiNS6_11use_defaultESE_EENS6_10device_ptrIdEENSG_IlEEPmS8_NS6_8equal_toIdEEEE10hipError_tPvRmT2_T3_mT4_T5_T6_T7_T8_P12ihipStream_tbENKUlT_T0_E_clISt17integral_constantIbLb1EES13_EEDaSY_SZ_EUlSY_E_NS1_11comp_targetILNS1_3genE0ELNS1_11target_archE4294967295ELNS1_3gpuE0ELNS1_3repE0EEENS1_30default_config_static_selectorELNS0_4arch9wavefront6targetE1EEEvT1_,"axG",@progbits,_ZN7rocprim17ROCPRIM_400000_NS6detail17trampoline_kernelINS0_14default_configENS1_29reduce_by_key_config_selectorIdlN6thrust23THRUST_200600_302600_NS4plusIlEEEEZZNS1_33reduce_by_key_impl_wrapped_configILNS1_25lookback_scan_determinismE0ES3_S9_PdNS6_17constant_iteratorIiNS6_11use_defaultESE_EENS6_10device_ptrIdEENSG_IlEEPmS8_NS6_8equal_toIdEEEE10hipError_tPvRmT2_T3_mT4_T5_T6_T7_T8_P12ihipStream_tbENKUlT_T0_E_clISt17integral_constantIbLb1EES13_EEDaSY_SZ_EUlSY_E_NS1_11comp_targetILNS1_3genE0ELNS1_11target_archE4294967295ELNS1_3gpuE0ELNS1_3repE0EEENS1_30default_config_static_selectorELNS0_4arch9wavefront6targetE1EEEvT1_,comdat
	.protected	_ZN7rocprim17ROCPRIM_400000_NS6detail17trampoline_kernelINS0_14default_configENS1_29reduce_by_key_config_selectorIdlN6thrust23THRUST_200600_302600_NS4plusIlEEEEZZNS1_33reduce_by_key_impl_wrapped_configILNS1_25lookback_scan_determinismE0ES3_S9_PdNS6_17constant_iteratorIiNS6_11use_defaultESE_EENS6_10device_ptrIdEENSG_IlEEPmS8_NS6_8equal_toIdEEEE10hipError_tPvRmT2_T3_mT4_T5_T6_T7_T8_P12ihipStream_tbENKUlT_T0_E_clISt17integral_constantIbLb1EES13_EEDaSY_SZ_EUlSY_E_NS1_11comp_targetILNS1_3genE0ELNS1_11target_archE4294967295ELNS1_3gpuE0ELNS1_3repE0EEENS1_30default_config_static_selectorELNS0_4arch9wavefront6targetE1EEEvT1_ ; -- Begin function _ZN7rocprim17ROCPRIM_400000_NS6detail17trampoline_kernelINS0_14default_configENS1_29reduce_by_key_config_selectorIdlN6thrust23THRUST_200600_302600_NS4plusIlEEEEZZNS1_33reduce_by_key_impl_wrapped_configILNS1_25lookback_scan_determinismE0ES3_S9_PdNS6_17constant_iteratorIiNS6_11use_defaultESE_EENS6_10device_ptrIdEENSG_IlEEPmS8_NS6_8equal_toIdEEEE10hipError_tPvRmT2_T3_mT4_T5_T6_T7_T8_P12ihipStream_tbENKUlT_T0_E_clISt17integral_constantIbLb1EES13_EEDaSY_SZ_EUlSY_E_NS1_11comp_targetILNS1_3genE0ELNS1_11target_archE4294967295ELNS1_3gpuE0ELNS1_3repE0EEENS1_30default_config_static_selectorELNS0_4arch9wavefront6targetE1EEEvT1_
	.globl	_ZN7rocprim17ROCPRIM_400000_NS6detail17trampoline_kernelINS0_14default_configENS1_29reduce_by_key_config_selectorIdlN6thrust23THRUST_200600_302600_NS4plusIlEEEEZZNS1_33reduce_by_key_impl_wrapped_configILNS1_25lookback_scan_determinismE0ES3_S9_PdNS6_17constant_iteratorIiNS6_11use_defaultESE_EENS6_10device_ptrIdEENSG_IlEEPmS8_NS6_8equal_toIdEEEE10hipError_tPvRmT2_T3_mT4_T5_T6_T7_T8_P12ihipStream_tbENKUlT_T0_E_clISt17integral_constantIbLb1EES13_EEDaSY_SZ_EUlSY_E_NS1_11comp_targetILNS1_3genE0ELNS1_11target_archE4294967295ELNS1_3gpuE0ELNS1_3repE0EEENS1_30default_config_static_selectorELNS0_4arch9wavefront6targetE1EEEvT1_
	.p2align	8
	.type	_ZN7rocprim17ROCPRIM_400000_NS6detail17trampoline_kernelINS0_14default_configENS1_29reduce_by_key_config_selectorIdlN6thrust23THRUST_200600_302600_NS4plusIlEEEEZZNS1_33reduce_by_key_impl_wrapped_configILNS1_25lookback_scan_determinismE0ES3_S9_PdNS6_17constant_iteratorIiNS6_11use_defaultESE_EENS6_10device_ptrIdEENSG_IlEEPmS8_NS6_8equal_toIdEEEE10hipError_tPvRmT2_T3_mT4_T5_T6_T7_T8_P12ihipStream_tbENKUlT_T0_E_clISt17integral_constantIbLb1EES13_EEDaSY_SZ_EUlSY_E_NS1_11comp_targetILNS1_3genE0ELNS1_11target_archE4294967295ELNS1_3gpuE0ELNS1_3repE0EEENS1_30default_config_static_selectorELNS0_4arch9wavefront6targetE1EEEvT1_,@function
_ZN7rocprim17ROCPRIM_400000_NS6detail17trampoline_kernelINS0_14default_configENS1_29reduce_by_key_config_selectorIdlN6thrust23THRUST_200600_302600_NS4plusIlEEEEZZNS1_33reduce_by_key_impl_wrapped_configILNS1_25lookback_scan_determinismE0ES3_S9_PdNS6_17constant_iteratorIiNS6_11use_defaultESE_EENS6_10device_ptrIdEENSG_IlEEPmS8_NS6_8equal_toIdEEEE10hipError_tPvRmT2_T3_mT4_T5_T6_T7_T8_P12ihipStream_tbENKUlT_T0_E_clISt17integral_constantIbLb1EES13_EEDaSY_SZ_EUlSY_E_NS1_11comp_targetILNS1_3genE0ELNS1_11target_archE4294967295ELNS1_3gpuE0ELNS1_3repE0EEENS1_30default_config_static_selectorELNS0_4arch9wavefront6targetE1EEEvT1_: ; @_ZN7rocprim17ROCPRIM_400000_NS6detail17trampoline_kernelINS0_14default_configENS1_29reduce_by_key_config_selectorIdlN6thrust23THRUST_200600_302600_NS4plusIlEEEEZZNS1_33reduce_by_key_impl_wrapped_configILNS1_25lookback_scan_determinismE0ES3_S9_PdNS6_17constant_iteratorIiNS6_11use_defaultESE_EENS6_10device_ptrIdEENSG_IlEEPmS8_NS6_8equal_toIdEEEE10hipError_tPvRmT2_T3_mT4_T5_T6_T7_T8_P12ihipStream_tbENKUlT_T0_E_clISt17integral_constantIbLb1EES13_EEDaSY_SZ_EUlSY_E_NS1_11comp_targetILNS1_3genE0ELNS1_11target_archE4294967295ELNS1_3gpuE0ELNS1_3repE0EEENS1_30default_config_static_selectorELNS0_4arch9wavefront6targetE1EEEvT1_
; %bb.0:
	.section	.rodata,"a",@progbits
	.p2align	6, 0x0
	.amdhsa_kernel _ZN7rocprim17ROCPRIM_400000_NS6detail17trampoline_kernelINS0_14default_configENS1_29reduce_by_key_config_selectorIdlN6thrust23THRUST_200600_302600_NS4plusIlEEEEZZNS1_33reduce_by_key_impl_wrapped_configILNS1_25lookback_scan_determinismE0ES3_S9_PdNS6_17constant_iteratorIiNS6_11use_defaultESE_EENS6_10device_ptrIdEENSG_IlEEPmS8_NS6_8equal_toIdEEEE10hipError_tPvRmT2_T3_mT4_T5_T6_T7_T8_P12ihipStream_tbENKUlT_T0_E_clISt17integral_constantIbLb1EES13_EEDaSY_SZ_EUlSY_E_NS1_11comp_targetILNS1_3genE0ELNS1_11target_archE4294967295ELNS1_3gpuE0ELNS1_3repE0EEENS1_30default_config_static_selectorELNS0_4arch9wavefront6targetE1EEEvT1_
		.amdhsa_group_segment_fixed_size 0
		.amdhsa_private_segment_fixed_size 0
		.amdhsa_kernarg_size 144
		.amdhsa_user_sgpr_count 6
		.amdhsa_user_sgpr_private_segment_buffer 1
		.amdhsa_user_sgpr_dispatch_ptr 0
		.amdhsa_user_sgpr_queue_ptr 0
		.amdhsa_user_sgpr_kernarg_segment_ptr 1
		.amdhsa_user_sgpr_dispatch_id 0
		.amdhsa_user_sgpr_flat_scratch_init 0
		.amdhsa_user_sgpr_kernarg_preload_length 0
		.amdhsa_user_sgpr_kernarg_preload_offset 0
		.amdhsa_user_sgpr_private_segment_size 0
		.amdhsa_uses_dynamic_stack 0
		.amdhsa_system_sgpr_private_segment_wavefront_offset 0
		.amdhsa_system_sgpr_workgroup_id_x 1
		.amdhsa_system_sgpr_workgroup_id_y 0
		.amdhsa_system_sgpr_workgroup_id_z 0
		.amdhsa_system_sgpr_workgroup_info 0
		.amdhsa_system_vgpr_workitem_id 0
		.amdhsa_next_free_vgpr 1
		.amdhsa_next_free_sgpr 0
		.amdhsa_accum_offset 4
		.amdhsa_reserve_vcc 0
		.amdhsa_reserve_flat_scratch 0
		.amdhsa_float_round_mode_32 0
		.amdhsa_float_round_mode_16_64 0
		.amdhsa_float_denorm_mode_32 3
		.amdhsa_float_denorm_mode_16_64 3
		.amdhsa_dx10_clamp 1
		.amdhsa_ieee_mode 1
		.amdhsa_fp16_overflow 0
		.amdhsa_tg_split 0
		.amdhsa_exception_fp_ieee_invalid_op 0
		.amdhsa_exception_fp_denorm_src 0
		.amdhsa_exception_fp_ieee_div_zero 0
		.amdhsa_exception_fp_ieee_overflow 0
		.amdhsa_exception_fp_ieee_underflow 0
		.amdhsa_exception_fp_ieee_inexact 0
		.amdhsa_exception_int_div_zero 0
	.end_amdhsa_kernel
	.section	.text._ZN7rocprim17ROCPRIM_400000_NS6detail17trampoline_kernelINS0_14default_configENS1_29reduce_by_key_config_selectorIdlN6thrust23THRUST_200600_302600_NS4plusIlEEEEZZNS1_33reduce_by_key_impl_wrapped_configILNS1_25lookback_scan_determinismE0ES3_S9_PdNS6_17constant_iteratorIiNS6_11use_defaultESE_EENS6_10device_ptrIdEENSG_IlEEPmS8_NS6_8equal_toIdEEEE10hipError_tPvRmT2_T3_mT4_T5_T6_T7_T8_P12ihipStream_tbENKUlT_T0_E_clISt17integral_constantIbLb1EES13_EEDaSY_SZ_EUlSY_E_NS1_11comp_targetILNS1_3genE0ELNS1_11target_archE4294967295ELNS1_3gpuE0ELNS1_3repE0EEENS1_30default_config_static_selectorELNS0_4arch9wavefront6targetE1EEEvT1_,"axG",@progbits,_ZN7rocprim17ROCPRIM_400000_NS6detail17trampoline_kernelINS0_14default_configENS1_29reduce_by_key_config_selectorIdlN6thrust23THRUST_200600_302600_NS4plusIlEEEEZZNS1_33reduce_by_key_impl_wrapped_configILNS1_25lookback_scan_determinismE0ES3_S9_PdNS6_17constant_iteratorIiNS6_11use_defaultESE_EENS6_10device_ptrIdEENSG_IlEEPmS8_NS6_8equal_toIdEEEE10hipError_tPvRmT2_T3_mT4_T5_T6_T7_T8_P12ihipStream_tbENKUlT_T0_E_clISt17integral_constantIbLb1EES13_EEDaSY_SZ_EUlSY_E_NS1_11comp_targetILNS1_3genE0ELNS1_11target_archE4294967295ELNS1_3gpuE0ELNS1_3repE0EEENS1_30default_config_static_selectorELNS0_4arch9wavefront6targetE1EEEvT1_,comdat
.Lfunc_end1697:
	.size	_ZN7rocprim17ROCPRIM_400000_NS6detail17trampoline_kernelINS0_14default_configENS1_29reduce_by_key_config_selectorIdlN6thrust23THRUST_200600_302600_NS4plusIlEEEEZZNS1_33reduce_by_key_impl_wrapped_configILNS1_25lookback_scan_determinismE0ES3_S9_PdNS6_17constant_iteratorIiNS6_11use_defaultESE_EENS6_10device_ptrIdEENSG_IlEEPmS8_NS6_8equal_toIdEEEE10hipError_tPvRmT2_T3_mT4_T5_T6_T7_T8_P12ihipStream_tbENKUlT_T0_E_clISt17integral_constantIbLb1EES13_EEDaSY_SZ_EUlSY_E_NS1_11comp_targetILNS1_3genE0ELNS1_11target_archE4294967295ELNS1_3gpuE0ELNS1_3repE0EEENS1_30default_config_static_selectorELNS0_4arch9wavefront6targetE1EEEvT1_, .Lfunc_end1697-_ZN7rocprim17ROCPRIM_400000_NS6detail17trampoline_kernelINS0_14default_configENS1_29reduce_by_key_config_selectorIdlN6thrust23THRUST_200600_302600_NS4plusIlEEEEZZNS1_33reduce_by_key_impl_wrapped_configILNS1_25lookback_scan_determinismE0ES3_S9_PdNS6_17constant_iteratorIiNS6_11use_defaultESE_EENS6_10device_ptrIdEENSG_IlEEPmS8_NS6_8equal_toIdEEEE10hipError_tPvRmT2_T3_mT4_T5_T6_T7_T8_P12ihipStream_tbENKUlT_T0_E_clISt17integral_constantIbLb1EES13_EEDaSY_SZ_EUlSY_E_NS1_11comp_targetILNS1_3genE0ELNS1_11target_archE4294967295ELNS1_3gpuE0ELNS1_3repE0EEENS1_30default_config_static_selectorELNS0_4arch9wavefront6targetE1EEEvT1_
                                        ; -- End function
	.section	.AMDGPU.csdata,"",@progbits
; Kernel info:
; codeLenInByte = 0
; NumSgprs: 4
; NumVgprs: 0
; NumAgprs: 0
; TotalNumVgprs: 0
; ScratchSize: 0
; MemoryBound: 0
; FloatMode: 240
; IeeeMode: 1
; LDSByteSize: 0 bytes/workgroup (compile time only)
; SGPRBlocks: 0
; VGPRBlocks: 0
; NumSGPRsForWavesPerEU: 4
; NumVGPRsForWavesPerEU: 1
; AccumOffset: 4
; Occupancy: 8
; WaveLimiterHint : 0
; COMPUTE_PGM_RSRC2:SCRATCH_EN: 0
; COMPUTE_PGM_RSRC2:USER_SGPR: 6
; COMPUTE_PGM_RSRC2:TRAP_HANDLER: 0
; COMPUTE_PGM_RSRC2:TGID_X_EN: 1
; COMPUTE_PGM_RSRC2:TGID_Y_EN: 0
; COMPUTE_PGM_RSRC2:TGID_Z_EN: 0
; COMPUTE_PGM_RSRC2:TIDIG_COMP_CNT: 0
; COMPUTE_PGM_RSRC3_GFX90A:ACCUM_OFFSET: 0
; COMPUTE_PGM_RSRC3_GFX90A:TG_SPLIT: 0
	.section	.text._ZN7rocprim17ROCPRIM_400000_NS6detail17trampoline_kernelINS0_14default_configENS1_29reduce_by_key_config_selectorIdlN6thrust23THRUST_200600_302600_NS4plusIlEEEEZZNS1_33reduce_by_key_impl_wrapped_configILNS1_25lookback_scan_determinismE0ES3_S9_PdNS6_17constant_iteratorIiNS6_11use_defaultESE_EENS6_10device_ptrIdEENSG_IlEEPmS8_NS6_8equal_toIdEEEE10hipError_tPvRmT2_T3_mT4_T5_T6_T7_T8_P12ihipStream_tbENKUlT_T0_E_clISt17integral_constantIbLb1EES13_EEDaSY_SZ_EUlSY_E_NS1_11comp_targetILNS1_3genE5ELNS1_11target_archE942ELNS1_3gpuE9ELNS1_3repE0EEENS1_30default_config_static_selectorELNS0_4arch9wavefront6targetE1EEEvT1_,"axG",@progbits,_ZN7rocprim17ROCPRIM_400000_NS6detail17trampoline_kernelINS0_14default_configENS1_29reduce_by_key_config_selectorIdlN6thrust23THRUST_200600_302600_NS4plusIlEEEEZZNS1_33reduce_by_key_impl_wrapped_configILNS1_25lookback_scan_determinismE0ES3_S9_PdNS6_17constant_iteratorIiNS6_11use_defaultESE_EENS6_10device_ptrIdEENSG_IlEEPmS8_NS6_8equal_toIdEEEE10hipError_tPvRmT2_T3_mT4_T5_T6_T7_T8_P12ihipStream_tbENKUlT_T0_E_clISt17integral_constantIbLb1EES13_EEDaSY_SZ_EUlSY_E_NS1_11comp_targetILNS1_3genE5ELNS1_11target_archE942ELNS1_3gpuE9ELNS1_3repE0EEENS1_30default_config_static_selectorELNS0_4arch9wavefront6targetE1EEEvT1_,comdat
	.protected	_ZN7rocprim17ROCPRIM_400000_NS6detail17trampoline_kernelINS0_14default_configENS1_29reduce_by_key_config_selectorIdlN6thrust23THRUST_200600_302600_NS4plusIlEEEEZZNS1_33reduce_by_key_impl_wrapped_configILNS1_25lookback_scan_determinismE0ES3_S9_PdNS6_17constant_iteratorIiNS6_11use_defaultESE_EENS6_10device_ptrIdEENSG_IlEEPmS8_NS6_8equal_toIdEEEE10hipError_tPvRmT2_T3_mT4_T5_T6_T7_T8_P12ihipStream_tbENKUlT_T0_E_clISt17integral_constantIbLb1EES13_EEDaSY_SZ_EUlSY_E_NS1_11comp_targetILNS1_3genE5ELNS1_11target_archE942ELNS1_3gpuE9ELNS1_3repE0EEENS1_30default_config_static_selectorELNS0_4arch9wavefront6targetE1EEEvT1_ ; -- Begin function _ZN7rocprim17ROCPRIM_400000_NS6detail17trampoline_kernelINS0_14default_configENS1_29reduce_by_key_config_selectorIdlN6thrust23THRUST_200600_302600_NS4plusIlEEEEZZNS1_33reduce_by_key_impl_wrapped_configILNS1_25lookback_scan_determinismE0ES3_S9_PdNS6_17constant_iteratorIiNS6_11use_defaultESE_EENS6_10device_ptrIdEENSG_IlEEPmS8_NS6_8equal_toIdEEEE10hipError_tPvRmT2_T3_mT4_T5_T6_T7_T8_P12ihipStream_tbENKUlT_T0_E_clISt17integral_constantIbLb1EES13_EEDaSY_SZ_EUlSY_E_NS1_11comp_targetILNS1_3genE5ELNS1_11target_archE942ELNS1_3gpuE9ELNS1_3repE0EEENS1_30default_config_static_selectorELNS0_4arch9wavefront6targetE1EEEvT1_
	.globl	_ZN7rocprim17ROCPRIM_400000_NS6detail17trampoline_kernelINS0_14default_configENS1_29reduce_by_key_config_selectorIdlN6thrust23THRUST_200600_302600_NS4plusIlEEEEZZNS1_33reduce_by_key_impl_wrapped_configILNS1_25lookback_scan_determinismE0ES3_S9_PdNS6_17constant_iteratorIiNS6_11use_defaultESE_EENS6_10device_ptrIdEENSG_IlEEPmS8_NS6_8equal_toIdEEEE10hipError_tPvRmT2_T3_mT4_T5_T6_T7_T8_P12ihipStream_tbENKUlT_T0_E_clISt17integral_constantIbLb1EES13_EEDaSY_SZ_EUlSY_E_NS1_11comp_targetILNS1_3genE5ELNS1_11target_archE942ELNS1_3gpuE9ELNS1_3repE0EEENS1_30default_config_static_selectorELNS0_4arch9wavefront6targetE1EEEvT1_
	.p2align	8
	.type	_ZN7rocprim17ROCPRIM_400000_NS6detail17trampoline_kernelINS0_14default_configENS1_29reduce_by_key_config_selectorIdlN6thrust23THRUST_200600_302600_NS4plusIlEEEEZZNS1_33reduce_by_key_impl_wrapped_configILNS1_25lookback_scan_determinismE0ES3_S9_PdNS6_17constant_iteratorIiNS6_11use_defaultESE_EENS6_10device_ptrIdEENSG_IlEEPmS8_NS6_8equal_toIdEEEE10hipError_tPvRmT2_T3_mT4_T5_T6_T7_T8_P12ihipStream_tbENKUlT_T0_E_clISt17integral_constantIbLb1EES13_EEDaSY_SZ_EUlSY_E_NS1_11comp_targetILNS1_3genE5ELNS1_11target_archE942ELNS1_3gpuE9ELNS1_3repE0EEENS1_30default_config_static_selectorELNS0_4arch9wavefront6targetE1EEEvT1_,@function
_ZN7rocprim17ROCPRIM_400000_NS6detail17trampoline_kernelINS0_14default_configENS1_29reduce_by_key_config_selectorIdlN6thrust23THRUST_200600_302600_NS4plusIlEEEEZZNS1_33reduce_by_key_impl_wrapped_configILNS1_25lookback_scan_determinismE0ES3_S9_PdNS6_17constant_iteratorIiNS6_11use_defaultESE_EENS6_10device_ptrIdEENSG_IlEEPmS8_NS6_8equal_toIdEEEE10hipError_tPvRmT2_T3_mT4_T5_T6_T7_T8_P12ihipStream_tbENKUlT_T0_E_clISt17integral_constantIbLb1EES13_EEDaSY_SZ_EUlSY_E_NS1_11comp_targetILNS1_3genE5ELNS1_11target_archE942ELNS1_3gpuE9ELNS1_3repE0EEENS1_30default_config_static_selectorELNS0_4arch9wavefront6targetE1EEEvT1_: ; @_ZN7rocprim17ROCPRIM_400000_NS6detail17trampoline_kernelINS0_14default_configENS1_29reduce_by_key_config_selectorIdlN6thrust23THRUST_200600_302600_NS4plusIlEEEEZZNS1_33reduce_by_key_impl_wrapped_configILNS1_25lookback_scan_determinismE0ES3_S9_PdNS6_17constant_iteratorIiNS6_11use_defaultESE_EENS6_10device_ptrIdEENSG_IlEEPmS8_NS6_8equal_toIdEEEE10hipError_tPvRmT2_T3_mT4_T5_T6_T7_T8_P12ihipStream_tbENKUlT_T0_E_clISt17integral_constantIbLb1EES13_EEDaSY_SZ_EUlSY_E_NS1_11comp_targetILNS1_3genE5ELNS1_11target_archE942ELNS1_3gpuE9ELNS1_3repE0EEENS1_30default_config_static_selectorELNS0_4arch9wavefront6targetE1EEEvT1_
; %bb.0:
	.section	.rodata,"a",@progbits
	.p2align	6, 0x0
	.amdhsa_kernel _ZN7rocprim17ROCPRIM_400000_NS6detail17trampoline_kernelINS0_14default_configENS1_29reduce_by_key_config_selectorIdlN6thrust23THRUST_200600_302600_NS4plusIlEEEEZZNS1_33reduce_by_key_impl_wrapped_configILNS1_25lookback_scan_determinismE0ES3_S9_PdNS6_17constant_iteratorIiNS6_11use_defaultESE_EENS6_10device_ptrIdEENSG_IlEEPmS8_NS6_8equal_toIdEEEE10hipError_tPvRmT2_T3_mT4_T5_T6_T7_T8_P12ihipStream_tbENKUlT_T0_E_clISt17integral_constantIbLb1EES13_EEDaSY_SZ_EUlSY_E_NS1_11comp_targetILNS1_3genE5ELNS1_11target_archE942ELNS1_3gpuE9ELNS1_3repE0EEENS1_30default_config_static_selectorELNS0_4arch9wavefront6targetE1EEEvT1_
		.amdhsa_group_segment_fixed_size 0
		.amdhsa_private_segment_fixed_size 0
		.amdhsa_kernarg_size 144
		.amdhsa_user_sgpr_count 6
		.amdhsa_user_sgpr_private_segment_buffer 1
		.amdhsa_user_sgpr_dispatch_ptr 0
		.amdhsa_user_sgpr_queue_ptr 0
		.amdhsa_user_sgpr_kernarg_segment_ptr 1
		.amdhsa_user_sgpr_dispatch_id 0
		.amdhsa_user_sgpr_flat_scratch_init 0
		.amdhsa_user_sgpr_kernarg_preload_length 0
		.amdhsa_user_sgpr_kernarg_preload_offset 0
		.amdhsa_user_sgpr_private_segment_size 0
		.amdhsa_uses_dynamic_stack 0
		.amdhsa_system_sgpr_private_segment_wavefront_offset 0
		.amdhsa_system_sgpr_workgroup_id_x 1
		.amdhsa_system_sgpr_workgroup_id_y 0
		.amdhsa_system_sgpr_workgroup_id_z 0
		.amdhsa_system_sgpr_workgroup_info 0
		.amdhsa_system_vgpr_workitem_id 0
		.amdhsa_next_free_vgpr 1
		.amdhsa_next_free_sgpr 0
		.amdhsa_accum_offset 4
		.amdhsa_reserve_vcc 0
		.amdhsa_reserve_flat_scratch 0
		.amdhsa_float_round_mode_32 0
		.amdhsa_float_round_mode_16_64 0
		.amdhsa_float_denorm_mode_32 3
		.amdhsa_float_denorm_mode_16_64 3
		.amdhsa_dx10_clamp 1
		.amdhsa_ieee_mode 1
		.amdhsa_fp16_overflow 0
		.amdhsa_tg_split 0
		.amdhsa_exception_fp_ieee_invalid_op 0
		.amdhsa_exception_fp_denorm_src 0
		.amdhsa_exception_fp_ieee_div_zero 0
		.amdhsa_exception_fp_ieee_overflow 0
		.amdhsa_exception_fp_ieee_underflow 0
		.amdhsa_exception_fp_ieee_inexact 0
		.amdhsa_exception_int_div_zero 0
	.end_amdhsa_kernel
	.section	.text._ZN7rocprim17ROCPRIM_400000_NS6detail17trampoline_kernelINS0_14default_configENS1_29reduce_by_key_config_selectorIdlN6thrust23THRUST_200600_302600_NS4plusIlEEEEZZNS1_33reduce_by_key_impl_wrapped_configILNS1_25lookback_scan_determinismE0ES3_S9_PdNS6_17constant_iteratorIiNS6_11use_defaultESE_EENS6_10device_ptrIdEENSG_IlEEPmS8_NS6_8equal_toIdEEEE10hipError_tPvRmT2_T3_mT4_T5_T6_T7_T8_P12ihipStream_tbENKUlT_T0_E_clISt17integral_constantIbLb1EES13_EEDaSY_SZ_EUlSY_E_NS1_11comp_targetILNS1_3genE5ELNS1_11target_archE942ELNS1_3gpuE9ELNS1_3repE0EEENS1_30default_config_static_selectorELNS0_4arch9wavefront6targetE1EEEvT1_,"axG",@progbits,_ZN7rocprim17ROCPRIM_400000_NS6detail17trampoline_kernelINS0_14default_configENS1_29reduce_by_key_config_selectorIdlN6thrust23THRUST_200600_302600_NS4plusIlEEEEZZNS1_33reduce_by_key_impl_wrapped_configILNS1_25lookback_scan_determinismE0ES3_S9_PdNS6_17constant_iteratorIiNS6_11use_defaultESE_EENS6_10device_ptrIdEENSG_IlEEPmS8_NS6_8equal_toIdEEEE10hipError_tPvRmT2_T3_mT4_T5_T6_T7_T8_P12ihipStream_tbENKUlT_T0_E_clISt17integral_constantIbLb1EES13_EEDaSY_SZ_EUlSY_E_NS1_11comp_targetILNS1_3genE5ELNS1_11target_archE942ELNS1_3gpuE9ELNS1_3repE0EEENS1_30default_config_static_selectorELNS0_4arch9wavefront6targetE1EEEvT1_,comdat
.Lfunc_end1698:
	.size	_ZN7rocprim17ROCPRIM_400000_NS6detail17trampoline_kernelINS0_14default_configENS1_29reduce_by_key_config_selectorIdlN6thrust23THRUST_200600_302600_NS4plusIlEEEEZZNS1_33reduce_by_key_impl_wrapped_configILNS1_25lookback_scan_determinismE0ES3_S9_PdNS6_17constant_iteratorIiNS6_11use_defaultESE_EENS6_10device_ptrIdEENSG_IlEEPmS8_NS6_8equal_toIdEEEE10hipError_tPvRmT2_T3_mT4_T5_T6_T7_T8_P12ihipStream_tbENKUlT_T0_E_clISt17integral_constantIbLb1EES13_EEDaSY_SZ_EUlSY_E_NS1_11comp_targetILNS1_3genE5ELNS1_11target_archE942ELNS1_3gpuE9ELNS1_3repE0EEENS1_30default_config_static_selectorELNS0_4arch9wavefront6targetE1EEEvT1_, .Lfunc_end1698-_ZN7rocprim17ROCPRIM_400000_NS6detail17trampoline_kernelINS0_14default_configENS1_29reduce_by_key_config_selectorIdlN6thrust23THRUST_200600_302600_NS4plusIlEEEEZZNS1_33reduce_by_key_impl_wrapped_configILNS1_25lookback_scan_determinismE0ES3_S9_PdNS6_17constant_iteratorIiNS6_11use_defaultESE_EENS6_10device_ptrIdEENSG_IlEEPmS8_NS6_8equal_toIdEEEE10hipError_tPvRmT2_T3_mT4_T5_T6_T7_T8_P12ihipStream_tbENKUlT_T0_E_clISt17integral_constantIbLb1EES13_EEDaSY_SZ_EUlSY_E_NS1_11comp_targetILNS1_3genE5ELNS1_11target_archE942ELNS1_3gpuE9ELNS1_3repE0EEENS1_30default_config_static_selectorELNS0_4arch9wavefront6targetE1EEEvT1_
                                        ; -- End function
	.section	.AMDGPU.csdata,"",@progbits
; Kernel info:
; codeLenInByte = 0
; NumSgprs: 4
; NumVgprs: 0
; NumAgprs: 0
; TotalNumVgprs: 0
; ScratchSize: 0
; MemoryBound: 0
; FloatMode: 240
; IeeeMode: 1
; LDSByteSize: 0 bytes/workgroup (compile time only)
; SGPRBlocks: 0
; VGPRBlocks: 0
; NumSGPRsForWavesPerEU: 4
; NumVGPRsForWavesPerEU: 1
; AccumOffset: 4
; Occupancy: 8
; WaveLimiterHint : 0
; COMPUTE_PGM_RSRC2:SCRATCH_EN: 0
; COMPUTE_PGM_RSRC2:USER_SGPR: 6
; COMPUTE_PGM_RSRC2:TRAP_HANDLER: 0
; COMPUTE_PGM_RSRC2:TGID_X_EN: 1
; COMPUTE_PGM_RSRC2:TGID_Y_EN: 0
; COMPUTE_PGM_RSRC2:TGID_Z_EN: 0
; COMPUTE_PGM_RSRC2:TIDIG_COMP_CNT: 0
; COMPUTE_PGM_RSRC3_GFX90A:ACCUM_OFFSET: 0
; COMPUTE_PGM_RSRC3_GFX90A:TG_SPLIT: 0
	.section	.text._ZN7rocprim17ROCPRIM_400000_NS6detail17trampoline_kernelINS0_14default_configENS1_29reduce_by_key_config_selectorIdlN6thrust23THRUST_200600_302600_NS4plusIlEEEEZZNS1_33reduce_by_key_impl_wrapped_configILNS1_25lookback_scan_determinismE0ES3_S9_PdNS6_17constant_iteratorIiNS6_11use_defaultESE_EENS6_10device_ptrIdEENSG_IlEEPmS8_NS6_8equal_toIdEEEE10hipError_tPvRmT2_T3_mT4_T5_T6_T7_T8_P12ihipStream_tbENKUlT_T0_E_clISt17integral_constantIbLb1EES13_EEDaSY_SZ_EUlSY_E_NS1_11comp_targetILNS1_3genE4ELNS1_11target_archE910ELNS1_3gpuE8ELNS1_3repE0EEENS1_30default_config_static_selectorELNS0_4arch9wavefront6targetE1EEEvT1_,"axG",@progbits,_ZN7rocprim17ROCPRIM_400000_NS6detail17trampoline_kernelINS0_14default_configENS1_29reduce_by_key_config_selectorIdlN6thrust23THRUST_200600_302600_NS4plusIlEEEEZZNS1_33reduce_by_key_impl_wrapped_configILNS1_25lookback_scan_determinismE0ES3_S9_PdNS6_17constant_iteratorIiNS6_11use_defaultESE_EENS6_10device_ptrIdEENSG_IlEEPmS8_NS6_8equal_toIdEEEE10hipError_tPvRmT2_T3_mT4_T5_T6_T7_T8_P12ihipStream_tbENKUlT_T0_E_clISt17integral_constantIbLb1EES13_EEDaSY_SZ_EUlSY_E_NS1_11comp_targetILNS1_3genE4ELNS1_11target_archE910ELNS1_3gpuE8ELNS1_3repE0EEENS1_30default_config_static_selectorELNS0_4arch9wavefront6targetE1EEEvT1_,comdat
	.protected	_ZN7rocprim17ROCPRIM_400000_NS6detail17trampoline_kernelINS0_14default_configENS1_29reduce_by_key_config_selectorIdlN6thrust23THRUST_200600_302600_NS4plusIlEEEEZZNS1_33reduce_by_key_impl_wrapped_configILNS1_25lookback_scan_determinismE0ES3_S9_PdNS6_17constant_iteratorIiNS6_11use_defaultESE_EENS6_10device_ptrIdEENSG_IlEEPmS8_NS6_8equal_toIdEEEE10hipError_tPvRmT2_T3_mT4_T5_T6_T7_T8_P12ihipStream_tbENKUlT_T0_E_clISt17integral_constantIbLb1EES13_EEDaSY_SZ_EUlSY_E_NS1_11comp_targetILNS1_3genE4ELNS1_11target_archE910ELNS1_3gpuE8ELNS1_3repE0EEENS1_30default_config_static_selectorELNS0_4arch9wavefront6targetE1EEEvT1_ ; -- Begin function _ZN7rocprim17ROCPRIM_400000_NS6detail17trampoline_kernelINS0_14default_configENS1_29reduce_by_key_config_selectorIdlN6thrust23THRUST_200600_302600_NS4plusIlEEEEZZNS1_33reduce_by_key_impl_wrapped_configILNS1_25lookback_scan_determinismE0ES3_S9_PdNS6_17constant_iteratorIiNS6_11use_defaultESE_EENS6_10device_ptrIdEENSG_IlEEPmS8_NS6_8equal_toIdEEEE10hipError_tPvRmT2_T3_mT4_T5_T6_T7_T8_P12ihipStream_tbENKUlT_T0_E_clISt17integral_constantIbLb1EES13_EEDaSY_SZ_EUlSY_E_NS1_11comp_targetILNS1_3genE4ELNS1_11target_archE910ELNS1_3gpuE8ELNS1_3repE0EEENS1_30default_config_static_selectorELNS0_4arch9wavefront6targetE1EEEvT1_
	.globl	_ZN7rocprim17ROCPRIM_400000_NS6detail17trampoline_kernelINS0_14default_configENS1_29reduce_by_key_config_selectorIdlN6thrust23THRUST_200600_302600_NS4plusIlEEEEZZNS1_33reduce_by_key_impl_wrapped_configILNS1_25lookback_scan_determinismE0ES3_S9_PdNS6_17constant_iteratorIiNS6_11use_defaultESE_EENS6_10device_ptrIdEENSG_IlEEPmS8_NS6_8equal_toIdEEEE10hipError_tPvRmT2_T3_mT4_T5_T6_T7_T8_P12ihipStream_tbENKUlT_T0_E_clISt17integral_constantIbLb1EES13_EEDaSY_SZ_EUlSY_E_NS1_11comp_targetILNS1_3genE4ELNS1_11target_archE910ELNS1_3gpuE8ELNS1_3repE0EEENS1_30default_config_static_selectorELNS0_4arch9wavefront6targetE1EEEvT1_
	.p2align	8
	.type	_ZN7rocprim17ROCPRIM_400000_NS6detail17trampoline_kernelINS0_14default_configENS1_29reduce_by_key_config_selectorIdlN6thrust23THRUST_200600_302600_NS4plusIlEEEEZZNS1_33reduce_by_key_impl_wrapped_configILNS1_25lookback_scan_determinismE0ES3_S9_PdNS6_17constant_iteratorIiNS6_11use_defaultESE_EENS6_10device_ptrIdEENSG_IlEEPmS8_NS6_8equal_toIdEEEE10hipError_tPvRmT2_T3_mT4_T5_T6_T7_T8_P12ihipStream_tbENKUlT_T0_E_clISt17integral_constantIbLb1EES13_EEDaSY_SZ_EUlSY_E_NS1_11comp_targetILNS1_3genE4ELNS1_11target_archE910ELNS1_3gpuE8ELNS1_3repE0EEENS1_30default_config_static_selectorELNS0_4arch9wavefront6targetE1EEEvT1_,@function
_ZN7rocprim17ROCPRIM_400000_NS6detail17trampoline_kernelINS0_14default_configENS1_29reduce_by_key_config_selectorIdlN6thrust23THRUST_200600_302600_NS4plusIlEEEEZZNS1_33reduce_by_key_impl_wrapped_configILNS1_25lookback_scan_determinismE0ES3_S9_PdNS6_17constant_iteratorIiNS6_11use_defaultESE_EENS6_10device_ptrIdEENSG_IlEEPmS8_NS6_8equal_toIdEEEE10hipError_tPvRmT2_T3_mT4_T5_T6_T7_T8_P12ihipStream_tbENKUlT_T0_E_clISt17integral_constantIbLb1EES13_EEDaSY_SZ_EUlSY_E_NS1_11comp_targetILNS1_3genE4ELNS1_11target_archE910ELNS1_3gpuE8ELNS1_3repE0EEENS1_30default_config_static_selectorELNS0_4arch9wavefront6targetE1EEEvT1_: ; @_ZN7rocprim17ROCPRIM_400000_NS6detail17trampoline_kernelINS0_14default_configENS1_29reduce_by_key_config_selectorIdlN6thrust23THRUST_200600_302600_NS4plusIlEEEEZZNS1_33reduce_by_key_impl_wrapped_configILNS1_25lookback_scan_determinismE0ES3_S9_PdNS6_17constant_iteratorIiNS6_11use_defaultESE_EENS6_10device_ptrIdEENSG_IlEEPmS8_NS6_8equal_toIdEEEE10hipError_tPvRmT2_T3_mT4_T5_T6_T7_T8_P12ihipStream_tbENKUlT_T0_E_clISt17integral_constantIbLb1EES13_EEDaSY_SZ_EUlSY_E_NS1_11comp_targetILNS1_3genE4ELNS1_11target_archE910ELNS1_3gpuE8ELNS1_3repE0EEENS1_30default_config_static_selectorELNS0_4arch9wavefront6targetE1EEEvT1_
; %bb.0:
	s_load_dwordx4 s[52:55], s[4:5], 0x20
	s_load_dwordx2 s[56:57], s[4:5], 0x30
	s_load_dwordx2 s[30:31], s[4:5], 0x80
	v_cmp_ne_u32_e64 s[2:3], 0, v0
	v_cmp_eq_u32_e64 s[0:1], 0, v0
	s_and_saveexec_b64 s[6:7], s[0:1]
	s_cbranch_execz .LBB1699_4
; %bb.1:
	s_mov_b64 s[10:11], exec
	v_mbcnt_lo_u32_b32 v1, s10, 0
	v_mbcnt_hi_u32_b32 v1, s11, v1
	v_cmp_eq_u32_e32 vcc, 0, v1
                                        ; implicit-def: $vgpr2
	s_and_saveexec_b64 s[8:9], vcc
	s_cbranch_execz .LBB1699_3
; %bb.2:
	s_load_dwordx2 s[12:13], s[4:5], 0x88
	s_bcnt1_i32_b64 s10, s[10:11]
	v_mov_b32_e32 v2, 0
	v_mov_b32_e32 v3, s10
	s_waitcnt lgkmcnt(0)
	global_atomic_add v2, v2, v3, s[12:13] glc
.LBB1699_3:
	s_or_b64 exec, exec, s[8:9]
	s_waitcnt vmcnt(0)
	v_readfirstlane_b32 s8, v2
	v_add_u32_e32 v1, s8, v1
	v_mov_b32_e32 v2, 0
	ds_write_b32 v2, v1
.LBB1699_4:
	s_or_b64 exec, exec, s[6:7]
	s_load_dwordx4 s[8:11], s[4:5], 0x0
	s_load_dword s6, s[4:5], 0x18
	s_load_dwordx16 s[36:51], s[4:5], 0x40
	v_mov_b32_e32 v3, 0
	s_waitcnt lgkmcnt(0)
	s_barrier
	ds_read_b32 v1, v3
	s_mul_i32 s4, s44, s43
	s_mul_hi_u32 s5, s44, s42
	s_add_i32 s4, s5, s4
	s_mul_i32 s5, s45, s42
	s_add_i32 s7, s4, s5
	s_lshl_b64 s[4:5], s[10:11], 3
	s_add_u32 s4, s8, s4
	s_mul_i32 s12, s44, s42
	s_addc_u32 s5, s9, s5
	s_waitcnt lgkmcnt(0)
	v_readfirstlane_b32 s62, v1
	s_add_u32 s34, s12, s62
	s_movk_i32 s8, 0xf00
	s_addc_u32 s35, s7, 0
	v_mul_lo_u32 v2, v1, s8
	s_add_u32 s10, s46, -1
	v_lshlrev_b64 v[2:3], 3, v[2:3]
	s_addc_u32 s11, s47, -1
	v_mov_b32_e32 v1, s5
	v_add_co_u32_e32 v76, vcc, s4, v2
	s_cmp_eq_u64 s[34:35], s[10:11]
	v_addc_co_u32_e32 v77, vcc, v1, v3, vcc
	s_cselect_b64 s[44:45], -1, 0
	s_cmp_lg_u64 s[34:35], s[10:11]
	s_mov_b64 s[8:9], -1
	s_cselect_b64 s[4:5], -1, 0
	s_mul_i32 s33, s10, 0xfffff100
	s_and_b64 vcc, exec, s[44:45]
	s_barrier
	s_cbranch_vccnz .LBB1699_6
; %bb.5:
	v_lshlrev_b32_e32 v38, 3, v0
	v_add_co_u32_e32 v1, vcc, v76, v38
	v_addc_co_u32_e32 v30, vcc, 0, v77, vcc
	v_add_co_u32_e32 v2, vcc, 0x1000, v1
	v_readfirstlane_b32 s8, v76
	v_readfirstlane_b32 s9, v77
	v_addc_co_u32_e32 v3, vcc, 0, v30, vcc
	s_nop 3
	global_load_dwordx2 v[4:5], v38, s[8:9]
	global_load_dwordx2 v[6:7], v38, s[8:9] offset:2048
	global_load_dwordx2 v[8:9], v[2:3], off
	global_load_dwordx2 v[10:11], v[2:3], off offset:2048
	v_add_co_u32_e32 v2, vcc, 0x2000, v1
	v_addc_co_u32_e32 v3, vcc, 0, v30, vcc
	v_add_co_u32_e32 v12, vcc, 0x3000, v1
	v_addc_co_u32_e32 v13, vcc, 0, v30, vcc
	global_load_dwordx2 v[14:15], v[2:3], off
	global_load_dwordx2 v[16:17], v[2:3], off offset:2048
	global_load_dwordx2 v[18:19], v[12:13], off
	global_load_dwordx2 v[20:21], v[12:13], off offset:2048
	v_add_co_u32_e32 v2, vcc, 0x4000, v1
	v_addc_co_u32_e32 v3, vcc, 0, v30, vcc
	v_add_co_u32_e32 v12, vcc, 0x5000, v1
	v_addc_co_u32_e32 v13, vcc, 0, v30, vcc
	global_load_dwordx2 v[22:23], v[2:3], off
	global_load_dwordx2 v[24:25], v[2:3], off offset:2048
	;; [unrolled: 8-line block ×3, first 2 shown]
	global_load_dwordx2 v[34:35], v[12:13], off
	s_movk_i32 s8, 0x70
	v_mad_u32_u24 v1, v0, s8, v38
	s_ashr_i32 s7, s6, 31
	v_pk_mov_b32 v[36:37], s[6:7], s[6:7] op_sel:[0,1]
	s_waitcnt vmcnt(13)
	ds_write2st64_b64 v38, v[4:5], v[6:7] offset1:4
	s_waitcnt vmcnt(11)
	ds_write2st64_b64 v38, v[8:9], v[10:11] offset0:8 offset1:12
	s_waitcnt vmcnt(9)
	ds_write2st64_b64 v38, v[14:15], v[16:17] offset0:16 offset1:20
	;; [unrolled: 2-line block ×6, first 2 shown]
	s_waitcnt vmcnt(0)
	ds_write_b64 v38, v[34:35] offset:28672
	s_waitcnt lgkmcnt(0)
	s_barrier
	ds_read2_b64 v[26:29], v1 offset1:1
	ds_read2_b64 v[22:25], v1 offset0:2 offset1:3
	ds_read2_b64 v[18:21], v1 offset0:4 offset1:5
	;; [unrolled: 1-line block ×6, first 2 shown]
	ds_read_b64 v[74:75], v1 offset:112
	s_waitcnt lgkmcnt(7)
	v_mov_b32_e32 v58, v26
	v_mov_b32_e32 v59, v27
	s_waitcnt lgkmcnt(6)
	v_mov_b32_e32 v60, v22
	v_mov_b32_e32 v61, v23
	;; [unrolled: 3-line block ×7, first 2 shown]
	s_waitcnt lgkmcnt(0)
	s_barrier
	ds_write2st64_b64 v38, v[36:37], v[36:37] offset1:4
	ds_write2st64_b64 v38, v[36:37], v[36:37] offset0:8 offset1:12
	ds_write2st64_b64 v38, v[36:37], v[36:37] offset0:16 offset1:20
	ds_write2st64_b64 v38, v[36:37], v[36:37] offset0:24 offset1:28
	ds_write2st64_b64 v38, v[36:37], v[36:37] offset0:32 offset1:36
	ds_write2st64_b64 v38, v[36:37], v[36:37] offset0:40 offset1:44
	ds_write2st64_b64 v38, v[36:37], v[36:37] offset0:48 offset1:52
	ds_write_b64 v38, v[36:37] offset:28672
	s_waitcnt lgkmcnt(0)
	s_barrier
	s_add_i32 s33, s33, s48
	s_cbranch_execz .LBB1699_7
	s_branch .LBB1699_38
.LBB1699_6:
                                        ; implicit-def: $vgpr74_vgpr75
                                        ; implicit-def: $vgpr2_vgpr3
                                        ; implicit-def: $vgpr6_vgpr7
                                        ; implicit-def: $vgpr10_vgpr11
                                        ; implicit-def: $vgpr14_vgpr15
                                        ; implicit-def: $vgpr18_vgpr19
                                        ; implicit-def: $vgpr22_vgpr23
                                        ; implicit-def: $vgpr26_vgpr27
                                        ; implicit-def: $vgpr1
                                        ; implicit-def: $vgpr66_vgpr67_vgpr68_vgpr69
                                        ; implicit-def: $vgpr62_vgpr63_vgpr64_vgpr65
                                        ; implicit-def: $vgpr58_vgpr59_vgpr60_vgpr61
                                        ; implicit-def: $vgpr70_vgpr71_vgpr72_vgpr73
	s_andn2_b64 vcc, exec, s[8:9]
	s_add_i32 s33, s33, s48
	s_cbranch_vccnz .LBB1699_38
.LBB1699_7:
	v_cmp_gt_u32_e32 vcc, s33, v0
                                        ; implicit-def: $vgpr2_vgpr3
	s_and_saveexec_b64 s[8:9], vcc
	s_cbranch_execz .LBB1699_9
; %bb.8:
	v_lshlrev_b32_e32 v1, 3, v0
	v_readfirstlane_b32 s10, v76
	v_readfirstlane_b32 s11, v77
	s_nop 4
	global_load_dwordx2 v[2:3], v1, s[10:11]
.LBB1699_9:
	s_or_b64 exec, exec, s[8:9]
	v_or_b32_e32 v1, 0x100, v0
	v_cmp_gt_u32_e32 vcc, s33, v1
                                        ; implicit-def: $vgpr4_vgpr5
	s_and_saveexec_b64 s[8:9], vcc
	s_cbranch_execz .LBB1699_11
; %bb.10:
	v_lshlrev_b32_e32 v1, 3, v0
	v_readfirstlane_b32 s10, v76
	v_readfirstlane_b32 s11, v77
	s_nop 4
	global_load_dwordx2 v[4:5], v1, s[10:11] offset:2048
.LBB1699_11:
	s_or_b64 exec, exec, s[8:9]
	v_or_b32_e32 v1, 0x200, v0
	v_cmp_gt_u32_e32 vcc, s33, v1
                                        ; implicit-def: $vgpr6_vgpr7
	s_and_saveexec_b64 s[8:9], vcc
	s_cbranch_execz .LBB1699_13
; %bb.12:
	v_lshlrev_b32_e32 v1, 3, v1
	v_readfirstlane_b32 s10, v76
	v_readfirstlane_b32 s11, v77
	s_nop 4
	global_load_dwordx2 v[6:7], v1, s[10:11]
.LBB1699_13:
	s_or_b64 exec, exec, s[8:9]
	v_or_b32_e32 v1, 0x300, v0
	v_cmp_gt_u32_e32 vcc, s33, v1
                                        ; implicit-def: $vgpr8_vgpr9
	s_and_saveexec_b64 s[8:9], vcc
	s_cbranch_execz .LBB1699_15
; %bb.14:
	v_lshlrev_b32_e32 v1, 3, v1
	v_readfirstlane_b32 s10, v76
	v_readfirstlane_b32 s11, v77
	s_nop 4
	global_load_dwordx2 v[8:9], v1, s[10:11]
.LBB1699_15:
	s_or_b64 exec, exec, s[8:9]
	v_or_b32_e32 v1, 0x400, v0
	v_cmp_gt_u32_e32 vcc, s33, v1
                                        ; implicit-def: $vgpr10_vgpr11
	s_and_saveexec_b64 s[8:9], vcc
	s_cbranch_execz .LBB1699_17
; %bb.16:
	v_lshlrev_b32_e32 v1, 3, v1
	v_readfirstlane_b32 s10, v76
	v_readfirstlane_b32 s11, v77
	s_nop 4
	global_load_dwordx2 v[10:11], v1, s[10:11]
.LBB1699_17:
	s_or_b64 exec, exec, s[8:9]
	v_or_b32_e32 v1, 0x500, v0
	v_cmp_gt_u32_e32 vcc, s33, v1
                                        ; implicit-def: $vgpr12_vgpr13
	s_and_saveexec_b64 s[8:9], vcc
	s_cbranch_execz .LBB1699_19
; %bb.18:
	v_lshlrev_b32_e32 v1, 3, v1
	v_readfirstlane_b32 s10, v76
	v_readfirstlane_b32 s11, v77
	s_nop 4
	global_load_dwordx2 v[12:13], v1, s[10:11]
.LBB1699_19:
	s_or_b64 exec, exec, s[8:9]
	v_or_b32_e32 v1, 0x600, v0
	v_cmp_gt_u32_e32 vcc, s33, v1
                                        ; implicit-def: $vgpr14_vgpr15
	s_and_saveexec_b64 s[8:9], vcc
	s_cbranch_execz .LBB1699_21
; %bb.20:
	v_lshlrev_b32_e32 v1, 3, v1
	v_readfirstlane_b32 s10, v76
	v_readfirstlane_b32 s11, v77
	s_nop 4
	global_load_dwordx2 v[14:15], v1, s[10:11]
.LBB1699_21:
	s_or_b64 exec, exec, s[8:9]
	v_or_b32_e32 v1, 0x700, v0
	v_cmp_gt_u32_e32 vcc, s33, v1
                                        ; implicit-def: $vgpr16_vgpr17
	s_and_saveexec_b64 s[8:9], vcc
	s_cbranch_execz .LBB1699_23
; %bb.22:
	v_lshlrev_b32_e32 v1, 3, v1
	v_readfirstlane_b32 s10, v76
	v_readfirstlane_b32 s11, v77
	s_nop 4
	global_load_dwordx2 v[16:17], v1, s[10:11]
.LBB1699_23:
	s_or_b64 exec, exec, s[8:9]
	v_or_b32_e32 v1, 0x800, v0
	v_cmp_gt_u32_e32 vcc, s33, v1
                                        ; implicit-def: $vgpr18_vgpr19
	s_and_saveexec_b64 s[8:9], vcc
	s_cbranch_execz .LBB1699_25
; %bb.24:
	v_lshlrev_b32_e32 v1, 3, v1
	v_readfirstlane_b32 s10, v76
	v_readfirstlane_b32 s11, v77
	s_nop 4
	global_load_dwordx2 v[18:19], v1, s[10:11]
.LBB1699_25:
	s_or_b64 exec, exec, s[8:9]
	v_or_b32_e32 v1, 0x900, v0
	v_cmp_gt_u32_e32 vcc, s33, v1
                                        ; implicit-def: $vgpr20_vgpr21
	s_and_saveexec_b64 s[8:9], vcc
	s_cbranch_execz .LBB1699_27
; %bb.26:
	v_lshlrev_b32_e32 v1, 3, v1
	v_readfirstlane_b32 s10, v76
	v_readfirstlane_b32 s11, v77
	s_nop 4
	global_load_dwordx2 v[20:21], v1, s[10:11]
.LBB1699_27:
	s_or_b64 exec, exec, s[8:9]
	v_or_b32_e32 v1, 0xa00, v0
	v_cmp_gt_u32_e32 vcc, s33, v1
                                        ; implicit-def: $vgpr22_vgpr23
	s_and_saveexec_b64 s[8:9], vcc
	s_cbranch_execz .LBB1699_29
; %bb.28:
	v_lshlrev_b32_e32 v1, 3, v1
	v_readfirstlane_b32 s10, v76
	v_readfirstlane_b32 s11, v77
	s_nop 4
	global_load_dwordx2 v[22:23], v1, s[10:11]
.LBB1699_29:
	s_or_b64 exec, exec, s[8:9]
	v_or_b32_e32 v1, 0xb00, v0
	v_cmp_gt_u32_e32 vcc, s33, v1
                                        ; implicit-def: $vgpr24_vgpr25
	s_and_saveexec_b64 s[8:9], vcc
	s_cbranch_execz .LBB1699_31
; %bb.30:
	v_lshlrev_b32_e32 v1, 3, v1
	v_readfirstlane_b32 s10, v76
	v_readfirstlane_b32 s11, v77
	s_nop 4
	global_load_dwordx2 v[24:25], v1, s[10:11]
.LBB1699_31:
	s_or_b64 exec, exec, s[8:9]
	v_or_b32_e32 v1, 0xc00, v0
	v_cmp_gt_u32_e32 vcc, s33, v1
                                        ; implicit-def: $vgpr26_vgpr27
	s_and_saveexec_b64 s[8:9], vcc
	s_cbranch_execz .LBB1699_33
; %bb.32:
	v_lshlrev_b32_e32 v1, 3, v1
	v_readfirstlane_b32 s10, v76
	v_readfirstlane_b32 s11, v77
	s_nop 4
	global_load_dwordx2 v[26:27], v1, s[10:11]
.LBB1699_33:
	s_or_b64 exec, exec, s[8:9]
	v_or_b32_e32 v1, 0xd00, v0
	v_cmp_gt_u32_e32 vcc, s33, v1
                                        ; implicit-def: $vgpr28_vgpr29
	s_and_saveexec_b64 s[8:9], vcc
	s_cbranch_execz .LBB1699_35
; %bb.34:
	v_lshlrev_b32_e32 v1, 3, v1
	v_readfirstlane_b32 s10, v76
	v_readfirstlane_b32 s11, v77
	s_nop 4
	global_load_dwordx2 v[28:29], v1, s[10:11]
.LBB1699_35:
	s_or_b64 exec, exec, s[8:9]
	v_or_b32_e32 v1, 0xe00, v0
	v_cmp_gt_u32_e32 vcc, s33, v1
                                        ; implicit-def: $vgpr30_vgpr31
	s_and_saveexec_b64 s[8:9], vcc
	s_cbranch_execz .LBB1699_37
; %bb.36:
	v_lshlrev_b32_e32 v1, 3, v1
	v_readfirstlane_b32 s10, v76
	v_readfirstlane_b32 s11, v77
	s_nop 4
	global_load_dwordx2 v[30:31], v1, s[10:11]
.LBB1699_37:
	s_or_b64 exec, exec, s[8:9]
	v_lshlrev_b32_e32 v32, 3, v0
	s_movk_i32 s7, 0x70
	v_mad_u32_u24 v1, v0, s7, v32
	s_waitcnt vmcnt(0)
	ds_write2st64_b64 v32, v[2:3], v[4:5] offset1:4
	ds_write2st64_b64 v32, v[6:7], v[8:9] offset0:8 offset1:12
	ds_write2st64_b64 v32, v[10:11], v[12:13] offset0:16 offset1:20
	;; [unrolled: 1-line block ×6, first 2 shown]
	ds_write_b64 v32, v[30:31] offset:28672
	s_waitcnt lgkmcnt(0)
	s_barrier
	ds_read2_b64 v[26:29], v1 offset1:1
	ds_read2_b64 v[22:25], v1 offset0:2 offset1:3
	ds_read2_b64 v[18:21], v1 offset0:4 offset1:5
	;; [unrolled: 1-line block ×6, first 2 shown]
	ds_read_b64 v[74:75], v1 offset:112
	s_ashr_i32 s7, s6, 31
	v_pk_mov_b32 v[30:31], s[6:7], s[6:7] op_sel:[0,1]
	s_waitcnt lgkmcnt(7)
	v_mov_b32_e32 v58, v26
	v_mov_b32_e32 v59, v27
	s_waitcnt lgkmcnt(6)
	v_mov_b32_e32 v60, v22
	v_mov_b32_e32 v61, v23
	;; [unrolled: 3-line block ×7, first 2 shown]
	s_waitcnt lgkmcnt(0)
	s_barrier
	ds_write2st64_b64 v32, v[30:31], v[30:31] offset1:4
	ds_write2st64_b64 v32, v[30:31], v[30:31] offset0:8 offset1:12
	ds_write2st64_b64 v32, v[30:31], v[30:31] offset0:16 offset1:20
	;; [unrolled: 1-line block ×6, first 2 shown]
	ds_write_b64 v32, v[30:31] offset:28672
	s_waitcnt lgkmcnt(0)
	s_barrier
.LBB1699_38:
	ds_read2_b64 v[54:57], v1 offset1:1
	ds_read2_b64 v[50:53], v1 offset0:2 offset1:3
	ds_read2_b64 v[46:49], v1 offset0:4 offset1:5
	;; [unrolled: 1-line block ×6, first 2 shown]
	ds_read_b64 v[72:73], v1 offset:112
	s_cmp_eq_u64 s[34:35], 0
	s_cselect_b64 s[46:47], -1, 0
	s_cmp_lg_u64 s[34:35], 0
	s_mov_b64 s[6:7], 0
	s_cselect_b64 s[58:59], -1, 0
	s_and_b64 vcc, exec, s[4:5]
	s_waitcnt lgkmcnt(0)
	s_barrier
	s_cbranch_vccz .LBB1699_44
; %bb.39:
	s_and_b64 vcc, exec, s[58:59]
	s_cbranch_vccz .LBB1699_45
; %bb.40:
	global_load_dwordx2 v[78:79], v[76:77], off offset:-8
	v_lshlrev_b32_e32 v1, 3, v0
	v_cmp_neq_f64_e32 vcc, v[4:5], v[74:75]
	v_cmp_neq_f64_e64 s[4:5], v[2:3], v[4:5]
	v_cmp_neq_f64_e64 s[6:7], v[8:9], v[2:3]
	;; [unrolled: 1-line block ×13, first 2 shown]
	ds_write_b64 v1, v[74:75]
	s_waitcnt lgkmcnt(0)
	s_barrier
	s_and_saveexec_b64 s[60:61], s[2:3]
	s_cbranch_execz .LBB1699_42
; %bb.41:
	v_add_u32_e32 v1, -8, v1
	s_waitcnt vmcnt(0)
	ds_read_b64 v[78:79], v1
.LBB1699_42:
	s_or_b64 exec, exec, s[60:61]
	v_cndmask_b32_e64 v1, 0, 1, vcc
	v_cndmask_b32_e64 v100, 0, 1, s[4:5]
	v_cndmask_b32_e64 v101, 0, 1, s[6:7]
	;; [unrolled: 1-line block ×13, first 2 shown]
	s_waitcnt vmcnt(0) lgkmcnt(0)
	v_cmp_neq_f64_e64 s[4:5], v[78:79], v[26:27]
	s_mov_b64 s[6:7], -1
.LBB1699_43:
                                        ; implicit-def: $sgpr12
	s_branch .LBB1699_57
.LBB1699_44:
                                        ; implicit-def: $sgpr4_sgpr5
                                        ; implicit-def: $vgpr1
                                        ; implicit-def: $vgpr100
                                        ; implicit-def: $vgpr101
                                        ; implicit-def: $vgpr102
                                        ; implicit-def: $vgpr103
                                        ; implicit-def: $vgpr104
                                        ; implicit-def: $vgpr105
                                        ; implicit-def: $vgpr106
                                        ; implicit-def: $vgpr107
                                        ; implicit-def: $vgpr108
                                        ; implicit-def: $vgpr109
                                        ; implicit-def: $vgpr110
                                        ; implicit-def: $vgpr111
                                        ; implicit-def: $vgpr112
                                        ; implicit-def: $sgpr12
	s_cbranch_execnz .LBB1699_49
	s_branch .LBB1699_57
.LBB1699_45:
                                        ; implicit-def: $sgpr4_sgpr5
                                        ; implicit-def: $vgpr1
                                        ; implicit-def: $vgpr100
                                        ; implicit-def: $vgpr101
                                        ; implicit-def: $vgpr102
                                        ; implicit-def: $vgpr103
                                        ; implicit-def: $vgpr104
                                        ; implicit-def: $vgpr105
                                        ; implicit-def: $vgpr106
                                        ; implicit-def: $vgpr107
                                        ; implicit-def: $vgpr108
                                        ; implicit-def: $vgpr109
                                        ; implicit-def: $vgpr110
                                        ; implicit-def: $vgpr111
                                        ; implicit-def: $vgpr112
	s_cbranch_execz .LBB1699_43
; %bb.46:
	v_cmp_neq_f64_e32 vcc, v[28:29], v[58:59]
	v_cndmask_b32_e64 v112, 0, 1, vcc
	v_cmp_neq_f64_e32 vcc, v[28:29], v[60:61]
	v_cndmask_b32_e64 v111, 0, 1, vcc
	;; [unrolled: 2-line block ×13, first 2 shown]
	v_cmp_neq_f64_e32 vcc, v[4:5], v[74:75]
	v_lshlrev_b32_e32 v78, 3, v0
	v_cndmask_b32_e64 v1, 0, 1, vcc
	ds_write_b64 v78, v[74:75]
	s_waitcnt lgkmcnt(0)
	s_barrier
	s_waitcnt lgkmcnt(0)
                                        ; implicit-def: $sgpr4_sgpr5
	s_and_saveexec_b64 s[8:9], s[2:3]
	s_xor_b64 s[8:9], exec, s[8:9]
	s_cbranch_execz .LBB1699_48
; %bb.47:
	v_add_u32_e32 v58, -8, v78
	ds_read_b64 v[58:59], v58
	s_or_b64 s[6:7], s[6:7], exec
	s_waitcnt lgkmcnt(0)
	v_cmp_neq_f64_e32 vcc, v[58:59], v[26:27]
	s_and_b64 s[4:5], vcc, exec
.LBB1699_48:
	s_or_b64 exec, exec, s[8:9]
	s_mov_b32 s12, 1
	s_branch .LBB1699_57
.LBB1699_49:
	s_mul_hi_u32 s5, s34, 0xfffff100
	s_mul_i32 s4, s35, 0xfffff100
	s_sub_i32 s5, s5, s34
	s_add_i32 s5, s5, s4
	s_mul_i32 s4, s34, 0xfffff100
	s_add_u32 s8, s4, s48
	s_addc_u32 s9, s5, s49
	s_and_b64 vcc, exec, s[58:59]
	s_cbranch_vccz .LBB1699_54
; %bb.50:
	global_load_dwordx2 v[58:59], v[76:77], off offset:-8
	v_mad_u32_u24 v62, v0, 15, 14
	v_mov_b32_e32 v63, 0
	v_cmp_gt_u64_e32 vcc, s[8:9], v[62:63]
	v_cmp_neq_f64_e64 s[4:5], v[4:5], v[74:75]
	v_mad_u32_u24 v62, v0, 15, 13
	s_and_b64 s[6:7], vcc, s[4:5]
	v_cmp_gt_u64_e32 vcc, s[8:9], v[62:63]
	v_cmp_neq_f64_e64 s[4:5], v[2:3], v[4:5]
	v_mad_u32_u24 v62, v0, 15, 12
	s_and_b64 s[10:11], vcc, s[4:5]
	;; [unrolled: 4-line block ×13, first 2 shown]
	v_cmp_gt_u64_e32 vcc, s[8:9], v[62:63]
	v_cmp_neq_f64_e64 s[4:5], v[26:27], v[28:29]
	v_lshlrev_b32_e32 v1, 3, v0
	v_mul_u32_u24_e32 v60, 15, v0
	s_and_b64 s[4:5], vcc, s[4:5]
	ds_write_b64 v1, v[74:75]
	s_waitcnt lgkmcnt(0)
	s_barrier
	s_and_saveexec_b64 s[58:59], s[2:3]
	s_cbranch_execz .LBB1699_52
; %bb.51:
	v_add_u32_e32 v1, -8, v1
	s_waitcnt vmcnt(0)
	ds_read_b64 v[58:59], v1
.LBB1699_52:
	s_or_b64 exec, exec, s[58:59]
	v_mov_b32_e32 v61, v63
	v_cndmask_b32_e64 v112, 0, 1, s[4:5]
	v_cmp_gt_u64_e32 vcc, s[8:9], v[60:61]
	s_waitcnt vmcnt(0) lgkmcnt(0)
	v_cmp_neq_f64_e64 s[4:5], v[58:59], v[26:27]
	v_cndmask_b32_e64 v1, 0, 1, s[6:7]
	v_cndmask_b32_e64 v100, 0, 1, s[10:11]
	;; [unrolled: 1-line block ×13, first 2 shown]
	s_and_b64 s[4:5], vcc, s[4:5]
	s_mov_b64 s[6:7], -1
.LBB1699_53:
                                        ; implicit-def: $sgpr12
	v_mov_b32_e32 v113, s12
	s_and_saveexec_b64 s[2:3], s[6:7]
	s_cbranch_execnz .LBB1699_58
	s_branch .LBB1699_59
.LBB1699_54:
                                        ; implicit-def: $sgpr4_sgpr5
                                        ; implicit-def: $vgpr1
                                        ; implicit-def: $vgpr100
                                        ; implicit-def: $vgpr101
                                        ; implicit-def: $vgpr102
                                        ; implicit-def: $vgpr103
                                        ; implicit-def: $vgpr104
                                        ; implicit-def: $vgpr105
                                        ; implicit-def: $vgpr106
                                        ; implicit-def: $vgpr107
                                        ; implicit-def: $vgpr108
                                        ; implicit-def: $vgpr109
                                        ; implicit-def: $vgpr110
                                        ; implicit-def: $vgpr111
                                        ; implicit-def: $vgpr112
	s_cbranch_execz .LBB1699_53
; %bb.55:
	v_mad_u32_u24 v58, v0, 15, 14
	v_mov_b32_e32 v59, 0
	v_cmp_gt_u64_e32 vcc, s[8:9], v[58:59]
	v_cmp_neq_f64_e64 s[4:5], v[4:5], v[74:75]
	s_and_b64 s[4:5], vcc, s[4:5]
	v_mad_u32_u24 v58, v0, 15, 13
	v_cndmask_b32_e64 v1, 0, 1, s[4:5]
	v_cmp_gt_u64_e32 vcc, s[8:9], v[58:59]
	v_cmp_neq_f64_e64 s[4:5], v[2:3], v[4:5]
	s_and_b64 s[4:5], vcc, s[4:5]
	v_mad_u32_u24 v58, v0, 15, 12
	v_cndmask_b32_e64 v100, 0, 1, s[4:5]
	;; [unrolled: 5-line block ×13, first 2 shown]
	v_cmp_gt_u64_e32 vcc, s[8:9], v[58:59]
	v_cmp_neq_f64_e64 s[4:5], v[26:27], v[28:29]
	s_and_b64 s[4:5], vcc, s[4:5]
	v_lshlrev_b32_e32 v60, 3, v0
	s_mov_b32 s12, 1
	v_cndmask_b32_e64 v112, 0, 1, s[4:5]
	ds_write_b64 v60, v[74:75]
	s_waitcnt lgkmcnt(0)
	s_barrier
	s_waitcnt lgkmcnt(0)
                                        ; implicit-def: $sgpr4_sgpr5
	s_and_saveexec_b64 s[10:11], s[2:3]
	s_cbranch_execz .LBB1699_198
; %bb.56:
	v_add_u32_e32 v58, -8, v60
	ds_read_b64 v[60:61], v58
	v_mul_u32_u24_e32 v58, 15, v0
	v_cmp_gt_u64_e32 vcc, s[8:9], v[58:59]
	s_or_b64 s[6:7], s[6:7], exec
	s_waitcnt lgkmcnt(0)
	v_cmp_neq_f64_e64 s[2:3], v[60:61], v[26:27]
	s_and_b64 s[2:3], vcc, s[2:3]
	s_and_b64 s[4:5], s[2:3], exec
	s_or_b64 exec, exec, s[10:11]
.LBB1699_57:
	v_mov_b32_e32 v113, s12
	s_and_saveexec_b64 s[2:3], s[6:7]
.LBB1699_58:
	v_cndmask_b32_e64 v113, 0, 1, s[4:5]
.LBB1699_59:
	s_or_b64 exec, exec, s[2:3]
	s_cmp_eq_u64 s[42:43], 0
	v_add3_u32 v58, v112, v113, v111
	v_mov_b32_e32 v64, v54
	v_mov_b32_e32 v65, v55
	s_cselect_b64 s[34:35], -1, 0
	s_cmp_lg_u32 s62, 0
	v_cmp_eq_u32_e64 s[26:27], 0, v112
	v_cmp_eq_u32_e64 s[24:25], 0, v111
	;; [unrolled: 1-line block ×3, first 2 shown]
	v_add3_u32 v115, v58, v110, v109
	v_cmp_eq_u32_e64 s[20:21], 0, v109
	v_cmp_eq_u32_e64 s[18:19], 0, v108
	;; [unrolled: 1-line block ×10, first 2 shown]
	v_cmp_eq_u32_e32 vcc, 0, v1
	v_mbcnt_lo_u32_b32 v114, -1, 0
	s_cbranch_scc0 .LBB1699_130
; %bb.60:
	v_cndmask_b32_e64 v59, 0, v54, s[26:27]
	v_cndmask_b32_e64 v58, 0, v55, s[26:27]
	v_add_co_u32_e64 v59, s[28:29], v59, v56
	v_addc_co_u32_e64 v58, s[28:29], v58, v57, s[28:29]
	v_cndmask_b32_e64 v59, 0, v59, s[24:25]
	v_cndmask_b32_e64 v58, 0, v58, s[24:25]
	v_add_co_u32_e64 v59, s[28:29], v59, v50
	v_addc_co_u32_e64 v58, s[28:29], v58, v51, s[28:29]
	;; [unrolled: 4-line block ×11, first 2 shown]
	v_cndmask_b32_e64 v59, 0, v59, s[4:5]
	v_add3_u32 v60, v115, v108, v107
	v_cndmask_b32_e64 v58, 0, v58, s[4:5]
	v_add_co_u32_e64 v59, s[28:29], v59, v30
	v_add3_u32 v60, v60, v106, v105
	v_addc_co_u32_e64 v58, s[28:29], v58, v31, s[28:29]
	v_cndmask_b32_e64 v59, 0, v59, s[2:3]
	v_add3_u32 v60, v60, v104, v103
	v_cndmask_b32_e64 v58, 0, v58, s[2:3]
	v_add_co_u32_e64 v59, s[28:29], v59, v32
	v_add3_u32 v60, v60, v102, v101
	v_addc_co_u32_e64 v58, s[28:29], v58, v33, s[28:29]
	v_cndmask_b32_e32 v59, 0, v59, vcc
	v_add3_u32 v62, v60, v100, v1
	v_cndmask_b32_e32 v58, 0, v58, vcc
	v_add_co_u32_e32 v60, vcc, v59, v72
	v_mbcnt_hi_u32_b32 v63, -1, v114
	v_addc_co_u32_e32 v61, vcc, v58, v73, vcc
	v_and_b32_e32 v58, 15, v63
	v_mov_b32_dpp v66, v62 row_shr:1 row_mask:0xf bank_mask:0xf
	v_mov_b32_dpp v59, v60 row_shr:1 row_mask:0xf bank_mask:0xf
	v_mov_b32_dpp v67, v61 row_shr:1 row_mask:0xf bank_mask:0xf
	v_cmp_ne_u32_e32 vcc, 0, v58
	s_and_saveexec_b64 s[28:29], vcc
; %bb.61:
	v_cmp_eq_u32_e32 vcc, 0, v62
	v_cndmask_b32_e32 v59, 0, v59, vcc
	v_add_u32_e32 v66, v66, v62
	v_cndmask_b32_e32 v62, 0, v67, vcc
	v_add_co_u32_e32 v60, vcc, v59, v60
	v_addc_co_u32_e32 v61, vcc, v62, v61, vcc
	v_mov_b32_e32 v62, v66
; %bb.62:
	s_or_b64 exec, exec, s[28:29]
	s_nop 0
	v_mov_b32_dpp v66, v62 row_shr:2 row_mask:0xf bank_mask:0xf
	v_mov_b32_dpp v59, v60 row_shr:2 row_mask:0xf bank_mask:0xf
	v_mov_b32_dpp v67, v61 row_shr:2 row_mask:0xf bank_mask:0xf
	v_cmp_lt_u32_e32 vcc, 1, v58
	s_and_saveexec_b64 s[28:29], vcc
; %bb.63:
	v_cmp_eq_u32_e32 vcc, 0, v62
	v_cndmask_b32_e32 v59, 0, v59, vcc
	v_add_u32_e32 v66, v66, v62
	v_cndmask_b32_e32 v62, 0, v67, vcc
	v_add_co_u32_e32 v60, vcc, v59, v60
	v_addc_co_u32_e32 v61, vcc, v62, v61, vcc
	v_mov_b32_e32 v62, v66
; %bb.64:
	s_or_b64 exec, exec, s[28:29]
	s_nop 0
	v_mov_b32_dpp v66, v62 row_shr:4 row_mask:0xf bank_mask:0xf
	v_mov_b32_dpp v59, v60 row_shr:4 row_mask:0xf bank_mask:0xf
	v_mov_b32_dpp v67, v61 row_shr:4 row_mask:0xf bank_mask:0xf
	v_cmp_lt_u32_e32 vcc, 3, v58
	;; [unrolled: 16-line block ×3, first 2 shown]
	s_and_saveexec_b64 s[28:29], vcc
; %bb.67:
	v_cmp_eq_u32_e32 vcc, 0, v62
	v_cndmask_b32_e32 v59, 0, v59, vcc
	v_add_u32_e32 v58, v66, v62
	v_cndmask_b32_e32 v62, 0, v67, vcc
	v_add_co_u32_e32 v60, vcc, v59, v60
	v_addc_co_u32_e32 v61, vcc, v62, v61, vcc
	v_mov_b32_e32 v62, v58
; %bb.68:
	s_or_b64 exec, exec, s[28:29]
	v_and_b32_e32 v67, 16, v63
	v_mov_b32_dpp v59, v62 row_bcast:15 row_mask:0xf bank_mask:0xf
	v_mov_b32_dpp v58, v60 row_bcast:15 row_mask:0xf bank_mask:0xf
	;; [unrolled: 1-line block ×3, first 2 shown]
	v_cmp_ne_u32_e32 vcc, 0, v67
	s_and_saveexec_b64 s[28:29], vcc
; %bb.69:
	v_cmp_eq_u32_e32 vcc, 0, v62
	v_cndmask_b32_e32 v58, 0, v58, vcc
	v_add_u32_e32 v59, v59, v62
	v_cndmask_b32_e32 v62, 0, v66, vcc
	v_add_co_u32_e32 v60, vcc, v58, v60
	v_addc_co_u32_e32 v61, vcc, v62, v61, vcc
	v_mov_b32_e32 v62, v59
; %bb.70:
	s_or_b64 exec, exec, s[28:29]
	s_nop 0
	v_mov_b32_dpp v59, v62 row_bcast:31 row_mask:0xf bank_mask:0xf
	v_mov_b32_dpp v58, v60 row_bcast:31 row_mask:0xf bank_mask:0xf
	;; [unrolled: 1-line block ×3, first 2 shown]
	v_cmp_lt_u32_e32 vcc, 31, v63
	s_and_saveexec_b64 s[28:29], vcc
; %bb.71:
	v_cmp_eq_u32_e32 vcc, 0, v62
	v_cndmask_b32_e32 v58, 0, v58, vcc
	v_add_u32_e32 v59, v59, v62
	v_cndmask_b32_e32 v62, 0, v66, vcc
	v_add_co_u32_e32 v60, vcc, v58, v60
	v_addc_co_u32_e32 v61, vcc, v62, v61, vcc
	v_mov_b32_e32 v62, v59
; %bb.72:
	s_or_b64 exec, exec, s[28:29]
	v_lshrrev_b32_e32 v58, 6, v0
	v_or_b32_e32 v59, 63, v0
	v_cmp_eq_u32_e32 vcc, v59, v0
	v_lshlrev_b32_e32 v66, 4, v58
	s_and_saveexec_b64 s[28:29], vcc
	s_cbranch_execz .LBB1699_74
; %bb.73:
	ds_write_b32 v66, v62 offset:4128
	ds_write_b64 v66, v[60:61] offset:4136
.LBB1699_74:
	s_or_b64 exec, exec, s[28:29]
	v_cmp_gt_u32_e32 vcc, 4, v0
	s_waitcnt lgkmcnt(0)
	s_barrier
	s_and_saveexec_b64 s[28:29], vcc
	s_cbranch_execz .LBB1699_80
; %bb.75:
	v_lshlrev_b32_e32 v67, 4, v0
	ds_read_b32 v68, v67 offset:4128
	ds_read_b64 v[58:59], v67 offset:4136
	v_and_b32_e32 v69, 3, v63
	v_cmp_ne_u32_e32 vcc, 0, v69
	s_waitcnt lgkmcnt(1)
	v_mov_b32_dpp v71, v68 row_shr:1 row_mask:0xf bank_mask:0xf
	s_waitcnt lgkmcnt(0)
	v_mov_b32_dpp v70, v58 row_shr:1 row_mask:0xf bank_mask:0xf
	v_mov_b32_dpp v76, v59 row_shr:1 row_mask:0xf bank_mask:0xf
	s_and_saveexec_b64 s[42:43], vcc
; %bb.76:
	v_cmp_eq_u32_e32 vcc, 0, v68
	v_cndmask_b32_e32 v70, 0, v70, vcc
	v_add_u32_e32 v71, v71, v68
	v_cndmask_b32_e32 v68, 0, v76, vcc
	v_add_co_u32_e32 v58, vcc, v70, v58
	v_addc_co_u32_e32 v59, vcc, v68, v59, vcc
	v_mov_b32_e32 v68, v71
; %bb.77:
	s_or_b64 exec, exec, s[42:43]
	s_nop 0
	v_mov_b32_dpp v71, v68 row_shr:2 row_mask:0xf bank_mask:0xf
	v_mov_b32_dpp v70, v58 row_shr:2 row_mask:0xf bank_mask:0xf
	;; [unrolled: 1-line block ×3, first 2 shown]
	v_cmp_lt_u32_e32 vcc, 1, v69
	s_and_saveexec_b64 s[42:43], vcc
; %bb.78:
	v_cmp_eq_u32_e32 vcc, 0, v68
	v_cndmask_b32_e32 v70, 0, v70, vcc
	v_add_u32_e32 v69, v71, v68
	v_cndmask_b32_e32 v68, 0, v76, vcc
	v_add_co_u32_e32 v58, vcc, v70, v58
	v_addc_co_u32_e32 v59, vcc, v68, v59, vcc
	v_mov_b32_e32 v68, v69
; %bb.79:
	s_or_b64 exec, exec, s[42:43]
	ds_write_b32 v67, v68 offset:4128
	ds_write_b64 v67, v[58:59] offset:4136
.LBB1699_80:
	s_or_b64 exec, exec, s[28:29]
	v_cmp_gt_u32_e32 vcc, 64, v0
	v_cmp_lt_u32_e64 s[28:29], 63, v0
	v_pk_mov_b32 v[58:59], 0, 0
	v_mov_b32_e32 v76, 0
	s_waitcnt lgkmcnt(0)
	s_barrier
	s_and_saveexec_b64 s[42:43], s[28:29]
	s_cbranch_execz .LBB1699_82
; %bb.81:
	ds_read_b32 v76, v66 offset:4112
	ds_read_b64 v[58:59], v66 offset:4120
	v_cmp_eq_u32_e64 s[28:29], 0, v62
	s_waitcnt lgkmcnt(1)
	v_add_u32_e32 v66, v76, v62
	s_waitcnt lgkmcnt(0)
	v_cndmask_b32_e64 v67, 0, v58, s[28:29]
	v_cndmask_b32_e64 v62, 0, v59, s[28:29]
	v_add_co_u32_e64 v60, s[28:29], v67, v60
	v_addc_co_u32_e64 v61, s[28:29], v62, v61, s[28:29]
	v_mov_b32_e32 v62, v66
.LBB1699_82:
	s_or_b64 exec, exec, s[42:43]
	v_add_u32_e32 v66, -1, v63
	v_and_b32_e32 v67, 64, v63
	v_cmp_lt_i32_e64 s[28:29], v66, v67
	v_cndmask_b32_e64 v66, v66, v63, s[28:29]
	v_lshlrev_b32_e32 v66, 2, v66
	ds_bpermute_b32 v77, v66, v62
	ds_bpermute_b32 v78, v66, v60
	ds_bpermute_b32 v79, v66, v61
	v_cmp_eq_u32_e64 s[28:29], 0, v63
	s_and_saveexec_b64 s[42:43], vcc
	s_cbranch_execz .LBB1699_129
; %bb.83:
	v_mov_b32_e32 v67, 0
	ds_read_b32 v80, v67 offset:4176
	ds_read_b64 v[60:61], v67 offset:4184
	s_and_saveexec_b64 s[48:49], s[28:29]
	s_cbranch_execz .LBB1699_85
; %bb.84:
	s_add_i32 s58, s62, 64
	s_mov_b32 s59, 0
	s_lshl_b64 s[60:61], s[58:59], 4
	s_add_u32 s60, s36, s60
	s_addc_u32 s61, s37, s61
	v_mov_b32_e32 v62, s58
	v_mov_b32_e32 v66, 1
	s_waitcnt lgkmcnt(1)
	global_store_dword v67, v80, s[60:61]
	s_waitcnt lgkmcnt(0)
	global_store_dwordx2 v67, v[60:61], s[60:61] offset:8
	s_waitcnt vmcnt(0)
	buffer_wbinvl1_vol
	global_store_byte v62, v66, s[40:41]
.LBB1699_85:
	s_or_b64 exec, exec, s[48:49]
	v_xad_u32 v62, v63, -1, s62
	v_add_u32_e32 v66, 64, v62
	global_load_ubyte v81, v66, s[40:41] glc
	s_waitcnt vmcnt(0)
	v_cmp_eq_u16_e32 vcc, 0, v81
	s_and_saveexec_b64 s[48:49], vcc
	s_cbranch_execz .LBB1699_91
; %bb.86:
	v_mov_b32_e32 v69, s41
	v_add_co_u32_e32 v68, vcc, s40, v66
	v_addc_co_u32_e32 v69, vcc, 0, v69, vcc
	s_mov_b32 s60, 1
	s_mov_b64 s[58:59], 0
.LBB1699_87:                            ; =>This Loop Header: Depth=1
                                        ;     Child Loop BB1699_88 Depth 2
	s_max_u32 s61, s60, 1
.LBB1699_88:                            ;   Parent Loop BB1699_87 Depth=1
                                        ; =>  This Inner Loop Header: Depth=2
	s_add_i32 s61, s61, -1
	s_cmp_eq_u32 s61, 0
	s_sleep 1
	s_cbranch_scc0 .LBB1699_88
; %bb.89:                               ;   in Loop: Header=BB1699_87 Depth=1
	global_load_ubyte v81, v[68:69], off glc
	s_cmp_lt_u32 s60, 32
	s_cselect_b64 s[64:65], -1, 0
	s_cmp_lg_u64 s[64:65], 0
	s_addc_u32 s60, s60, 0
	s_waitcnt vmcnt(0)
	v_cmp_ne_u16_e32 vcc, 0, v81
	s_or_b64 s[58:59], vcc, s[58:59]
	s_andn2_b64 exec, exec, s[58:59]
	s_cbranch_execnz .LBB1699_87
; %bb.90:
	s_or_b64 exec, exec, s[58:59]
.LBB1699_91:
	s_or_b64 exec, exec, s[48:49]
	v_mov_b32_e32 v68, s39
	v_mov_b32_e32 v69, s37
	v_cmp_eq_u16_e32 vcc, 1, v81
	v_cndmask_b32_e32 v68, v68, v69, vcc
	v_mov_b32_e32 v69, s38
	v_mov_b32_e32 v70, s36
	v_cndmask_b32_e32 v69, v69, v70, vcc
	v_lshlrev_b64 v[66:67], 4, v[66:67]
	v_add_co_u32_e32 v66, vcc, v69, v66
	v_addc_co_u32_e32 v67, vcc, v68, v67, vcc
	s_waitcnt lgkmcnt(0)
	buffer_wbinvl1_vol
	global_load_dword v96, v[66:67], off
	global_load_dwordx2 v[70:71], v[66:67], off offset:8
	v_cmp_eq_u16_e32 vcc, 2, v81
	v_lshlrev_b64 v[66:67], v63, -1
	v_and_b32_e32 v82, 63, v63
	v_and_b32_e32 v68, vcc_hi, v67
	v_and_b32_e32 v86, vcc_lo, v66
	v_cmp_ne_u32_e32 vcc, 63, v82
	v_addc_co_u32_e32 v69, vcc, 0, v63, vcc
	v_lshlrev_b32_e32 v83, 2, v69
	v_or_b32_e32 v68, 0x80000000, v68
	v_ffbl_b32_e32 v68, v68
	v_add_u32_e32 v68, 32, v68
	v_ffbl_b32_e32 v86, v86
	v_min_u32_e32 v68, v86, v68
	v_cmp_lt_u32_e32 vcc, v82, v68
	s_waitcnt vmcnt(1)
	ds_bpermute_b32 v84, v83, v96
	s_waitcnt vmcnt(0)
	ds_bpermute_b32 v69, v83, v70
	ds_bpermute_b32 v85, v83, v71
	s_and_saveexec_b64 s[48:49], vcc
	s_cbranch_execz .LBB1699_93
; %bb.92:
	v_cmp_eq_u32_e32 vcc, 0, v96
	s_waitcnt lgkmcnt(1)
	v_cndmask_b32_e32 v69, 0, v69, vcc
	v_add_u32_e32 v84, v84, v96
	s_waitcnt lgkmcnt(0)
	v_cndmask_b32_e32 v85, 0, v85, vcc
	v_add_co_u32_e32 v70, vcc, v69, v70
	v_addc_co_u32_e32 v71, vcc, v85, v71, vcc
	v_mov_b32_e32 v96, v84
.LBB1699_93:
	s_or_b64 exec, exec, s[48:49]
	v_cmp_gt_u32_e32 vcc, 62, v82
	s_waitcnt lgkmcnt(1)
	v_cndmask_b32_e64 v69, 0, 1, vcc
	v_lshlrev_b32_e32 v69, 1, v69
	v_add_lshl_u32 v84, v69, v63, 2
	ds_bpermute_b32 v86, v84, v96
	ds_bpermute_b32 v69, v84, v70
	ds_bpermute_b32 v87, v84, v71
	s_waitcnt lgkmcnt(3)
	v_add_u32_e32 v85, 2, v82
	v_cmp_le_u32_e32 vcc, v85, v68
	s_and_saveexec_b64 s[48:49], vcc
	s_cbranch_execz .LBB1699_95
; %bb.94:
	v_cmp_eq_u32_e32 vcc, 0, v96
	s_waitcnt lgkmcnt(1)
	v_cndmask_b32_e32 v69, 0, v69, vcc
	v_add_u32_e32 v86, v86, v96
	s_waitcnt lgkmcnt(0)
	v_cndmask_b32_e32 v87, 0, v87, vcc
	v_add_co_u32_e32 v70, vcc, v69, v70
	v_addc_co_u32_e32 v71, vcc, v87, v71, vcc
	v_mov_b32_e32 v96, v86
.LBB1699_95:
	s_or_b64 exec, exec, s[48:49]
	v_cmp_gt_u32_e32 vcc, 60, v82
	s_waitcnt lgkmcnt(1)
	v_cndmask_b32_e64 v69, 0, 1, vcc
	v_lshlrev_b32_e32 v69, 2, v69
	v_add_lshl_u32 v86, v69, v63, 2
	ds_bpermute_b32 v88, v86, v96
	ds_bpermute_b32 v69, v86, v70
	ds_bpermute_b32 v89, v86, v71
	s_waitcnt lgkmcnt(3)
	v_add_u32_e32 v87, 4, v82
	v_cmp_le_u32_e32 vcc, v87, v68
	;; [unrolled: 25-line block ×4, first 2 shown]
	s_and_saveexec_b64 s[48:49], vcc
	s_cbranch_execz .LBB1699_101
; %bb.100:
	v_cmp_eq_u32_e32 vcc, 0, v96
	s_waitcnt lgkmcnt(1)
	v_cndmask_b32_e32 v69, 0, v69, vcc
	v_add_u32_e32 v92, v92, v96
	s_waitcnt lgkmcnt(0)
	v_cndmask_b32_e32 v93, 0, v93, vcc
	v_add_co_u32_e32 v70, vcc, v69, v70
	v_addc_co_u32_e32 v71, vcc, v93, v71, vcc
	v_mov_b32_e32 v96, v92
.LBB1699_101:
	s_or_b64 exec, exec, s[48:49]
	v_cmp_gt_u32_e32 vcc, 32, v82
	s_waitcnt lgkmcnt(1)
	v_cndmask_b32_e64 v69, 0, 1, vcc
	v_lshlrev_b32_e32 v69, 5, v69
	v_add_lshl_u32 v92, v69, v63, 2
	ds_bpermute_b32 v69, v92, v96
	ds_bpermute_b32 v63, v92, v70
	s_waitcnt lgkmcnt(2)
	ds_bpermute_b32 v93, v92, v71
	v_add_u32_e32 v94, 32, v82
	v_cmp_le_u32_e32 vcc, v94, v68
	s_and_saveexec_b64 s[48:49], vcc
	s_cbranch_execz .LBB1699_103
; %bb.102:
	v_cmp_eq_u32_e32 vcc, 0, v96
	s_waitcnt lgkmcnt(1)
	v_cndmask_b32_e32 v63, 0, v63, vcc
	v_add_u32_e32 v68, v69, v96
	s_waitcnt lgkmcnt(0)
	v_cndmask_b32_e32 v69, 0, v93, vcc
	v_add_co_u32_e32 v70, vcc, v63, v70
	v_addc_co_u32_e32 v71, vcc, v69, v71, vcc
	v_mov_b32_e32 v96, v68
.LBB1699_103:
	s_or_b64 exec, exec, s[48:49]
	s_waitcnt lgkmcnt(1)
	v_mov_b32_e32 v63, 0
	v_mov_b32_e32 v95, 2
	s_branch .LBB1699_105
.LBB1699_104:                           ;   in Loop: Header=BB1699_105 Depth=1
	s_or_b64 exec, exec, s[48:49]
	v_cmp_eq_u32_e32 vcc, 0, v93
	v_cndmask_b32_e32 v70, 0, v70, vcc
	v_cndmask_b32_e32 v71, 0, v71, vcc
	v_add_co_u32_e32 v70, vcc, v70, v68
	v_subrev_u32_e32 v62, 64, v62
	v_add_u32_e32 v96, v97, v93
	v_addc_co_u32_e32 v71, vcc, v71, v69, vcc
.LBB1699_105:                           ; =>This Loop Header: Depth=1
                                        ;     Child Loop BB1699_108 Depth 2
                                        ;       Child Loop BB1699_109 Depth 3
	v_cmp_ne_u16_sdwa s[48:49], v81, v95 src0_sel:BYTE_0 src1_sel:DWORD
	v_pk_mov_b32 v[68:69], v[70:71], v[70:71] op_sel:[0,1]
	v_cndmask_b32_e64 v70, 0, 1, s[48:49]
	;;#ASMSTART
	;;#ASMEND
	v_cmp_ne_u32_e32 vcc, 0, v70
	s_cmp_lg_u64 vcc, exec
	s_waitcnt lgkmcnt(0)
	v_mov_b32_e32 v93, v96
	s_cbranch_scc1 .LBB1699_124
; %bb.106:                              ;   in Loop: Header=BB1699_105 Depth=1
	global_load_ubyte v81, v62, s[40:41] glc
	s_waitcnt vmcnt(0)
	v_cmp_eq_u16_e32 vcc, 0, v81
	s_and_saveexec_b64 s[48:49], vcc
	s_cbranch_execz .LBB1699_112
; %bb.107:                              ;   in Loop: Header=BB1699_105 Depth=1
	v_mov_b32_e32 v71, s41
	v_add_co_u32_e32 v70, vcc, s40, v62
	v_addc_co_u32_e32 v71, vcc, 0, v71, vcc
	s_mov_b32 s60, 1
	s_mov_b64 s[58:59], 0
.LBB1699_108:                           ;   Parent Loop BB1699_105 Depth=1
                                        ; =>  This Loop Header: Depth=2
                                        ;       Child Loop BB1699_109 Depth 3
	s_max_u32 s61, s60, 1
.LBB1699_109:                           ;   Parent Loop BB1699_105 Depth=1
                                        ;     Parent Loop BB1699_108 Depth=2
                                        ; =>    This Inner Loop Header: Depth=3
	s_add_i32 s61, s61, -1
	s_cmp_eq_u32 s61, 0
	s_sleep 1
	s_cbranch_scc0 .LBB1699_109
; %bb.110:                              ;   in Loop: Header=BB1699_108 Depth=2
	global_load_ubyte v81, v[70:71], off glc
	s_cmp_lt_u32 s60, 32
	s_cselect_b64 s[64:65], -1, 0
	s_cmp_lg_u64 s[64:65], 0
	s_addc_u32 s60, s60, 0
	s_waitcnt vmcnt(0)
	v_cmp_ne_u16_e32 vcc, 0, v81
	s_or_b64 s[58:59], vcc, s[58:59]
	s_andn2_b64 exec, exec, s[58:59]
	s_cbranch_execnz .LBB1699_108
; %bb.111:                              ;   in Loop: Header=BB1699_105 Depth=1
	s_or_b64 exec, exec, s[58:59]
.LBB1699_112:                           ;   in Loop: Header=BB1699_105 Depth=1
	s_or_b64 exec, exec, s[48:49]
	v_mov_b32_e32 v70, s39
	v_mov_b32_e32 v71, s37
	v_cmp_eq_u16_e32 vcc, 1, v81
	v_cndmask_b32_e32 v96, v70, v71, vcc
	v_mov_b32_e32 v70, s38
	v_mov_b32_e32 v71, s36
	v_cndmask_b32_e32 v97, v70, v71, vcc
	v_lshlrev_b64 v[70:71], 4, v[62:63]
	v_add_co_u32_e32 v70, vcc, v97, v70
	v_addc_co_u32_e32 v71, vcc, v96, v71, vcc
	buffer_wbinvl1_vol
	global_load_dword v97, v[70:71], off
	s_nop 0
	global_load_dwordx2 v[70:71], v[70:71], off offset:8
	v_cmp_eq_u16_e32 vcc, 2, v81
	v_and_b32_e32 v96, vcc_hi, v67
	v_or_b32_e32 v96, 0x80000000, v96
	v_and_b32_e32 v117, vcc_lo, v66
	v_ffbl_b32_e32 v96, v96
	v_add_u32_e32 v96, 32, v96
	v_ffbl_b32_e32 v117, v117
	v_min_u32_e32 v96, v117, v96
	v_cmp_lt_u32_e32 vcc, v82, v96
	s_waitcnt vmcnt(1)
	ds_bpermute_b32 v99, v83, v97
	s_waitcnt vmcnt(0)
	ds_bpermute_b32 v98, v83, v70
	ds_bpermute_b32 v116, v83, v71
	s_and_saveexec_b64 s[48:49], vcc
	s_cbranch_execz .LBB1699_114
; %bb.113:                              ;   in Loop: Header=BB1699_105 Depth=1
	v_cmp_eq_u32_e32 vcc, 0, v97
	s_waitcnt lgkmcnt(1)
	v_cndmask_b32_e32 v98, 0, v98, vcc
	v_add_u32_e32 v99, v99, v97
	s_waitcnt lgkmcnt(0)
	v_cndmask_b32_e32 v97, 0, v116, vcc
	v_add_co_u32_e32 v70, vcc, v98, v70
	v_addc_co_u32_e32 v71, vcc, v97, v71, vcc
	v_mov_b32_e32 v97, v99
.LBB1699_114:                           ;   in Loop: Header=BB1699_105 Depth=1
	s_or_b64 exec, exec, s[48:49]
	s_waitcnt lgkmcnt(2)
	ds_bpermute_b32 v99, v84, v97
	s_waitcnt lgkmcnt(2)
	ds_bpermute_b32 v98, v84, v70
	s_waitcnt lgkmcnt(2)
	ds_bpermute_b32 v116, v84, v71
	v_cmp_le_u32_e32 vcc, v85, v96
	s_and_saveexec_b64 s[48:49], vcc
	s_cbranch_execz .LBB1699_116
; %bb.115:                              ;   in Loop: Header=BB1699_105 Depth=1
	v_cmp_eq_u32_e32 vcc, 0, v97
	s_waitcnt lgkmcnt(1)
	v_cndmask_b32_e32 v98, 0, v98, vcc
	v_add_u32_e32 v99, v99, v97
	s_waitcnt lgkmcnt(0)
	v_cndmask_b32_e32 v97, 0, v116, vcc
	v_add_co_u32_e32 v70, vcc, v98, v70
	v_addc_co_u32_e32 v71, vcc, v97, v71, vcc
	v_mov_b32_e32 v97, v99
.LBB1699_116:                           ;   in Loop: Header=BB1699_105 Depth=1
	s_or_b64 exec, exec, s[48:49]
	s_waitcnt lgkmcnt(2)
	ds_bpermute_b32 v99, v86, v97
	s_waitcnt lgkmcnt(2)
	ds_bpermute_b32 v98, v86, v70
	s_waitcnt lgkmcnt(2)
	ds_bpermute_b32 v116, v86, v71
	v_cmp_le_u32_e32 vcc, v87, v96
	;; [unrolled: 21-line block ×5, first 2 shown]
	s_and_saveexec_b64 s[48:49], vcc
	s_cbranch_execz .LBB1699_104
; %bb.123:                              ;   in Loop: Header=BB1699_105 Depth=1
	v_cmp_eq_u32_e32 vcc, 0, v97
	s_waitcnt lgkmcnt(1)
	v_cndmask_b32_e32 v98, 0, v98, vcc
	v_add_u32_e32 v96, v99, v97
	s_waitcnt lgkmcnt(0)
	v_cndmask_b32_e32 v97, 0, v116, vcc
	v_add_co_u32_e32 v70, vcc, v98, v70
	v_addc_co_u32_e32 v71, vcc, v97, v71, vcc
	v_mov_b32_e32 v97, v96
	s_branch .LBB1699_104
.LBB1699_124:                           ;   in Loop: Header=BB1699_105 Depth=1
                                        ; implicit-def: $vgpr70_vgpr71
                                        ; implicit-def: $vgpr96
                                        ; implicit-def: $vgpr81
	s_cbranch_execz .LBB1699_105
; %bb.125:
	s_and_saveexec_b64 s[36:37], s[28:29]
	s_cbranch_execz .LBB1699_127
; %bb.126:
	s_mov_b32 s49, 0
	v_cmp_eq_u32_e32 vcc, 0, v80
	s_add_i32 s48, s62, 64
	v_cndmask_b32_e32 v62, 0, v68, vcc
	s_lshl_b64 s[58:59], s[48:49], 4
	v_cndmask_b32_e32 v63, 0, v69, vcc
	v_add_co_u32_e32 v62, vcc, v62, v60
	s_add_u32 s58, s38, s58
	v_add_u32_e32 v66, v93, v80
	v_addc_co_u32_e32 v63, vcc, v63, v61, vcc
	s_addc_u32 s59, s39, s59
	v_mov_b32_e32 v67, 0
	global_store_dword v67, v66, s[58:59]
	global_store_dwordx2 v67, v[62:63], s[58:59] offset:8
	v_mov_b32_e32 v62, s48
	v_mov_b32_e32 v63, 2
	s_waitcnt vmcnt(0) lgkmcnt(0)
	buffer_wbinvl1_vol
	global_store_byte v62, v63, s[40:41]
	ds_write_b32 v67, v80 offset:4096
	ds_write_b64 v67, v[60:61] offset:4104
	ds_write_b32 v67, v93 offset:4112
	ds_write_b64 v67, v[68:69] offset:4120
.LBB1699_127:
	s_or_b64 exec, exec, s[36:37]
	s_and_b64 exec, exec, s[0:1]
	s_cbranch_execz .LBB1699_129
; %bb.128:
	v_mov_b32_e32 v60, 0
	ds_write_b32 v60, v93 offset:4176
	ds_write_b64 v60, v[68:69] offset:4184
.LBB1699_129:
	s_or_b64 exec, exec, s[42:43]
	v_mov_b32_e32 v63, 0
	s_waitcnt lgkmcnt(0)
	s_barrier
	ds_read_b32 v62, v63 offset:4176
	ds_read_b64 v[60:61], v63 offset:4184
	v_cndmask_b32_e64 v66, v77, v76, s[28:29]
	v_cmp_eq_u32_e32 vcc, 0, v66
	v_cndmask_b32_e64 v58, v78, v58, s[28:29]
	v_cndmask_b32_e64 v59, v79, v59, s[28:29]
	s_waitcnt lgkmcnt(0)
	v_cndmask_b32_e32 v68, 0, v60, vcc
	v_cndmask_b32_e32 v67, 0, v61, vcc
	v_add_co_u32_e32 v58, vcc, v68, v58
	v_addc_co_u32_e32 v67, vcc, v67, v59, vcc
	v_cndmask_b32_e64 v94, v58, v60, s[0:1]
	v_cmp_eq_u32_e32 vcc, 0, v113
	v_cndmask_b32_e64 v95, v67, v61, s[0:1]
	v_cndmask_b32_e32 v60, 0, v94, vcc
	v_cndmask_b32_e64 v59, v66, 0, s[0:1]
	v_cndmask_b32_e32 v58, 0, v95, vcc
	v_add_co_u32_e32 v66, vcc, v60, v54
	v_addc_co_u32_e32 v67, vcc, v58, v55, vcc
	v_cndmask_b32_e64 v60, 0, v66, s[26:27]
	v_cndmask_b32_e64 v58, 0, v67, s[26:27]
	v_add_co_u32_e32 v68, vcc, v60, v56
	v_addc_co_u32_e32 v69, vcc, v58, v57, vcc
	v_cndmask_b32_e64 v60, 0, v68, s[24:25]
	v_cndmask_b32_e64 v58, 0, v69, s[24:25]
	;; [unrolled: 4-line block ×11, first 2 shown]
	v_add_co_u32_e32 v92, vcc, v60, v36
	v_add_u32_e32 v59, v62, v59
	v_addc_co_u32_e32 v93, vcc, v58, v37, vcc
	s_barrier
	ds_read_b32 v58, v63 offset:4096
	ds_read_b64 v[60:61], v63 offset:4104
	ds_read_b32 v62, v63 offset:4112
	ds_read_b64 v[116:117], v63 offset:4120
	v_cndmask_b32_e64 v96, 0, v92, s[4:5]
	v_cndmask_b32_e64 v97, 0, v93, s[4:5]
	v_add_co_u32_e32 v96, vcc, v96, v30
	v_addc_co_u32_e32 v97, vcc, v97, v31, vcc
	s_waitcnt lgkmcnt(3)
	v_cmp_eq_u32_e32 vcc, 0, v58
	s_waitcnt lgkmcnt(0)
	v_cndmask_b32_e32 v116, 0, v116, vcc
	v_cndmask_b32_e32 v63, 0, v117, vcc
	v_add_co_u32_e32 v60, vcc, v116, v60
	v_cndmask_b32_e64 v99, 0, v97, s[2:3]
	v_cndmask_b32_e64 v98, 0, v96, s[2:3]
	v_addc_co_u32_e32 v61, vcc, v63, v61, vcc
	s_branch .LBB1699_158
.LBB1699_130:
                                        ; implicit-def: $vgpr58
                                        ; implicit-def: $vgpr60_vgpr61
                                        ; implicit-def: $vgpr62
                                        ; implicit-def: $vgpr94_vgpr95
                                        ; implicit-def: $vgpr66_vgpr67
                                        ; implicit-def: $vgpr68_vgpr69
                                        ; implicit-def: $vgpr70_vgpr71
                                        ; implicit-def: $vgpr76_vgpr77
                                        ; implicit-def: $vgpr78_vgpr79
                                        ; implicit-def: $vgpr80_vgpr81
                                        ; implicit-def: $vgpr82_vgpr83
                                        ; implicit-def: $vgpr84_vgpr85
                                        ; implicit-def: $vgpr86_vgpr87
                                        ; implicit-def: $vgpr88_vgpr89
                                        ; implicit-def: $vgpr90_vgpr91
                                        ; implicit-def: $vgpr92_vgpr93
                                        ; implicit-def: $vgpr96_vgpr97
                                        ; implicit-def: $vgpr98_vgpr99
                                        ; implicit-def: $vgpr59
	s_cbranch_execz .LBB1699_158
; %bb.131:
	s_and_b64 s[2:3], s[34:35], exec
	s_cselect_b32 s3, 0, s31
	s_cselect_b32 s2, 0, s30
	s_cmp_eq_u64 s[2:3], 0
	s_cbranch_scc1 .LBB1699_133
; %bb.132:
	v_mov_b32_e32 v58, 0
	global_load_dwordx2 v[64:65], v58, s[2:3]
.LBB1699_133:
	v_cmp_eq_u32_e64 s[24:25], 0, v112
	v_cndmask_b32_e64 v59, 0, v54, s[24:25]
	v_cndmask_b32_e64 v58, 0, v55, s[24:25]
	v_add_co_u32_e32 v59, vcc, v59, v56
	v_cmp_eq_u32_e64 s[22:23], 0, v111
	v_addc_co_u32_e32 v58, vcc, v58, v57, vcc
	v_cndmask_b32_e64 v59, 0, v59, s[22:23]
	v_cndmask_b32_e64 v58, 0, v58, s[22:23]
	v_add_co_u32_e32 v59, vcc, v59, v50
	v_cmp_eq_u32_e64 s[20:21], 0, v110
	v_addc_co_u32_e32 v58, vcc, v58, v51, vcc
	;; [unrolled: 5-line block ×11, first 2 shown]
	v_cndmask_b32_e64 v59, 0, v59, s[4:5]
	v_cndmask_b32_e64 v58, 0, v58, s[4:5]
	v_add_co_u32_e32 v59, vcc, v59, v30
	v_addc_co_u32_e32 v58, vcc, v58, v31, vcc
	v_cmp_eq_u32_e32 vcc, 0, v100
	v_add3_u32 v60, v115, v108, v107
	v_cndmask_b32_e32 v59, 0, v59, vcc
	v_add3_u32 v60, v60, v106, v105
	v_cndmask_b32_e32 v58, 0, v58, vcc
	v_add_co_u32_e64 v59, s[26:27], v59, v32
	v_add3_u32 v60, v60, v104, v103
	v_addc_co_u32_e64 v58, s[26:27], v58, v33, s[26:27]
	v_add3_u32 v60, v60, v102, v101
	v_cmp_eq_u32_e64 s[26:27], 0, v1
	v_add3_u32 v63, v60, v100, v1
	v_cndmask_b32_e64 v60, 0, v58, s[26:27]
	v_cndmask_b32_e64 v58, 0, v59, s[26:27]
	v_add_co_u32_e64 v58, s[26:27], v58, v72
	v_mbcnt_hi_u32_b32 v62, -1, v114
	v_addc_co_u32_e64 v59, s[26:27], v60, v73, s[26:27]
	v_and_b32_e32 v60, 15, v62
	v_mov_b32_dpp v66, v63 row_shr:1 row_mask:0xf bank_mask:0xf
	v_mov_b32_dpp v61, v58 row_shr:1 row_mask:0xf bank_mask:0xf
	;; [unrolled: 1-line block ×3, first 2 shown]
	v_cmp_ne_u32_e64 s[26:27], 0, v60
	s_and_saveexec_b64 s[28:29], s[26:27]
; %bb.134:
	v_cmp_eq_u32_e64 s[26:27], 0, v63
	v_cndmask_b32_e64 v61, 0, v61, s[26:27]
	v_add_u32_e32 v66, v66, v63
	v_cndmask_b32_e64 v63, 0, v67, s[26:27]
	v_add_co_u32_e64 v58, s[26:27], v61, v58
	v_addc_co_u32_e64 v59, s[26:27], v63, v59, s[26:27]
	v_mov_b32_e32 v63, v66
; %bb.135:
	s_or_b64 exec, exec, s[28:29]
	s_nop 0
	v_mov_b32_dpp v66, v63 row_shr:2 row_mask:0xf bank_mask:0xf
	v_mov_b32_dpp v61, v58 row_shr:2 row_mask:0xf bank_mask:0xf
	v_mov_b32_dpp v67, v59 row_shr:2 row_mask:0xf bank_mask:0xf
	v_cmp_lt_u32_e64 s[26:27], 1, v60
	s_and_saveexec_b64 s[28:29], s[26:27]
; %bb.136:
	v_cmp_eq_u32_e64 s[26:27], 0, v63
	v_cndmask_b32_e64 v61, 0, v61, s[26:27]
	v_add_u32_e32 v66, v66, v63
	v_cndmask_b32_e64 v63, 0, v67, s[26:27]
	v_add_co_u32_e64 v58, s[26:27], v61, v58
	v_addc_co_u32_e64 v59, s[26:27], v63, v59, s[26:27]
	v_mov_b32_e32 v63, v66
; %bb.137:
	s_or_b64 exec, exec, s[28:29]
	s_nop 0
	v_mov_b32_dpp v66, v63 row_shr:4 row_mask:0xf bank_mask:0xf
	v_mov_b32_dpp v61, v58 row_shr:4 row_mask:0xf bank_mask:0xf
	v_mov_b32_dpp v67, v59 row_shr:4 row_mask:0xf bank_mask:0xf
	v_cmp_lt_u32_e64 s[26:27], 3, v60
	;; [unrolled: 16-line block ×3, first 2 shown]
	s_and_saveexec_b64 s[28:29], s[26:27]
; %bb.140:
	v_cmp_eq_u32_e64 s[26:27], 0, v63
	v_cndmask_b32_e64 v61, 0, v61, s[26:27]
	v_add_u32_e32 v60, v66, v63
	v_cndmask_b32_e64 v63, 0, v67, s[26:27]
	v_add_co_u32_e64 v58, s[26:27], v61, v58
	v_addc_co_u32_e64 v59, s[26:27], v63, v59, s[26:27]
	v_mov_b32_e32 v63, v60
; %bb.141:
	s_or_b64 exec, exec, s[28:29]
	v_and_b32_e32 v67, 16, v62
	v_mov_b32_dpp v61, v63 row_bcast:15 row_mask:0xf bank_mask:0xf
	v_mov_b32_dpp v60, v58 row_bcast:15 row_mask:0xf bank_mask:0xf
	;; [unrolled: 1-line block ×3, first 2 shown]
	v_cmp_ne_u32_e64 s[26:27], 0, v67
	s_and_saveexec_b64 s[28:29], s[26:27]
; %bb.142:
	v_cmp_eq_u32_e64 s[26:27], 0, v63
	v_cndmask_b32_e64 v60, 0, v60, s[26:27]
	v_add_u32_e32 v61, v61, v63
	v_cndmask_b32_e64 v63, 0, v66, s[26:27]
	v_add_co_u32_e64 v58, s[26:27], v60, v58
	v_addc_co_u32_e64 v59, s[26:27], v63, v59, s[26:27]
	v_mov_b32_e32 v63, v61
; %bb.143:
	s_or_b64 exec, exec, s[28:29]
	s_nop 0
	v_mov_b32_dpp v61, v63 row_bcast:31 row_mask:0xf bank_mask:0xf
	v_mov_b32_dpp v60, v58 row_bcast:31 row_mask:0xf bank_mask:0xf
	;; [unrolled: 1-line block ×3, first 2 shown]
	v_cmp_lt_u32_e64 s[26:27], 31, v62
	s_and_saveexec_b64 s[28:29], s[26:27]
; %bb.144:
	v_cmp_eq_u32_e64 s[26:27], 0, v63
	v_cndmask_b32_e64 v60, 0, v60, s[26:27]
	v_add_u32_e32 v61, v61, v63
	v_cndmask_b32_e64 v63, 0, v66, s[26:27]
	v_add_co_u32_e64 v58, s[26:27], v60, v58
	v_addc_co_u32_e64 v59, s[26:27], v63, v59, s[26:27]
	v_mov_b32_e32 v63, v61
; %bb.145:
	s_or_b64 exec, exec, s[28:29]
	v_or_b32_e32 v60, 63, v0
	v_lshrrev_b32_e32 v66, 6, v0
	v_cmp_eq_u32_e64 s[26:27], v60, v0
	s_and_saveexec_b64 s[28:29], s[26:27]
	s_cbranch_execz .LBB1699_147
; %bb.146:
	v_lshlrev_b32_e32 v60, 4, v66
	ds_write_b32 v60, v63 offset:4128
	ds_write_b64 v60, v[58:59] offset:4136
.LBB1699_147:
	s_or_b64 exec, exec, s[28:29]
	v_cmp_gt_u32_e64 s[26:27], 4, v0
	s_waitcnt lgkmcnt(0)
	s_barrier
	s_and_saveexec_b64 s[28:29], s[26:27]
	s_cbranch_execz .LBB1699_153
; %bb.148:
	v_lshlrev_b32_e32 v67, 4, v0
	ds_read_b32 v68, v67 offset:4128
	ds_read_b64 v[60:61], v67 offset:4136
	v_and_b32_e32 v69, 3, v62
	v_cmp_ne_u32_e64 s[26:27], 0, v69
	s_waitcnt lgkmcnt(1)
	v_mov_b32_dpp v71, v68 row_shr:1 row_mask:0xf bank_mask:0xf
	s_waitcnt lgkmcnt(0)
	v_mov_b32_dpp v70, v60 row_shr:1 row_mask:0xf bank_mask:0xf
	v_mov_b32_dpp v72, v61 row_shr:1 row_mask:0xf bank_mask:0xf
	s_and_saveexec_b64 s[30:31], s[26:27]
; %bb.149:
	v_cmp_eq_u32_e64 s[26:27], 0, v68
	v_cndmask_b32_e64 v70, 0, v70, s[26:27]
	v_add_u32_e32 v71, v71, v68
	v_cndmask_b32_e64 v68, 0, v72, s[26:27]
	v_add_co_u32_e64 v60, s[26:27], v70, v60
	v_addc_co_u32_e64 v61, s[26:27], v68, v61, s[26:27]
	v_mov_b32_e32 v68, v71
; %bb.150:
	s_or_b64 exec, exec, s[30:31]
	s_nop 0
	v_mov_b32_dpp v71, v68 row_shr:2 row_mask:0xf bank_mask:0xf
	v_mov_b32_dpp v70, v60 row_shr:2 row_mask:0xf bank_mask:0xf
	;; [unrolled: 1-line block ×3, first 2 shown]
	v_cmp_lt_u32_e64 s[26:27], 1, v69
	s_and_saveexec_b64 s[30:31], s[26:27]
; %bb.151:
	v_cmp_eq_u32_e64 s[26:27], 0, v68
	v_cndmask_b32_e64 v70, 0, v70, s[26:27]
	v_add_u32_e32 v69, v71, v68
	v_cndmask_b32_e64 v68, 0, v72, s[26:27]
	v_add_co_u32_e64 v60, s[26:27], v70, v60
	v_addc_co_u32_e64 v61, s[26:27], v68, v61, s[26:27]
	v_mov_b32_e32 v68, v69
; %bb.152:
	s_or_b64 exec, exec, s[30:31]
	ds_write_b32 v67, v68 offset:4128
	ds_write_b64 v67, v[60:61] offset:4136
.LBB1699_153:
	s_or_b64 exec, exec, s[28:29]
	v_cmp_lt_u32_e64 s[26:27], 63, v0
	v_mov_b32_e32 v72, 0
	v_mov_b32_e32 v67, 0
	s_waitcnt vmcnt(0)
	v_pk_mov_b32 v[60:61], v[64:65], v[64:65] op_sel:[0,1]
	s_waitcnt lgkmcnt(0)
	s_barrier
	s_and_saveexec_b64 s[28:29], s[26:27]
	s_cbranch_execz .LBB1699_155
; %bb.154:
	v_lshlrev_b32_e32 v60, 4, v66
	ds_read_b32 v67, v60 offset:4112
	ds_read_b64 v[60:61], v60 offset:4120
	s_waitcnt lgkmcnt(1)
	v_cmp_eq_u32_e64 s[26:27], 0, v67
	v_cndmask_b32_e64 v68, 0, v64, s[26:27]
	v_cndmask_b32_e64 v66, 0, v65, s[26:27]
	s_waitcnt lgkmcnt(0)
	v_add_co_u32_e64 v60, s[26:27], v68, v60
	v_addc_co_u32_e64 v61, s[26:27], v66, v61, s[26:27]
.LBB1699_155:
	s_or_b64 exec, exec, s[28:29]
	v_cmp_eq_u32_e64 s[26:27], 0, v63
	v_cndmask_b32_e64 v68, 0, v60, s[26:27]
	v_add_u32_e32 v66, v67, v63
	v_cndmask_b32_e64 v63, 0, v61, s[26:27]
	v_add_co_u32_e64 v58, s[26:27], v68, v58
	v_addc_co_u32_e64 v59, s[26:27], v63, v59, s[26:27]
	v_add_u32_e32 v63, -1, v62
	v_and_b32_e32 v68, 64, v62
	v_cmp_lt_i32_e64 s[26:27], v63, v68
	v_cndmask_b32_e64 v63, v63, v62, s[26:27]
	v_lshlrev_b32_e32 v63, 2, v63
	ds_bpermute_b32 v58, v63, v58
	ds_bpermute_b32 v66, v63, v66
	;; [unrolled: 1-line block ×3, first 2 shown]
	v_cmp_eq_u32_e64 s[26:27], 0, v62
	s_waitcnt lgkmcnt(2)
	v_cndmask_b32_e64 v94, v58, v60, s[26:27]
	s_waitcnt lgkmcnt(1)
	v_cndmask_b32_e64 v59, v66, v67, s[26:27]
	;; [unrolled: 2-line block ×3, first 2 shown]
	v_cndmask_b32_e64 v58, v94, v64, s[0:1]
	v_cmp_eq_u32_e64 s[26:27], 0, v113
	v_cndmask_b32_e64 v60, v95, v65, s[0:1]
	v_cndmask_b32_e64 v58, 0, v58, s[26:27]
	v_cndmask_b32_e64 v60, 0, v60, s[26:27]
	v_add_co_u32_e64 v66, s[26:27], v58, v54
	v_addc_co_u32_e64 v67, s[26:27], v60, v55, s[26:27]
	v_cndmask_b32_e64 v55, 0, v66, s[24:25]
	v_cndmask_b32_e64 v54, 0, v67, s[24:25]
	v_add_co_u32_e64 v68, s[24:25], v55, v56
	v_addc_co_u32_e64 v69, s[24:25], v54, v57, s[24:25]
	v_cndmask_b32_e64 v55, 0, v68, s[22:23]
	v_cndmask_b32_e64 v54, 0, v69, s[22:23]
	;; [unrolled: 4-line block ×11, first 2 shown]
	v_add_co_u32_e64 v92, s[2:3], v35, v36
	v_addc_co_u32_e64 v93, s[2:3], v34, v37, s[2:3]
	v_cndmask_b32_e64 v35, 0, v92, s[4:5]
	ds_read_b32 v58, v72 offset:4176
	v_cndmask_b32_e64 v34, 0, v93, s[4:5]
	v_add_co_u32_e64 v96, s[2:3], v35, v30
	v_addc_co_u32_e64 v97, s[2:3], v34, v31, s[2:3]
	ds_read_b64 v[30:31], v72 offset:4184
	v_cndmask_b32_e32 v99, 0, v97, vcc
	v_cndmask_b32_e32 v98, 0, v96, vcc
	s_waitcnt lgkmcnt(1)
	v_cmp_eq_u32_e32 vcc, 0, v58
	v_cndmask_b32_e32 v35, 0, v64, vcc
	v_cndmask_b32_e32 v34, 0, v65, vcc
	s_waitcnt lgkmcnt(0)
	v_add_co_u32_e32 v60, vcc, v35, v30
	v_addc_co_u32_e32 v61, vcc, v34, v31, vcc
	s_and_saveexec_b64 s[2:3], s[0:1]
	s_cbranch_execz .LBB1699_157
; %bb.156:
	v_mov_b32_e32 v59, 0
	v_mov_b32_e32 v30, 2
	v_pk_mov_b32 v[94:95], v[64:65], v[64:65] op_sel:[0,1]
	global_store_dword v59, v58, s[38:39] offset:1024
	global_store_dwordx2 v59, v[60:61], s[38:39] offset:1032
	s_waitcnt vmcnt(0)
	buffer_wbinvl1_vol
	global_store_byte v59, v30, s[40:41] offset:64
.LBB1699_157:
	s_or_b64 exec, exec, s[2:3]
	v_mov_b32_e32 v62, 0
.LBB1699_158:
	s_and_b64 s[2:3], s[34:35], exec
	s_cselect_b32 s3, 0, s51
	s_cselect_b32 s2, 0, s50
	s_cmp_eq_u64 s[2:3], 0
	v_pk_mov_b32 v[30:31], 0, 0
	s_barrier
	s_cbranch_scc1 .LBB1699_160
; %bb.159:
	v_mov_b32_e32 v30, 0
	global_load_dwordx2 v[30:31], v30, s[2:3]
.LBB1699_160:
	s_waitcnt vmcnt(0)
	v_lshlrev_b64 v[34:35], 3, v[30:31]
	v_mov_b32_e32 v36, s53
	v_add_co_u32_e32 v52, vcc, s52, v34
	v_mov_b32_e32 v63, 0
	v_addc_co_u32_e32 v53, vcc, v36, v35, vcc
	v_lshlrev_b64 v[36:37], 3, v[62:63]
	v_add_co_u32_e32 v52, vcc, v52, v36
	v_addc_co_u32_e32 v53, vcc, v53, v37, vcc
	v_cmp_eq_u32_e32 vcc, 0, v113
	v_cndmask_b32_e64 v54, 1, 2, vcc
	v_cmp_eq_u32_e32 vcc, 0, v112
	v_cndmask_b32_e64 v55, 1, 2, vcc
	v_cmp_eq_u32_e32 vcc, 0, v111
	v_and_b32_e32 v54, v55, v54
	v_cndmask_b32_e64 v55, 1, 2, vcc
	v_cmp_eq_u32_e32 vcc, 0, v110
	v_add_u32_e32 v51, v59, v113
	v_and_b32_e32 v54, v54, v55
	v_cndmask_b32_e64 v55, 1, 2, vcc
	v_cmp_eq_u32_e32 vcc, 0, v109
	v_add_u32_e32 v50, v51, v112
	;; [unrolled: 4-line block ×12, first 2 shown]
	v_and_b32_e32 v54, v54, v55
	v_cndmask_b32_e64 v55, 1, 2, vcc
	s_movk_i32 s34, 0x100
	v_add_u32_e32 v39, v40, v101
	v_and_b32_e32 v54, v54, v55
	v_cmp_gt_u32_e32 vcc, s34, v58
	v_add_u32_e32 v38, v39, v100
	v_cmp_ne_u32_e64 s[30:31], 0, v113
	v_cmp_ne_u32_e64 s[28:29], 0, v112
	;; [unrolled: 1-line block ×15, first 2 shown]
	s_mov_b64 s[36:37], -1
	v_cmp_gt_i16_e64 s[34:35], 2, v54
	s_cbranch_vccz .LBB1699_167
; %bb.161:
	s_and_saveexec_b64 s[36:37], s[34:35]
	s_cbranch_execz .LBB1699_166
; %bb.162:
	v_cmp_ne_u16_e32 vcc, 1, v54
	s_mov_b64 s[38:39], 0
	s_and_saveexec_b64 s[34:35], vcc
	s_xor_b64 s[34:35], exec, s[34:35]
	s_cbranch_execnz .LBB1699_199
; %bb.163:
	s_andn2_saveexec_b64 s[34:35], s[34:35]
	s_cbranch_execnz .LBB1699_215
.LBB1699_164:
	s_or_b64 exec, exec, s[34:35]
	s_and_b64 exec, exec, s[38:39]
	s_cbranch_execz .LBB1699_166
.LBB1699_165:
	v_sub_u32_e32 v56, v38, v62
	v_mov_b32_e32 v57, 0
	v_lshlrev_b64 v[56:57], 3, v[56:57]
	v_add_co_u32_e32 v56, vcc, v52, v56
	v_addc_co_u32_e32 v57, vcc, v53, v57, vcc
	global_store_dwordx2 v[56:57], v[74:75], off
.LBB1699_166:
	s_or_b64 exec, exec, s[36:37]
	s_mov_b64 s[36:37], 0
.LBB1699_167:
	s_and_b64 vcc, exec, s[36:37]
	s_cbranch_vccz .LBB1699_177
; %bb.168:
	v_cmp_gt_i16_e32 vcc, 2, v54
	s_and_saveexec_b64 s[34:35], vcc
	s_cbranch_execz .LBB1699_173
; %bb.169:
	v_cmp_ne_u16_e32 vcc, 1, v54
	s_mov_b64 s[38:39], 0
	s_and_saveexec_b64 s[36:37], vcc
	s_xor_b64 s[36:37], exec, s[36:37]
	s_cbranch_execnz .LBB1699_216
; %bb.170:
	s_andn2_saveexec_b64 s[2:3], s[36:37]
	s_cbranch_execnz .LBB1699_232
.LBB1699_171:
	s_or_b64 exec, exec, s[2:3]
	s_and_b64 exec, exec, s[38:39]
	s_cbranch_execz .LBB1699_173
.LBB1699_172:
	v_sub_u32_e32 v2, v38, v62
	v_lshlrev_b32_e32 v2, 3, v2
	ds_write_b64 v2, v[74:75]
.LBB1699_173:
	s_or_b64 exec, exec, s[34:35]
	v_cmp_lt_u32_e32 vcc, v0, v58
	s_waitcnt lgkmcnt(0)
	s_barrier
	s_and_saveexec_b64 s[2:3], vcc
	s_cbranch_execz .LBB1699_176
; %bb.174:
	v_lshlrev_b32_e32 v4, 3, v0
	s_mov_b64 s[4:5], 0
	v_mov_b32_e32 v3, 0
	v_mov_b32_e32 v2, v0
.LBB1699_175:                           ; =>This Inner Loop Header: Depth=1
	v_lshlrev_b64 v[6:7], 3, v[2:3]
	ds_read_b64 v[8:9], v4
	v_add_co_u32_e32 v6, vcc, v52, v6
	v_add_u32_e32 v2, 0x100, v2
	v_addc_co_u32_e32 v7, vcc, v53, v7, vcc
	v_cmp_ge_u32_e32 vcc, v2, v58
	v_add_u32_e32 v4, 0x800, v4
	s_or_b64 s[4:5], vcc, s[4:5]
	s_waitcnt lgkmcnt(0)
	global_store_dwordx2 v[6:7], v[8:9], off
	s_andn2_b64 exec, exec, s[4:5]
	s_cbranch_execnz .LBB1699_175
.LBB1699_176:
	s_or_b64 exec, exec, s[2:3]
.LBB1699_177:
	s_cmpk_lg_i32 s33, 0xf00
	s_cselect_b64 s[2:3], -1, 0
	v_cndmask_b32_e64 v8, 0, 1, s[46:47]
	s_and_b64 s[2:3], s[2:3], s[44:45]
	v_sub_u32_e32 v4, v58, v8
	v_cndmask_b32_e64 v5, 0, 1, s[2:3]
	s_and_b64 s[0:1], s[0:1], s[46:47]
	v_add_co_u32_e32 v2, vcc, v98, v32
	v_add_u32_e32 v4, v4, v5
	v_cndmask_b32_e64 v5, v113, 0, s[0:1]
	s_mul_hi_u32 s0, s33, 0x88888889
	v_addc_co_u32_e32 v3, vcc, v99, v33, vcc
	s_lshr_b32 s0, s0, 3
	v_mad_i32_i24 v6, v0, -15, s33
	v_cmp_eq_u32_e32 vcc, s0, v0
	v_cmp_ne_u32_e64 s[0:1], 0, v6
	v_cndmask_b32_e64 v7, 1, v5, s[0:1]
	v_cmp_ne_u32_e64 s[0:1], 1, v6
	v_cndmask_b32_e64 v9, 1, v112, s[0:1]
	;; [unrolled: 2-line block ×15, first 2 shown]
	s_and_b64 vcc, vcc, s[44:45]
	v_cndmask_b32_e32 v22, v1, v6, vcc
	v_cndmask_b32_e32 v21, v100, v21, vcc
	;; [unrolled: 1-line block ×15, first 2 shown]
	v_mov_b32_e32 v1, s55
	v_add_co_u32_e32 v5, vcc, s54, v34
	v_addc_co_u32_e32 v6, vcc, v1, v35, vcc
	v_add_co_u32_e32 v1, vcc, v5, v36
	v_addc_co_u32_e32 v5, vcc, v6, v37, vcc
	v_lshlrev_b32_e32 v6, 3, v8
	v_add_co_u32_e32 v6, vcc, v6, v1
	v_addc_co_u32_e32 v7, vcc, 0, v5, vcc
	v_add_co_u32_e32 v6, vcc, -8, v6
	v_addc_co_u32_e32 v7, vcc, -1, v7, vcc
	v_cmp_eq_u32_e32 vcc, 0, v23
	v_cmp_ne_u32_e64 s[28:29], 0, v23
	v_cndmask_b32_e64 v23, 1, 2, vcc
	v_cmp_eq_u32_e32 vcc, 0, v9
	v_cmp_ne_u32_e64 s[26:27], 0, v9
	v_cndmask_b32_e64 v9, 1, 2, vcc
	v_cmp_eq_u32_e32 vcc, 0, v10
	v_and_b32_e32 v9, v9, v23
	v_cmp_ne_u32_e64 s[24:25], 0, v10
	v_cndmask_b32_e64 v10, 1, 2, vcc
	v_cmp_eq_u32_e32 vcc, 0, v11
	v_and_b32_e32 v9, v9, v10
	v_cndmask_b32_e64 v10, 1, 2, vcc
	v_cmp_eq_u32_e32 vcc, 0, v12
	v_and_b32_e32 v9, v9, v10
	v_cndmask_b32_e64 v10, 1, 2, vcc
	v_cmp_eq_u32_e32 vcc, 0, v13
	v_and_b32_e32 v9, v9, v10
	v_cndmask_b32_e64 v10, 1, 2, vcc
	v_cmp_eq_u32_e32 vcc, 0, v14
	v_and_b32_e32 v9, v9, v10
	v_cndmask_b32_e64 v10, 1, 2, vcc
	v_cmp_eq_u32_e32 vcc, 0, v15
	v_and_b32_e32 v9, v9, v10
	v_cndmask_b32_e64 v10, 1, 2, vcc
	v_cmp_eq_u32_e32 vcc, 0, v16
	v_and_b32_e32 v9, v9, v10
	v_cndmask_b32_e64 v10, 1, 2, vcc
	v_cmp_eq_u32_e32 vcc, 0, v17
	v_and_b32_e32 v9, v9, v10
	v_cndmask_b32_e64 v10, 1, 2, vcc
	v_cmp_eq_u32_e32 vcc, 0, v18
	v_and_b32_e32 v9, v9, v10
	v_cndmask_b32_e64 v10, 1, 2, vcc
	v_cmp_eq_u32_e32 vcc, 0, v19
	v_and_b32_e32 v9, v9, v10
	v_cndmask_b32_e64 v10, 1, 2, vcc
	v_cmp_eq_u32_e32 vcc, 0, v20
	v_and_b32_e32 v9, v9, v10
	v_cndmask_b32_e64 v10, 1, 2, vcc
	v_cmp_eq_u32_e32 vcc, 0, v21
	v_and_b32_e32 v9, v9, v10
	v_cndmask_b32_e64 v10, 1, 2, vcc
	v_cmp_eq_u32_e32 vcc, 0, v22
	v_and_b32_e32 v9, v9, v10
	v_cndmask_b32_e64 v10, 1, 2, vcc
	s_movk_i32 s30, 0x100
	v_and_b32_e32 v9, v9, v10
	v_cmp_gt_u32_e32 vcc, s30, v4
	v_add_u32_e32 v8, v62, v8
	v_cmp_ne_u32_e64 s[22:23], 0, v11
	v_cmp_ne_u32_e64 s[20:21], 0, v12
	;; [unrolled: 1-line block ×12, first 2 shown]
	s_mov_b64 s[34:35], -1
	v_cmp_gt_i16_e64 s[30:31], 2, v9
	s_barrier
	s_cbranch_vccz .LBB1699_184
; %bb.178:
	s_and_saveexec_b64 s[34:35], s[30:31]
	s_cbranch_execz .LBB1699_183
; %bb.179:
	v_cmp_ne_u16_e32 vcc, 1, v9
	s_mov_b64 s[36:37], 0
	s_and_saveexec_b64 s[30:31], vcc
	s_xor_b64 s[30:31], exec, s[30:31]
	s_cbranch_execnz .LBB1699_233
; %bb.180:
	s_andn2_saveexec_b64 s[30:31], s[30:31]
	s_cbranch_execnz .LBB1699_249
.LBB1699_181:
	s_or_b64 exec, exec, s[30:31]
	s_and_b64 exec, exec, s[36:37]
	s_cbranch_execz .LBB1699_183
.LBB1699_182:
	v_sub_u32_e32 v10, v38, v8
	v_mov_b32_e32 v11, 0
	v_lshlrev_b64 v[10:11], 3, v[10:11]
	v_add_co_u32_e32 v10, vcc, v6, v10
	v_addc_co_u32_e32 v11, vcc, v7, v11, vcc
	global_store_dwordx2 v[10:11], v[2:3], off
.LBB1699_183:
	s_or_b64 exec, exec, s[34:35]
	s_mov_b64 s[34:35], 0
.LBB1699_184:
	s_and_b64 vcc, exec, s[34:35]
	s_cbranch_vccz .LBB1699_194
; %bb.185:
	v_cmp_gt_i16_e32 vcc, 2, v9
	s_and_saveexec_b64 s[30:31], vcc
	s_cbranch_execz .LBB1699_190
; %bb.186:
	v_cmp_ne_u16_e32 vcc, 1, v9
	s_mov_b64 s[36:37], 0
	s_and_saveexec_b64 s[34:35], vcc
	s_xor_b64 s[34:35], exec, s[34:35]
	s_cbranch_execnz .LBB1699_250
; %bb.187:
	s_andn2_saveexec_b64 s[0:1], s[34:35]
	s_cbranch_execnz .LBB1699_266
.LBB1699_188:
	s_or_b64 exec, exec, s[0:1]
	s_and_b64 exec, exec, s[36:37]
	s_cbranch_execz .LBB1699_190
.LBB1699_189:
	v_sub_u32_e32 v8, v38, v8
	v_lshlrev_b32_e32 v8, 3, v8
	ds_write_b64 v8, v[2:3]
.LBB1699_190:
	s_or_b64 exec, exec, s[30:31]
	v_cmp_lt_u32_e32 vcc, v0, v4
	s_waitcnt lgkmcnt(0)
	s_barrier
	s_and_saveexec_b64 s[0:1], vcc
	s_cbranch_execz .LBB1699_193
; %bb.191:
	v_lshlrev_b32_e32 v8, 3, v0
	s_mov_b64 s[2:3], 0
	v_mov_b32_e32 v3, 0
	v_mov_b32_e32 v2, v0
.LBB1699_192:                           ; =>This Inner Loop Header: Depth=1
	v_lshlrev_b64 v[10:11], 3, v[2:3]
	ds_read_b64 v[12:13], v8
	v_add_co_u32_e32 v10, vcc, v6, v10
	v_add_u32_e32 v2, 0x100, v2
	v_addc_co_u32_e32 v11, vcc, v7, v11, vcc
	v_cmp_ge_u32_e32 vcc, v2, v4
	v_add_u32_e32 v8, 0x800, v8
	s_or_b64 s[2:3], vcc, s[2:3]
	s_waitcnt lgkmcnt(0)
	global_store_dwordx2 v[10:11], v[12:13], off
	s_andn2_b64 exec, exec, s[2:3]
	s_cbranch_execnz .LBB1699_192
.LBB1699_193:
	s_or_b64 exec, exec, s[0:1]
.LBB1699_194:
	s_movk_i32 s0, 0xff
	v_cmp_eq_u32_e32 vcc, s0, v0
	s_and_b64 s[0:1], vcc, s[44:45]
	s_and_saveexec_b64 s[2:3], s[0:1]
	s_cbranch_execz .LBB1699_197
; %bb.195:
	v_add_co_u32_e32 v0, vcc, v58, v62
	v_addc_co_u32_e64 v3, s[0:1], 0, 0, vcc
	v_add_co_u32_e32 v2, vcc, v0, v30
	v_mov_b32_e32 v59, 0
	v_addc_co_u32_e32 v3, vcc, v3, v31, vcc
	s_cmpk_lg_i32 s33, 0xf00
	global_store_dwordx2 v59, v[2:3], s[56:57]
	s_cbranch_scc1 .LBB1699_197
; %bb.196:
	v_lshlrev_b64 v[2:3], 3, v[58:59]
	v_add_co_u32_e32 v0, vcc, v1, v2
	v_addc_co_u32_e32 v1, vcc, v5, v3, vcc
	global_store_dwordx2 v[0:1], v[60:61], off offset:-8
.LBB1699_197:
	s_endpgm
.LBB1699_198:
	s_or_b64 exec, exec, s[10:11]
	v_mov_b32_e32 v113, s12
	s_and_saveexec_b64 s[2:3], s[6:7]
	s_cbranch_execnz .LBB1699_58
	s_branch .LBB1699_59
.LBB1699_199:
	s_and_saveexec_b64 s[38:39], s[30:31]
	s_cbranch_execnz .LBB1699_267
; %bb.200:
	s_or_b64 exec, exec, s[38:39]
	s_and_saveexec_b64 s[38:39], s[28:29]
	s_cbranch_execnz .LBB1699_268
.LBB1699_201:
	s_or_b64 exec, exec, s[38:39]
	s_and_saveexec_b64 s[38:39], s[26:27]
	s_cbranch_execnz .LBB1699_269
.LBB1699_202:
	s_or_b64 exec, exec, s[38:39]
	s_and_saveexec_b64 s[38:39], s[24:25]
	s_cbranch_execnz .LBB1699_270
.LBB1699_203:
	s_or_b64 exec, exec, s[38:39]
	s_and_saveexec_b64 s[38:39], s[22:23]
	s_cbranch_execnz .LBB1699_271
.LBB1699_204:
	s_or_b64 exec, exec, s[38:39]
	s_and_saveexec_b64 s[38:39], s[20:21]
	s_cbranch_execnz .LBB1699_272
.LBB1699_205:
	s_or_b64 exec, exec, s[38:39]
	s_and_saveexec_b64 s[38:39], s[18:19]
	s_cbranch_execnz .LBB1699_273
.LBB1699_206:
	s_or_b64 exec, exec, s[38:39]
	s_and_saveexec_b64 s[38:39], s[16:17]
	s_cbranch_execnz .LBB1699_274
.LBB1699_207:
	s_or_b64 exec, exec, s[38:39]
	s_and_saveexec_b64 s[38:39], s[14:15]
	s_cbranch_execnz .LBB1699_275
.LBB1699_208:
	s_or_b64 exec, exec, s[38:39]
	s_and_saveexec_b64 s[38:39], s[12:13]
	s_cbranch_execnz .LBB1699_276
.LBB1699_209:
	s_or_b64 exec, exec, s[38:39]
	s_and_saveexec_b64 s[38:39], s[10:11]
	s_cbranch_execnz .LBB1699_277
.LBB1699_210:
	s_or_b64 exec, exec, s[38:39]
	s_and_saveexec_b64 s[38:39], s[8:9]
	s_cbranch_execnz .LBB1699_278
.LBB1699_211:
	s_or_b64 exec, exec, s[38:39]
	s_and_saveexec_b64 s[38:39], s[6:7]
	s_cbranch_execnz .LBB1699_279
.LBB1699_212:
	s_or_b64 exec, exec, s[38:39]
	s_and_saveexec_b64 s[38:39], s[4:5]
	s_cbranch_execz .LBB1699_214
.LBB1699_213:
	v_sub_u32_e32 v56, v39, v62
	v_mov_b32_e32 v57, 0
	v_lshlrev_b64 v[56:57], 3, v[56:57]
	v_add_co_u32_e32 v56, vcc, v52, v56
	v_addc_co_u32_e32 v57, vcc, v53, v57, vcc
	global_store_dwordx2 v[56:57], v[4:5], off
.LBB1699_214:
	s_or_b64 exec, exec, s[38:39]
	s_and_b64 s[38:39], s[2:3], exec
	s_andn2_saveexec_b64 s[34:35], s[34:35]
	s_cbranch_execz .LBB1699_164
.LBB1699_215:
	v_sub_u32_e32 v56, v59, v62
	v_mov_b32_e32 v57, 0
	v_lshlrev_b64 v[64:65], 3, v[56:57]
	v_add_co_u32_e32 v64, vcc, v52, v64
	v_addc_co_u32_e32 v65, vcc, v53, v65, vcc
	v_sub_u32_e32 v56, v51, v62
	global_store_dwordx2 v[64:65], v[26:27], off
	v_lshlrev_b64 v[64:65], 3, v[56:57]
	v_add_co_u32_e32 v64, vcc, v52, v64
	v_addc_co_u32_e32 v65, vcc, v53, v65, vcc
	v_sub_u32_e32 v56, v50, v62
	global_store_dwordx2 v[64:65], v[28:29], off
	;; [unrolled: 5-line block ×12, first 2 shown]
	v_lshlrev_b64 v[64:65], 3, v[56:57]
	v_add_co_u32_e32 v64, vcc, v52, v64
	v_sub_u32_e32 v56, v39, v62
	v_addc_co_u32_e32 v65, vcc, v53, v65, vcc
	v_lshlrev_b64 v[56:57], 3, v[56:57]
	v_add_co_u32_e32 v56, vcc, v52, v56
	v_addc_co_u32_e32 v57, vcc, v53, v57, vcc
	s_or_b64 s[38:39], s[38:39], exec
	global_store_dwordx2 v[64:65], v[2:3], off
	global_store_dwordx2 v[56:57], v[4:5], off
	s_or_b64 exec, exec, s[34:35]
	s_and_b64 exec, exec, s[38:39]
	s_cbranch_execnz .LBB1699_165
	s_branch .LBB1699_166
.LBB1699_216:
	s_and_saveexec_b64 s[38:39], s[30:31]
	s_cbranch_execnz .LBB1699_280
; %bb.217:
	s_or_b64 exec, exec, s[38:39]
	s_and_saveexec_b64 s[30:31], s[28:29]
	s_cbranch_execnz .LBB1699_281
.LBB1699_218:
	s_or_b64 exec, exec, s[30:31]
	s_and_saveexec_b64 s[28:29], s[26:27]
	s_cbranch_execnz .LBB1699_282
.LBB1699_219:
	s_or_b64 exec, exec, s[28:29]
	s_and_saveexec_b64 s[26:27], s[24:25]
	s_cbranch_execnz .LBB1699_283
.LBB1699_220:
	s_or_b64 exec, exec, s[26:27]
	s_and_saveexec_b64 s[24:25], s[22:23]
	s_cbranch_execnz .LBB1699_284
.LBB1699_221:
	s_or_b64 exec, exec, s[24:25]
	s_and_saveexec_b64 s[22:23], s[20:21]
	s_cbranch_execnz .LBB1699_285
.LBB1699_222:
	s_or_b64 exec, exec, s[22:23]
	s_and_saveexec_b64 s[20:21], s[18:19]
	s_cbranch_execnz .LBB1699_286
.LBB1699_223:
	s_or_b64 exec, exec, s[20:21]
	s_and_saveexec_b64 s[18:19], s[16:17]
	s_cbranch_execnz .LBB1699_287
.LBB1699_224:
	s_or_b64 exec, exec, s[18:19]
	s_and_saveexec_b64 s[16:17], s[14:15]
	s_cbranch_execnz .LBB1699_288
.LBB1699_225:
	s_or_b64 exec, exec, s[16:17]
	s_and_saveexec_b64 s[14:15], s[12:13]
	s_cbranch_execnz .LBB1699_289
.LBB1699_226:
	s_or_b64 exec, exec, s[14:15]
	s_and_saveexec_b64 s[12:13], s[10:11]
	s_cbranch_execnz .LBB1699_290
.LBB1699_227:
	s_or_b64 exec, exec, s[12:13]
	s_and_saveexec_b64 s[10:11], s[8:9]
	s_cbranch_execnz .LBB1699_291
.LBB1699_228:
	s_or_b64 exec, exec, s[10:11]
	s_and_saveexec_b64 s[8:9], s[6:7]
	s_cbranch_execnz .LBB1699_292
.LBB1699_229:
	s_or_b64 exec, exec, s[8:9]
	s_and_saveexec_b64 s[6:7], s[4:5]
	s_cbranch_execz .LBB1699_231
.LBB1699_230:
	v_sub_u32_e32 v2, v39, v62
	v_lshlrev_b32_e32 v2, 3, v2
	ds_write_b64 v2, v[4:5]
.LBB1699_231:
	s_or_b64 exec, exec, s[6:7]
	s_and_b64 s[38:39], s[2:3], exec
                                        ; implicit-def: $vgpr2_vgpr3
                                        ; implicit-def: $vgpr6_vgpr7
                                        ; implicit-def: $vgpr10_vgpr11
                                        ; implicit-def: $vgpr14_vgpr15
                                        ; implicit-def: $vgpr18_vgpr19
                                        ; implicit-def: $vgpr22_vgpr23
                                        ; implicit-def: $vgpr26_vgpr27
	s_andn2_saveexec_b64 s[2:3], s[36:37]
	s_cbranch_execz .LBB1699_171
.LBB1699_232:
	v_sub_u32_e32 v54, v59, v62
	v_lshlrev_b32_e32 v54, 3, v54
	ds_write_b64 v54, v[26:27]
	v_sub_u32_e32 v26, v51, v62
	v_lshlrev_b32_e32 v26, 3, v26
	ds_write_b64 v26, v[28:29]
	;; [unrolled: 3-line block ×13, first 2 shown]
	v_sub_u32_e32 v2, v39, v62
	v_lshlrev_b32_e32 v2, 3, v2
	s_or_b64 s[38:39], s[38:39], exec
	ds_write_b64 v2, v[4:5]
	s_or_b64 exec, exec, s[2:3]
	s_and_b64 exec, exec, s[38:39]
	s_cbranch_execnz .LBB1699_172
	s_branch .LBB1699_173
.LBB1699_233:
	s_and_saveexec_b64 s[36:37], s[28:29]
	s_cbranch_execnz .LBB1699_293
; %bb.234:
	s_or_b64 exec, exec, s[36:37]
	s_and_saveexec_b64 s[36:37], s[26:27]
	s_cbranch_execnz .LBB1699_294
.LBB1699_235:
	s_or_b64 exec, exec, s[36:37]
	s_and_saveexec_b64 s[36:37], s[24:25]
	s_cbranch_execnz .LBB1699_295
.LBB1699_236:
	s_or_b64 exec, exec, s[36:37]
	s_and_saveexec_b64 s[36:37], s[22:23]
	s_cbranch_execnz .LBB1699_296
.LBB1699_237:
	s_or_b64 exec, exec, s[36:37]
	s_and_saveexec_b64 s[36:37], s[20:21]
	s_cbranch_execnz .LBB1699_297
.LBB1699_238:
	s_or_b64 exec, exec, s[36:37]
	s_and_saveexec_b64 s[36:37], s[18:19]
	s_cbranch_execnz .LBB1699_298
.LBB1699_239:
	s_or_b64 exec, exec, s[36:37]
	s_and_saveexec_b64 s[36:37], s[16:17]
	s_cbranch_execnz .LBB1699_299
.LBB1699_240:
	s_or_b64 exec, exec, s[36:37]
	s_and_saveexec_b64 s[36:37], s[14:15]
	s_cbranch_execnz .LBB1699_300
.LBB1699_241:
	s_or_b64 exec, exec, s[36:37]
	s_and_saveexec_b64 s[36:37], s[12:13]
	s_cbranch_execnz .LBB1699_301
.LBB1699_242:
	s_or_b64 exec, exec, s[36:37]
	s_and_saveexec_b64 s[36:37], s[10:11]
	s_cbranch_execnz .LBB1699_302
.LBB1699_243:
	s_or_b64 exec, exec, s[36:37]
	s_and_saveexec_b64 s[36:37], s[8:9]
	s_cbranch_execnz .LBB1699_303
.LBB1699_244:
	s_or_b64 exec, exec, s[36:37]
	s_and_saveexec_b64 s[36:37], s[6:7]
	s_cbranch_execnz .LBB1699_304
.LBB1699_245:
	s_or_b64 exec, exec, s[36:37]
	s_and_saveexec_b64 s[36:37], s[4:5]
	s_cbranch_execnz .LBB1699_305
.LBB1699_246:
	s_or_b64 exec, exec, s[36:37]
	s_and_saveexec_b64 s[36:37], s[2:3]
	s_cbranch_execz .LBB1699_248
.LBB1699_247:
	v_sub_u32_e32 v10, v39, v8
	v_mov_b32_e32 v11, 0
	v_lshlrev_b64 v[10:11], 3, v[10:11]
	v_add_co_u32_e32 v10, vcc, v6, v10
	v_addc_co_u32_e32 v11, vcc, v7, v11, vcc
	global_store_dwordx2 v[10:11], v[96:97], off
.LBB1699_248:
	s_or_b64 exec, exec, s[36:37]
	s_and_b64 s[36:37], s[0:1], exec
	s_andn2_saveexec_b64 s[30:31], s[30:31]
	s_cbranch_execz .LBB1699_181
.LBB1699_249:
	v_sub_u32_e32 v10, v59, v8
	v_mov_b32_e32 v11, 0
	v_lshlrev_b64 v[12:13], 3, v[10:11]
	v_add_co_u32_e32 v12, vcc, v6, v12
	v_addc_co_u32_e32 v13, vcc, v7, v13, vcc
	v_sub_u32_e32 v10, v51, v8
	global_store_dwordx2 v[12:13], v[94:95], off
	v_lshlrev_b64 v[12:13], 3, v[10:11]
	v_add_co_u32_e32 v12, vcc, v6, v12
	v_addc_co_u32_e32 v13, vcc, v7, v13, vcc
	v_sub_u32_e32 v10, v50, v8
	global_store_dwordx2 v[12:13], v[66:67], off
	;; [unrolled: 5-line block ×12, first 2 shown]
	v_lshlrev_b64 v[12:13], 3, v[10:11]
	v_add_co_u32_e32 v12, vcc, v6, v12
	v_sub_u32_e32 v10, v39, v8
	v_addc_co_u32_e32 v13, vcc, v7, v13, vcc
	v_lshlrev_b64 v[10:11], 3, v[10:11]
	v_add_co_u32_e32 v10, vcc, v6, v10
	v_addc_co_u32_e32 v11, vcc, v7, v11, vcc
	s_or_b64 s[36:37], s[36:37], exec
	global_store_dwordx2 v[12:13], v[92:93], off
	global_store_dwordx2 v[10:11], v[96:97], off
	s_or_b64 exec, exec, s[30:31]
	s_and_b64 exec, exec, s[36:37]
	s_cbranch_execnz .LBB1699_182
	s_branch .LBB1699_183
.LBB1699_250:
	s_and_saveexec_b64 s[36:37], s[28:29]
	s_cbranch_execnz .LBB1699_306
; %bb.251:
	s_or_b64 exec, exec, s[36:37]
	s_and_saveexec_b64 s[28:29], s[26:27]
	s_cbranch_execnz .LBB1699_307
.LBB1699_252:
	s_or_b64 exec, exec, s[28:29]
	s_and_saveexec_b64 s[26:27], s[24:25]
	s_cbranch_execnz .LBB1699_308
.LBB1699_253:
	s_or_b64 exec, exec, s[26:27]
	s_and_saveexec_b64 s[24:25], s[22:23]
	s_cbranch_execnz .LBB1699_309
.LBB1699_254:
	s_or_b64 exec, exec, s[24:25]
	s_and_saveexec_b64 s[22:23], s[20:21]
	s_cbranch_execnz .LBB1699_310
.LBB1699_255:
	s_or_b64 exec, exec, s[22:23]
	s_and_saveexec_b64 s[20:21], s[18:19]
	s_cbranch_execnz .LBB1699_311
.LBB1699_256:
	s_or_b64 exec, exec, s[20:21]
	s_and_saveexec_b64 s[18:19], s[16:17]
	s_cbranch_execnz .LBB1699_312
.LBB1699_257:
	s_or_b64 exec, exec, s[18:19]
	s_and_saveexec_b64 s[16:17], s[14:15]
	s_cbranch_execnz .LBB1699_313
.LBB1699_258:
	s_or_b64 exec, exec, s[16:17]
	s_and_saveexec_b64 s[14:15], s[12:13]
	s_cbranch_execnz .LBB1699_314
.LBB1699_259:
	s_or_b64 exec, exec, s[14:15]
	s_and_saveexec_b64 s[12:13], s[10:11]
	s_cbranch_execnz .LBB1699_315
.LBB1699_260:
	s_or_b64 exec, exec, s[12:13]
	s_and_saveexec_b64 s[10:11], s[8:9]
	s_cbranch_execnz .LBB1699_316
.LBB1699_261:
	s_or_b64 exec, exec, s[10:11]
	s_and_saveexec_b64 s[8:9], s[6:7]
	s_cbranch_execnz .LBB1699_317
.LBB1699_262:
	s_or_b64 exec, exec, s[8:9]
	s_and_saveexec_b64 s[6:7], s[4:5]
	s_cbranch_execnz .LBB1699_318
.LBB1699_263:
	s_or_b64 exec, exec, s[6:7]
	s_and_saveexec_b64 s[4:5], s[2:3]
	s_cbranch_execz .LBB1699_265
.LBB1699_264:
	v_sub_u32_e32 v9, v39, v8
	v_lshlrev_b32_e32 v9, 3, v9
	ds_write_b64 v9, v[96:97]
.LBB1699_265:
	s_or_b64 exec, exec, s[4:5]
	s_and_b64 s[36:37], s[0:1], exec
                                        ; implicit-def: $vgpr94_vgpr95
                                        ; implicit-def: $vgpr66_vgpr67
                                        ; implicit-def: $vgpr68_vgpr69
                                        ; implicit-def: $vgpr70_vgpr71
                                        ; implicit-def: $vgpr76_vgpr77
                                        ; implicit-def: $vgpr78_vgpr79
                                        ; implicit-def: $vgpr80_vgpr81
                                        ; implicit-def: $vgpr82_vgpr83
                                        ; implicit-def: $vgpr84_vgpr85
                                        ; implicit-def: $vgpr86_vgpr87
                                        ; implicit-def: $vgpr88_vgpr89
                                        ; implicit-def: $vgpr90_vgpr91
                                        ; implicit-def: $vgpr92_vgpr93
                                        ; implicit-def: $vgpr96_vgpr97
                                        ; implicit-def: $vgpr59
                                        ; implicit-def: $vgpr51
                                        ; implicit-def: $vgpr50
                                        ; implicit-def: $vgpr49
                                        ; implicit-def: $vgpr48
                                        ; implicit-def: $vgpr47
                                        ; implicit-def: $vgpr46
                                        ; implicit-def: $vgpr45
                                        ; implicit-def: $vgpr44
                                        ; implicit-def: $vgpr43
                                        ; implicit-def: $vgpr42
                                        ; implicit-def: $vgpr41
                                        ; implicit-def: $vgpr40
                                        ; implicit-def: $vgpr39
	s_andn2_saveexec_b64 s[0:1], s[34:35]
	s_cbranch_execz .LBB1699_188
.LBB1699_266:
	v_sub_u32_e32 v9, v59, v8
	v_lshlrev_b32_e32 v9, 3, v9
	ds_write_b64 v9, v[94:95]
	v_sub_u32_e32 v9, v51, v8
	v_lshlrev_b32_e32 v9, 3, v9
	ds_write_b64 v9, v[66:67]
	;; [unrolled: 3-line block ×13, first 2 shown]
	v_sub_u32_e32 v9, v39, v8
	v_lshlrev_b32_e32 v9, 3, v9
	s_or_b64 s[36:37], s[36:37], exec
	ds_write_b64 v9, v[96:97]
	s_or_b64 exec, exec, s[0:1]
	s_and_b64 exec, exec, s[36:37]
	s_cbranch_execnz .LBB1699_189
	s_branch .LBB1699_190
.LBB1699_267:
	v_sub_u32_e32 v56, v59, v62
	v_mov_b32_e32 v57, 0
	v_lshlrev_b64 v[56:57], 3, v[56:57]
	v_add_co_u32_e32 v56, vcc, v52, v56
	v_addc_co_u32_e32 v57, vcc, v53, v57, vcc
	global_store_dwordx2 v[56:57], v[26:27], off
	s_or_b64 exec, exec, s[38:39]
	s_and_saveexec_b64 s[38:39], s[28:29]
	s_cbranch_execz .LBB1699_201
.LBB1699_268:
	v_sub_u32_e32 v56, v51, v62
	v_mov_b32_e32 v57, 0
	v_lshlrev_b64 v[56:57], 3, v[56:57]
	v_add_co_u32_e32 v56, vcc, v52, v56
	v_addc_co_u32_e32 v57, vcc, v53, v57, vcc
	global_store_dwordx2 v[56:57], v[28:29], off
	s_or_b64 exec, exec, s[38:39]
	s_and_saveexec_b64 s[38:39], s[26:27]
	s_cbranch_execz .LBB1699_202
.LBB1699_269:
	v_sub_u32_e32 v56, v50, v62
	v_mov_b32_e32 v57, 0
	v_lshlrev_b64 v[56:57], 3, v[56:57]
	v_add_co_u32_e32 v56, vcc, v52, v56
	v_addc_co_u32_e32 v57, vcc, v53, v57, vcc
	global_store_dwordx2 v[56:57], v[22:23], off
	s_or_b64 exec, exec, s[38:39]
	s_and_saveexec_b64 s[38:39], s[24:25]
	s_cbranch_execz .LBB1699_203
.LBB1699_270:
	v_sub_u32_e32 v56, v49, v62
	v_mov_b32_e32 v57, 0
	v_lshlrev_b64 v[56:57], 3, v[56:57]
	v_add_co_u32_e32 v56, vcc, v52, v56
	v_addc_co_u32_e32 v57, vcc, v53, v57, vcc
	global_store_dwordx2 v[56:57], v[24:25], off
	s_or_b64 exec, exec, s[38:39]
	s_and_saveexec_b64 s[38:39], s[22:23]
	s_cbranch_execz .LBB1699_204
.LBB1699_271:
	v_sub_u32_e32 v56, v48, v62
	v_mov_b32_e32 v57, 0
	v_lshlrev_b64 v[56:57], 3, v[56:57]
	v_add_co_u32_e32 v56, vcc, v52, v56
	v_addc_co_u32_e32 v57, vcc, v53, v57, vcc
	global_store_dwordx2 v[56:57], v[18:19], off
	s_or_b64 exec, exec, s[38:39]
	s_and_saveexec_b64 s[38:39], s[20:21]
	s_cbranch_execz .LBB1699_205
.LBB1699_272:
	v_sub_u32_e32 v56, v47, v62
	v_mov_b32_e32 v57, 0
	v_lshlrev_b64 v[56:57], 3, v[56:57]
	v_add_co_u32_e32 v56, vcc, v52, v56
	v_addc_co_u32_e32 v57, vcc, v53, v57, vcc
	global_store_dwordx2 v[56:57], v[20:21], off
	s_or_b64 exec, exec, s[38:39]
	s_and_saveexec_b64 s[38:39], s[18:19]
	s_cbranch_execz .LBB1699_206
.LBB1699_273:
	v_sub_u32_e32 v56, v46, v62
	v_mov_b32_e32 v57, 0
	v_lshlrev_b64 v[56:57], 3, v[56:57]
	v_add_co_u32_e32 v56, vcc, v52, v56
	v_addc_co_u32_e32 v57, vcc, v53, v57, vcc
	global_store_dwordx2 v[56:57], v[14:15], off
	s_or_b64 exec, exec, s[38:39]
	s_and_saveexec_b64 s[38:39], s[16:17]
	s_cbranch_execz .LBB1699_207
.LBB1699_274:
	v_sub_u32_e32 v56, v45, v62
	v_mov_b32_e32 v57, 0
	v_lshlrev_b64 v[56:57], 3, v[56:57]
	v_add_co_u32_e32 v56, vcc, v52, v56
	v_addc_co_u32_e32 v57, vcc, v53, v57, vcc
	global_store_dwordx2 v[56:57], v[16:17], off
	s_or_b64 exec, exec, s[38:39]
	s_and_saveexec_b64 s[38:39], s[14:15]
	s_cbranch_execz .LBB1699_208
.LBB1699_275:
	v_sub_u32_e32 v56, v44, v62
	v_mov_b32_e32 v57, 0
	v_lshlrev_b64 v[56:57], 3, v[56:57]
	v_add_co_u32_e32 v56, vcc, v52, v56
	v_addc_co_u32_e32 v57, vcc, v53, v57, vcc
	global_store_dwordx2 v[56:57], v[10:11], off
	s_or_b64 exec, exec, s[38:39]
	s_and_saveexec_b64 s[38:39], s[12:13]
	s_cbranch_execz .LBB1699_209
.LBB1699_276:
	v_sub_u32_e32 v56, v43, v62
	v_mov_b32_e32 v57, 0
	v_lshlrev_b64 v[56:57], 3, v[56:57]
	v_add_co_u32_e32 v56, vcc, v52, v56
	v_addc_co_u32_e32 v57, vcc, v53, v57, vcc
	global_store_dwordx2 v[56:57], v[12:13], off
	s_or_b64 exec, exec, s[38:39]
	s_and_saveexec_b64 s[38:39], s[10:11]
	s_cbranch_execz .LBB1699_210
.LBB1699_277:
	v_sub_u32_e32 v56, v42, v62
	v_mov_b32_e32 v57, 0
	v_lshlrev_b64 v[56:57], 3, v[56:57]
	v_add_co_u32_e32 v56, vcc, v52, v56
	v_addc_co_u32_e32 v57, vcc, v53, v57, vcc
	global_store_dwordx2 v[56:57], v[6:7], off
	s_or_b64 exec, exec, s[38:39]
	s_and_saveexec_b64 s[38:39], s[8:9]
	s_cbranch_execz .LBB1699_211
.LBB1699_278:
	v_sub_u32_e32 v56, v41, v62
	v_mov_b32_e32 v57, 0
	v_lshlrev_b64 v[56:57], 3, v[56:57]
	v_add_co_u32_e32 v56, vcc, v52, v56
	v_addc_co_u32_e32 v57, vcc, v53, v57, vcc
	global_store_dwordx2 v[56:57], v[8:9], off
	s_or_b64 exec, exec, s[38:39]
	s_and_saveexec_b64 s[38:39], s[6:7]
	s_cbranch_execz .LBB1699_212
.LBB1699_279:
	v_sub_u32_e32 v56, v40, v62
	v_mov_b32_e32 v57, 0
	v_lshlrev_b64 v[56:57], 3, v[56:57]
	v_add_co_u32_e32 v56, vcc, v52, v56
	v_addc_co_u32_e32 v57, vcc, v53, v57, vcc
	global_store_dwordx2 v[56:57], v[2:3], off
	s_or_b64 exec, exec, s[38:39]
	s_and_saveexec_b64 s[38:39], s[4:5]
	s_cbranch_execnz .LBB1699_213
	s_branch .LBB1699_214
.LBB1699_280:
	v_sub_u32_e32 v54, v59, v62
	v_lshlrev_b32_e32 v54, 3, v54
	ds_write_b64 v54, v[26:27]
	s_or_b64 exec, exec, s[38:39]
	s_and_saveexec_b64 s[30:31], s[28:29]
	s_cbranch_execz .LBB1699_218
.LBB1699_281:
	v_sub_u32_e32 v26, v51, v62
	v_lshlrev_b32_e32 v26, 3, v26
	ds_write_b64 v26, v[28:29]
	s_or_b64 exec, exec, s[30:31]
	s_and_saveexec_b64 s[28:29], s[26:27]
	s_cbranch_execz .LBB1699_219
.LBB1699_282:
	v_sub_u32_e32 v26, v50, v62
	v_lshlrev_b32_e32 v26, 3, v26
	ds_write_b64 v26, v[22:23]
	s_or_b64 exec, exec, s[28:29]
	s_and_saveexec_b64 s[26:27], s[24:25]
	s_cbranch_execz .LBB1699_220
.LBB1699_283:
	v_sub_u32_e32 v22, v49, v62
	v_lshlrev_b32_e32 v22, 3, v22
	ds_write_b64 v22, v[24:25]
	s_or_b64 exec, exec, s[26:27]
	s_and_saveexec_b64 s[24:25], s[22:23]
	s_cbranch_execz .LBB1699_221
.LBB1699_284:
	v_sub_u32_e32 v22, v48, v62
	v_lshlrev_b32_e32 v22, 3, v22
	ds_write_b64 v22, v[18:19]
	s_or_b64 exec, exec, s[24:25]
	s_and_saveexec_b64 s[22:23], s[20:21]
	s_cbranch_execz .LBB1699_222
.LBB1699_285:
	v_sub_u32_e32 v18, v47, v62
	v_lshlrev_b32_e32 v18, 3, v18
	ds_write_b64 v18, v[20:21]
	s_or_b64 exec, exec, s[22:23]
	s_and_saveexec_b64 s[20:21], s[18:19]
	s_cbranch_execz .LBB1699_223
.LBB1699_286:
	v_sub_u32_e32 v18, v46, v62
	v_lshlrev_b32_e32 v18, 3, v18
	ds_write_b64 v18, v[14:15]
	s_or_b64 exec, exec, s[20:21]
	s_and_saveexec_b64 s[18:19], s[16:17]
	s_cbranch_execz .LBB1699_224
.LBB1699_287:
	v_sub_u32_e32 v14, v45, v62
	v_lshlrev_b32_e32 v14, 3, v14
	ds_write_b64 v14, v[16:17]
	s_or_b64 exec, exec, s[18:19]
	s_and_saveexec_b64 s[16:17], s[14:15]
	s_cbranch_execz .LBB1699_225
.LBB1699_288:
	v_sub_u32_e32 v14, v44, v62
	v_lshlrev_b32_e32 v14, 3, v14
	ds_write_b64 v14, v[10:11]
	s_or_b64 exec, exec, s[16:17]
	s_and_saveexec_b64 s[14:15], s[12:13]
	s_cbranch_execz .LBB1699_226
.LBB1699_289:
	v_sub_u32_e32 v10, v43, v62
	v_lshlrev_b32_e32 v10, 3, v10
	ds_write_b64 v10, v[12:13]
	s_or_b64 exec, exec, s[14:15]
	s_and_saveexec_b64 s[12:13], s[10:11]
	s_cbranch_execz .LBB1699_227
.LBB1699_290:
	v_sub_u32_e32 v10, v42, v62
	v_lshlrev_b32_e32 v10, 3, v10
	ds_write_b64 v10, v[6:7]
	s_or_b64 exec, exec, s[12:13]
	s_and_saveexec_b64 s[10:11], s[8:9]
	s_cbranch_execz .LBB1699_228
.LBB1699_291:
	v_sub_u32_e32 v6, v41, v62
	v_lshlrev_b32_e32 v6, 3, v6
	ds_write_b64 v6, v[8:9]
	s_or_b64 exec, exec, s[10:11]
	s_and_saveexec_b64 s[8:9], s[6:7]
	s_cbranch_execz .LBB1699_229
.LBB1699_292:
	v_sub_u32_e32 v6, v40, v62
	v_lshlrev_b32_e32 v6, 3, v6
	ds_write_b64 v6, v[2:3]
	s_or_b64 exec, exec, s[8:9]
	s_and_saveexec_b64 s[6:7], s[4:5]
	s_cbranch_execnz .LBB1699_230
	s_branch .LBB1699_231
.LBB1699_293:
	v_sub_u32_e32 v10, v59, v8
	v_mov_b32_e32 v11, 0
	v_lshlrev_b64 v[10:11], 3, v[10:11]
	v_add_co_u32_e32 v10, vcc, v6, v10
	v_addc_co_u32_e32 v11, vcc, v7, v11, vcc
	global_store_dwordx2 v[10:11], v[94:95], off
	s_or_b64 exec, exec, s[36:37]
	s_and_saveexec_b64 s[36:37], s[26:27]
	s_cbranch_execz .LBB1699_235
.LBB1699_294:
	v_sub_u32_e32 v10, v51, v8
	v_mov_b32_e32 v11, 0
	v_lshlrev_b64 v[10:11], 3, v[10:11]
	v_add_co_u32_e32 v10, vcc, v6, v10
	v_addc_co_u32_e32 v11, vcc, v7, v11, vcc
	global_store_dwordx2 v[10:11], v[66:67], off
	s_or_b64 exec, exec, s[36:37]
	s_and_saveexec_b64 s[36:37], s[24:25]
	s_cbranch_execz .LBB1699_236
.LBB1699_295:
	v_sub_u32_e32 v10, v50, v8
	v_mov_b32_e32 v11, 0
	v_lshlrev_b64 v[10:11], 3, v[10:11]
	v_add_co_u32_e32 v10, vcc, v6, v10
	v_addc_co_u32_e32 v11, vcc, v7, v11, vcc
	global_store_dwordx2 v[10:11], v[68:69], off
	s_or_b64 exec, exec, s[36:37]
	s_and_saveexec_b64 s[36:37], s[22:23]
	s_cbranch_execz .LBB1699_237
.LBB1699_296:
	v_sub_u32_e32 v10, v49, v8
	v_mov_b32_e32 v11, 0
	v_lshlrev_b64 v[10:11], 3, v[10:11]
	v_add_co_u32_e32 v10, vcc, v6, v10
	v_addc_co_u32_e32 v11, vcc, v7, v11, vcc
	global_store_dwordx2 v[10:11], v[70:71], off
	s_or_b64 exec, exec, s[36:37]
	s_and_saveexec_b64 s[36:37], s[20:21]
	s_cbranch_execz .LBB1699_238
.LBB1699_297:
	v_sub_u32_e32 v10, v48, v8
	v_mov_b32_e32 v11, 0
	v_lshlrev_b64 v[10:11], 3, v[10:11]
	v_add_co_u32_e32 v10, vcc, v6, v10
	v_addc_co_u32_e32 v11, vcc, v7, v11, vcc
	global_store_dwordx2 v[10:11], v[76:77], off
	s_or_b64 exec, exec, s[36:37]
	s_and_saveexec_b64 s[36:37], s[18:19]
	s_cbranch_execz .LBB1699_239
.LBB1699_298:
	v_sub_u32_e32 v10, v47, v8
	v_mov_b32_e32 v11, 0
	v_lshlrev_b64 v[10:11], 3, v[10:11]
	v_add_co_u32_e32 v10, vcc, v6, v10
	v_addc_co_u32_e32 v11, vcc, v7, v11, vcc
	global_store_dwordx2 v[10:11], v[78:79], off
	s_or_b64 exec, exec, s[36:37]
	s_and_saveexec_b64 s[36:37], s[16:17]
	s_cbranch_execz .LBB1699_240
.LBB1699_299:
	v_sub_u32_e32 v10, v46, v8
	v_mov_b32_e32 v11, 0
	v_lshlrev_b64 v[10:11], 3, v[10:11]
	v_add_co_u32_e32 v10, vcc, v6, v10
	v_addc_co_u32_e32 v11, vcc, v7, v11, vcc
	global_store_dwordx2 v[10:11], v[80:81], off
	s_or_b64 exec, exec, s[36:37]
	s_and_saveexec_b64 s[36:37], s[14:15]
	s_cbranch_execz .LBB1699_241
.LBB1699_300:
	v_sub_u32_e32 v10, v45, v8
	v_mov_b32_e32 v11, 0
	v_lshlrev_b64 v[10:11], 3, v[10:11]
	v_add_co_u32_e32 v10, vcc, v6, v10
	v_addc_co_u32_e32 v11, vcc, v7, v11, vcc
	global_store_dwordx2 v[10:11], v[82:83], off
	s_or_b64 exec, exec, s[36:37]
	s_and_saveexec_b64 s[36:37], s[12:13]
	s_cbranch_execz .LBB1699_242
.LBB1699_301:
	v_sub_u32_e32 v10, v44, v8
	v_mov_b32_e32 v11, 0
	v_lshlrev_b64 v[10:11], 3, v[10:11]
	v_add_co_u32_e32 v10, vcc, v6, v10
	v_addc_co_u32_e32 v11, vcc, v7, v11, vcc
	global_store_dwordx2 v[10:11], v[84:85], off
	s_or_b64 exec, exec, s[36:37]
	s_and_saveexec_b64 s[36:37], s[10:11]
	s_cbranch_execz .LBB1699_243
.LBB1699_302:
	v_sub_u32_e32 v10, v43, v8
	v_mov_b32_e32 v11, 0
	v_lshlrev_b64 v[10:11], 3, v[10:11]
	v_add_co_u32_e32 v10, vcc, v6, v10
	v_addc_co_u32_e32 v11, vcc, v7, v11, vcc
	global_store_dwordx2 v[10:11], v[86:87], off
	s_or_b64 exec, exec, s[36:37]
	s_and_saveexec_b64 s[36:37], s[8:9]
	s_cbranch_execz .LBB1699_244
.LBB1699_303:
	v_sub_u32_e32 v10, v42, v8
	v_mov_b32_e32 v11, 0
	v_lshlrev_b64 v[10:11], 3, v[10:11]
	v_add_co_u32_e32 v10, vcc, v6, v10
	v_addc_co_u32_e32 v11, vcc, v7, v11, vcc
	global_store_dwordx2 v[10:11], v[88:89], off
	s_or_b64 exec, exec, s[36:37]
	s_and_saveexec_b64 s[36:37], s[6:7]
	s_cbranch_execz .LBB1699_245
.LBB1699_304:
	v_sub_u32_e32 v10, v41, v8
	v_mov_b32_e32 v11, 0
	v_lshlrev_b64 v[10:11], 3, v[10:11]
	v_add_co_u32_e32 v10, vcc, v6, v10
	v_addc_co_u32_e32 v11, vcc, v7, v11, vcc
	global_store_dwordx2 v[10:11], v[90:91], off
	s_or_b64 exec, exec, s[36:37]
	s_and_saveexec_b64 s[36:37], s[4:5]
	s_cbranch_execz .LBB1699_246
.LBB1699_305:
	v_sub_u32_e32 v10, v40, v8
	v_mov_b32_e32 v11, 0
	v_lshlrev_b64 v[10:11], 3, v[10:11]
	v_add_co_u32_e32 v10, vcc, v6, v10
	v_addc_co_u32_e32 v11, vcc, v7, v11, vcc
	global_store_dwordx2 v[10:11], v[92:93], off
	s_or_b64 exec, exec, s[36:37]
	s_and_saveexec_b64 s[36:37], s[2:3]
	s_cbranch_execnz .LBB1699_247
	s_branch .LBB1699_248
.LBB1699_306:
	v_sub_u32_e32 v9, v59, v8
	v_lshlrev_b32_e32 v9, 3, v9
	ds_write_b64 v9, v[94:95]
	s_or_b64 exec, exec, s[36:37]
	s_and_saveexec_b64 s[28:29], s[26:27]
	s_cbranch_execz .LBB1699_252
.LBB1699_307:
	v_sub_u32_e32 v9, v51, v8
	v_lshlrev_b32_e32 v9, 3, v9
	ds_write_b64 v9, v[66:67]
	s_or_b64 exec, exec, s[28:29]
	s_and_saveexec_b64 s[26:27], s[24:25]
	s_cbranch_execz .LBB1699_253
.LBB1699_308:
	v_sub_u32_e32 v9, v50, v8
	v_lshlrev_b32_e32 v9, 3, v9
	ds_write_b64 v9, v[68:69]
	s_or_b64 exec, exec, s[26:27]
	s_and_saveexec_b64 s[24:25], s[22:23]
	s_cbranch_execz .LBB1699_254
.LBB1699_309:
	v_sub_u32_e32 v9, v49, v8
	v_lshlrev_b32_e32 v9, 3, v9
	ds_write_b64 v9, v[70:71]
	s_or_b64 exec, exec, s[24:25]
	s_and_saveexec_b64 s[22:23], s[20:21]
	s_cbranch_execz .LBB1699_255
.LBB1699_310:
	v_sub_u32_e32 v9, v48, v8
	v_lshlrev_b32_e32 v9, 3, v9
	ds_write_b64 v9, v[76:77]
	s_or_b64 exec, exec, s[22:23]
	s_and_saveexec_b64 s[20:21], s[18:19]
	s_cbranch_execz .LBB1699_256
.LBB1699_311:
	v_sub_u32_e32 v9, v47, v8
	v_lshlrev_b32_e32 v9, 3, v9
	ds_write_b64 v9, v[78:79]
	s_or_b64 exec, exec, s[20:21]
	s_and_saveexec_b64 s[18:19], s[16:17]
	s_cbranch_execz .LBB1699_257
.LBB1699_312:
	v_sub_u32_e32 v9, v46, v8
	v_lshlrev_b32_e32 v9, 3, v9
	ds_write_b64 v9, v[80:81]
	s_or_b64 exec, exec, s[18:19]
	s_and_saveexec_b64 s[16:17], s[14:15]
	s_cbranch_execz .LBB1699_258
.LBB1699_313:
	v_sub_u32_e32 v9, v45, v8
	v_lshlrev_b32_e32 v9, 3, v9
	ds_write_b64 v9, v[82:83]
	s_or_b64 exec, exec, s[16:17]
	s_and_saveexec_b64 s[14:15], s[12:13]
	s_cbranch_execz .LBB1699_259
.LBB1699_314:
	v_sub_u32_e32 v9, v44, v8
	v_lshlrev_b32_e32 v9, 3, v9
	ds_write_b64 v9, v[84:85]
	s_or_b64 exec, exec, s[14:15]
	s_and_saveexec_b64 s[12:13], s[10:11]
	s_cbranch_execz .LBB1699_260
.LBB1699_315:
	v_sub_u32_e32 v9, v43, v8
	v_lshlrev_b32_e32 v9, 3, v9
	ds_write_b64 v9, v[86:87]
	s_or_b64 exec, exec, s[12:13]
	s_and_saveexec_b64 s[10:11], s[8:9]
	s_cbranch_execz .LBB1699_261
.LBB1699_316:
	v_sub_u32_e32 v9, v42, v8
	v_lshlrev_b32_e32 v9, 3, v9
	ds_write_b64 v9, v[88:89]
	s_or_b64 exec, exec, s[10:11]
	s_and_saveexec_b64 s[8:9], s[6:7]
	s_cbranch_execz .LBB1699_262
.LBB1699_317:
	v_sub_u32_e32 v9, v41, v8
	v_lshlrev_b32_e32 v9, 3, v9
	ds_write_b64 v9, v[90:91]
	s_or_b64 exec, exec, s[8:9]
	s_and_saveexec_b64 s[6:7], s[4:5]
	s_cbranch_execz .LBB1699_263
.LBB1699_318:
	v_sub_u32_e32 v9, v40, v8
	v_lshlrev_b32_e32 v9, 3, v9
	ds_write_b64 v9, v[92:93]
	s_or_b64 exec, exec, s[6:7]
	s_and_saveexec_b64 s[4:5], s[2:3]
	s_cbranch_execnz .LBB1699_264
	s_branch .LBB1699_265
	.section	.rodata,"a",@progbits
	.p2align	6, 0x0
	.amdhsa_kernel _ZN7rocprim17ROCPRIM_400000_NS6detail17trampoline_kernelINS0_14default_configENS1_29reduce_by_key_config_selectorIdlN6thrust23THRUST_200600_302600_NS4plusIlEEEEZZNS1_33reduce_by_key_impl_wrapped_configILNS1_25lookback_scan_determinismE0ES3_S9_PdNS6_17constant_iteratorIiNS6_11use_defaultESE_EENS6_10device_ptrIdEENSG_IlEEPmS8_NS6_8equal_toIdEEEE10hipError_tPvRmT2_T3_mT4_T5_T6_T7_T8_P12ihipStream_tbENKUlT_T0_E_clISt17integral_constantIbLb1EES13_EEDaSY_SZ_EUlSY_E_NS1_11comp_targetILNS1_3genE4ELNS1_11target_archE910ELNS1_3gpuE8ELNS1_3repE0EEENS1_30default_config_static_selectorELNS0_4arch9wavefront6targetE1EEEvT1_
		.amdhsa_group_segment_fixed_size 30720
		.amdhsa_private_segment_fixed_size 0
		.amdhsa_kernarg_size 144
		.amdhsa_user_sgpr_count 6
		.amdhsa_user_sgpr_private_segment_buffer 1
		.amdhsa_user_sgpr_dispatch_ptr 0
		.amdhsa_user_sgpr_queue_ptr 0
		.amdhsa_user_sgpr_kernarg_segment_ptr 1
		.amdhsa_user_sgpr_dispatch_id 0
		.amdhsa_user_sgpr_flat_scratch_init 0
		.amdhsa_user_sgpr_kernarg_preload_length 0
		.amdhsa_user_sgpr_kernarg_preload_offset 0
		.amdhsa_user_sgpr_private_segment_size 0
		.amdhsa_uses_dynamic_stack 0
		.amdhsa_system_sgpr_private_segment_wavefront_offset 0
		.amdhsa_system_sgpr_workgroup_id_x 1
		.amdhsa_system_sgpr_workgroup_id_y 0
		.amdhsa_system_sgpr_workgroup_id_z 0
		.amdhsa_system_sgpr_workgroup_info 0
		.amdhsa_system_vgpr_workitem_id 0
		.amdhsa_next_free_vgpr 118
		.amdhsa_next_free_sgpr 66
		.amdhsa_accum_offset 120
		.amdhsa_reserve_vcc 1
		.amdhsa_reserve_flat_scratch 0
		.amdhsa_float_round_mode_32 0
		.amdhsa_float_round_mode_16_64 0
		.amdhsa_float_denorm_mode_32 3
		.amdhsa_float_denorm_mode_16_64 3
		.amdhsa_dx10_clamp 1
		.amdhsa_ieee_mode 1
		.amdhsa_fp16_overflow 0
		.amdhsa_tg_split 0
		.amdhsa_exception_fp_ieee_invalid_op 0
		.amdhsa_exception_fp_denorm_src 0
		.amdhsa_exception_fp_ieee_div_zero 0
		.amdhsa_exception_fp_ieee_overflow 0
		.amdhsa_exception_fp_ieee_underflow 0
		.amdhsa_exception_fp_ieee_inexact 0
		.amdhsa_exception_int_div_zero 0
	.end_amdhsa_kernel
	.section	.text._ZN7rocprim17ROCPRIM_400000_NS6detail17trampoline_kernelINS0_14default_configENS1_29reduce_by_key_config_selectorIdlN6thrust23THRUST_200600_302600_NS4plusIlEEEEZZNS1_33reduce_by_key_impl_wrapped_configILNS1_25lookback_scan_determinismE0ES3_S9_PdNS6_17constant_iteratorIiNS6_11use_defaultESE_EENS6_10device_ptrIdEENSG_IlEEPmS8_NS6_8equal_toIdEEEE10hipError_tPvRmT2_T3_mT4_T5_T6_T7_T8_P12ihipStream_tbENKUlT_T0_E_clISt17integral_constantIbLb1EES13_EEDaSY_SZ_EUlSY_E_NS1_11comp_targetILNS1_3genE4ELNS1_11target_archE910ELNS1_3gpuE8ELNS1_3repE0EEENS1_30default_config_static_selectorELNS0_4arch9wavefront6targetE1EEEvT1_,"axG",@progbits,_ZN7rocprim17ROCPRIM_400000_NS6detail17trampoline_kernelINS0_14default_configENS1_29reduce_by_key_config_selectorIdlN6thrust23THRUST_200600_302600_NS4plusIlEEEEZZNS1_33reduce_by_key_impl_wrapped_configILNS1_25lookback_scan_determinismE0ES3_S9_PdNS6_17constant_iteratorIiNS6_11use_defaultESE_EENS6_10device_ptrIdEENSG_IlEEPmS8_NS6_8equal_toIdEEEE10hipError_tPvRmT2_T3_mT4_T5_T6_T7_T8_P12ihipStream_tbENKUlT_T0_E_clISt17integral_constantIbLb1EES13_EEDaSY_SZ_EUlSY_E_NS1_11comp_targetILNS1_3genE4ELNS1_11target_archE910ELNS1_3gpuE8ELNS1_3repE0EEENS1_30default_config_static_selectorELNS0_4arch9wavefront6targetE1EEEvT1_,comdat
.Lfunc_end1699:
	.size	_ZN7rocprim17ROCPRIM_400000_NS6detail17trampoline_kernelINS0_14default_configENS1_29reduce_by_key_config_selectorIdlN6thrust23THRUST_200600_302600_NS4plusIlEEEEZZNS1_33reduce_by_key_impl_wrapped_configILNS1_25lookback_scan_determinismE0ES3_S9_PdNS6_17constant_iteratorIiNS6_11use_defaultESE_EENS6_10device_ptrIdEENSG_IlEEPmS8_NS6_8equal_toIdEEEE10hipError_tPvRmT2_T3_mT4_T5_T6_T7_T8_P12ihipStream_tbENKUlT_T0_E_clISt17integral_constantIbLb1EES13_EEDaSY_SZ_EUlSY_E_NS1_11comp_targetILNS1_3genE4ELNS1_11target_archE910ELNS1_3gpuE8ELNS1_3repE0EEENS1_30default_config_static_selectorELNS0_4arch9wavefront6targetE1EEEvT1_, .Lfunc_end1699-_ZN7rocprim17ROCPRIM_400000_NS6detail17trampoline_kernelINS0_14default_configENS1_29reduce_by_key_config_selectorIdlN6thrust23THRUST_200600_302600_NS4plusIlEEEEZZNS1_33reduce_by_key_impl_wrapped_configILNS1_25lookback_scan_determinismE0ES3_S9_PdNS6_17constant_iteratorIiNS6_11use_defaultESE_EENS6_10device_ptrIdEENSG_IlEEPmS8_NS6_8equal_toIdEEEE10hipError_tPvRmT2_T3_mT4_T5_T6_T7_T8_P12ihipStream_tbENKUlT_T0_E_clISt17integral_constantIbLb1EES13_EEDaSY_SZ_EUlSY_E_NS1_11comp_targetILNS1_3genE4ELNS1_11target_archE910ELNS1_3gpuE8ELNS1_3repE0EEENS1_30default_config_static_selectorELNS0_4arch9wavefront6targetE1EEEvT1_
                                        ; -- End function
	.section	.AMDGPU.csdata,"",@progbits
; Kernel info:
; codeLenInByte = 16016
; NumSgprs: 70
; NumVgprs: 118
; NumAgprs: 0
; TotalNumVgprs: 118
; ScratchSize: 0
; MemoryBound: 0
; FloatMode: 240
; IeeeMode: 1
; LDSByteSize: 30720 bytes/workgroup (compile time only)
; SGPRBlocks: 8
; VGPRBlocks: 14
; NumSGPRsForWavesPerEU: 70
; NumVGPRsForWavesPerEU: 118
; AccumOffset: 120
; Occupancy: 2
; WaveLimiterHint : 1
; COMPUTE_PGM_RSRC2:SCRATCH_EN: 0
; COMPUTE_PGM_RSRC2:USER_SGPR: 6
; COMPUTE_PGM_RSRC2:TRAP_HANDLER: 0
; COMPUTE_PGM_RSRC2:TGID_X_EN: 1
; COMPUTE_PGM_RSRC2:TGID_Y_EN: 0
; COMPUTE_PGM_RSRC2:TGID_Z_EN: 0
; COMPUTE_PGM_RSRC2:TIDIG_COMP_CNT: 0
; COMPUTE_PGM_RSRC3_GFX90A:ACCUM_OFFSET: 29
; COMPUTE_PGM_RSRC3_GFX90A:TG_SPLIT: 0
	.section	.text._ZN7rocprim17ROCPRIM_400000_NS6detail17trampoline_kernelINS0_14default_configENS1_29reduce_by_key_config_selectorIdlN6thrust23THRUST_200600_302600_NS4plusIlEEEEZZNS1_33reduce_by_key_impl_wrapped_configILNS1_25lookback_scan_determinismE0ES3_S9_PdNS6_17constant_iteratorIiNS6_11use_defaultESE_EENS6_10device_ptrIdEENSG_IlEEPmS8_NS6_8equal_toIdEEEE10hipError_tPvRmT2_T3_mT4_T5_T6_T7_T8_P12ihipStream_tbENKUlT_T0_E_clISt17integral_constantIbLb1EES13_EEDaSY_SZ_EUlSY_E_NS1_11comp_targetILNS1_3genE3ELNS1_11target_archE908ELNS1_3gpuE7ELNS1_3repE0EEENS1_30default_config_static_selectorELNS0_4arch9wavefront6targetE1EEEvT1_,"axG",@progbits,_ZN7rocprim17ROCPRIM_400000_NS6detail17trampoline_kernelINS0_14default_configENS1_29reduce_by_key_config_selectorIdlN6thrust23THRUST_200600_302600_NS4plusIlEEEEZZNS1_33reduce_by_key_impl_wrapped_configILNS1_25lookback_scan_determinismE0ES3_S9_PdNS6_17constant_iteratorIiNS6_11use_defaultESE_EENS6_10device_ptrIdEENSG_IlEEPmS8_NS6_8equal_toIdEEEE10hipError_tPvRmT2_T3_mT4_T5_T6_T7_T8_P12ihipStream_tbENKUlT_T0_E_clISt17integral_constantIbLb1EES13_EEDaSY_SZ_EUlSY_E_NS1_11comp_targetILNS1_3genE3ELNS1_11target_archE908ELNS1_3gpuE7ELNS1_3repE0EEENS1_30default_config_static_selectorELNS0_4arch9wavefront6targetE1EEEvT1_,comdat
	.protected	_ZN7rocprim17ROCPRIM_400000_NS6detail17trampoline_kernelINS0_14default_configENS1_29reduce_by_key_config_selectorIdlN6thrust23THRUST_200600_302600_NS4plusIlEEEEZZNS1_33reduce_by_key_impl_wrapped_configILNS1_25lookback_scan_determinismE0ES3_S9_PdNS6_17constant_iteratorIiNS6_11use_defaultESE_EENS6_10device_ptrIdEENSG_IlEEPmS8_NS6_8equal_toIdEEEE10hipError_tPvRmT2_T3_mT4_T5_T6_T7_T8_P12ihipStream_tbENKUlT_T0_E_clISt17integral_constantIbLb1EES13_EEDaSY_SZ_EUlSY_E_NS1_11comp_targetILNS1_3genE3ELNS1_11target_archE908ELNS1_3gpuE7ELNS1_3repE0EEENS1_30default_config_static_selectorELNS0_4arch9wavefront6targetE1EEEvT1_ ; -- Begin function _ZN7rocprim17ROCPRIM_400000_NS6detail17trampoline_kernelINS0_14default_configENS1_29reduce_by_key_config_selectorIdlN6thrust23THRUST_200600_302600_NS4plusIlEEEEZZNS1_33reduce_by_key_impl_wrapped_configILNS1_25lookback_scan_determinismE0ES3_S9_PdNS6_17constant_iteratorIiNS6_11use_defaultESE_EENS6_10device_ptrIdEENSG_IlEEPmS8_NS6_8equal_toIdEEEE10hipError_tPvRmT2_T3_mT4_T5_T6_T7_T8_P12ihipStream_tbENKUlT_T0_E_clISt17integral_constantIbLb1EES13_EEDaSY_SZ_EUlSY_E_NS1_11comp_targetILNS1_3genE3ELNS1_11target_archE908ELNS1_3gpuE7ELNS1_3repE0EEENS1_30default_config_static_selectorELNS0_4arch9wavefront6targetE1EEEvT1_
	.globl	_ZN7rocprim17ROCPRIM_400000_NS6detail17trampoline_kernelINS0_14default_configENS1_29reduce_by_key_config_selectorIdlN6thrust23THRUST_200600_302600_NS4plusIlEEEEZZNS1_33reduce_by_key_impl_wrapped_configILNS1_25lookback_scan_determinismE0ES3_S9_PdNS6_17constant_iteratorIiNS6_11use_defaultESE_EENS6_10device_ptrIdEENSG_IlEEPmS8_NS6_8equal_toIdEEEE10hipError_tPvRmT2_T3_mT4_T5_T6_T7_T8_P12ihipStream_tbENKUlT_T0_E_clISt17integral_constantIbLb1EES13_EEDaSY_SZ_EUlSY_E_NS1_11comp_targetILNS1_3genE3ELNS1_11target_archE908ELNS1_3gpuE7ELNS1_3repE0EEENS1_30default_config_static_selectorELNS0_4arch9wavefront6targetE1EEEvT1_
	.p2align	8
	.type	_ZN7rocprim17ROCPRIM_400000_NS6detail17trampoline_kernelINS0_14default_configENS1_29reduce_by_key_config_selectorIdlN6thrust23THRUST_200600_302600_NS4plusIlEEEEZZNS1_33reduce_by_key_impl_wrapped_configILNS1_25lookback_scan_determinismE0ES3_S9_PdNS6_17constant_iteratorIiNS6_11use_defaultESE_EENS6_10device_ptrIdEENSG_IlEEPmS8_NS6_8equal_toIdEEEE10hipError_tPvRmT2_T3_mT4_T5_T6_T7_T8_P12ihipStream_tbENKUlT_T0_E_clISt17integral_constantIbLb1EES13_EEDaSY_SZ_EUlSY_E_NS1_11comp_targetILNS1_3genE3ELNS1_11target_archE908ELNS1_3gpuE7ELNS1_3repE0EEENS1_30default_config_static_selectorELNS0_4arch9wavefront6targetE1EEEvT1_,@function
_ZN7rocprim17ROCPRIM_400000_NS6detail17trampoline_kernelINS0_14default_configENS1_29reduce_by_key_config_selectorIdlN6thrust23THRUST_200600_302600_NS4plusIlEEEEZZNS1_33reduce_by_key_impl_wrapped_configILNS1_25lookback_scan_determinismE0ES3_S9_PdNS6_17constant_iteratorIiNS6_11use_defaultESE_EENS6_10device_ptrIdEENSG_IlEEPmS8_NS6_8equal_toIdEEEE10hipError_tPvRmT2_T3_mT4_T5_T6_T7_T8_P12ihipStream_tbENKUlT_T0_E_clISt17integral_constantIbLb1EES13_EEDaSY_SZ_EUlSY_E_NS1_11comp_targetILNS1_3genE3ELNS1_11target_archE908ELNS1_3gpuE7ELNS1_3repE0EEENS1_30default_config_static_selectorELNS0_4arch9wavefront6targetE1EEEvT1_: ; @_ZN7rocprim17ROCPRIM_400000_NS6detail17trampoline_kernelINS0_14default_configENS1_29reduce_by_key_config_selectorIdlN6thrust23THRUST_200600_302600_NS4plusIlEEEEZZNS1_33reduce_by_key_impl_wrapped_configILNS1_25lookback_scan_determinismE0ES3_S9_PdNS6_17constant_iteratorIiNS6_11use_defaultESE_EENS6_10device_ptrIdEENSG_IlEEPmS8_NS6_8equal_toIdEEEE10hipError_tPvRmT2_T3_mT4_T5_T6_T7_T8_P12ihipStream_tbENKUlT_T0_E_clISt17integral_constantIbLb1EES13_EEDaSY_SZ_EUlSY_E_NS1_11comp_targetILNS1_3genE3ELNS1_11target_archE908ELNS1_3gpuE7ELNS1_3repE0EEENS1_30default_config_static_selectorELNS0_4arch9wavefront6targetE1EEEvT1_
; %bb.0:
	.section	.rodata,"a",@progbits
	.p2align	6, 0x0
	.amdhsa_kernel _ZN7rocprim17ROCPRIM_400000_NS6detail17trampoline_kernelINS0_14default_configENS1_29reduce_by_key_config_selectorIdlN6thrust23THRUST_200600_302600_NS4plusIlEEEEZZNS1_33reduce_by_key_impl_wrapped_configILNS1_25lookback_scan_determinismE0ES3_S9_PdNS6_17constant_iteratorIiNS6_11use_defaultESE_EENS6_10device_ptrIdEENSG_IlEEPmS8_NS6_8equal_toIdEEEE10hipError_tPvRmT2_T3_mT4_T5_T6_T7_T8_P12ihipStream_tbENKUlT_T0_E_clISt17integral_constantIbLb1EES13_EEDaSY_SZ_EUlSY_E_NS1_11comp_targetILNS1_3genE3ELNS1_11target_archE908ELNS1_3gpuE7ELNS1_3repE0EEENS1_30default_config_static_selectorELNS0_4arch9wavefront6targetE1EEEvT1_
		.amdhsa_group_segment_fixed_size 0
		.amdhsa_private_segment_fixed_size 0
		.amdhsa_kernarg_size 144
		.amdhsa_user_sgpr_count 6
		.amdhsa_user_sgpr_private_segment_buffer 1
		.amdhsa_user_sgpr_dispatch_ptr 0
		.amdhsa_user_sgpr_queue_ptr 0
		.amdhsa_user_sgpr_kernarg_segment_ptr 1
		.amdhsa_user_sgpr_dispatch_id 0
		.amdhsa_user_sgpr_flat_scratch_init 0
		.amdhsa_user_sgpr_kernarg_preload_length 0
		.amdhsa_user_sgpr_kernarg_preload_offset 0
		.amdhsa_user_sgpr_private_segment_size 0
		.amdhsa_uses_dynamic_stack 0
		.amdhsa_system_sgpr_private_segment_wavefront_offset 0
		.amdhsa_system_sgpr_workgroup_id_x 1
		.amdhsa_system_sgpr_workgroup_id_y 0
		.amdhsa_system_sgpr_workgroup_id_z 0
		.amdhsa_system_sgpr_workgroup_info 0
		.amdhsa_system_vgpr_workitem_id 0
		.amdhsa_next_free_vgpr 1
		.amdhsa_next_free_sgpr 0
		.amdhsa_accum_offset 4
		.amdhsa_reserve_vcc 0
		.amdhsa_reserve_flat_scratch 0
		.amdhsa_float_round_mode_32 0
		.amdhsa_float_round_mode_16_64 0
		.amdhsa_float_denorm_mode_32 3
		.amdhsa_float_denorm_mode_16_64 3
		.amdhsa_dx10_clamp 1
		.amdhsa_ieee_mode 1
		.amdhsa_fp16_overflow 0
		.amdhsa_tg_split 0
		.amdhsa_exception_fp_ieee_invalid_op 0
		.amdhsa_exception_fp_denorm_src 0
		.amdhsa_exception_fp_ieee_div_zero 0
		.amdhsa_exception_fp_ieee_overflow 0
		.amdhsa_exception_fp_ieee_underflow 0
		.amdhsa_exception_fp_ieee_inexact 0
		.amdhsa_exception_int_div_zero 0
	.end_amdhsa_kernel
	.section	.text._ZN7rocprim17ROCPRIM_400000_NS6detail17trampoline_kernelINS0_14default_configENS1_29reduce_by_key_config_selectorIdlN6thrust23THRUST_200600_302600_NS4plusIlEEEEZZNS1_33reduce_by_key_impl_wrapped_configILNS1_25lookback_scan_determinismE0ES3_S9_PdNS6_17constant_iteratorIiNS6_11use_defaultESE_EENS6_10device_ptrIdEENSG_IlEEPmS8_NS6_8equal_toIdEEEE10hipError_tPvRmT2_T3_mT4_T5_T6_T7_T8_P12ihipStream_tbENKUlT_T0_E_clISt17integral_constantIbLb1EES13_EEDaSY_SZ_EUlSY_E_NS1_11comp_targetILNS1_3genE3ELNS1_11target_archE908ELNS1_3gpuE7ELNS1_3repE0EEENS1_30default_config_static_selectorELNS0_4arch9wavefront6targetE1EEEvT1_,"axG",@progbits,_ZN7rocprim17ROCPRIM_400000_NS6detail17trampoline_kernelINS0_14default_configENS1_29reduce_by_key_config_selectorIdlN6thrust23THRUST_200600_302600_NS4plusIlEEEEZZNS1_33reduce_by_key_impl_wrapped_configILNS1_25lookback_scan_determinismE0ES3_S9_PdNS6_17constant_iteratorIiNS6_11use_defaultESE_EENS6_10device_ptrIdEENSG_IlEEPmS8_NS6_8equal_toIdEEEE10hipError_tPvRmT2_T3_mT4_T5_T6_T7_T8_P12ihipStream_tbENKUlT_T0_E_clISt17integral_constantIbLb1EES13_EEDaSY_SZ_EUlSY_E_NS1_11comp_targetILNS1_3genE3ELNS1_11target_archE908ELNS1_3gpuE7ELNS1_3repE0EEENS1_30default_config_static_selectorELNS0_4arch9wavefront6targetE1EEEvT1_,comdat
.Lfunc_end1700:
	.size	_ZN7rocprim17ROCPRIM_400000_NS6detail17trampoline_kernelINS0_14default_configENS1_29reduce_by_key_config_selectorIdlN6thrust23THRUST_200600_302600_NS4plusIlEEEEZZNS1_33reduce_by_key_impl_wrapped_configILNS1_25lookback_scan_determinismE0ES3_S9_PdNS6_17constant_iteratorIiNS6_11use_defaultESE_EENS6_10device_ptrIdEENSG_IlEEPmS8_NS6_8equal_toIdEEEE10hipError_tPvRmT2_T3_mT4_T5_T6_T7_T8_P12ihipStream_tbENKUlT_T0_E_clISt17integral_constantIbLb1EES13_EEDaSY_SZ_EUlSY_E_NS1_11comp_targetILNS1_3genE3ELNS1_11target_archE908ELNS1_3gpuE7ELNS1_3repE0EEENS1_30default_config_static_selectorELNS0_4arch9wavefront6targetE1EEEvT1_, .Lfunc_end1700-_ZN7rocprim17ROCPRIM_400000_NS6detail17trampoline_kernelINS0_14default_configENS1_29reduce_by_key_config_selectorIdlN6thrust23THRUST_200600_302600_NS4plusIlEEEEZZNS1_33reduce_by_key_impl_wrapped_configILNS1_25lookback_scan_determinismE0ES3_S9_PdNS6_17constant_iteratorIiNS6_11use_defaultESE_EENS6_10device_ptrIdEENSG_IlEEPmS8_NS6_8equal_toIdEEEE10hipError_tPvRmT2_T3_mT4_T5_T6_T7_T8_P12ihipStream_tbENKUlT_T0_E_clISt17integral_constantIbLb1EES13_EEDaSY_SZ_EUlSY_E_NS1_11comp_targetILNS1_3genE3ELNS1_11target_archE908ELNS1_3gpuE7ELNS1_3repE0EEENS1_30default_config_static_selectorELNS0_4arch9wavefront6targetE1EEEvT1_
                                        ; -- End function
	.section	.AMDGPU.csdata,"",@progbits
; Kernel info:
; codeLenInByte = 0
; NumSgprs: 4
; NumVgprs: 0
; NumAgprs: 0
; TotalNumVgprs: 0
; ScratchSize: 0
; MemoryBound: 0
; FloatMode: 240
; IeeeMode: 1
; LDSByteSize: 0 bytes/workgroup (compile time only)
; SGPRBlocks: 0
; VGPRBlocks: 0
; NumSGPRsForWavesPerEU: 4
; NumVGPRsForWavesPerEU: 1
; AccumOffset: 4
; Occupancy: 8
; WaveLimiterHint : 0
; COMPUTE_PGM_RSRC2:SCRATCH_EN: 0
; COMPUTE_PGM_RSRC2:USER_SGPR: 6
; COMPUTE_PGM_RSRC2:TRAP_HANDLER: 0
; COMPUTE_PGM_RSRC2:TGID_X_EN: 1
; COMPUTE_PGM_RSRC2:TGID_Y_EN: 0
; COMPUTE_PGM_RSRC2:TGID_Z_EN: 0
; COMPUTE_PGM_RSRC2:TIDIG_COMP_CNT: 0
; COMPUTE_PGM_RSRC3_GFX90A:ACCUM_OFFSET: 0
; COMPUTE_PGM_RSRC3_GFX90A:TG_SPLIT: 0
	.section	.text._ZN7rocprim17ROCPRIM_400000_NS6detail17trampoline_kernelINS0_14default_configENS1_29reduce_by_key_config_selectorIdlN6thrust23THRUST_200600_302600_NS4plusIlEEEEZZNS1_33reduce_by_key_impl_wrapped_configILNS1_25lookback_scan_determinismE0ES3_S9_PdNS6_17constant_iteratorIiNS6_11use_defaultESE_EENS6_10device_ptrIdEENSG_IlEEPmS8_NS6_8equal_toIdEEEE10hipError_tPvRmT2_T3_mT4_T5_T6_T7_T8_P12ihipStream_tbENKUlT_T0_E_clISt17integral_constantIbLb1EES13_EEDaSY_SZ_EUlSY_E_NS1_11comp_targetILNS1_3genE2ELNS1_11target_archE906ELNS1_3gpuE6ELNS1_3repE0EEENS1_30default_config_static_selectorELNS0_4arch9wavefront6targetE1EEEvT1_,"axG",@progbits,_ZN7rocprim17ROCPRIM_400000_NS6detail17trampoline_kernelINS0_14default_configENS1_29reduce_by_key_config_selectorIdlN6thrust23THRUST_200600_302600_NS4plusIlEEEEZZNS1_33reduce_by_key_impl_wrapped_configILNS1_25lookback_scan_determinismE0ES3_S9_PdNS6_17constant_iteratorIiNS6_11use_defaultESE_EENS6_10device_ptrIdEENSG_IlEEPmS8_NS6_8equal_toIdEEEE10hipError_tPvRmT2_T3_mT4_T5_T6_T7_T8_P12ihipStream_tbENKUlT_T0_E_clISt17integral_constantIbLb1EES13_EEDaSY_SZ_EUlSY_E_NS1_11comp_targetILNS1_3genE2ELNS1_11target_archE906ELNS1_3gpuE6ELNS1_3repE0EEENS1_30default_config_static_selectorELNS0_4arch9wavefront6targetE1EEEvT1_,comdat
	.protected	_ZN7rocprim17ROCPRIM_400000_NS6detail17trampoline_kernelINS0_14default_configENS1_29reduce_by_key_config_selectorIdlN6thrust23THRUST_200600_302600_NS4plusIlEEEEZZNS1_33reduce_by_key_impl_wrapped_configILNS1_25lookback_scan_determinismE0ES3_S9_PdNS6_17constant_iteratorIiNS6_11use_defaultESE_EENS6_10device_ptrIdEENSG_IlEEPmS8_NS6_8equal_toIdEEEE10hipError_tPvRmT2_T3_mT4_T5_T6_T7_T8_P12ihipStream_tbENKUlT_T0_E_clISt17integral_constantIbLb1EES13_EEDaSY_SZ_EUlSY_E_NS1_11comp_targetILNS1_3genE2ELNS1_11target_archE906ELNS1_3gpuE6ELNS1_3repE0EEENS1_30default_config_static_selectorELNS0_4arch9wavefront6targetE1EEEvT1_ ; -- Begin function _ZN7rocprim17ROCPRIM_400000_NS6detail17trampoline_kernelINS0_14default_configENS1_29reduce_by_key_config_selectorIdlN6thrust23THRUST_200600_302600_NS4plusIlEEEEZZNS1_33reduce_by_key_impl_wrapped_configILNS1_25lookback_scan_determinismE0ES3_S9_PdNS6_17constant_iteratorIiNS6_11use_defaultESE_EENS6_10device_ptrIdEENSG_IlEEPmS8_NS6_8equal_toIdEEEE10hipError_tPvRmT2_T3_mT4_T5_T6_T7_T8_P12ihipStream_tbENKUlT_T0_E_clISt17integral_constantIbLb1EES13_EEDaSY_SZ_EUlSY_E_NS1_11comp_targetILNS1_3genE2ELNS1_11target_archE906ELNS1_3gpuE6ELNS1_3repE0EEENS1_30default_config_static_selectorELNS0_4arch9wavefront6targetE1EEEvT1_
	.globl	_ZN7rocprim17ROCPRIM_400000_NS6detail17trampoline_kernelINS0_14default_configENS1_29reduce_by_key_config_selectorIdlN6thrust23THRUST_200600_302600_NS4plusIlEEEEZZNS1_33reduce_by_key_impl_wrapped_configILNS1_25lookback_scan_determinismE0ES3_S9_PdNS6_17constant_iteratorIiNS6_11use_defaultESE_EENS6_10device_ptrIdEENSG_IlEEPmS8_NS6_8equal_toIdEEEE10hipError_tPvRmT2_T3_mT4_T5_T6_T7_T8_P12ihipStream_tbENKUlT_T0_E_clISt17integral_constantIbLb1EES13_EEDaSY_SZ_EUlSY_E_NS1_11comp_targetILNS1_3genE2ELNS1_11target_archE906ELNS1_3gpuE6ELNS1_3repE0EEENS1_30default_config_static_selectorELNS0_4arch9wavefront6targetE1EEEvT1_
	.p2align	8
	.type	_ZN7rocprim17ROCPRIM_400000_NS6detail17trampoline_kernelINS0_14default_configENS1_29reduce_by_key_config_selectorIdlN6thrust23THRUST_200600_302600_NS4plusIlEEEEZZNS1_33reduce_by_key_impl_wrapped_configILNS1_25lookback_scan_determinismE0ES3_S9_PdNS6_17constant_iteratorIiNS6_11use_defaultESE_EENS6_10device_ptrIdEENSG_IlEEPmS8_NS6_8equal_toIdEEEE10hipError_tPvRmT2_T3_mT4_T5_T6_T7_T8_P12ihipStream_tbENKUlT_T0_E_clISt17integral_constantIbLb1EES13_EEDaSY_SZ_EUlSY_E_NS1_11comp_targetILNS1_3genE2ELNS1_11target_archE906ELNS1_3gpuE6ELNS1_3repE0EEENS1_30default_config_static_selectorELNS0_4arch9wavefront6targetE1EEEvT1_,@function
_ZN7rocprim17ROCPRIM_400000_NS6detail17trampoline_kernelINS0_14default_configENS1_29reduce_by_key_config_selectorIdlN6thrust23THRUST_200600_302600_NS4plusIlEEEEZZNS1_33reduce_by_key_impl_wrapped_configILNS1_25lookback_scan_determinismE0ES3_S9_PdNS6_17constant_iteratorIiNS6_11use_defaultESE_EENS6_10device_ptrIdEENSG_IlEEPmS8_NS6_8equal_toIdEEEE10hipError_tPvRmT2_T3_mT4_T5_T6_T7_T8_P12ihipStream_tbENKUlT_T0_E_clISt17integral_constantIbLb1EES13_EEDaSY_SZ_EUlSY_E_NS1_11comp_targetILNS1_3genE2ELNS1_11target_archE906ELNS1_3gpuE6ELNS1_3repE0EEENS1_30default_config_static_selectorELNS0_4arch9wavefront6targetE1EEEvT1_: ; @_ZN7rocprim17ROCPRIM_400000_NS6detail17trampoline_kernelINS0_14default_configENS1_29reduce_by_key_config_selectorIdlN6thrust23THRUST_200600_302600_NS4plusIlEEEEZZNS1_33reduce_by_key_impl_wrapped_configILNS1_25lookback_scan_determinismE0ES3_S9_PdNS6_17constant_iteratorIiNS6_11use_defaultESE_EENS6_10device_ptrIdEENSG_IlEEPmS8_NS6_8equal_toIdEEEE10hipError_tPvRmT2_T3_mT4_T5_T6_T7_T8_P12ihipStream_tbENKUlT_T0_E_clISt17integral_constantIbLb1EES13_EEDaSY_SZ_EUlSY_E_NS1_11comp_targetILNS1_3genE2ELNS1_11target_archE906ELNS1_3gpuE6ELNS1_3repE0EEENS1_30default_config_static_selectorELNS0_4arch9wavefront6targetE1EEEvT1_
; %bb.0:
	.section	.rodata,"a",@progbits
	.p2align	6, 0x0
	.amdhsa_kernel _ZN7rocprim17ROCPRIM_400000_NS6detail17trampoline_kernelINS0_14default_configENS1_29reduce_by_key_config_selectorIdlN6thrust23THRUST_200600_302600_NS4plusIlEEEEZZNS1_33reduce_by_key_impl_wrapped_configILNS1_25lookback_scan_determinismE0ES3_S9_PdNS6_17constant_iteratorIiNS6_11use_defaultESE_EENS6_10device_ptrIdEENSG_IlEEPmS8_NS6_8equal_toIdEEEE10hipError_tPvRmT2_T3_mT4_T5_T6_T7_T8_P12ihipStream_tbENKUlT_T0_E_clISt17integral_constantIbLb1EES13_EEDaSY_SZ_EUlSY_E_NS1_11comp_targetILNS1_3genE2ELNS1_11target_archE906ELNS1_3gpuE6ELNS1_3repE0EEENS1_30default_config_static_selectorELNS0_4arch9wavefront6targetE1EEEvT1_
		.amdhsa_group_segment_fixed_size 0
		.amdhsa_private_segment_fixed_size 0
		.amdhsa_kernarg_size 144
		.amdhsa_user_sgpr_count 6
		.amdhsa_user_sgpr_private_segment_buffer 1
		.amdhsa_user_sgpr_dispatch_ptr 0
		.amdhsa_user_sgpr_queue_ptr 0
		.amdhsa_user_sgpr_kernarg_segment_ptr 1
		.amdhsa_user_sgpr_dispatch_id 0
		.amdhsa_user_sgpr_flat_scratch_init 0
		.amdhsa_user_sgpr_kernarg_preload_length 0
		.amdhsa_user_sgpr_kernarg_preload_offset 0
		.amdhsa_user_sgpr_private_segment_size 0
		.amdhsa_uses_dynamic_stack 0
		.amdhsa_system_sgpr_private_segment_wavefront_offset 0
		.amdhsa_system_sgpr_workgroup_id_x 1
		.amdhsa_system_sgpr_workgroup_id_y 0
		.amdhsa_system_sgpr_workgroup_id_z 0
		.amdhsa_system_sgpr_workgroup_info 0
		.amdhsa_system_vgpr_workitem_id 0
		.amdhsa_next_free_vgpr 1
		.amdhsa_next_free_sgpr 0
		.amdhsa_accum_offset 4
		.amdhsa_reserve_vcc 0
		.amdhsa_reserve_flat_scratch 0
		.amdhsa_float_round_mode_32 0
		.amdhsa_float_round_mode_16_64 0
		.amdhsa_float_denorm_mode_32 3
		.amdhsa_float_denorm_mode_16_64 3
		.amdhsa_dx10_clamp 1
		.amdhsa_ieee_mode 1
		.amdhsa_fp16_overflow 0
		.amdhsa_tg_split 0
		.amdhsa_exception_fp_ieee_invalid_op 0
		.amdhsa_exception_fp_denorm_src 0
		.amdhsa_exception_fp_ieee_div_zero 0
		.amdhsa_exception_fp_ieee_overflow 0
		.amdhsa_exception_fp_ieee_underflow 0
		.amdhsa_exception_fp_ieee_inexact 0
		.amdhsa_exception_int_div_zero 0
	.end_amdhsa_kernel
	.section	.text._ZN7rocprim17ROCPRIM_400000_NS6detail17trampoline_kernelINS0_14default_configENS1_29reduce_by_key_config_selectorIdlN6thrust23THRUST_200600_302600_NS4plusIlEEEEZZNS1_33reduce_by_key_impl_wrapped_configILNS1_25lookback_scan_determinismE0ES3_S9_PdNS6_17constant_iteratorIiNS6_11use_defaultESE_EENS6_10device_ptrIdEENSG_IlEEPmS8_NS6_8equal_toIdEEEE10hipError_tPvRmT2_T3_mT4_T5_T6_T7_T8_P12ihipStream_tbENKUlT_T0_E_clISt17integral_constantIbLb1EES13_EEDaSY_SZ_EUlSY_E_NS1_11comp_targetILNS1_3genE2ELNS1_11target_archE906ELNS1_3gpuE6ELNS1_3repE0EEENS1_30default_config_static_selectorELNS0_4arch9wavefront6targetE1EEEvT1_,"axG",@progbits,_ZN7rocprim17ROCPRIM_400000_NS6detail17trampoline_kernelINS0_14default_configENS1_29reduce_by_key_config_selectorIdlN6thrust23THRUST_200600_302600_NS4plusIlEEEEZZNS1_33reduce_by_key_impl_wrapped_configILNS1_25lookback_scan_determinismE0ES3_S9_PdNS6_17constant_iteratorIiNS6_11use_defaultESE_EENS6_10device_ptrIdEENSG_IlEEPmS8_NS6_8equal_toIdEEEE10hipError_tPvRmT2_T3_mT4_T5_T6_T7_T8_P12ihipStream_tbENKUlT_T0_E_clISt17integral_constantIbLb1EES13_EEDaSY_SZ_EUlSY_E_NS1_11comp_targetILNS1_3genE2ELNS1_11target_archE906ELNS1_3gpuE6ELNS1_3repE0EEENS1_30default_config_static_selectorELNS0_4arch9wavefront6targetE1EEEvT1_,comdat
.Lfunc_end1701:
	.size	_ZN7rocprim17ROCPRIM_400000_NS6detail17trampoline_kernelINS0_14default_configENS1_29reduce_by_key_config_selectorIdlN6thrust23THRUST_200600_302600_NS4plusIlEEEEZZNS1_33reduce_by_key_impl_wrapped_configILNS1_25lookback_scan_determinismE0ES3_S9_PdNS6_17constant_iteratorIiNS6_11use_defaultESE_EENS6_10device_ptrIdEENSG_IlEEPmS8_NS6_8equal_toIdEEEE10hipError_tPvRmT2_T3_mT4_T5_T6_T7_T8_P12ihipStream_tbENKUlT_T0_E_clISt17integral_constantIbLb1EES13_EEDaSY_SZ_EUlSY_E_NS1_11comp_targetILNS1_3genE2ELNS1_11target_archE906ELNS1_3gpuE6ELNS1_3repE0EEENS1_30default_config_static_selectorELNS0_4arch9wavefront6targetE1EEEvT1_, .Lfunc_end1701-_ZN7rocprim17ROCPRIM_400000_NS6detail17trampoline_kernelINS0_14default_configENS1_29reduce_by_key_config_selectorIdlN6thrust23THRUST_200600_302600_NS4plusIlEEEEZZNS1_33reduce_by_key_impl_wrapped_configILNS1_25lookback_scan_determinismE0ES3_S9_PdNS6_17constant_iteratorIiNS6_11use_defaultESE_EENS6_10device_ptrIdEENSG_IlEEPmS8_NS6_8equal_toIdEEEE10hipError_tPvRmT2_T3_mT4_T5_T6_T7_T8_P12ihipStream_tbENKUlT_T0_E_clISt17integral_constantIbLb1EES13_EEDaSY_SZ_EUlSY_E_NS1_11comp_targetILNS1_3genE2ELNS1_11target_archE906ELNS1_3gpuE6ELNS1_3repE0EEENS1_30default_config_static_selectorELNS0_4arch9wavefront6targetE1EEEvT1_
                                        ; -- End function
	.section	.AMDGPU.csdata,"",@progbits
; Kernel info:
; codeLenInByte = 0
; NumSgprs: 4
; NumVgprs: 0
; NumAgprs: 0
; TotalNumVgprs: 0
; ScratchSize: 0
; MemoryBound: 0
; FloatMode: 240
; IeeeMode: 1
; LDSByteSize: 0 bytes/workgroup (compile time only)
; SGPRBlocks: 0
; VGPRBlocks: 0
; NumSGPRsForWavesPerEU: 4
; NumVGPRsForWavesPerEU: 1
; AccumOffset: 4
; Occupancy: 8
; WaveLimiterHint : 0
; COMPUTE_PGM_RSRC2:SCRATCH_EN: 0
; COMPUTE_PGM_RSRC2:USER_SGPR: 6
; COMPUTE_PGM_RSRC2:TRAP_HANDLER: 0
; COMPUTE_PGM_RSRC2:TGID_X_EN: 1
; COMPUTE_PGM_RSRC2:TGID_Y_EN: 0
; COMPUTE_PGM_RSRC2:TGID_Z_EN: 0
; COMPUTE_PGM_RSRC2:TIDIG_COMP_CNT: 0
; COMPUTE_PGM_RSRC3_GFX90A:ACCUM_OFFSET: 0
; COMPUTE_PGM_RSRC3_GFX90A:TG_SPLIT: 0
	.section	.text._ZN7rocprim17ROCPRIM_400000_NS6detail17trampoline_kernelINS0_14default_configENS1_29reduce_by_key_config_selectorIdlN6thrust23THRUST_200600_302600_NS4plusIlEEEEZZNS1_33reduce_by_key_impl_wrapped_configILNS1_25lookback_scan_determinismE0ES3_S9_PdNS6_17constant_iteratorIiNS6_11use_defaultESE_EENS6_10device_ptrIdEENSG_IlEEPmS8_NS6_8equal_toIdEEEE10hipError_tPvRmT2_T3_mT4_T5_T6_T7_T8_P12ihipStream_tbENKUlT_T0_E_clISt17integral_constantIbLb1EES13_EEDaSY_SZ_EUlSY_E_NS1_11comp_targetILNS1_3genE10ELNS1_11target_archE1201ELNS1_3gpuE5ELNS1_3repE0EEENS1_30default_config_static_selectorELNS0_4arch9wavefront6targetE1EEEvT1_,"axG",@progbits,_ZN7rocprim17ROCPRIM_400000_NS6detail17trampoline_kernelINS0_14default_configENS1_29reduce_by_key_config_selectorIdlN6thrust23THRUST_200600_302600_NS4plusIlEEEEZZNS1_33reduce_by_key_impl_wrapped_configILNS1_25lookback_scan_determinismE0ES3_S9_PdNS6_17constant_iteratorIiNS6_11use_defaultESE_EENS6_10device_ptrIdEENSG_IlEEPmS8_NS6_8equal_toIdEEEE10hipError_tPvRmT2_T3_mT4_T5_T6_T7_T8_P12ihipStream_tbENKUlT_T0_E_clISt17integral_constantIbLb1EES13_EEDaSY_SZ_EUlSY_E_NS1_11comp_targetILNS1_3genE10ELNS1_11target_archE1201ELNS1_3gpuE5ELNS1_3repE0EEENS1_30default_config_static_selectorELNS0_4arch9wavefront6targetE1EEEvT1_,comdat
	.protected	_ZN7rocprim17ROCPRIM_400000_NS6detail17trampoline_kernelINS0_14default_configENS1_29reduce_by_key_config_selectorIdlN6thrust23THRUST_200600_302600_NS4plusIlEEEEZZNS1_33reduce_by_key_impl_wrapped_configILNS1_25lookback_scan_determinismE0ES3_S9_PdNS6_17constant_iteratorIiNS6_11use_defaultESE_EENS6_10device_ptrIdEENSG_IlEEPmS8_NS6_8equal_toIdEEEE10hipError_tPvRmT2_T3_mT4_T5_T6_T7_T8_P12ihipStream_tbENKUlT_T0_E_clISt17integral_constantIbLb1EES13_EEDaSY_SZ_EUlSY_E_NS1_11comp_targetILNS1_3genE10ELNS1_11target_archE1201ELNS1_3gpuE5ELNS1_3repE0EEENS1_30default_config_static_selectorELNS0_4arch9wavefront6targetE1EEEvT1_ ; -- Begin function _ZN7rocprim17ROCPRIM_400000_NS6detail17trampoline_kernelINS0_14default_configENS1_29reduce_by_key_config_selectorIdlN6thrust23THRUST_200600_302600_NS4plusIlEEEEZZNS1_33reduce_by_key_impl_wrapped_configILNS1_25lookback_scan_determinismE0ES3_S9_PdNS6_17constant_iteratorIiNS6_11use_defaultESE_EENS6_10device_ptrIdEENSG_IlEEPmS8_NS6_8equal_toIdEEEE10hipError_tPvRmT2_T3_mT4_T5_T6_T7_T8_P12ihipStream_tbENKUlT_T0_E_clISt17integral_constantIbLb1EES13_EEDaSY_SZ_EUlSY_E_NS1_11comp_targetILNS1_3genE10ELNS1_11target_archE1201ELNS1_3gpuE5ELNS1_3repE0EEENS1_30default_config_static_selectorELNS0_4arch9wavefront6targetE1EEEvT1_
	.globl	_ZN7rocprim17ROCPRIM_400000_NS6detail17trampoline_kernelINS0_14default_configENS1_29reduce_by_key_config_selectorIdlN6thrust23THRUST_200600_302600_NS4plusIlEEEEZZNS1_33reduce_by_key_impl_wrapped_configILNS1_25lookback_scan_determinismE0ES3_S9_PdNS6_17constant_iteratorIiNS6_11use_defaultESE_EENS6_10device_ptrIdEENSG_IlEEPmS8_NS6_8equal_toIdEEEE10hipError_tPvRmT2_T3_mT4_T5_T6_T7_T8_P12ihipStream_tbENKUlT_T0_E_clISt17integral_constantIbLb1EES13_EEDaSY_SZ_EUlSY_E_NS1_11comp_targetILNS1_3genE10ELNS1_11target_archE1201ELNS1_3gpuE5ELNS1_3repE0EEENS1_30default_config_static_selectorELNS0_4arch9wavefront6targetE1EEEvT1_
	.p2align	8
	.type	_ZN7rocprim17ROCPRIM_400000_NS6detail17trampoline_kernelINS0_14default_configENS1_29reduce_by_key_config_selectorIdlN6thrust23THRUST_200600_302600_NS4plusIlEEEEZZNS1_33reduce_by_key_impl_wrapped_configILNS1_25lookback_scan_determinismE0ES3_S9_PdNS6_17constant_iteratorIiNS6_11use_defaultESE_EENS6_10device_ptrIdEENSG_IlEEPmS8_NS6_8equal_toIdEEEE10hipError_tPvRmT2_T3_mT4_T5_T6_T7_T8_P12ihipStream_tbENKUlT_T0_E_clISt17integral_constantIbLb1EES13_EEDaSY_SZ_EUlSY_E_NS1_11comp_targetILNS1_3genE10ELNS1_11target_archE1201ELNS1_3gpuE5ELNS1_3repE0EEENS1_30default_config_static_selectorELNS0_4arch9wavefront6targetE1EEEvT1_,@function
_ZN7rocprim17ROCPRIM_400000_NS6detail17trampoline_kernelINS0_14default_configENS1_29reduce_by_key_config_selectorIdlN6thrust23THRUST_200600_302600_NS4plusIlEEEEZZNS1_33reduce_by_key_impl_wrapped_configILNS1_25lookback_scan_determinismE0ES3_S9_PdNS6_17constant_iteratorIiNS6_11use_defaultESE_EENS6_10device_ptrIdEENSG_IlEEPmS8_NS6_8equal_toIdEEEE10hipError_tPvRmT2_T3_mT4_T5_T6_T7_T8_P12ihipStream_tbENKUlT_T0_E_clISt17integral_constantIbLb1EES13_EEDaSY_SZ_EUlSY_E_NS1_11comp_targetILNS1_3genE10ELNS1_11target_archE1201ELNS1_3gpuE5ELNS1_3repE0EEENS1_30default_config_static_selectorELNS0_4arch9wavefront6targetE1EEEvT1_: ; @_ZN7rocprim17ROCPRIM_400000_NS6detail17trampoline_kernelINS0_14default_configENS1_29reduce_by_key_config_selectorIdlN6thrust23THRUST_200600_302600_NS4plusIlEEEEZZNS1_33reduce_by_key_impl_wrapped_configILNS1_25lookback_scan_determinismE0ES3_S9_PdNS6_17constant_iteratorIiNS6_11use_defaultESE_EENS6_10device_ptrIdEENSG_IlEEPmS8_NS6_8equal_toIdEEEE10hipError_tPvRmT2_T3_mT4_T5_T6_T7_T8_P12ihipStream_tbENKUlT_T0_E_clISt17integral_constantIbLb1EES13_EEDaSY_SZ_EUlSY_E_NS1_11comp_targetILNS1_3genE10ELNS1_11target_archE1201ELNS1_3gpuE5ELNS1_3repE0EEENS1_30default_config_static_selectorELNS0_4arch9wavefront6targetE1EEEvT1_
; %bb.0:
	.section	.rodata,"a",@progbits
	.p2align	6, 0x0
	.amdhsa_kernel _ZN7rocprim17ROCPRIM_400000_NS6detail17trampoline_kernelINS0_14default_configENS1_29reduce_by_key_config_selectorIdlN6thrust23THRUST_200600_302600_NS4plusIlEEEEZZNS1_33reduce_by_key_impl_wrapped_configILNS1_25lookback_scan_determinismE0ES3_S9_PdNS6_17constant_iteratorIiNS6_11use_defaultESE_EENS6_10device_ptrIdEENSG_IlEEPmS8_NS6_8equal_toIdEEEE10hipError_tPvRmT2_T3_mT4_T5_T6_T7_T8_P12ihipStream_tbENKUlT_T0_E_clISt17integral_constantIbLb1EES13_EEDaSY_SZ_EUlSY_E_NS1_11comp_targetILNS1_3genE10ELNS1_11target_archE1201ELNS1_3gpuE5ELNS1_3repE0EEENS1_30default_config_static_selectorELNS0_4arch9wavefront6targetE1EEEvT1_
		.amdhsa_group_segment_fixed_size 0
		.amdhsa_private_segment_fixed_size 0
		.amdhsa_kernarg_size 144
		.amdhsa_user_sgpr_count 6
		.amdhsa_user_sgpr_private_segment_buffer 1
		.amdhsa_user_sgpr_dispatch_ptr 0
		.amdhsa_user_sgpr_queue_ptr 0
		.amdhsa_user_sgpr_kernarg_segment_ptr 1
		.amdhsa_user_sgpr_dispatch_id 0
		.amdhsa_user_sgpr_flat_scratch_init 0
		.amdhsa_user_sgpr_kernarg_preload_length 0
		.amdhsa_user_sgpr_kernarg_preload_offset 0
		.amdhsa_user_sgpr_private_segment_size 0
		.amdhsa_uses_dynamic_stack 0
		.amdhsa_system_sgpr_private_segment_wavefront_offset 0
		.amdhsa_system_sgpr_workgroup_id_x 1
		.amdhsa_system_sgpr_workgroup_id_y 0
		.amdhsa_system_sgpr_workgroup_id_z 0
		.amdhsa_system_sgpr_workgroup_info 0
		.amdhsa_system_vgpr_workitem_id 0
		.amdhsa_next_free_vgpr 1
		.amdhsa_next_free_sgpr 0
		.amdhsa_accum_offset 4
		.amdhsa_reserve_vcc 0
		.amdhsa_reserve_flat_scratch 0
		.amdhsa_float_round_mode_32 0
		.amdhsa_float_round_mode_16_64 0
		.amdhsa_float_denorm_mode_32 3
		.amdhsa_float_denorm_mode_16_64 3
		.amdhsa_dx10_clamp 1
		.amdhsa_ieee_mode 1
		.amdhsa_fp16_overflow 0
		.amdhsa_tg_split 0
		.amdhsa_exception_fp_ieee_invalid_op 0
		.amdhsa_exception_fp_denorm_src 0
		.amdhsa_exception_fp_ieee_div_zero 0
		.amdhsa_exception_fp_ieee_overflow 0
		.amdhsa_exception_fp_ieee_underflow 0
		.amdhsa_exception_fp_ieee_inexact 0
		.amdhsa_exception_int_div_zero 0
	.end_amdhsa_kernel
	.section	.text._ZN7rocprim17ROCPRIM_400000_NS6detail17trampoline_kernelINS0_14default_configENS1_29reduce_by_key_config_selectorIdlN6thrust23THRUST_200600_302600_NS4plusIlEEEEZZNS1_33reduce_by_key_impl_wrapped_configILNS1_25lookback_scan_determinismE0ES3_S9_PdNS6_17constant_iteratorIiNS6_11use_defaultESE_EENS6_10device_ptrIdEENSG_IlEEPmS8_NS6_8equal_toIdEEEE10hipError_tPvRmT2_T3_mT4_T5_T6_T7_T8_P12ihipStream_tbENKUlT_T0_E_clISt17integral_constantIbLb1EES13_EEDaSY_SZ_EUlSY_E_NS1_11comp_targetILNS1_3genE10ELNS1_11target_archE1201ELNS1_3gpuE5ELNS1_3repE0EEENS1_30default_config_static_selectorELNS0_4arch9wavefront6targetE1EEEvT1_,"axG",@progbits,_ZN7rocprim17ROCPRIM_400000_NS6detail17trampoline_kernelINS0_14default_configENS1_29reduce_by_key_config_selectorIdlN6thrust23THRUST_200600_302600_NS4plusIlEEEEZZNS1_33reduce_by_key_impl_wrapped_configILNS1_25lookback_scan_determinismE0ES3_S9_PdNS6_17constant_iteratorIiNS6_11use_defaultESE_EENS6_10device_ptrIdEENSG_IlEEPmS8_NS6_8equal_toIdEEEE10hipError_tPvRmT2_T3_mT4_T5_T6_T7_T8_P12ihipStream_tbENKUlT_T0_E_clISt17integral_constantIbLb1EES13_EEDaSY_SZ_EUlSY_E_NS1_11comp_targetILNS1_3genE10ELNS1_11target_archE1201ELNS1_3gpuE5ELNS1_3repE0EEENS1_30default_config_static_selectorELNS0_4arch9wavefront6targetE1EEEvT1_,comdat
.Lfunc_end1702:
	.size	_ZN7rocprim17ROCPRIM_400000_NS6detail17trampoline_kernelINS0_14default_configENS1_29reduce_by_key_config_selectorIdlN6thrust23THRUST_200600_302600_NS4plusIlEEEEZZNS1_33reduce_by_key_impl_wrapped_configILNS1_25lookback_scan_determinismE0ES3_S9_PdNS6_17constant_iteratorIiNS6_11use_defaultESE_EENS6_10device_ptrIdEENSG_IlEEPmS8_NS6_8equal_toIdEEEE10hipError_tPvRmT2_T3_mT4_T5_T6_T7_T8_P12ihipStream_tbENKUlT_T0_E_clISt17integral_constantIbLb1EES13_EEDaSY_SZ_EUlSY_E_NS1_11comp_targetILNS1_3genE10ELNS1_11target_archE1201ELNS1_3gpuE5ELNS1_3repE0EEENS1_30default_config_static_selectorELNS0_4arch9wavefront6targetE1EEEvT1_, .Lfunc_end1702-_ZN7rocprim17ROCPRIM_400000_NS6detail17trampoline_kernelINS0_14default_configENS1_29reduce_by_key_config_selectorIdlN6thrust23THRUST_200600_302600_NS4plusIlEEEEZZNS1_33reduce_by_key_impl_wrapped_configILNS1_25lookback_scan_determinismE0ES3_S9_PdNS6_17constant_iteratorIiNS6_11use_defaultESE_EENS6_10device_ptrIdEENSG_IlEEPmS8_NS6_8equal_toIdEEEE10hipError_tPvRmT2_T3_mT4_T5_T6_T7_T8_P12ihipStream_tbENKUlT_T0_E_clISt17integral_constantIbLb1EES13_EEDaSY_SZ_EUlSY_E_NS1_11comp_targetILNS1_3genE10ELNS1_11target_archE1201ELNS1_3gpuE5ELNS1_3repE0EEENS1_30default_config_static_selectorELNS0_4arch9wavefront6targetE1EEEvT1_
                                        ; -- End function
	.section	.AMDGPU.csdata,"",@progbits
; Kernel info:
; codeLenInByte = 0
; NumSgprs: 4
; NumVgprs: 0
; NumAgprs: 0
; TotalNumVgprs: 0
; ScratchSize: 0
; MemoryBound: 0
; FloatMode: 240
; IeeeMode: 1
; LDSByteSize: 0 bytes/workgroup (compile time only)
; SGPRBlocks: 0
; VGPRBlocks: 0
; NumSGPRsForWavesPerEU: 4
; NumVGPRsForWavesPerEU: 1
; AccumOffset: 4
; Occupancy: 8
; WaveLimiterHint : 0
; COMPUTE_PGM_RSRC2:SCRATCH_EN: 0
; COMPUTE_PGM_RSRC2:USER_SGPR: 6
; COMPUTE_PGM_RSRC2:TRAP_HANDLER: 0
; COMPUTE_PGM_RSRC2:TGID_X_EN: 1
; COMPUTE_PGM_RSRC2:TGID_Y_EN: 0
; COMPUTE_PGM_RSRC2:TGID_Z_EN: 0
; COMPUTE_PGM_RSRC2:TIDIG_COMP_CNT: 0
; COMPUTE_PGM_RSRC3_GFX90A:ACCUM_OFFSET: 0
; COMPUTE_PGM_RSRC3_GFX90A:TG_SPLIT: 0
	.section	.text._ZN7rocprim17ROCPRIM_400000_NS6detail17trampoline_kernelINS0_14default_configENS1_29reduce_by_key_config_selectorIdlN6thrust23THRUST_200600_302600_NS4plusIlEEEEZZNS1_33reduce_by_key_impl_wrapped_configILNS1_25lookback_scan_determinismE0ES3_S9_PdNS6_17constant_iteratorIiNS6_11use_defaultESE_EENS6_10device_ptrIdEENSG_IlEEPmS8_NS6_8equal_toIdEEEE10hipError_tPvRmT2_T3_mT4_T5_T6_T7_T8_P12ihipStream_tbENKUlT_T0_E_clISt17integral_constantIbLb1EES13_EEDaSY_SZ_EUlSY_E_NS1_11comp_targetILNS1_3genE10ELNS1_11target_archE1200ELNS1_3gpuE4ELNS1_3repE0EEENS1_30default_config_static_selectorELNS0_4arch9wavefront6targetE1EEEvT1_,"axG",@progbits,_ZN7rocprim17ROCPRIM_400000_NS6detail17trampoline_kernelINS0_14default_configENS1_29reduce_by_key_config_selectorIdlN6thrust23THRUST_200600_302600_NS4plusIlEEEEZZNS1_33reduce_by_key_impl_wrapped_configILNS1_25lookback_scan_determinismE0ES3_S9_PdNS6_17constant_iteratorIiNS6_11use_defaultESE_EENS6_10device_ptrIdEENSG_IlEEPmS8_NS6_8equal_toIdEEEE10hipError_tPvRmT2_T3_mT4_T5_T6_T7_T8_P12ihipStream_tbENKUlT_T0_E_clISt17integral_constantIbLb1EES13_EEDaSY_SZ_EUlSY_E_NS1_11comp_targetILNS1_3genE10ELNS1_11target_archE1200ELNS1_3gpuE4ELNS1_3repE0EEENS1_30default_config_static_selectorELNS0_4arch9wavefront6targetE1EEEvT1_,comdat
	.protected	_ZN7rocprim17ROCPRIM_400000_NS6detail17trampoline_kernelINS0_14default_configENS1_29reduce_by_key_config_selectorIdlN6thrust23THRUST_200600_302600_NS4plusIlEEEEZZNS1_33reduce_by_key_impl_wrapped_configILNS1_25lookback_scan_determinismE0ES3_S9_PdNS6_17constant_iteratorIiNS6_11use_defaultESE_EENS6_10device_ptrIdEENSG_IlEEPmS8_NS6_8equal_toIdEEEE10hipError_tPvRmT2_T3_mT4_T5_T6_T7_T8_P12ihipStream_tbENKUlT_T0_E_clISt17integral_constantIbLb1EES13_EEDaSY_SZ_EUlSY_E_NS1_11comp_targetILNS1_3genE10ELNS1_11target_archE1200ELNS1_3gpuE4ELNS1_3repE0EEENS1_30default_config_static_selectorELNS0_4arch9wavefront6targetE1EEEvT1_ ; -- Begin function _ZN7rocprim17ROCPRIM_400000_NS6detail17trampoline_kernelINS0_14default_configENS1_29reduce_by_key_config_selectorIdlN6thrust23THRUST_200600_302600_NS4plusIlEEEEZZNS1_33reduce_by_key_impl_wrapped_configILNS1_25lookback_scan_determinismE0ES3_S9_PdNS6_17constant_iteratorIiNS6_11use_defaultESE_EENS6_10device_ptrIdEENSG_IlEEPmS8_NS6_8equal_toIdEEEE10hipError_tPvRmT2_T3_mT4_T5_T6_T7_T8_P12ihipStream_tbENKUlT_T0_E_clISt17integral_constantIbLb1EES13_EEDaSY_SZ_EUlSY_E_NS1_11comp_targetILNS1_3genE10ELNS1_11target_archE1200ELNS1_3gpuE4ELNS1_3repE0EEENS1_30default_config_static_selectorELNS0_4arch9wavefront6targetE1EEEvT1_
	.globl	_ZN7rocprim17ROCPRIM_400000_NS6detail17trampoline_kernelINS0_14default_configENS1_29reduce_by_key_config_selectorIdlN6thrust23THRUST_200600_302600_NS4plusIlEEEEZZNS1_33reduce_by_key_impl_wrapped_configILNS1_25lookback_scan_determinismE0ES3_S9_PdNS6_17constant_iteratorIiNS6_11use_defaultESE_EENS6_10device_ptrIdEENSG_IlEEPmS8_NS6_8equal_toIdEEEE10hipError_tPvRmT2_T3_mT4_T5_T6_T7_T8_P12ihipStream_tbENKUlT_T0_E_clISt17integral_constantIbLb1EES13_EEDaSY_SZ_EUlSY_E_NS1_11comp_targetILNS1_3genE10ELNS1_11target_archE1200ELNS1_3gpuE4ELNS1_3repE0EEENS1_30default_config_static_selectorELNS0_4arch9wavefront6targetE1EEEvT1_
	.p2align	8
	.type	_ZN7rocprim17ROCPRIM_400000_NS6detail17trampoline_kernelINS0_14default_configENS1_29reduce_by_key_config_selectorIdlN6thrust23THRUST_200600_302600_NS4plusIlEEEEZZNS1_33reduce_by_key_impl_wrapped_configILNS1_25lookback_scan_determinismE0ES3_S9_PdNS6_17constant_iteratorIiNS6_11use_defaultESE_EENS6_10device_ptrIdEENSG_IlEEPmS8_NS6_8equal_toIdEEEE10hipError_tPvRmT2_T3_mT4_T5_T6_T7_T8_P12ihipStream_tbENKUlT_T0_E_clISt17integral_constantIbLb1EES13_EEDaSY_SZ_EUlSY_E_NS1_11comp_targetILNS1_3genE10ELNS1_11target_archE1200ELNS1_3gpuE4ELNS1_3repE0EEENS1_30default_config_static_selectorELNS0_4arch9wavefront6targetE1EEEvT1_,@function
_ZN7rocprim17ROCPRIM_400000_NS6detail17trampoline_kernelINS0_14default_configENS1_29reduce_by_key_config_selectorIdlN6thrust23THRUST_200600_302600_NS4plusIlEEEEZZNS1_33reduce_by_key_impl_wrapped_configILNS1_25lookback_scan_determinismE0ES3_S9_PdNS6_17constant_iteratorIiNS6_11use_defaultESE_EENS6_10device_ptrIdEENSG_IlEEPmS8_NS6_8equal_toIdEEEE10hipError_tPvRmT2_T3_mT4_T5_T6_T7_T8_P12ihipStream_tbENKUlT_T0_E_clISt17integral_constantIbLb1EES13_EEDaSY_SZ_EUlSY_E_NS1_11comp_targetILNS1_3genE10ELNS1_11target_archE1200ELNS1_3gpuE4ELNS1_3repE0EEENS1_30default_config_static_selectorELNS0_4arch9wavefront6targetE1EEEvT1_: ; @_ZN7rocprim17ROCPRIM_400000_NS6detail17trampoline_kernelINS0_14default_configENS1_29reduce_by_key_config_selectorIdlN6thrust23THRUST_200600_302600_NS4plusIlEEEEZZNS1_33reduce_by_key_impl_wrapped_configILNS1_25lookback_scan_determinismE0ES3_S9_PdNS6_17constant_iteratorIiNS6_11use_defaultESE_EENS6_10device_ptrIdEENSG_IlEEPmS8_NS6_8equal_toIdEEEE10hipError_tPvRmT2_T3_mT4_T5_T6_T7_T8_P12ihipStream_tbENKUlT_T0_E_clISt17integral_constantIbLb1EES13_EEDaSY_SZ_EUlSY_E_NS1_11comp_targetILNS1_3genE10ELNS1_11target_archE1200ELNS1_3gpuE4ELNS1_3repE0EEENS1_30default_config_static_selectorELNS0_4arch9wavefront6targetE1EEEvT1_
; %bb.0:
	.section	.rodata,"a",@progbits
	.p2align	6, 0x0
	.amdhsa_kernel _ZN7rocprim17ROCPRIM_400000_NS6detail17trampoline_kernelINS0_14default_configENS1_29reduce_by_key_config_selectorIdlN6thrust23THRUST_200600_302600_NS4plusIlEEEEZZNS1_33reduce_by_key_impl_wrapped_configILNS1_25lookback_scan_determinismE0ES3_S9_PdNS6_17constant_iteratorIiNS6_11use_defaultESE_EENS6_10device_ptrIdEENSG_IlEEPmS8_NS6_8equal_toIdEEEE10hipError_tPvRmT2_T3_mT4_T5_T6_T7_T8_P12ihipStream_tbENKUlT_T0_E_clISt17integral_constantIbLb1EES13_EEDaSY_SZ_EUlSY_E_NS1_11comp_targetILNS1_3genE10ELNS1_11target_archE1200ELNS1_3gpuE4ELNS1_3repE0EEENS1_30default_config_static_selectorELNS0_4arch9wavefront6targetE1EEEvT1_
		.amdhsa_group_segment_fixed_size 0
		.amdhsa_private_segment_fixed_size 0
		.amdhsa_kernarg_size 144
		.amdhsa_user_sgpr_count 6
		.amdhsa_user_sgpr_private_segment_buffer 1
		.amdhsa_user_sgpr_dispatch_ptr 0
		.amdhsa_user_sgpr_queue_ptr 0
		.amdhsa_user_sgpr_kernarg_segment_ptr 1
		.amdhsa_user_sgpr_dispatch_id 0
		.amdhsa_user_sgpr_flat_scratch_init 0
		.amdhsa_user_sgpr_kernarg_preload_length 0
		.amdhsa_user_sgpr_kernarg_preload_offset 0
		.amdhsa_user_sgpr_private_segment_size 0
		.amdhsa_uses_dynamic_stack 0
		.amdhsa_system_sgpr_private_segment_wavefront_offset 0
		.amdhsa_system_sgpr_workgroup_id_x 1
		.amdhsa_system_sgpr_workgroup_id_y 0
		.amdhsa_system_sgpr_workgroup_id_z 0
		.amdhsa_system_sgpr_workgroup_info 0
		.amdhsa_system_vgpr_workitem_id 0
		.amdhsa_next_free_vgpr 1
		.amdhsa_next_free_sgpr 0
		.amdhsa_accum_offset 4
		.amdhsa_reserve_vcc 0
		.amdhsa_reserve_flat_scratch 0
		.amdhsa_float_round_mode_32 0
		.amdhsa_float_round_mode_16_64 0
		.amdhsa_float_denorm_mode_32 3
		.amdhsa_float_denorm_mode_16_64 3
		.amdhsa_dx10_clamp 1
		.amdhsa_ieee_mode 1
		.amdhsa_fp16_overflow 0
		.amdhsa_tg_split 0
		.amdhsa_exception_fp_ieee_invalid_op 0
		.amdhsa_exception_fp_denorm_src 0
		.amdhsa_exception_fp_ieee_div_zero 0
		.amdhsa_exception_fp_ieee_overflow 0
		.amdhsa_exception_fp_ieee_underflow 0
		.amdhsa_exception_fp_ieee_inexact 0
		.amdhsa_exception_int_div_zero 0
	.end_amdhsa_kernel
	.section	.text._ZN7rocprim17ROCPRIM_400000_NS6detail17trampoline_kernelINS0_14default_configENS1_29reduce_by_key_config_selectorIdlN6thrust23THRUST_200600_302600_NS4plusIlEEEEZZNS1_33reduce_by_key_impl_wrapped_configILNS1_25lookback_scan_determinismE0ES3_S9_PdNS6_17constant_iteratorIiNS6_11use_defaultESE_EENS6_10device_ptrIdEENSG_IlEEPmS8_NS6_8equal_toIdEEEE10hipError_tPvRmT2_T3_mT4_T5_T6_T7_T8_P12ihipStream_tbENKUlT_T0_E_clISt17integral_constantIbLb1EES13_EEDaSY_SZ_EUlSY_E_NS1_11comp_targetILNS1_3genE10ELNS1_11target_archE1200ELNS1_3gpuE4ELNS1_3repE0EEENS1_30default_config_static_selectorELNS0_4arch9wavefront6targetE1EEEvT1_,"axG",@progbits,_ZN7rocprim17ROCPRIM_400000_NS6detail17trampoline_kernelINS0_14default_configENS1_29reduce_by_key_config_selectorIdlN6thrust23THRUST_200600_302600_NS4plusIlEEEEZZNS1_33reduce_by_key_impl_wrapped_configILNS1_25lookback_scan_determinismE0ES3_S9_PdNS6_17constant_iteratorIiNS6_11use_defaultESE_EENS6_10device_ptrIdEENSG_IlEEPmS8_NS6_8equal_toIdEEEE10hipError_tPvRmT2_T3_mT4_T5_T6_T7_T8_P12ihipStream_tbENKUlT_T0_E_clISt17integral_constantIbLb1EES13_EEDaSY_SZ_EUlSY_E_NS1_11comp_targetILNS1_3genE10ELNS1_11target_archE1200ELNS1_3gpuE4ELNS1_3repE0EEENS1_30default_config_static_selectorELNS0_4arch9wavefront6targetE1EEEvT1_,comdat
.Lfunc_end1703:
	.size	_ZN7rocprim17ROCPRIM_400000_NS6detail17trampoline_kernelINS0_14default_configENS1_29reduce_by_key_config_selectorIdlN6thrust23THRUST_200600_302600_NS4plusIlEEEEZZNS1_33reduce_by_key_impl_wrapped_configILNS1_25lookback_scan_determinismE0ES3_S9_PdNS6_17constant_iteratorIiNS6_11use_defaultESE_EENS6_10device_ptrIdEENSG_IlEEPmS8_NS6_8equal_toIdEEEE10hipError_tPvRmT2_T3_mT4_T5_T6_T7_T8_P12ihipStream_tbENKUlT_T0_E_clISt17integral_constantIbLb1EES13_EEDaSY_SZ_EUlSY_E_NS1_11comp_targetILNS1_3genE10ELNS1_11target_archE1200ELNS1_3gpuE4ELNS1_3repE0EEENS1_30default_config_static_selectorELNS0_4arch9wavefront6targetE1EEEvT1_, .Lfunc_end1703-_ZN7rocprim17ROCPRIM_400000_NS6detail17trampoline_kernelINS0_14default_configENS1_29reduce_by_key_config_selectorIdlN6thrust23THRUST_200600_302600_NS4plusIlEEEEZZNS1_33reduce_by_key_impl_wrapped_configILNS1_25lookback_scan_determinismE0ES3_S9_PdNS6_17constant_iteratorIiNS6_11use_defaultESE_EENS6_10device_ptrIdEENSG_IlEEPmS8_NS6_8equal_toIdEEEE10hipError_tPvRmT2_T3_mT4_T5_T6_T7_T8_P12ihipStream_tbENKUlT_T0_E_clISt17integral_constantIbLb1EES13_EEDaSY_SZ_EUlSY_E_NS1_11comp_targetILNS1_3genE10ELNS1_11target_archE1200ELNS1_3gpuE4ELNS1_3repE0EEENS1_30default_config_static_selectorELNS0_4arch9wavefront6targetE1EEEvT1_
                                        ; -- End function
	.section	.AMDGPU.csdata,"",@progbits
; Kernel info:
; codeLenInByte = 0
; NumSgprs: 4
; NumVgprs: 0
; NumAgprs: 0
; TotalNumVgprs: 0
; ScratchSize: 0
; MemoryBound: 0
; FloatMode: 240
; IeeeMode: 1
; LDSByteSize: 0 bytes/workgroup (compile time only)
; SGPRBlocks: 0
; VGPRBlocks: 0
; NumSGPRsForWavesPerEU: 4
; NumVGPRsForWavesPerEU: 1
; AccumOffset: 4
; Occupancy: 8
; WaveLimiterHint : 0
; COMPUTE_PGM_RSRC2:SCRATCH_EN: 0
; COMPUTE_PGM_RSRC2:USER_SGPR: 6
; COMPUTE_PGM_RSRC2:TRAP_HANDLER: 0
; COMPUTE_PGM_RSRC2:TGID_X_EN: 1
; COMPUTE_PGM_RSRC2:TGID_Y_EN: 0
; COMPUTE_PGM_RSRC2:TGID_Z_EN: 0
; COMPUTE_PGM_RSRC2:TIDIG_COMP_CNT: 0
; COMPUTE_PGM_RSRC3_GFX90A:ACCUM_OFFSET: 0
; COMPUTE_PGM_RSRC3_GFX90A:TG_SPLIT: 0
	.section	.text._ZN7rocprim17ROCPRIM_400000_NS6detail17trampoline_kernelINS0_14default_configENS1_29reduce_by_key_config_selectorIdlN6thrust23THRUST_200600_302600_NS4plusIlEEEEZZNS1_33reduce_by_key_impl_wrapped_configILNS1_25lookback_scan_determinismE0ES3_S9_PdNS6_17constant_iteratorIiNS6_11use_defaultESE_EENS6_10device_ptrIdEENSG_IlEEPmS8_NS6_8equal_toIdEEEE10hipError_tPvRmT2_T3_mT4_T5_T6_T7_T8_P12ihipStream_tbENKUlT_T0_E_clISt17integral_constantIbLb1EES13_EEDaSY_SZ_EUlSY_E_NS1_11comp_targetILNS1_3genE9ELNS1_11target_archE1100ELNS1_3gpuE3ELNS1_3repE0EEENS1_30default_config_static_selectorELNS0_4arch9wavefront6targetE1EEEvT1_,"axG",@progbits,_ZN7rocprim17ROCPRIM_400000_NS6detail17trampoline_kernelINS0_14default_configENS1_29reduce_by_key_config_selectorIdlN6thrust23THRUST_200600_302600_NS4plusIlEEEEZZNS1_33reduce_by_key_impl_wrapped_configILNS1_25lookback_scan_determinismE0ES3_S9_PdNS6_17constant_iteratorIiNS6_11use_defaultESE_EENS6_10device_ptrIdEENSG_IlEEPmS8_NS6_8equal_toIdEEEE10hipError_tPvRmT2_T3_mT4_T5_T6_T7_T8_P12ihipStream_tbENKUlT_T0_E_clISt17integral_constantIbLb1EES13_EEDaSY_SZ_EUlSY_E_NS1_11comp_targetILNS1_3genE9ELNS1_11target_archE1100ELNS1_3gpuE3ELNS1_3repE0EEENS1_30default_config_static_selectorELNS0_4arch9wavefront6targetE1EEEvT1_,comdat
	.protected	_ZN7rocprim17ROCPRIM_400000_NS6detail17trampoline_kernelINS0_14default_configENS1_29reduce_by_key_config_selectorIdlN6thrust23THRUST_200600_302600_NS4plusIlEEEEZZNS1_33reduce_by_key_impl_wrapped_configILNS1_25lookback_scan_determinismE0ES3_S9_PdNS6_17constant_iteratorIiNS6_11use_defaultESE_EENS6_10device_ptrIdEENSG_IlEEPmS8_NS6_8equal_toIdEEEE10hipError_tPvRmT2_T3_mT4_T5_T6_T7_T8_P12ihipStream_tbENKUlT_T0_E_clISt17integral_constantIbLb1EES13_EEDaSY_SZ_EUlSY_E_NS1_11comp_targetILNS1_3genE9ELNS1_11target_archE1100ELNS1_3gpuE3ELNS1_3repE0EEENS1_30default_config_static_selectorELNS0_4arch9wavefront6targetE1EEEvT1_ ; -- Begin function _ZN7rocprim17ROCPRIM_400000_NS6detail17trampoline_kernelINS0_14default_configENS1_29reduce_by_key_config_selectorIdlN6thrust23THRUST_200600_302600_NS4plusIlEEEEZZNS1_33reduce_by_key_impl_wrapped_configILNS1_25lookback_scan_determinismE0ES3_S9_PdNS6_17constant_iteratorIiNS6_11use_defaultESE_EENS6_10device_ptrIdEENSG_IlEEPmS8_NS6_8equal_toIdEEEE10hipError_tPvRmT2_T3_mT4_T5_T6_T7_T8_P12ihipStream_tbENKUlT_T0_E_clISt17integral_constantIbLb1EES13_EEDaSY_SZ_EUlSY_E_NS1_11comp_targetILNS1_3genE9ELNS1_11target_archE1100ELNS1_3gpuE3ELNS1_3repE0EEENS1_30default_config_static_selectorELNS0_4arch9wavefront6targetE1EEEvT1_
	.globl	_ZN7rocprim17ROCPRIM_400000_NS6detail17trampoline_kernelINS0_14default_configENS1_29reduce_by_key_config_selectorIdlN6thrust23THRUST_200600_302600_NS4plusIlEEEEZZNS1_33reduce_by_key_impl_wrapped_configILNS1_25lookback_scan_determinismE0ES3_S9_PdNS6_17constant_iteratorIiNS6_11use_defaultESE_EENS6_10device_ptrIdEENSG_IlEEPmS8_NS6_8equal_toIdEEEE10hipError_tPvRmT2_T3_mT4_T5_T6_T7_T8_P12ihipStream_tbENKUlT_T0_E_clISt17integral_constantIbLb1EES13_EEDaSY_SZ_EUlSY_E_NS1_11comp_targetILNS1_3genE9ELNS1_11target_archE1100ELNS1_3gpuE3ELNS1_3repE0EEENS1_30default_config_static_selectorELNS0_4arch9wavefront6targetE1EEEvT1_
	.p2align	8
	.type	_ZN7rocprim17ROCPRIM_400000_NS6detail17trampoline_kernelINS0_14default_configENS1_29reduce_by_key_config_selectorIdlN6thrust23THRUST_200600_302600_NS4plusIlEEEEZZNS1_33reduce_by_key_impl_wrapped_configILNS1_25lookback_scan_determinismE0ES3_S9_PdNS6_17constant_iteratorIiNS6_11use_defaultESE_EENS6_10device_ptrIdEENSG_IlEEPmS8_NS6_8equal_toIdEEEE10hipError_tPvRmT2_T3_mT4_T5_T6_T7_T8_P12ihipStream_tbENKUlT_T0_E_clISt17integral_constantIbLb1EES13_EEDaSY_SZ_EUlSY_E_NS1_11comp_targetILNS1_3genE9ELNS1_11target_archE1100ELNS1_3gpuE3ELNS1_3repE0EEENS1_30default_config_static_selectorELNS0_4arch9wavefront6targetE1EEEvT1_,@function
_ZN7rocprim17ROCPRIM_400000_NS6detail17trampoline_kernelINS0_14default_configENS1_29reduce_by_key_config_selectorIdlN6thrust23THRUST_200600_302600_NS4plusIlEEEEZZNS1_33reduce_by_key_impl_wrapped_configILNS1_25lookback_scan_determinismE0ES3_S9_PdNS6_17constant_iteratorIiNS6_11use_defaultESE_EENS6_10device_ptrIdEENSG_IlEEPmS8_NS6_8equal_toIdEEEE10hipError_tPvRmT2_T3_mT4_T5_T6_T7_T8_P12ihipStream_tbENKUlT_T0_E_clISt17integral_constantIbLb1EES13_EEDaSY_SZ_EUlSY_E_NS1_11comp_targetILNS1_3genE9ELNS1_11target_archE1100ELNS1_3gpuE3ELNS1_3repE0EEENS1_30default_config_static_selectorELNS0_4arch9wavefront6targetE1EEEvT1_: ; @_ZN7rocprim17ROCPRIM_400000_NS6detail17trampoline_kernelINS0_14default_configENS1_29reduce_by_key_config_selectorIdlN6thrust23THRUST_200600_302600_NS4plusIlEEEEZZNS1_33reduce_by_key_impl_wrapped_configILNS1_25lookback_scan_determinismE0ES3_S9_PdNS6_17constant_iteratorIiNS6_11use_defaultESE_EENS6_10device_ptrIdEENSG_IlEEPmS8_NS6_8equal_toIdEEEE10hipError_tPvRmT2_T3_mT4_T5_T6_T7_T8_P12ihipStream_tbENKUlT_T0_E_clISt17integral_constantIbLb1EES13_EEDaSY_SZ_EUlSY_E_NS1_11comp_targetILNS1_3genE9ELNS1_11target_archE1100ELNS1_3gpuE3ELNS1_3repE0EEENS1_30default_config_static_selectorELNS0_4arch9wavefront6targetE1EEEvT1_
; %bb.0:
	.section	.rodata,"a",@progbits
	.p2align	6, 0x0
	.amdhsa_kernel _ZN7rocprim17ROCPRIM_400000_NS6detail17trampoline_kernelINS0_14default_configENS1_29reduce_by_key_config_selectorIdlN6thrust23THRUST_200600_302600_NS4plusIlEEEEZZNS1_33reduce_by_key_impl_wrapped_configILNS1_25lookback_scan_determinismE0ES3_S9_PdNS6_17constant_iteratorIiNS6_11use_defaultESE_EENS6_10device_ptrIdEENSG_IlEEPmS8_NS6_8equal_toIdEEEE10hipError_tPvRmT2_T3_mT4_T5_T6_T7_T8_P12ihipStream_tbENKUlT_T0_E_clISt17integral_constantIbLb1EES13_EEDaSY_SZ_EUlSY_E_NS1_11comp_targetILNS1_3genE9ELNS1_11target_archE1100ELNS1_3gpuE3ELNS1_3repE0EEENS1_30default_config_static_selectorELNS0_4arch9wavefront6targetE1EEEvT1_
		.amdhsa_group_segment_fixed_size 0
		.amdhsa_private_segment_fixed_size 0
		.amdhsa_kernarg_size 144
		.amdhsa_user_sgpr_count 6
		.amdhsa_user_sgpr_private_segment_buffer 1
		.amdhsa_user_sgpr_dispatch_ptr 0
		.amdhsa_user_sgpr_queue_ptr 0
		.amdhsa_user_sgpr_kernarg_segment_ptr 1
		.amdhsa_user_sgpr_dispatch_id 0
		.amdhsa_user_sgpr_flat_scratch_init 0
		.amdhsa_user_sgpr_kernarg_preload_length 0
		.amdhsa_user_sgpr_kernarg_preload_offset 0
		.amdhsa_user_sgpr_private_segment_size 0
		.amdhsa_uses_dynamic_stack 0
		.amdhsa_system_sgpr_private_segment_wavefront_offset 0
		.amdhsa_system_sgpr_workgroup_id_x 1
		.amdhsa_system_sgpr_workgroup_id_y 0
		.amdhsa_system_sgpr_workgroup_id_z 0
		.amdhsa_system_sgpr_workgroup_info 0
		.amdhsa_system_vgpr_workitem_id 0
		.amdhsa_next_free_vgpr 1
		.amdhsa_next_free_sgpr 0
		.amdhsa_accum_offset 4
		.amdhsa_reserve_vcc 0
		.amdhsa_reserve_flat_scratch 0
		.amdhsa_float_round_mode_32 0
		.amdhsa_float_round_mode_16_64 0
		.amdhsa_float_denorm_mode_32 3
		.amdhsa_float_denorm_mode_16_64 3
		.amdhsa_dx10_clamp 1
		.amdhsa_ieee_mode 1
		.amdhsa_fp16_overflow 0
		.amdhsa_tg_split 0
		.amdhsa_exception_fp_ieee_invalid_op 0
		.amdhsa_exception_fp_denorm_src 0
		.amdhsa_exception_fp_ieee_div_zero 0
		.amdhsa_exception_fp_ieee_overflow 0
		.amdhsa_exception_fp_ieee_underflow 0
		.amdhsa_exception_fp_ieee_inexact 0
		.amdhsa_exception_int_div_zero 0
	.end_amdhsa_kernel
	.section	.text._ZN7rocprim17ROCPRIM_400000_NS6detail17trampoline_kernelINS0_14default_configENS1_29reduce_by_key_config_selectorIdlN6thrust23THRUST_200600_302600_NS4plusIlEEEEZZNS1_33reduce_by_key_impl_wrapped_configILNS1_25lookback_scan_determinismE0ES3_S9_PdNS6_17constant_iteratorIiNS6_11use_defaultESE_EENS6_10device_ptrIdEENSG_IlEEPmS8_NS6_8equal_toIdEEEE10hipError_tPvRmT2_T3_mT4_T5_T6_T7_T8_P12ihipStream_tbENKUlT_T0_E_clISt17integral_constantIbLb1EES13_EEDaSY_SZ_EUlSY_E_NS1_11comp_targetILNS1_3genE9ELNS1_11target_archE1100ELNS1_3gpuE3ELNS1_3repE0EEENS1_30default_config_static_selectorELNS0_4arch9wavefront6targetE1EEEvT1_,"axG",@progbits,_ZN7rocprim17ROCPRIM_400000_NS6detail17trampoline_kernelINS0_14default_configENS1_29reduce_by_key_config_selectorIdlN6thrust23THRUST_200600_302600_NS4plusIlEEEEZZNS1_33reduce_by_key_impl_wrapped_configILNS1_25lookback_scan_determinismE0ES3_S9_PdNS6_17constant_iteratorIiNS6_11use_defaultESE_EENS6_10device_ptrIdEENSG_IlEEPmS8_NS6_8equal_toIdEEEE10hipError_tPvRmT2_T3_mT4_T5_T6_T7_T8_P12ihipStream_tbENKUlT_T0_E_clISt17integral_constantIbLb1EES13_EEDaSY_SZ_EUlSY_E_NS1_11comp_targetILNS1_3genE9ELNS1_11target_archE1100ELNS1_3gpuE3ELNS1_3repE0EEENS1_30default_config_static_selectorELNS0_4arch9wavefront6targetE1EEEvT1_,comdat
.Lfunc_end1704:
	.size	_ZN7rocprim17ROCPRIM_400000_NS6detail17trampoline_kernelINS0_14default_configENS1_29reduce_by_key_config_selectorIdlN6thrust23THRUST_200600_302600_NS4plusIlEEEEZZNS1_33reduce_by_key_impl_wrapped_configILNS1_25lookback_scan_determinismE0ES3_S9_PdNS6_17constant_iteratorIiNS6_11use_defaultESE_EENS6_10device_ptrIdEENSG_IlEEPmS8_NS6_8equal_toIdEEEE10hipError_tPvRmT2_T3_mT4_T5_T6_T7_T8_P12ihipStream_tbENKUlT_T0_E_clISt17integral_constantIbLb1EES13_EEDaSY_SZ_EUlSY_E_NS1_11comp_targetILNS1_3genE9ELNS1_11target_archE1100ELNS1_3gpuE3ELNS1_3repE0EEENS1_30default_config_static_selectorELNS0_4arch9wavefront6targetE1EEEvT1_, .Lfunc_end1704-_ZN7rocprim17ROCPRIM_400000_NS6detail17trampoline_kernelINS0_14default_configENS1_29reduce_by_key_config_selectorIdlN6thrust23THRUST_200600_302600_NS4plusIlEEEEZZNS1_33reduce_by_key_impl_wrapped_configILNS1_25lookback_scan_determinismE0ES3_S9_PdNS6_17constant_iteratorIiNS6_11use_defaultESE_EENS6_10device_ptrIdEENSG_IlEEPmS8_NS6_8equal_toIdEEEE10hipError_tPvRmT2_T3_mT4_T5_T6_T7_T8_P12ihipStream_tbENKUlT_T0_E_clISt17integral_constantIbLb1EES13_EEDaSY_SZ_EUlSY_E_NS1_11comp_targetILNS1_3genE9ELNS1_11target_archE1100ELNS1_3gpuE3ELNS1_3repE0EEENS1_30default_config_static_selectorELNS0_4arch9wavefront6targetE1EEEvT1_
                                        ; -- End function
	.section	.AMDGPU.csdata,"",@progbits
; Kernel info:
; codeLenInByte = 0
; NumSgprs: 4
; NumVgprs: 0
; NumAgprs: 0
; TotalNumVgprs: 0
; ScratchSize: 0
; MemoryBound: 0
; FloatMode: 240
; IeeeMode: 1
; LDSByteSize: 0 bytes/workgroup (compile time only)
; SGPRBlocks: 0
; VGPRBlocks: 0
; NumSGPRsForWavesPerEU: 4
; NumVGPRsForWavesPerEU: 1
; AccumOffset: 4
; Occupancy: 8
; WaveLimiterHint : 0
; COMPUTE_PGM_RSRC2:SCRATCH_EN: 0
; COMPUTE_PGM_RSRC2:USER_SGPR: 6
; COMPUTE_PGM_RSRC2:TRAP_HANDLER: 0
; COMPUTE_PGM_RSRC2:TGID_X_EN: 1
; COMPUTE_PGM_RSRC2:TGID_Y_EN: 0
; COMPUTE_PGM_RSRC2:TGID_Z_EN: 0
; COMPUTE_PGM_RSRC2:TIDIG_COMP_CNT: 0
; COMPUTE_PGM_RSRC3_GFX90A:ACCUM_OFFSET: 0
; COMPUTE_PGM_RSRC3_GFX90A:TG_SPLIT: 0
	.section	.text._ZN7rocprim17ROCPRIM_400000_NS6detail17trampoline_kernelINS0_14default_configENS1_29reduce_by_key_config_selectorIdlN6thrust23THRUST_200600_302600_NS4plusIlEEEEZZNS1_33reduce_by_key_impl_wrapped_configILNS1_25lookback_scan_determinismE0ES3_S9_PdNS6_17constant_iteratorIiNS6_11use_defaultESE_EENS6_10device_ptrIdEENSG_IlEEPmS8_NS6_8equal_toIdEEEE10hipError_tPvRmT2_T3_mT4_T5_T6_T7_T8_P12ihipStream_tbENKUlT_T0_E_clISt17integral_constantIbLb1EES13_EEDaSY_SZ_EUlSY_E_NS1_11comp_targetILNS1_3genE8ELNS1_11target_archE1030ELNS1_3gpuE2ELNS1_3repE0EEENS1_30default_config_static_selectorELNS0_4arch9wavefront6targetE1EEEvT1_,"axG",@progbits,_ZN7rocprim17ROCPRIM_400000_NS6detail17trampoline_kernelINS0_14default_configENS1_29reduce_by_key_config_selectorIdlN6thrust23THRUST_200600_302600_NS4plusIlEEEEZZNS1_33reduce_by_key_impl_wrapped_configILNS1_25lookback_scan_determinismE0ES3_S9_PdNS6_17constant_iteratorIiNS6_11use_defaultESE_EENS6_10device_ptrIdEENSG_IlEEPmS8_NS6_8equal_toIdEEEE10hipError_tPvRmT2_T3_mT4_T5_T6_T7_T8_P12ihipStream_tbENKUlT_T0_E_clISt17integral_constantIbLb1EES13_EEDaSY_SZ_EUlSY_E_NS1_11comp_targetILNS1_3genE8ELNS1_11target_archE1030ELNS1_3gpuE2ELNS1_3repE0EEENS1_30default_config_static_selectorELNS0_4arch9wavefront6targetE1EEEvT1_,comdat
	.protected	_ZN7rocprim17ROCPRIM_400000_NS6detail17trampoline_kernelINS0_14default_configENS1_29reduce_by_key_config_selectorIdlN6thrust23THRUST_200600_302600_NS4plusIlEEEEZZNS1_33reduce_by_key_impl_wrapped_configILNS1_25lookback_scan_determinismE0ES3_S9_PdNS6_17constant_iteratorIiNS6_11use_defaultESE_EENS6_10device_ptrIdEENSG_IlEEPmS8_NS6_8equal_toIdEEEE10hipError_tPvRmT2_T3_mT4_T5_T6_T7_T8_P12ihipStream_tbENKUlT_T0_E_clISt17integral_constantIbLb1EES13_EEDaSY_SZ_EUlSY_E_NS1_11comp_targetILNS1_3genE8ELNS1_11target_archE1030ELNS1_3gpuE2ELNS1_3repE0EEENS1_30default_config_static_selectorELNS0_4arch9wavefront6targetE1EEEvT1_ ; -- Begin function _ZN7rocprim17ROCPRIM_400000_NS6detail17trampoline_kernelINS0_14default_configENS1_29reduce_by_key_config_selectorIdlN6thrust23THRUST_200600_302600_NS4plusIlEEEEZZNS1_33reduce_by_key_impl_wrapped_configILNS1_25lookback_scan_determinismE0ES3_S9_PdNS6_17constant_iteratorIiNS6_11use_defaultESE_EENS6_10device_ptrIdEENSG_IlEEPmS8_NS6_8equal_toIdEEEE10hipError_tPvRmT2_T3_mT4_T5_T6_T7_T8_P12ihipStream_tbENKUlT_T0_E_clISt17integral_constantIbLb1EES13_EEDaSY_SZ_EUlSY_E_NS1_11comp_targetILNS1_3genE8ELNS1_11target_archE1030ELNS1_3gpuE2ELNS1_3repE0EEENS1_30default_config_static_selectorELNS0_4arch9wavefront6targetE1EEEvT1_
	.globl	_ZN7rocprim17ROCPRIM_400000_NS6detail17trampoline_kernelINS0_14default_configENS1_29reduce_by_key_config_selectorIdlN6thrust23THRUST_200600_302600_NS4plusIlEEEEZZNS1_33reduce_by_key_impl_wrapped_configILNS1_25lookback_scan_determinismE0ES3_S9_PdNS6_17constant_iteratorIiNS6_11use_defaultESE_EENS6_10device_ptrIdEENSG_IlEEPmS8_NS6_8equal_toIdEEEE10hipError_tPvRmT2_T3_mT4_T5_T6_T7_T8_P12ihipStream_tbENKUlT_T0_E_clISt17integral_constantIbLb1EES13_EEDaSY_SZ_EUlSY_E_NS1_11comp_targetILNS1_3genE8ELNS1_11target_archE1030ELNS1_3gpuE2ELNS1_3repE0EEENS1_30default_config_static_selectorELNS0_4arch9wavefront6targetE1EEEvT1_
	.p2align	8
	.type	_ZN7rocprim17ROCPRIM_400000_NS6detail17trampoline_kernelINS0_14default_configENS1_29reduce_by_key_config_selectorIdlN6thrust23THRUST_200600_302600_NS4plusIlEEEEZZNS1_33reduce_by_key_impl_wrapped_configILNS1_25lookback_scan_determinismE0ES3_S9_PdNS6_17constant_iteratorIiNS6_11use_defaultESE_EENS6_10device_ptrIdEENSG_IlEEPmS8_NS6_8equal_toIdEEEE10hipError_tPvRmT2_T3_mT4_T5_T6_T7_T8_P12ihipStream_tbENKUlT_T0_E_clISt17integral_constantIbLb1EES13_EEDaSY_SZ_EUlSY_E_NS1_11comp_targetILNS1_3genE8ELNS1_11target_archE1030ELNS1_3gpuE2ELNS1_3repE0EEENS1_30default_config_static_selectorELNS0_4arch9wavefront6targetE1EEEvT1_,@function
_ZN7rocprim17ROCPRIM_400000_NS6detail17trampoline_kernelINS0_14default_configENS1_29reduce_by_key_config_selectorIdlN6thrust23THRUST_200600_302600_NS4plusIlEEEEZZNS1_33reduce_by_key_impl_wrapped_configILNS1_25lookback_scan_determinismE0ES3_S9_PdNS6_17constant_iteratorIiNS6_11use_defaultESE_EENS6_10device_ptrIdEENSG_IlEEPmS8_NS6_8equal_toIdEEEE10hipError_tPvRmT2_T3_mT4_T5_T6_T7_T8_P12ihipStream_tbENKUlT_T0_E_clISt17integral_constantIbLb1EES13_EEDaSY_SZ_EUlSY_E_NS1_11comp_targetILNS1_3genE8ELNS1_11target_archE1030ELNS1_3gpuE2ELNS1_3repE0EEENS1_30default_config_static_selectorELNS0_4arch9wavefront6targetE1EEEvT1_: ; @_ZN7rocprim17ROCPRIM_400000_NS6detail17trampoline_kernelINS0_14default_configENS1_29reduce_by_key_config_selectorIdlN6thrust23THRUST_200600_302600_NS4plusIlEEEEZZNS1_33reduce_by_key_impl_wrapped_configILNS1_25lookback_scan_determinismE0ES3_S9_PdNS6_17constant_iteratorIiNS6_11use_defaultESE_EENS6_10device_ptrIdEENSG_IlEEPmS8_NS6_8equal_toIdEEEE10hipError_tPvRmT2_T3_mT4_T5_T6_T7_T8_P12ihipStream_tbENKUlT_T0_E_clISt17integral_constantIbLb1EES13_EEDaSY_SZ_EUlSY_E_NS1_11comp_targetILNS1_3genE8ELNS1_11target_archE1030ELNS1_3gpuE2ELNS1_3repE0EEENS1_30default_config_static_selectorELNS0_4arch9wavefront6targetE1EEEvT1_
; %bb.0:
	.section	.rodata,"a",@progbits
	.p2align	6, 0x0
	.amdhsa_kernel _ZN7rocprim17ROCPRIM_400000_NS6detail17trampoline_kernelINS0_14default_configENS1_29reduce_by_key_config_selectorIdlN6thrust23THRUST_200600_302600_NS4plusIlEEEEZZNS1_33reduce_by_key_impl_wrapped_configILNS1_25lookback_scan_determinismE0ES3_S9_PdNS6_17constant_iteratorIiNS6_11use_defaultESE_EENS6_10device_ptrIdEENSG_IlEEPmS8_NS6_8equal_toIdEEEE10hipError_tPvRmT2_T3_mT4_T5_T6_T7_T8_P12ihipStream_tbENKUlT_T0_E_clISt17integral_constantIbLb1EES13_EEDaSY_SZ_EUlSY_E_NS1_11comp_targetILNS1_3genE8ELNS1_11target_archE1030ELNS1_3gpuE2ELNS1_3repE0EEENS1_30default_config_static_selectorELNS0_4arch9wavefront6targetE1EEEvT1_
		.amdhsa_group_segment_fixed_size 0
		.amdhsa_private_segment_fixed_size 0
		.amdhsa_kernarg_size 144
		.amdhsa_user_sgpr_count 6
		.amdhsa_user_sgpr_private_segment_buffer 1
		.amdhsa_user_sgpr_dispatch_ptr 0
		.amdhsa_user_sgpr_queue_ptr 0
		.amdhsa_user_sgpr_kernarg_segment_ptr 1
		.amdhsa_user_sgpr_dispatch_id 0
		.amdhsa_user_sgpr_flat_scratch_init 0
		.amdhsa_user_sgpr_kernarg_preload_length 0
		.amdhsa_user_sgpr_kernarg_preload_offset 0
		.amdhsa_user_sgpr_private_segment_size 0
		.amdhsa_uses_dynamic_stack 0
		.amdhsa_system_sgpr_private_segment_wavefront_offset 0
		.amdhsa_system_sgpr_workgroup_id_x 1
		.amdhsa_system_sgpr_workgroup_id_y 0
		.amdhsa_system_sgpr_workgroup_id_z 0
		.amdhsa_system_sgpr_workgroup_info 0
		.amdhsa_system_vgpr_workitem_id 0
		.amdhsa_next_free_vgpr 1
		.amdhsa_next_free_sgpr 0
		.amdhsa_accum_offset 4
		.amdhsa_reserve_vcc 0
		.amdhsa_reserve_flat_scratch 0
		.amdhsa_float_round_mode_32 0
		.amdhsa_float_round_mode_16_64 0
		.amdhsa_float_denorm_mode_32 3
		.amdhsa_float_denorm_mode_16_64 3
		.amdhsa_dx10_clamp 1
		.amdhsa_ieee_mode 1
		.amdhsa_fp16_overflow 0
		.amdhsa_tg_split 0
		.amdhsa_exception_fp_ieee_invalid_op 0
		.amdhsa_exception_fp_denorm_src 0
		.amdhsa_exception_fp_ieee_div_zero 0
		.amdhsa_exception_fp_ieee_overflow 0
		.amdhsa_exception_fp_ieee_underflow 0
		.amdhsa_exception_fp_ieee_inexact 0
		.amdhsa_exception_int_div_zero 0
	.end_amdhsa_kernel
	.section	.text._ZN7rocprim17ROCPRIM_400000_NS6detail17trampoline_kernelINS0_14default_configENS1_29reduce_by_key_config_selectorIdlN6thrust23THRUST_200600_302600_NS4plusIlEEEEZZNS1_33reduce_by_key_impl_wrapped_configILNS1_25lookback_scan_determinismE0ES3_S9_PdNS6_17constant_iteratorIiNS6_11use_defaultESE_EENS6_10device_ptrIdEENSG_IlEEPmS8_NS6_8equal_toIdEEEE10hipError_tPvRmT2_T3_mT4_T5_T6_T7_T8_P12ihipStream_tbENKUlT_T0_E_clISt17integral_constantIbLb1EES13_EEDaSY_SZ_EUlSY_E_NS1_11comp_targetILNS1_3genE8ELNS1_11target_archE1030ELNS1_3gpuE2ELNS1_3repE0EEENS1_30default_config_static_selectorELNS0_4arch9wavefront6targetE1EEEvT1_,"axG",@progbits,_ZN7rocprim17ROCPRIM_400000_NS6detail17trampoline_kernelINS0_14default_configENS1_29reduce_by_key_config_selectorIdlN6thrust23THRUST_200600_302600_NS4plusIlEEEEZZNS1_33reduce_by_key_impl_wrapped_configILNS1_25lookback_scan_determinismE0ES3_S9_PdNS6_17constant_iteratorIiNS6_11use_defaultESE_EENS6_10device_ptrIdEENSG_IlEEPmS8_NS6_8equal_toIdEEEE10hipError_tPvRmT2_T3_mT4_T5_T6_T7_T8_P12ihipStream_tbENKUlT_T0_E_clISt17integral_constantIbLb1EES13_EEDaSY_SZ_EUlSY_E_NS1_11comp_targetILNS1_3genE8ELNS1_11target_archE1030ELNS1_3gpuE2ELNS1_3repE0EEENS1_30default_config_static_selectorELNS0_4arch9wavefront6targetE1EEEvT1_,comdat
.Lfunc_end1705:
	.size	_ZN7rocprim17ROCPRIM_400000_NS6detail17trampoline_kernelINS0_14default_configENS1_29reduce_by_key_config_selectorIdlN6thrust23THRUST_200600_302600_NS4plusIlEEEEZZNS1_33reduce_by_key_impl_wrapped_configILNS1_25lookback_scan_determinismE0ES3_S9_PdNS6_17constant_iteratorIiNS6_11use_defaultESE_EENS6_10device_ptrIdEENSG_IlEEPmS8_NS6_8equal_toIdEEEE10hipError_tPvRmT2_T3_mT4_T5_T6_T7_T8_P12ihipStream_tbENKUlT_T0_E_clISt17integral_constantIbLb1EES13_EEDaSY_SZ_EUlSY_E_NS1_11comp_targetILNS1_3genE8ELNS1_11target_archE1030ELNS1_3gpuE2ELNS1_3repE0EEENS1_30default_config_static_selectorELNS0_4arch9wavefront6targetE1EEEvT1_, .Lfunc_end1705-_ZN7rocprim17ROCPRIM_400000_NS6detail17trampoline_kernelINS0_14default_configENS1_29reduce_by_key_config_selectorIdlN6thrust23THRUST_200600_302600_NS4plusIlEEEEZZNS1_33reduce_by_key_impl_wrapped_configILNS1_25lookback_scan_determinismE0ES3_S9_PdNS6_17constant_iteratorIiNS6_11use_defaultESE_EENS6_10device_ptrIdEENSG_IlEEPmS8_NS6_8equal_toIdEEEE10hipError_tPvRmT2_T3_mT4_T5_T6_T7_T8_P12ihipStream_tbENKUlT_T0_E_clISt17integral_constantIbLb1EES13_EEDaSY_SZ_EUlSY_E_NS1_11comp_targetILNS1_3genE8ELNS1_11target_archE1030ELNS1_3gpuE2ELNS1_3repE0EEENS1_30default_config_static_selectorELNS0_4arch9wavefront6targetE1EEEvT1_
                                        ; -- End function
	.section	.AMDGPU.csdata,"",@progbits
; Kernel info:
; codeLenInByte = 0
; NumSgprs: 4
; NumVgprs: 0
; NumAgprs: 0
; TotalNumVgprs: 0
; ScratchSize: 0
; MemoryBound: 0
; FloatMode: 240
; IeeeMode: 1
; LDSByteSize: 0 bytes/workgroup (compile time only)
; SGPRBlocks: 0
; VGPRBlocks: 0
; NumSGPRsForWavesPerEU: 4
; NumVGPRsForWavesPerEU: 1
; AccumOffset: 4
; Occupancy: 8
; WaveLimiterHint : 0
; COMPUTE_PGM_RSRC2:SCRATCH_EN: 0
; COMPUTE_PGM_RSRC2:USER_SGPR: 6
; COMPUTE_PGM_RSRC2:TRAP_HANDLER: 0
; COMPUTE_PGM_RSRC2:TGID_X_EN: 1
; COMPUTE_PGM_RSRC2:TGID_Y_EN: 0
; COMPUTE_PGM_RSRC2:TGID_Z_EN: 0
; COMPUTE_PGM_RSRC2:TIDIG_COMP_CNT: 0
; COMPUTE_PGM_RSRC3_GFX90A:ACCUM_OFFSET: 0
; COMPUTE_PGM_RSRC3_GFX90A:TG_SPLIT: 0
	.section	.text._ZN7rocprim17ROCPRIM_400000_NS6detail17trampoline_kernelINS0_14default_configENS1_29reduce_by_key_config_selectorIdlN6thrust23THRUST_200600_302600_NS4plusIlEEEEZZNS1_33reduce_by_key_impl_wrapped_configILNS1_25lookback_scan_determinismE0ES3_S9_PdNS6_17constant_iteratorIiNS6_11use_defaultESE_EENS6_10device_ptrIdEENSG_IlEEPmS8_NS6_8equal_toIdEEEE10hipError_tPvRmT2_T3_mT4_T5_T6_T7_T8_P12ihipStream_tbENKUlT_T0_E_clISt17integral_constantIbLb1EES12_IbLb0EEEEDaSY_SZ_EUlSY_E_NS1_11comp_targetILNS1_3genE0ELNS1_11target_archE4294967295ELNS1_3gpuE0ELNS1_3repE0EEENS1_30default_config_static_selectorELNS0_4arch9wavefront6targetE1EEEvT1_,"axG",@progbits,_ZN7rocprim17ROCPRIM_400000_NS6detail17trampoline_kernelINS0_14default_configENS1_29reduce_by_key_config_selectorIdlN6thrust23THRUST_200600_302600_NS4plusIlEEEEZZNS1_33reduce_by_key_impl_wrapped_configILNS1_25lookback_scan_determinismE0ES3_S9_PdNS6_17constant_iteratorIiNS6_11use_defaultESE_EENS6_10device_ptrIdEENSG_IlEEPmS8_NS6_8equal_toIdEEEE10hipError_tPvRmT2_T3_mT4_T5_T6_T7_T8_P12ihipStream_tbENKUlT_T0_E_clISt17integral_constantIbLb1EES12_IbLb0EEEEDaSY_SZ_EUlSY_E_NS1_11comp_targetILNS1_3genE0ELNS1_11target_archE4294967295ELNS1_3gpuE0ELNS1_3repE0EEENS1_30default_config_static_selectorELNS0_4arch9wavefront6targetE1EEEvT1_,comdat
	.protected	_ZN7rocprim17ROCPRIM_400000_NS6detail17trampoline_kernelINS0_14default_configENS1_29reduce_by_key_config_selectorIdlN6thrust23THRUST_200600_302600_NS4plusIlEEEEZZNS1_33reduce_by_key_impl_wrapped_configILNS1_25lookback_scan_determinismE0ES3_S9_PdNS6_17constant_iteratorIiNS6_11use_defaultESE_EENS6_10device_ptrIdEENSG_IlEEPmS8_NS6_8equal_toIdEEEE10hipError_tPvRmT2_T3_mT4_T5_T6_T7_T8_P12ihipStream_tbENKUlT_T0_E_clISt17integral_constantIbLb1EES12_IbLb0EEEEDaSY_SZ_EUlSY_E_NS1_11comp_targetILNS1_3genE0ELNS1_11target_archE4294967295ELNS1_3gpuE0ELNS1_3repE0EEENS1_30default_config_static_selectorELNS0_4arch9wavefront6targetE1EEEvT1_ ; -- Begin function _ZN7rocprim17ROCPRIM_400000_NS6detail17trampoline_kernelINS0_14default_configENS1_29reduce_by_key_config_selectorIdlN6thrust23THRUST_200600_302600_NS4plusIlEEEEZZNS1_33reduce_by_key_impl_wrapped_configILNS1_25lookback_scan_determinismE0ES3_S9_PdNS6_17constant_iteratorIiNS6_11use_defaultESE_EENS6_10device_ptrIdEENSG_IlEEPmS8_NS6_8equal_toIdEEEE10hipError_tPvRmT2_T3_mT4_T5_T6_T7_T8_P12ihipStream_tbENKUlT_T0_E_clISt17integral_constantIbLb1EES12_IbLb0EEEEDaSY_SZ_EUlSY_E_NS1_11comp_targetILNS1_3genE0ELNS1_11target_archE4294967295ELNS1_3gpuE0ELNS1_3repE0EEENS1_30default_config_static_selectorELNS0_4arch9wavefront6targetE1EEEvT1_
	.globl	_ZN7rocprim17ROCPRIM_400000_NS6detail17trampoline_kernelINS0_14default_configENS1_29reduce_by_key_config_selectorIdlN6thrust23THRUST_200600_302600_NS4plusIlEEEEZZNS1_33reduce_by_key_impl_wrapped_configILNS1_25lookback_scan_determinismE0ES3_S9_PdNS6_17constant_iteratorIiNS6_11use_defaultESE_EENS6_10device_ptrIdEENSG_IlEEPmS8_NS6_8equal_toIdEEEE10hipError_tPvRmT2_T3_mT4_T5_T6_T7_T8_P12ihipStream_tbENKUlT_T0_E_clISt17integral_constantIbLb1EES12_IbLb0EEEEDaSY_SZ_EUlSY_E_NS1_11comp_targetILNS1_3genE0ELNS1_11target_archE4294967295ELNS1_3gpuE0ELNS1_3repE0EEENS1_30default_config_static_selectorELNS0_4arch9wavefront6targetE1EEEvT1_
	.p2align	8
	.type	_ZN7rocprim17ROCPRIM_400000_NS6detail17trampoline_kernelINS0_14default_configENS1_29reduce_by_key_config_selectorIdlN6thrust23THRUST_200600_302600_NS4plusIlEEEEZZNS1_33reduce_by_key_impl_wrapped_configILNS1_25lookback_scan_determinismE0ES3_S9_PdNS6_17constant_iteratorIiNS6_11use_defaultESE_EENS6_10device_ptrIdEENSG_IlEEPmS8_NS6_8equal_toIdEEEE10hipError_tPvRmT2_T3_mT4_T5_T6_T7_T8_P12ihipStream_tbENKUlT_T0_E_clISt17integral_constantIbLb1EES12_IbLb0EEEEDaSY_SZ_EUlSY_E_NS1_11comp_targetILNS1_3genE0ELNS1_11target_archE4294967295ELNS1_3gpuE0ELNS1_3repE0EEENS1_30default_config_static_selectorELNS0_4arch9wavefront6targetE1EEEvT1_,@function
_ZN7rocprim17ROCPRIM_400000_NS6detail17trampoline_kernelINS0_14default_configENS1_29reduce_by_key_config_selectorIdlN6thrust23THRUST_200600_302600_NS4plusIlEEEEZZNS1_33reduce_by_key_impl_wrapped_configILNS1_25lookback_scan_determinismE0ES3_S9_PdNS6_17constant_iteratorIiNS6_11use_defaultESE_EENS6_10device_ptrIdEENSG_IlEEPmS8_NS6_8equal_toIdEEEE10hipError_tPvRmT2_T3_mT4_T5_T6_T7_T8_P12ihipStream_tbENKUlT_T0_E_clISt17integral_constantIbLb1EES12_IbLb0EEEEDaSY_SZ_EUlSY_E_NS1_11comp_targetILNS1_3genE0ELNS1_11target_archE4294967295ELNS1_3gpuE0ELNS1_3repE0EEENS1_30default_config_static_selectorELNS0_4arch9wavefront6targetE1EEEvT1_: ; @_ZN7rocprim17ROCPRIM_400000_NS6detail17trampoline_kernelINS0_14default_configENS1_29reduce_by_key_config_selectorIdlN6thrust23THRUST_200600_302600_NS4plusIlEEEEZZNS1_33reduce_by_key_impl_wrapped_configILNS1_25lookback_scan_determinismE0ES3_S9_PdNS6_17constant_iteratorIiNS6_11use_defaultESE_EENS6_10device_ptrIdEENSG_IlEEPmS8_NS6_8equal_toIdEEEE10hipError_tPvRmT2_T3_mT4_T5_T6_T7_T8_P12ihipStream_tbENKUlT_T0_E_clISt17integral_constantIbLb1EES12_IbLb0EEEEDaSY_SZ_EUlSY_E_NS1_11comp_targetILNS1_3genE0ELNS1_11target_archE4294967295ELNS1_3gpuE0ELNS1_3repE0EEENS1_30default_config_static_selectorELNS0_4arch9wavefront6targetE1EEEvT1_
; %bb.0:
	.section	.rodata,"a",@progbits
	.p2align	6, 0x0
	.amdhsa_kernel _ZN7rocprim17ROCPRIM_400000_NS6detail17trampoline_kernelINS0_14default_configENS1_29reduce_by_key_config_selectorIdlN6thrust23THRUST_200600_302600_NS4plusIlEEEEZZNS1_33reduce_by_key_impl_wrapped_configILNS1_25lookback_scan_determinismE0ES3_S9_PdNS6_17constant_iteratorIiNS6_11use_defaultESE_EENS6_10device_ptrIdEENSG_IlEEPmS8_NS6_8equal_toIdEEEE10hipError_tPvRmT2_T3_mT4_T5_T6_T7_T8_P12ihipStream_tbENKUlT_T0_E_clISt17integral_constantIbLb1EES12_IbLb0EEEEDaSY_SZ_EUlSY_E_NS1_11comp_targetILNS1_3genE0ELNS1_11target_archE4294967295ELNS1_3gpuE0ELNS1_3repE0EEENS1_30default_config_static_selectorELNS0_4arch9wavefront6targetE1EEEvT1_
		.amdhsa_group_segment_fixed_size 0
		.amdhsa_private_segment_fixed_size 0
		.amdhsa_kernarg_size 144
		.amdhsa_user_sgpr_count 6
		.amdhsa_user_sgpr_private_segment_buffer 1
		.amdhsa_user_sgpr_dispatch_ptr 0
		.amdhsa_user_sgpr_queue_ptr 0
		.amdhsa_user_sgpr_kernarg_segment_ptr 1
		.amdhsa_user_sgpr_dispatch_id 0
		.amdhsa_user_sgpr_flat_scratch_init 0
		.amdhsa_user_sgpr_kernarg_preload_length 0
		.amdhsa_user_sgpr_kernarg_preload_offset 0
		.amdhsa_user_sgpr_private_segment_size 0
		.amdhsa_uses_dynamic_stack 0
		.amdhsa_system_sgpr_private_segment_wavefront_offset 0
		.amdhsa_system_sgpr_workgroup_id_x 1
		.amdhsa_system_sgpr_workgroup_id_y 0
		.amdhsa_system_sgpr_workgroup_id_z 0
		.amdhsa_system_sgpr_workgroup_info 0
		.amdhsa_system_vgpr_workitem_id 0
		.amdhsa_next_free_vgpr 1
		.amdhsa_next_free_sgpr 0
		.amdhsa_accum_offset 4
		.amdhsa_reserve_vcc 0
		.amdhsa_reserve_flat_scratch 0
		.amdhsa_float_round_mode_32 0
		.amdhsa_float_round_mode_16_64 0
		.amdhsa_float_denorm_mode_32 3
		.amdhsa_float_denorm_mode_16_64 3
		.amdhsa_dx10_clamp 1
		.amdhsa_ieee_mode 1
		.amdhsa_fp16_overflow 0
		.amdhsa_tg_split 0
		.amdhsa_exception_fp_ieee_invalid_op 0
		.amdhsa_exception_fp_denorm_src 0
		.amdhsa_exception_fp_ieee_div_zero 0
		.amdhsa_exception_fp_ieee_overflow 0
		.amdhsa_exception_fp_ieee_underflow 0
		.amdhsa_exception_fp_ieee_inexact 0
		.amdhsa_exception_int_div_zero 0
	.end_amdhsa_kernel
	.section	.text._ZN7rocprim17ROCPRIM_400000_NS6detail17trampoline_kernelINS0_14default_configENS1_29reduce_by_key_config_selectorIdlN6thrust23THRUST_200600_302600_NS4plusIlEEEEZZNS1_33reduce_by_key_impl_wrapped_configILNS1_25lookback_scan_determinismE0ES3_S9_PdNS6_17constant_iteratorIiNS6_11use_defaultESE_EENS6_10device_ptrIdEENSG_IlEEPmS8_NS6_8equal_toIdEEEE10hipError_tPvRmT2_T3_mT4_T5_T6_T7_T8_P12ihipStream_tbENKUlT_T0_E_clISt17integral_constantIbLb1EES12_IbLb0EEEEDaSY_SZ_EUlSY_E_NS1_11comp_targetILNS1_3genE0ELNS1_11target_archE4294967295ELNS1_3gpuE0ELNS1_3repE0EEENS1_30default_config_static_selectorELNS0_4arch9wavefront6targetE1EEEvT1_,"axG",@progbits,_ZN7rocprim17ROCPRIM_400000_NS6detail17trampoline_kernelINS0_14default_configENS1_29reduce_by_key_config_selectorIdlN6thrust23THRUST_200600_302600_NS4plusIlEEEEZZNS1_33reduce_by_key_impl_wrapped_configILNS1_25lookback_scan_determinismE0ES3_S9_PdNS6_17constant_iteratorIiNS6_11use_defaultESE_EENS6_10device_ptrIdEENSG_IlEEPmS8_NS6_8equal_toIdEEEE10hipError_tPvRmT2_T3_mT4_T5_T6_T7_T8_P12ihipStream_tbENKUlT_T0_E_clISt17integral_constantIbLb1EES12_IbLb0EEEEDaSY_SZ_EUlSY_E_NS1_11comp_targetILNS1_3genE0ELNS1_11target_archE4294967295ELNS1_3gpuE0ELNS1_3repE0EEENS1_30default_config_static_selectorELNS0_4arch9wavefront6targetE1EEEvT1_,comdat
.Lfunc_end1706:
	.size	_ZN7rocprim17ROCPRIM_400000_NS6detail17trampoline_kernelINS0_14default_configENS1_29reduce_by_key_config_selectorIdlN6thrust23THRUST_200600_302600_NS4plusIlEEEEZZNS1_33reduce_by_key_impl_wrapped_configILNS1_25lookback_scan_determinismE0ES3_S9_PdNS6_17constant_iteratorIiNS6_11use_defaultESE_EENS6_10device_ptrIdEENSG_IlEEPmS8_NS6_8equal_toIdEEEE10hipError_tPvRmT2_T3_mT4_T5_T6_T7_T8_P12ihipStream_tbENKUlT_T0_E_clISt17integral_constantIbLb1EES12_IbLb0EEEEDaSY_SZ_EUlSY_E_NS1_11comp_targetILNS1_3genE0ELNS1_11target_archE4294967295ELNS1_3gpuE0ELNS1_3repE0EEENS1_30default_config_static_selectorELNS0_4arch9wavefront6targetE1EEEvT1_, .Lfunc_end1706-_ZN7rocprim17ROCPRIM_400000_NS6detail17trampoline_kernelINS0_14default_configENS1_29reduce_by_key_config_selectorIdlN6thrust23THRUST_200600_302600_NS4plusIlEEEEZZNS1_33reduce_by_key_impl_wrapped_configILNS1_25lookback_scan_determinismE0ES3_S9_PdNS6_17constant_iteratorIiNS6_11use_defaultESE_EENS6_10device_ptrIdEENSG_IlEEPmS8_NS6_8equal_toIdEEEE10hipError_tPvRmT2_T3_mT4_T5_T6_T7_T8_P12ihipStream_tbENKUlT_T0_E_clISt17integral_constantIbLb1EES12_IbLb0EEEEDaSY_SZ_EUlSY_E_NS1_11comp_targetILNS1_3genE0ELNS1_11target_archE4294967295ELNS1_3gpuE0ELNS1_3repE0EEENS1_30default_config_static_selectorELNS0_4arch9wavefront6targetE1EEEvT1_
                                        ; -- End function
	.section	.AMDGPU.csdata,"",@progbits
; Kernel info:
; codeLenInByte = 0
; NumSgprs: 4
; NumVgprs: 0
; NumAgprs: 0
; TotalNumVgprs: 0
; ScratchSize: 0
; MemoryBound: 0
; FloatMode: 240
; IeeeMode: 1
; LDSByteSize: 0 bytes/workgroup (compile time only)
; SGPRBlocks: 0
; VGPRBlocks: 0
; NumSGPRsForWavesPerEU: 4
; NumVGPRsForWavesPerEU: 1
; AccumOffset: 4
; Occupancy: 8
; WaveLimiterHint : 0
; COMPUTE_PGM_RSRC2:SCRATCH_EN: 0
; COMPUTE_PGM_RSRC2:USER_SGPR: 6
; COMPUTE_PGM_RSRC2:TRAP_HANDLER: 0
; COMPUTE_PGM_RSRC2:TGID_X_EN: 1
; COMPUTE_PGM_RSRC2:TGID_Y_EN: 0
; COMPUTE_PGM_RSRC2:TGID_Z_EN: 0
; COMPUTE_PGM_RSRC2:TIDIG_COMP_CNT: 0
; COMPUTE_PGM_RSRC3_GFX90A:ACCUM_OFFSET: 0
; COMPUTE_PGM_RSRC3_GFX90A:TG_SPLIT: 0
	.section	.text._ZN7rocprim17ROCPRIM_400000_NS6detail17trampoline_kernelINS0_14default_configENS1_29reduce_by_key_config_selectorIdlN6thrust23THRUST_200600_302600_NS4plusIlEEEEZZNS1_33reduce_by_key_impl_wrapped_configILNS1_25lookback_scan_determinismE0ES3_S9_PdNS6_17constant_iteratorIiNS6_11use_defaultESE_EENS6_10device_ptrIdEENSG_IlEEPmS8_NS6_8equal_toIdEEEE10hipError_tPvRmT2_T3_mT4_T5_T6_T7_T8_P12ihipStream_tbENKUlT_T0_E_clISt17integral_constantIbLb1EES12_IbLb0EEEEDaSY_SZ_EUlSY_E_NS1_11comp_targetILNS1_3genE5ELNS1_11target_archE942ELNS1_3gpuE9ELNS1_3repE0EEENS1_30default_config_static_selectorELNS0_4arch9wavefront6targetE1EEEvT1_,"axG",@progbits,_ZN7rocprim17ROCPRIM_400000_NS6detail17trampoline_kernelINS0_14default_configENS1_29reduce_by_key_config_selectorIdlN6thrust23THRUST_200600_302600_NS4plusIlEEEEZZNS1_33reduce_by_key_impl_wrapped_configILNS1_25lookback_scan_determinismE0ES3_S9_PdNS6_17constant_iteratorIiNS6_11use_defaultESE_EENS6_10device_ptrIdEENSG_IlEEPmS8_NS6_8equal_toIdEEEE10hipError_tPvRmT2_T3_mT4_T5_T6_T7_T8_P12ihipStream_tbENKUlT_T0_E_clISt17integral_constantIbLb1EES12_IbLb0EEEEDaSY_SZ_EUlSY_E_NS1_11comp_targetILNS1_3genE5ELNS1_11target_archE942ELNS1_3gpuE9ELNS1_3repE0EEENS1_30default_config_static_selectorELNS0_4arch9wavefront6targetE1EEEvT1_,comdat
	.protected	_ZN7rocprim17ROCPRIM_400000_NS6detail17trampoline_kernelINS0_14default_configENS1_29reduce_by_key_config_selectorIdlN6thrust23THRUST_200600_302600_NS4plusIlEEEEZZNS1_33reduce_by_key_impl_wrapped_configILNS1_25lookback_scan_determinismE0ES3_S9_PdNS6_17constant_iteratorIiNS6_11use_defaultESE_EENS6_10device_ptrIdEENSG_IlEEPmS8_NS6_8equal_toIdEEEE10hipError_tPvRmT2_T3_mT4_T5_T6_T7_T8_P12ihipStream_tbENKUlT_T0_E_clISt17integral_constantIbLb1EES12_IbLb0EEEEDaSY_SZ_EUlSY_E_NS1_11comp_targetILNS1_3genE5ELNS1_11target_archE942ELNS1_3gpuE9ELNS1_3repE0EEENS1_30default_config_static_selectorELNS0_4arch9wavefront6targetE1EEEvT1_ ; -- Begin function _ZN7rocprim17ROCPRIM_400000_NS6detail17trampoline_kernelINS0_14default_configENS1_29reduce_by_key_config_selectorIdlN6thrust23THRUST_200600_302600_NS4plusIlEEEEZZNS1_33reduce_by_key_impl_wrapped_configILNS1_25lookback_scan_determinismE0ES3_S9_PdNS6_17constant_iteratorIiNS6_11use_defaultESE_EENS6_10device_ptrIdEENSG_IlEEPmS8_NS6_8equal_toIdEEEE10hipError_tPvRmT2_T3_mT4_T5_T6_T7_T8_P12ihipStream_tbENKUlT_T0_E_clISt17integral_constantIbLb1EES12_IbLb0EEEEDaSY_SZ_EUlSY_E_NS1_11comp_targetILNS1_3genE5ELNS1_11target_archE942ELNS1_3gpuE9ELNS1_3repE0EEENS1_30default_config_static_selectorELNS0_4arch9wavefront6targetE1EEEvT1_
	.globl	_ZN7rocprim17ROCPRIM_400000_NS6detail17trampoline_kernelINS0_14default_configENS1_29reduce_by_key_config_selectorIdlN6thrust23THRUST_200600_302600_NS4plusIlEEEEZZNS1_33reduce_by_key_impl_wrapped_configILNS1_25lookback_scan_determinismE0ES3_S9_PdNS6_17constant_iteratorIiNS6_11use_defaultESE_EENS6_10device_ptrIdEENSG_IlEEPmS8_NS6_8equal_toIdEEEE10hipError_tPvRmT2_T3_mT4_T5_T6_T7_T8_P12ihipStream_tbENKUlT_T0_E_clISt17integral_constantIbLb1EES12_IbLb0EEEEDaSY_SZ_EUlSY_E_NS1_11comp_targetILNS1_3genE5ELNS1_11target_archE942ELNS1_3gpuE9ELNS1_3repE0EEENS1_30default_config_static_selectorELNS0_4arch9wavefront6targetE1EEEvT1_
	.p2align	8
	.type	_ZN7rocprim17ROCPRIM_400000_NS6detail17trampoline_kernelINS0_14default_configENS1_29reduce_by_key_config_selectorIdlN6thrust23THRUST_200600_302600_NS4plusIlEEEEZZNS1_33reduce_by_key_impl_wrapped_configILNS1_25lookback_scan_determinismE0ES3_S9_PdNS6_17constant_iteratorIiNS6_11use_defaultESE_EENS6_10device_ptrIdEENSG_IlEEPmS8_NS6_8equal_toIdEEEE10hipError_tPvRmT2_T3_mT4_T5_T6_T7_T8_P12ihipStream_tbENKUlT_T0_E_clISt17integral_constantIbLb1EES12_IbLb0EEEEDaSY_SZ_EUlSY_E_NS1_11comp_targetILNS1_3genE5ELNS1_11target_archE942ELNS1_3gpuE9ELNS1_3repE0EEENS1_30default_config_static_selectorELNS0_4arch9wavefront6targetE1EEEvT1_,@function
_ZN7rocprim17ROCPRIM_400000_NS6detail17trampoline_kernelINS0_14default_configENS1_29reduce_by_key_config_selectorIdlN6thrust23THRUST_200600_302600_NS4plusIlEEEEZZNS1_33reduce_by_key_impl_wrapped_configILNS1_25lookback_scan_determinismE0ES3_S9_PdNS6_17constant_iteratorIiNS6_11use_defaultESE_EENS6_10device_ptrIdEENSG_IlEEPmS8_NS6_8equal_toIdEEEE10hipError_tPvRmT2_T3_mT4_T5_T6_T7_T8_P12ihipStream_tbENKUlT_T0_E_clISt17integral_constantIbLb1EES12_IbLb0EEEEDaSY_SZ_EUlSY_E_NS1_11comp_targetILNS1_3genE5ELNS1_11target_archE942ELNS1_3gpuE9ELNS1_3repE0EEENS1_30default_config_static_selectorELNS0_4arch9wavefront6targetE1EEEvT1_: ; @_ZN7rocprim17ROCPRIM_400000_NS6detail17trampoline_kernelINS0_14default_configENS1_29reduce_by_key_config_selectorIdlN6thrust23THRUST_200600_302600_NS4plusIlEEEEZZNS1_33reduce_by_key_impl_wrapped_configILNS1_25lookback_scan_determinismE0ES3_S9_PdNS6_17constant_iteratorIiNS6_11use_defaultESE_EENS6_10device_ptrIdEENSG_IlEEPmS8_NS6_8equal_toIdEEEE10hipError_tPvRmT2_T3_mT4_T5_T6_T7_T8_P12ihipStream_tbENKUlT_T0_E_clISt17integral_constantIbLb1EES12_IbLb0EEEEDaSY_SZ_EUlSY_E_NS1_11comp_targetILNS1_3genE5ELNS1_11target_archE942ELNS1_3gpuE9ELNS1_3repE0EEENS1_30default_config_static_selectorELNS0_4arch9wavefront6targetE1EEEvT1_
; %bb.0:
	.section	.rodata,"a",@progbits
	.p2align	6, 0x0
	.amdhsa_kernel _ZN7rocprim17ROCPRIM_400000_NS6detail17trampoline_kernelINS0_14default_configENS1_29reduce_by_key_config_selectorIdlN6thrust23THRUST_200600_302600_NS4plusIlEEEEZZNS1_33reduce_by_key_impl_wrapped_configILNS1_25lookback_scan_determinismE0ES3_S9_PdNS6_17constant_iteratorIiNS6_11use_defaultESE_EENS6_10device_ptrIdEENSG_IlEEPmS8_NS6_8equal_toIdEEEE10hipError_tPvRmT2_T3_mT4_T5_T6_T7_T8_P12ihipStream_tbENKUlT_T0_E_clISt17integral_constantIbLb1EES12_IbLb0EEEEDaSY_SZ_EUlSY_E_NS1_11comp_targetILNS1_3genE5ELNS1_11target_archE942ELNS1_3gpuE9ELNS1_3repE0EEENS1_30default_config_static_selectorELNS0_4arch9wavefront6targetE1EEEvT1_
		.amdhsa_group_segment_fixed_size 0
		.amdhsa_private_segment_fixed_size 0
		.amdhsa_kernarg_size 144
		.amdhsa_user_sgpr_count 6
		.amdhsa_user_sgpr_private_segment_buffer 1
		.amdhsa_user_sgpr_dispatch_ptr 0
		.amdhsa_user_sgpr_queue_ptr 0
		.amdhsa_user_sgpr_kernarg_segment_ptr 1
		.amdhsa_user_sgpr_dispatch_id 0
		.amdhsa_user_sgpr_flat_scratch_init 0
		.amdhsa_user_sgpr_kernarg_preload_length 0
		.amdhsa_user_sgpr_kernarg_preload_offset 0
		.amdhsa_user_sgpr_private_segment_size 0
		.amdhsa_uses_dynamic_stack 0
		.amdhsa_system_sgpr_private_segment_wavefront_offset 0
		.amdhsa_system_sgpr_workgroup_id_x 1
		.amdhsa_system_sgpr_workgroup_id_y 0
		.amdhsa_system_sgpr_workgroup_id_z 0
		.amdhsa_system_sgpr_workgroup_info 0
		.amdhsa_system_vgpr_workitem_id 0
		.amdhsa_next_free_vgpr 1
		.amdhsa_next_free_sgpr 0
		.amdhsa_accum_offset 4
		.amdhsa_reserve_vcc 0
		.amdhsa_reserve_flat_scratch 0
		.amdhsa_float_round_mode_32 0
		.amdhsa_float_round_mode_16_64 0
		.amdhsa_float_denorm_mode_32 3
		.amdhsa_float_denorm_mode_16_64 3
		.amdhsa_dx10_clamp 1
		.amdhsa_ieee_mode 1
		.amdhsa_fp16_overflow 0
		.amdhsa_tg_split 0
		.amdhsa_exception_fp_ieee_invalid_op 0
		.amdhsa_exception_fp_denorm_src 0
		.amdhsa_exception_fp_ieee_div_zero 0
		.amdhsa_exception_fp_ieee_overflow 0
		.amdhsa_exception_fp_ieee_underflow 0
		.amdhsa_exception_fp_ieee_inexact 0
		.amdhsa_exception_int_div_zero 0
	.end_amdhsa_kernel
	.section	.text._ZN7rocprim17ROCPRIM_400000_NS6detail17trampoline_kernelINS0_14default_configENS1_29reduce_by_key_config_selectorIdlN6thrust23THRUST_200600_302600_NS4plusIlEEEEZZNS1_33reduce_by_key_impl_wrapped_configILNS1_25lookback_scan_determinismE0ES3_S9_PdNS6_17constant_iteratorIiNS6_11use_defaultESE_EENS6_10device_ptrIdEENSG_IlEEPmS8_NS6_8equal_toIdEEEE10hipError_tPvRmT2_T3_mT4_T5_T6_T7_T8_P12ihipStream_tbENKUlT_T0_E_clISt17integral_constantIbLb1EES12_IbLb0EEEEDaSY_SZ_EUlSY_E_NS1_11comp_targetILNS1_3genE5ELNS1_11target_archE942ELNS1_3gpuE9ELNS1_3repE0EEENS1_30default_config_static_selectorELNS0_4arch9wavefront6targetE1EEEvT1_,"axG",@progbits,_ZN7rocprim17ROCPRIM_400000_NS6detail17trampoline_kernelINS0_14default_configENS1_29reduce_by_key_config_selectorIdlN6thrust23THRUST_200600_302600_NS4plusIlEEEEZZNS1_33reduce_by_key_impl_wrapped_configILNS1_25lookback_scan_determinismE0ES3_S9_PdNS6_17constant_iteratorIiNS6_11use_defaultESE_EENS6_10device_ptrIdEENSG_IlEEPmS8_NS6_8equal_toIdEEEE10hipError_tPvRmT2_T3_mT4_T5_T6_T7_T8_P12ihipStream_tbENKUlT_T0_E_clISt17integral_constantIbLb1EES12_IbLb0EEEEDaSY_SZ_EUlSY_E_NS1_11comp_targetILNS1_3genE5ELNS1_11target_archE942ELNS1_3gpuE9ELNS1_3repE0EEENS1_30default_config_static_selectorELNS0_4arch9wavefront6targetE1EEEvT1_,comdat
.Lfunc_end1707:
	.size	_ZN7rocprim17ROCPRIM_400000_NS6detail17trampoline_kernelINS0_14default_configENS1_29reduce_by_key_config_selectorIdlN6thrust23THRUST_200600_302600_NS4plusIlEEEEZZNS1_33reduce_by_key_impl_wrapped_configILNS1_25lookback_scan_determinismE0ES3_S9_PdNS6_17constant_iteratorIiNS6_11use_defaultESE_EENS6_10device_ptrIdEENSG_IlEEPmS8_NS6_8equal_toIdEEEE10hipError_tPvRmT2_T3_mT4_T5_T6_T7_T8_P12ihipStream_tbENKUlT_T0_E_clISt17integral_constantIbLb1EES12_IbLb0EEEEDaSY_SZ_EUlSY_E_NS1_11comp_targetILNS1_3genE5ELNS1_11target_archE942ELNS1_3gpuE9ELNS1_3repE0EEENS1_30default_config_static_selectorELNS0_4arch9wavefront6targetE1EEEvT1_, .Lfunc_end1707-_ZN7rocprim17ROCPRIM_400000_NS6detail17trampoline_kernelINS0_14default_configENS1_29reduce_by_key_config_selectorIdlN6thrust23THRUST_200600_302600_NS4plusIlEEEEZZNS1_33reduce_by_key_impl_wrapped_configILNS1_25lookback_scan_determinismE0ES3_S9_PdNS6_17constant_iteratorIiNS6_11use_defaultESE_EENS6_10device_ptrIdEENSG_IlEEPmS8_NS6_8equal_toIdEEEE10hipError_tPvRmT2_T3_mT4_T5_T6_T7_T8_P12ihipStream_tbENKUlT_T0_E_clISt17integral_constantIbLb1EES12_IbLb0EEEEDaSY_SZ_EUlSY_E_NS1_11comp_targetILNS1_3genE5ELNS1_11target_archE942ELNS1_3gpuE9ELNS1_3repE0EEENS1_30default_config_static_selectorELNS0_4arch9wavefront6targetE1EEEvT1_
                                        ; -- End function
	.section	.AMDGPU.csdata,"",@progbits
; Kernel info:
; codeLenInByte = 0
; NumSgprs: 4
; NumVgprs: 0
; NumAgprs: 0
; TotalNumVgprs: 0
; ScratchSize: 0
; MemoryBound: 0
; FloatMode: 240
; IeeeMode: 1
; LDSByteSize: 0 bytes/workgroup (compile time only)
; SGPRBlocks: 0
; VGPRBlocks: 0
; NumSGPRsForWavesPerEU: 4
; NumVGPRsForWavesPerEU: 1
; AccumOffset: 4
; Occupancy: 8
; WaveLimiterHint : 0
; COMPUTE_PGM_RSRC2:SCRATCH_EN: 0
; COMPUTE_PGM_RSRC2:USER_SGPR: 6
; COMPUTE_PGM_RSRC2:TRAP_HANDLER: 0
; COMPUTE_PGM_RSRC2:TGID_X_EN: 1
; COMPUTE_PGM_RSRC2:TGID_Y_EN: 0
; COMPUTE_PGM_RSRC2:TGID_Z_EN: 0
; COMPUTE_PGM_RSRC2:TIDIG_COMP_CNT: 0
; COMPUTE_PGM_RSRC3_GFX90A:ACCUM_OFFSET: 0
; COMPUTE_PGM_RSRC3_GFX90A:TG_SPLIT: 0
	.section	.text._ZN7rocprim17ROCPRIM_400000_NS6detail17trampoline_kernelINS0_14default_configENS1_29reduce_by_key_config_selectorIdlN6thrust23THRUST_200600_302600_NS4plusIlEEEEZZNS1_33reduce_by_key_impl_wrapped_configILNS1_25lookback_scan_determinismE0ES3_S9_PdNS6_17constant_iteratorIiNS6_11use_defaultESE_EENS6_10device_ptrIdEENSG_IlEEPmS8_NS6_8equal_toIdEEEE10hipError_tPvRmT2_T3_mT4_T5_T6_T7_T8_P12ihipStream_tbENKUlT_T0_E_clISt17integral_constantIbLb1EES12_IbLb0EEEEDaSY_SZ_EUlSY_E_NS1_11comp_targetILNS1_3genE4ELNS1_11target_archE910ELNS1_3gpuE8ELNS1_3repE0EEENS1_30default_config_static_selectorELNS0_4arch9wavefront6targetE1EEEvT1_,"axG",@progbits,_ZN7rocprim17ROCPRIM_400000_NS6detail17trampoline_kernelINS0_14default_configENS1_29reduce_by_key_config_selectorIdlN6thrust23THRUST_200600_302600_NS4plusIlEEEEZZNS1_33reduce_by_key_impl_wrapped_configILNS1_25lookback_scan_determinismE0ES3_S9_PdNS6_17constant_iteratorIiNS6_11use_defaultESE_EENS6_10device_ptrIdEENSG_IlEEPmS8_NS6_8equal_toIdEEEE10hipError_tPvRmT2_T3_mT4_T5_T6_T7_T8_P12ihipStream_tbENKUlT_T0_E_clISt17integral_constantIbLb1EES12_IbLb0EEEEDaSY_SZ_EUlSY_E_NS1_11comp_targetILNS1_3genE4ELNS1_11target_archE910ELNS1_3gpuE8ELNS1_3repE0EEENS1_30default_config_static_selectorELNS0_4arch9wavefront6targetE1EEEvT1_,comdat
	.protected	_ZN7rocprim17ROCPRIM_400000_NS6detail17trampoline_kernelINS0_14default_configENS1_29reduce_by_key_config_selectorIdlN6thrust23THRUST_200600_302600_NS4plusIlEEEEZZNS1_33reduce_by_key_impl_wrapped_configILNS1_25lookback_scan_determinismE0ES3_S9_PdNS6_17constant_iteratorIiNS6_11use_defaultESE_EENS6_10device_ptrIdEENSG_IlEEPmS8_NS6_8equal_toIdEEEE10hipError_tPvRmT2_T3_mT4_T5_T6_T7_T8_P12ihipStream_tbENKUlT_T0_E_clISt17integral_constantIbLb1EES12_IbLb0EEEEDaSY_SZ_EUlSY_E_NS1_11comp_targetILNS1_3genE4ELNS1_11target_archE910ELNS1_3gpuE8ELNS1_3repE0EEENS1_30default_config_static_selectorELNS0_4arch9wavefront6targetE1EEEvT1_ ; -- Begin function _ZN7rocprim17ROCPRIM_400000_NS6detail17trampoline_kernelINS0_14default_configENS1_29reduce_by_key_config_selectorIdlN6thrust23THRUST_200600_302600_NS4plusIlEEEEZZNS1_33reduce_by_key_impl_wrapped_configILNS1_25lookback_scan_determinismE0ES3_S9_PdNS6_17constant_iteratorIiNS6_11use_defaultESE_EENS6_10device_ptrIdEENSG_IlEEPmS8_NS6_8equal_toIdEEEE10hipError_tPvRmT2_T3_mT4_T5_T6_T7_T8_P12ihipStream_tbENKUlT_T0_E_clISt17integral_constantIbLb1EES12_IbLb0EEEEDaSY_SZ_EUlSY_E_NS1_11comp_targetILNS1_3genE4ELNS1_11target_archE910ELNS1_3gpuE8ELNS1_3repE0EEENS1_30default_config_static_selectorELNS0_4arch9wavefront6targetE1EEEvT1_
	.globl	_ZN7rocprim17ROCPRIM_400000_NS6detail17trampoline_kernelINS0_14default_configENS1_29reduce_by_key_config_selectorIdlN6thrust23THRUST_200600_302600_NS4plusIlEEEEZZNS1_33reduce_by_key_impl_wrapped_configILNS1_25lookback_scan_determinismE0ES3_S9_PdNS6_17constant_iteratorIiNS6_11use_defaultESE_EENS6_10device_ptrIdEENSG_IlEEPmS8_NS6_8equal_toIdEEEE10hipError_tPvRmT2_T3_mT4_T5_T6_T7_T8_P12ihipStream_tbENKUlT_T0_E_clISt17integral_constantIbLb1EES12_IbLb0EEEEDaSY_SZ_EUlSY_E_NS1_11comp_targetILNS1_3genE4ELNS1_11target_archE910ELNS1_3gpuE8ELNS1_3repE0EEENS1_30default_config_static_selectorELNS0_4arch9wavefront6targetE1EEEvT1_
	.p2align	8
	.type	_ZN7rocprim17ROCPRIM_400000_NS6detail17trampoline_kernelINS0_14default_configENS1_29reduce_by_key_config_selectorIdlN6thrust23THRUST_200600_302600_NS4plusIlEEEEZZNS1_33reduce_by_key_impl_wrapped_configILNS1_25lookback_scan_determinismE0ES3_S9_PdNS6_17constant_iteratorIiNS6_11use_defaultESE_EENS6_10device_ptrIdEENSG_IlEEPmS8_NS6_8equal_toIdEEEE10hipError_tPvRmT2_T3_mT4_T5_T6_T7_T8_P12ihipStream_tbENKUlT_T0_E_clISt17integral_constantIbLb1EES12_IbLb0EEEEDaSY_SZ_EUlSY_E_NS1_11comp_targetILNS1_3genE4ELNS1_11target_archE910ELNS1_3gpuE8ELNS1_3repE0EEENS1_30default_config_static_selectorELNS0_4arch9wavefront6targetE1EEEvT1_,@function
_ZN7rocprim17ROCPRIM_400000_NS6detail17trampoline_kernelINS0_14default_configENS1_29reduce_by_key_config_selectorIdlN6thrust23THRUST_200600_302600_NS4plusIlEEEEZZNS1_33reduce_by_key_impl_wrapped_configILNS1_25lookback_scan_determinismE0ES3_S9_PdNS6_17constant_iteratorIiNS6_11use_defaultESE_EENS6_10device_ptrIdEENSG_IlEEPmS8_NS6_8equal_toIdEEEE10hipError_tPvRmT2_T3_mT4_T5_T6_T7_T8_P12ihipStream_tbENKUlT_T0_E_clISt17integral_constantIbLb1EES12_IbLb0EEEEDaSY_SZ_EUlSY_E_NS1_11comp_targetILNS1_3genE4ELNS1_11target_archE910ELNS1_3gpuE8ELNS1_3repE0EEENS1_30default_config_static_selectorELNS0_4arch9wavefront6targetE1EEEvT1_: ; @_ZN7rocprim17ROCPRIM_400000_NS6detail17trampoline_kernelINS0_14default_configENS1_29reduce_by_key_config_selectorIdlN6thrust23THRUST_200600_302600_NS4plusIlEEEEZZNS1_33reduce_by_key_impl_wrapped_configILNS1_25lookback_scan_determinismE0ES3_S9_PdNS6_17constant_iteratorIiNS6_11use_defaultESE_EENS6_10device_ptrIdEENSG_IlEEPmS8_NS6_8equal_toIdEEEE10hipError_tPvRmT2_T3_mT4_T5_T6_T7_T8_P12ihipStream_tbENKUlT_T0_E_clISt17integral_constantIbLb1EES12_IbLb0EEEEDaSY_SZ_EUlSY_E_NS1_11comp_targetILNS1_3genE4ELNS1_11target_archE910ELNS1_3gpuE8ELNS1_3repE0EEENS1_30default_config_static_selectorELNS0_4arch9wavefront6targetE1EEEvT1_
; %bb.0:
	s_load_dwordx16 s[36:51], s[4:5], 0x40
	s_load_dwordx4 s[8:11], s[4:5], 0x0
	s_load_dword s2, s[4:5], 0x18
	s_load_dwordx4 s[52:55], s[4:5], 0x20
	s_load_dwordx2 s[34:35], s[4:5], 0x30
	s_waitcnt lgkmcnt(0)
	s_mul_i32 s0, s44, s43
	s_mul_hi_u32 s1, s44, s42
	s_add_i32 s0, s1, s0
	s_mul_i32 s1, s45, s42
	s_add_i32 s3, s0, s1
	s_lshl_b64 s[0:1], s[10:11], 3
	s_add_u32 s8, s8, s0
	s_addc_u32 s9, s9, s1
	s_mul_i32 s0, s6, 0xf00
	s_mov_b32 s1, 0
	s_lshl_b64 s[0:1], s[0:1], 3
	s_add_u32 s56, s8, s0
	s_mul_i32 s7, s44, s42
	s_addc_u32 s57, s9, s1
	s_add_u32 s58, s7, s6
	s_addc_u32 s59, s3, 0
	s_add_u32 s10, s46, -1
	s_addc_u32 s11, s47, -1
	s_cmp_eq_u64 s[58:59], s[10:11]
	s_cselect_b64 s[44:45], -1, 0
	s_cmp_lg_u64 s[58:59], s[10:11]
	s_mov_b64 s[8:9], -1
	s_cselect_b64 s[0:1], -1, 0
	s_mul_i32 s33, s10, 0xfffff100
	s_and_b64 vcc, exec, s[44:45]
	s_cbranch_vccnz .LBB1708_2
; %bb.1:
	v_lshlrev_b32_e32 v38, 3, v0
	v_mov_b32_e32 v1, s57
	v_add_co_u32_e32 v30, vcc, s56, v38
	v_addc_co_u32_e32 v1, vcc, 0, v1, vcc
	v_add_co_u32_e32 v2, vcc, 0x1000, v30
	v_addc_co_u32_e32 v3, vcc, 0, v1, vcc
	global_load_dwordx2 v[4:5], v38, s[56:57]
	global_load_dwordx2 v[6:7], v38, s[56:57] offset:2048
	global_load_dwordx2 v[8:9], v[2:3], off
	global_load_dwordx2 v[10:11], v[2:3], off offset:2048
	v_add_co_u32_e32 v2, vcc, 0x2000, v30
	v_addc_co_u32_e32 v3, vcc, 0, v1, vcc
	v_add_co_u32_e32 v12, vcc, 0x3000, v30
	v_addc_co_u32_e32 v13, vcc, 0, v1, vcc
	global_load_dwordx2 v[14:15], v[2:3], off
	global_load_dwordx2 v[16:17], v[2:3], off offset:2048
	global_load_dwordx2 v[18:19], v[12:13], off
	global_load_dwordx2 v[20:21], v[12:13], off offset:2048
	v_add_co_u32_e32 v2, vcc, 0x4000, v30
	v_addc_co_u32_e32 v3, vcc, 0, v1, vcc
	v_add_co_u32_e32 v12, vcc, 0x5000, v30
	v_addc_co_u32_e32 v13, vcc, 0, v1, vcc
	global_load_dwordx2 v[22:23], v[2:3], off
	global_load_dwordx2 v[24:25], v[2:3], off offset:2048
	;; [unrolled: 8-line block ×3, first 2 shown]
	global_load_dwordx2 v[34:35], v[12:13], off
	s_movk_i32 s7, 0x70
	v_mad_u32_u24 v1, v0, s7, v38
	s_ashr_i32 s3, s2, 31
	v_pk_mov_b32 v[36:37], s[2:3], s[2:3] op_sel:[0,1]
	s_waitcnt vmcnt(13)
	ds_write2st64_b64 v38, v[4:5], v[6:7] offset1:4
	s_waitcnt vmcnt(11)
	ds_write2st64_b64 v38, v[8:9], v[10:11] offset0:8 offset1:12
	s_waitcnt vmcnt(9)
	ds_write2st64_b64 v38, v[14:15], v[16:17] offset0:16 offset1:20
	;; [unrolled: 2-line block ×6, first 2 shown]
	s_waitcnt vmcnt(0)
	ds_write_b64 v38, v[34:35] offset:28672
	s_waitcnt lgkmcnt(0)
	s_barrier
	ds_read2_b64 v[26:29], v1 offset1:1
	ds_read2_b64 v[22:25], v1 offset0:2 offset1:3
	ds_read2_b64 v[18:21], v1 offset0:4 offset1:5
	ds_read2_b64 v[14:17], v1 offset0:6 offset1:7
	ds_read2_b64 v[10:13], v1 offset0:8 offset1:9
	ds_read2_b64 v[6:9], v1 offset0:10 offset1:11
	ds_read2_b64 v[2:5], v1 offset0:12 offset1:13
	ds_read_b64 v[74:75], v1 offset:112
	s_waitcnt lgkmcnt(7)
	v_mov_b32_e32 v58, v26
	v_mov_b32_e32 v59, v27
	s_waitcnt lgkmcnt(6)
	v_mov_b32_e32 v60, v22
	v_mov_b32_e32 v61, v23
	;; [unrolled: 3-line block ×7, first 2 shown]
	s_waitcnt lgkmcnt(0)
	s_barrier
	ds_write2st64_b64 v38, v[36:37], v[36:37] offset1:4
	ds_write2st64_b64 v38, v[36:37], v[36:37] offset0:8 offset1:12
	ds_write2st64_b64 v38, v[36:37], v[36:37] offset0:16 offset1:20
	;; [unrolled: 1-line block ×6, first 2 shown]
	ds_write_b64 v38, v[36:37] offset:28672
	s_waitcnt lgkmcnt(0)
	s_barrier
	s_load_dwordx2 s[30:31], s[4:5], 0x80
	s_add_i32 s33, s33, s48
	s_cbranch_execz .LBB1708_3
	s_branch .LBB1708_34
.LBB1708_2:
                                        ; implicit-def: $vgpr74_vgpr75
                                        ; implicit-def: $vgpr2_vgpr3
                                        ; implicit-def: $vgpr6_vgpr7
                                        ; implicit-def: $vgpr10_vgpr11
                                        ; implicit-def: $vgpr14_vgpr15
                                        ; implicit-def: $vgpr18_vgpr19
                                        ; implicit-def: $vgpr22_vgpr23
                                        ; implicit-def: $vgpr26_vgpr27
                                        ; implicit-def: $vgpr1
                                        ; implicit-def: $vgpr66_vgpr67_vgpr68_vgpr69
                                        ; implicit-def: $vgpr62_vgpr63_vgpr64_vgpr65
                                        ; implicit-def: $vgpr58_vgpr59_vgpr60_vgpr61
                                        ; implicit-def: $vgpr70_vgpr71_vgpr72_vgpr73
	s_load_dwordx2 s[30:31], s[4:5], 0x80
	s_andn2_b64 vcc, exec, s[8:9]
	s_add_i32 s33, s33, s48
	s_cbranch_vccnz .LBB1708_34
.LBB1708_3:
	v_cmp_gt_u32_e32 vcc, s33, v0
                                        ; implicit-def: $vgpr2_vgpr3
	s_and_saveexec_b64 s[4:5], vcc
	s_cbranch_execz .LBB1708_5
; %bb.4:
	v_lshlrev_b32_e32 v1, 3, v0
	global_load_dwordx2 v[2:3], v1, s[56:57]
.LBB1708_5:
	s_or_b64 exec, exec, s[4:5]
	v_or_b32_e32 v1, 0x100, v0
	v_cmp_gt_u32_e32 vcc, s33, v1
                                        ; implicit-def: $vgpr4_vgpr5
	s_and_saveexec_b64 s[4:5], vcc
	s_cbranch_execz .LBB1708_7
; %bb.6:
	v_lshlrev_b32_e32 v1, 3, v0
	global_load_dwordx2 v[4:5], v1, s[56:57] offset:2048
.LBB1708_7:
	s_or_b64 exec, exec, s[4:5]
	v_or_b32_e32 v1, 0x200, v0
	v_cmp_gt_u32_e32 vcc, s33, v1
                                        ; implicit-def: $vgpr6_vgpr7
	s_and_saveexec_b64 s[4:5], vcc
	s_cbranch_execz .LBB1708_9
; %bb.8:
	v_lshlrev_b32_e32 v1, 3, v1
	global_load_dwordx2 v[6:7], v1, s[56:57]
.LBB1708_9:
	s_or_b64 exec, exec, s[4:5]
	v_or_b32_e32 v1, 0x300, v0
	v_cmp_gt_u32_e32 vcc, s33, v1
                                        ; implicit-def: $vgpr8_vgpr9
	s_and_saveexec_b64 s[4:5], vcc
	s_cbranch_execz .LBB1708_11
; %bb.10:
	v_lshlrev_b32_e32 v1, 3, v1
	global_load_dwordx2 v[8:9], v1, s[56:57]
.LBB1708_11:
	s_or_b64 exec, exec, s[4:5]
	v_or_b32_e32 v1, 0x400, v0
	v_cmp_gt_u32_e32 vcc, s33, v1
                                        ; implicit-def: $vgpr10_vgpr11
	s_and_saveexec_b64 s[4:5], vcc
	s_cbranch_execz .LBB1708_13
; %bb.12:
	v_lshlrev_b32_e32 v1, 3, v1
	global_load_dwordx2 v[10:11], v1, s[56:57]
.LBB1708_13:
	s_or_b64 exec, exec, s[4:5]
	v_or_b32_e32 v1, 0x500, v0
	v_cmp_gt_u32_e32 vcc, s33, v1
                                        ; implicit-def: $vgpr12_vgpr13
	s_and_saveexec_b64 s[4:5], vcc
	s_cbranch_execz .LBB1708_15
; %bb.14:
	v_lshlrev_b32_e32 v1, 3, v1
	global_load_dwordx2 v[12:13], v1, s[56:57]
.LBB1708_15:
	s_or_b64 exec, exec, s[4:5]
	v_or_b32_e32 v1, 0x600, v0
	v_cmp_gt_u32_e32 vcc, s33, v1
                                        ; implicit-def: $vgpr14_vgpr15
	s_and_saveexec_b64 s[4:5], vcc
	s_cbranch_execz .LBB1708_17
; %bb.16:
	v_lshlrev_b32_e32 v1, 3, v1
	global_load_dwordx2 v[14:15], v1, s[56:57]
.LBB1708_17:
	s_or_b64 exec, exec, s[4:5]
	v_or_b32_e32 v1, 0x700, v0
	v_cmp_gt_u32_e32 vcc, s33, v1
                                        ; implicit-def: $vgpr16_vgpr17
	s_and_saveexec_b64 s[4:5], vcc
	s_cbranch_execz .LBB1708_19
; %bb.18:
	v_lshlrev_b32_e32 v1, 3, v1
	global_load_dwordx2 v[16:17], v1, s[56:57]
.LBB1708_19:
	s_or_b64 exec, exec, s[4:5]
	v_or_b32_e32 v1, 0x800, v0
	v_cmp_gt_u32_e32 vcc, s33, v1
                                        ; implicit-def: $vgpr18_vgpr19
	s_and_saveexec_b64 s[4:5], vcc
	s_cbranch_execz .LBB1708_21
; %bb.20:
	v_lshlrev_b32_e32 v1, 3, v1
	global_load_dwordx2 v[18:19], v1, s[56:57]
.LBB1708_21:
	s_or_b64 exec, exec, s[4:5]
	v_or_b32_e32 v1, 0x900, v0
	v_cmp_gt_u32_e32 vcc, s33, v1
                                        ; implicit-def: $vgpr20_vgpr21
	s_and_saveexec_b64 s[4:5], vcc
	s_cbranch_execz .LBB1708_23
; %bb.22:
	v_lshlrev_b32_e32 v1, 3, v1
	global_load_dwordx2 v[20:21], v1, s[56:57]
.LBB1708_23:
	s_or_b64 exec, exec, s[4:5]
	v_or_b32_e32 v1, 0xa00, v0
	v_cmp_gt_u32_e32 vcc, s33, v1
                                        ; implicit-def: $vgpr22_vgpr23
	s_and_saveexec_b64 s[4:5], vcc
	s_cbranch_execz .LBB1708_25
; %bb.24:
	v_lshlrev_b32_e32 v1, 3, v1
	global_load_dwordx2 v[22:23], v1, s[56:57]
.LBB1708_25:
	s_or_b64 exec, exec, s[4:5]
	v_or_b32_e32 v1, 0xb00, v0
	v_cmp_gt_u32_e32 vcc, s33, v1
                                        ; implicit-def: $vgpr24_vgpr25
	s_and_saveexec_b64 s[4:5], vcc
	s_cbranch_execz .LBB1708_27
; %bb.26:
	v_lshlrev_b32_e32 v1, 3, v1
	global_load_dwordx2 v[24:25], v1, s[56:57]
.LBB1708_27:
	s_or_b64 exec, exec, s[4:5]
	v_or_b32_e32 v1, 0xc00, v0
	v_cmp_gt_u32_e32 vcc, s33, v1
                                        ; implicit-def: $vgpr26_vgpr27
	s_and_saveexec_b64 s[4:5], vcc
	s_cbranch_execz .LBB1708_29
; %bb.28:
	v_lshlrev_b32_e32 v1, 3, v1
	global_load_dwordx2 v[26:27], v1, s[56:57]
.LBB1708_29:
	s_or_b64 exec, exec, s[4:5]
	v_or_b32_e32 v1, 0xd00, v0
	v_cmp_gt_u32_e32 vcc, s33, v1
                                        ; implicit-def: $vgpr28_vgpr29
	s_and_saveexec_b64 s[4:5], vcc
	s_cbranch_execz .LBB1708_31
; %bb.30:
	v_lshlrev_b32_e32 v1, 3, v1
	global_load_dwordx2 v[28:29], v1, s[56:57]
.LBB1708_31:
	s_or_b64 exec, exec, s[4:5]
	v_or_b32_e32 v1, 0xe00, v0
	v_cmp_gt_u32_e32 vcc, s33, v1
                                        ; implicit-def: $vgpr30_vgpr31
	s_and_saveexec_b64 s[4:5], vcc
	s_cbranch_execz .LBB1708_33
; %bb.32:
	v_lshlrev_b32_e32 v1, 3, v1
	global_load_dwordx2 v[30:31], v1, s[56:57]
.LBB1708_33:
	s_or_b64 exec, exec, s[4:5]
	v_lshlrev_b32_e32 v32, 3, v0
	s_movk_i32 s3, 0x70
	v_mad_u32_u24 v1, v0, s3, v32
	s_waitcnt vmcnt(0)
	ds_write2st64_b64 v32, v[2:3], v[4:5] offset1:4
	ds_write2st64_b64 v32, v[6:7], v[8:9] offset0:8 offset1:12
	ds_write2st64_b64 v32, v[10:11], v[12:13] offset0:16 offset1:20
	;; [unrolled: 1-line block ×6, first 2 shown]
	ds_write_b64 v32, v[30:31] offset:28672
	s_waitcnt lgkmcnt(0)
	s_barrier
	ds_read2_b64 v[26:29], v1 offset1:1
	ds_read2_b64 v[22:25], v1 offset0:2 offset1:3
	ds_read2_b64 v[18:21], v1 offset0:4 offset1:5
	;; [unrolled: 1-line block ×6, first 2 shown]
	ds_read_b64 v[74:75], v1 offset:112
	s_ashr_i32 s3, s2, 31
	v_pk_mov_b32 v[30:31], s[2:3], s[2:3] op_sel:[0,1]
	s_waitcnt lgkmcnt(7)
	v_mov_b32_e32 v58, v26
	v_mov_b32_e32 v59, v27
	s_waitcnt lgkmcnt(6)
	v_mov_b32_e32 v60, v22
	v_mov_b32_e32 v61, v23
	;; [unrolled: 3-line block ×7, first 2 shown]
	s_waitcnt lgkmcnt(0)
	s_barrier
	ds_write2st64_b64 v32, v[30:31], v[30:31] offset1:4
	ds_write2st64_b64 v32, v[30:31], v[30:31] offset0:8 offset1:12
	ds_write2st64_b64 v32, v[30:31], v[30:31] offset0:16 offset1:20
	;; [unrolled: 1-line block ×6, first 2 shown]
	ds_write_b64 v32, v[30:31] offset:28672
	s_waitcnt lgkmcnt(0)
	s_barrier
.LBB1708_34:
	s_waitcnt lgkmcnt(0)
	ds_read2_b64 v[54:57], v1 offset1:1
	ds_read2_b64 v[50:53], v1 offset0:2 offset1:3
	ds_read2_b64 v[46:49], v1 offset0:4 offset1:5
	;; [unrolled: 1-line block ×6, first 2 shown]
	ds_read_b64 v[72:73], v1 offset:112
	s_cmp_eq_u64 s[58:59], 0
	s_cselect_b64 s[46:47], -1, 0
	s_cmp_lg_u64 s[58:59], 0
	s_mov_b64 s[2:3], 0
	s_cselect_b64 s[60:61], -1, 0
	s_and_b64 vcc, exec, s[0:1]
	s_waitcnt lgkmcnt(0)
	s_barrier
	s_cbranch_vccz .LBB1708_40
; %bb.35:
	s_and_b64 vcc, exec, s[60:61]
	s_cbranch_vccz .LBB1708_41
; %bb.36:
	s_add_u32 s0, s56, -8
	s_addc_u32 s1, s57, -1
	s_load_dwordx2 s[62:63], s[0:1], 0x0
	v_lshlrev_b32_e32 v1, 3, v0
	v_cmp_neq_f64_e32 vcc, v[4:5], v[74:75]
	v_cmp_neq_f64_e64 s[0:1], v[2:3], v[4:5]
	v_cmp_neq_f64_e64 s[2:3], v[8:9], v[2:3]
	;; [unrolled: 1-line block ×13, first 2 shown]
	v_cmp_ne_u32_e64 s[28:29], 0, v0
	s_waitcnt lgkmcnt(0)
	v_pk_mov_b32 v[76:77], s[62:63], s[62:63] op_sel:[0,1]
	ds_write_b64 v1, v[74:75]
	s_waitcnt lgkmcnt(0)
	s_barrier
	s_and_saveexec_b64 s[62:63], s[28:29]
	s_cbranch_execz .LBB1708_38
; %bb.37:
	v_add_u32_e32 v1, -8, v1
	ds_read_b64 v[76:77], v1
.LBB1708_38:
	s_or_b64 exec, exec, s[62:63]
	v_cndmask_b32_e64 v1, 0, 1, vcc
	v_cndmask_b32_e64 v100, 0, 1, s[0:1]
	v_cndmask_b32_e64 v101, 0, 1, s[2:3]
	;; [unrolled: 1-line block ×13, first 2 shown]
	s_waitcnt lgkmcnt(0)
	v_cmp_neq_f64_e64 s[0:1], v[76:77], v[26:27]
	s_mov_b64 s[2:3], -1
.LBB1708_39:
                                        ; implicit-def: $sgpr7
	s_branch .LBB1708_53
.LBB1708_40:
                                        ; implicit-def: $sgpr0_sgpr1
                                        ; implicit-def: $vgpr1
                                        ; implicit-def: $vgpr100
                                        ; implicit-def: $vgpr101
                                        ; implicit-def: $vgpr102
                                        ; implicit-def: $vgpr103
                                        ; implicit-def: $vgpr104
                                        ; implicit-def: $vgpr105
                                        ; implicit-def: $vgpr106
                                        ; implicit-def: $vgpr107
                                        ; implicit-def: $vgpr108
                                        ; implicit-def: $vgpr109
                                        ; implicit-def: $vgpr110
                                        ; implicit-def: $vgpr111
                                        ; implicit-def: $vgpr112
                                        ; implicit-def: $sgpr7
	s_cbranch_execnz .LBB1708_45
	s_branch .LBB1708_53
.LBB1708_41:
                                        ; implicit-def: $sgpr0_sgpr1
                                        ; implicit-def: $vgpr1
                                        ; implicit-def: $vgpr100
                                        ; implicit-def: $vgpr101
                                        ; implicit-def: $vgpr102
                                        ; implicit-def: $vgpr103
                                        ; implicit-def: $vgpr104
                                        ; implicit-def: $vgpr105
                                        ; implicit-def: $vgpr106
                                        ; implicit-def: $vgpr107
                                        ; implicit-def: $vgpr108
                                        ; implicit-def: $vgpr109
                                        ; implicit-def: $vgpr110
                                        ; implicit-def: $vgpr111
                                        ; implicit-def: $vgpr112
	s_cbranch_execz .LBB1708_39
; %bb.42:
	v_cmp_neq_f64_e32 vcc, v[28:29], v[58:59]
	v_cndmask_b32_e64 v112, 0, 1, vcc
	v_cmp_neq_f64_e32 vcc, v[28:29], v[60:61]
	v_cndmask_b32_e64 v111, 0, 1, vcc
	;; [unrolled: 2-line block ×13, first 2 shown]
	v_cmp_neq_f64_e32 vcc, v[4:5], v[74:75]
	v_lshlrev_b32_e32 v76, 3, v0
	v_cndmask_b32_e64 v1, 0, 1, vcc
	v_cmp_ne_u32_e32 vcc, 0, v0
	ds_write_b64 v76, v[74:75]
	s_waitcnt lgkmcnt(0)
	s_barrier
	s_waitcnt lgkmcnt(0)
                                        ; implicit-def: $sgpr0_sgpr1
	s_and_saveexec_b64 s[4:5], vcc
	s_xor_b64 s[4:5], exec, s[4:5]
	s_cbranch_execz .LBB1708_44
; %bb.43:
	v_add_u32_e32 v58, -8, v76
	ds_read_b64 v[58:59], v58
	s_or_b64 s[2:3], s[2:3], exec
	s_waitcnt lgkmcnt(0)
	v_cmp_neq_f64_e32 vcc, v[58:59], v[26:27]
	s_and_b64 s[0:1], vcc, exec
.LBB1708_44:
	s_or_b64 exec, exec, s[4:5]
	s_mov_b32 s7, 1
	s_branch .LBB1708_53
.LBB1708_45:
	s_mul_hi_u32 s1, s58, 0xfffff100
	s_mul_i32 s0, s59, 0xfffff100
	s_sub_i32 s1, s1, s58
	s_add_i32 s1, s1, s0
	s_mul_i32 s0, s58, 0xfffff100
	s_add_u32 s4, s0, s48
	s_addc_u32 s5, s1, s49
	s_and_b64 vcc, exec, s[60:61]
	s_cbranch_vccz .LBB1708_50
; %bb.46:
	s_add_u32 s0, s56, -8
	s_addc_u32 s1, s57, -1
	v_mad_u32_u24 v60, v0, 15, 14
	v_mov_b32_e32 v61, 0
	s_load_dwordx2 s[56:57], s[0:1], 0x0
	v_cmp_gt_u64_e32 vcc, s[4:5], v[60:61]
	v_cmp_neq_f64_e64 s[0:1], v[4:5], v[74:75]
	v_mad_u32_u24 v60, v0, 15, 13
	s_and_b64 s[2:3], vcc, s[0:1]
	v_cmp_gt_u64_e32 vcc, s[4:5], v[60:61]
	v_cmp_neq_f64_e64 s[0:1], v[2:3], v[4:5]
	v_mad_u32_u24 v60, v0, 15, 12
	s_and_b64 s[8:9], vcc, s[0:1]
	;; [unrolled: 4-line block ×13, first 2 shown]
	v_cmp_gt_u64_e32 vcc, s[4:5], v[60:61]
	v_cmp_neq_f64_e64 s[0:1], v[26:27], v[28:29]
	v_lshlrev_b32_e32 v1, 3, v0
	v_mul_u32_u24_e32 v58, 15, v0
	s_and_b64 s[0:1], vcc, s[0:1]
	v_cmp_ne_u32_e32 vcc, 0, v0
	s_waitcnt lgkmcnt(0)
	v_pk_mov_b32 v[62:63], s[56:57], s[56:57] op_sel:[0,1]
	ds_write_b64 v1, v[74:75]
	s_waitcnt lgkmcnt(0)
	s_barrier
	s_and_saveexec_b64 s[56:57], vcc
	s_cbranch_execz .LBB1708_48
; %bb.47:
	v_add_u32_e32 v1, -8, v1
	ds_read_b64 v[62:63], v1
.LBB1708_48:
	s_or_b64 exec, exec, s[56:57]
	v_mov_b32_e32 v59, v61
	v_cndmask_b32_e64 v112, 0, 1, s[0:1]
	v_cmp_gt_u64_e32 vcc, s[4:5], v[58:59]
	s_waitcnt lgkmcnt(0)
	v_cmp_neq_f64_e64 s[0:1], v[62:63], v[26:27]
	v_cndmask_b32_e64 v1, 0, 1, s[2:3]
	v_cndmask_b32_e64 v100, 0, 1, s[8:9]
	;; [unrolled: 1-line block ×13, first 2 shown]
	s_and_b64 s[0:1], vcc, s[0:1]
	s_mov_b64 s[2:3], -1
.LBB1708_49:
                                        ; implicit-def: $sgpr7
	v_mov_b32_e32 v113, s7
	s_and_saveexec_b64 s[4:5], s[2:3]
	s_cbranch_execnz .LBB1708_54
	s_branch .LBB1708_55
.LBB1708_50:
                                        ; implicit-def: $sgpr0_sgpr1
                                        ; implicit-def: $vgpr1
                                        ; implicit-def: $vgpr100
                                        ; implicit-def: $vgpr101
                                        ; implicit-def: $vgpr102
                                        ; implicit-def: $vgpr103
                                        ; implicit-def: $vgpr104
                                        ; implicit-def: $vgpr105
                                        ; implicit-def: $vgpr106
                                        ; implicit-def: $vgpr107
                                        ; implicit-def: $vgpr108
                                        ; implicit-def: $vgpr109
                                        ; implicit-def: $vgpr110
                                        ; implicit-def: $vgpr111
                                        ; implicit-def: $vgpr112
	s_cbranch_execz .LBB1708_49
; %bb.51:
	v_mad_u32_u24 v58, v0, 15, 14
	v_mov_b32_e32 v59, 0
	v_cmp_gt_u64_e32 vcc, s[4:5], v[58:59]
	v_cmp_neq_f64_e64 s[0:1], v[4:5], v[74:75]
	s_and_b64 s[0:1], vcc, s[0:1]
	v_mad_u32_u24 v58, v0, 15, 13
	v_cndmask_b32_e64 v1, 0, 1, s[0:1]
	v_cmp_gt_u64_e32 vcc, s[4:5], v[58:59]
	v_cmp_neq_f64_e64 s[0:1], v[2:3], v[4:5]
	s_and_b64 s[0:1], vcc, s[0:1]
	v_mad_u32_u24 v58, v0, 15, 12
	v_cndmask_b32_e64 v100, 0, 1, s[0:1]
	;; [unrolled: 5-line block ×13, first 2 shown]
	v_cmp_gt_u64_e32 vcc, s[4:5], v[58:59]
	v_cmp_neq_f64_e64 s[0:1], v[26:27], v[28:29]
	s_and_b64 s[0:1], vcc, s[0:1]
	v_lshlrev_b32_e32 v60, 3, v0
	s_mov_b32 s7, 1
	v_cndmask_b32_e64 v112, 0, 1, s[0:1]
	v_cmp_ne_u32_e32 vcc, 0, v0
	ds_write_b64 v60, v[74:75]
	s_waitcnt lgkmcnt(0)
	s_barrier
	s_waitcnt lgkmcnt(0)
                                        ; implicit-def: $sgpr0_sgpr1
	s_and_saveexec_b64 s[8:9], vcc
	s_cbranch_execz .LBB1708_194
; %bb.52:
	v_add_u32_e32 v58, -8, v60
	ds_read_b64 v[60:61], v58
	v_mul_u32_u24_e32 v58, 15, v0
	v_cmp_gt_u64_e32 vcc, s[4:5], v[58:59]
	s_or_b64 s[2:3], s[2:3], exec
	s_waitcnt lgkmcnt(0)
	v_cmp_neq_f64_e64 s[0:1], v[60:61], v[26:27]
	s_and_b64 s[0:1], vcc, s[0:1]
	s_and_b64 s[0:1], s[0:1], exec
	s_or_b64 exec, exec, s[8:9]
.LBB1708_53:
	v_mov_b32_e32 v113, s7
	s_and_saveexec_b64 s[4:5], s[2:3]
.LBB1708_54:
	v_cndmask_b32_e64 v113, 0, 1, s[0:1]
.LBB1708_55:
	s_or_b64 exec, exec, s[4:5]
	s_cmp_eq_u64 s[42:43], 0
	v_add3_u32 v58, v112, v113, v111
	v_mov_b32_e32 v64, v54
	v_mov_b32_e32 v65, v55
	s_cselect_b64 s[42:43], -1, 0
	s_cmp_lg_u32 s6, 0
	v_cmp_eq_u32_e64 s[24:25], 0, v112
	v_cmp_eq_u32_e64 s[22:23], 0, v111
	v_cmp_eq_u32_e64 s[20:21], 0, v110
	v_add3_u32 v115, v58, v110, v109
	v_cmp_eq_u32_e64 s[18:19], 0, v109
	v_cmp_eq_u32_e64 s[16:17], 0, v108
	;; [unrolled: 1-line block ×10, first 2 shown]
	v_cmp_eq_u32_e32 vcc, 0, v1
	v_mbcnt_lo_u32_b32 v114, -1, 0
	s_cbranch_scc0 .LBB1708_126
; %bb.56:
	v_cndmask_b32_e64 v59, 0, v54, s[24:25]
	v_cndmask_b32_e64 v58, 0, v55, s[24:25]
	v_add_co_u32_e64 v59, s[26:27], v59, v56
	v_addc_co_u32_e64 v58, s[26:27], v58, v57, s[26:27]
	v_cndmask_b32_e64 v59, 0, v59, s[22:23]
	v_cndmask_b32_e64 v58, 0, v58, s[22:23]
	v_add_co_u32_e64 v59, s[26:27], v59, v50
	v_addc_co_u32_e64 v58, s[26:27], v58, v51, s[26:27]
	;; [unrolled: 4-line block ×11, first 2 shown]
	v_cndmask_b32_e64 v59, 0, v59, s[2:3]
	v_add3_u32 v60, v115, v108, v107
	v_cndmask_b32_e64 v58, 0, v58, s[2:3]
	v_add_co_u32_e64 v59, s[26:27], v59, v30
	v_add3_u32 v60, v60, v106, v105
	v_addc_co_u32_e64 v58, s[26:27], v58, v31, s[26:27]
	v_cndmask_b32_e64 v59, 0, v59, s[0:1]
	v_add3_u32 v60, v60, v104, v103
	v_cndmask_b32_e64 v58, 0, v58, s[0:1]
	v_add_co_u32_e64 v59, s[26:27], v59, v32
	v_add3_u32 v60, v60, v102, v101
	v_addc_co_u32_e64 v58, s[26:27], v58, v33, s[26:27]
	v_cndmask_b32_e32 v59, 0, v59, vcc
	v_add3_u32 v62, v60, v100, v1
	v_cndmask_b32_e32 v58, 0, v58, vcc
	v_add_co_u32_e32 v60, vcc, v59, v72
	v_mbcnt_hi_u32_b32 v63, -1, v114
	v_addc_co_u32_e32 v61, vcc, v58, v73, vcc
	v_and_b32_e32 v58, 15, v63
	v_mov_b32_dpp v66, v62 row_shr:1 row_mask:0xf bank_mask:0xf
	v_mov_b32_dpp v59, v60 row_shr:1 row_mask:0xf bank_mask:0xf
	;; [unrolled: 1-line block ×3, first 2 shown]
	v_cmp_ne_u32_e32 vcc, 0, v58
	s_and_saveexec_b64 s[26:27], vcc
; %bb.57:
	v_cmp_eq_u32_e32 vcc, 0, v62
	v_cndmask_b32_e32 v59, 0, v59, vcc
	v_add_u32_e32 v66, v66, v62
	v_cndmask_b32_e32 v62, 0, v67, vcc
	v_add_co_u32_e32 v60, vcc, v59, v60
	v_addc_co_u32_e32 v61, vcc, v62, v61, vcc
	v_mov_b32_e32 v62, v66
; %bb.58:
	s_or_b64 exec, exec, s[26:27]
	s_nop 0
	v_mov_b32_dpp v66, v62 row_shr:2 row_mask:0xf bank_mask:0xf
	v_mov_b32_dpp v59, v60 row_shr:2 row_mask:0xf bank_mask:0xf
	v_mov_b32_dpp v67, v61 row_shr:2 row_mask:0xf bank_mask:0xf
	v_cmp_lt_u32_e32 vcc, 1, v58
	s_and_saveexec_b64 s[26:27], vcc
; %bb.59:
	v_cmp_eq_u32_e32 vcc, 0, v62
	v_cndmask_b32_e32 v59, 0, v59, vcc
	v_add_u32_e32 v66, v66, v62
	v_cndmask_b32_e32 v62, 0, v67, vcc
	v_add_co_u32_e32 v60, vcc, v59, v60
	v_addc_co_u32_e32 v61, vcc, v62, v61, vcc
	v_mov_b32_e32 v62, v66
; %bb.60:
	s_or_b64 exec, exec, s[26:27]
	s_nop 0
	v_mov_b32_dpp v66, v62 row_shr:4 row_mask:0xf bank_mask:0xf
	v_mov_b32_dpp v59, v60 row_shr:4 row_mask:0xf bank_mask:0xf
	v_mov_b32_dpp v67, v61 row_shr:4 row_mask:0xf bank_mask:0xf
	v_cmp_lt_u32_e32 vcc, 3, v58
	;; [unrolled: 16-line block ×3, first 2 shown]
	s_and_saveexec_b64 s[26:27], vcc
; %bb.63:
	v_cmp_eq_u32_e32 vcc, 0, v62
	v_cndmask_b32_e32 v59, 0, v59, vcc
	v_add_u32_e32 v58, v66, v62
	v_cndmask_b32_e32 v62, 0, v67, vcc
	v_add_co_u32_e32 v60, vcc, v59, v60
	v_addc_co_u32_e32 v61, vcc, v62, v61, vcc
	v_mov_b32_e32 v62, v58
; %bb.64:
	s_or_b64 exec, exec, s[26:27]
	v_and_b32_e32 v67, 16, v63
	v_mov_b32_dpp v59, v62 row_bcast:15 row_mask:0xf bank_mask:0xf
	v_mov_b32_dpp v58, v60 row_bcast:15 row_mask:0xf bank_mask:0xf
	;; [unrolled: 1-line block ×3, first 2 shown]
	v_cmp_ne_u32_e32 vcc, 0, v67
	s_and_saveexec_b64 s[26:27], vcc
; %bb.65:
	v_cmp_eq_u32_e32 vcc, 0, v62
	v_cndmask_b32_e32 v58, 0, v58, vcc
	v_add_u32_e32 v59, v59, v62
	v_cndmask_b32_e32 v62, 0, v66, vcc
	v_add_co_u32_e32 v60, vcc, v58, v60
	v_addc_co_u32_e32 v61, vcc, v62, v61, vcc
	v_mov_b32_e32 v62, v59
; %bb.66:
	s_or_b64 exec, exec, s[26:27]
	s_nop 0
	v_mov_b32_dpp v59, v62 row_bcast:31 row_mask:0xf bank_mask:0xf
	v_mov_b32_dpp v58, v60 row_bcast:31 row_mask:0xf bank_mask:0xf
	;; [unrolled: 1-line block ×3, first 2 shown]
	v_cmp_lt_u32_e32 vcc, 31, v63
	s_and_saveexec_b64 s[26:27], vcc
; %bb.67:
	v_cmp_eq_u32_e32 vcc, 0, v62
	v_cndmask_b32_e32 v58, 0, v58, vcc
	v_add_u32_e32 v59, v59, v62
	v_cndmask_b32_e32 v62, 0, v66, vcc
	v_add_co_u32_e32 v60, vcc, v58, v60
	v_addc_co_u32_e32 v61, vcc, v62, v61, vcc
	v_mov_b32_e32 v62, v59
; %bb.68:
	s_or_b64 exec, exec, s[26:27]
	v_lshrrev_b32_e32 v58, 6, v0
	v_or_b32_e32 v59, 63, v0
	v_cmp_eq_u32_e32 vcc, v59, v0
	v_lshlrev_b32_e32 v66, 4, v58
	s_and_saveexec_b64 s[26:27], vcc
	s_cbranch_execz .LBB1708_70
; %bb.69:
	ds_write_b32 v66, v62 offset:4128
	ds_write_b64 v66, v[60:61] offset:4136
.LBB1708_70:
	s_or_b64 exec, exec, s[26:27]
	v_cmp_gt_u32_e32 vcc, 4, v0
	s_waitcnt lgkmcnt(0)
	s_barrier
	s_and_saveexec_b64 s[26:27], vcc
	s_cbranch_execz .LBB1708_76
; %bb.71:
	v_lshlrev_b32_e32 v67, 4, v0
	ds_read_b32 v68, v67 offset:4128
	ds_read_b64 v[58:59], v67 offset:4136
	v_and_b32_e32 v69, 3, v63
	v_cmp_ne_u32_e32 vcc, 0, v69
	s_waitcnt lgkmcnt(1)
	v_mov_b32_dpp v71, v68 row_shr:1 row_mask:0xf bank_mask:0xf
	s_waitcnt lgkmcnt(0)
	v_mov_b32_dpp v70, v58 row_shr:1 row_mask:0xf bank_mask:0xf
	v_mov_b32_dpp v76, v59 row_shr:1 row_mask:0xf bank_mask:0xf
	s_and_saveexec_b64 s[48:49], vcc
; %bb.72:
	v_cmp_eq_u32_e32 vcc, 0, v68
	v_cndmask_b32_e32 v70, 0, v70, vcc
	v_add_u32_e32 v71, v71, v68
	v_cndmask_b32_e32 v68, 0, v76, vcc
	v_add_co_u32_e32 v58, vcc, v70, v58
	v_addc_co_u32_e32 v59, vcc, v68, v59, vcc
	v_mov_b32_e32 v68, v71
; %bb.73:
	s_or_b64 exec, exec, s[48:49]
	s_nop 0
	v_mov_b32_dpp v71, v68 row_shr:2 row_mask:0xf bank_mask:0xf
	v_mov_b32_dpp v70, v58 row_shr:2 row_mask:0xf bank_mask:0xf
	;; [unrolled: 1-line block ×3, first 2 shown]
	v_cmp_lt_u32_e32 vcc, 1, v69
	s_and_saveexec_b64 s[48:49], vcc
; %bb.74:
	v_cmp_eq_u32_e32 vcc, 0, v68
	v_cndmask_b32_e32 v70, 0, v70, vcc
	v_add_u32_e32 v69, v71, v68
	v_cndmask_b32_e32 v68, 0, v76, vcc
	v_add_co_u32_e32 v58, vcc, v70, v58
	v_addc_co_u32_e32 v59, vcc, v68, v59, vcc
	v_mov_b32_e32 v68, v69
; %bb.75:
	s_or_b64 exec, exec, s[48:49]
	ds_write_b32 v67, v68 offset:4128
	ds_write_b64 v67, v[58:59] offset:4136
.LBB1708_76:
	s_or_b64 exec, exec, s[26:27]
	v_cmp_gt_u32_e32 vcc, 64, v0
	v_cmp_lt_u32_e64 s[26:27], 63, v0
	v_pk_mov_b32 v[58:59], 0, 0
	v_mov_b32_e32 v76, 0
	s_waitcnt lgkmcnt(0)
	s_barrier
	s_and_saveexec_b64 s[48:49], s[26:27]
	s_cbranch_execz .LBB1708_78
; %bb.77:
	ds_read_b32 v76, v66 offset:4112
	ds_read_b64 v[58:59], v66 offset:4120
	v_cmp_eq_u32_e64 s[26:27], 0, v62
	s_waitcnt lgkmcnt(1)
	v_add_u32_e32 v66, v76, v62
	s_waitcnt lgkmcnt(0)
	v_cndmask_b32_e64 v67, 0, v58, s[26:27]
	v_cndmask_b32_e64 v62, 0, v59, s[26:27]
	v_add_co_u32_e64 v60, s[26:27], v67, v60
	v_addc_co_u32_e64 v61, s[26:27], v62, v61, s[26:27]
	v_mov_b32_e32 v62, v66
.LBB1708_78:
	s_or_b64 exec, exec, s[48:49]
	v_add_u32_e32 v66, -1, v63
	v_and_b32_e32 v67, 64, v63
	v_cmp_lt_i32_e64 s[26:27], v66, v67
	v_cndmask_b32_e64 v66, v66, v63, s[26:27]
	v_lshlrev_b32_e32 v66, 2, v66
	ds_bpermute_b32 v77, v66, v62
	ds_bpermute_b32 v78, v66, v60
	;; [unrolled: 1-line block ×3, first 2 shown]
	v_cmp_eq_u32_e64 s[26:27], 0, v63
	s_and_saveexec_b64 s[48:49], vcc
	s_cbranch_execz .LBB1708_125
; %bb.79:
	v_mov_b32_e32 v67, 0
	ds_read_b32 v80, v67 offset:4176
	ds_read_b64 v[60:61], v67 offset:4184
	s_and_saveexec_b64 s[56:57], s[26:27]
	s_cbranch_execz .LBB1708_81
; %bb.80:
	s_add_i32 s58, s6, 64
	s_mov_b32 s59, 0
	s_lshl_b64 s[60:61], s[58:59], 4
	s_add_u32 s60, s36, s60
	s_addc_u32 s61, s37, s61
	v_mov_b32_e32 v62, s58
	v_mov_b32_e32 v66, 1
	s_waitcnt lgkmcnt(1)
	global_store_dword v67, v80, s[60:61]
	s_waitcnt lgkmcnt(0)
	global_store_dwordx2 v67, v[60:61], s[60:61] offset:8
	s_waitcnt vmcnt(0)
	buffer_wbinvl1_vol
	global_store_byte v62, v66, s[40:41]
.LBB1708_81:
	s_or_b64 exec, exec, s[56:57]
	v_xad_u32 v62, v63, -1, s6
	v_add_u32_e32 v66, 64, v62
	global_load_ubyte v81, v66, s[40:41] glc
	s_waitcnt vmcnt(0)
	v_cmp_eq_u16_e32 vcc, 0, v81
	s_and_saveexec_b64 s[56:57], vcc
	s_cbranch_execz .LBB1708_87
; %bb.82:
	v_mov_b32_e32 v69, s41
	v_add_co_u32_e32 v68, vcc, s40, v66
	v_addc_co_u32_e32 v69, vcc, 0, v69, vcc
	s_mov_b32 s7, 1
	s_mov_b64 s[58:59], 0
.LBB1708_83:                            ; =>This Loop Header: Depth=1
                                        ;     Child Loop BB1708_84 Depth 2
	s_max_u32 s60, s7, 1
.LBB1708_84:                            ;   Parent Loop BB1708_83 Depth=1
                                        ; =>  This Inner Loop Header: Depth=2
	s_add_i32 s60, s60, -1
	s_cmp_eq_u32 s60, 0
	s_sleep 1
	s_cbranch_scc0 .LBB1708_84
; %bb.85:                               ;   in Loop: Header=BB1708_83 Depth=1
	global_load_ubyte v81, v[68:69], off glc
	s_cmp_lt_u32 s7, 32
	s_cselect_b64 s[60:61], -1, 0
	s_cmp_lg_u64 s[60:61], 0
	s_addc_u32 s7, s7, 0
	s_waitcnt vmcnt(0)
	v_cmp_ne_u16_e32 vcc, 0, v81
	s_or_b64 s[58:59], vcc, s[58:59]
	s_andn2_b64 exec, exec, s[58:59]
	s_cbranch_execnz .LBB1708_83
; %bb.86:
	s_or_b64 exec, exec, s[58:59]
.LBB1708_87:
	s_or_b64 exec, exec, s[56:57]
	v_mov_b32_e32 v68, s39
	v_mov_b32_e32 v69, s37
	v_cmp_eq_u16_e32 vcc, 1, v81
	v_cndmask_b32_e32 v68, v68, v69, vcc
	v_mov_b32_e32 v69, s38
	v_mov_b32_e32 v70, s36
	v_cndmask_b32_e32 v69, v69, v70, vcc
	v_lshlrev_b64 v[66:67], 4, v[66:67]
	v_add_co_u32_e32 v66, vcc, v69, v66
	v_addc_co_u32_e32 v67, vcc, v68, v67, vcc
	s_waitcnt lgkmcnt(0)
	buffer_wbinvl1_vol
	global_load_dword v96, v[66:67], off
	global_load_dwordx2 v[70:71], v[66:67], off offset:8
	v_cmp_eq_u16_e32 vcc, 2, v81
	v_lshlrev_b64 v[66:67], v63, -1
	v_and_b32_e32 v82, 63, v63
	v_and_b32_e32 v68, vcc_hi, v67
	v_and_b32_e32 v86, vcc_lo, v66
	v_cmp_ne_u32_e32 vcc, 63, v82
	v_addc_co_u32_e32 v69, vcc, 0, v63, vcc
	v_lshlrev_b32_e32 v83, 2, v69
	v_or_b32_e32 v68, 0x80000000, v68
	v_ffbl_b32_e32 v68, v68
	v_add_u32_e32 v68, 32, v68
	v_ffbl_b32_e32 v86, v86
	v_min_u32_e32 v68, v86, v68
	v_cmp_lt_u32_e32 vcc, v82, v68
	s_waitcnt vmcnt(1)
	ds_bpermute_b32 v84, v83, v96
	s_waitcnt vmcnt(0)
	ds_bpermute_b32 v69, v83, v70
	ds_bpermute_b32 v85, v83, v71
	s_and_saveexec_b64 s[56:57], vcc
	s_cbranch_execz .LBB1708_89
; %bb.88:
	v_cmp_eq_u32_e32 vcc, 0, v96
	s_waitcnt lgkmcnt(1)
	v_cndmask_b32_e32 v69, 0, v69, vcc
	v_add_u32_e32 v84, v84, v96
	s_waitcnt lgkmcnt(0)
	v_cndmask_b32_e32 v85, 0, v85, vcc
	v_add_co_u32_e32 v70, vcc, v69, v70
	v_addc_co_u32_e32 v71, vcc, v85, v71, vcc
	v_mov_b32_e32 v96, v84
.LBB1708_89:
	s_or_b64 exec, exec, s[56:57]
	v_cmp_gt_u32_e32 vcc, 62, v82
	s_waitcnt lgkmcnt(1)
	v_cndmask_b32_e64 v69, 0, 1, vcc
	v_lshlrev_b32_e32 v69, 1, v69
	v_add_lshl_u32 v84, v69, v63, 2
	ds_bpermute_b32 v86, v84, v96
	ds_bpermute_b32 v69, v84, v70
	ds_bpermute_b32 v87, v84, v71
	s_waitcnt lgkmcnt(3)
	v_add_u32_e32 v85, 2, v82
	v_cmp_le_u32_e32 vcc, v85, v68
	s_and_saveexec_b64 s[56:57], vcc
	s_cbranch_execz .LBB1708_91
; %bb.90:
	v_cmp_eq_u32_e32 vcc, 0, v96
	s_waitcnt lgkmcnt(1)
	v_cndmask_b32_e32 v69, 0, v69, vcc
	v_add_u32_e32 v86, v86, v96
	s_waitcnt lgkmcnt(0)
	v_cndmask_b32_e32 v87, 0, v87, vcc
	v_add_co_u32_e32 v70, vcc, v69, v70
	v_addc_co_u32_e32 v71, vcc, v87, v71, vcc
	v_mov_b32_e32 v96, v86
.LBB1708_91:
	s_or_b64 exec, exec, s[56:57]
	v_cmp_gt_u32_e32 vcc, 60, v82
	s_waitcnt lgkmcnt(1)
	v_cndmask_b32_e64 v69, 0, 1, vcc
	v_lshlrev_b32_e32 v69, 2, v69
	v_add_lshl_u32 v86, v69, v63, 2
	ds_bpermute_b32 v88, v86, v96
	ds_bpermute_b32 v69, v86, v70
	ds_bpermute_b32 v89, v86, v71
	s_waitcnt lgkmcnt(3)
	v_add_u32_e32 v87, 4, v82
	v_cmp_le_u32_e32 vcc, v87, v68
	;; [unrolled: 25-line block ×4, first 2 shown]
	s_and_saveexec_b64 s[56:57], vcc
	s_cbranch_execz .LBB1708_97
; %bb.96:
	v_cmp_eq_u32_e32 vcc, 0, v96
	s_waitcnt lgkmcnt(1)
	v_cndmask_b32_e32 v69, 0, v69, vcc
	v_add_u32_e32 v92, v92, v96
	s_waitcnt lgkmcnt(0)
	v_cndmask_b32_e32 v93, 0, v93, vcc
	v_add_co_u32_e32 v70, vcc, v69, v70
	v_addc_co_u32_e32 v71, vcc, v93, v71, vcc
	v_mov_b32_e32 v96, v92
.LBB1708_97:
	s_or_b64 exec, exec, s[56:57]
	v_cmp_gt_u32_e32 vcc, 32, v82
	s_waitcnt lgkmcnt(1)
	v_cndmask_b32_e64 v69, 0, 1, vcc
	v_lshlrev_b32_e32 v69, 5, v69
	v_add_lshl_u32 v92, v69, v63, 2
	ds_bpermute_b32 v69, v92, v96
	ds_bpermute_b32 v63, v92, v70
	s_waitcnt lgkmcnt(2)
	ds_bpermute_b32 v93, v92, v71
	v_add_u32_e32 v94, 32, v82
	v_cmp_le_u32_e32 vcc, v94, v68
	s_and_saveexec_b64 s[56:57], vcc
	s_cbranch_execz .LBB1708_99
; %bb.98:
	v_cmp_eq_u32_e32 vcc, 0, v96
	s_waitcnt lgkmcnt(1)
	v_cndmask_b32_e32 v63, 0, v63, vcc
	v_add_u32_e32 v68, v69, v96
	s_waitcnt lgkmcnt(0)
	v_cndmask_b32_e32 v69, 0, v93, vcc
	v_add_co_u32_e32 v70, vcc, v63, v70
	v_addc_co_u32_e32 v71, vcc, v69, v71, vcc
	v_mov_b32_e32 v96, v68
.LBB1708_99:
	s_or_b64 exec, exec, s[56:57]
	s_waitcnt lgkmcnt(1)
	v_mov_b32_e32 v63, 0
	v_mov_b32_e32 v95, 2
	s_branch .LBB1708_101
.LBB1708_100:                           ;   in Loop: Header=BB1708_101 Depth=1
	s_or_b64 exec, exec, s[56:57]
	v_cmp_eq_u32_e32 vcc, 0, v93
	v_cndmask_b32_e32 v70, 0, v70, vcc
	v_cndmask_b32_e32 v71, 0, v71, vcc
	v_add_co_u32_e32 v70, vcc, v70, v68
	v_subrev_u32_e32 v62, 64, v62
	v_add_u32_e32 v96, v97, v93
	v_addc_co_u32_e32 v71, vcc, v71, v69, vcc
.LBB1708_101:                           ; =>This Loop Header: Depth=1
                                        ;     Child Loop BB1708_104 Depth 2
                                        ;       Child Loop BB1708_105 Depth 3
	v_cmp_ne_u16_sdwa s[56:57], v81, v95 src0_sel:BYTE_0 src1_sel:DWORD
	v_pk_mov_b32 v[68:69], v[70:71], v[70:71] op_sel:[0,1]
	v_cndmask_b32_e64 v70, 0, 1, s[56:57]
	;;#ASMSTART
	;;#ASMEND
	v_cmp_ne_u32_e32 vcc, 0, v70
	s_cmp_lg_u64 vcc, exec
	s_waitcnt lgkmcnt(0)
	v_mov_b32_e32 v93, v96
	s_cbranch_scc1 .LBB1708_120
; %bb.102:                              ;   in Loop: Header=BB1708_101 Depth=1
	global_load_ubyte v81, v62, s[40:41] glc
	s_waitcnt vmcnt(0)
	v_cmp_eq_u16_e32 vcc, 0, v81
	s_and_saveexec_b64 s[56:57], vcc
	s_cbranch_execz .LBB1708_108
; %bb.103:                              ;   in Loop: Header=BB1708_101 Depth=1
	v_mov_b32_e32 v71, s41
	v_add_co_u32_e32 v70, vcc, s40, v62
	v_addc_co_u32_e32 v71, vcc, 0, v71, vcc
	s_mov_b32 s7, 1
	s_mov_b64 s[58:59], 0
.LBB1708_104:                           ;   Parent Loop BB1708_101 Depth=1
                                        ; =>  This Loop Header: Depth=2
                                        ;       Child Loop BB1708_105 Depth 3
	s_max_u32 s60, s7, 1
.LBB1708_105:                           ;   Parent Loop BB1708_101 Depth=1
                                        ;     Parent Loop BB1708_104 Depth=2
                                        ; =>    This Inner Loop Header: Depth=3
	s_add_i32 s60, s60, -1
	s_cmp_eq_u32 s60, 0
	s_sleep 1
	s_cbranch_scc0 .LBB1708_105
; %bb.106:                              ;   in Loop: Header=BB1708_104 Depth=2
	global_load_ubyte v81, v[70:71], off glc
	s_cmp_lt_u32 s7, 32
	s_cselect_b64 s[60:61], -1, 0
	s_cmp_lg_u64 s[60:61], 0
	s_addc_u32 s7, s7, 0
	s_waitcnt vmcnt(0)
	v_cmp_ne_u16_e32 vcc, 0, v81
	s_or_b64 s[58:59], vcc, s[58:59]
	s_andn2_b64 exec, exec, s[58:59]
	s_cbranch_execnz .LBB1708_104
; %bb.107:                              ;   in Loop: Header=BB1708_101 Depth=1
	s_or_b64 exec, exec, s[58:59]
.LBB1708_108:                           ;   in Loop: Header=BB1708_101 Depth=1
	s_or_b64 exec, exec, s[56:57]
	v_mov_b32_e32 v70, s39
	v_mov_b32_e32 v71, s37
	v_cmp_eq_u16_e32 vcc, 1, v81
	v_cndmask_b32_e32 v96, v70, v71, vcc
	v_mov_b32_e32 v70, s38
	v_mov_b32_e32 v71, s36
	v_cndmask_b32_e32 v97, v70, v71, vcc
	v_lshlrev_b64 v[70:71], 4, v[62:63]
	v_add_co_u32_e32 v70, vcc, v97, v70
	v_addc_co_u32_e32 v71, vcc, v96, v71, vcc
	buffer_wbinvl1_vol
	global_load_dword v97, v[70:71], off
	s_nop 0
	global_load_dwordx2 v[70:71], v[70:71], off offset:8
	v_cmp_eq_u16_e32 vcc, 2, v81
	v_and_b32_e32 v96, vcc_hi, v67
	v_or_b32_e32 v96, 0x80000000, v96
	v_and_b32_e32 v117, vcc_lo, v66
	v_ffbl_b32_e32 v96, v96
	v_add_u32_e32 v96, 32, v96
	v_ffbl_b32_e32 v117, v117
	v_min_u32_e32 v96, v117, v96
	v_cmp_lt_u32_e32 vcc, v82, v96
	s_waitcnt vmcnt(1)
	ds_bpermute_b32 v99, v83, v97
	s_waitcnt vmcnt(0)
	ds_bpermute_b32 v98, v83, v70
	ds_bpermute_b32 v116, v83, v71
	s_and_saveexec_b64 s[56:57], vcc
	s_cbranch_execz .LBB1708_110
; %bb.109:                              ;   in Loop: Header=BB1708_101 Depth=1
	v_cmp_eq_u32_e32 vcc, 0, v97
	s_waitcnt lgkmcnt(1)
	v_cndmask_b32_e32 v98, 0, v98, vcc
	v_add_u32_e32 v99, v99, v97
	s_waitcnt lgkmcnt(0)
	v_cndmask_b32_e32 v97, 0, v116, vcc
	v_add_co_u32_e32 v70, vcc, v98, v70
	v_addc_co_u32_e32 v71, vcc, v97, v71, vcc
	v_mov_b32_e32 v97, v99
.LBB1708_110:                           ;   in Loop: Header=BB1708_101 Depth=1
	s_or_b64 exec, exec, s[56:57]
	s_waitcnt lgkmcnt(2)
	ds_bpermute_b32 v99, v84, v97
	s_waitcnt lgkmcnt(2)
	ds_bpermute_b32 v98, v84, v70
	s_waitcnt lgkmcnt(2)
	ds_bpermute_b32 v116, v84, v71
	v_cmp_le_u32_e32 vcc, v85, v96
	s_and_saveexec_b64 s[56:57], vcc
	s_cbranch_execz .LBB1708_112
; %bb.111:                              ;   in Loop: Header=BB1708_101 Depth=1
	v_cmp_eq_u32_e32 vcc, 0, v97
	s_waitcnt lgkmcnt(1)
	v_cndmask_b32_e32 v98, 0, v98, vcc
	v_add_u32_e32 v99, v99, v97
	s_waitcnt lgkmcnt(0)
	v_cndmask_b32_e32 v97, 0, v116, vcc
	v_add_co_u32_e32 v70, vcc, v98, v70
	v_addc_co_u32_e32 v71, vcc, v97, v71, vcc
	v_mov_b32_e32 v97, v99
.LBB1708_112:                           ;   in Loop: Header=BB1708_101 Depth=1
	s_or_b64 exec, exec, s[56:57]
	s_waitcnt lgkmcnt(2)
	ds_bpermute_b32 v99, v86, v97
	s_waitcnt lgkmcnt(2)
	ds_bpermute_b32 v98, v86, v70
	s_waitcnt lgkmcnt(2)
	ds_bpermute_b32 v116, v86, v71
	v_cmp_le_u32_e32 vcc, v87, v96
	;; [unrolled: 21-line block ×5, first 2 shown]
	s_and_saveexec_b64 s[56:57], vcc
	s_cbranch_execz .LBB1708_100
; %bb.119:                              ;   in Loop: Header=BB1708_101 Depth=1
	v_cmp_eq_u32_e32 vcc, 0, v97
	s_waitcnt lgkmcnt(1)
	v_cndmask_b32_e32 v98, 0, v98, vcc
	v_add_u32_e32 v96, v99, v97
	s_waitcnt lgkmcnt(0)
	v_cndmask_b32_e32 v97, 0, v116, vcc
	v_add_co_u32_e32 v70, vcc, v98, v70
	v_addc_co_u32_e32 v71, vcc, v97, v71, vcc
	v_mov_b32_e32 v97, v96
	s_branch .LBB1708_100
.LBB1708_120:                           ;   in Loop: Header=BB1708_101 Depth=1
                                        ; implicit-def: $vgpr70_vgpr71
                                        ; implicit-def: $vgpr96
                                        ; implicit-def: $vgpr81
	s_cbranch_execz .LBB1708_101
; %bb.121:
	s_and_saveexec_b64 s[36:37], s[26:27]
	s_cbranch_execz .LBB1708_123
; %bb.122:
	s_mov_b32 s7, 0
	v_cmp_eq_u32_e32 vcc, 0, v80
	s_add_i32 s6, s6, 64
	v_cndmask_b32_e32 v62, 0, v68, vcc
	s_lshl_b64 s[56:57], s[6:7], 4
	v_cndmask_b32_e32 v63, 0, v69, vcc
	v_add_co_u32_e32 v62, vcc, v62, v60
	s_add_u32 s56, s38, s56
	v_add_u32_e32 v66, v93, v80
	v_addc_co_u32_e32 v63, vcc, v63, v61, vcc
	s_addc_u32 s57, s39, s57
	v_mov_b32_e32 v67, 0
	global_store_dword v67, v66, s[56:57]
	global_store_dwordx2 v67, v[62:63], s[56:57] offset:8
	v_mov_b32_e32 v62, s6
	v_mov_b32_e32 v63, 2
	s_waitcnt vmcnt(0) lgkmcnt(0)
	buffer_wbinvl1_vol
	global_store_byte v62, v63, s[40:41]
	ds_write_b32 v67, v80 offset:4096
	ds_write_b64 v67, v[60:61] offset:4104
	ds_write_b32 v67, v93 offset:4112
	ds_write_b64 v67, v[68:69] offset:4120
.LBB1708_123:
	s_or_b64 exec, exec, s[36:37]
	v_cmp_eq_u32_e32 vcc, 0, v0
	s_and_b64 exec, exec, vcc
	s_cbranch_execz .LBB1708_125
; %bb.124:
	v_mov_b32_e32 v60, 0
	ds_write_b32 v60, v93 offset:4176
	ds_write_b64 v60, v[68:69] offset:4184
.LBB1708_125:
	s_or_b64 exec, exec, s[48:49]
	v_mov_b32_e32 v63, 0
	s_waitcnt lgkmcnt(0)
	s_barrier
	ds_read_b32 v62, v63 offset:4176
	ds_read_b64 v[60:61], v63 offset:4184
	v_cndmask_b32_e64 v66, v77, v76, s[26:27]
	v_cmp_eq_u32_e32 vcc, 0, v66
	v_cndmask_b32_e64 v58, v78, v58, s[26:27]
	v_cndmask_b32_e64 v59, v79, v59, s[26:27]
	s_waitcnt lgkmcnt(0)
	v_cndmask_b32_e32 v68, 0, v60, vcc
	v_cndmask_b32_e32 v67, 0, v61, vcc
	v_add_co_u32_e32 v58, vcc, v68, v58
	v_addc_co_u32_e32 v67, vcc, v67, v59, vcc
	v_cmp_eq_u32_e32 vcc, 0, v0
	v_cndmask_b32_e64 v59, v66, 0, vcc
	v_cndmask_b32_e32 v95, v67, v61, vcc
	v_cndmask_b32_e32 v94, v58, v60, vcc
	v_cmp_eq_u32_e32 vcc, 0, v113
	v_cndmask_b32_e32 v60, 0, v94, vcc
	v_cndmask_b32_e32 v58, 0, v95, vcc
	v_add_co_u32_e32 v66, vcc, v60, v54
	v_addc_co_u32_e32 v67, vcc, v58, v55, vcc
	v_cndmask_b32_e64 v60, 0, v66, s[24:25]
	v_cndmask_b32_e64 v58, 0, v67, s[24:25]
	v_add_co_u32_e32 v68, vcc, v60, v56
	v_addc_co_u32_e32 v69, vcc, v58, v57, vcc
	v_cndmask_b32_e64 v60, 0, v68, s[22:23]
	v_cndmask_b32_e64 v58, 0, v69, s[22:23]
	;; [unrolled: 4-line block ×11, first 2 shown]
	v_add_co_u32_e32 v92, vcc, v60, v36
	v_add_u32_e32 v59, v62, v59
	v_addc_co_u32_e32 v93, vcc, v58, v37, vcc
	s_barrier
	ds_read_b32 v58, v63 offset:4096
	ds_read_b64 v[60:61], v63 offset:4104
	ds_read_b32 v62, v63 offset:4112
	ds_read_b64 v[116:117], v63 offset:4120
	v_cndmask_b32_e64 v96, 0, v92, s[2:3]
	v_cndmask_b32_e64 v97, 0, v93, s[2:3]
	v_add_co_u32_e32 v96, vcc, v96, v30
	v_addc_co_u32_e32 v97, vcc, v97, v31, vcc
	s_waitcnt lgkmcnt(3)
	v_cmp_eq_u32_e32 vcc, 0, v58
	s_waitcnt lgkmcnt(0)
	v_cndmask_b32_e32 v116, 0, v116, vcc
	v_cndmask_b32_e32 v63, 0, v117, vcc
	v_add_co_u32_e32 v60, vcc, v116, v60
	v_cndmask_b32_e64 v99, 0, v97, s[0:1]
	v_cndmask_b32_e64 v98, 0, v96, s[0:1]
	v_addc_co_u32_e32 v61, vcc, v63, v61, vcc
	s_branch .LBB1708_154
.LBB1708_126:
                                        ; implicit-def: $vgpr58
                                        ; implicit-def: $vgpr60_vgpr61
                                        ; implicit-def: $vgpr62
                                        ; implicit-def: $vgpr94_vgpr95
                                        ; implicit-def: $vgpr66_vgpr67
                                        ; implicit-def: $vgpr68_vgpr69
                                        ; implicit-def: $vgpr70_vgpr71
                                        ; implicit-def: $vgpr76_vgpr77
                                        ; implicit-def: $vgpr78_vgpr79
                                        ; implicit-def: $vgpr80_vgpr81
                                        ; implicit-def: $vgpr82_vgpr83
                                        ; implicit-def: $vgpr84_vgpr85
                                        ; implicit-def: $vgpr86_vgpr87
                                        ; implicit-def: $vgpr88_vgpr89
                                        ; implicit-def: $vgpr90_vgpr91
                                        ; implicit-def: $vgpr92_vgpr93
                                        ; implicit-def: $vgpr96_vgpr97
                                        ; implicit-def: $vgpr98_vgpr99
                                        ; implicit-def: $vgpr59
	s_cbranch_execz .LBB1708_154
; %bb.127:
	s_and_b64 s[0:1], s[42:43], exec
	s_cselect_b32 s1, 0, s31
	s_cselect_b32 s0, 0, s30
	s_cmp_eq_u64 s[0:1], 0
	s_cbranch_scc1 .LBB1708_129
; %bb.128:
	v_mov_b32_e32 v58, 0
	global_load_dwordx2 v[64:65], v58, s[0:1]
.LBB1708_129:
	v_cmp_eq_u32_e64 s[22:23], 0, v112
	v_cndmask_b32_e64 v59, 0, v54, s[22:23]
	v_cndmask_b32_e64 v58, 0, v55, s[22:23]
	v_add_co_u32_e32 v59, vcc, v59, v56
	v_cmp_eq_u32_e64 s[20:21], 0, v111
	v_addc_co_u32_e32 v58, vcc, v58, v57, vcc
	v_cndmask_b32_e64 v59, 0, v59, s[20:21]
	v_cndmask_b32_e64 v58, 0, v58, s[20:21]
	v_add_co_u32_e32 v59, vcc, v59, v50
	v_cmp_eq_u32_e64 s[18:19], 0, v110
	v_addc_co_u32_e32 v58, vcc, v58, v51, vcc
	;; [unrolled: 5-line block ×11, first 2 shown]
	v_cndmask_b32_e64 v59, 0, v59, s[2:3]
	v_cndmask_b32_e64 v58, 0, v58, s[2:3]
	v_add_co_u32_e32 v59, vcc, v59, v30
	v_addc_co_u32_e32 v58, vcc, v58, v31, vcc
	v_cmp_eq_u32_e32 vcc, 0, v100
	v_add3_u32 v60, v115, v108, v107
	v_cndmask_b32_e32 v59, 0, v59, vcc
	v_add3_u32 v60, v60, v106, v105
	v_cndmask_b32_e32 v58, 0, v58, vcc
	v_add_co_u32_e64 v59, s[24:25], v59, v32
	v_add3_u32 v60, v60, v104, v103
	v_addc_co_u32_e64 v58, s[24:25], v58, v33, s[24:25]
	v_add3_u32 v60, v60, v102, v101
	v_cmp_eq_u32_e64 s[24:25], 0, v1
	v_add3_u32 v63, v60, v100, v1
	v_cndmask_b32_e64 v60, 0, v58, s[24:25]
	v_cndmask_b32_e64 v58, 0, v59, s[24:25]
	v_add_co_u32_e64 v58, s[24:25], v58, v72
	v_mbcnt_hi_u32_b32 v62, -1, v114
	v_addc_co_u32_e64 v59, s[24:25], v60, v73, s[24:25]
	v_and_b32_e32 v60, 15, v62
	v_mov_b32_dpp v66, v63 row_shr:1 row_mask:0xf bank_mask:0xf
	v_mov_b32_dpp v61, v58 row_shr:1 row_mask:0xf bank_mask:0xf
	;; [unrolled: 1-line block ×3, first 2 shown]
	v_cmp_ne_u32_e64 s[24:25], 0, v60
	s_and_saveexec_b64 s[26:27], s[24:25]
; %bb.130:
	v_cmp_eq_u32_e64 s[24:25], 0, v63
	v_cndmask_b32_e64 v61, 0, v61, s[24:25]
	v_add_u32_e32 v66, v66, v63
	v_cndmask_b32_e64 v63, 0, v67, s[24:25]
	v_add_co_u32_e64 v58, s[24:25], v61, v58
	v_addc_co_u32_e64 v59, s[24:25], v63, v59, s[24:25]
	v_mov_b32_e32 v63, v66
; %bb.131:
	s_or_b64 exec, exec, s[26:27]
	s_nop 0
	v_mov_b32_dpp v66, v63 row_shr:2 row_mask:0xf bank_mask:0xf
	v_mov_b32_dpp v61, v58 row_shr:2 row_mask:0xf bank_mask:0xf
	v_mov_b32_dpp v67, v59 row_shr:2 row_mask:0xf bank_mask:0xf
	v_cmp_lt_u32_e64 s[24:25], 1, v60
	s_and_saveexec_b64 s[26:27], s[24:25]
; %bb.132:
	v_cmp_eq_u32_e64 s[24:25], 0, v63
	v_cndmask_b32_e64 v61, 0, v61, s[24:25]
	v_add_u32_e32 v66, v66, v63
	v_cndmask_b32_e64 v63, 0, v67, s[24:25]
	v_add_co_u32_e64 v58, s[24:25], v61, v58
	v_addc_co_u32_e64 v59, s[24:25], v63, v59, s[24:25]
	v_mov_b32_e32 v63, v66
; %bb.133:
	s_or_b64 exec, exec, s[26:27]
	s_nop 0
	v_mov_b32_dpp v66, v63 row_shr:4 row_mask:0xf bank_mask:0xf
	v_mov_b32_dpp v61, v58 row_shr:4 row_mask:0xf bank_mask:0xf
	v_mov_b32_dpp v67, v59 row_shr:4 row_mask:0xf bank_mask:0xf
	v_cmp_lt_u32_e64 s[24:25], 3, v60
	;; [unrolled: 16-line block ×3, first 2 shown]
	s_and_saveexec_b64 s[26:27], s[24:25]
; %bb.136:
	v_cmp_eq_u32_e64 s[24:25], 0, v63
	v_cndmask_b32_e64 v61, 0, v61, s[24:25]
	v_add_u32_e32 v60, v66, v63
	v_cndmask_b32_e64 v63, 0, v67, s[24:25]
	v_add_co_u32_e64 v58, s[24:25], v61, v58
	v_addc_co_u32_e64 v59, s[24:25], v63, v59, s[24:25]
	v_mov_b32_e32 v63, v60
; %bb.137:
	s_or_b64 exec, exec, s[26:27]
	v_and_b32_e32 v67, 16, v62
	v_mov_b32_dpp v61, v63 row_bcast:15 row_mask:0xf bank_mask:0xf
	v_mov_b32_dpp v60, v58 row_bcast:15 row_mask:0xf bank_mask:0xf
	;; [unrolled: 1-line block ×3, first 2 shown]
	v_cmp_ne_u32_e64 s[24:25], 0, v67
	s_and_saveexec_b64 s[26:27], s[24:25]
; %bb.138:
	v_cmp_eq_u32_e64 s[24:25], 0, v63
	v_cndmask_b32_e64 v60, 0, v60, s[24:25]
	v_add_u32_e32 v61, v61, v63
	v_cndmask_b32_e64 v63, 0, v66, s[24:25]
	v_add_co_u32_e64 v58, s[24:25], v60, v58
	v_addc_co_u32_e64 v59, s[24:25], v63, v59, s[24:25]
	v_mov_b32_e32 v63, v61
; %bb.139:
	s_or_b64 exec, exec, s[26:27]
	s_nop 0
	v_mov_b32_dpp v61, v63 row_bcast:31 row_mask:0xf bank_mask:0xf
	v_mov_b32_dpp v60, v58 row_bcast:31 row_mask:0xf bank_mask:0xf
	;; [unrolled: 1-line block ×3, first 2 shown]
	v_cmp_lt_u32_e64 s[24:25], 31, v62
	s_and_saveexec_b64 s[26:27], s[24:25]
; %bb.140:
	v_cmp_eq_u32_e64 s[24:25], 0, v63
	v_cndmask_b32_e64 v60, 0, v60, s[24:25]
	v_add_u32_e32 v61, v61, v63
	v_cndmask_b32_e64 v63, 0, v66, s[24:25]
	v_add_co_u32_e64 v58, s[24:25], v60, v58
	v_addc_co_u32_e64 v59, s[24:25], v63, v59, s[24:25]
	v_mov_b32_e32 v63, v61
; %bb.141:
	s_or_b64 exec, exec, s[26:27]
	v_or_b32_e32 v60, 63, v0
	v_lshrrev_b32_e32 v66, 6, v0
	v_cmp_eq_u32_e64 s[24:25], v60, v0
	s_and_saveexec_b64 s[26:27], s[24:25]
	s_cbranch_execz .LBB1708_143
; %bb.142:
	v_lshlrev_b32_e32 v60, 4, v66
	ds_write_b32 v60, v63 offset:4128
	ds_write_b64 v60, v[58:59] offset:4136
.LBB1708_143:
	s_or_b64 exec, exec, s[26:27]
	v_cmp_gt_u32_e64 s[24:25], 4, v0
	s_waitcnt lgkmcnt(0)
	s_barrier
	s_and_saveexec_b64 s[26:27], s[24:25]
	s_cbranch_execz .LBB1708_149
; %bb.144:
	v_lshlrev_b32_e32 v67, 4, v0
	ds_read_b32 v68, v67 offset:4128
	ds_read_b64 v[60:61], v67 offset:4136
	v_and_b32_e32 v69, 3, v62
	v_cmp_ne_u32_e64 s[24:25], 0, v69
	s_waitcnt lgkmcnt(1)
	v_mov_b32_dpp v71, v68 row_shr:1 row_mask:0xf bank_mask:0xf
	s_waitcnt lgkmcnt(0)
	v_mov_b32_dpp v70, v60 row_shr:1 row_mask:0xf bank_mask:0xf
	v_mov_b32_dpp v72, v61 row_shr:1 row_mask:0xf bank_mask:0xf
	s_and_saveexec_b64 s[28:29], s[24:25]
; %bb.145:
	v_cmp_eq_u32_e64 s[24:25], 0, v68
	v_cndmask_b32_e64 v70, 0, v70, s[24:25]
	v_add_u32_e32 v71, v71, v68
	v_cndmask_b32_e64 v68, 0, v72, s[24:25]
	v_add_co_u32_e64 v60, s[24:25], v70, v60
	v_addc_co_u32_e64 v61, s[24:25], v68, v61, s[24:25]
	v_mov_b32_e32 v68, v71
; %bb.146:
	s_or_b64 exec, exec, s[28:29]
	s_nop 0
	v_mov_b32_dpp v71, v68 row_shr:2 row_mask:0xf bank_mask:0xf
	v_mov_b32_dpp v70, v60 row_shr:2 row_mask:0xf bank_mask:0xf
	;; [unrolled: 1-line block ×3, first 2 shown]
	v_cmp_lt_u32_e64 s[24:25], 1, v69
	s_and_saveexec_b64 s[28:29], s[24:25]
; %bb.147:
	v_cmp_eq_u32_e64 s[24:25], 0, v68
	v_cndmask_b32_e64 v70, 0, v70, s[24:25]
	v_add_u32_e32 v69, v71, v68
	v_cndmask_b32_e64 v68, 0, v72, s[24:25]
	v_add_co_u32_e64 v60, s[24:25], v70, v60
	v_addc_co_u32_e64 v61, s[24:25], v68, v61, s[24:25]
	v_mov_b32_e32 v68, v69
; %bb.148:
	s_or_b64 exec, exec, s[28:29]
	ds_write_b32 v67, v68 offset:4128
	ds_write_b64 v67, v[60:61] offset:4136
.LBB1708_149:
	s_or_b64 exec, exec, s[26:27]
	v_cmp_lt_u32_e64 s[24:25], 63, v0
	v_mov_b32_e32 v72, 0
	v_mov_b32_e32 v67, 0
	s_waitcnt vmcnt(0)
	v_pk_mov_b32 v[60:61], v[64:65], v[64:65] op_sel:[0,1]
	s_waitcnt lgkmcnt(0)
	s_barrier
	s_and_saveexec_b64 s[26:27], s[24:25]
	s_cbranch_execz .LBB1708_151
; %bb.150:
	v_lshlrev_b32_e32 v60, 4, v66
	ds_read_b32 v67, v60 offset:4112
	ds_read_b64 v[60:61], v60 offset:4120
	s_waitcnt lgkmcnt(1)
	v_cmp_eq_u32_e64 s[24:25], 0, v67
	v_cndmask_b32_e64 v68, 0, v64, s[24:25]
	v_cndmask_b32_e64 v66, 0, v65, s[24:25]
	s_waitcnt lgkmcnt(0)
	v_add_co_u32_e64 v60, s[24:25], v68, v60
	v_addc_co_u32_e64 v61, s[24:25], v66, v61, s[24:25]
.LBB1708_151:
	s_or_b64 exec, exec, s[26:27]
	v_cmp_eq_u32_e64 s[24:25], 0, v63
	v_cndmask_b32_e64 v68, 0, v60, s[24:25]
	v_add_u32_e32 v66, v67, v63
	v_cndmask_b32_e64 v63, 0, v61, s[24:25]
	v_add_co_u32_e64 v58, s[24:25], v68, v58
	v_addc_co_u32_e64 v59, s[24:25], v63, v59, s[24:25]
	v_add_u32_e32 v63, -1, v62
	v_and_b32_e32 v68, 64, v62
	v_cmp_lt_i32_e64 s[24:25], v63, v68
	v_cndmask_b32_e64 v63, v63, v62, s[24:25]
	v_lshlrev_b32_e32 v63, 2, v63
	ds_bpermute_b32 v66, v63, v66
	ds_bpermute_b32 v68, v63, v59
	;; [unrolled: 1-line block ×3, first 2 shown]
	v_cmp_eq_u32_e64 s[24:25], 0, v62
	v_cmp_eq_u32_e64 s[26:27], 0, v113
	s_waitcnt lgkmcnt(2)
	v_cndmask_b32_e64 v59, v66, v67, s[24:25]
	s_waitcnt lgkmcnt(1)
	v_cndmask_b32_e64 v95, v68, v61, s[24:25]
	s_waitcnt lgkmcnt(0)
	v_cndmask_b32_e64 v94, v58, v60, s[24:25]
	v_cmp_eq_u32_e64 s[24:25], 0, v0
	v_cndmask_b32_e64 v58, v94, v64, s[24:25]
	v_cndmask_b32_e64 v60, v95, v65, s[24:25]
	;; [unrolled: 1-line block ×4, first 2 shown]
	v_add_co_u32_e64 v66, s[26:27], v58, v54
	v_addc_co_u32_e64 v67, s[26:27], v60, v55, s[26:27]
	v_cndmask_b32_e64 v55, 0, v66, s[22:23]
	v_cndmask_b32_e64 v54, 0, v67, s[22:23]
	v_add_co_u32_e64 v68, s[22:23], v55, v56
	v_addc_co_u32_e64 v69, s[22:23], v54, v57, s[22:23]
	v_cndmask_b32_e64 v55, 0, v68, s[20:21]
	v_cndmask_b32_e64 v54, 0, v69, s[20:21]
	;; [unrolled: 4-line block ×11, first 2 shown]
	v_add_co_u32_e64 v92, s[0:1], v35, v36
	v_addc_co_u32_e64 v93, s[0:1], v34, v37, s[0:1]
	v_cndmask_b32_e64 v35, 0, v92, s[2:3]
	ds_read_b32 v58, v72 offset:4176
	v_cndmask_b32_e64 v34, 0, v93, s[2:3]
	v_add_co_u32_e64 v96, s[0:1], v35, v30
	v_addc_co_u32_e64 v97, s[0:1], v34, v31, s[0:1]
	ds_read_b64 v[30:31], v72 offset:4184
	v_cndmask_b32_e32 v99, 0, v97, vcc
	v_cndmask_b32_e32 v98, 0, v96, vcc
	s_waitcnt lgkmcnt(1)
	v_cmp_eq_u32_e32 vcc, 0, v58
	v_cndmask_b32_e32 v35, 0, v64, vcc
	v_cndmask_b32_e32 v34, 0, v65, vcc
	s_waitcnt lgkmcnt(0)
	v_add_co_u32_e32 v60, vcc, v35, v30
	v_addc_co_u32_e32 v61, vcc, v34, v31, vcc
	s_and_saveexec_b64 s[0:1], s[24:25]
	s_cbranch_execz .LBB1708_153
; %bb.152:
	v_mov_b32_e32 v59, 0
	v_mov_b32_e32 v30, 2
	v_pk_mov_b32 v[94:95], v[64:65], v[64:65] op_sel:[0,1]
	global_store_dword v59, v58, s[38:39] offset:1024
	global_store_dwordx2 v59, v[60:61], s[38:39] offset:1032
	s_waitcnt vmcnt(0)
	buffer_wbinvl1_vol
	global_store_byte v59, v30, s[40:41] offset:64
.LBB1708_153:
	s_or_b64 exec, exec, s[0:1]
	v_mov_b32_e32 v62, 0
.LBB1708_154:
	s_and_b64 s[0:1], s[42:43], exec
	s_cselect_b32 s1, 0, s51
	s_cselect_b32 s0, 0, s50
	s_cmp_eq_u64 s[0:1], 0
	v_pk_mov_b32 v[30:31], 0, 0
	s_barrier
	s_cbranch_scc1 .LBB1708_156
; %bb.155:
	v_mov_b32_e32 v30, 0
	global_load_dwordx2 v[30:31], v30, s[0:1]
.LBB1708_156:
	s_waitcnt vmcnt(0)
	v_lshlrev_b64 v[34:35], 3, v[30:31]
	v_mov_b32_e32 v36, s53
	v_add_co_u32_e32 v52, vcc, s52, v34
	v_mov_b32_e32 v63, 0
	v_addc_co_u32_e32 v53, vcc, v36, v35, vcc
	v_lshlrev_b64 v[36:37], 3, v[62:63]
	v_add_co_u32_e32 v52, vcc, v52, v36
	v_addc_co_u32_e32 v53, vcc, v53, v37, vcc
	v_cmp_eq_u32_e32 vcc, 0, v113
	v_cndmask_b32_e64 v54, 1, 2, vcc
	v_cmp_eq_u32_e32 vcc, 0, v112
	v_cndmask_b32_e64 v55, 1, 2, vcc
	v_cmp_eq_u32_e32 vcc, 0, v111
	v_and_b32_e32 v54, v55, v54
	v_cndmask_b32_e64 v55, 1, 2, vcc
	v_cmp_eq_u32_e32 vcc, 0, v110
	v_add_u32_e32 v51, v59, v113
	v_and_b32_e32 v54, v54, v55
	v_cndmask_b32_e64 v55, 1, 2, vcc
	v_cmp_eq_u32_e32 vcc, 0, v109
	v_add_u32_e32 v50, v51, v112
	;; [unrolled: 4-line block ×12, first 2 shown]
	v_and_b32_e32 v54, v54, v55
	v_cndmask_b32_e64 v55, 1, 2, vcc
	s_movk_i32 s30, 0x100
	v_add_u32_e32 v39, v40, v101
	v_and_b32_e32 v54, v54, v55
	v_cmp_gt_u32_e32 vcc, s30, v58
	v_add_u32_e32 v38, v39, v100
	v_cmp_ne_u32_e64 s[28:29], 0, v113
	v_cmp_ne_u32_e64 s[26:27], 0, v112
	;; [unrolled: 1-line block ×15, first 2 shown]
	s_mov_b64 s[36:37], -1
	v_cmp_gt_i16_e64 s[30:31], 2, v54
	s_cbranch_vccz .LBB1708_163
; %bb.157:
	s_and_saveexec_b64 s[36:37], s[30:31]
	s_cbranch_execz .LBB1708_162
; %bb.158:
	v_cmp_ne_u16_e32 vcc, 1, v54
	s_mov_b64 s[38:39], 0
	s_and_saveexec_b64 s[30:31], vcc
	s_xor_b64 s[30:31], exec, s[30:31]
	s_cbranch_execnz .LBB1708_195
; %bb.159:
	s_andn2_saveexec_b64 s[30:31], s[30:31]
	s_cbranch_execnz .LBB1708_211
.LBB1708_160:
	s_or_b64 exec, exec, s[30:31]
	s_and_b64 exec, exec, s[38:39]
	s_cbranch_execz .LBB1708_162
.LBB1708_161:
	v_sub_u32_e32 v56, v38, v62
	v_mov_b32_e32 v57, 0
	v_lshlrev_b64 v[56:57], 3, v[56:57]
	v_add_co_u32_e32 v56, vcc, v52, v56
	v_addc_co_u32_e32 v57, vcc, v53, v57, vcc
	global_store_dwordx2 v[56:57], v[74:75], off
.LBB1708_162:
	s_or_b64 exec, exec, s[36:37]
	s_mov_b64 s[36:37], 0
.LBB1708_163:
	s_and_b64 vcc, exec, s[36:37]
	s_cbranch_vccz .LBB1708_173
; %bb.164:
	v_cmp_gt_i16_e32 vcc, 2, v54
	s_and_saveexec_b64 s[30:31], vcc
	s_cbranch_execz .LBB1708_169
; %bb.165:
	v_cmp_ne_u16_e32 vcc, 1, v54
	s_mov_b64 s[38:39], 0
	s_and_saveexec_b64 s[36:37], vcc
	s_xor_b64 s[36:37], exec, s[36:37]
	s_cbranch_execnz .LBB1708_212
; %bb.166:
	s_andn2_saveexec_b64 s[0:1], s[36:37]
	s_cbranch_execnz .LBB1708_228
.LBB1708_167:
	s_or_b64 exec, exec, s[0:1]
	s_and_b64 exec, exec, s[38:39]
	s_cbranch_execz .LBB1708_169
.LBB1708_168:
	v_sub_u32_e32 v2, v38, v62
	v_lshlrev_b32_e32 v2, 3, v2
	ds_write_b64 v2, v[74:75]
.LBB1708_169:
	s_or_b64 exec, exec, s[30:31]
	v_cmp_lt_u32_e32 vcc, v0, v58
	s_waitcnt lgkmcnt(0)
	s_barrier
	s_and_saveexec_b64 s[0:1], vcc
	s_cbranch_execz .LBB1708_172
; %bb.170:
	v_lshlrev_b32_e32 v4, 3, v0
	s_mov_b64 s[2:3], 0
	v_mov_b32_e32 v3, 0
	v_mov_b32_e32 v2, v0
.LBB1708_171:                           ; =>This Inner Loop Header: Depth=1
	v_lshlrev_b64 v[6:7], 3, v[2:3]
	ds_read_b64 v[8:9], v4
	v_add_co_u32_e32 v6, vcc, v52, v6
	v_add_u32_e32 v2, 0x100, v2
	v_addc_co_u32_e32 v7, vcc, v53, v7, vcc
	v_cmp_ge_u32_e32 vcc, v2, v58
	v_add_u32_e32 v4, 0x800, v4
	s_or_b64 s[2:3], vcc, s[2:3]
	s_waitcnt lgkmcnt(0)
	global_store_dwordx2 v[6:7], v[8:9], off
	s_andn2_b64 exec, exec, s[2:3]
	s_cbranch_execnz .LBB1708_171
.LBB1708_172:
	s_or_b64 exec, exec, s[0:1]
.LBB1708_173:
	v_add_co_u32_e32 v2, vcc, v98, v32
	s_cmpk_lg_i32 s33, 0xf00
	v_addc_co_u32_e32 v3, vcc, v99, v33, vcc
	s_cselect_b64 s[0:1], -1, 0
	v_cndmask_b32_e64 v8, 0, 1, s[46:47]
	s_and_b64 s[0:1], s[44:45], s[0:1]
	v_cmp_eq_u32_e32 vcc, 0, v0
	v_sub_u32_e32 v4, v58, v8
	v_cndmask_b32_e64 v5, 0, 1, s[0:1]
	s_and_b64 s[0:1], vcc, s[46:47]
	v_add_u32_e32 v4, v4, v5
	v_cndmask_b32_e64 v5, v113, 0, s[0:1]
	s_mul_hi_u32 s0, s33, 0x88888889
	s_lshr_b32 s0, s0, 3
	v_mad_i32_i24 v6, v0, -15, s33
	v_cmp_eq_u32_e32 vcc, s0, v0
	v_cmp_ne_u32_e64 s[0:1], 0, v6
	v_cndmask_b32_e64 v7, 1, v5, s[0:1]
	v_cmp_ne_u32_e64 s[0:1], 1, v6
	v_cndmask_b32_e64 v9, 1, v112, s[0:1]
	;; [unrolled: 2-line block ×15, first 2 shown]
	s_and_b64 vcc, s[44:45], vcc
	v_cndmask_b32_e32 v22, v1, v6, vcc
	v_cndmask_b32_e32 v21, v100, v21, vcc
	;; [unrolled: 1-line block ×15, first 2 shown]
	v_mov_b32_e32 v1, s55
	v_add_co_u32_e32 v5, vcc, s54, v34
	v_addc_co_u32_e32 v6, vcc, v1, v35, vcc
	v_add_co_u32_e32 v1, vcc, v5, v36
	v_addc_co_u32_e32 v5, vcc, v6, v37, vcc
	v_lshlrev_b32_e32 v6, 3, v8
	v_add_co_u32_e32 v6, vcc, v6, v1
	v_addc_co_u32_e32 v7, vcc, 0, v5, vcc
	v_add_co_u32_e32 v6, vcc, -8, v6
	v_addc_co_u32_e32 v7, vcc, -1, v7, vcc
	v_cmp_eq_u32_e32 vcc, 0, v23
	v_cmp_ne_u32_e64 s[28:29], 0, v23
	v_cndmask_b32_e64 v23, 1, 2, vcc
	v_cmp_eq_u32_e32 vcc, 0, v9
	v_cmp_ne_u32_e64 s[26:27], 0, v9
	v_cndmask_b32_e64 v9, 1, 2, vcc
	v_cmp_eq_u32_e32 vcc, 0, v10
	v_and_b32_e32 v9, v9, v23
	v_cmp_ne_u32_e64 s[24:25], 0, v10
	v_cndmask_b32_e64 v10, 1, 2, vcc
	v_cmp_eq_u32_e32 vcc, 0, v11
	v_and_b32_e32 v9, v9, v10
	v_cndmask_b32_e64 v10, 1, 2, vcc
	v_cmp_eq_u32_e32 vcc, 0, v12
	v_and_b32_e32 v9, v9, v10
	;; [unrolled: 3-line block ×12, first 2 shown]
	v_cndmask_b32_e64 v10, 1, 2, vcc
	s_movk_i32 s30, 0x100
	v_and_b32_e32 v9, v9, v10
	v_cmp_gt_u32_e32 vcc, s30, v4
	v_add_u32_e32 v8, v62, v8
	v_cmp_ne_u32_e64 s[22:23], 0, v11
	v_cmp_ne_u32_e64 s[20:21], 0, v12
	;; [unrolled: 1-line block ×12, first 2 shown]
	s_mov_b64 s[36:37], -1
	v_cmp_gt_i16_e64 s[30:31], 2, v9
	s_barrier
	s_cbranch_vccz .LBB1708_180
; %bb.174:
	s_and_saveexec_b64 s[36:37], s[30:31]
	s_cbranch_execz .LBB1708_179
; %bb.175:
	v_cmp_ne_u16_e32 vcc, 1, v9
	s_mov_b64 s[38:39], 0
	s_and_saveexec_b64 s[30:31], vcc
	s_xor_b64 s[30:31], exec, s[30:31]
	s_cbranch_execnz .LBB1708_229
; %bb.176:
	s_andn2_saveexec_b64 s[30:31], s[30:31]
	s_cbranch_execnz .LBB1708_245
.LBB1708_177:
	s_or_b64 exec, exec, s[30:31]
	s_and_b64 exec, exec, s[38:39]
	s_cbranch_execz .LBB1708_179
.LBB1708_178:
	v_sub_u32_e32 v10, v38, v8
	v_mov_b32_e32 v11, 0
	v_lshlrev_b64 v[10:11], 3, v[10:11]
	v_add_co_u32_e32 v10, vcc, v6, v10
	v_addc_co_u32_e32 v11, vcc, v7, v11, vcc
	global_store_dwordx2 v[10:11], v[2:3], off
.LBB1708_179:
	s_or_b64 exec, exec, s[36:37]
	s_mov_b64 s[36:37], 0
.LBB1708_180:
	s_and_b64 vcc, exec, s[36:37]
	s_cbranch_vccz .LBB1708_190
; %bb.181:
	v_cmp_gt_i16_e32 vcc, 2, v9
	s_and_saveexec_b64 s[30:31], vcc
	s_cbranch_execz .LBB1708_186
; %bb.182:
	v_cmp_ne_u16_e32 vcc, 1, v9
	s_mov_b64 s[38:39], 0
	s_and_saveexec_b64 s[36:37], vcc
	s_xor_b64 s[36:37], exec, s[36:37]
	s_cbranch_execnz .LBB1708_246
; %bb.183:
	s_andn2_saveexec_b64 s[0:1], s[36:37]
	s_cbranch_execnz .LBB1708_262
.LBB1708_184:
	s_or_b64 exec, exec, s[0:1]
	s_and_b64 exec, exec, s[38:39]
	s_cbranch_execz .LBB1708_186
.LBB1708_185:
	v_sub_u32_e32 v8, v38, v8
	v_lshlrev_b32_e32 v8, 3, v8
	ds_write_b64 v8, v[2:3]
.LBB1708_186:
	s_or_b64 exec, exec, s[30:31]
	v_cmp_lt_u32_e32 vcc, v0, v4
	s_waitcnt lgkmcnt(0)
	s_barrier
	s_and_saveexec_b64 s[0:1], vcc
	s_cbranch_execz .LBB1708_189
; %bb.187:
	v_lshlrev_b32_e32 v8, 3, v0
	s_mov_b64 s[2:3], 0
	v_mov_b32_e32 v3, 0
	v_mov_b32_e32 v2, v0
.LBB1708_188:                           ; =>This Inner Loop Header: Depth=1
	v_lshlrev_b64 v[10:11], 3, v[2:3]
	ds_read_b64 v[12:13], v8
	v_add_co_u32_e32 v10, vcc, v6, v10
	v_add_u32_e32 v2, 0x100, v2
	v_addc_co_u32_e32 v11, vcc, v7, v11, vcc
	v_cmp_ge_u32_e32 vcc, v2, v4
	v_add_u32_e32 v8, 0x800, v8
	s_or_b64 s[2:3], vcc, s[2:3]
	s_waitcnt lgkmcnt(0)
	global_store_dwordx2 v[10:11], v[12:13], off
	s_andn2_b64 exec, exec, s[2:3]
	s_cbranch_execnz .LBB1708_188
.LBB1708_189:
	s_or_b64 exec, exec, s[0:1]
.LBB1708_190:
	s_movk_i32 s0, 0xff
	v_cmp_eq_u32_e32 vcc, s0, v0
	s_and_b64 s[0:1], vcc, s[44:45]
	s_and_saveexec_b64 s[2:3], s[0:1]
	s_cbranch_execz .LBB1708_193
; %bb.191:
	v_add_co_u32_e32 v0, vcc, v58, v62
	v_addc_co_u32_e64 v3, s[0:1], 0, 0, vcc
	v_add_co_u32_e32 v2, vcc, v0, v30
	v_mov_b32_e32 v59, 0
	v_addc_co_u32_e32 v3, vcc, v3, v31, vcc
	s_cmpk_lg_i32 s33, 0xf00
	global_store_dwordx2 v59, v[2:3], s[34:35]
	s_cbranch_scc1 .LBB1708_193
; %bb.192:
	v_lshlrev_b64 v[2:3], 3, v[58:59]
	v_add_co_u32_e32 v0, vcc, v1, v2
	v_addc_co_u32_e32 v1, vcc, v5, v3, vcc
	global_store_dwordx2 v[0:1], v[60:61], off offset:-8
.LBB1708_193:
	s_endpgm
.LBB1708_194:
	s_or_b64 exec, exec, s[8:9]
	v_mov_b32_e32 v113, s7
	s_and_saveexec_b64 s[4:5], s[2:3]
	s_cbranch_execnz .LBB1708_54
	s_branch .LBB1708_55
.LBB1708_195:
	s_and_saveexec_b64 s[38:39], s[28:29]
	s_cbranch_execnz .LBB1708_263
; %bb.196:
	s_or_b64 exec, exec, s[38:39]
	s_and_saveexec_b64 s[38:39], s[26:27]
	s_cbranch_execnz .LBB1708_264
.LBB1708_197:
	s_or_b64 exec, exec, s[38:39]
	s_and_saveexec_b64 s[38:39], s[24:25]
	s_cbranch_execnz .LBB1708_265
.LBB1708_198:
	s_or_b64 exec, exec, s[38:39]
	s_and_saveexec_b64 s[38:39], s[22:23]
	s_cbranch_execnz .LBB1708_266
.LBB1708_199:
	s_or_b64 exec, exec, s[38:39]
	s_and_saveexec_b64 s[38:39], s[20:21]
	s_cbranch_execnz .LBB1708_267
.LBB1708_200:
	s_or_b64 exec, exec, s[38:39]
	s_and_saveexec_b64 s[38:39], s[18:19]
	s_cbranch_execnz .LBB1708_268
.LBB1708_201:
	s_or_b64 exec, exec, s[38:39]
	s_and_saveexec_b64 s[38:39], s[16:17]
	s_cbranch_execnz .LBB1708_269
.LBB1708_202:
	s_or_b64 exec, exec, s[38:39]
	s_and_saveexec_b64 s[38:39], s[14:15]
	s_cbranch_execnz .LBB1708_270
.LBB1708_203:
	s_or_b64 exec, exec, s[38:39]
	s_and_saveexec_b64 s[38:39], s[12:13]
	s_cbranch_execnz .LBB1708_271
.LBB1708_204:
	s_or_b64 exec, exec, s[38:39]
	s_and_saveexec_b64 s[38:39], s[10:11]
	s_cbranch_execnz .LBB1708_272
.LBB1708_205:
	s_or_b64 exec, exec, s[38:39]
	s_and_saveexec_b64 s[38:39], s[8:9]
	s_cbranch_execnz .LBB1708_273
.LBB1708_206:
	s_or_b64 exec, exec, s[38:39]
	s_and_saveexec_b64 s[38:39], s[6:7]
	s_cbranch_execnz .LBB1708_274
.LBB1708_207:
	s_or_b64 exec, exec, s[38:39]
	s_and_saveexec_b64 s[38:39], s[4:5]
	s_cbranch_execnz .LBB1708_275
.LBB1708_208:
	s_or_b64 exec, exec, s[38:39]
	s_and_saveexec_b64 s[38:39], s[2:3]
	s_cbranch_execz .LBB1708_210
.LBB1708_209:
	v_sub_u32_e32 v56, v39, v62
	v_mov_b32_e32 v57, 0
	v_lshlrev_b64 v[56:57], 3, v[56:57]
	v_add_co_u32_e32 v56, vcc, v52, v56
	v_addc_co_u32_e32 v57, vcc, v53, v57, vcc
	global_store_dwordx2 v[56:57], v[4:5], off
.LBB1708_210:
	s_or_b64 exec, exec, s[38:39]
	s_and_b64 s[38:39], s[0:1], exec
	s_andn2_saveexec_b64 s[30:31], s[30:31]
	s_cbranch_execz .LBB1708_160
.LBB1708_211:
	v_sub_u32_e32 v56, v59, v62
	v_mov_b32_e32 v57, 0
	v_lshlrev_b64 v[64:65], 3, v[56:57]
	v_add_co_u32_e32 v64, vcc, v52, v64
	v_addc_co_u32_e32 v65, vcc, v53, v65, vcc
	v_sub_u32_e32 v56, v51, v62
	global_store_dwordx2 v[64:65], v[26:27], off
	v_lshlrev_b64 v[64:65], 3, v[56:57]
	v_add_co_u32_e32 v64, vcc, v52, v64
	v_addc_co_u32_e32 v65, vcc, v53, v65, vcc
	v_sub_u32_e32 v56, v50, v62
	global_store_dwordx2 v[64:65], v[28:29], off
	;; [unrolled: 5-line block ×12, first 2 shown]
	v_lshlrev_b64 v[64:65], 3, v[56:57]
	v_add_co_u32_e32 v64, vcc, v52, v64
	v_sub_u32_e32 v56, v39, v62
	v_addc_co_u32_e32 v65, vcc, v53, v65, vcc
	v_lshlrev_b64 v[56:57], 3, v[56:57]
	v_add_co_u32_e32 v56, vcc, v52, v56
	v_addc_co_u32_e32 v57, vcc, v53, v57, vcc
	s_or_b64 s[38:39], s[38:39], exec
	global_store_dwordx2 v[64:65], v[2:3], off
	global_store_dwordx2 v[56:57], v[4:5], off
	s_or_b64 exec, exec, s[30:31]
	s_and_b64 exec, exec, s[38:39]
	s_cbranch_execnz .LBB1708_161
	s_branch .LBB1708_162
.LBB1708_212:
	s_and_saveexec_b64 s[38:39], s[28:29]
	s_cbranch_execnz .LBB1708_276
; %bb.213:
	s_or_b64 exec, exec, s[38:39]
	s_and_saveexec_b64 s[28:29], s[26:27]
	s_cbranch_execnz .LBB1708_277
.LBB1708_214:
	s_or_b64 exec, exec, s[28:29]
	s_and_saveexec_b64 s[26:27], s[24:25]
	s_cbranch_execnz .LBB1708_278
.LBB1708_215:
	s_or_b64 exec, exec, s[26:27]
	s_and_saveexec_b64 s[24:25], s[22:23]
	s_cbranch_execnz .LBB1708_279
.LBB1708_216:
	s_or_b64 exec, exec, s[24:25]
	s_and_saveexec_b64 s[22:23], s[20:21]
	s_cbranch_execnz .LBB1708_280
.LBB1708_217:
	s_or_b64 exec, exec, s[22:23]
	s_and_saveexec_b64 s[20:21], s[18:19]
	s_cbranch_execnz .LBB1708_281
.LBB1708_218:
	s_or_b64 exec, exec, s[20:21]
	s_and_saveexec_b64 s[18:19], s[16:17]
	s_cbranch_execnz .LBB1708_282
.LBB1708_219:
	s_or_b64 exec, exec, s[18:19]
	s_and_saveexec_b64 s[16:17], s[14:15]
	s_cbranch_execnz .LBB1708_283
.LBB1708_220:
	s_or_b64 exec, exec, s[16:17]
	s_and_saveexec_b64 s[14:15], s[12:13]
	s_cbranch_execnz .LBB1708_284
.LBB1708_221:
	s_or_b64 exec, exec, s[14:15]
	s_and_saveexec_b64 s[12:13], s[10:11]
	s_cbranch_execnz .LBB1708_285
.LBB1708_222:
	s_or_b64 exec, exec, s[12:13]
	s_and_saveexec_b64 s[10:11], s[8:9]
	s_cbranch_execnz .LBB1708_286
.LBB1708_223:
	s_or_b64 exec, exec, s[10:11]
	s_and_saveexec_b64 s[8:9], s[6:7]
	s_cbranch_execnz .LBB1708_287
.LBB1708_224:
	s_or_b64 exec, exec, s[8:9]
	s_and_saveexec_b64 s[6:7], s[4:5]
	s_cbranch_execnz .LBB1708_288
.LBB1708_225:
	s_or_b64 exec, exec, s[6:7]
	s_and_saveexec_b64 s[4:5], s[2:3]
	s_cbranch_execz .LBB1708_227
.LBB1708_226:
	v_sub_u32_e32 v2, v39, v62
	v_lshlrev_b32_e32 v2, 3, v2
	ds_write_b64 v2, v[4:5]
.LBB1708_227:
	s_or_b64 exec, exec, s[4:5]
	s_and_b64 s[38:39], s[0:1], exec
                                        ; implicit-def: $vgpr2_vgpr3
                                        ; implicit-def: $vgpr6_vgpr7
                                        ; implicit-def: $vgpr10_vgpr11
                                        ; implicit-def: $vgpr14_vgpr15
                                        ; implicit-def: $vgpr18_vgpr19
                                        ; implicit-def: $vgpr22_vgpr23
                                        ; implicit-def: $vgpr26_vgpr27
	s_andn2_saveexec_b64 s[0:1], s[36:37]
	s_cbranch_execz .LBB1708_167
.LBB1708_228:
	v_sub_u32_e32 v54, v59, v62
	v_lshlrev_b32_e32 v54, 3, v54
	ds_write_b64 v54, v[26:27]
	v_sub_u32_e32 v26, v51, v62
	v_lshlrev_b32_e32 v26, 3, v26
	ds_write_b64 v26, v[28:29]
	;; [unrolled: 3-line block ×13, first 2 shown]
	v_sub_u32_e32 v2, v39, v62
	v_lshlrev_b32_e32 v2, 3, v2
	s_or_b64 s[38:39], s[38:39], exec
	ds_write_b64 v2, v[4:5]
	s_or_b64 exec, exec, s[0:1]
	s_and_b64 exec, exec, s[38:39]
	s_cbranch_execnz .LBB1708_168
	s_branch .LBB1708_169
.LBB1708_229:
	s_and_saveexec_b64 s[38:39], s[28:29]
	s_cbranch_execnz .LBB1708_289
; %bb.230:
	s_or_b64 exec, exec, s[38:39]
	s_and_saveexec_b64 s[38:39], s[26:27]
	s_cbranch_execnz .LBB1708_290
.LBB1708_231:
	s_or_b64 exec, exec, s[38:39]
	s_and_saveexec_b64 s[38:39], s[24:25]
	s_cbranch_execnz .LBB1708_291
.LBB1708_232:
	s_or_b64 exec, exec, s[38:39]
	s_and_saveexec_b64 s[38:39], s[22:23]
	s_cbranch_execnz .LBB1708_292
.LBB1708_233:
	s_or_b64 exec, exec, s[38:39]
	s_and_saveexec_b64 s[38:39], s[20:21]
	s_cbranch_execnz .LBB1708_293
.LBB1708_234:
	s_or_b64 exec, exec, s[38:39]
	s_and_saveexec_b64 s[38:39], s[18:19]
	s_cbranch_execnz .LBB1708_294
.LBB1708_235:
	s_or_b64 exec, exec, s[38:39]
	s_and_saveexec_b64 s[38:39], s[16:17]
	s_cbranch_execnz .LBB1708_295
.LBB1708_236:
	s_or_b64 exec, exec, s[38:39]
	s_and_saveexec_b64 s[38:39], s[14:15]
	s_cbranch_execnz .LBB1708_296
.LBB1708_237:
	s_or_b64 exec, exec, s[38:39]
	s_and_saveexec_b64 s[38:39], s[12:13]
	s_cbranch_execnz .LBB1708_297
.LBB1708_238:
	s_or_b64 exec, exec, s[38:39]
	s_and_saveexec_b64 s[38:39], s[10:11]
	s_cbranch_execnz .LBB1708_298
.LBB1708_239:
	s_or_b64 exec, exec, s[38:39]
	s_and_saveexec_b64 s[38:39], s[8:9]
	s_cbranch_execnz .LBB1708_299
.LBB1708_240:
	s_or_b64 exec, exec, s[38:39]
	s_and_saveexec_b64 s[38:39], s[6:7]
	s_cbranch_execnz .LBB1708_300
.LBB1708_241:
	s_or_b64 exec, exec, s[38:39]
	s_and_saveexec_b64 s[38:39], s[4:5]
	s_cbranch_execnz .LBB1708_301
.LBB1708_242:
	s_or_b64 exec, exec, s[38:39]
	s_and_saveexec_b64 s[38:39], s[2:3]
	s_cbranch_execz .LBB1708_244
.LBB1708_243:
	v_sub_u32_e32 v10, v39, v8
	v_mov_b32_e32 v11, 0
	v_lshlrev_b64 v[10:11], 3, v[10:11]
	v_add_co_u32_e32 v10, vcc, v6, v10
	v_addc_co_u32_e32 v11, vcc, v7, v11, vcc
	global_store_dwordx2 v[10:11], v[96:97], off
.LBB1708_244:
	s_or_b64 exec, exec, s[38:39]
	s_and_b64 s[38:39], s[0:1], exec
	s_andn2_saveexec_b64 s[30:31], s[30:31]
	s_cbranch_execz .LBB1708_177
.LBB1708_245:
	v_sub_u32_e32 v10, v59, v8
	v_mov_b32_e32 v11, 0
	v_lshlrev_b64 v[12:13], 3, v[10:11]
	v_add_co_u32_e32 v12, vcc, v6, v12
	v_addc_co_u32_e32 v13, vcc, v7, v13, vcc
	v_sub_u32_e32 v10, v51, v8
	global_store_dwordx2 v[12:13], v[94:95], off
	v_lshlrev_b64 v[12:13], 3, v[10:11]
	v_add_co_u32_e32 v12, vcc, v6, v12
	v_addc_co_u32_e32 v13, vcc, v7, v13, vcc
	v_sub_u32_e32 v10, v50, v8
	global_store_dwordx2 v[12:13], v[66:67], off
	;; [unrolled: 5-line block ×12, first 2 shown]
	v_lshlrev_b64 v[12:13], 3, v[10:11]
	v_add_co_u32_e32 v12, vcc, v6, v12
	v_sub_u32_e32 v10, v39, v8
	v_addc_co_u32_e32 v13, vcc, v7, v13, vcc
	v_lshlrev_b64 v[10:11], 3, v[10:11]
	v_add_co_u32_e32 v10, vcc, v6, v10
	v_addc_co_u32_e32 v11, vcc, v7, v11, vcc
	s_or_b64 s[38:39], s[38:39], exec
	global_store_dwordx2 v[12:13], v[92:93], off
	global_store_dwordx2 v[10:11], v[96:97], off
	s_or_b64 exec, exec, s[30:31]
	s_and_b64 exec, exec, s[38:39]
	s_cbranch_execnz .LBB1708_178
	s_branch .LBB1708_179
.LBB1708_246:
	s_and_saveexec_b64 s[38:39], s[28:29]
	s_cbranch_execnz .LBB1708_302
; %bb.247:
	s_or_b64 exec, exec, s[38:39]
	s_and_saveexec_b64 s[28:29], s[26:27]
	s_cbranch_execnz .LBB1708_303
.LBB1708_248:
	s_or_b64 exec, exec, s[28:29]
	s_and_saveexec_b64 s[26:27], s[24:25]
	s_cbranch_execnz .LBB1708_304
.LBB1708_249:
	s_or_b64 exec, exec, s[26:27]
	s_and_saveexec_b64 s[24:25], s[22:23]
	s_cbranch_execnz .LBB1708_305
.LBB1708_250:
	s_or_b64 exec, exec, s[24:25]
	s_and_saveexec_b64 s[22:23], s[20:21]
	s_cbranch_execnz .LBB1708_306
.LBB1708_251:
	s_or_b64 exec, exec, s[22:23]
	s_and_saveexec_b64 s[20:21], s[18:19]
	s_cbranch_execnz .LBB1708_307
.LBB1708_252:
	s_or_b64 exec, exec, s[20:21]
	s_and_saveexec_b64 s[18:19], s[16:17]
	s_cbranch_execnz .LBB1708_308
.LBB1708_253:
	s_or_b64 exec, exec, s[18:19]
	s_and_saveexec_b64 s[16:17], s[14:15]
	s_cbranch_execnz .LBB1708_309
.LBB1708_254:
	s_or_b64 exec, exec, s[16:17]
	s_and_saveexec_b64 s[14:15], s[12:13]
	s_cbranch_execnz .LBB1708_310
.LBB1708_255:
	s_or_b64 exec, exec, s[14:15]
	s_and_saveexec_b64 s[12:13], s[10:11]
	s_cbranch_execnz .LBB1708_311
.LBB1708_256:
	s_or_b64 exec, exec, s[12:13]
	s_and_saveexec_b64 s[10:11], s[8:9]
	s_cbranch_execnz .LBB1708_312
.LBB1708_257:
	s_or_b64 exec, exec, s[10:11]
	s_and_saveexec_b64 s[8:9], s[6:7]
	s_cbranch_execnz .LBB1708_313
.LBB1708_258:
	s_or_b64 exec, exec, s[8:9]
	s_and_saveexec_b64 s[6:7], s[4:5]
	s_cbranch_execnz .LBB1708_314
.LBB1708_259:
	s_or_b64 exec, exec, s[6:7]
	s_and_saveexec_b64 s[4:5], s[2:3]
	s_cbranch_execz .LBB1708_261
.LBB1708_260:
	v_sub_u32_e32 v9, v39, v8
	v_lshlrev_b32_e32 v9, 3, v9
	ds_write_b64 v9, v[96:97]
.LBB1708_261:
	s_or_b64 exec, exec, s[4:5]
	s_and_b64 s[38:39], s[0:1], exec
                                        ; implicit-def: $vgpr94_vgpr95
                                        ; implicit-def: $vgpr66_vgpr67
                                        ; implicit-def: $vgpr68_vgpr69
                                        ; implicit-def: $vgpr70_vgpr71
                                        ; implicit-def: $vgpr76_vgpr77
                                        ; implicit-def: $vgpr78_vgpr79
                                        ; implicit-def: $vgpr80_vgpr81
                                        ; implicit-def: $vgpr82_vgpr83
                                        ; implicit-def: $vgpr84_vgpr85
                                        ; implicit-def: $vgpr86_vgpr87
                                        ; implicit-def: $vgpr88_vgpr89
                                        ; implicit-def: $vgpr90_vgpr91
                                        ; implicit-def: $vgpr92_vgpr93
                                        ; implicit-def: $vgpr96_vgpr97
                                        ; implicit-def: $vgpr59
                                        ; implicit-def: $vgpr51
                                        ; implicit-def: $vgpr50
                                        ; implicit-def: $vgpr49
                                        ; implicit-def: $vgpr48
                                        ; implicit-def: $vgpr47
                                        ; implicit-def: $vgpr46
                                        ; implicit-def: $vgpr45
                                        ; implicit-def: $vgpr44
                                        ; implicit-def: $vgpr43
                                        ; implicit-def: $vgpr42
                                        ; implicit-def: $vgpr41
                                        ; implicit-def: $vgpr40
                                        ; implicit-def: $vgpr39
	s_andn2_saveexec_b64 s[0:1], s[36:37]
	s_cbranch_execz .LBB1708_184
.LBB1708_262:
	v_sub_u32_e32 v9, v59, v8
	v_lshlrev_b32_e32 v9, 3, v9
	ds_write_b64 v9, v[94:95]
	v_sub_u32_e32 v9, v51, v8
	v_lshlrev_b32_e32 v9, 3, v9
	ds_write_b64 v9, v[66:67]
	;; [unrolled: 3-line block ×13, first 2 shown]
	v_sub_u32_e32 v9, v39, v8
	v_lshlrev_b32_e32 v9, 3, v9
	s_or_b64 s[38:39], s[38:39], exec
	ds_write_b64 v9, v[96:97]
	s_or_b64 exec, exec, s[0:1]
	s_and_b64 exec, exec, s[38:39]
	s_cbranch_execnz .LBB1708_185
	s_branch .LBB1708_186
.LBB1708_263:
	v_sub_u32_e32 v56, v59, v62
	v_mov_b32_e32 v57, 0
	v_lshlrev_b64 v[56:57], 3, v[56:57]
	v_add_co_u32_e32 v56, vcc, v52, v56
	v_addc_co_u32_e32 v57, vcc, v53, v57, vcc
	global_store_dwordx2 v[56:57], v[26:27], off
	s_or_b64 exec, exec, s[38:39]
	s_and_saveexec_b64 s[38:39], s[26:27]
	s_cbranch_execz .LBB1708_197
.LBB1708_264:
	v_sub_u32_e32 v56, v51, v62
	v_mov_b32_e32 v57, 0
	v_lshlrev_b64 v[56:57], 3, v[56:57]
	v_add_co_u32_e32 v56, vcc, v52, v56
	v_addc_co_u32_e32 v57, vcc, v53, v57, vcc
	global_store_dwordx2 v[56:57], v[28:29], off
	s_or_b64 exec, exec, s[38:39]
	s_and_saveexec_b64 s[38:39], s[24:25]
	s_cbranch_execz .LBB1708_198
.LBB1708_265:
	v_sub_u32_e32 v56, v50, v62
	v_mov_b32_e32 v57, 0
	v_lshlrev_b64 v[56:57], 3, v[56:57]
	v_add_co_u32_e32 v56, vcc, v52, v56
	v_addc_co_u32_e32 v57, vcc, v53, v57, vcc
	global_store_dwordx2 v[56:57], v[22:23], off
	s_or_b64 exec, exec, s[38:39]
	s_and_saveexec_b64 s[38:39], s[22:23]
	s_cbranch_execz .LBB1708_199
.LBB1708_266:
	v_sub_u32_e32 v56, v49, v62
	v_mov_b32_e32 v57, 0
	v_lshlrev_b64 v[56:57], 3, v[56:57]
	v_add_co_u32_e32 v56, vcc, v52, v56
	v_addc_co_u32_e32 v57, vcc, v53, v57, vcc
	global_store_dwordx2 v[56:57], v[24:25], off
	s_or_b64 exec, exec, s[38:39]
	s_and_saveexec_b64 s[38:39], s[20:21]
	s_cbranch_execz .LBB1708_200
.LBB1708_267:
	v_sub_u32_e32 v56, v48, v62
	v_mov_b32_e32 v57, 0
	v_lshlrev_b64 v[56:57], 3, v[56:57]
	v_add_co_u32_e32 v56, vcc, v52, v56
	v_addc_co_u32_e32 v57, vcc, v53, v57, vcc
	global_store_dwordx2 v[56:57], v[18:19], off
	s_or_b64 exec, exec, s[38:39]
	s_and_saveexec_b64 s[38:39], s[18:19]
	s_cbranch_execz .LBB1708_201
.LBB1708_268:
	v_sub_u32_e32 v56, v47, v62
	v_mov_b32_e32 v57, 0
	v_lshlrev_b64 v[56:57], 3, v[56:57]
	v_add_co_u32_e32 v56, vcc, v52, v56
	v_addc_co_u32_e32 v57, vcc, v53, v57, vcc
	global_store_dwordx2 v[56:57], v[20:21], off
	s_or_b64 exec, exec, s[38:39]
	s_and_saveexec_b64 s[38:39], s[16:17]
	s_cbranch_execz .LBB1708_202
.LBB1708_269:
	v_sub_u32_e32 v56, v46, v62
	v_mov_b32_e32 v57, 0
	v_lshlrev_b64 v[56:57], 3, v[56:57]
	v_add_co_u32_e32 v56, vcc, v52, v56
	v_addc_co_u32_e32 v57, vcc, v53, v57, vcc
	global_store_dwordx2 v[56:57], v[14:15], off
	s_or_b64 exec, exec, s[38:39]
	s_and_saveexec_b64 s[38:39], s[14:15]
	s_cbranch_execz .LBB1708_203
.LBB1708_270:
	v_sub_u32_e32 v56, v45, v62
	v_mov_b32_e32 v57, 0
	v_lshlrev_b64 v[56:57], 3, v[56:57]
	v_add_co_u32_e32 v56, vcc, v52, v56
	v_addc_co_u32_e32 v57, vcc, v53, v57, vcc
	global_store_dwordx2 v[56:57], v[16:17], off
	s_or_b64 exec, exec, s[38:39]
	s_and_saveexec_b64 s[38:39], s[12:13]
	s_cbranch_execz .LBB1708_204
.LBB1708_271:
	v_sub_u32_e32 v56, v44, v62
	v_mov_b32_e32 v57, 0
	v_lshlrev_b64 v[56:57], 3, v[56:57]
	v_add_co_u32_e32 v56, vcc, v52, v56
	v_addc_co_u32_e32 v57, vcc, v53, v57, vcc
	global_store_dwordx2 v[56:57], v[10:11], off
	s_or_b64 exec, exec, s[38:39]
	s_and_saveexec_b64 s[38:39], s[10:11]
	s_cbranch_execz .LBB1708_205
.LBB1708_272:
	v_sub_u32_e32 v56, v43, v62
	v_mov_b32_e32 v57, 0
	v_lshlrev_b64 v[56:57], 3, v[56:57]
	v_add_co_u32_e32 v56, vcc, v52, v56
	v_addc_co_u32_e32 v57, vcc, v53, v57, vcc
	global_store_dwordx2 v[56:57], v[12:13], off
	s_or_b64 exec, exec, s[38:39]
	s_and_saveexec_b64 s[38:39], s[8:9]
	s_cbranch_execz .LBB1708_206
.LBB1708_273:
	v_sub_u32_e32 v56, v42, v62
	v_mov_b32_e32 v57, 0
	v_lshlrev_b64 v[56:57], 3, v[56:57]
	v_add_co_u32_e32 v56, vcc, v52, v56
	v_addc_co_u32_e32 v57, vcc, v53, v57, vcc
	global_store_dwordx2 v[56:57], v[6:7], off
	s_or_b64 exec, exec, s[38:39]
	s_and_saveexec_b64 s[38:39], s[6:7]
	s_cbranch_execz .LBB1708_207
.LBB1708_274:
	v_sub_u32_e32 v56, v41, v62
	v_mov_b32_e32 v57, 0
	v_lshlrev_b64 v[56:57], 3, v[56:57]
	v_add_co_u32_e32 v56, vcc, v52, v56
	v_addc_co_u32_e32 v57, vcc, v53, v57, vcc
	global_store_dwordx2 v[56:57], v[8:9], off
	s_or_b64 exec, exec, s[38:39]
	s_and_saveexec_b64 s[38:39], s[4:5]
	s_cbranch_execz .LBB1708_208
.LBB1708_275:
	v_sub_u32_e32 v56, v40, v62
	v_mov_b32_e32 v57, 0
	v_lshlrev_b64 v[56:57], 3, v[56:57]
	v_add_co_u32_e32 v56, vcc, v52, v56
	v_addc_co_u32_e32 v57, vcc, v53, v57, vcc
	global_store_dwordx2 v[56:57], v[2:3], off
	s_or_b64 exec, exec, s[38:39]
	s_and_saveexec_b64 s[38:39], s[2:3]
	s_cbranch_execnz .LBB1708_209
	s_branch .LBB1708_210
.LBB1708_276:
	v_sub_u32_e32 v54, v59, v62
	v_lshlrev_b32_e32 v54, 3, v54
	ds_write_b64 v54, v[26:27]
	s_or_b64 exec, exec, s[38:39]
	s_and_saveexec_b64 s[28:29], s[26:27]
	s_cbranch_execz .LBB1708_214
.LBB1708_277:
	v_sub_u32_e32 v26, v51, v62
	v_lshlrev_b32_e32 v26, 3, v26
	ds_write_b64 v26, v[28:29]
	s_or_b64 exec, exec, s[28:29]
	s_and_saveexec_b64 s[26:27], s[24:25]
	s_cbranch_execz .LBB1708_215
.LBB1708_278:
	v_sub_u32_e32 v26, v50, v62
	v_lshlrev_b32_e32 v26, 3, v26
	ds_write_b64 v26, v[22:23]
	s_or_b64 exec, exec, s[26:27]
	s_and_saveexec_b64 s[24:25], s[22:23]
	s_cbranch_execz .LBB1708_216
.LBB1708_279:
	v_sub_u32_e32 v22, v49, v62
	v_lshlrev_b32_e32 v22, 3, v22
	ds_write_b64 v22, v[24:25]
	s_or_b64 exec, exec, s[24:25]
	s_and_saveexec_b64 s[22:23], s[20:21]
	s_cbranch_execz .LBB1708_217
.LBB1708_280:
	v_sub_u32_e32 v22, v48, v62
	v_lshlrev_b32_e32 v22, 3, v22
	ds_write_b64 v22, v[18:19]
	s_or_b64 exec, exec, s[22:23]
	s_and_saveexec_b64 s[20:21], s[18:19]
	s_cbranch_execz .LBB1708_218
.LBB1708_281:
	v_sub_u32_e32 v18, v47, v62
	v_lshlrev_b32_e32 v18, 3, v18
	ds_write_b64 v18, v[20:21]
	s_or_b64 exec, exec, s[20:21]
	s_and_saveexec_b64 s[18:19], s[16:17]
	s_cbranch_execz .LBB1708_219
.LBB1708_282:
	v_sub_u32_e32 v18, v46, v62
	v_lshlrev_b32_e32 v18, 3, v18
	ds_write_b64 v18, v[14:15]
	s_or_b64 exec, exec, s[18:19]
	s_and_saveexec_b64 s[16:17], s[14:15]
	s_cbranch_execz .LBB1708_220
.LBB1708_283:
	v_sub_u32_e32 v14, v45, v62
	v_lshlrev_b32_e32 v14, 3, v14
	ds_write_b64 v14, v[16:17]
	s_or_b64 exec, exec, s[16:17]
	s_and_saveexec_b64 s[14:15], s[12:13]
	s_cbranch_execz .LBB1708_221
.LBB1708_284:
	v_sub_u32_e32 v14, v44, v62
	v_lshlrev_b32_e32 v14, 3, v14
	ds_write_b64 v14, v[10:11]
	s_or_b64 exec, exec, s[14:15]
	s_and_saveexec_b64 s[12:13], s[10:11]
	s_cbranch_execz .LBB1708_222
.LBB1708_285:
	v_sub_u32_e32 v10, v43, v62
	v_lshlrev_b32_e32 v10, 3, v10
	ds_write_b64 v10, v[12:13]
	s_or_b64 exec, exec, s[12:13]
	s_and_saveexec_b64 s[10:11], s[8:9]
	s_cbranch_execz .LBB1708_223
.LBB1708_286:
	v_sub_u32_e32 v10, v42, v62
	v_lshlrev_b32_e32 v10, 3, v10
	ds_write_b64 v10, v[6:7]
	s_or_b64 exec, exec, s[10:11]
	s_and_saveexec_b64 s[8:9], s[6:7]
	s_cbranch_execz .LBB1708_224
.LBB1708_287:
	v_sub_u32_e32 v6, v41, v62
	v_lshlrev_b32_e32 v6, 3, v6
	ds_write_b64 v6, v[8:9]
	s_or_b64 exec, exec, s[8:9]
	s_and_saveexec_b64 s[6:7], s[4:5]
	s_cbranch_execz .LBB1708_225
.LBB1708_288:
	v_sub_u32_e32 v6, v40, v62
	v_lshlrev_b32_e32 v6, 3, v6
	ds_write_b64 v6, v[2:3]
	s_or_b64 exec, exec, s[6:7]
	s_and_saveexec_b64 s[4:5], s[2:3]
	s_cbranch_execnz .LBB1708_226
	s_branch .LBB1708_227
.LBB1708_289:
	v_sub_u32_e32 v10, v59, v8
	v_mov_b32_e32 v11, 0
	v_lshlrev_b64 v[10:11], 3, v[10:11]
	v_add_co_u32_e32 v10, vcc, v6, v10
	v_addc_co_u32_e32 v11, vcc, v7, v11, vcc
	global_store_dwordx2 v[10:11], v[94:95], off
	s_or_b64 exec, exec, s[38:39]
	s_and_saveexec_b64 s[38:39], s[26:27]
	s_cbranch_execz .LBB1708_231
.LBB1708_290:
	v_sub_u32_e32 v10, v51, v8
	v_mov_b32_e32 v11, 0
	v_lshlrev_b64 v[10:11], 3, v[10:11]
	v_add_co_u32_e32 v10, vcc, v6, v10
	v_addc_co_u32_e32 v11, vcc, v7, v11, vcc
	global_store_dwordx2 v[10:11], v[66:67], off
	s_or_b64 exec, exec, s[38:39]
	s_and_saveexec_b64 s[38:39], s[24:25]
	s_cbranch_execz .LBB1708_232
.LBB1708_291:
	v_sub_u32_e32 v10, v50, v8
	v_mov_b32_e32 v11, 0
	v_lshlrev_b64 v[10:11], 3, v[10:11]
	v_add_co_u32_e32 v10, vcc, v6, v10
	v_addc_co_u32_e32 v11, vcc, v7, v11, vcc
	global_store_dwordx2 v[10:11], v[68:69], off
	s_or_b64 exec, exec, s[38:39]
	s_and_saveexec_b64 s[38:39], s[22:23]
	s_cbranch_execz .LBB1708_233
.LBB1708_292:
	v_sub_u32_e32 v10, v49, v8
	v_mov_b32_e32 v11, 0
	v_lshlrev_b64 v[10:11], 3, v[10:11]
	v_add_co_u32_e32 v10, vcc, v6, v10
	v_addc_co_u32_e32 v11, vcc, v7, v11, vcc
	global_store_dwordx2 v[10:11], v[70:71], off
	s_or_b64 exec, exec, s[38:39]
	s_and_saveexec_b64 s[38:39], s[20:21]
	s_cbranch_execz .LBB1708_234
.LBB1708_293:
	v_sub_u32_e32 v10, v48, v8
	v_mov_b32_e32 v11, 0
	v_lshlrev_b64 v[10:11], 3, v[10:11]
	v_add_co_u32_e32 v10, vcc, v6, v10
	v_addc_co_u32_e32 v11, vcc, v7, v11, vcc
	global_store_dwordx2 v[10:11], v[76:77], off
	s_or_b64 exec, exec, s[38:39]
	s_and_saveexec_b64 s[38:39], s[18:19]
	s_cbranch_execz .LBB1708_235
.LBB1708_294:
	v_sub_u32_e32 v10, v47, v8
	v_mov_b32_e32 v11, 0
	v_lshlrev_b64 v[10:11], 3, v[10:11]
	v_add_co_u32_e32 v10, vcc, v6, v10
	v_addc_co_u32_e32 v11, vcc, v7, v11, vcc
	global_store_dwordx2 v[10:11], v[78:79], off
	s_or_b64 exec, exec, s[38:39]
	s_and_saveexec_b64 s[38:39], s[16:17]
	s_cbranch_execz .LBB1708_236
.LBB1708_295:
	v_sub_u32_e32 v10, v46, v8
	v_mov_b32_e32 v11, 0
	v_lshlrev_b64 v[10:11], 3, v[10:11]
	v_add_co_u32_e32 v10, vcc, v6, v10
	v_addc_co_u32_e32 v11, vcc, v7, v11, vcc
	global_store_dwordx2 v[10:11], v[80:81], off
	s_or_b64 exec, exec, s[38:39]
	s_and_saveexec_b64 s[38:39], s[14:15]
	s_cbranch_execz .LBB1708_237
.LBB1708_296:
	v_sub_u32_e32 v10, v45, v8
	v_mov_b32_e32 v11, 0
	v_lshlrev_b64 v[10:11], 3, v[10:11]
	v_add_co_u32_e32 v10, vcc, v6, v10
	v_addc_co_u32_e32 v11, vcc, v7, v11, vcc
	global_store_dwordx2 v[10:11], v[82:83], off
	s_or_b64 exec, exec, s[38:39]
	s_and_saveexec_b64 s[38:39], s[12:13]
	s_cbranch_execz .LBB1708_238
.LBB1708_297:
	v_sub_u32_e32 v10, v44, v8
	v_mov_b32_e32 v11, 0
	v_lshlrev_b64 v[10:11], 3, v[10:11]
	v_add_co_u32_e32 v10, vcc, v6, v10
	v_addc_co_u32_e32 v11, vcc, v7, v11, vcc
	global_store_dwordx2 v[10:11], v[84:85], off
	s_or_b64 exec, exec, s[38:39]
	s_and_saveexec_b64 s[38:39], s[10:11]
	s_cbranch_execz .LBB1708_239
.LBB1708_298:
	v_sub_u32_e32 v10, v43, v8
	v_mov_b32_e32 v11, 0
	v_lshlrev_b64 v[10:11], 3, v[10:11]
	v_add_co_u32_e32 v10, vcc, v6, v10
	v_addc_co_u32_e32 v11, vcc, v7, v11, vcc
	global_store_dwordx2 v[10:11], v[86:87], off
	s_or_b64 exec, exec, s[38:39]
	s_and_saveexec_b64 s[38:39], s[8:9]
	s_cbranch_execz .LBB1708_240
.LBB1708_299:
	v_sub_u32_e32 v10, v42, v8
	v_mov_b32_e32 v11, 0
	v_lshlrev_b64 v[10:11], 3, v[10:11]
	v_add_co_u32_e32 v10, vcc, v6, v10
	v_addc_co_u32_e32 v11, vcc, v7, v11, vcc
	global_store_dwordx2 v[10:11], v[88:89], off
	s_or_b64 exec, exec, s[38:39]
	s_and_saveexec_b64 s[38:39], s[6:7]
	s_cbranch_execz .LBB1708_241
.LBB1708_300:
	v_sub_u32_e32 v10, v41, v8
	v_mov_b32_e32 v11, 0
	v_lshlrev_b64 v[10:11], 3, v[10:11]
	v_add_co_u32_e32 v10, vcc, v6, v10
	v_addc_co_u32_e32 v11, vcc, v7, v11, vcc
	global_store_dwordx2 v[10:11], v[90:91], off
	s_or_b64 exec, exec, s[38:39]
	s_and_saveexec_b64 s[38:39], s[4:5]
	s_cbranch_execz .LBB1708_242
.LBB1708_301:
	v_sub_u32_e32 v10, v40, v8
	v_mov_b32_e32 v11, 0
	v_lshlrev_b64 v[10:11], 3, v[10:11]
	v_add_co_u32_e32 v10, vcc, v6, v10
	v_addc_co_u32_e32 v11, vcc, v7, v11, vcc
	global_store_dwordx2 v[10:11], v[92:93], off
	s_or_b64 exec, exec, s[38:39]
	s_and_saveexec_b64 s[38:39], s[2:3]
	s_cbranch_execnz .LBB1708_243
	s_branch .LBB1708_244
.LBB1708_302:
	v_sub_u32_e32 v9, v59, v8
	v_lshlrev_b32_e32 v9, 3, v9
	ds_write_b64 v9, v[94:95]
	s_or_b64 exec, exec, s[38:39]
	s_and_saveexec_b64 s[28:29], s[26:27]
	s_cbranch_execz .LBB1708_248
.LBB1708_303:
	v_sub_u32_e32 v9, v51, v8
	v_lshlrev_b32_e32 v9, 3, v9
	ds_write_b64 v9, v[66:67]
	s_or_b64 exec, exec, s[28:29]
	s_and_saveexec_b64 s[26:27], s[24:25]
	s_cbranch_execz .LBB1708_249
.LBB1708_304:
	v_sub_u32_e32 v9, v50, v8
	v_lshlrev_b32_e32 v9, 3, v9
	ds_write_b64 v9, v[68:69]
	s_or_b64 exec, exec, s[26:27]
	s_and_saveexec_b64 s[24:25], s[22:23]
	s_cbranch_execz .LBB1708_250
.LBB1708_305:
	v_sub_u32_e32 v9, v49, v8
	v_lshlrev_b32_e32 v9, 3, v9
	ds_write_b64 v9, v[70:71]
	s_or_b64 exec, exec, s[24:25]
	s_and_saveexec_b64 s[22:23], s[20:21]
	s_cbranch_execz .LBB1708_251
.LBB1708_306:
	v_sub_u32_e32 v9, v48, v8
	v_lshlrev_b32_e32 v9, 3, v9
	ds_write_b64 v9, v[76:77]
	s_or_b64 exec, exec, s[22:23]
	s_and_saveexec_b64 s[20:21], s[18:19]
	s_cbranch_execz .LBB1708_252
.LBB1708_307:
	v_sub_u32_e32 v9, v47, v8
	v_lshlrev_b32_e32 v9, 3, v9
	ds_write_b64 v9, v[78:79]
	s_or_b64 exec, exec, s[20:21]
	s_and_saveexec_b64 s[18:19], s[16:17]
	s_cbranch_execz .LBB1708_253
.LBB1708_308:
	v_sub_u32_e32 v9, v46, v8
	v_lshlrev_b32_e32 v9, 3, v9
	ds_write_b64 v9, v[80:81]
	s_or_b64 exec, exec, s[18:19]
	s_and_saveexec_b64 s[16:17], s[14:15]
	s_cbranch_execz .LBB1708_254
.LBB1708_309:
	v_sub_u32_e32 v9, v45, v8
	v_lshlrev_b32_e32 v9, 3, v9
	ds_write_b64 v9, v[82:83]
	s_or_b64 exec, exec, s[16:17]
	s_and_saveexec_b64 s[14:15], s[12:13]
	s_cbranch_execz .LBB1708_255
.LBB1708_310:
	v_sub_u32_e32 v9, v44, v8
	v_lshlrev_b32_e32 v9, 3, v9
	ds_write_b64 v9, v[84:85]
	s_or_b64 exec, exec, s[14:15]
	s_and_saveexec_b64 s[12:13], s[10:11]
	s_cbranch_execz .LBB1708_256
.LBB1708_311:
	v_sub_u32_e32 v9, v43, v8
	v_lshlrev_b32_e32 v9, 3, v9
	ds_write_b64 v9, v[86:87]
	s_or_b64 exec, exec, s[12:13]
	s_and_saveexec_b64 s[10:11], s[8:9]
	s_cbranch_execz .LBB1708_257
.LBB1708_312:
	v_sub_u32_e32 v9, v42, v8
	v_lshlrev_b32_e32 v9, 3, v9
	ds_write_b64 v9, v[88:89]
	s_or_b64 exec, exec, s[10:11]
	s_and_saveexec_b64 s[8:9], s[6:7]
	s_cbranch_execz .LBB1708_258
.LBB1708_313:
	v_sub_u32_e32 v9, v41, v8
	v_lshlrev_b32_e32 v9, 3, v9
	ds_write_b64 v9, v[90:91]
	s_or_b64 exec, exec, s[8:9]
	s_and_saveexec_b64 s[6:7], s[4:5]
	s_cbranch_execz .LBB1708_259
.LBB1708_314:
	v_sub_u32_e32 v9, v40, v8
	v_lshlrev_b32_e32 v9, 3, v9
	ds_write_b64 v9, v[92:93]
	s_or_b64 exec, exec, s[6:7]
	s_and_saveexec_b64 s[4:5], s[2:3]
	s_cbranch_execnz .LBB1708_260
	s_branch .LBB1708_261
	.section	.rodata,"a",@progbits
	.p2align	6, 0x0
	.amdhsa_kernel _ZN7rocprim17ROCPRIM_400000_NS6detail17trampoline_kernelINS0_14default_configENS1_29reduce_by_key_config_selectorIdlN6thrust23THRUST_200600_302600_NS4plusIlEEEEZZNS1_33reduce_by_key_impl_wrapped_configILNS1_25lookback_scan_determinismE0ES3_S9_PdNS6_17constant_iteratorIiNS6_11use_defaultESE_EENS6_10device_ptrIdEENSG_IlEEPmS8_NS6_8equal_toIdEEEE10hipError_tPvRmT2_T3_mT4_T5_T6_T7_T8_P12ihipStream_tbENKUlT_T0_E_clISt17integral_constantIbLb1EES12_IbLb0EEEEDaSY_SZ_EUlSY_E_NS1_11comp_targetILNS1_3genE4ELNS1_11target_archE910ELNS1_3gpuE8ELNS1_3repE0EEENS1_30default_config_static_selectorELNS0_4arch9wavefront6targetE1EEEvT1_
		.amdhsa_group_segment_fixed_size 30720
		.amdhsa_private_segment_fixed_size 0
		.amdhsa_kernarg_size 144
		.amdhsa_user_sgpr_count 6
		.amdhsa_user_sgpr_private_segment_buffer 1
		.amdhsa_user_sgpr_dispatch_ptr 0
		.amdhsa_user_sgpr_queue_ptr 0
		.amdhsa_user_sgpr_kernarg_segment_ptr 1
		.amdhsa_user_sgpr_dispatch_id 0
		.amdhsa_user_sgpr_flat_scratch_init 0
		.amdhsa_user_sgpr_kernarg_preload_length 0
		.amdhsa_user_sgpr_kernarg_preload_offset 0
		.amdhsa_user_sgpr_private_segment_size 0
		.amdhsa_uses_dynamic_stack 0
		.amdhsa_system_sgpr_private_segment_wavefront_offset 0
		.amdhsa_system_sgpr_workgroup_id_x 1
		.amdhsa_system_sgpr_workgroup_id_y 0
		.amdhsa_system_sgpr_workgroup_id_z 0
		.amdhsa_system_sgpr_workgroup_info 0
		.amdhsa_system_vgpr_workitem_id 0
		.amdhsa_next_free_vgpr 118
		.amdhsa_next_free_sgpr 64
		.amdhsa_accum_offset 120
		.amdhsa_reserve_vcc 1
		.amdhsa_reserve_flat_scratch 0
		.amdhsa_float_round_mode_32 0
		.amdhsa_float_round_mode_16_64 0
		.amdhsa_float_denorm_mode_32 3
		.amdhsa_float_denorm_mode_16_64 3
		.amdhsa_dx10_clamp 1
		.amdhsa_ieee_mode 1
		.amdhsa_fp16_overflow 0
		.amdhsa_tg_split 0
		.amdhsa_exception_fp_ieee_invalid_op 0
		.amdhsa_exception_fp_denorm_src 0
		.amdhsa_exception_fp_ieee_div_zero 0
		.amdhsa_exception_fp_ieee_overflow 0
		.amdhsa_exception_fp_ieee_underflow 0
		.amdhsa_exception_fp_ieee_inexact 0
		.amdhsa_exception_int_div_zero 0
	.end_amdhsa_kernel
	.section	.text._ZN7rocprim17ROCPRIM_400000_NS6detail17trampoline_kernelINS0_14default_configENS1_29reduce_by_key_config_selectorIdlN6thrust23THRUST_200600_302600_NS4plusIlEEEEZZNS1_33reduce_by_key_impl_wrapped_configILNS1_25lookback_scan_determinismE0ES3_S9_PdNS6_17constant_iteratorIiNS6_11use_defaultESE_EENS6_10device_ptrIdEENSG_IlEEPmS8_NS6_8equal_toIdEEEE10hipError_tPvRmT2_T3_mT4_T5_T6_T7_T8_P12ihipStream_tbENKUlT_T0_E_clISt17integral_constantIbLb1EES12_IbLb0EEEEDaSY_SZ_EUlSY_E_NS1_11comp_targetILNS1_3genE4ELNS1_11target_archE910ELNS1_3gpuE8ELNS1_3repE0EEENS1_30default_config_static_selectorELNS0_4arch9wavefront6targetE1EEEvT1_,"axG",@progbits,_ZN7rocprim17ROCPRIM_400000_NS6detail17trampoline_kernelINS0_14default_configENS1_29reduce_by_key_config_selectorIdlN6thrust23THRUST_200600_302600_NS4plusIlEEEEZZNS1_33reduce_by_key_impl_wrapped_configILNS1_25lookback_scan_determinismE0ES3_S9_PdNS6_17constant_iteratorIiNS6_11use_defaultESE_EENS6_10device_ptrIdEENSG_IlEEPmS8_NS6_8equal_toIdEEEE10hipError_tPvRmT2_T3_mT4_T5_T6_T7_T8_P12ihipStream_tbENKUlT_T0_E_clISt17integral_constantIbLb1EES12_IbLb0EEEEDaSY_SZ_EUlSY_E_NS1_11comp_targetILNS1_3genE4ELNS1_11target_archE910ELNS1_3gpuE8ELNS1_3repE0EEENS1_30default_config_static_selectorELNS0_4arch9wavefront6targetE1EEEvT1_,comdat
.Lfunc_end1708:
	.size	_ZN7rocprim17ROCPRIM_400000_NS6detail17trampoline_kernelINS0_14default_configENS1_29reduce_by_key_config_selectorIdlN6thrust23THRUST_200600_302600_NS4plusIlEEEEZZNS1_33reduce_by_key_impl_wrapped_configILNS1_25lookback_scan_determinismE0ES3_S9_PdNS6_17constant_iteratorIiNS6_11use_defaultESE_EENS6_10device_ptrIdEENSG_IlEEPmS8_NS6_8equal_toIdEEEE10hipError_tPvRmT2_T3_mT4_T5_T6_T7_T8_P12ihipStream_tbENKUlT_T0_E_clISt17integral_constantIbLb1EES12_IbLb0EEEEDaSY_SZ_EUlSY_E_NS1_11comp_targetILNS1_3genE4ELNS1_11target_archE910ELNS1_3gpuE8ELNS1_3repE0EEENS1_30default_config_static_selectorELNS0_4arch9wavefront6targetE1EEEvT1_, .Lfunc_end1708-_ZN7rocprim17ROCPRIM_400000_NS6detail17trampoline_kernelINS0_14default_configENS1_29reduce_by_key_config_selectorIdlN6thrust23THRUST_200600_302600_NS4plusIlEEEEZZNS1_33reduce_by_key_impl_wrapped_configILNS1_25lookback_scan_determinismE0ES3_S9_PdNS6_17constant_iteratorIiNS6_11use_defaultESE_EENS6_10device_ptrIdEENSG_IlEEPmS8_NS6_8equal_toIdEEEE10hipError_tPvRmT2_T3_mT4_T5_T6_T7_T8_P12ihipStream_tbENKUlT_T0_E_clISt17integral_constantIbLb1EES12_IbLb0EEEEDaSY_SZ_EUlSY_E_NS1_11comp_targetILNS1_3genE4ELNS1_11target_archE910ELNS1_3gpuE8ELNS1_3repE0EEENS1_30default_config_static_selectorELNS0_4arch9wavefront6targetE1EEEvT1_
                                        ; -- End function
	.section	.AMDGPU.csdata,"",@progbits
; Kernel info:
; codeLenInByte = 15748
; NumSgprs: 68
; NumVgprs: 118
; NumAgprs: 0
; TotalNumVgprs: 118
; ScratchSize: 0
; MemoryBound: 0
; FloatMode: 240
; IeeeMode: 1
; LDSByteSize: 30720 bytes/workgroup (compile time only)
; SGPRBlocks: 8
; VGPRBlocks: 14
; NumSGPRsForWavesPerEU: 68
; NumVGPRsForWavesPerEU: 118
; AccumOffset: 120
; Occupancy: 2
; WaveLimiterHint : 1
; COMPUTE_PGM_RSRC2:SCRATCH_EN: 0
; COMPUTE_PGM_RSRC2:USER_SGPR: 6
; COMPUTE_PGM_RSRC2:TRAP_HANDLER: 0
; COMPUTE_PGM_RSRC2:TGID_X_EN: 1
; COMPUTE_PGM_RSRC2:TGID_Y_EN: 0
; COMPUTE_PGM_RSRC2:TGID_Z_EN: 0
; COMPUTE_PGM_RSRC2:TIDIG_COMP_CNT: 0
; COMPUTE_PGM_RSRC3_GFX90A:ACCUM_OFFSET: 29
; COMPUTE_PGM_RSRC3_GFX90A:TG_SPLIT: 0
	.section	.text._ZN7rocprim17ROCPRIM_400000_NS6detail17trampoline_kernelINS0_14default_configENS1_29reduce_by_key_config_selectorIdlN6thrust23THRUST_200600_302600_NS4plusIlEEEEZZNS1_33reduce_by_key_impl_wrapped_configILNS1_25lookback_scan_determinismE0ES3_S9_PdNS6_17constant_iteratorIiNS6_11use_defaultESE_EENS6_10device_ptrIdEENSG_IlEEPmS8_NS6_8equal_toIdEEEE10hipError_tPvRmT2_T3_mT4_T5_T6_T7_T8_P12ihipStream_tbENKUlT_T0_E_clISt17integral_constantIbLb1EES12_IbLb0EEEEDaSY_SZ_EUlSY_E_NS1_11comp_targetILNS1_3genE3ELNS1_11target_archE908ELNS1_3gpuE7ELNS1_3repE0EEENS1_30default_config_static_selectorELNS0_4arch9wavefront6targetE1EEEvT1_,"axG",@progbits,_ZN7rocprim17ROCPRIM_400000_NS6detail17trampoline_kernelINS0_14default_configENS1_29reduce_by_key_config_selectorIdlN6thrust23THRUST_200600_302600_NS4plusIlEEEEZZNS1_33reduce_by_key_impl_wrapped_configILNS1_25lookback_scan_determinismE0ES3_S9_PdNS6_17constant_iteratorIiNS6_11use_defaultESE_EENS6_10device_ptrIdEENSG_IlEEPmS8_NS6_8equal_toIdEEEE10hipError_tPvRmT2_T3_mT4_T5_T6_T7_T8_P12ihipStream_tbENKUlT_T0_E_clISt17integral_constantIbLb1EES12_IbLb0EEEEDaSY_SZ_EUlSY_E_NS1_11comp_targetILNS1_3genE3ELNS1_11target_archE908ELNS1_3gpuE7ELNS1_3repE0EEENS1_30default_config_static_selectorELNS0_4arch9wavefront6targetE1EEEvT1_,comdat
	.protected	_ZN7rocprim17ROCPRIM_400000_NS6detail17trampoline_kernelINS0_14default_configENS1_29reduce_by_key_config_selectorIdlN6thrust23THRUST_200600_302600_NS4plusIlEEEEZZNS1_33reduce_by_key_impl_wrapped_configILNS1_25lookback_scan_determinismE0ES3_S9_PdNS6_17constant_iteratorIiNS6_11use_defaultESE_EENS6_10device_ptrIdEENSG_IlEEPmS8_NS6_8equal_toIdEEEE10hipError_tPvRmT2_T3_mT4_T5_T6_T7_T8_P12ihipStream_tbENKUlT_T0_E_clISt17integral_constantIbLb1EES12_IbLb0EEEEDaSY_SZ_EUlSY_E_NS1_11comp_targetILNS1_3genE3ELNS1_11target_archE908ELNS1_3gpuE7ELNS1_3repE0EEENS1_30default_config_static_selectorELNS0_4arch9wavefront6targetE1EEEvT1_ ; -- Begin function _ZN7rocprim17ROCPRIM_400000_NS6detail17trampoline_kernelINS0_14default_configENS1_29reduce_by_key_config_selectorIdlN6thrust23THRUST_200600_302600_NS4plusIlEEEEZZNS1_33reduce_by_key_impl_wrapped_configILNS1_25lookback_scan_determinismE0ES3_S9_PdNS6_17constant_iteratorIiNS6_11use_defaultESE_EENS6_10device_ptrIdEENSG_IlEEPmS8_NS6_8equal_toIdEEEE10hipError_tPvRmT2_T3_mT4_T5_T6_T7_T8_P12ihipStream_tbENKUlT_T0_E_clISt17integral_constantIbLb1EES12_IbLb0EEEEDaSY_SZ_EUlSY_E_NS1_11comp_targetILNS1_3genE3ELNS1_11target_archE908ELNS1_3gpuE7ELNS1_3repE0EEENS1_30default_config_static_selectorELNS0_4arch9wavefront6targetE1EEEvT1_
	.globl	_ZN7rocprim17ROCPRIM_400000_NS6detail17trampoline_kernelINS0_14default_configENS1_29reduce_by_key_config_selectorIdlN6thrust23THRUST_200600_302600_NS4plusIlEEEEZZNS1_33reduce_by_key_impl_wrapped_configILNS1_25lookback_scan_determinismE0ES3_S9_PdNS6_17constant_iteratorIiNS6_11use_defaultESE_EENS6_10device_ptrIdEENSG_IlEEPmS8_NS6_8equal_toIdEEEE10hipError_tPvRmT2_T3_mT4_T5_T6_T7_T8_P12ihipStream_tbENKUlT_T0_E_clISt17integral_constantIbLb1EES12_IbLb0EEEEDaSY_SZ_EUlSY_E_NS1_11comp_targetILNS1_3genE3ELNS1_11target_archE908ELNS1_3gpuE7ELNS1_3repE0EEENS1_30default_config_static_selectorELNS0_4arch9wavefront6targetE1EEEvT1_
	.p2align	8
	.type	_ZN7rocprim17ROCPRIM_400000_NS6detail17trampoline_kernelINS0_14default_configENS1_29reduce_by_key_config_selectorIdlN6thrust23THRUST_200600_302600_NS4plusIlEEEEZZNS1_33reduce_by_key_impl_wrapped_configILNS1_25lookback_scan_determinismE0ES3_S9_PdNS6_17constant_iteratorIiNS6_11use_defaultESE_EENS6_10device_ptrIdEENSG_IlEEPmS8_NS6_8equal_toIdEEEE10hipError_tPvRmT2_T3_mT4_T5_T6_T7_T8_P12ihipStream_tbENKUlT_T0_E_clISt17integral_constantIbLb1EES12_IbLb0EEEEDaSY_SZ_EUlSY_E_NS1_11comp_targetILNS1_3genE3ELNS1_11target_archE908ELNS1_3gpuE7ELNS1_3repE0EEENS1_30default_config_static_selectorELNS0_4arch9wavefront6targetE1EEEvT1_,@function
_ZN7rocprim17ROCPRIM_400000_NS6detail17trampoline_kernelINS0_14default_configENS1_29reduce_by_key_config_selectorIdlN6thrust23THRUST_200600_302600_NS4plusIlEEEEZZNS1_33reduce_by_key_impl_wrapped_configILNS1_25lookback_scan_determinismE0ES3_S9_PdNS6_17constant_iteratorIiNS6_11use_defaultESE_EENS6_10device_ptrIdEENSG_IlEEPmS8_NS6_8equal_toIdEEEE10hipError_tPvRmT2_T3_mT4_T5_T6_T7_T8_P12ihipStream_tbENKUlT_T0_E_clISt17integral_constantIbLb1EES12_IbLb0EEEEDaSY_SZ_EUlSY_E_NS1_11comp_targetILNS1_3genE3ELNS1_11target_archE908ELNS1_3gpuE7ELNS1_3repE0EEENS1_30default_config_static_selectorELNS0_4arch9wavefront6targetE1EEEvT1_: ; @_ZN7rocprim17ROCPRIM_400000_NS6detail17trampoline_kernelINS0_14default_configENS1_29reduce_by_key_config_selectorIdlN6thrust23THRUST_200600_302600_NS4plusIlEEEEZZNS1_33reduce_by_key_impl_wrapped_configILNS1_25lookback_scan_determinismE0ES3_S9_PdNS6_17constant_iteratorIiNS6_11use_defaultESE_EENS6_10device_ptrIdEENSG_IlEEPmS8_NS6_8equal_toIdEEEE10hipError_tPvRmT2_T3_mT4_T5_T6_T7_T8_P12ihipStream_tbENKUlT_T0_E_clISt17integral_constantIbLb1EES12_IbLb0EEEEDaSY_SZ_EUlSY_E_NS1_11comp_targetILNS1_3genE3ELNS1_11target_archE908ELNS1_3gpuE7ELNS1_3repE0EEENS1_30default_config_static_selectorELNS0_4arch9wavefront6targetE1EEEvT1_
; %bb.0:
	.section	.rodata,"a",@progbits
	.p2align	6, 0x0
	.amdhsa_kernel _ZN7rocprim17ROCPRIM_400000_NS6detail17trampoline_kernelINS0_14default_configENS1_29reduce_by_key_config_selectorIdlN6thrust23THRUST_200600_302600_NS4plusIlEEEEZZNS1_33reduce_by_key_impl_wrapped_configILNS1_25lookback_scan_determinismE0ES3_S9_PdNS6_17constant_iteratorIiNS6_11use_defaultESE_EENS6_10device_ptrIdEENSG_IlEEPmS8_NS6_8equal_toIdEEEE10hipError_tPvRmT2_T3_mT4_T5_T6_T7_T8_P12ihipStream_tbENKUlT_T0_E_clISt17integral_constantIbLb1EES12_IbLb0EEEEDaSY_SZ_EUlSY_E_NS1_11comp_targetILNS1_3genE3ELNS1_11target_archE908ELNS1_3gpuE7ELNS1_3repE0EEENS1_30default_config_static_selectorELNS0_4arch9wavefront6targetE1EEEvT1_
		.amdhsa_group_segment_fixed_size 0
		.amdhsa_private_segment_fixed_size 0
		.amdhsa_kernarg_size 144
		.amdhsa_user_sgpr_count 6
		.amdhsa_user_sgpr_private_segment_buffer 1
		.amdhsa_user_sgpr_dispatch_ptr 0
		.amdhsa_user_sgpr_queue_ptr 0
		.amdhsa_user_sgpr_kernarg_segment_ptr 1
		.amdhsa_user_sgpr_dispatch_id 0
		.amdhsa_user_sgpr_flat_scratch_init 0
		.amdhsa_user_sgpr_kernarg_preload_length 0
		.amdhsa_user_sgpr_kernarg_preload_offset 0
		.amdhsa_user_sgpr_private_segment_size 0
		.amdhsa_uses_dynamic_stack 0
		.amdhsa_system_sgpr_private_segment_wavefront_offset 0
		.amdhsa_system_sgpr_workgroup_id_x 1
		.amdhsa_system_sgpr_workgroup_id_y 0
		.amdhsa_system_sgpr_workgroup_id_z 0
		.amdhsa_system_sgpr_workgroup_info 0
		.amdhsa_system_vgpr_workitem_id 0
		.amdhsa_next_free_vgpr 1
		.amdhsa_next_free_sgpr 0
		.amdhsa_accum_offset 4
		.amdhsa_reserve_vcc 0
		.amdhsa_reserve_flat_scratch 0
		.amdhsa_float_round_mode_32 0
		.amdhsa_float_round_mode_16_64 0
		.amdhsa_float_denorm_mode_32 3
		.amdhsa_float_denorm_mode_16_64 3
		.amdhsa_dx10_clamp 1
		.amdhsa_ieee_mode 1
		.amdhsa_fp16_overflow 0
		.amdhsa_tg_split 0
		.amdhsa_exception_fp_ieee_invalid_op 0
		.amdhsa_exception_fp_denorm_src 0
		.amdhsa_exception_fp_ieee_div_zero 0
		.amdhsa_exception_fp_ieee_overflow 0
		.amdhsa_exception_fp_ieee_underflow 0
		.amdhsa_exception_fp_ieee_inexact 0
		.amdhsa_exception_int_div_zero 0
	.end_amdhsa_kernel
	.section	.text._ZN7rocprim17ROCPRIM_400000_NS6detail17trampoline_kernelINS0_14default_configENS1_29reduce_by_key_config_selectorIdlN6thrust23THRUST_200600_302600_NS4plusIlEEEEZZNS1_33reduce_by_key_impl_wrapped_configILNS1_25lookback_scan_determinismE0ES3_S9_PdNS6_17constant_iteratorIiNS6_11use_defaultESE_EENS6_10device_ptrIdEENSG_IlEEPmS8_NS6_8equal_toIdEEEE10hipError_tPvRmT2_T3_mT4_T5_T6_T7_T8_P12ihipStream_tbENKUlT_T0_E_clISt17integral_constantIbLb1EES12_IbLb0EEEEDaSY_SZ_EUlSY_E_NS1_11comp_targetILNS1_3genE3ELNS1_11target_archE908ELNS1_3gpuE7ELNS1_3repE0EEENS1_30default_config_static_selectorELNS0_4arch9wavefront6targetE1EEEvT1_,"axG",@progbits,_ZN7rocprim17ROCPRIM_400000_NS6detail17trampoline_kernelINS0_14default_configENS1_29reduce_by_key_config_selectorIdlN6thrust23THRUST_200600_302600_NS4plusIlEEEEZZNS1_33reduce_by_key_impl_wrapped_configILNS1_25lookback_scan_determinismE0ES3_S9_PdNS6_17constant_iteratorIiNS6_11use_defaultESE_EENS6_10device_ptrIdEENSG_IlEEPmS8_NS6_8equal_toIdEEEE10hipError_tPvRmT2_T3_mT4_T5_T6_T7_T8_P12ihipStream_tbENKUlT_T0_E_clISt17integral_constantIbLb1EES12_IbLb0EEEEDaSY_SZ_EUlSY_E_NS1_11comp_targetILNS1_3genE3ELNS1_11target_archE908ELNS1_3gpuE7ELNS1_3repE0EEENS1_30default_config_static_selectorELNS0_4arch9wavefront6targetE1EEEvT1_,comdat
.Lfunc_end1709:
	.size	_ZN7rocprim17ROCPRIM_400000_NS6detail17trampoline_kernelINS0_14default_configENS1_29reduce_by_key_config_selectorIdlN6thrust23THRUST_200600_302600_NS4plusIlEEEEZZNS1_33reduce_by_key_impl_wrapped_configILNS1_25lookback_scan_determinismE0ES3_S9_PdNS6_17constant_iteratorIiNS6_11use_defaultESE_EENS6_10device_ptrIdEENSG_IlEEPmS8_NS6_8equal_toIdEEEE10hipError_tPvRmT2_T3_mT4_T5_T6_T7_T8_P12ihipStream_tbENKUlT_T0_E_clISt17integral_constantIbLb1EES12_IbLb0EEEEDaSY_SZ_EUlSY_E_NS1_11comp_targetILNS1_3genE3ELNS1_11target_archE908ELNS1_3gpuE7ELNS1_3repE0EEENS1_30default_config_static_selectorELNS0_4arch9wavefront6targetE1EEEvT1_, .Lfunc_end1709-_ZN7rocprim17ROCPRIM_400000_NS6detail17trampoline_kernelINS0_14default_configENS1_29reduce_by_key_config_selectorIdlN6thrust23THRUST_200600_302600_NS4plusIlEEEEZZNS1_33reduce_by_key_impl_wrapped_configILNS1_25lookback_scan_determinismE0ES3_S9_PdNS6_17constant_iteratorIiNS6_11use_defaultESE_EENS6_10device_ptrIdEENSG_IlEEPmS8_NS6_8equal_toIdEEEE10hipError_tPvRmT2_T3_mT4_T5_T6_T7_T8_P12ihipStream_tbENKUlT_T0_E_clISt17integral_constantIbLb1EES12_IbLb0EEEEDaSY_SZ_EUlSY_E_NS1_11comp_targetILNS1_3genE3ELNS1_11target_archE908ELNS1_3gpuE7ELNS1_3repE0EEENS1_30default_config_static_selectorELNS0_4arch9wavefront6targetE1EEEvT1_
                                        ; -- End function
	.section	.AMDGPU.csdata,"",@progbits
; Kernel info:
; codeLenInByte = 0
; NumSgprs: 4
; NumVgprs: 0
; NumAgprs: 0
; TotalNumVgprs: 0
; ScratchSize: 0
; MemoryBound: 0
; FloatMode: 240
; IeeeMode: 1
; LDSByteSize: 0 bytes/workgroup (compile time only)
; SGPRBlocks: 0
; VGPRBlocks: 0
; NumSGPRsForWavesPerEU: 4
; NumVGPRsForWavesPerEU: 1
; AccumOffset: 4
; Occupancy: 8
; WaveLimiterHint : 0
; COMPUTE_PGM_RSRC2:SCRATCH_EN: 0
; COMPUTE_PGM_RSRC2:USER_SGPR: 6
; COMPUTE_PGM_RSRC2:TRAP_HANDLER: 0
; COMPUTE_PGM_RSRC2:TGID_X_EN: 1
; COMPUTE_PGM_RSRC2:TGID_Y_EN: 0
; COMPUTE_PGM_RSRC2:TGID_Z_EN: 0
; COMPUTE_PGM_RSRC2:TIDIG_COMP_CNT: 0
; COMPUTE_PGM_RSRC3_GFX90A:ACCUM_OFFSET: 0
; COMPUTE_PGM_RSRC3_GFX90A:TG_SPLIT: 0
	.section	.text._ZN7rocprim17ROCPRIM_400000_NS6detail17trampoline_kernelINS0_14default_configENS1_29reduce_by_key_config_selectorIdlN6thrust23THRUST_200600_302600_NS4plusIlEEEEZZNS1_33reduce_by_key_impl_wrapped_configILNS1_25lookback_scan_determinismE0ES3_S9_PdNS6_17constant_iteratorIiNS6_11use_defaultESE_EENS6_10device_ptrIdEENSG_IlEEPmS8_NS6_8equal_toIdEEEE10hipError_tPvRmT2_T3_mT4_T5_T6_T7_T8_P12ihipStream_tbENKUlT_T0_E_clISt17integral_constantIbLb1EES12_IbLb0EEEEDaSY_SZ_EUlSY_E_NS1_11comp_targetILNS1_3genE2ELNS1_11target_archE906ELNS1_3gpuE6ELNS1_3repE0EEENS1_30default_config_static_selectorELNS0_4arch9wavefront6targetE1EEEvT1_,"axG",@progbits,_ZN7rocprim17ROCPRIM_400000_NS6detail17trampoline_kernelINS0_14default_configENS1_29reduce_by_key_config_selectorIdlN6thrust23THRUST_200600_302600_NS4plusIlEEEEZZNS1_33reduce_by_key_impl_wrapped_configILNS1_25lookback_scan_determinismE0ES3_S9_PdNS6_17constant_iteratorIiNS6_11use_defaultESE_EENS6_10device_ptrIdEENSG_IlEEPmS8_NS6_8equal_toIdEEEE10hipError_tPvRmT2_T3_mT4_T5_T6_T7_T8_P12ihipStream_tbENKUlT_T0_E_clISt17integral_constantIbLb1EES12_IbLb0EEEEDaSY_SZ_EUlSY_E_NS1_11comp_targetILNS1_3genE2ELNS1_11target_archE906ELNS1_3gpuE6ELNS1_3repE0EEENS1_30default_config_static_selectorELNS0_4arch9wavefront6targetE1EEEvT1_,comdat
	.protected	_ZN7rocprim17ROCPRIM_400000_NS6detail17trampoline_kernelINS0_14default_configENS1_29reduce_by_key_config_selectorIdlN6thrust23THRUST_200600_302600_NS4plusIlEEEEZZNS1_33reduce_by_key_impl_wrapped_configILNS1_25lookback_scan_determinismE0ES3_S9_PdNS6_17constant_iteratorIiNS6_11use_defaultESE_EENS6_10device_ptrIdEENSG_IlEEPmS8_NS6_8equal_toIdEEEE10hipError_tPvRmT2_T3_mT4_T5_T6_T7_T8_P12ihipStream_tbENKUlT_T0_E_clISt17integral_constantIbLb1EES12_IbLb0EEEEDaSY_SZ_EUlSY_E_NS1_11comp_targetILNS1_3genE2ELNS1_11target_archE906ELNS1_3gpuE6ELNS1_3repE0EEENS1_30default_config_static_selectorELNS0_4arch9wavefront6targetE1EEEvT1_ ; -- Begin function _ZN7rocprim17ROCPRIM_400000_NS6detail17trampoline_kernelINS0_14default_configENS1_29reduce_by_key_config_selectorIdlN6thrust23THRUST_200600_302600_NS4plusIlEEEEZZNS1_33reduce_by_key_impl_wrapped_configILNS1_25lookback_scan_determinismE0ES3_S9_PdNS6_17constant_iteratorIiNS6_11use_defaultESE_EENS6_10device_ptrIdEENSG_IlEEPmS8_NS6_8equal_toIdEEEE10hipError_tPvRmT2_T3_mT4_T5_T6_T7_T8_P12ihipStream_tbENKUlT_T0_E_clISt17integral_constantIbLb1EES12_IbLb0EEEEDaSY_SZ_EUlSY_E_NS1_11comp_targetILNS1_3genE2ELNS1_11target_archE906ELNS1_3gpuE6ELNS1_3repE0EEENS1_30default_config_static_selectorELNS0_4arch9wavefront6targetE1EEEvT1_
	.globl	_ZN7rocprim17ROCPRIM_400000_NS6detail17trampoline_kernelINS0_14default_configENS1_29reduce_by_key_config_selectorIdlN6thrust23THRUST_200600_302600_NS4plusIlEEEEZZNS1_33reduce_by_key_impl_wrapped_configILNS1_25lookback_scan_determinismE0ES3_S9_PdNS6_17constant_iteratorIiNS6_11use_defaultESE_EENS6_10device_ptrIdEENSG_IlEEPmS8_NS6_8equal_toIdEEEE10hipError_tPvRmT2_T3_mT4_T5_T6_T7_T8_P12ihipStream_tbENKUlT_T0_E_clISt17integral_constantIbLb1EES12_IbLb0EEEEDaSY_SZ_EUlSY_E_NS1_11comp_targetILNS1_3genE2ELNS1_11target_archE906ELNS1_3gpuE6ELNS1_3repE0EEENS1_30default_config_static_selectorELNS0_4arch9wavefront6targetE1EEEvT1_
	.p2align	8
	.type	_ZN7rocprim17ROCPRIM_400000_NS6detail17trampoline_kernelINS0_14default_configENS1_29reduce_by_key_config_selectorIdlN6thrust23THRUST_200600_302600_NS4plusIlEEEEZZNS1_33reduce_by_key_impl_wrapped_configILNS1_25lookback_scan_determinismE0ES3_S9_PdNS6_17constant_iteratorIiNS6_11use_defaultESE_EENS6_10device_ptrIdEENSG_IlEEPmS8_NS6_8equal_toIdEEEE10hipError_tPvRmT2_T3_mT4_T5_T6_T7_T8_P12ihipStream_tbENKUlT_T0_E_clISt17integral_constantIbLb1EES12_IbLb0EEEEDaSY_SZ_EUlSY_E_NS1_11comp_targetILNS1_3genE2ELNS1_11target_archE906ELNS1_3gpuE6ELNS1_3repE0EEENS1_30default_config_static_selectorELNS0_4arch9wavefront6targetE1EEEvT1_,@function
_ZN7rocprim17ROCPRIM_400000_NS6detail17trampoline_kernelINS0_14default_configENS1_29reduce_by_key_config_selectorIdlN6thrust23THRUST_200600_302600_NS4plusIlEEEEZZNS1_33reduce_by_key_impl_wrapped_configILNS1_25lookback_scan_determinismE0ES3_S9_PdNS6_17constant_iteratorIiNS6_11use_defaultESE_EENS6_10device_ptrIdEENSG_IlEEPmS8_NS6_8equal_toIdEEEE10hipError_tPvRmT2_T3_mT4_T5_T6_T7_T8_P12ihipStream_tbENKUlT_T0_E_clISt17integral_constantIbLb1EES12_IbLb0EEEEDaSY_SZ_EUlSY_E_NS1_11comp_targetILNS1_3genE2ELNS1_11target_archE906ELNS1_3gpuE6ELNS1_3repE0EEENS1_30default_config_static_selectorELNS0_4arch9wavefront6targetE1EEEvT1_: ; @_ZN7rocprim17ROCPRIM_400000_NS6detail17trampoline_kernelINS0_14default_configENS1_29reduce_by_key_config_selectorIdlN6thrust23THRUST_200600_302600_NS4plusIlEEEEZZNS1_33reduce_by_key_impl_wrapped_configILNS1_25lookback_scan_determinismE0ES3_S9_PdNS6_17constant_iteratorIiNS6_11use_defaultESE_EENS6_10device_ptrIdEENSG_IlEEPmS8_NS6_8equal_toIdEEEE10hipError_tPvRmT2_T3_mT4_T5_T6_T7_T8_P12ihipStream_tbENKUlT_T0_E_clISt17integral_constantIbLb1EES12_IbLb0EEEEDaSY_SZ_EUlSY_E_NS1_11comp_targetILNS1_3genE2ELNS1_11target_archE906ELNS1_3gpuE6ELNS1_3repE0EEENS1_30default_config_static_selectorELNS0_4arch9wavefront6targetE1EEEvT1_
; %bb.0:
	.section	.rodata,"a",@progbits
	.p2align	6, 0x0
	.amdhsa_kernel _ZN7rocprim17ROCPRIM_400000_NS6detail17trampoline_kernelINS0_14default_configENS1_29reduce_by_key_config_selectorIdlN6thrust23THRUST_200600_302600_NS4plusIlEEEEZZNS1_33reduce_by_key_impl_wrapped_configILNS1_25lookback_scan_determinismE0ES3_S9_PdNS6_17constant_iteratorIiNS6_11use_defaultESE_EENS6_10device_ptrIdEENSG_IlEEPmS8_NS6_8equal_toIdEEEE10hipError_tPvRmT2_T3_mT4_T5_T6_T7_T8_P12ihipStream_tbENKUlT_T0_E_clISt17integral_constantIbLb1EES12_IbLb0EEEEDaSY_SZ_EUlSY_E_NS1_11comp_targetILNS1_3genE2ELNS1_11target_archE906ELNS1_3gpuE6ELNS1_3repE0EEENS1_30default_config_static_selectorELNS0_4arch9wavefront6targetE1EEEvT1_
		.amdhsa_group_segment_fixed_size 0
		.amdhsa_private_segment_fixed_size 0
		.amdhsa_kernarg_size 144
		.amdhsa_user_sgpr_count 6
		.amdhsa_user_sgpr_private_segment_buffer 1
		.amdhsa_user_sgpr_dispatch_ptr 0
		.amdhsa_user_sgpr_queue_ptr 0
		.amdhsa_user_sgpr_kernarg_segment_ptr 1
		.amdhsa_user_sgpr_dispatch_id 0
		.amdhsa_user_sgpr_flat_scratch_init 0
		.amdhsa_user_sgpr_kernarg_preload_length 0
		.amdhsa_user_sgpr_kernarg_preload_offset 0
		.amdhsa_user_sgpr_private_segment_size 0
		.amdhsa_uses_dynamic_stack 0
		.amdhsa_system_sgpr_private_segment_wavefront_offset 0
		.amdhsa_system_sgpr_workgroup_id_x 1
		.amdhsa_system_sgpr_workgroup_id_y 0
		.amdhsa_system_sgpr_workgroup_id_z 0
		.amdhsa_system_sgpr_workgroup_info 0
		.amdhsa_system_vgpr_workitem_id 0
		.amdhsa_next_free_vgpr 1
		.amdhsa_next_free_sgpr 0
		.amdhsa_accum_offset 4
		.amdhsa_reserve_vcc 0
		.amdhsa_reserve_flat_scratch 0
		.amdhsa_float_round_mode_32 0
		.amdhsa_float_round_mode_16_64 0
		.amdhsa_float_denorm_mode_32 3
		.amdhsa_float_denorm_mode_16_64 3
		.amdhsa_dx10_clamp 1
		.amdhsa_ieee_mode 1
		.amdhsa_fp16_overflow 0
		.amdhsa_tg_split 0
		.amdhsa_exception_fp_ieee_invalid_op 0
		.amdhsa_exception_fp_denorm_src 0
		.amdhsa_exception_fp_ieee_div_zero 0
		.amdhsa_exception_fp_ieee_overflow 0
		.amdhsa_exception_fp_ieee_underflow 0
		.amdhsa_exception_fp_ieee_inexact 0
		.amdhsa_exception_int_div_zero 0
	.end_amdhsa_kernel
	.section	.text._ZN7rocprim17ROCPRIM_400000_NS6detail17trampoline_kernelINS0_14default_configENS1_29reduce_by_key_config_selectorIdlN6thrust23THRUST_200600_302600_NS4plusIlEEEEZZNS1_33reduce_by_key_impl_wrapped_configILNS1_25lookback_scan_determinismE0ES3_S9_PdNS6_17constant_iteratorIiNS6_11use_defaultESE_EENS6_10device_ptrIdEENSG_IlEEPmS8_NS6_8equal_toIdEEEE10hipError_tPvRmT2_T3_mT4_T5_T6_T7_T8_P12ihipStream_tbENKUlT_T0_E_clISt17integral_constantIbLb1EES12_IbLb0EEEEDaSY_SZ_EUlSY_E_NS1_11comp_targetILNS1_3genE2ELNS1_11target_archE906ELNS1_3gpuE6ELNS1_3repE0EEENS1_30default_config_static_selectorELNS0_4arch9wavefront6targetE1EEEvT1_,"axG",@progbits,_ZN7rocprim17ROCPRIM_400000_NS6detail17trampoline_kernelINS0_14default_configENS1_29reduce_by_key_config_selectorIdlN6thrust23THRUST_200600_302600_NS4plusIlEEEEZZNS1_33reduce_by_key_impl_wrapped_configILNS1_25lookback_scan_determinismE0ES3_S9_PdNS6_17constant_iteratorIiNS6_11use_defaultESE_EENS6_10device_ptrIdEENSG_IlEEPmS8_NS6_8equal_toIdEEEE10hipError_tPvRmT2_T3_mT4_T5_T6_T7_T8_P12ihipStream_tbENKUlT_T0_E_clISt17integral_constantIbLb1EES12_IbLb0EEEEDaSY_SZ_EUlSY_E_NS1_11comp_targetILNS1_3genE2ELNS1_11target_archE906ELNS1_3gpuE6ELNS1_3repE0EEENS1_30default_config_static_selectorELNS0_4arch9wavefront6targetE1EEEvT1_,comdat
.Lfunc_end1710:
	.size	_ZN7rocprim17ROCPRIM_400000_NS6detail17trampoline_kernelINS0_14default_configENS1_29reduce_by_key_config_selectorIdlN6thrust23THRUST_200600_302600_NS4plusIlEEEEZZNS1_33reduce_by_key_impl_wrapped_configILNS1_25lookback_scan_determinismE0ES3_S9_PdNS6_17constant_iteratorIiNS6_11use_defaultESE_EENS6_10device_ptrIdEENSG_IlEEPmS8_NS6_8equal_toIdEEEE10hipError_tPvRmT2_T3_mT4_T5_T6_T7_T8_P12ihipStream_tbENKUlT_T0_E_clISt17integral_constantIbLb1EES12_IbLb0EEEEDaSY_SZ_EUlSY_E_NS1_11comp_targetILNS1_3genE2ELNS1_11target_archE906ELNS1_3gpuE6ELNS1_3repE0EEENS1_30default_config_static_selectorELNS0_4arch9wavefront6targetE1EEEvT1_, .Lfunc_end1710-_ZN7rocprim17ROCPRIM_400000_NS6detail17trampoline_kernelINS0_14default_configENS1_29reduce_by_key_config_selectorIdlN6thrust23THRUST_200600_302600_NS4plusIlEEEEZZNS1_33reduce_by_key_impl_wrapped_configILNS1_25lookback_scan_determinismE0ES3_S9_PdNS6_17constant_iteratorIiNS6_11use_defaultESE_EENS6_10device_ptrIdEENSG_IlEEPmS8_NS6_8equal_toIdEEEE10hipError_tPvRmT2_T3_mT4_T5_T6_T7_T8_P12ihipStream_tbENKUlT_T0_E_clISt17integral_constantIbLb1EES12_IbLb0EEEEDaSY_SZ_EUlSY_E_NS1_11comp_targetILNS1_3genE2ELNS1_11target_archE906ELNS1_3gpuE6ELNS1_3repE0EEENS1_30default_config_static_selectorELNS0_4arch9wavefront6targetE1EEEvT1_
                                        ; -- End function
	.section	.AMDGPU.csdata,"",@progbits
; Kernel info:
; codeLenInByte = 0
; NumSgprs: 4
; NumVgprs: 0
; NumAgprs: 0
; TotalNumVgprs: 0
; ScratchSize: 0
; MemoryBound: 0
; FloatMode: 240
; IeeeMode: 1
; LDSByteSize: 0 bytes/workgroup (compile time only)
; SGPRBlocks: 0
; VGPRBlocks: 0
; NumSGPRsForWavesPerEU: 4
; NumVGPRsForWavesPerEU: 1
; AccumOffset: 4
; Occupancy: 8
; WaveLimiterHint : 0
; COMPUTE_PGM_RSRC2:SCRATCH_EN: 0
; COMPUTE_PGM_RSRC2:USER_SGPR: 6
; COMPUTE_PGM_RSRC2:TRAP_HANDLER: 0
; COMPUTE_PGM_RSRC2:TGID_X_EN: 1
; COMPUTE_PGM_RSRC2:TGID_Y_EN: 0
; COMPUTE_PGM_RSRC2:TGID_Z_EN: 0
; COMPUTE_PGM_RSRC2:TIDIG_COMP_CNT: 0
; COMPUTE_PGM_RSRC3_GFX90A:ACCUM_OFFSET: 0
; COMPUTE_PGM_RSRC3_GFX90A:TG_SPLIT: 0
	.section	.text._ZN7rocprim17ROCPRIM_400000_NS6detail17trampoline_kernelINS0_14default_configENS1_29reduce_by_key_config_selectorIdlN6thrust23THRUST_200600_302600_NS4plusIlEEEEZZNS1_33reduce_by_key_impl_wrapped_configILNS1_25lookback_scan_determinismE0ES3_S9_PdNS6_17constant_iteratorIiNS6_11use_defaultESE_EENS6_10device_ptrIdEENSG_IlEEPmS8_NS6_8equal_toIdEEEE10hipError_tPvRmT2_T3_mT4_T5_T6_T7_T8_P12ihipStream_tbENKUlT_T0_E_clISt17integral_constantIbLb1EES12_IbLb0EEEEDaSY_SZ_EUlSY_E_NS1_11comp_targetILNS1_3genE10ELNS1_11target_archE1201ELNS1_3gpuE5ELNS1_3repE0EEENS1_30default_config_static_selectorELNS0_4arch9wavefront6targetE1EEEvT1_,"axG",@progbits,_ZN7rocprim17ROCPRIM_400000_NS6detail17trampoline_kernelINS0_14default_configENS1_29reduce_by_key_config_selectorIdlN6thrust23THRUST_200600_302600_NS4plusIlEEEEZZNS1_33reduce_by_key_impl_wrapped_configILNS1_25lookback_scan_determinismE0ES3_S9_PdNS6_17constant_iteratorIiNS6_11use_defaultESE_EENS6_10device_ptrIdEENSG_IlEEPmS8_NS6_8equal_toIdEEEE10hipError_tPvRmT2_T3_mT4_T5_T6_T7_T8_P12ihipStream_tbENKUlT_T0_E_clISt17integral_constantIbLb1EES12_IbLb0EEEEDaSY_SZ_EUlSY_E_NS1_11comp_targetILNS1_3genE10ELNS1_11target_archE1201ELNS1_3gpuE5ELNS1_3repE0EEENS1_30default_config_static_selectorELNS0_4arch9wavefront6targetE1EEEvT1_,comdat
	.protected	_ZN7rocprim17ROCPRIM_400000_NS6detail17trampoline_kernelINS0_14default_configENS1_29reduce_by_key_config_selectorIdlN6thrust23THRUST_200600_302600_NS4plusIlEEEEZZNS1_33reduce_by_key_impl_wrapped_configILNS1_25lookback_scan_determinismE0ES3_S9_PdNS6_17constant_iteratorIiNS6_11use_defaultESE_EENS6_10device_ptrIdEENSG_IlEEPmS8_NS6_8equal_toIdEEEE10hipError_tPvRmT2_T3_mT4_T5_T6_T7_T8_P12ihipStream_tbENKUlT_T0_E_clISt17integral_constantIbLb1EES12_IbLb0EEEEDaSY_SZ_EUlSY_E_NS1_11comp_targetILNS1_3genE10ELNS1_11target_archE1201ELNS1_3gpuE5ELNS1_3repE0EEENS1_30default_config_static_selectorELNS0_4arch9wavefront6targetE1EEEvT1_ ; -- Begin function _ZN7rocprim17ROCPRIM_400000_NS6detail17trampoline_kernelINS0_14default_configENS1_29reduce_by_key_config_selectorIdlN6thrust23THRUST_200600_302600_NS4plusIlEEEEZZNS1_33reduce_by_key_impl_wrapped_configILNS1_25lookback_scan_determinismE0ES3_S9_PdNS6_17constant_iteratorIiNS6_11use_defaultESE_EENS6_10device_ptrIdEENSG_IlEEPmS8_NS6_8equal_toIdEEEE10hipError_tPvRmT2_T3_mT4_T5_T6_T7_T8_P12ihipStream_tbENKUlT_T0_E_clISt17integral_constantIbLb1EES12_IbLb0EEEEDaSY_SZ_EUlSY_E_NS1_11comp_targetILNS1_3genE10ELNS1_11target_archE1201ELNS1_3gpuE5ELNS1_3repE0EEENS1_30default_config_static_selectorELNS0_4arch9wavefront6targetE1EEEvT1_
	.globl	_ZN7rocprim17ROCPRIM_400000_NS6detail17trampoline_kernelINS0_14default_configENS1_29reduce_by_key_config_selectorIdlN6thrust23THRUST_200600_302600_NS4plusIlEEEEZZNS1_33reduce_by_key_impl_wrapped_configILNS1_25lookback_scan_determinismE0ES3_S9_PdNS6_17constant_iteratorIiNS6_11use_defaultESE_EENS6_10device_ptrIdEENSG_IlEEPmS8_NS6_8equal_toIdEEEE10hipError_tPvRmT2_T3_mT4_T5_T6_T7_T8_P12ihipStream_tbENKUlT_T0_E_clISt17integral_constantIbLb1EES12_IbLb0EEEEDaSY_SZ_EUlSY_E_NS1_11comp_targetILNS1_3genE10ELNS1_11target_archE1201ELNS1_3gpuE5ELNS1_3repE0EEENS1_30default_config_static_selectorELNS0_4arch9wavefront6targetE1EEEvT1_
	.p2align	8
	.type	_ZN7rocprim17ROCPRIM_400000_NS6detail17trampoline_kernelINS0_14default_configENS1_29reduce_by_key_config_selectorIdlN6thrust23THRUST_200600_302600_NS4plusIlEEEEZZNS1_33reduce_by_key_impl_wrapped_configILNS1_25lookback_scan_determinismE0ES3_S9_PdNS6_17constant_iteratorIiNS6_11use_defaultESE_EENS6_10device_ptrIdEENSG_IlEEPmS8_NS6_8equal_toIdEEEE10hipError_tPvRmT2_T3_mT4_T5_T6_T7_T8_P12ihipStream_tbENKUlT_T0_E_clISt17integral_constantIbLb1EES12_IbLb0EEEEDaSY_SZ_EUlSY_E_NS1_11comp_targetILNS1_3genE10ELNS1_11target_archE1201ELNS1_3gpuE5ELNS1_3repE0EEENS1_30default_config_static_selectorELNS0_4arch9wavefront6targetE1EEEvT1_,@function
_ZN7rocprim17ROCPRIM_400000_NS6detail17trampoline_kernelINS0_14default_configENS1_29reduce_by_key_config_selectorIdlN6thrust23THRUST_200600_302600_NS4plusIlEEEEZZNS1_33reduce_by_key_impl_wrapped_configILNS1_25lookback_scan_determinismE0ES3_S9_PdNS6_17constant_iteratorIiNS6_11use_defaultESE_EENS6_10device_ptrIdEENSG_IlEEPmS8_NS6_8equal_toIdEEEE10hipError_tPvRmT2_T3_mT4_T5_T6_T7_T8_P12ihipStream_tbENKUlT_T0_E_clISt17integral_constantIbLb1EES12_IbLb0EEEEDaSY_SZ_EUlSY_E_NS1_11comp_targetILNS1_3genE10ELNS1_11target_archE1201ELNS1_3gpuE5ELNS1_3repE0EEENS1_30default_config_static_selectorELNS0_4arch9wavefront6targetE1EEEvT1_: ; @_ZN7rocprim17ROCPRIM_400000_NS6detail17trampoline_kernelINS0_14default_configENS1_29reduce_by_key_config_selectorIdlN6thrust23THRUST_200600_302600_NS4plusIlEEEEZZNS1_33reduce_by_key_impl_wrapped_configILNS1_25lookback_scan_determinismE0ES3_S9_PdNS6_17constant_iteratorIiNS6_11use_defaultESE_EENS6_10device_ptrIdEENSG_IlEEPmS8_NS6_8equal_toIdEEEE10hipError_tPvRmT2_T3_mT4_T5_T6_T7_T8_P12ihipStream_tbENKUlT_T0_E_clISt17integral_constantIbLb1EES12_IbLb0EEEEDaSY_SZ_EUlSY_E_NS1_11comp_targetILNS1_3genE10ELNS1_11target_archE1201ELNS1_3gpuE5ELNS1_3repE0EEENS1_30default_config_static_selectorELNS0_4arch9wavefront6targetE1EEEvT1_
; %bb.0:
	.section	.rodata,"a",@progbits
	.p2align	6, 0x0
	.amdhsa_kernel _ZN7rocprim17ROCPRIM_400000_NS6detail17trampoline_kernelINS0_14default_configENS1_29reduce_by_key_config_selectorIdlN6thrust23THRUST_200600_302600_NS4plusIlEEEEZZNS1_33reduce_by_key_impl_wrapped_configILNS1_25lookback_scan_determinismE0ES3_S9_PdNS6_17constant_iteratorIiNS6_11use_defaultESE_EENS6_10device_ptrIdEENSG_IlEEPmS8_NS6_8equal_toIdEEEE10hipError_tPvRmT2_T3_mT4_T5_T6_T7_T8_P12ihipStream_tbENKUlT_T0_E_clISt17integral_constantIbLb1EES12_IbLb0EEEEDaSY_SZ_EUlSY_E_NS1_11comp_targetILNS1_3genE10ELNS1_11target_archE1201ELNS1_3gpuE5ELNS1_3repE0EEENS1_30default_config_static_selectorELNS0_4arch9wavefront6targetE1EEEvT1_
		.amdhsa_group_segment_fixed_size 0
		.amdhsa_private_segment_fixed_size 0
		.amdhsa_kernarg_size 144
		.amdhsa_user_sgpr_count 6
		.amdhsa_user_sgpr_private_segment_buffer 1
		.amdhsa_user_sgpr_dispatch_ptr 0
		.amdhsa_user_sgpr_queue_ptr 0
		.amdhsa_user_sgpr_kernarg_segment_ptr 1
		.amdhsa_user_sgpr_dispatch_id 0
		.amdhsa_user_sgpr_flat_scratch_init 0
		.amdhsa_user_sgpr_kernarg_preload_length 0
		.amdhsa_user_sgpr_kernarg_preload_offset 0
		.amdhsa_user_sgpr_private_segment_size 0
		.amdhsa_uses_dynamic_stack 0
		.amdhsa_system_sgpr_private_segment_wavefront_offset 0
		.amdhsa_system_sgpr_workgroup_id_x 1
		.amdhsa_system_sgpr_workgroup_id_y 0
		.amdhsa_system_sgpr_workgroup_id_z 0
		.amdhsa_system_sgpr_workgroup_info 0
		.amdhsa_system_vgpr_workitem_id 0
		.amdhsa_next_free_vgpr 1
		.amdhsa_next_free_sgpr 0
		.amdhsa_accum_offset 4
		.amdhsa_reserve_vcc 0
		.amdhsa_reserve_flat_scratch 0
		.amdhsa_float_round_mode_32 0
		.amdhsa_float_round_mode_16_64 0
		.amdhsa_float_denorm_mode_32 3
		.amdhsa_float_denorm_mode_16_64 3
		.amdhsa_dx10_clamp 1
		.amdhsa_ieee_mode 1
		.amdhsa_fp16_overflow 0
		.amdhsa_tg_split 0
		.amdhsa_exception_fp_ieee_invalid_op 0
		.amdhsa_exception_fp_denorm_src 0
		.amdhsa_exception_fp_ieee_div_zero 0
		.amdhsa_exception_fp_ieee_overflow 0
		.amdhsa_exception_fp_ieee_underflow 0
		.amdhsa_exception_fp_ieee_inexact 0
		.amdhsa_exception_int_div_zero 0
	.end_amdhsa_kernel
	.section	.text._ZN7rocprim17ROCPRIM_400000_NS6detail17trampoline_kernelINS0_14default_configENS1_29reduce_by_key_config_selectorIdlN6thrust23THRUST_200600_302600_NS4plusIlEEEEZZNS1_33reduce_by_key_impl_wrapped_configILNS1_25lookback_scan_determinismE0ES3_S9_PdNS6_17constant_iteratorIiNS6_11use_defaultESE_EENS6_10device_ptrIdEENSG_IlEEPmS8_NS6_8equal_toIdEEEE10hipError_tPvRmT2_T3_mT4_T5_T6_T7_T8_P12ihipStream_tbENKUlT_T0_E_clISt17integral_constantIbLb1EES12_IbLb0EEEEDaSY_SZ_EUlSY_E_NS1_11comp_targetILNS1_3genE10ELNS1_11target_archE1201ELNS1_3gpuE5ELNS1_3repE0EEENS1_30default_config_static_selectorELNS0_4arch9wavefront6targetE1EEEvT1_,"axG",@progbits,_ZN7rocprim17ROCPRIM_400000_NS6detail17trampoline_kernelINS0_14default_configENS1_29reduce_by_key_config_selectorIdlN6thrust23THRUST_200600_302600_NS4plusIlEEEEZZNS1_33reduce_by_key_impl_wrapped_configILNS1_25lookback_scan_determinismE0ES3_S9_PdNS6_17constant_iteratorIiNS6_11use_defaultESE_EENS6_10device_ptrIdEENSG_IlEEPmS8_NS6_8equal_toIdEEEE10hipError_tPvRmT2_T3_mT4_T5_T6_T7_T8_P12ihipStream_tbENKUlT_T0_E_clISt17integral_constantIbLb1EES12_IbLb0EEEEDaSY_SZ_EUlSY_E_NS1_11comp_targetILNS1_3genE10ELNS1_11target_archE1201ELNS1_3gpuE5ELNS1_3repE0EEENS1_30default_config_static_selectorELNS0_4arch9wavefront6targetE1EEEvT1_,comdat
.Lfunc_end1711:
	.size	_ZN7rocprim17ROCPRIM_400000_NS6detail17trampoline_kernelINS0_14default_configENS1_29reduce_by_key_config_selectorIdlN6thrust23THRUST_200600_302600_NS4plusIlEEEEZZNS1_33reduce_by_key_impl_wrapped_configILNS1_25lookback_scan_determinismE0ES3_S9_PdNS6_17constant_iteratorIiNS6_11use_defaultESE_EENS6_10device_ptrIdEENSG_IlEEPmS8_NS6_8equal_toIdEEEE10hipError_tPvRmT2_T3_mT4_T5_T6_T7_T8_P12ihipStream_tbENKUlT_T0_E_clISt17integral_constantIbLb1EES12_IbLb0EEEEDaSY_SZ_EUlSY_E_NS1_11comp_targetILNS1_3genE10ELNS1_11target_archE1201ELNS1_3gpuE5ELNS1_3repE0EEENS1_30default_config_static_selectorELNS0_4arch9wavefront6targetE1EEEvT1_, .Lfunc_end1711-_ZN7rocprim17ROCPRIM_400000_NS6detail17trampoline_kernelINS0_14default_configENS1_29reduce_by_key_config_selectorIdlN6thrust23THRUST_200600_302600_NS4plusIlEEEEZZNS1_33reduce_by_key_impl_wrapped_configILNS1_25lookback_scan_determinismE0ES3_S9_PdNS6_17constant_iteratorIiNS6_11use_defaultESE_EENS6_10device_ptrIdEENSG_IlEEPmS8_NS6_8equal_toIdEEEE10hipError_tPvRmT2_T3_mT4_T5_T6_T7_T8_P12ihipStream_tbENKUlT_T0_E_clISt17integral_constantIbLb1EES12_IbLb0EEEEDaSY_SZ_EUlSY_E_NS1_11comp_targetILNS1_3genE10ELNS1_11target_archE1201ELNS1_3gpuE5ELNS1_3repE0EEENS1_30default_config_static_selectorELNS0_4arch9wavefront6targetE1EEEvT1_
                                        ; -- End function
	.section	.AMDGPU.csdata,"",@progbits
; Kernel info:
; codeLenInByte = 0
; NumSgprs: 4
; NumVgprs: 0
; NumAgprs: 0
; TotalNumVgprs: 0
; ScratchSize: 0
; MemoryBound: 0
; FloatMode: 240
; IeeeMode: 1
; LDSByteSize: 0 bytes/workgroup (compile time only)
; SGPRBlocks: 0
; VGPRBlocks: 0
; NumSGPRsForWavesPerEU: 4
; NumVGPRsForWavesPerEU: 1
; AccumOffset: 4
; Occupancy: 8
; WaveLimiterHint : 0
; COMPUTE_PGM_RSRC2:SCRATCH_EN: 0
; COMPUTE_PGM_RSRC2:USER_SGPR: 6
; COMPUTE_PGM_RSRC2:TRAP_HANDLER: 0
; COMPUTE_PGM_RSRC2:TGID_X_EN: 1
; COMPUTE_PGM_RSRC2:TGID_Y_EN: 0
; COMPUTE_PGM_RSRC2:TGID_Z_EN: 0
; COMPUTE_PGM_RSRC2:TIDIG_COMP_CNT: 0
; COMPUTE_PGM_RSRC3_GFX90A:ACCUM_OFFSET: 0
; COMPUTE_PGM_RSRC3_GFX90A:TG_SPLIT: 0
	.section	.text._ZN7rocprim17ROCPRIM_400000_NS6detail17trampoline_kernelINS0_14default_configENS1_29reduce_by_key_config_selectorIdlN6thrust23THRUST_200600_302600_NS4plusIlEEEEZZNS1_33reduce_by_key_impl_wrapped_configILNS1_25lookback_scan_determinismE0ES3_S9_PdNS6_17constant_iteratorIiNS6_11use_defaultESE_EENS6_10device_ptrIdEENSG_IlEEPmS8_NS6_8equal_toIdEEEE10hipError_tPvRmT2_T3_mT4_T5_T6_T7_T8_P12ihipStream_tbENKUlT_T0_E_clISt17integral_constantIbLb1EES12_IbLb0EEEEDaSY_SZ_EUlSY_E_NS1_11comp_targetILNS1_3genE10ELNS1_11target_archE1200ELNS1_3gpuE4ELNS1_3repE0EEENS1_30default_config_static_selectorELNS0_4arch9wavefront6targetE1EEEvT1_,"axG",@progbits,_ZN7rocprim17ROCPRIM_400000_NS6detail17trampoline_kernelINS0_14default_configENS1_29reduce_by_key_config_selectorIdlN6thrust23THRUST_200600_302600_NS4plusIlEEEEZZNS1_33reduce_by_key_impl_wrapped_configILNS1_25lookback_scan_determinismE0ES3_S9_PdNS6_17constant_iteratorIiNS6_11use_defaultESE_EENS6_10device_ptrIdEENSG_IlEEPmS8_NS6_8equal_toIdEEEE10hipError_tPvRmT2_T3_mT4_T5_T6_T7_T8_P12ihipStream_tbENKUlT_T0_E_clISt17integral_constantIbLb1EES12_IbLb0EEEEDaSY_SZ_EUlSY_E_NS1_11comp_targetILNS1_3genE10ELNS1_11target_archE1200ELNS1_3gpuE4ELNS1_3repE0EEENS1_30default_config_static_selectorELNS0_4arch9wavefront6targetE1EEEvT1_,comdat
	.protected	_ZN7rocprim17ROCPRIM_400000_NS6detail17trampoline_kernelINS0_14default_configENS1_29reduce_by_key_config_selectorIdlN6thrust23THRUST_200600_302600_NS4plusIlEEEEZZNS1_33reduce_by_key_impl_wrapped_configILNS1_25lookback_scan_determinismE0ES3_S9_PdNS6_17constant_iteratorIiNS6_11use_defaultESE_EENS6_10device_ptrIdEENSG_IlEEPmS8_NS6_8equal_toIdEEEE10hipError_tPvRmT2_T3_mT4_T5_T6_T7_T8_P12ihipStream_tbENKUlT_T0_E_clISt17integral_constantIbLb1EES12_IbLb0EEEEDaSY_SZ_EUlSY_E_NS1_11comp_targetILNS1_3genE10ELNS1_11target_archE1200ELNS1_3gpuE4ELNS1_3repE0EEENS1_30default_config_static_selectorELNS0_4arch9wavefront6targetE1EEEvT1_ ; -- Begin function _ZN7rocprim17ROCPRIM_400000_NS6detail17trampoline_kernelINS0_14default_configENS1_29reduce_by_key_config_selectorIdlN6thrust23THRUST_200600_302600_NS4plusIlEEEEZZNS1_33reduce_by_key_impl_wrapped_configILNS1_25lookback_scan_determinismE0ES3_S9_PdNS6_17constant_iteratorIiNS6_11use_defaultESE_EENS6_10device_ptrIdEENSG_IlEEPmS8_NS6_8equal_toIdEEEE10hipError_tPvRmT2_T3_mT4_T5_T6_T7_T8_P12ihipStream_tbENKUlT_T0_E_clISt17integral_constantIbLb1EES12_IbLb0EEEEDaSY_SZ_EUlSY_E_NS1_11comp_targetILNS1_3genE10ELNS1_11target_archE1200ELNS1_3gpuE4ELNS1_3repE0EEENS1_30default_config_static_selectorELNS0_4arch9wavefront6targetE1EEEvT1_
	.globl	_ZN7rocprim17ROCPRIM_400000_NS6detail17trampoline_kernelINS0_14default_configENS1_29reduce_by_key_config_selectorIdlN6thrust23THRUST_200600_302600_NS4plusIlEEEEZZNS1_33reduce_by_key_impl_wrapped_configILNS1_25lookback_scan_determinismE0ES3_S9_PdNS6_17constant_iteratorIiNS6_11use_defaultESE_EENS6_10device_ptrIdEENSG_IlEEPmS8_NS6_8equal_toIdEEEE10hipError_tPvRmT2_T3_mT4_T5_T6_T7_T8_P12ihipStream_tbENKUlT_T0_E_clISt17integral_constantIbLb1EES12_IbLb0EEEEDaSY_SZ_EUlSY_E_NS1_11comp_targetILNS1_3genE10ELNS1_11target_archE1200ELNS1_3gpuE4ELNS1_3repE0EEENS1_30default_config_static_selectorELNS0_4arch9wavefront6targetE1EEEvT1_
	.p2align	8
	.type	_ZN7rocprim17ROCPRIM_400000_NS6detail17trampoline_kernelINS0_14default_configENS1_29reduce_by_key_config_selectorIdlN6thrust23THRUST_200600_302600_NS4plusIlEEEEZZNS1_33reduce_by_key_impl_wrapped_configILNS1_25lookback_scan_determinismE0ES3_S9_PdNS6_17constant_iteratorIiNS6_11use_defaultESE_EENS6_10device_ptrIdEENSG_IlEEPmS8_NS6_8equal_toIdEEEE10hipError_tPvRmT2_T3_mT4_T5_T6_T7_T8_P12ihipStream_tbENKUlT_T0_E_clISt17integral_constantIbLb1EES12_IbLb0EEEEDaSY_SZ_EUlSY_E_NS1_11comp_targetILNS1_3genE10ELNS1_11target_archE1200ELNS1_3gpuE4ELNS1_3repE0EEENS1_30default_config_static_selectorELNS0_4arch9wavefront6targetE1EEEvT1_,@function
_ZN7rocprim17ROCPRIM_400000_NS6detail17trampoline_kernelINS0_14default_configENS1_29reduce_by_key_config_selectorIdlN6thrust23THRUST_200600_302600_NS4plusIlEEEEZZNS1_33reduce_by_key_impl_wrapped_configILNS1_25lookback_scan_determinismE0ES3_S9_PdNS6_17constant_iteratorIiNS6_11use_defaultESE_EENS6_10device_ptrIdEENSG_IlEEPmS8_NS6_8equal_toIdEEEE10hipError_tPvRmT2_T3_mT4_T5_T6_T7_T8_P12ihipStream_tbENKUlT_T0_E_clISt17integral_constantIbLb1EES12_IbLb0EEEEDaSY_SZ_EUlSY_E_NS1_11comp_targetILNS1_3genE10ELNS1_11target_archE1200ELNS1_3gpuE4ELNS1_3repE0EEENS1_30default_config_static_selectorELNS0_4arch9wavefront6targetE1EEEvT1_: ; @_ZN7rocprim17ROCPRIM_400000_NS6detail17trampoline_kernelINS0_14default_configENS1_29reduce_by_key_config_selectorIdlN6thrust23THRUST_200600_302600_NS4plusIlEEEEZZNS1_33reduce_by_key_impl_wrapped_configILNS1_25lookback_scan_determinismE0ES3_S9_PdNS6_17constant_iteratorIiNS6_11use_defaultESE_EENS6_10device_ptrIdEENSG_IlEEPmS8_NS6_8equal_toIdEEEE10hipError_tPvRmT2_T3_mT4_T5_T6_T7_T8_P12ihipStream_tbENKUlT_T0_E_clISt17integral_constantIbLb1EES12_IbLb0EEEEDaSY_SZ_EUlSY_E_NS1_11comp_targetILNS1_3genE10ELNS1_11target_archE1200ELNS1_3gpuE4ELNS1_3repE0EEENS1_30default_config_static_selectorELNS0_4arch9wavefront6targetE1EEEvT1_
; %bb.0:
	.section	.rodata,"a",@progbits
	.p2align	6, 0x0
	.amdhsa_kernel _ZN7rocprim17ROCPRIM_400000_NS6detail17trampoline_kernelINS0_14default_configENS1_29reduce_by_key_config_selectorIdlN6thrust23THRUST_200600_302600_NS4plusIlEEEEZZNS1_33reduce_by_key_impl_wrapped_configILNS1_25lookback_scan_determinismE0ES3_S9_PdNS6_17constant_iteratorIiNS6_11use_defaultESE_EENS6_10device_ptrIdEENSG_IlEEPmS8_NS6_8equal_toIdEEEE10hipError_tPvRmT2_T3_mT4_T5_T6_T7_T8_P12ihipStream_tbENKUlT_T0_E_clISt17integral_constantIbLb1EES12_IbLb0EEEEDaSY_SZ_EUlSY_E_NS1_11comp_targetILNS1_3genE10ELNS1_11target_archE1200ELNS1_3gpuE4ELNS1_3repE0EEENS1_30default_config_static_selectorELNS0_4arch9wavefront6targetE1EEEvT1_
		.amdhsa_group_segment_fixed_size 0
		.amdhsa_private_segment_fixed_size 0
		.amdhsa_kernarg_size 144
		.amdhsa_user_sgpr_count 6
		.amdhsa_user_sgpr_private_segment_buffer 1
		.amdhsa_user_sgpr_dispatch_ptr 0
		.amdhsa_user_sgpr_queue_ptr 0
		.amdhsa_user_sgpr_kernarg_segment_ptr 1
		.amdhsa_user_sgpr_dispatch_id 0
		.amdhsa_user_sgpr_flat_scratch_init 0
		.amdhsa_user_sgpr_kernarg_preload_length 0
		.amdhsa_user_sgpr_kernarg_preload_offset 0
		.amdhsa_user_sgpr_private_segment_size 0
		.amdhsa_uses_dynamic_stack 0
		.amdhsa_system_sgpr_private_segment_wavefront_offset 0
		.amdhsa_system_sgpr_workgroup_id_x 1
		.amdhsa_system_sgpr_workgroup_id_y 0
		.amdhsa_system_sgpr_workgroup_id_z 0
		.amdhsa_system_sgpr_workgroup_info 0
		.amdhsa_system_vgpr_workitem_id 0
		.amdhsa_next_free_vgpr 1
		.amdhsa_next_free_sgpr 0
		.amdhsa_accum_offset 4
		.amdhsa_reserve_vcc 0
		.amdhsa_reserve_flat_scratch 0
		.amdhsa_float_round_mode_32 0
		.amdhsa_float_round_mode_16_64 0
		.amdhsa_float_denorm_mode_32 3
		.amdhsa_float_denorm_mode_16_64 3
		.amdhsa_dx10_clamp 1
		.amdhsa_ieee_mode 1
		.amdhsa_fp16_overflow 0
		.amdhsa_tg_split 0
		.amdhsa_exception_fp_ieee_invalid_op 0
		.amdhsa_exception_fp_denorm_src 0
		.amdhsa_exception_fp_ieee_div_zero 0
		.amdhsa_exception_fp_ieee_overflow 0
		.amdhsa_exception_fp_ieee_underflow 0
		.amdhsa_exception_fp_ieee_inexact 0
		.amdhsa_exception_int_div_zero 0
	.end_amdhsa_kernel
	.section	.text._ZN7rocprim17ROCPRIM_400000_NS6detail17trampoline_kernelINS0_14default_configENS1_29reduce_by_key_config_selectorIdlN6thrust23THRUST_200600_302600_NS4plusIlEEEEZZNS1_33reduce_by_key_impl_wrapped_configILNS1_25lookback_scan_determinismE0ES3_S9_PdNS6_17constant_iteratorIiNS6_11use_defaultESE_EENS6_10device_ptrIdEENSG_IlEEPmS8_NS6_8equal_toIdEEEE10hipError_tPvRmT2_T3_mT4_T5_T6_T7_T8_P12ihipStream_tbENKUlT_T0_E_clISt17integral_constantIbLb1EES12_IbLb0EEEEDaSY_SZ_EUlSY_E_NS1_11comp_targetILNS1_3genE10ELNS1_11target_archE1200ELNS1_3gpuE4ELNS1_3repE0EEENS1_30default_config_static_selectorELNS0_4arch9wavefront6targetE1EEEvT1_,"axG",@progbits,_ZN7rocprim17ROCPRIM_400000_NS6detail17trampoline_kernelINS0_14default_configENS1_29reduce_by_key_config_selectorIdlN6thrust23THRUST_200600_302600_NS4plusIlEEEEZZNS1_33reduce_by_key_impl_wrapped_configILNS1_25lookback_scan_determinismE0ES3_S9_PdNS6_17constant_iteratorIiNS6_11use_defaultESE_EENS6_10device_ptrIdEENSG_IlEEPmS8_NS6_8equal_toIdEEEE10hipError_tPvRmT2_T3_mT4_T5_T6_T7_T8_P12ihipStream_tbENKUlT_T0_E_clISt17integral_constantIbLb1EES12_IbLb0EEEEDaSY_SZ_EUlSY_E_NS1_11comp_targetILNS1_3genE10ELNS1_11target_archE1200ELNS1_3gpuE4ELNS1_3repE0EEENS1_30default_config_static_selectorELNS0_4arch9wavefront6targetE1EEEvT1_,comdat
.Lfunc_end1712:
	.size	_ZN7rocprim17ROCPRIM_400000_NS6detail17trampoline_kernelINS0_14default_configENS1_29reduce_by_key_config_selectorIdlN6thrust23THRUST_200600_302600_NS4plusIlEEEEZZNS1_33reduce_by_key_impl_wrapped_configILNS1_25lookback_scan_determinismE0ES3_S9_PdNS6_17constant_iteratorIiNS6_11use_defaultESE_EENS6_10device_ptrIdEENSG_IlEEPmS8_NS6_8equal_toIdEEEE10hipError_tPvRmT2_T3_mT4_T5_T6_T7_T8_P12ihipStream_tbENKUlT_T0_E_clISt17integral_constantIbLb1EES12_IbLb0EEEEDaSY_SZ_EUlSY_E_NS1_11comp_targetILNS1_3genE10ELNS1_11target_archE1200ELNS1_3gpuE4ELNS1_3repE0EEENS1_30default_config_static_selectorELNS0_4arch9wavefront6targetE1EEEvT1_, .Lfunc_end1712-_ZN7rocprim17ROCPRIM_400000_NS6detail17trampoline_kernelINS0_14default_configENS1_29reduce_by_key_config_selectorIdlN6thrust23THRUST_200600_302600_NS4plusIlEEEEZZNS1_33reduce_by_key_impl_wrapped_configILNS1_25lookback_scan_determinismE0ES3_S9_PdNS6_17constant_iteratorIiNS6_11use_defaultESE_EENS6_10device_ptrIdEENSG_IlEEPmS8_NS6_8equal_toIdEEEE10hipError_tPvRmT2_T3_mT4_T5_T6_T7_T8_P12ihipStream_tbENKUlT_T0_E_clISt17integral_constantIbLb1EES12_IbLb0EEEEDaSY_SZ_EUlSY_E_NS1_11comp_targetILNS1_3genE10ELNS1_11target_archE1200ELNS1_3gpuE4ELNS1_3repE0EEENS1_30default_config_static_selectorELNS0_4arch9wavefront6targetE1EEEvT1_
                                        ; -- End function
	.section	.AMDGPU.csdata,"",@progbits
; Kernel info:
; codeLenInByte = 0
; NumSgprs: 4
; NumVgprs: 0
; NumAgprs: 0
; TotalNumVgprs: 0
; ScratchSize: 0
; MemoryBound: 0
; FloatMode: 240
; IeeeMode: 1
; LDSByteSize: 0 bytes/workgroup (compile time only)
; SGPRBlocks: 0
; VGPRBlocks: 0
; NumSGPRsForWavesPerEU: 4
; NumVGPRsForWavesPerEU: 1
; AccumOffset: 4
; Occupancy: 8
; WaveLimiterHint : 0
; COMPUTE_PGM_RSRC2:SCRATCH_EN: 0
; COMPUTE_PGM_RSRC2:USER_SGPR: 6
; COMPUTE_PGM_RSRC2:TRAP_HANDLER: 0
; COMPUTE_PGM_RSRC2:TGID_X_EN: 1
; COMPUTE_PGM_RSRC2:TGID_Y_EN: 0
; COMPUTE_PGM_RSRC2:TGID_Z_EN: 0
; COMPUTE_PGM_RSRC2:TIDIG_COMP_CNT: 0
; COMPUTE_PGM_RSRC3_GFX90A:ACCUM_OFFSET: 0
; COMPUTE_PGM_RSRC3_GFX90A:TG_SPLIT: 0
	.section	.text._ZN7rocprim17ROCPRIM_400000_NS6detail17trampoline_kernelINS0_14default_configENS1_29reduce_by_key_config_selectorIdlN6thrust23THRUST_200600_302600_NS4plusIlEEEEZZNS1_33reduce_by_key_impl_wrapped_configILNS1_25lookback_scan_determinismE0ES3_S9_PdNS6_17constant_iteratorIiNS6_11use_defaultESE_EENS6_10device_ptrIdEENSG_IlEEPmS8_NS6_8equal_toIdEEEE10hipError_tPvRmT2_T3_mT4_T5_T6_T7_T8_P12ihipStream_tbENKUlT_T0_E_clISt17integral_constantIbLb1EES12_IbLb0EEEEDaSY_SZ_EUlSY_E_NS1_11comp_targetILNS1_3genE9ELNS1_11target_archE1100ELNS1_3gpuE3ELNS1_3repE0EEENS1_30default_config_static_selectorELNS0_4arch9wavefront6targetE1EEEvT1_,"axG",@progbits,_ZN7rocprim17ROCPRIM_400000_NS6detail17trampoline_kernelINS0_14default_configENS1_29reduce_by_key_config_selectorIdlN6thrust23THRUST_200600_302600_NS4plusIlEEEEZZNS1_33reduce_by_key_impl_wrapped_configILNS1_25lookback_scan_determinismE0ES3_S9_PdNS6_17constant_iteratorIiNS6_11use_defaultESE_EENS6_10device_ptrIdEENSG_IlEEPmS8_NS6_8equal_toIdEEEE10hipError_tPvRmT2_T3_mT4_T5_T6_T7_T8_P12ihipStream_tbENKUlT_T0_E_clISt17integral_constantIbLb1EES12_IbLb0EEEEDaSY_SZ_EUlSY_E_NS1_11comp_targetILNS1_3genE9ELNS1_11target_archE1100ELNS1_3gpuE3ELNS1_3repE0EEENS1_30default_config_static_selectorELNS0_4arch9wavefront6targetE1EEEvT1_,comdat
	.protected	_ZN7rocprim17ROCPRIM_400000_NS6detail17trampoline_kernelINS0_14default_configENS1_29reduce_by_key_config_selectorIdlN6thrust23THRUST_200600_302600_NS4plusIlEEEEZZNS1_33reduce_by_key_impl_wrapped_configILNS1_25lookback_scan_determinismE0ES3_S9_PdNS6_17constant_iteratorIiNS6_11use_defaultESE_EENS6_10device_ptrIdEENSG_IlEEPmS8_NS6_8equal_toIdEEEE10hipError_tPvRmT2_T3_mT4_T5_T6_T7_T8_P12ihipStream_tbENKUlT_T0_E_clISt17integral_constantIbLb1EES12_IbLb0EEEEDaSY_SZ_EUlSY_E_NS1_11comp_targetILNS1_3genE9ELNS1_11target_archE1100ELNS1_3gpuE3ELNS1_3repE0EEENS1_30default_config_static_selectorELNS0_4arch9wavefront6targetE1EEEvT1_ ; -- Begin function _ZN7rocprim17ROCPRIM_400000_NS6detail17trampoline_kernelINS0_14default_configENS1_29reduce_by_key_config_selectorIdlN6thrust23THRUST_200600_302600_NS4plusIlEEEEZZNS1_33reduce_by_key_impl_wrapped_configILNS1_25lookback_scan_determinismE0ES3_S9_PdNS6_17constant_iteratorIiNS6_11use_defaultESE_EENS6_10device_ptrIdEENSG_IlEEPmS8_NS6_8equal_toIdEEEE10hipError_tPvRmT2_T3_mT4_T5_T6_T7_T8_P12ihipStream_tbENKUlT_T0_E_clISt17integral_constantIbLb1EES12_IbLb0EEEEDaSY_SZ_EUlSY_E_NS1_11comp_targetILNS1_3genE9ELNS1_11target_archE1100ELNS1_3gpuE3ELNS1_3repE0EEENS1_30default_config_static_selectorELNS0_4arch9wavefront6targetE1EEEvT1_
	.globl	_ZN7rocprim17ROCPRIM_400000_NS6detail17trampoline_kernelINS0_14default_configENS1_29reduce_by_key_config_selectorIdlN6thrust23THRUST_200600_302600_NS4plusIlEEEEZZNS1_33reduce_by_key_impl_wrapped_configILNS1_25lookback_scan_determinismE0ES3_S9_PdNS6_17constant_iteratorIiNS6_11use_defaultESE_EENS6_10device_ptrIdEENSG_IlEEPmS8_NS6_8equal_toIdEEEE10hipError_tPvRmT2_T3_mT4_T5_T6_T7_T8_P12ihipStream_tbENKUlT_T0_E_clISt17integral_constantIbLb1EES12_IbLb0EEEEDaSY_SZ_EUlSY_E_NS1_11comp_targetILNS1_3genE9ELNS1_11target_archE1100ELNS1_3gpuE3ELNS1_3repE0EEENS1_30default_config_static_selectorELNS0_4arch9wavefront6targetE1EEEvT1_
	.p2align	8
	.type	_ZN7rocprim17ROCPRIM_400000_NS6detail17trampoline_kernelINS0_14default_configENS1_29reduce_by_key_config_selectorIdlN6thrust23THRUST_200600_302600_NS4plusIlEEEEZZNS1_33reduce_by_key_impl_wrapped_configILNS1_25lookback_scan_determinismE0ES3_S9_PdNS6_17constant_iteratorIiNS6_11use_defaultESE_EENS6_10device_ptrIdEENSG_IlEEPmS8_NS6_8equal_toIdEEEE10hipError_tPvRmT2_T3_mT4_T5_T6_T7_T8_P12ihipStream_tbENKUlT_T0_E_clISt17integral_constantIbLb1EES12_IbLb0EEEEDaSY_SZ_EUlSY_E_NS1_11comp_targetILNS1_3genE9ELNS1_11target_archE1100ELNS1_3gpuE3ELNS1_3repE0EEENS1_30default_config_static_selectorELNS0_4arch9wavefront6targetE1EEEvT1_,@function
_ZN7rocprim17ROCPRIM_400000_NS6detail17trampoline_kernelINS0_14default_configENS1_29reduce_by_key_config_selectorIdlN6thrust23THRUST_200600_302600_NS4plusIlEEEEZZNS1_33reduce_by_key_impl_wrapped_configILNS1_25lookback_scan_determinismE0ES3_S9_PdNS6_17constant_iteratorIiNS6_11use_defaultESE_EENS6_10device_ptrIdEENSG_IlEEPmS8_NS6_8equal_toIdEEEE10hipError_tPvRmT2_T3_mT4_T5_T6_T7_T8_P12ihipStream_tbENKUlT_T0_E_clISt17integral_constantIbLb1EES12_IbLb0EEEEDaSY_SZ_EUlSY_E_NS1_11comp_targetILNS1_3genE9ELNS1_11target_archE1100ELNS1_3gpuE3ELNS1_3repE0EEENS1_30default_config_static_selectorELNS0_4arch9wavefront6targetE1EEEvT1_: ; @_ZN7rocprim17ROCPRIM_400000_NS6detail17trampoline_kernelINS0_14default_configENS1_29reduce_by_key_config_selectorIdlN6thrust23THRUST_200600_302600_NS4plusIlEEEEZZNS1_33reduce_by_key_impl_wrapped_configILNS1_25lookback_scan_determinismE0ES3_S9_PdNS6_17constant_iteratorIiNS6_11use_defaultESE_EENS6_10device_ptrIdEENSG_IlEEPmS8_NS6_8equal_toIdEEEE10hipError_tPvRmT2_T3_mT4_T5_T6_T7_T8_P12ihipStream_tbENKUlT_T0_E_clISt17integral_constantIbLb1EES12_IbLb0EEEEDaSY_SZ_EUlSY_E_NS1_11comp_targetILNS1_3genE9ELNS1_11target_archE1100ELNS1_3gpuE3ELNS1_3repE0EEENS1_30default_config_static_selectorELNS0_4arch9wavefront6targetE1EEEvT1_
; %bb.0:
	.section	.rodata,"a",@progbits
	.p2align	6, 0x0
	.amdhsa_kernel _ZN7rocprim17ROCPRIM_400000_NS6detail17trampoline_kernelINS0_14default_configENS1_29reduce_by_key_config_selectorIdlN6thrust23THRUST_200600_302600_NS4plusIlEEEEZZNS1_33reduce_by_key_impl_wrapped_configILNS1_25lookback_scan_determinismE0ES3_S9_PdNS6_17constant_iteratorIiNS6_11use_defaultESE_EENS6_10device_ptrIdEENSG_IlEEPmS8_NS6_8equal_toIdEEEE10hipError_tPvRmT2_T3_mT4_T5_T6_T7_T8_P12ihipStream_tbENKUlT_T0_E_clISt17integral_constantIbLb1EES12_IbLb0EEEEDaSY_SZ_EUlSY_E_NS1_11comp_targetILNS1_3genE9ELNS1_11target_archE1100ELNS1_3gpuE3ELNS1_3repE0EEENS1_30default_config_static_selectorELNS0_4arch9wavefront6targetE1EEEvT1_
		.amdhsa_group_segment_fixed_size 0
		.amdhsa_private_segment_fixed_size 0
		.amdhsa_kernarg_size 144
		.amdhsa_user_sgpr_count 6
		.amdhsa_user_sgpr_private_segment_buffer 1
		.amdhsa_user_sgpr_dispatch_ptr 0
		.amdhsa_user_sgpr_queue_ptr 0
		.amdhsa_user_sgpr_kernarg_segment_ptr 1
		.amdhsa_user_sgpr_dispatch_id 0
		.amdhsa_user_sgpr_flat_scratch_init 0
		.amdhsa_user_sgpr_kernarg_preload_length 0
		.amdhsa_user_sgpr_kernarg_preload_offset 0
		.amdhsa_user_sgpr_private_segment_size 0
		.amdhsa_uses_dynamic_stack 0
		.amdhsa_system_sgpr_private_segment_wavefront_offset 0
		.amdhsa_system_sgpr_workgroup_id_x 1
		.amdhsa_system_sgpr_workgroup_id_y 0
		.amdhsa_system_sgpr_workgroup_id_z 0
		.amdhsa_system_sgpr_workgroup_info 0
		.amdhsa_system_vgpr_workitem_id 0
		.amdhsa_next_free_vgpr 1
		.amdhsa_next_free_sgpr 0
		.amdhsa_accum_offset 4
		.amdhsa_reserve_vcc 0
		.amdhsa_reserve_flat_scratch 0
		.amdhsa_float_round_mode_32 0
		.amdhsa_float_round_mode_16_64 0
		.amdhsa_float_denorm_mode_32 3
		.amdhsa_float_denorm_mode_16_64 3
		.amdhsa_dx10_clamp 1
		.amdhsa_ieee_mode 1
		.amdhsa_fp16_overflow 0
		.amdhsa_tg_split 0
		.amdhsa_exception_fp_ieee_invalid_op 0
		.amdhsa_exception_fp_denorm_src 0
		.amdhsa_exception_fp_ieee_div_zero 0
		.amdhsa_exception_fp_ieee_overflow 0
		.amdhsa_exception_fp_ieee_underflow 0
		.amdhsa_exception_fp_ieee_inexact 0
		.amdhsa_exception_int_div_zero 0
	.end_amdhsa_kernel
	.section	.text._ZN7rocprim17ROCPRIM_400000_NS6detail17trampoline_kernelINS0_14default_configENS1_29reduce_by_key_config_selectorIdlN6thrust23THRUST_200600_302600_NS4plusIlEEEEZZNS1_33reduce_by_key_impl_wrapped_configILNS1_25lookback_scan_determinismE0ES3_S9_PdNS6_17constant_iteratorIiNS6_11use_defaultESE_EENS6_10device_ptrIdEENSG_IlEEPmS8_NS6_8equal_toIdEEEE10hipError_tPvRmT2_T3_mT4_T5_T6_T7_T8_P12ihipStream_tbENKUlT_T0_E_clISt17integral_constantIbLb1EES12_IbLb0EEEEDaSY_SZ_EUlSY_E_NS1_11comp_targetILNS1_3genE9ELNS1_11target_archE1100ELNS1_3gpuE3ELNS1_3repE0EEENS1_30default_config_static_selectorELNS0_4arch9wavefront6targetE1EEEvT1_,"axG",@progbits,_ZN7rocprim17ROCPRIM_400000_NS6detail17trampoline_kernelINS0_14default_configENS1_29reduce_by_key_config_selectorIdlN6thrust23THRUST_200600_302600_NS4plusIlEEEEZZNS1_33reduce_by_key_impl_wrapped_configILNS1_25lookback_scan_determinismE0ES3_S9_PdNS6_17constant_iteratorIiNS6_11use_defaultESE_EENS6_10device_ptrIdEENSG_IlEEPmS8_NS6_8equal_toIdEEEE10hipError_tPvRmT2_T3_mT4_T5_T6_T7_T8_P12ihipStream_tbENKUlT_T0_E_clISt17integral_constantIbLb1EES12_IbLb0EEEEDaSY_SZ_EUlSY_E_NS1_11comp_targetILNS1_3genE9ELNS1_11target_archE1100ELNS1_3gpuE3ELNS1_3repE0EEENS1_30default_config_static_selectorELNS0_4arch9wavefront6targetE1EEEvT1_,comdat
.Lfunc_end1713:
	.size	_ZN7rocprim17ROCPRIM_400000_NS6detail17trampoline_kernelINS0_14default_configENS1_29reduce_by_key_config_selectorIdlN6thrust23THRUST_200600_302600_NS4plusIlEEEEZZNS1_33reduce_by_key_impl_wrapped_configILNS1_25lookback_scan_determinismE0ES3_S9_PdNS6_17constant_iteratorIiNS6_11use_defaultESE_EENS6_10device_ptrIdEENSG_IlEEPmS8_NS6_8equal_toIdEEEE10hipError_tPvRmT2_T3_mT4_T5_T6_T7_T8_P12ihipStream_tbENKUlT_T0_E_clISt17integral_constantIbLb1EES12_IbLb0EEEEDaSY_SZ_EUlSY_E_NS1_11comp_targetILNS1_3genE9ELNS1_11target_archE1100ELNS1_3gpuE3ELNS1_3repE0EEENS1_30default_config_static_selectorELNS0_4arch9wavefront6targetE1EEEvT1_, .Lfunc_end1713-_ZN7rocprim17ROCPRIM_400000_NS6detail17trampoline_kernelINS0_14default_configENS1_29reduce_by_key_config_selectorIdlN6thrust23THRUST_200600_302600_NS4plusIlEEEEZZNS1_33reduce_by_key_impl_wrapped_configILNS1_25lookback_scan_determinismE0ES3_S9_PdNS6_17constant_iteratorIiNS6_11use_defaultESE_EENS6_10device_ptrIdEENSG_IlEEPmS8_NS6_8equal_toIdEEEE10hipError_tPvRmT2_T3_mT4_T5_T6_T7_T8_P12ihipStream_tbENKUlT_T0_E_clISt17integral_constantIbLb1EES12_IbLb0EEEEDaSY_SZ_EUlSY_E_NS1_11comp_targetILNS1_3genE9ELNS1_11target_archE1100ELNS1_3gpuE3ELNS1_3repE0EEENS1_30default_config_static_selectorELNS0_4arch9wavefront6targetE1EEEvT1_
                                        ; -- End function
	.section	.AMDGPU.csdata,"",@progbits
; Kernel info:
; codeLenInByte = 0
; NumSgprs: 4
; NumVgprs: 0
; NumAgprs: 0
; TotalNumVgprs: 0
; ScratchSize: 0
; MemoryBound: 0
; FloatMode: 240
; IeeeMode: 1
; LDSByteSize: 0 bytes/workgroup (compile time only)
; SGPRBlocks: 0
; VGPRBlocks: 0
; NumSGPRsForWavesPerEU: 4
; NumVGPRsForWavesPerEU: 1
; AccumOffset: 4
; Occupancy: 8
; WaveLimiterHint : 0
; COMPUTE_PGM_RSRC2:SCRATCH_EN: 0
; COMPUTE_PGM_RSRC2:USER_SGPR: 6
; COMPUTE_PGM_RSRC2:TRAP_HANDLER: 0
; COMPUTE_PGM_RSRC2:TGID_X_EN: 1
; COMPUTE_PGM_RSRC2:TGID_Y_EN: 0
; COMPUTE_PGM_RSRC2:TGID_Z_EN: 0
; COMPUTE_PGM_RSRC2:TIDIG_COMP_CNT: 0
; COMPUTE_PGM_RSRC3_GFX90A:ACCUM_OFFSET: 0
; COMPUTE_PGM_RSRC3_GFX90A:TG_SPLIT: 0
	.section	.text._ZN7rocprim17ROCPRIM_400000_NS6detail17trampoline_kernelINS0_14default_configENS1_29reduce_by_key_config_selectorIdlN6thrust23THRUST_200600_302600_NS4plusIlEEEEZZNS1_33reduce_by_key_impl_wrapped_configILNS1_25lookback_scan_determinismE0ES3_S9_PdNS6_17constant_iteratorIiNS6_11use_defaultESE_EENS6_10device_ptrIdEENSG_IlEEPmS8_NS6_8equal_toIdEEEE10hipError_tPvRmT2_T3_mT4_T5_T6_T7_T8_P12ihipStream_tbENKUlT_T0_E_clISt17integral_constantIbLb1EES12_IbLb0EEEEDaSY_SZ_EUlSY_E_NS1_11comp_targetILNS1_3genE8ELNS1_11target_archE1030ELNS1_3gpuE2ELNS1_3repE0EEENS1_30default_config_static_selectorELNS0_4arch9wavefront6targetE1EEEvT1_,"axG",@progbits,_ZN7rocprim17ROCPRIM_400000_NS6detail17trampoline_kernelINS0_14default_configENS1_29reduce_by_key_config_selectorIdlN6thrust23THRUST_200600_302600_NS4plusIlEEEEZZNS1_33reduce_by_key_impl_wrapped_configILNS1_25lookback_scan_determinismE0ES3_S9_PdNS6_17constant_iteratorIiNS6_11use_defaultESE_EENS6_10device_ptrIdEENSG_IlEEPmS8_NS6_8equal_toIdEEEE10hipError_tPvRmT2_T3_mT4_T5_T6_T7_T8_P12ihipStream_tbENKUlT_T0_E_clISt17integral_constantIbLb1EES12_IbLb0EEEEDaSY_SZ_EUlSY_E_NS1_11comp_targetILNS1_3genE8ELNS1_11target_archE1030ELNS1_3gpuE2ELNS1_3repE0EEENS1_30default_config_static_selectorELNS0_4arch9wavefront6targetE1EEEvT1_,comdat
	.protected	_ZN7rocprim17ROCPRIM_400000_NS6detail17trampoline_kernelINS0_14default_configENS1_29reduce_by_key_config_selectorIdlN6thrust23THRUST_200600_302600_NS4plusIlEEEEZZNS1_33reduce_by_key_impl_wrapped_configILNS1_25lookback_scan_determinismE0ES3_S9_PdNS6_17constant_iteratorIiNS6_11use_defaultESE_EENS6_10device_ptrIdEENSG_IlEEPmS8_NS6_8equal_toIdEEEE10hipError_tPvRmT2_T3_mT4_T5_T6_T7_T8_P12ihipStream_tbENKUlT_T0_E_clISt17integral_constantIbLb1EES12_IbLb0EEEEDaSY_SZ_EUlSY_E_NS1_11comp_targetILNS1_3genE8ELNS1_11target_archE1030ELNS1_3gpuE2ELNS1_3repE0EEENS1_30default_config_static_selectorELNS0_4arch9wavefront6targetE1EEEvT1_ ; -- Begin function _ZN7rocprim17ROCPRIM_400000_NS6detail17trampoline_kernelINS0_14default_configENS1_29reduce_by_key_config_selectorIdlN6thrust23THRUST_200600_302600_NS4plusIlEEEEZZNS1_33reduce_by_key_impl_wrapped_configILNS1_25lookback_scan_determinismE0ES3_S9_PdNS6_17constant_iteratorIiNS6_11use_defaultESE_EENS6_10device_ptrIdEENSG_IlEEPmS8_NS6_8equal_toIdEEEE10hipError_tPvRmT2_T3_mT4_T5_T6_T7_T8_P12ihipStream_tbENKUlT_T0_E_clISt17integral_constantIbLb1EES12_IbLb0EEEEDaSY_SZ_EUlSY_E_NS1_11comp_targetILNS1_3genE8ELNS1_11target_archE1030ELNS1_3gpuE2ELNS1_3repE0EEENS1_30default_config_static_selectorELNS0_4arch9wavefront6targetE1EEEvT1_
	.globl	_ZN7rocprim17ROCPRIM_400000_NS6detail17trampoline_kernelINS0_14default_configENS1_29reduce_by_key_config_selectorIdlN6thrust23THRUST_200600_302600_NS4plusIlEEEEZZNS1_33reduce_by_key_impl_wrapped_configILNS1_25lookback_scan_determinismE0ES3_S9_PdNS6_17constant_iteratorIiNS6_11use_defaultESE_EENS6_10device_ptrIdEENSG_IlEEPmS8_NS6_8equal_toIdEEEE10hipError_tPvRmT2_T3_mT4_T5_T6_T7_T8_P12ihipStream_tbENKUlT_T0_E_clISt17integral_constantIbLb1EES12_IbLb0EEEEDaSY_SZ_EUlSY_E_NS1_11comp_targetILNS1_3genE8ELNS1_11target_archE1030ELNS1_3gpuE2ELNS1_3repE0EEENS1_30default_config_static_selectorELNS0_4arch9wavefront6targetE1EEEvT1_
	.p2align	8
	.type	_ZN7rocprim17ROCPRIM_400000_NS6detail17trampoline_kernelINS0_14default_configENS1_29reduce_by_key_config_selectorIdlN6thrust23THRUST_200600_302600_NS4plusIlEEEEZZNS1_33reduce_by_key_impl_wrapped_configILNS1_25lookback_scan_determinismE0ES3_S9_PdNS6_17constant_iteratorIiNS6_11use_defaultESE_EENS6_10device_ptrIdEENSG_IlEEPmS8_NS6_8equal_toIdEEEE10hipError_tPvRmT2_T3_mT4_T5_T6_T7_T8_P12ihipStream_tbENKUlT_T0_E_clISt17integral_constantIbLb1EES12_IbLb0EEEEDaSY_SZ_EUlSY_E_NS1_11comp_targetILNS1_3genE8ELNS1_11target_archE1030ELNS1_3gpuE2ELNS1_3repE0EEENS1_30default_config_static_selectorELNS0_4arch9wavefront6targetE1EEEvT1_,@function
_ZN7rocprim17ROCPRIM_400000_NS6detail17trampoline_kernelINS0_14default_configENS1_29reduce_by_key_config_selectorIdlN6thrust23THRUST_200600_302600_NS4plusIlEEEEZZNS1_33reduce_by_key_impl_wrapped_configILNS1_25lookback_scan_determinismE0ES3_S9_PdNS6_17constant_iteratorIiNS6_11use_defaultESE_EENS6_10device_ptrIdEENSG_IlEEPmS8_NS6_8equal_toIdEEEE10hipError_tPvRmT2_T3_mT4_T5_T6_T7_T8_P12ihipStream_tbENKUlT_T0_E_clISt17integral_constantIbLb1EES12_IbLb0EEEEDaSY_SZ_EUlSY_E_NS1_11comp_targetILNS1_3genE8ELNS1_11target_archE1030ELNS1_3gpuE2ELNS1_3repE0EEENS1_30default_config_static_selectorELNS0_4arch9wavefront6targetE1EEEvT1_: ; @_ZN7rocprim17ROCPRIM_400000_NS6detail17trampoline_kernelINS0_14default_configENS1_29reduce_by_key_config_selectorIdlN6thrust23THRUST_200600_302600_NS4plusIlEEEEZZNS1_33reduce_by_key_impl_wrapped_configILNS1_25lookback_scan_determinismE0ES3_S9_PdNS6_17constant_iteratorIiNS6_11use_defaultESE_EENS6_10device_ptrIdEENSG_IlEEPmS8_NS6_8equal_toIdEEEE10hipError_tPvRmT2_T3_mT4_T5_T6_T7_T8_P12ihipStream_tbENKUlT_T0_E_clISt17integral_constantIbLb1EES12_IbLb0EEEEDaSY_SZ_EUlSY_E_NS1_11comp_targetILNS1_3genE8ELNS1_11target_archE1030ELNS1_3gpuE2ELNS1_3repE0EEENS1_30default_config_static_selectorELNS0_4arch9wavefront6targetE1EEEvT1_
; %bb.0:
	.section	.rodata,"a",@progbits
	.p2align	6, 0x0
	.amdhsa_kernel _ZN7rocprim17ROCPRIM_400000_NS6detail17trampoline_kernelINS0_14default_configENS1_29reduce_by_key_config_selectorIdlN6thrust23THRUST_200600_302600_NS4plusIlEEEEZZNS1_33reduce_by_key_impl_wrapped_configILNS1_25lookback_scan_determinismE0ES3_S9_PdNS6_17constant_iteratorIiNS6_11use_defaultESE_EENS6_10device_ptrIdEENSG_IlEEPmS8_NS6_8equal_toIdEEEE10hipError_tPvRmT2_T3_mT4_T5_T6_T7_T8_P12ihipStream_tbENKUlT_T0_E_clISt17integral_constantIbLb1EES12_IbLb0EEEEDaSY_SZ_EUlSY_E_NS1_11comp_targetILNS1_3genE8ELNS1_11target_archE1030ELNS1_3gpuE2ELNS1_3repE0EEENS1_30default_config_static_selectorELNS0_4arch9wavefront6targetE1EEEvT1_
		.amdhsa_group_segment_fixed_size 0
		.amdhsa_private_segment_fixed_size 0
		.amdhsa_kernarg_size 144
		.amdhsa_user_sgpr_count 6
		.amdhsa_user_sgpr_private_segment_buffer 1
		.amdhsa_user_sgpr_dispatch_ptr 0
		.amdhsa_user_sgpr_queue_ptr 0
		.amdhsa_user_sgpr_kernarg_segment_ptr 1
		.amdhsa_user_sgpr_dispatch_id 0
		.amdhsa_user_sgpr_flat_scratch_init 0
		.amdhsa_user_sgpr_kernarg_preload_length 0
		.amdhsa_user_sgpr_kernarg_preload_offset 0
		.amdhsa_user_sgpr_private_segment_size 0
		.amdhsa_uses_dynamic_stack 0
		.amdhsa_system_sgpr_private_segment_wavefront_offset 0
		.amdhsa_system_sgpr_workgroup_id_x 1
		.amdhsa_system_sgpr_workgroup_id_y 0
		.amdhsa_system_sgpr_workgroup_id_z 0
		.amdhsa_system_sgpr_workgroup_info 0
		.amdhsa_system_vgpr_workitem_id 0
		.amdhsa_next_free_vgpr 1
		.amdhsa_next_free_sgpr 0
		.amdhsa_accum_offset 4
		.amdhsa_reserve_vcc 0
		.amdhsa_reserve_flat_scratch 0
		.amdhsa_float_round_mode_32 0
		.amdhsa_float_round_mode_16_64 0
		.amdhsa_float_denorm_mode_32 3
		.amdhsa_float_denorm_mode_16_64 3
		.amdhsa_dx10_clamp 1
		.amdhsa_ieee_mode 1
		.amdhsa_fp16_overflow 0
		.amdhsa_tg_split 0
		.amdhsa_exception_fp_ieee_invalid_op 0
		.amdhsa_exception_fp_denorm_src 0
		.amdhsa_exception_fp_ieee_div_zero 0
		.amdhsa_exception_fp_ieee_overflow 0
		.amdhsa_exception_fp_ieee_underflow 0
		.amdhsa_exception_fp_ieee_inexact 0
		.amdhsa_exception_int_div_zero 0
	.end_amdhsa_kernel
	.section	.text._ZN7rocprim17ROCPRIM_400000_NS6detail17trampoline_kernelINS0_14default_configENS1_29reduce_by_key_config_selectorIdlN6thrust23THRUST_200600_302600_NS4plusIlEEEEZZNS1_33reduce_by_key_impl_wrapped_configILNS1_25lookback_scan_determinismE0ES3_S9_PdNS6_17constant_iteratorIiNS6_11use_defaultESE_EENS6_10device_ptrIdEENSG_IlEEPmS8_NS6_8equal_toIdEEEE10hipError_tPvRmT2_T3_mT4_T5_T6_T7_T8_P12ihipStream_tbENKUlT_T0_E_clISt17integral_constantIbLb1EES12_IbLb0EEEEDaSY_SZ_EUlSY_E_NS1_11comp_targetILNS1_3genE8ELNS1_11target_archE1030ELNS1_3gpuE2ELNS1_3repE0EEENS1_30default_config_static_selectorELNS0_4arch9wavefront6targetE1EEEvT1_,"axG",@progbits,_ZN7rocprim17ROCPRIM_400000_NS6detail17trampoline_kernelINS0_14default_configENS1_29reduce_by_key_config_selectorIdlN6thrust23THRUST_200600_302600_NS4plusIlEEEEZZNS1_33reduce_by_key_impl_wrapped_configILNS1_25lookback_scan_determinismE0ES3_S9_PdNS6_17constant_iteratorIiNS6_11use_defaultESE_EENS6_10device_ptrIdEENSG_IlEEPmS8_NS6_8equal_toIdEEEE10hipError_tPvRmT2_T3_mT4_T5_T6_T7_T8_P12ihipStream_tbENKUlT_T0_E_clISt17integral_constantIbLb1EES12_IbLb0EEEEDaSY_SZ_EUlSY_E_NS1_11comp_targetILNS1_3genE8ELNS1_11target_archE1030ELNS1_3gpuE2ELNS1_3repE0EEENS1_30default_config_static_selectorELNS0_4arch9wavefront6targetE1EEEvT1_,comdat
.Lfunc_end1714:
	.size	_ZN7rocprim17ROCPRIM_400000_NS6detail17trampoline_kernelINS0_14default_configENS1_29reduce_by_key_config_selectorIdlN6thrust23THRUST_200600_302600_NS4plusIlEEEEZZNS1_33reduce_by_key_impl_wrapped_configILNS1_25lookback_scan_determinismE0ES3_S9_PdNS6_17constant_iteratorIiNS6_11use_defaultESE_EENS6_10device_ptrIdEENSG_IlEEPmS8_NS6_8equal_toIdEEEE10hipError_tPvRmT2_T3_mT4_T5_T6_T7_T8_P12ihipStream_tbENKUlT_T0_E_clISt17integral_constantIbLb1EES12_IbLb0EEEEDaSY_SZ_EUlSY_E_NS1_11comp_targetILNS1_3genE8ELNS1_11target_archE1030ELNS1_3gpuE2ELNS1_3repE0EEENS1_30default_config_static_selectorELNS0_4arch9wavefront6targetE1EEEvT1_, .Lfunc_end1714-_ZN7rocprim17ROCPRIM_400000_NS6detail17trampoline_kernelINS0_14default_configENS1_29reduce_by_key_config_selectorIdlN6thrust23THRUST_200600_302600_NS4plusIlEEEEZZNS1_33reduce_by_key_impl_wrapped_configILNS1_25lookback_scan_determinismE0ES3_S9_PdNS6_17constant_iteratorIiNS6_11use_defaultESE_EENS6_10device_ptrIdEENSG_IlEEPmS8_NS6_8equal_toIdEEEE10hipError_tPvRmT2_T3_mT4_T5_T6_T7_T8_P12ihipStream_tbENKUlT_T0_E_clISt17integral_constantIbLb1EES12_IbLb0EEEEDaSY_SZ_EUlSY_E_NS1_11comp_targetILNS1_3genE8ELNS1_11target_archE1030ELNS1_3gpuE2ELNS1_3repE0EEENS1_30default_config_static_selectorELNS0_4arch9wavefront6targetE1EEEvT1_
                                        ; -- End function
	.section	.AMDGPU.csdata,"",@progbits
; Kernel info:
; codeLenInByte = 0
; NumSgprs: 4
; NumVgprs: 0
; NumAgprs: 0
; TotalNumVgprs: 0
; ScratchSize: 0
; MemoryBound: 0
; FloatMode: 240
; IeeeMode: 1
; LDSByteSize: 0 bytes/workgroup (compile time only)
; SGPRBlocks: 0
; VGPRBlocks: 0
; NumSGPRsForWavesPerEU: 4
; NumVGPRsForWavesPerEU: 1
; AccumOffset: 4
; Occupancy: 8
; WaveLimiterHint : 0
; COMPUTE_PGM_RSRC2:SCRATCH_EN: 0
; COMPUTE_PGM_RSRC2:USER_SGPR: 6
; COMPUTE_PGM_RSRC2:TRAP_HANDLER: 0
; COMPUTE_PGM_RSRC2:TGID_X_EN: 1
; COMPUTE_PGM_RSRC2:TGID_Y_EN: 0
; COMPUTE_PGM_RSRC2:TGID_Z_EN: 0
; COMPUTE_PGM_RSRC2:TIDIG_COMP_CNT: 0
; COMPUTE_PGM_RSRC3_GFX90A:ACCUM_OFFSET: 0
; COMPUTE_PGM_RSRC3_GFX90A:TG_SPLIT: 0
	.section	.text._ZN7rocprim17ROCPRIM_400000_NS6detail17trampoline_kernelINS0_14default_configENS1_29reduce_by_key_config_selectorIdlN6thrust23THRUST_200600_302600_NS4plusIlEEEEZZNS1_33reduce_by_key_impl_wrapped_configILNS1_25lookback_scan_determinismE0ES3_S9_PdNS6_17constant_iteratorIiNS6_11use_defaultESE_EENS6_10device_ptrIdEENSG_IlEEPmS8_NS6_8equal_toIdEEEE10hipError_tPvRmT2_T3_mT4_T5_T6_T7_T8_P12ihipStream_tbENKUlT_T0_E_clISt17integral_constantIbLb0EES12_IbLb1EEEEDaSY_SZ_EUlSY_E_NS1_11comp_targetILNS1_3genE0ELNS1_11target_archE4294967295ELNS1_3gpuE0ELNS1_3repE0EEENS1_30default_config_static_selectorELNS0_4arch9wavefront6targetE1EEEvT1_,"axG",@progbits,_ZN7rocprim17ROCPRIM_400000_NS6detail17trampoline_kernelINS0_14default_configENS1_29reduce_by_key_config_selectorIdlN6thrust23THRUST_200600_302600_NS4plusIlEEEEZZNS1_33reduce_by_key_impl_wrapped_configILNS1_25lookback_scan_determinismE0ES3_S9_PdNS6_17constant_iteratorIiNS6_11use_defaultESE_EENS6_10device_ptrIdEENSG_IlEEPmS8_NS6_8equal_toIdEEEE10hipError_tPvRmT2_T3_mT4_T5_T6_T7_T8_P12ihipStream_tbENKUlT_T0_E_clISt17integral_constantIbLb0EES12_IbLb1EEEEDaSY_SZ_EUlSY_E_NS1_11comp_targetILNS1_3genE0ELNS1_11target_archE4294967295ELNS1_3gpuE0ELNS1_3repE0EEENS1_30default_config_static_selectorELNS0_4arch9wavefront6targetE1EEEvT1_,comdat
	.protected	_ZN7rocprim17ROCPRIM_400000_NS6detail17trampoline_kernelINS0_14default_configENS1_29reduce_by_key_config_selectorIdlN6thrust23THRUST_200600_302600_NS4plusIlEEEEZZNS1_33reduce_by_key_impl_wrapped_configILNS1_25lookback_scan_determinismE0ES3_S9_PdNS6_17constant_iteratorIiNS6_11use_defaultESE_EENS6_10device_ptrIdEENSG_IlEEPmS8_NS6_8equal_toIdEEEE10hipError_tPvRmT2_T3_mT4_T5_T6_T7_T8_P12ihipStream_tbENKUlT_T0_E_clISt17integral_constantIbLb0EES12_IbLb1EEEEDaSY_SZ_EUlSY_E_NS1_11comp_targetILNS1_3genE0ELNS1_11target_archE4294967295ELNS1_3gpuE0ELNS1_3repE0EEENS1_30default_config_static_selectorELNS0_4arch9wavefront6targetE1EEEvT1_ ; -- Begin function _ZN7rocprim17ROCPRIM_400000_NS6detail17trampoline_kernelINS0_14default_configENS1_29reduce_by_key_config_selectorIdlN6thrust23THRUST_200600_302600_NS4plusIlEEEEZZNS1_33reduce_by_key_impl_wrapped_configILNS1_25lookback_scan_determinismE0ES3_S9_PdNS6_17constant_iteratorIiNS6_11use_defaultESE_EENS6_10device_ptrIdEENSG_IlEEPmS8_NS6_8equal_toIdEEEE10hipError_tPvRmT2_T3_mT4_T5_T6_T7_T8_P12ihipStream_tbENKUlT_T0_E_clISt17integral_constantIbLb0EES12_IbLb1EEEEDaSY_SZ_EUlSY_E_NS1_11comp_targetILNS1_3genE0ELNS1_11target_archE4294967295ELNS1_3gpuE0ELNS1_3repE0EEENS1_30default_config_static_selectorELNS0_4arch9wavefront6targetE1EEEvT1_
	.globl	_ZN7rocprim17ROCPRIM_400000_NS6detail17trampoline_kernelINS0_14default_configENS1_29reduce_by_key_config_selectorIdlN6thrust23THRUST_200600_302600_NS4plusIlEEEEZZNS1_33reduce_by_key_impl_wrapped_configILNS1_25lookback_scan_determinismE0ES3_S9_PdNS6_17constant_iteratorIiNS6_11use_defaultESE_EENS6_10device_ptrIdEENSG_IlEEPmS8_NS6_8equal_toIdEEEE10hipError_tPvRmT2_T3_mT4_T5_T6_T7_T8_P12ihipStream_tbENKUlT_T0_E_clISt17integral_constantIbLb0EES12_IbLb1EEEEDaSY_SZ_EUlSY_E_NS1_11comp_targetILNS1_3genE0ELNS1_11target_archE4294967295ELNS1_3gpuE0ELNS1_3repE0EEENS1_30default_config_static_selectorELNS0_4arch9wavefront6targetE1EEEvT1_
	.p2align	8
	.type	_ZN7rocprim17ROCPRIM_400000_NS6detail17trampoline_kernelINS0_14default_configENS1_29reduce_by_key_config_selectorIdlN6thrust23THRUST_200600_302600_NS4plusIlEEEEZZNS1_33reduce_by_key_impl_wrapped_configILNS1_25lookback_scan_determinismE0ES3_S9_PdNS6_17constant_iteratorIiNS6_11use_defaultESE_EENS6_10device_ptrIdEENSG_IlEEPmS8_NS6_8equal_toIdEEEE10hipError_tPvRmT2_T3_mT4_T5_T6_T7_T8_P12ihipStream_tbENKUlT_T0_E_clISt17integral_constantIbLb0EES12_IbLb1EEEEDaSY_SZ_EUlSY_E_NS1_11comp_targetILNS1_3genE0ELNS1_11target_archE4294967295ELNS1_3gpuE0ELNS1_3repE0EEENS1_30default_config_static_selectorELNS0_4arch9wavefront6targetE1EEEvT1_,@function
_ZN7rocprim17ROCPRIM_400000_NS6detail17trampoline_kernelINS0_14default_configENS1_29reduce_by_key_config_selectorIdlN6thrust23THRUST_200600_302600_NS4plusIlEEEEZZNS1_33reduce_by_key_impl_wrapped_configILNS1_25lookback_scan_determinismE0ES3_S9_PdNS6_17constant_iteratorIiNS6_11use_defaultESE_EENS6_10device_ptrIdEENSG_IlEEPmS8_NS6_8equal_toIdEEEE10hipError_tPvRmT2_T3_mT4_T5_T6_T7_T8_P12ihipStream_tbENKUlT_T0_E_clISt17integral_constantIbLb0EES12_IbLb1EEEEDaSY_SZ_EUlSY_E_NS1_11comp_targetILNS1_3genE0ELNS1_11target_archE4294967295ELNS1_3gpuE0ELNS1_3repE0EEENS1_30default_config_static_selectorELNS0_4arch9wavefront6targetE1EEEvT1_: ; @_ZN7rocprim17ROCPRIM_400000_NS6detail17trampoline_kernelINS0_14default_configENS1_29reduce_by_key_config_selectorIdlN6thrust23THRUST_200600_302600_NS4plusIlEEEEZZNS1_33reduce_by_key_impl_wrapped_configILNS1_25lookback_scan_determinismE0ES3_S9_PdNS6_17constant_iteratorIiNS6_11use_defaultESE_EENS6_10device_ptrIdEENSG_IlEEPmS8_NS6_8equal_toIdEEEE10hipError_tPvRmT2_T3_mT4_T5_T6_T7_T8_P12ihipStream_tbENKUlT_T0_E_clISt17integral_constantIbLb0EES12_IbLb1EEEEDaSY_SZ_EUlSY_E_NS1_11comp_targetILNS1_3genE0ELNS1_11target_archE4294967295ELNS1_3gpuE0ELNS1_3repE0EEENS1_30default_config_static_selectorELNS0_4arch9wavefront6targetE1EEEvT1_
; %bb.0:
	.section	.rodata,"a",@progbits
	.p2align	6, 0x0
	.amdhsa_kernel _ZN7rocprim17ROCPRIM_400000_NS6detail17trampoline_kernelINS0_14default_configENS1_29reduce_by_key_config_selectorIdlN6thrust23THRUST_200600_302600_NS4plusIlEEEEZZNS1_33reduce_by_key_impl_wrapped_configILNS1_25lookback_scan_determinismE0ES3_S9_PdNS6_17constant_iteratorIiNS6_11use_defaultESE_EENS6_10device_ptrIdEENSG_IlEEPmS8_NS6_8equal_toIdEEEE10hipError_tPvRmT2_T3_mT4_T5_T6_T7_T8_P12ihipStream_tbENKUlT_T0_E_clISt17integral_constantIbLb0EES12_IbLb1EEEEDaSY_SZ_EUlSY_E_NS1_11comp_targetILNS1_3genE0ELNS1_11target_archE4294967295ELNS1_3gpuE0ELNS1_3repE0EEENS1_30default_config_static_selectorELNS0_4arch9wavefront6targetE1EEEvT1_
		.amdhsa_group_segment_fixed_size 0
		.amdhsa_private_segment_fixed_size 0
		.amdhsa_kernarg_size 144
		.amdhsa_user_sgpr_count 6
		.amdhsa_user_sgpr_private_segment_buffer 1
		.amdhsa_user_sgpr_dispatch_ptr 0
		.amdhsa_user_sgpr_queue_ptr 0
		.amdhsa_user_sgpr_kernarg_segment_ptr 1
		.amdhsa_user_sgpr_dispatch_id 0
		.amdhsa_user_sgpr_flat_scratch_init 0
		.amdhsa_user_sgpr_kernarg_preload_length 0
		.amdhsa_user_sgpr_kernarg_preload_offset 0
		.amdhsa_user_sgpr_private_segment_size 0
		.amdhsa_uses_dynamic_stack 0
		.amdhsa_system_sgpr_private_segment_wavefront_offset 0
		.amdhsa_system_sgpr_workgroup_id_x 1
		.amdhsa_system_sgpr_workgroup_id_y 0
		.amdhsa_system_sgpr_workgroup_id_z 0
		.amdhsa_system_sgpr_workgroup_info 0
		.amdhsa_system_vgpr_workitem_id 0
		.amdhsa_next_free_vgpr 1
		.amdhsa_next_free_sgpr 0
		.amdhsa_accum_offset 4
		.amdhsa_reserve_vcc 0
		.amdhsa_reserve_flat_scratch 0
		.amdhsa_float_round_mode_32 0
		.amdhsa_float_round_mode_16_64 0
		.amdhsa_float_denorm_mode_32 3
		.amdhsa_float_denorm_mode_16_64 3
		.amdhsa_dx10_clamp 1
		.amdhsa_ieee_mode 1
		.amdhsa_fp16_overflow 0
		.amdhsa_tg_split 0
		.amdhsa_exception_fp_ieee_invalid_op 0
		.amdhsa_exception_fp_denorm_src 0
		.amdhsa_exception_fp_ieee_div_zero 0
		.amdhsa_exception_fp_ieee_overflow 0
		.amdhsa_exception_fp_ieee_underflow 0
		.amdhsa_exception_fp_ieee_inexact 0
		.amdhsa_exception_int_div_zero 0
	.end_amdhsa_kernel
	.section	.text._ZN7rocprim17ROCPRIM_400000_NS6detail17trampoline_kernelINS0_14default_configENS1_29reduce_by_key_config_selectorIdlN6thrust23THRUST_200600_302600_NS4plusIlEEEEZZNS1_33reduce_by_key_impl_wrapped_configILNS1_25lookback_scan_determinismE0ES3_S9_PdNS6_17constant_iteratorIiNS6_11use_defaultESE_EENS6_10device_ptrIdEENSG_IlEEPmS8_NS6_8equal_toIdEEEE10hipError_tPvRmT2_T3_mT4_T5_T6_T7_T8_P12ihipStream_tbENKUlT_T0_E_clISt17integral_constantIbLb0EES12_IbLb1EEEEDaSY_SZ_EUlSY_E_NS1_11comp_targetILNS1_3genE0ELNS1_11target_archE4294967295ELNS1_3gpuE0ELNS1_3repE0EEENS1_30default_config_static_selectorELNS0_4arch9wavefront6targetE1EEEvT1_,"axG",@progbits,_ZN7rocprim17ROCPRIM_400000_NS6detail17trampoline_kernelINS0_14default_configENS1_29reduce_by_key_config_selectorIdlN6thrust23THRUST_200600_302600_NS4plusIlEEEEZZNS1_33reduce_by_key_impl_wrapped_configILNS1_25lookback_scan_determinismE0ES3_S9_PdNS6_17constant_iteratorIiNS6_11use_defaultESE_EENS6_10device_ptrIdEENSG_IlEEPmS8_NS6_8equal_toIdEEEE10hipError_tPvRmT2_T3_mT4_T5_T6_T7_T8_P12ihipStream_tbENKUlT_T0_E_clISt17integral_constantIbLb0EES12_IbLb1EEEEDaSY_SZ_EUlSY_E_NS1_11comp_targetILNS1_3genE0ELNS1_11target_archE4294967295ELNS1_3gpuE0ELNS1_3repE0EEENS1_30default_config_static_selectorELNS0_4arch9wavefront6targetE1EEEvT1_,comdat
.Lfunc_end1715:
	.size	_ZN7rocprim17ROCPRIM_400000_NS6detail17trampoline_kernelINS0_14default_configENS1_29reduce_by_key_config_selectorIdlN6thrust23THRUST_200600_302600_NS4plusIlEEEEZZNS1_33reduce_by_key_impl_wrapped_configILNS1_25lookback_scan_determinismE0ES3_S9_PdNS6_17constant_iteratorIiNS6_11use_defaultESE_EENS6_10device_ptrIdEENSG_IlEEPmS8_NS6_8equal_toIdEEEE10hipError_tPvRmT2_T3_mT4_T5_T6_T7_T8_P12ihipStream_tbENKUlT_T0_E_clISt17integral_constantIbLb0EES12_IbLb1EEEEDaSY_SZ_EUlSY_E_NS1_11comp_targetILNS1_3genE0ELNS1_11target_archE4294967295ELNS1_3gpuE0ELNS1_3repE0EEENS1_30default_config_static_selectorELNS0_4arch9wavefront6targetE1EEEvT1_, .Lfunc_end1715-_ZN7rocprim17ROCPRIM_400000_NS6detail17trampoline_kernelINS0_14default_configENS1_29reduce_by_key_config_selectorIdlN6thrust23THRUST_200600_302600_NS4plusIlEEEEZZNS1_33reduce_by_key_impl_wrapped_configILNS1_25lookback_scan_determinismE0ES3_S9_PdNS6_17constant_iteratorIiNS6_11use_defaultESE_EENS6_10device_ptrIdEENSG_IlEEPmS8_NS6_8equal_toIdEEEE10hipError_tPvRmT2_T3_mT4_T5_T6_T7_T8_P12ihipStream_tbENKUlT_T0_E_clISt17integral_constantIbLb0EES12_IbLb1EEEEDaSY_SZ_EUlSY_E_NS1_11comp_targetILNS1_3genE0ELNS1_11target_archE4294967295ELNS1_3gpuE0ELNS1_3repE0EEENS1_30default_config_static_selectorELNS0_4arch9wavefront6targetE1EEEvT1_
                                        ; -- End function
	.section	.AMDGPU.csdata,"",@progbits
; Kernel info:
; codeLenInByte = 0
; NumSgprs: 4
; NumVgprs: 0
; NumAgprs: 0
; TotalNumVgprs: 0
; ScratchSize: 0
; MemoryBound: 0
; FloatMode: 240
; IeeeMode: 1
; LDSByteSize: 0 bytes/workgroup (compile time only)
; SGPRBlocks: 0
; VGPRBlocks: 0
; NumSGPRsForWavesPerEU: 4
; NumVGPRsForWavesPerEU: 1
; AccumOffset: 4
; Occupancy: 8
; WaveLimiterHint : 0
; COMPUTE_PGM_RSRC2:SCRATCH_EN: 0
; COMPUTE_PGM_RSRC2:USER_SGPR: 6
; COMPUTE_PGM_RSRC2:TRAP_HANDLER: 0
; COMPUTE_PGM_RSRC2:TGID_X_EN: 1
; COMPUTE_PGM_RSRC2:TGID_Y_EN: 0
; COMPUTE_PGM_RSRC2:TGID_Z_EN: 0
; COMPUTE_PGM_RSRC2:TIDIG_COMP_CNT: 0
; COMPUTE_PGM_RSRC3_GFX90A:ACCUM_OFFSET: 0
; COMPUTE_PGM_RSRC3_GFX90A:TG_SPLIT: 0
	.section	.text._ZN7rocprim17ROCPRIM_400000_NS6detail17trampoline_kernelINS0_14default_configENS1_29reduce_by_key_config_selectorIdlN6thrust23THRUST_200600_302600_NS4plusIlEEEEZZNS1_33reduce_by_key_impl_wrapped_configILNS1_25lookback_scan_determinismE0ES3_S9_PdNS6_17constant_iteratorIiNS6_11use_defaultESE_EENS6_10device_ptrIdEENSG_IlEEPmS8_NS6_8equal_toIdEEEE10hipError_tPvRmT2_T3_mT4_T5_T6_T7_T8_P12ihipStream_tbENKUlT_T0_E_clISt17integral_constantIbLb0EES12_IbLb1EEEEDaSY_SZ_EUlSY_E_NS1_11comp_targetILNS1_3genE5ELNS1_11target_archE942ELNS1_3gpuE9ELNS1_3repE0EEENS1_30default_config_static_selectorELNS0_4arch9wavefront6targetE1EEEvT1_,"axG",@progbits,_ZN7rocprim17ROCPRIM_400000_NS6detail17trampoline_kernelINS0_14default_configENS1_29reduce_by_key_config_selectorIdlN6thrust23THRUST_200600_302600_NS4plusIlEEEEZZNS1_33reduce_by_key_impl_wrapped_configILNS1_25lookback_scan_determinismE0ES3_S9_PdNS6_17constant_iteratorIiNS6_11use_defaultESE_EENS6_10device_ptrIdEENSG_IlEEPmS8_NS6_8equal_toIdEEEE10hipError_tPvRmT2_T3_mT4_T5_T6_T7_T8_P12ihipStream_tbENKUlT_T0_E_clISt17integral_constantIbLb0EES12_IbLb1EEEEDaSY_SZ_EUlSY_E_NS1_11comp_targetILNS1_3genE5ELNS1_11target_archE942ELNS1_3gpuE9ELNS1_3repE0EEENS1_30default_config_static_selectorELNS0_4arch9wavefront6targetE1EEEvT1_,comdat
	.protected	_ZN7rocprim17ROCPRIM_400000_NS6detail17trampoline_kernelINS0_14default_configENS1_29reduce_by_key_config_selectorIdlN6thrust23THRUST_200600_302600_NS4plusIlEEEEZZNS1_33reduce_by_key_impl_wrapped_configILNS1_25lookback_scan_determinismE0ES3_S9_PdNS6_17constant_iteratorIiNS6_11use_defaultESE_EENS6_10device_ptrIdEENSG_IlEEPmS8_NS6_8equal_toIdEEEE10hipError_tPvRmT2_T3_mT4_T5_T6_T7_T8_P12ihipStream_tbENKUlT_T0_E_clISt17integral_constantIbLb0EES12_IbLb1EEEEDaSY_SZ_EUlSY_E_NS1_11comp_targetILNS1_3genE5ELNS1_11target_archE942ELNS1_3gpuE9ELNS1_3repE0EEENS1_30default_config_static_selectorELNS0_4arch9wavefront6targetE1EEEvT1_ ; -- Begin function _ZN7rocprim17ROCPRIM_400000_NS6detail17trampoline_kernelINS0_14default_configENS1_29reduce_by_key_config_selectorIdlN6thrust23THRUST_200600_302600_NS4plusIlEEEEZZNS1_33reduce_by_key_impl_wrapped_configILNS1_25lookback_scan_determinismE0ES3_S9_PdNS6_17constant_iteratorIiNS6_11use_defaultESE_EENS6_10device_ptrIdEENSG_IlEEPmS8_NS6_8equal_toIdEEEE10hipError_tPvRmT2_T3_mT4_T5_T6_T7_T8_P12ihipStream_tbENKUlT_T0_E_clISt17integral_constantIbLb0EES12_IbLb1EEEEDaSY_SZ_EUlSY_E_NS1_11comp_targetILNS1_3genE5ELNS1_11target_archE942ELNS1_3gpuE9ELNS1_3repE0EEENS1_30default_config_static_selectorELNS0_4arch9wavefront6targetE1EEEvT1_
	.globl	_ZN7rocprim17ROCPRIM_400000_NS6detail17trampoline_kernelINS0_14default_configENS1_29reduce_by_key_config_selectorIdlN6thrust23THRUST_200600_302600_NS4plusIlEEEEZZNS1_33reduce_by_key_impl_wrapped_configILNS1_25lookback_scan_determinismE0ES3_S9_PdNS6_17constant_iteratorIiNS6_11use_defaultESE_EENS6_10device_ptrIdEENSG_IlEEPmS8_NS6_8equal_toIdEEEE10hipError_tPvRmT2_T3_mT4_T5_T6_T7_T8_P12ihipStream_tbENKUlT_T0_E_clISt17integral_constantIbLb0EES12_IbLb1EEEEDaSY_SZ_EUlSY_E_NS1_11comp_targetILNS1_3genE5ELNS1_11target_archE942ELNS1_3gpuE9ELNS1_3repE0EEENS1_30default_config_static_selectorELNS0_4arch9wavefront6targetE1EEEvT1_
	.p2align	8
	.type	_ZN7rocprim17ROCPRIM_400000_NS6detail17trampoline_kernelINS0_14default_configENS1_29reduce_by_key_config_selectorIdlN6thrust23THRUST_200600_302600_NS4plusIlEEEEZZNS1_33reduce_by_key_impl_wrapped_configILNS1_25lookback_scan_determinismE0ES3_S9_PdNS6_17constant_iteratorIiNS6_11use_defaultESE_EENS6_10device_ptrIdEENSG_IlEEPmS8_NS6_8equal_toIdEEEE10hipError_tPvRmT2_T3_mT4_T5_T6_T7_T8_P12ihipStream_tbENKUlT_T0_E_clISt17integral_constantIbLb0EES12_IbLb1EEEEDaSY_SZ_EUlSY_E_NS1_11comp_targetILNS1_3genE5ELNS1_11target_archE942ELNS1_3gpuE9ELNS1_3repE0EEENS1_30default_config_static_selectorELNS0_4arch9wavefront6targetE1EEEvT1_,@function
_ZN7rocprim17ROCPRIM_400000_NS6detail17trampoline_kernelINS0_14default_configENS1_29reduce_by_key_config_selectorIdlN6thrust23THRUST_200600_302600_NS4plusIlEEEEZZNS1_33reduce_by_key_impl_wrapped_configILNS1_25lookback_scan_determinismE0ES3_S9_PdNS6_17constant_iteratorIiNS6_11use_defaultESE_EENS6_10device_ptrIdEENSG_IlEEPmS8_NS6_8equal_toIdEEEE10hipError_tPvRmT2_T3_mT4_T5_T6_T7_T8_P12ihipStream_tbENKUlT_T0_E_clISt17integral_constantIbLb0EES12_IbLb1EEEEDaSY_SZ_EUlSY_E_NS1_11comp_targetILNS1_3genE5ELNS1_11target_archE942ELNS1_3gpuE9ELNS1_3repE0EEENS1_30default_config_static_selectorELNS0_4arch9wavefront6targetE1EEEvT1_: ; @_ZN7rocprim17ROCPRIM_400000_NS6detail17trampoline_kernelINS0_14default_configENS1_29reduce_by_key_config_selectorIdlN6thrust23THRUST_200600_302600_NS4plusIlEEEEZZNS1_33reduce_by_key_impl_wrapped_configILNS1_25lookback_scan_determinismE0ES3_S9_PdNS6_17constant_iteratorIiNS6_11use_defaultESE_EENS6_10device_ptrIdEENSG_IlEEPmS8_NS6_8equal_toIdEEEE10hipError_tPvRmT2_T3_mT4_T5_T6_T7_T8_P12ihipStream_tbENKUlT_T0_E_clISt17integral_constantIbLb0EES12_IbLb1EEEEDaSY_SZ_EUlSY_E_NS1_11comp_targetILNS1_3genE5ELNS1_11target_archE942ELNS1_3gpuE9ELNS1_3repE0EEENS1_30default_config_static_selectorELNS0_4arch9wavefront6targetE1EEEvT1_
; %bb.0:
	.section	.rodata,"a",@progbits
	.p2align	6, 0x0
	.amdhsa_kernel _ZN7rocprim17ROCPRIM_400000_NS6detail17trampoline_kernelINS0_14default_configENS1_29reduce_by_key_config_selectorIdlN6thrust23THRUST_200600_302600_NS4plusIlEEEEZZNS1_33reduce_by_key_impl_wrapped_configILNS1_25lookback_scan_determinismE0ES3_S9_PdNS6_17constant_iteratorIiNS6_11use_defaultESE_EENS6_10device_ptrIdEENSG_IlEEPmS8_NS6_8equal_toIdEEEE10hipError_tPvRmT2_T3_mT4_T5_T6_T7_T8_P12ihipStream_tbENKUlT_T0_E_clISt17integral_constantIbLb0EES12_IbLb1EEEEDaSY_SZ_EUlSY_E_NS1_11comp_targetILNS1_3genE5ELNS1_11target_archE942ELNS1_3gpuE9ELNS1_3repE0EEENS1_30default_config_static_selectorELNS0_4arch9wavefront6targetE1EEEvT1_
		.amdhsa_group_segment_fixed_size 0
		.amdhsa_private_segment_fixed_size 0
		.amdhsa_kernarg_size 144
		.amdhsa_user_sgpr_count 6
		.amdhsa_user_sgpr_private_segment_buffer 1
		.amdhsa_user_sgpr_dispatch_ptr 0
		.amdhsa_user_sgpr_queue_ptr 0
		.amdhsa_user_sgpr_kernarg_segment_ptr 1
		.amdhsa_user_sgpr_dispatch_id 0
		.amdhsa_user_sgpr_flat_scratch_init 0
		.amdhsa_user_sgpr_kernarg_preload_length 0
		.amdhsa_user_sgpr_kernarg_preload_offset 0
		.amdhsa_user_sgpr_private_segment_size 0
		.amdhsa_uses_dynamic_stack 0
		.amdhsa_system_sgpr_private_segment_wavefront_offset 0
		.amdhsa_system_sgpr_workgroup_id_x 1
		.amdhsa_system_sgpr_workgroup_id_y 0
		.amdhsa_system_sgpr_workgroup_id_z 0
		.amdhsa_system_sgpr_workgroup_info 0
		.amdhsa_system_vgpr_workitem_id 0
		.amdhsa_next_free_vgpr 1
		.amdhsa_next_free_sgpr 0
		.amdhsa_accum_offset 4
		.amdhsa_reserve_vcc 0
		.amdhsa_reserve_flat_scratch 0
		.amdhsa_float_round_mode_32 0
		.amdhsa_float_round_mode_16_64 0
		.amdhsa_float_denorm_mode_32 3
		.amdhsa_float_denorm_mode_16_64 3
		.amdhsa_dx10_clamp 1
		.amdhsa_ieee_mode 1
		.amdhsa_fp16_overflow 0
		.amdhsa_tg_split 0
		.amdhsa_exception_fp_ieee_invalid_op 0
		.amdhsa_exception_fp_denorm_src 0
		.amdhsa_exception_fp_ieee_div_zero 0
		.amdhsa_exception_fp_ieee_overflow 0
		.amdhsa_exception_fp_ieee_underflow 0
		.amdhsa_exception_fp_ieee_inexact 0
		.amdhsa_exception_int_div_zero 0
	.end_amdhsa_kernel
	.section	.text._ZN7rocprim17ROCPRIM_400000_NS6detail17trampoline_kernelINS0_14default_configENS1_29reduce_by_key_config_selectorIdlN6thrust23THRUST_200600_302600_NS4plusIlEEEEZZNS1_33reduce_by_key_impl_wrapped_configILNS1_25lookback_scan_determinismE0ES3_S9_PdNS6_17constant_iteratorIiNS6_11use_defaultESE_EENS6_10device_ptrIdEENSG_IlEEPmS8_NS6_8equal_toIdEEEE10hipError_tPvRmT2_T3_mT4_T5_T6_T7_T8_P12ihipStream_tbENKUlT_T0_E_clISt17integral_constantIbLb0EES12_IbLb1EEEEDaSY_SZ_EUlSY_E_NS1_11comp_targetILNS1_3genE5ELNS1_11target_archE942ELNS1_3gpuE9ELNS1_3repE0EEENS1_30default_config_static_selectorELNS0_4arch9wavefront6targetE1EEEvT1_,"axG",@progbits,_ZN7rocprim17ROCPRIM_400000_NS6detail17trampoline_kernelINS0_14default_configENS1_29reduce_by_key_config_selectorIdlN6thrust23THRUST_200600_302600_NS4plusIlEEEEZZNS1_33reduce_by_key_impl_wrapped_configILNS1_25lookback_scan_determinismE0ES3_S9_PdNS6_17constant_iteratorIiNS6_11use_defaultESE_EENS6_10device_ptrIdEENSG_IlEEPmS8_NS6_8equal_toIdEEEE10hipError_tPvRmT2_T3_mT4_T5_T6_T7_T8_P12ihipStream_tbENKUlT_T0_E_clISt17integral_constantIbLb0EES12_IbLb1EEEEDaSY_SZ_EUlSY_E_NS1_11comp_targetILNS1_3genE5ELNS1_11target_archE942ELNS1_3gpuE9ELNS1_3repE0EEENS1_30default_config_static_selectorELNS0_4arch9wavefront6targetE1EEEvT1_,comdat
.Lfunc_end1716:
	.size	_ZN7rocprim17ROCPRIM_400000_NS6detail17trampoline_kernelINS0_14default_configENS1_29reduce_by_key_config_selectorIdlN6thrust23THRUST_200600_302600_NS4plusIlEEEEZZNS1_33reduce_by_key_impl_wrapped_configILNS1_25lookback_scan_determinismE0ES3_S9_PdNS6_17constant_iteratorIiNS6_11use_defaultESE_EENS6_10device_ptrIdEENSG_IlEEPmS8_NS6_8equal_toIdEEEE10hipError_tPvRmT2_T3_mT4_T5_T6_T7_T8_P12ihipStream_tbENKUlT_T0_E_clISt17integral_constantIbLb0EES12_IbLb1EEEEDaSY_SZ_EUlSY_E_NS1_11comp_targetILNS1_3genE5ELNS1_11target_archE942ELNS1_3gpuE9ELNS1_3repE0EEENS1_30default_config_static_selectorELNS0_4arch9wavefront6targetE1EEEvT1_, .Lfunc_end1716-_ZN7rocprim17ROCPRIM_400000_NS6detail17trampoline_kernelINS0_14default_configENS1_29reduce_by_key_config_selectorIdlN6thrust23THRUST_200600_302600_NS4plusIlEEEEZZNS1_33reduce_by_key_impl_wrapped_configILNS1_25lookback_scan_determinismE0ES3_S9_PdNS6_17constant_iteratorIiNS6_11use_defaultESE_EENS6_10device_ptrIdEENSG_IlEEPmS8_NS6_8equal_toIdEEEE10hipError_tPvRmT2_T3_mT4_T5_T6_T7_T8_P12ihipStream_tbENKUlT_T0_E_clISt17integral_constantIbLb0EES12_IbLb1EEEEDaSY_SZ_EUlSY_E_NS1_11comp_targetILNS1_3genE5ELNS1_11target_archE942ELNS1_3gpuE9ELNS1_3repE0EEENS1_30default_config_static_selectorELNS0_4arch9wavefront6targetE1EEEvT1_
                                        ; -- End function
	.section	.AMDGPU.csdata,"",@progbits
; Kernel info:
; codeLenInByte = 0
; NumSgprs: 4
; NumVgprs: 0
; NumAgprs: 0
; TotalNumVgprs: 0
; ScratchSize: 0
; MemoryBound: 0
; FloatMode: 240
; IeeeMode: 1
; LDSByteSize: 0 bytes/workgroup (compile time only)
; SGPRBlocks: 0
; VGPRBlocks: 0
; NumSGPRsForWavesPerEU: 4
; NumVGPRsForWavesPerEU: 1
; AccumOffset: 4
; Occupancy: 8
; WaveLimiterHint : 0
; COMPUTE_PGM_RSRC2:SCRATCH_EN: 0
; COMPUTE_PGM_RSRC2:USER_SGPR: 6
; COMPUTE_PGM_RSRC2:TRAP_HANDLER: 0
; COMPUTE_PGM_RSRC2:TGID_X_EN: 1
; COMPUTE_PGM_RSRC2:TGID_Y_EN: 0
; COMPUTE_PGM_RSRC2:TGID_Z_EN: 0
; COMPUTE_PGM_RSRC2:TIDIG_COMP_CNT: 0
; COMPUTE_PGM_RSRC3_GFX90A:ACCUM_OFFSET: 0
; COMPUTE_PGM_RSRC3_GFX90A:TG_SPLIT: 0
	.section	.text._ZN7rocprim17ROCPRIM_400000_NS6detail17trampoline_kernelINS0_14default_configENS1_29reduce_by_key_config_selectorIdlN6thrust23THRUST_200600_302600_NS4plusIlEEEEZZNS1_33reduce_by_key_impl_wrapped_configILNS1_25lookback_scan_determinismE0ES3_S9_PdNS6_17constant_iteratorIiNS6_11use_defaultESE_EENS6_10device_ptrIdEENSG_IlEEPmS8_NS6_8equal_toIdEEEE10hipError_tPvRmT2_T3_mT4_T5_T6_T7_T8_P12ihipStream_tbENKUlT_T0_E_clISt17integral_constantIbLb0EES12_IbLb1EEEEDaSY_SZ_EUlSY_E_NS1_11comp_targetILNS1_3genE4ELNS1_11target_archE910ELNS1_3gpuE8ELNS1_3repE0EEENS1_30default_config_static_selectorELNS0_4arch9wavefront6targetE1EEEvT1_,"axG",@progbits,_ZN7rocprim17ROCPRIM_400000_NS6detail17trampoline_kernelINS0_14default_configENS1_29reduce_by_key_config_selectorIdlN6thrust23THRUST_200600_302600_NS4plusIlEEEEZZNS1_33reduce_by_key_impl_wrapped_configILNS1_25lookback_scan_determinismE0ES3_S9_PdNS6_17constant_iteratorIiNS6_11use_defaultESE_EENS6_10device_ptrIdEENSG_IlEEPmS8_NS6_8equal_toIdEEEE10hipError_tPvRmT2_T3_mT4_T5_T6_T7_T8_P12ihipStream_tbENKUlT_T0_E_clISt17integral_constantIbLb0EES12_IbLb1EEEEDaSY_SZ_EUlSY_E_NS1_11comp_targetILNS1_3genE4ELNS1_11target_archE910ELNS1_3gpuE8ELNS1_3repE0EEENS1_30default_config_static_selectorELNS0_4arch9wavefront6targetE1EEEvT1_,comdat
	.protected	_ZN7rocprim17ROCPRIM_400000_NS6detail17trampoline_kernelINS0_14default_configENS1_29reduce_by_key_config_selectorIdlN6thrust23THRUST_200600_302600_NS4plusIlEEEEZZNS1_33reduce_by_key_impl_wrapped_configILNS1_25lookback_scan_determinismE0ES3_S9_PdNS6_17constant_iteratorIiNS6_11use_defaultESE_EENS6_10device_ptrIdEENSG_IlEEPmS8_NS6_8equal_toIdEEEE10hipError_tPvRmT2_T3_mT4_T5_T6_T7_T8_P12ihipStream_tbENKUlT_T0_E_clISt17integral_constantIbLb0EES12_IbLb1EEEEDaSY_SZ_EUlSY_E_NS1_11comp_targetILNS1_3genE4ELNS1_11target_archE910ELNS1_3gpuE8ELNS1_3repE0EEENS1_30default_config_static_selectorELNS0_4arch9wavefront6targetE1EEEvT1_ ; -- Begin function _ZN7rocprim17ROCPRIM_400000_NS6detail17trampoline_kernelINS0_14default_configENS1_29reduce_by_key_config_selectorIdlN6thrust23THRUST_200600_302600_NS4plusIlEEEEZZNS1_33reduce_by_key_impl_wrapped_configILNS1_25lookback_scan_determinismE0ES3_S9_PdNS6_17constant_iteratorIiNS6_11use_defaultESE_EENS6_10device_ptrIdEENSG_IlEEPmS8_NS6_8equal_toIdEEEE10hipError_tPvRmT2_T3_mT4_T5_T6_T7_T8_P12ihipStream_tbENKUlT_T0_E_clISt17integral_constantIbLb0EES12_IbLb1EEEEDaSY_SZ_EUlSY_E_NS1_11comp_targetILNS1_3genE4ELNS1_11target_archE910ELNS1_3gpuE8ELNS1_3repE0EEENS1_30default_config_static_selectorELNS0_4arch9wavefront6targetE1EEEvT1_
	.globl	_ZN7rocprim17ROCPRIM_400000_NS6detail17trampoline_kernelINS0_14default_configENS1_29reduce_by_key_config_selectorIdlN6thrust23THRUST_200600_302600_NS4plusIlEEEEZZNS1_33reduce_by_key_impl_wrapped_configILNS1_25lookback_scan_determinismE0ES3_S9_PdNS6_17constant_iteratorIiNS6_11use_defaultESE_EENS6_10device_ptrIdEENSG_IlEEPmS8_NS6_8equal_toIdEEEE10hipError_tPvRmT2_T3_mT4_T5_T6_T7_T8_P12ihipStream_tbENKUlT_T0_E_clISt17integral_constantIbLb0EES12_IbLb1EEEEDaSY_SZ_EUlSY_E_NS1_11comp_targetILNS1_3genE4ELNS1_11target_archE910ELNS1_3gpuE8ELNS1_3repE0EEENS1_30default_config_static_selectorELNS0_4arch9wavefront6targetE1EEEvT1_
	.p2align	8
	.type	_ZN7rocprim17ROCPRIM_400000_NS6detail17trampoline_kernelINS0_14default_configENS1_29reduce_by_key_config_selectorIdlN6thrust23THRUST_200600_302600_NS4plusIlEEEEZZNS1_33reduce_by_key_impl_wrapped_configILNS1_25lookback_scan_determinismE0ES3_S9_PdNS6_17constant_iteratorIiNS6_11use_defaultESE_EENS6_10device_ptrIdEENSG_IlEEPmS8_NS6_8equal_toIdEEEE10hipError_tPvRmT2_T3_mT4_T5_T6_T7_T8_P12ihipStream_tbENKUlT_T0_E_clISt17integral_constantIbLb0EES12_IbLb1EEEEDaSY_SZ_EUlSY_E_NS1_11comp_targetILNS1_3genE4ELNS1_11target_archE910ELNS1_3gpuE8ELNS1_3repE0EEENS1_30default_config_static_selectorELNS0_4arch9wavefront6targetE1EEEvT1_,@function
_ZN7rocprim17ROCPRIM_400000_NS6detail17trampoline_kernelINS0_14default_configENS1_29reduce_by_key_config_selectorIdlN6thrust23THRUST_200600_302600_NS4plusIlEEEEZZNS1_33reduce_by_key_impl_wrapped_configILNS1_25lookback_scan_determinismE0ES3_S9_PdNS6_17constant_iteratorIiNS6_11use_defaultESE_EENS6_10device_ptrIdEENSG_IlEEPmS8_NS6_8equal_toIdEEEE10hipError_tPvRmT2_T3_mT4_T5_T6_T7_T8_P12ihipStream_tbENKUlT_T0_E_clISt17integral_constantIbLb0EES12_IbLb1EEEEDaSY_SZ_EUlSY_E_NS1_11comp_targetILNS1_3genE4ELNS1_11target_archE910ELNS1_3gpuE8ELNS1_3repE0EEENS1_30default_config_static_selectorELNS0_4arch9wavefront6targetE1EEEvT1_: ; @_ZN7rocprim17ROCPRIM_400000_NS6detail17trampoline_kernelINS0_14default_configENS1_29reduce_by_key_config_selectorIdlN6thrust23THRUST_200600_302600_NS4plusIlEEEEZZNS1_33reduce_by_key_impl_wrapped_configILNS1_25lookback_scan_determinismE0ES3_S9_PdNS6_17constant_iteratorIiNS6_11use_defaultESE_EENS6_10device_ptrIdEENSG_IlEEPmS8_NS6_8equal_toIdEEEE10hipError_tPvRmT2_T3_mT4_T5_T6_T7_T8_P12ihipStream_tbENKUlT_T0_E_clISt17integral_constantIbLb0EES12_IbLb1EEEEDaSY_SZ_EUlSY_E_NS1_11comp_targetILNS1_3genE4ELNS1_11target_archE910ELNS1_3gpuE8ELNS1_3repE0EEENS1_30default_config_static_selectorELNS0_4arch9wavefront6targetE1EEEvT1_
; %bb.0:
	s_load_dwordx4 s[52:55], s[4:5], 0x20
	s_load_dwordx2 s[56:57], s[4:5], 0x30
	s_load_dwordx2 s[34:35], s[4:5], 0x80
	v_cmp_ne_u32_e64 s[2:3], 0, v0
	v_cmp_eq_u32_e64 s[0:1], 0, v0
	s_and_saveexec_b64 s[6:7], s[0:1]
	s_cbranch_execz .LBB1717_4
; %bb.1:
	s_mov_b64 s[10:11], exec
	v_mbcnt_lo_u32_b32 v1, s10, 0
	v_mbcnt_hi_u32_b32 v1, s11, v1
	v_cmp_eq_u32_e32 vcc, 0, v1
                                        ; implicit-def: $vgpr2
	s_and_saveexec_b64 s[8:9], vcc
	s_cbranch_execz .LBB1717_3
; %bb.2:
	s_load_dwordx2 s[12:13], s[4:5], 0x88
	s_bcnt1_i32_b64 s10, s[10:11]
	v_mov_b32_e32 v2, 0
	v_mov_b32_e32 v3, s10
	s_waitcnt lgkmcnt(0)
	global_atomic_add v2, v2, v3, s[12:13] glc
.LBB1717_3:
	s_or_b64 exec, exec, s[8:9]
	s_waitcnt vmcnt(0)
	v_readfirstlane_b32 s8, v2
	v_add_u32_e32 v1, s8, v1
	v_mov_b32_e32 v2, 0
	ds_write_b32 v2, v1
.LBB1717_4:
	s_or_b64 exec, exec, s[6:7]
	s_load_dwordx4 s[8:11], s[4:5], 0x0
	s_load_dword s6, s[4:5], 0x18
	s_load_dwordx16 s[36:51], s[4:5], 0x40
	v_mov_b32_e32 v3, 0
	s_waitcnt lgkmcnt(0)
	s_barrier
	ds_read_b32 v1, v3
	s_mul_i32 s4, s44, s43
	s_mul_hi_u32 s5, s44, s42
	s_add_i32 s4, s5, s4
	s_mul_i32 s5, s45, s42
	s_add_i32 s7, s4, s5
	s_lshl_b64 s[4:5], s[10:11], 3
	s_add_u32 s4, s8, s4
	s_mul_i32 s12, s44, s42
	s_addc_u32 s5, s9, s5
	s_waitcnt lgkmcnt(0)
	v_readfirstlane_b32 s62, v1
	s_add_u32 s30, s12, s62
	s_movk_i32 s8, 0xf00
	s_addc_u32 s31, s7, 0
	v_mul_lo_u32 v2, v1, s8
	s_add_u32 s10, s46, -1
	v_lshlrev_b64 v[2:3], 3, v[2:3]
	s_addc_u32 s11, s47, -1
	v_mov_b32_e32 v1, s5
	v_add_co_u32_e32 v76, vcc, s4, v2
	s_cmp_eq_u64 s[30:31], s[10:11]
	v_addc_co_u32_e32 v77, vcc, v1, v3, vcc
	s_cselect_b64 s[44:45], -1, 0
	s_cmp_lg_u64 s[30:31], s[10:11]
	s_mov_b64 s[8:9], -1
	s_cselect_b64 s[4:5], -1, 0
	s_mul_i32 s33, s10, 0xfffff100
	s_and_b64 vcc, exec, s[44:45]
	s_barrier
	s_cbranch_vccnz .LBB1717_6
; %bb.5:
	v_lshlrev_b32_e32 v38, 3, v0
	v_add_co_u32_e32 v1, vcc, v76, v38
	v_addc_co_u32_e32 v30, vcc, 0, v77, vcc
	v_add_co_u32_e32 v2, vcc, 0x1000, v1
	v_readfirstlane_b32 s8, v76
	v_readfirstlane_b32 s9, v77
	v_addc_co_u32_e32 v3, vcc, 0, v30, vcc
	s_nop 3
	global_load_dwordx2 v[4:5], v38, s[8:9]
	global_load_dwordx2 v[6:7], v38, s[8:9] offset:2048
	global_load_dwordx2 v[8:9], v[2:3], off
	global_load_dwordx2 v[10:11], v[2:3], off offset:2048
	v_add_co_u32_e32 v2, vcc, 0x2000, v1
	v_addc_co_u32_e32 v3, vcc, 0, v30, vcc
	v_add_co_u32_e32 v12, vcc, 0x3000, v1
	v_addc_co_u32_e32 v13, vcc, 0, v30, vcc
	global_load_dwordx2 v[14:15], v[2:3], off
	global_load_dwordx2 v[16:17], v[2:3], off offset:2048
	global_load_dwordx2 v[18:19], v[12:13], off
	global_load_dwordx2 v[20:21], v[12:13], off offset:2048
	v_add_co_u32_e32 v2, vcc, 0x4000, v1
	v_addc_co_u32_e32 v3, vcc, 0, v30, vcc
	v_add_co_u32_e32 v12, vcc, 0x5000, v1
	v_addc_co_u32_e32 v13, vcc, 0, v30, vcc
	global_load_dwordx2 v[22:23], v[2:3], off
	global_load_dwordx2 v[24:25], v[2:3], off offset:2048
	;; [unrolled: 8-line block ×3, first 2 shown]
	global_load_dwordx2 v[34:35], v[12:13], off
	s_movk_i32 s8, 0x70
	v_mad_u32_u24 v1, v0, s8, v38
	s_ashr_i32 s7, s6, 31
	v_pk_mov_b32 v[36:37], s[6:7], s[6:7] op_sel:[0,1]
	s_waitcnt vmcnt(13)
	ds_write2st64_b64 v38, v[4:5], v[6:7] offset1:4
	s_waitcnt vmcnt(11)
	ds_write2st64_b64 v38, v[8:9], v[10:11] offset0:8 offset1:12
	s_waitcnt vmcnt(9)
	ds_write2st64_b64 v38, v[14:15], v[16:17] offset0:16 offset1:20
	s_waitcnt vmcnt(7)
	ds_write2st64_b64 v38, v[18:19], v[20:21] offset0:24 offset1:28
	s_waitcnt vmcnt(5)
	ds_write2st64_b64 v38, v[22:23], v[24:25] offset0:32 offset1:36
	s_waitcnt vmcnt(3)
	ds_write2st64_b64 v38, v[26:27], v[28:29] offset0:40 offset1:44
	s_waitcnt vmcnt(1)
	ds_write2st64_b64 v38, v[30:31], v[32:33] offset0:48 offset1:52
	s_waitcnt vmcnt(0)
	ds_write_b64 v38, v[34:35] offset:28672
	s_waitcnt lgkmcnt(0)
	s_barrier
	ds_read2_b64 v[26:29], v1 offset1:1
	ds_read2_b64 v[22:25], v1 offset0:2 offset1:3
	ds_read2_b64 v[18:21], v1 offset0:4 offset1:5
	;; [unrolled: 1-line block ×6, first 2 shown]
	ds_read_b64 v[74:75], v1 offset:112
	s_waitcnt lgkmcnt(7)
	v_mov_b32_e32 v58, v26
	v_mov_b32_e32 v59, v27
	s_waitcnt lgkmcnt(6)
	v_mov_b32_e32 v60, v22
	v_mov_b32_e32 v61, v23
	;; [unrolled: 3-line block ×7, first 2 shown]
	s_waitcnt lgkmcnt(0)
	s_barrier
	ds_write2st64_b64 v38, v[36:37], v[36:37] offset1:4
	ds_write2st64_b64 v38, v[36:37], v[36:37] offset0:8 offset1:12
	ds_write2st64_b64 v38, v[36:37], v[36:37] offset0:16 offset1:20
	;; [unrolled: 1-line block ×6, first 2 shown]
	ds_write_b64 v38, v[36:37] offset:28672
	s_waitcnt lgkmcnt(0)
	s_barrier
	s_add_i32 s33, s33, s48
	s_cbranch_execz .LBB1717_7
	s_branch .LBB1717_38
.LBB1717_6:
                                        ; implicit-def: $vgpr74_vgpr75
                                        ; implicit-def: $vgpr2_vgpr3
                                        ; implicit-def: $vgpr6_vgpr7
                                        ; implicit-def: $vgpr10_vgpr11
                                        ; implicit-def: $vgpr14_vgpr15
                                        ; implicit-def: $vgpr18_vgpr19
                                        ; implicit-def: $vgpr22_vgpr23
                                        ; implicit-def: $vgpr26_vgpr27
                                        ; implicit-def: $vgpr1
                                        ; implicit-def: $vgpr66_vgpr67_vgpr68_vgpr69
                                        ; implicit-def: $vgpr62_vgpr63_vgpr64_vgpr65
                                        ; implicit-def: $vgpr58_vgpr59_vgpr60_vgpr61
                                        ; implicit-def: $vgpr70_vgpr71_vgpr72_vgpr73
	s_andn2_b64 vcc, exec, s[8:9]
	s_add_i32 s33, s33, s48
	s_cbranch_vccnz .LBB1717_38
.LBB1717_7:
	v_cmp_gt_u32_e32 vcc, s33, v0
                                        ; implicit-def: $vgpr2_vgpr3
	s_and_saveexec_b64 s[8:9], vcc
	s_cbranch_execz .LBB1717_9
; %bb.8:
	v_lshlrev_b32_e32 v1, 3, v0
	v_readfirstlane_b32 s10, v76
	v_readfirstlane_b32 s11, v77
	s_nop 4
	global_load_dwordx2 v[2:3], v1, s[10:11]
.LBB1717_9:
	s_or_b64 exec, exec, s[8:9]
	v_or_b32_e32 v1, 0x100, v0
	v_cmp_gt_u32_e32 vcc, s33, v1
                                        ; implicit-def: $vgpr4_vgpr5
	s_and_saveexec_b64 s[8:9], vcc
	s_cbranch_execz .LBB1717_11
; %bb.10:
	v_lshlrev_b32_e32 v1, 3, v0
	v_readfirstlane_b32 s10, v76
	v_readfirstlane_b32 s11, v77
	s_nop 4
	global_load_dwordx2 v[4:5], v1, s[10:11] offset:2048
.LBB1717_11:
	s_or_b64 exec, exec, s[8:9]
	v_or_b32_e32 v1, 0x200, v0
	v_cmp_gt_u32_e32 vcc, s33, v1
                                        ; implicit-def: $vgpr6_vgpr7
	s_and_saveexec_b64 s[8:9], vcc
	s_cbranch_execz .LBB1717_13
; %bb.12:
	v_lshlrev_b32_e32 v1, 3, v1
	v_readfirstlane_b32 s10, v76
	v_readfirstlane_b32 s11, v77
	s_nop 4
	global_load_dwordx2 v[6:7], v1, s[10:11]
.LBB1717_13:
	s_or_b64 exec, exec, s[8:9]
	v_or_b32_e32 v1, 0x300, v0
	v_cmp_gt_u32_e32 vcc, s33, v1
                                        ; implicit-def: $vgpr8_vgpr9
	s_and_saveexec_b64 s[8:9], vcc
	s_cbranch_execz .LBB1717_15
; %bb.14:
	v_lshlrev_b32_e32 v1, 3, v1
	v_readfirstlane_b32 s10, v76
	v_readfirstlane_b32 s11, v77
	s_nop 4
	global_load_dwordx2 v[8:9], v1, s[10:11]
.LBB1717_15:
	s_or_b64 exec, exec, s[8:9]
	v_or_b32_e32 v1, 0x400, v0
	v_cmp_gt_u32_e32 vcc, s33, v1
                                        ; implicit-def: $vgpr10_vgpr11
	s_and_saveexec_b64 s[8:9], vcc
	s_cbranch_execz .LBB1717_17
; %bb.16:
	v_lshlrev_b32_e32 v1, 3, v1
	v_readfirstlane_b32 s10, v76
	v_readfirstlane_b32 s11, v77
	s_nop 4
	global_load_dwordx2 v[10:11], v1, s[10:11]
.LBB1717_17:
	s_or_b64 exec, exec, s[8:9]
	v_or_b32_e32 v1, 0x500, v0
	v_cmp_gt_u32_e32 vcc, s33, v1
                                        ; implicit-def: $vgpr12_vgpr13
	s_and_saveexec_b64 s[8:9], vcc
	s_cbranch_execz .LBB1717_19
; %bb.18:
	v_lshlrev_b32_e32 v1, 3, v1
	v_readfirstlane_b32 s10, v76
	v_readfirstlane_b32 s11, v77
	s_nop 4
	global_load_dwordx2 v[12:13], v1, s[10:11]
.LBB1717_19:
	s_or_b64 exec, exec, s[8:9]
	v_or_b32_e32 v1, 0x600, v0
	v_cmp_gt_u32_e32 vcc, s33, v1
                                        ; implicit-def: $vgpr14_vgpr15
	s_and_saveexec_b64 s[8:9], vcc
	s_cbranch_execz .LBB1717_21
; %bb.20:
	v_lshlrev_b32_e32 v1, 3, v1
	v_readfirstlane_b32 s10, v76
	v_readfirstlane_b32 s11, v77
	s_nop 4
	global_load_dwordx2 v[14:15], v1, s[10:11]
.LBB1717_21:
	s_or_b64 exec, exec, s[8:9]
	v_or_b32_e32 v1, 0x700, v0
	v_cmp_gt_u32_e32 vcc, s33, v1
                                        ; implicit-def: $vgpr16_vgpr17
	s_and_saveexec_b64 s[8:9], vcc
	s_cbranch_execz .LBB1717_23
; %bb.22:
	v_lshlrev_b32_e32 v1, 3, v1
	v_readfirstlane_b32 s10, v76
	v_readfirstlane_b32 s11, v77
	s_nop 4
	global_load_dwordx2 v[16:17], v1, s[10:11]
.LBB1717_23:
	s_or_b64 exec, exec, s[8:9]
	v_or_b32_e32 v1, 0x800, v0
	v_cmp_gt_u32_e32 vcc, s33, v1
                                        ; implicit-def: $vgpr18_vgpr19
	s_and_saveexec_b64 s[8:9], vcc
	s_cbranch_execz .LBB1717_25
; %bb.24:
	v_lshlrev_b32_e32 v1, 3, v1
	v_readfirstlane_b32 s10, v76
	v_readfirstlane_b32 s11, v77
	s_nop 4
	global_load_dwordx2 v[18:19], v1, s[10:11]
.LBB1717_25:
	s_or_b64 exec, exec, s[8:9]
	v_or_b32_e32 v1, 0x900, v0
	v_cmp_gt_u32_e32 vcc, s33, v1
                                        ; implicit-def: $vgpr20_vgpr21
	s_and_saveexec_b64 s[8:9], vcc
	s_cbranch_execz .LBB1717_27
; %bb.26:
	v_lshlrev_b32_e32 v1, 3, v1
	v_readfirstlane_b32 s10, v76
	v_readfirstlane_b32 s11, v77
	s_nop 4
	global_load_dwordx2 v[20:21], v1, s[10:11]
.LBB1717_27:
	s_or_b64 exec, exec, s[8:9]
	v_or_b32_e32 v1, 0xa00, v0
	v_cmp_gt_u32_e32 vcc, s33, v1
                                        ; implicit-def: $vgpr22_vgpr23
	s_and_saveexec_b64 s[8:9], vcc
	s_cbranch_execz .LBB1717_29
; %bb.28:
	v_lshlrev_b32_e32 v1, 3, v1
	v_readfirstlane_b32 s10, v76
	v_readfirstlane_b32 s11, v77
	s_nop 4
	global_load_dwordx2 v[22:23], v1, s[10:11]
.LBB1717_29:
	s_or_b64 exec, exec, s[8:9]
	v_or_b32_e32 v1, 0xb00, v0
	v_cmp_gt_u32_e32 vcc, s33, v1
                                        ; implicit-def: $vgpr24_vgpr25
	s_and_saveexec_b64 s[8:9], vcc
	s_cbranch_execz .LBB1717_31
; %bb.30:
	v_lshlrev_b32_e32 v1, 3, v1
	v_readfirstlane_b32 s10, v76
	v_readfirstlane_b32 s11, v77
	s_nop 4
	global_load_dwordx2 v[24:25], v1, s[10:11]
.LBB1717_31:
	s_or_b64 exec, exec, s[8:9]
	v_or_b32_e32 v1, 0xc00, v0
	v_cmp_gt_u32_e32 vcc, s33, v1
                                        ; implicit-def: $vgpr26_vgpr27
	s_and_saveexec_b64 s[8:9], vcc
	s_cbranch_execz .LBB1717_33
; %bb.32:
	v_lshlrev_b32_e32 v1, 3, v1
	v_readfirstlane_b32 s10, v76
	v_readfirstlane_b32 s11, v77
	s_nop 4
	global_load_dwordx2 v[26:27], v1, s[10:11]
.LBB1717_33:
	s_or_b64 exec, exec, s[8:9]
	v_or_b32_e32 v1, 0xd00, v0
	v_cmp_gt_u32_e32 vcc, s33, v1
                                        ; implicit-def: $vgpr28_vgpr29
	s_and_saveexec_b64 s[8:9], vcc
	s_cbranch_execz .LBB1717_35
; %bb.34:
	v_lshlrev_b32_e32 v1, 3, v1
	v_readfirstlane_b32 s10, v76
	v_readfirstlane_b32 s11, v77
	s_nop 4
	global_load_dwordx2 v[28:29], v1, s[10:11]
.LBB1717_35:
	s_or_b64 exec, exec, s[8:9]
	v_or_b32_e32 v1, 0xe00, v0
	v_cmp_gt_u32_e32 vcc, s33, v1
                                        ; implicit-def: $vgpr30_vgpr31
	s_and_saveexec_b64 s[8:9], vcc
	s_cbranch_execz .LBB1717_37
; %bb.36:
	v_lshlrev_b32_e32 v1, 3, v1
	v_readfirstlane_b32 s10, v76
	v_readfirstlane_b32 s11, v77
	s_nop 4
	global_load_dwordx2 v[30:31], v1, s[10:11]
.LBB1717_37:
	s_or_b64 exec, exec, s[8:9]
	v_lshlrev_b32_e32 v32, 3, v0
	s_movk_i32 s7, 0x70
	v_mad_u32_u24 v1, v0, s7, v32
	s_waitcnt vmcnt(0)
	ds_write2st64_b64 v32, v[2:3], v[4:5] offset1:4
	ds_write2st64_b64 v32, v[6:7], v[8:9] offset0:8 offset1:12
	ds_write2st64_b64 v32, v[10:11], v[12:13] offset0:16 offset1:20
	;; [unrolled: 1-line block ×6, first 2 shown]
	ds_write_b64 v32, v[30:31] offset:28672
	s_waitcnt lgkmcnt(0)
	s_barrier
	ds_read2_b64 v[26:29], v1 offset1:1
	ds_read2_b64 v[22:25], v1 offset0:2 offset1:3
	ds_read2_b64 v[18:21], v1 offset0:4 offset1:5
	;; [unrolled: 1-line block ×6, first 2 shown]
	ds_read_b64 v[74:75], v1 offset:112
	s_ashr_i32 s7, s6, 31
	v_pk_mov_b32 v[30:31], s[6:7], s[6:7] op_sel:[0,1]
	s_waitcnt lgkmcnt(7)
	v_mov_b32_e32 v58, v26
	v_mov_b32_e32 v59, v27
	s_waitcnt lgkmcnt(6)
	v_mov_b32_e32 v60, v22
	v_mov_b32_e32 v61, v23
	;; [unrolled: 3-line block ×7, first 2 shown]
	s_waitcnt lgkmcnt(0)
	s_barrier
	ds_write2st64_b64 v32, v[30:31], v[30:31] offset1:4
	ds_write2st64_b64 v32, v[30:31], v[30:31] offset0:8 offset1:12
	ds_write2st64_b64 v32, v[30:31], v[30:31] offset0:16 offset1:20
	;; [unrolled: 1-line block ×6, first 2 shown]
	ds_write_b64 v32, v[30:31] offset:28672
	s_waitcnt lgkmcnt(0)
	s_barrier
.LBB1717_38:
	ds_read2_b64 v[54:57], v1 offset1:1
	ds_read2_b64 v[50:53], v1 offset0:2 offset1:3
	ds_read2_b64 v[46:49], v1 offset0:4 offset1:5
	;; [unrolled: 1-line block ×6, first 2 shown]
	ds_read_b64 v[72:73], v1 offset:112
	s_cmp_eq_u64 s[30:31], 0
	s_cselect_b64 s[46:47], -1, 0
	s_cmp_lg_u64 s[30:31], 0
	s_mov_b64 s[58:59], 0
	s_cselect_b64 s[60:61], -1, 0
	s_and_b64 vcc, exec, s[4:5]
	s_waitcnt lgkmcnt(0)
	s_barrier
	s_cbranch_vccz .LBB1717_44
; %bb.39:
	s_and_b64 vcc, exec, s[60:61]
	s_cbranch_vccz .LBB1717_45
; %bb.40:
	global_load_dwordx2 v[78:79], v[76:77], off offset:-8
	v_lshlrev_b32_e32 v1, 3, v0
	v_cmp_neq_f64_e32 vcc, v[4:5], v[74:75]
	v_cmp_neq_f64_e64 s[4:5], v[2:3], v[4:5]
	v_cmp_neq_f64_e64 s[6:7], v[8:9], v[2:3]
	;; [unrolled: 1-line block ×13, first 2 shown]
	ds_write_b64 v1, v[74:75]
	s_waitcnt lgkmcnt(0)
	s_barrier
	s_and_saveexec_b64 s[58:59], s[2:3]
	s_cbranch_execz .LBB1717_42
; %bb.41:
	v_add_u32_e32 v1, -8, v1
	s_waitcnt vmcnt(0)
	ds_read_b64 v[78:79], v1
.LBB1717_42:
	s_or_b64 exec, exec, s[58:59]
	v_cndmask_b32_e64 v1, 0, 1, vcc
	v_cndmask_b32_e64 v100, 0, 1, s[4:5]
	v_cndmask_b32_e64 v101, 0, 1, s[6:7]
	;; [unrolled: 1-line block ×13, first 2 shown]
	s_waitcnt vmcnt(0) lgkmcnt(0)
	v_cmp_neq_f64_e64 s[4:5], v[78:79], v[26:27]
	s_mov_b64 s[58:59], -1
.LBB1717_43:
                                        ; implicit-def: $sgpr8
	s_branch .LBB1717_57
.LBB1717_44:
                                        ; implicit-def: $sgpr4_sgpr5
                                        ; implicit-def: $vgpr1
                                        ; implicit-def: $vgpr100
                                        ; implicit-def: $vgpr101
                                        ; implicit-def: $vgpr102
                                        ; implicit-def: $vgpr103
                                        ; implicit-def: $vgpr104
                                        ; implicit-def: $vgpr105
                                        ; implicit-def: $vgpr106
                                        ; implicit-def: $vgpr107
                                        ; implicit-def: $vgpr108
                                        ; implicit-def: $vgpr109
                                        ; implicit-def: $vgpr110
                                        ; implicit-def: $vgpr111
                                        ; implicit-def: $vgpr112
                                        ; implicit-def: $sgpr8
	s_cbranch_execnz .LBB1717_49
	s_branch .LBB1717_57
.LBB1717_45:
                                        ; implicit-def: $sgpr4_sgpr5
                                        ; implicit-def: $vgpr1
                                        ; implicit-def: $vgpr100
                                        ; implicit-def: $vgpr101
                                        ; implicit-def: $vgpr102
                                        ; implicit-def: $vgpr103
                                        ; implicit-def: $vgpr104
                                        ; implicit-def: $vgpr105
                                        ; implicit-def: $vgpr106
                                        ; implicit-def: $vgpr107
                                        ; implicit-def: $vgpr108
                                        ; implicit-def: $vgpr109
                                        ; implicit-def: $vgpr110
                                        ; implicit-def: $vgpr111
                                        ; implicit-def: $vgpr112
	s_cbranch_execz .LBB1717_43
; %bb.46:
	v_cmp_neq_f64_e32 vcc, v[28:29], v[58:59]
	v_cndmask_b32_e64 v112, 0, 1, vcc
	v_cmp_neq_f64_e32 vcc, v[28:29], v[60:61]
	v_cndmask_b32_e64 v111, 0, 1, vcc
	;; [unrolled: 2-line block ×13, first 2 shown]
	v_cmp_neq_f64_e32 vcc, v[4:5], v[74:75]
	v_lshlrev_b32_e32 v78, 3, v0
	v_cndmask_b32_e64 v1, 0, 1, vcc
	ds_write_b64 v78, v[74:75]
	s_waitcnt lgkmcnt(0)
	s_barrier
	s_waitcnt lgkmcnt(0)
                                        ; implicit-def: $sgpr4_sgpr5
	s_and_saveexec_b64 s[6:7], s[2:3]
	s_xor_b64 s[6:7], exec, s[6:7]
	s_cbranch_execz .LBB1717_48
; %bb.47:
	v_add_u32_e32 v58, -8, v78
	ds_read_b64 v[58:59], v58
	s_or_b64 s[58:59], s[58:59], exec
	s_waitcnt lgkmcnt(0)
	v_cmp_neq_f64_e32 vcc, v[58:59], v[26:27]
	s_and_b64 s[4:5], vcc, exec
.LBB1717_48:
	s_or_b64 exec, exec, s[6:7]
	s_mov_b32 s8, 1
	s_branch .LBB1717_57
.LBB1717_49:
	s_mul_hi_u32 s5, s30, 0xfffff100
	s_mul_i32 s4, s31, 0xfffff100
	s_sub_i32 s5, s5, s30
	s_add_i32 s5, s5, s4
	s_mul_i32 s4, s30, 0xfffff100
	s_add_u32 s48, s4, s48
	s_addc_u32 s49, s5, s49
	s_and_b64 vcc, exec, s[60:61]
	v_cmp_neq_f64_e64 s[30:31], v[4:5], v[74:75]
	v_cmp_neq_f64_e64 s[28:29], v[2:3], v[4:5]
	;; [unrolled: 1-line block ×14, first 2 shown]
	v_mad_u32_u24 v58, v0, 15, 14
	v_mad_u32_u24 v90, v0, 15, 13
	;; [unrolled: 1-line block ×14, first 2 shown]
	s_cbranch_vccz .LBB1717_54
; %bb.50:
	global_load_dwordx2 v[76:77], v[76:77], off offset:-8
	v_mov_b32_e32 v59, 0
	v_cmp_gt_u64_e32 vcc, s[48:49], v[58:59]
	v_mov_b32_e32 v91, v59
	s_and_b64 s[30:31], vcc, s[30:31]
	v_cmp_gt_u64_e32 vcc, s[48:49], v[90:91]
	v_mov_b32_e32 v89, v59
	s_and_b64 s[28:29], vcc, s[28:29]
	;; [unrolled: 3-line block ×13, first 2 shown]
	v_cmp_gt_u64_e32 vcc, s[48:49], v[60:61]
	v_lshlrev_b32_e32 v1, 3, v0
	v_mul_u32_u24_e32 v92, 15, v0
	s_and_b64 s[4:5], vcc, s[4:5]
	ds_write_b64 v1, v[74:75]
	s_waitcnt lgkmcnt(0)
	s_barrier
	s_and_saveexec_b64 s[58:59], s[2:3]
	s_cbranch_execz .LBB1717_52
; %bb.51:
	v_add_u32_e32 v1, -8, v1
	s_waitcnt vmcnt(0)
	ds_read_b64 v[76:77], v1
.LBB1717_52:
	s_or_b64 exec, exec, s[58:59]
	v_mov_b32_e32 v93, v59
	v_cndmask_b32_e64 v112, 0, 1, s[4:5]
	v_cmp_gt_u64_e32 vcc, s[48:49], v[92:93]
	s_waitcnt vmcnt(0) lgkmcnt(0)
	v_cmp_neq_f64_e64 s[4:5], v[76:77], v[26:27]
	v_cndmask_b32_e64 v1, 0, 1, s[30:31]
	v_cndmask_b32_e64 v100, 0, 1, s[28:29]
	;; [unrolled: 1-line block ×13, first 2 shown]
	s_and_b64 s[4:5], vcc, s[4:5]
	s_mov_b64 s[58:59], -1
.LBB1717_53:
                                        ; implicit-def: $sgpr8
	v_mov_b32_e32 v113, s8
	s_and_saveexec_b64 s[2:3], s[58:59]
	s_cbranch_execnz .LBB1717_58
	s_branch .LBB1717_59
.LBB1717_54:
                                        ; implicit-def: $sgpr4_sgpr5
                                        ; implicit-def: $vgpr1
                                        ; implicit-def: $vgpr100
                                        ; implicit-def: $vgpr101
                                        ; implicit-def: $vgpr102
                                        ; implicit-def: $vgpr103
                                        ; implicit-def: $vgpr104
                                        ; implicit-def: $vgpr105
                                        ; implicit-def: $vgpr106
                                        ; implicit-def: $vgpr107
                                        ; implicit-def: $vgpr108
                                        ; implicit-def: $vgpr109
                                        ; implicit-def: $vgpr110
                                        ; implicit-def: $vgpr111
                                        ; implicit-def: $vgpr112
	s_cbranch_execz .LBB1717_53
; %bb.55:
	v_mov_b32_e32 v59, 0
	v_cmp_gt_u64_e32 vcc, s[48:49], v[58:59]
	v_cmp_neq_f64_e64 s[4:5], v[4:5], v[74:75]
	s_and_b64 s[4:5], vcc, s[4:5]
	v_mov_b32_e32 v91, v59
	v_cndmask_b32_e64 v1, 0, 1, s[4:5]
	v_cmp_gt_u64_e32 vcc, s[48:49], v[90:91]
	v_cmp_neq_f64_e64 s[4:5], v[2:3], v[4:5]
	s_and_b64 s[4:5], vcc, s[4:5]
	v_mov_b32_e32 v89, v59
	v_cndmask_b32_e64 v100, 0, 1, s[4:5]
	;; [unrolled: 5-line block ×13, first 2 shown]
	v_cmp_gt_u64_e32 vcc, s[48:49], v[60:61]
	v_cmp_neq_f64_e64 s[4:5], v[26:27], v[28:29]
	s_and_b64 s[4:5], vcc, s[4:5]
	v_lshlrev_b32_e32 v76, 3, v0
	s_mov_b32 s8, 1
	v_cndmask_b32_e64 v112, 0, 1, s[4:5]
	ds_write_b64 v76, v[74:75]
	s_waitcnt lgkmcnt(0)
	s_barrier
	s_waitcnt lgkmcnt(0)
                                        ; implicit-def: $sgpr4_sgpr5
	s_and_saveexec_b64 s[6:7], s[2:3]
	s_cbranch_execz .LBB1717_194
; %bb.56:
	v_add_u32_e32 v58, -8, v76
	ds_read_b64 v[60:61], v58
	v_mul_u32_u24_e32 v58, 15, v0
	v_cmp_gt_u64_e32 vcc, s[48:49], v[58:59]
	s_or_b64 s[58:59], s[58:59], exec
	s_waitcnt lgkmcnt(0)
	v_cmp_neq_f64_e64 s[2:3], v[60:61], v[26:27]
	s_and_b64 s[2:3], vcc, s[2:3]
	s_and_b64 s[4:5], s[2:3], exec
	s_or_b64 exec, exec, s[6:7]
.LBB1717_57:
	v_mov_b32_e32 v113, s8
	s_and_saveexec_b64 s[2:3], s[58:59]
.LBB1717_58:
	v_cndmask_b32_e64 v113, 0, 1, s[4:5]
.LBB1717_59:
	s_or_b64 exec, exec, s[2:3]
	s_cmp_eq_u64 s[42:43], 0
	v_add3_u32 v58, v112, v113, v111
	v_mov_b32_e32 v96, v54
	v_mov_b32_e32 v97, v55
	s_cselect_b64 s[30:31], -1, 0
	s_cmp_lg_u32 s62, 0
	v_cmp_eq_u32_e64 s[26:27], 0, v112
	v_cmp_eq_u32_e64 s[24:25], 0, v111
	v_cmp_eq_u32_e64 s[22:23], 0, v110
	v_add3_u32 v115, v58, v110, v109
	v_cmp_eq_u32_e64 s[20:21], 0, v109
	v_cmp_eq_u32_e64 s[18:19], 0, v108
	;; [unrolled: 1-line block ×10, first 2 shown]
	v_cmp_eq_u32_e32 vcc, 0, v1
	v_mbcnt_lo_u32_b32 v114, -1, 0
	s_cbranch_scc0 .LBB1717_126
; %bb.60:
	v_cndmask_b32_e64 v59, 0, v54, s[26:27]
	v_cndmask_b32_e64 v58, 0, v55, s[26:27]
	v_add_co_u32_e64 v59, s[28:29], v59, v56
	v_addc_co_u32_e64 v58, s[28:29], v58, v57, s[28:29]
	v_cndmask_b32_e64 v59, 0, v59, s[24:25]
	v_cndmask_b32_e64 v58, 0, v58, s[24:25]
	v_add_co_u32_e64 v59, s[28:29], v59, v50
	v_addc_co_u32_e64 v58, s[28:29], v58, v51, s[28:29]
	;; [unrolled: 4-line block ×11, first 2 shown]
	v_cndmask_b32_e64 v59, 0, v59, s[4:5]
	v_add3_u32 v60, v115, v108, v107
	v_cndmask_b32_e64 v58, 0, v58, s[4:5]
	v_add_co_u32_e64 v59, s[28:29], v59, v30
	v_add3_u32 v60, v60, v106, v105
	v_addc_co_u32_e64 v58, s[28:29], v58, v31, s[28:29]
	v_cndmask_b32_e64 v59, 0, v59, s[2:3]
	v_add3_u32 v60, v60, v104, v103
	v_cndmask_b32_e64 v58, 0, v58, s[2:3]
	v_add_co_u32_e64 v59, s[28:29], v59, v32
	v_add3_u32 v60, v60, v102, v101
	v_addc_co_u32_e64 v58, s[28:29], v58, v33, s[28:29]
	v_cndmask_b32_e32 v59, 0, v59, vcc
	v_add3_u32 v62, v60, v100, v1
	v_cndmask_b32_e32 v58, 0, v58, vcc
	v_add_co_u32_e32 v60, vcc, v59, v72
	v_mbcnt_hi_u32_b32 v63, -1, v114
	v_addc_co_u32_e32 v61, vcc, v58, v73, vcc
	v_and_b32_e32 v58, 15, v63
	v_mov_b32_dpp v64, v62 row_shr:1 row_mask:0xf bank_mask:0xf
	v_mov_b32_dpp v59, v60 row_shr:1 row_mask:0xf bank_mask:0xf
	;; [unrolled: 1-line block ×3, first 2 shown]
	v_cmp_ne_u32_e32 vcc, 0, v58
	s_and_saveexec_b64 s[28:29], vcc
; %bb.61:
	v_cmp_eq_u32_e32 vcc, 0, v62
	v_cndmask_b32_e32 v59, 0, v59, vcc
	v_add_u32_e32 v64, v64, v62
	v_cndmask_b32_e32 v62, 0, v65, vcc
	v_add_co_u32_e32 v60, vcc, v59, v60
	v_addc_co_u32_e32 v61, vcc, v62, v61, vcc
	v_mov_b32_e32 v62, v64
; %bb.62:
	s_or_b64 exec, exec, s[28:29]
	s_nop 0
	v_mov_b32_dpp v64, v62 row_shr:2 row_mask:0xf bank_mask:0xf
	v_mov_b32_dpp v59, v60 row_shr:2 row_mask:0xf bank_mask:0xf
	v_mov_b32_dpp v65, v61 row_shr:2 row_mask:0xf bank_mask:0xf
	v_cmp_lt_u32_e32 vcc, 1, v58
	s_and_saveexec_b64 s[28:29], vcc
; %bb.63:
	v_cmp_eq_u32_e32 vcc, 0, v62
	v_cndmask_b32_e32 v59, 0, v59, vcc
	v_add_u32_e32 v64, v64, v62
	v_cndmask_b32_e32 v62, 0, v65, vcc
	v_add_co_u32_e32 v60, vcc, v59, v60
	v_addc_co_u32_e32 v61, vcc, v62, v61, vcc
	v_mov_b32_e32 v62, v64
; %bb.64:
	s_or_b64 exec, exec, s[28:29]
	s_nop 0
	v_mov_b32_dpp v64, v62 row_shr:4 row_mask:0xf bank_mask:0xf
	v_mov_b32_dpp v59, v60 row_shr:4 row_mask:0xf bank_mask:0xf
	v_mov_b32_dpp v65, v61 row_shr:4 row_mask:0xf bank_mask:0xf
	v_cmp_lt_u32_e32 vcc, 3, v58
	;; [unrolled: 16-line block ×3, first 2 shown]
	s_and_saveexec_b64 s[28:29], vcc
; %bb.67:
	v_cmp_eq_u32_e32 vcc, 0, v62
	v_cndmask_b32_e32 v59, 0, v59, vcc
	v_add_u32_e32 v58, v64, v62
	v_cndmask_b32_e32 v62, 0, v65, vcc
	v_add_co_u32_e32 v60, vcc, v59, v60
	v_addc_co_u32_e32 v61, vcc, v62, v61, vcc
	v_mov_b32_e32 v62, v58
; %bb.68:
	s_or_b64 exec, exec, s[28:29]
	v_and_b32_e32 v65, 16, v63
	v_mov_b32_dpp v59, v62 row_bcast:15 row_mask:0xf bank_mask:0xf
	v_mov_b32_dpp v58, v60 row_bcast:15 row_mask:0xf bank_mask:0xf
	;; [unrolled: 1-line block ×3, first 2 shown]
	v_cmp_ne_u32_e32 vcc, 0, v65
	s_and_saveexec_b64 s[28:29], vcc
; %bb.69:
	v_cmp_eq_u32_e32 vcc, 0, v62
	v_cndmask_b32_e32 v58, 0, v58, vcc
	v_add_u32_e32 v59, v59, v62
	v_cndmask_b32_e32 v62, 0, v64, vcc
	v_add_co_u32_e32 v60, vcc, v58, v60
	v_addc_co_u32_e32 v61, vcc, v62, v61, vcc
	v_mov_b32_e32 v62, v59
; %bb.70:
	s_or_b64 exec, exec, s[28:29]
	s_nop 0
	v_mov_b32_dpp v59, v62 row_bcast:31 row_mask:0xf bank_mask:0xf
	v_mov_b32_dpp v58, v60 row_bcast:31 row_mask:0xf bank_mask:0xf
	;; [unrolled: 1-line block ×3, first 2 shown]
	v_cmp_lt_u32_e32 vcc, 31, v63
	s_and_saveexec_b64 s[28:29], vcc
; %bb.71:
	v_cmp_eq_u32_e32 vcc, 0, v62
	v_cndmask_b32_e32 v58, 0, v58, vcc
	v_add_u32_e32 v59, v59, v62
	v_cndmask_b32_e32 v62, 0, v64, vcc
	v_add_co_u32_e32 v60, vcc, v58, v60
	v_addc_co_u32_e32 v61, vcc, v62, v61, vcc
	v_mov_b32_e32 v62, v59
; %bb.72:
	s_or_b64 exec, exec, s[28:29]
	v_lshrrev_b32_e32 v58, 6, v0
	v_or_b32_e32 v59, 63, v0
	v_cmp_eq_u32_e32 vcc, v59, v0
	v_lshlrev_b32_e32 v64, 4, v58
	s_and_saveexec_b64 s[28:29], vcc
	s_cbranch_execz .LBB1717_74
; %bb.73:
	ds_write_b32 v64, v62 offset:4128
	ds_write_b64 v64, v[60:61] offset:4136
.LBB1717_74:
	s_or_b64 exec, exec, s[28:29]
	v_cmp_gt_u32_e32 vcc, 4, v0
	s_waitcnt lgkmcnt(0)
	s_barrier
	s_and_saveexec_b64 s[28:29], vcc
	s_cbranch_execz .LBB1717_80
; %bb.75:
	v_lshlrev_b32_e32 v65, 4, v0
	ds_read_b32 v66, v65 offset:4128
	ds_read_b64 v[58:59], v65 offset:4136
	v_and_b32_e32 v67, 3, v63
	v_cmp_ne_u32_e32 vcc, 0, v67
	s_waitcnt lgkmcnt(1)
	v_mov_b32_dpp v69, v66 row_shr:1 row_mask:0xf bank_mask:0xf
	s_waitcnt lgkmcnt(0)
	v_mov_b32_dpp v68, v58 row_shr:1 row_mask:0xf bank_mask:0xf
	v_mov_b32_dpp v70, v59 row_shr:1 row_mask:0xf bank_mask:0xf
	s_and_saveexec_b64 s[42:43], vcc
; %bb.76:
	v_cmp_eq_u32_e32 vcc, 0, v66
	v_cndmask_b32_e32 v68, 0, v68, vcc
	v_add_u32_e32 v69, v69, v66
	v_cndmask_b32_e32 v66, 0, v70, vcc
	v_add_co_u32_e32 v58, vcc, v68, v58
	v_addc_co_u32_e32 v59, vcc, v66, v59, vcc
	v_mov_b32_e32 v66, v69
; %bb.77:
	s_or_b64 exec, exec, s[42:43]
	s_nop 0
	v_mov_b32_dpp v69, v66 row_shr:2 row_mask:0xf bank_mask:0xf
	v_mov_b32_dpp v68, v58 row_shr:2 row_mask:0xf bank_mask:0xf
	;; [unrolled: 1-line block ×3, first 2 shown]
	v_cmp_lt_u32_e32 vcc, 1, v67
	s_and_saveexec_b64 s[42:43], vcc
; %bb.78:
	v_cmp_eq_u32_e32 vcc, 0, v66
	v_cndmask_b32_e32 v68, 0, v68, vcc
	v_add_u32_e32 v67, v69, v66
	v_cndmask_b32_e32 v66, 0, v70, vcc
	v_add_co_u32_e32 v58, vcc, v68, v58
	v_addc_co_u32_e32 v59, vcc, v66, v59, vcc
	v_mov_b32_e32 v66, v67
; %bb.79:
	s_or_b64 exec, exec, s[42:43]
	ds_write_b32 v65, v66 offset:4128
	ds_write_b64 v65, v[58:59] offset:4136
.LBB1717_80:
	s_or_b64 exec, exec, s[28:29]
	v_cmp_gt_u32_e32 vcc, 64, v0
	v_cmp_lt_u32_e64 s[28:29], 63, v0
	v_pk_mov_b32 v[58:59], 0, 0
	v_mov_b32_e32 v70, 0
	s_waitcnt lgkmcnt(0)
	s_barrier
	s_and_saveexec_b64 s[42:43], s[28:29]
	s_cbranch_execz .LBB1717_82
; %bb.81:
	ds_read_b32 v70, v64 offset:4112
	ds_read_b64 v[58:59], v64 offset:4120
	v_cmp_eq_u32_e64 s[28:29], 0, v62
	s_waitcnt lgkmcnt(1)
	v_add_u32_e32 v64, v70, v62
	s_waitcnt lgkmcnt(0)
	v_cndmask_b32_e64 v65, 0, v58, s[28:29]
	v_cndmask_b32_e64 v62, 0, v59, s[28:29]
	v_add_co_u32_e64 v60, s[28:29], v65, v60
	v_addc_co_u32_e64 v61, s[28:29], v62, v61, s[28:29]
	v_mov_b32_e32 v62, v64
.LBB1717_82:
	s_or_b64 exec, exec, s[42:43]
	v_add_u32_e32 v64, -1, v63
	v_and_b32_e32 v65, 64, v63
	v_cmp_lt_i32_e64 s[28:29], v64, v65
	v_cndmask_b32_e64 v64, v64, v63, s[28:29]
	v_lshlrev_b32_e32 v64, 2, v64
	ds_bpermute_b32 v71, v64, v62
	ds_bpermute_b32 v76, v64, v60
	;; [unrolled: 1-line block ×3, first 2 shown]
	v_cmp_eq_u32_e64 s[28:29], 0, v63
	s_and_saveexec_b64 s[42:43], vcc
	s_cbranch_execz .LBB1717_125
; %bb.83:
	v_mov_b32_e32 v65, 0
	ds_read_b32 v78, v65 offset:4176
	ds_read_b64 v[60:61], v65 offset:4184
	s_and_saveexec_b64 s[48:49], s[28:29]
	s_cbranch_execz .LBB1717_85
; %bb.84:
	s_add_i32 s58, s62, 64
	s_mov_b32 s59, 0
	s_lshl_b64 s[60:61], s[58:59], 4
	s_add_u32 s60, s36, s60
	s_addc_u32 s61, s37, s61
	v_mov_b32_e32 v62, s58
	v_mov_b32_e32 v64, 1
	s_waitcnt lgkmcnt(1)
	global_store_dword v65, v78, s[60:61]
	s_waitcnt lgkmcnt(0)
	global_store_dwordx2 v65, v[60:61], s[60:61] offset:8
	s_waitcnt vmcnt(0)
	buffer_wbinvl1_vol
	global_store_byte v62, v64, s[40:41]
.LBB1717_85:
	s_or_b64 exec, exec, s[48:49]
	v_xad_u32 v62, v63, -1, s62
	v_add_u32_e32 v64, 64, v62
	global_load_ubyte v79, v64, s[40:41] glc
	s_waitcnt vmcnt(0)
	v_cmp_eq_u16_e32 vcc, 0, v79
	s_and_saveexec_b64 s[48:49], vcc
	s_cbranch_execz .LBB1717_89
; %bb.86:
	v_mov_b32_e32 v67, s41
	v_add_co_u32_e32 v66, vcc, s40, v64
	v_addc_co_u32_e32 v67, vcc, 0, v67, vcc
	s_mov_b64 s[58:59], 0
.LBB1717_87:                            ; =>This Inner Loop Header: Depth=1
	global_load_ubyte v79, v[66:67], off glc
	s_waitcnt vmcnt(0)
	v_cmp_ne_u16_e32 vcc, 0, v79
	s_or_b64 s[58:59], vcc, s[58:59]
	s_andn2_b64 exec, exec, s[58:59]
	s_cbranch_execnz .LBB1717_87
; %bb.88:
	s_or_b64 exec, exec, s[58:59]
.LBB1717_89:
	s_or_b64 exec, exec, s[48:49]
	v_mov_b32_e32 v66, s39
	v_mov_b32_e32 v67, s37
	v_cmp_eq_u16_e32 vcc, 1, v79
	v_cndmask_b32_e32 v66, v66, v67, vcc
	v_mov_b32_e32 v67, s38
	v_mov_b32_e32 v68, s36
	v_cndmask_b32_e32 v67, v67, v68, vcc
	v_lshlrev_b64 v[64:65], 4, v[64:65]
	v_add_co_u32_e32 v64, vcc, v67, v64
	v_addc_co_u32_e32 v65, vcc, v66, v65, vcc
	s_waitcnt lgkmcnt(0)
	buffer_wbinvl1_vol
	global_load_dword v94, v[64:65], off
	global_load_dwordx2 v[68:69], v[64:65], off offset:8
	v_cmp_eq_u16_e32 vcc, 2, v79
	v_lshlrev_b64 v[64:65], v63, -1
	v_and_b32_e32 v80, 63, v63
	v_and_b32_e32 v66, vcc_hi, v65
	v_and_b32_e32 v84, vcc_lo, v64
	v_cmp_ne_u32_e32 vcc, 63, v80
	v_addc_co_u32_e32 v67, vcc, 0, v63, vcc
	v_lshlrev_b32_e32 v81, 2, v67
	v_or_b32_e32 v66, 0x80000000, v66
	v_ffbl_b32_e32 v66, v66
	v_add_u32_e32 v66, 32, v66
	v_ffbl_b32_e32 v84, v84
	v_min_u32_e32 v66, v84, v66
	v_cmp_lt_u32_e32 vcc, v80, v66
	s_waitcnt vmcnt(1)
	ds_bpermute_b32 v82, v81, v94
	s_waitcnt vmcnt(0)
	ds_bpermute_b32 v67, v81, v68
	ds_bpermute_b32 v83, v81, v69
	s_and_saveexec_b64 s[48:49], vcc
	s_cbranch_execz .LBB1717_91
; %bb.90:
	v_cmp_eq_u32_e32 vcc, 0, v94
	s_waitcnt lgkmcnt(1)
	v_cndmask_b32_e32 v67, 0, v67, vcc
	v_add_u32_e32 v82, v82, v94
	s_waitcnt lgkmcnt(0)
	v_cndmask_b32_e32 v83, 0, v83, vcc
	v_add_co_u32_e32 v68, vcc, v67, v68
	v_addc_co_u32_e32 v69, vcc, v83, v69, vcc
	v_mov_b32_e32 v94, v82
.LBB1717_91:
	s_or_b64 exec, exec, s[48:49]
	v_cmp_gt_u32_e32 vcc, 62, v80
	s_waitcnt lgkmcnt(1)
	v_cndmask_b32_e64 v67, 0, 1, vcc
	v_lshlrev_b32_e32 v67, 1, v67
	v_add_lshl_u32 v82, v67, v63, 2
	ds_bpermute_b32 v84, v82, v94
	ds_bpermute_b32 v67, v82, v68
	ds_bpermute_b32 v85, v82, v69
	s_waitcnt lgkmcnt(3)
	v_add_u32_e32 v83, 2, v80
	v_cmp_le_u32_e32 vcc, v83, v66
	s_and_saveexec_b64 s[48:49], vcc
	s_cbranch_execz .LBB1717_93
; %bb.92:
	v_cmp_eq_u32_e32 vcc, 0, v94
	s_waitcnt lgkmcnt(1)
	v_cndmask_b32_e32 v67, 0, v67, vcc
	v_add_u32_e32 v84, v84, v94
	s_waitcnt lgkmcnt(0)
	v_cndmask_b32_e32 v85, 0, v85, vcc
	v_add_co_u32_e32 v68, vcc, v67, v68
	v_addc_co_u32_e32 v69, vcc, v85, v69, vcc
	v_mov_b32_e32 v94, v84
.LBB1717_93:
	s_or_b64 exec, exec, s[48:49]
	v_cmp_gt_u32_e32 vcc, 60, v80
	s_waitcnt lgkmcnt(1)
	v_cndmask_b32_e64 v67, 0, 1, vcc
	v_lshlrev_b32_e32 v67, 2, v67
	v_add_lshl_u32 v84, v67, v63, 2
	ds_bpermute_b32 v86, v84, v94
	ds_bpermute_b32 v67, v84, v68
	ds_bpermute_b32 v87, v84, v69
	s_waitcnt lgkmcnt(3)
	v_add_u32_e32 v85, 4, v80
	v_cmp_le_u32_e32 vcc, v85, v66
	;; [unrolled: 25-line block ×4, first 2 shown]
	s_and_saveexec_b64 s[48:49], vcc
	s_cbranch_execz .LBB1717_99
; %bb.98:
	v_cmp_eq_u32_e32 vcc, 0, v94
	s_waitcnt lgkmcnt(1)
	v_cndmask_b32_e32 v67, 0, v67, vcc
	v_add_u32_e32 v90, v90, v94
	s_waitcnt lgkmcnt(0)
	v_cndmask_b32_e32 v91, 0, v91, vcc
	v_add_co_u32_e32 v68, vcc, v67, v68
	v_addc_co_u32_e32 v69, vcc, v91, v69, vcc
	v_mov_b32_e32 v94, v90
.LBB1717_99:
	s_or_b64 exec, exec, s[48:49]
	v_cmp_gt_u32_e32 vcc, 32, v80
	s_waitcnt lgkmcnt(1)
	v_cndmask_b32_e64 v67, 0, 1, vcc
	v_lshlrev_b32_e32 v67, 5, v67
	v_add_lshl_u32 v90, v67, v63, 2
	ds_bpermute_b32 v67, v90, v94
	ds_bpermute_b32 v63, v90, v68
	s_waitcnt lgkmcnt(2)
	ds_bpermute_b32 v91, v90, v69
	v_add_u32_e32 v92, 32, v80
	v_cmp_le_u32_e32 vcc, v92, v66
	s_and_saveexec_b64 s[48:49], vcc
	s_cbranch_execz .LBB1717_101
; %bb.100:
	v_cmp_eq_u32_e32 vcc, 0, v94
	s_waitcnt lgkmcnt(1)
	v_cndmask_b32_e32 v63, 0, v63, vcc
	v_add_u32_e32 v66, v67, v94
	s_waitcnt lgkmcnt(0)
	v_cndmask_b32_e32 v67, 0, v91, vcc
	v_add_co_u32_e32 v68, vcc, v63, v68
	v_addc_co_u32_e32 v69, vcc, v67, v69, vcc
	v_mov_b32_e32 v94, v66
.LBB1717_101:
	s_or_b64 exec, exec, s[48:49]
	s_waitcnt lgkmcnt(1)
	v_mov_b32_e32 v63, 0
	v_mov_b32_e32 v93, 2
	s_branch .LBB1717_103
.LBB1717_102:                           ;   in Loop: Header=BB1717_103 Depth=1
	s_or_b64 exec, exec, s[48:49]
	v_cmp_eq_u32_e32 vcc, 0, v91
	v_cndmask_b32_e32 v68, 0, v68, vcc
	v_cndmask_b32_e32 v69, 0, v69, vcc
	v_add_co_u32_e32 v68, vcc, v68, v66
	v_subrev_u32_e32 v62, 64, v62
	v_add_u32_e32 v94, v95, v91
	v_addc_co_u32_e32 v69, vcc, v69, v67, vcc
.LBB1717_103:                           ; =>This Loop Header: Depth=1
                                        ;     Child Loop BB1717_106 Depth 2
	v_cmp_ne_u16_sdwa s[48:49], v79, v93 src0_sel:BYTE_0 src1_sel:DWORD
	v_pk_mov_b32 v[66:67], v[68:69], v[68:69] op_sel:[0,1]
	v_cndmask_b32_e64 v68, 0, 1, s[48:49]
	;;#ASMSTART
	;;#ASMEND
	v_cmp_ne_u32_e32 vcc, 0, v68
	s_cmp_lg_u64 vcc, exec
	s_waitcnt lgkmcnt(0)
	v_mov_b32_e32 v91, v94
	s_cbranch_scc1 .LBB1717_120
; %bb.104:                              ;   in Loop: Header=BB1717_103 Depth=1
	global_load_ubyte v79, v62, s[40:41] glc
	s_waitcnt vmcnt(0)
	v_cmp_eq_u16_e32 vcc, 0, v79
	s_and_saveexec_b64 s[48:49], vcc
	s_cbranch_execz .LBB1717_108
; %bb.105:                              ;   in Loop: Header=BB1717_103 Depth=1
	v_mov_b32_e32 v69, s41
	v_add_co_u32_e32 v68, vcc, s40, v62
	v_addc_co_u32_e32 v69, vcc, 0, v69, vcc
	s_mov_b64 s[58:59], 0
.LBB1717_106:                           ;   Parent Loop BB1717_103 Depth=1
                                        ; =>  This Inner Loop Header: Depth=2
	global_load_ubyte v79, v[68:69], off glc
	s_waitcnt vmcnt(0)
	v_cmp_ne_u16_e32 vcc, 0, v79
	s_or_b64 s[58:59], vcc, s[58:59]
	s_andn2_b64 exec, exec, s[58:59]
	s_cbranch_execnz .LBB1717_106
; %bb.107:                              ;   in Loop: Header=BB1717_103 Depth=1
	s_or_b64 exec, exec, s[58:59]
.LBB1717_108:                           ;   in Loop: Header=BB1717_103 Depth=1
	s_or_b64 exec, exec, s[48:49]
	v_mov_b32_e32 v68, s39
	v_mov_b32_e32 v69, s37
	v_cmp_eq_u16_e32 vcc, 1, v79
	v_cndmask_b32_e32 v94, v68, v69, vcc
	v_mov_b32_e32 v68, s38
	v_mov_b32_e32 v69, s36
	v_cndmask_b32_e32 v95, v68, v69, vcc
	v_lshlrev_b64 v[68:69], 4, v[62:63]
	v_add_co_u32_e32 v68, vcc, v95, v68
	v_addc_co_u32_e32 v69, vcc, v94, v69, vcc
	buffer_wbinvl1_vol
	global_load_dword v95, v[68:69], off
	s_nop 0
	global_load_dwordx2 v[68:69], v[68:69], off offset:8
	v_cmp_eq_u16_e32 vcc, 2, v79
	v_and_b32_e32 v94, vcc_hi, v65
	v_or_b32_e32 v94, 0x80000000, v94
	v_and_b32_e32 v117, vcc_lo, v64
	v_ffbl_b32_e32 v94, v94
	v_add_u32_e32 v94, 32, v94
	v_ffbl_b32_e32 v117, v117
	v_min_u32_e32 v94, v117, v94
	v_cmp_lt_u32_e32 vcc, v80, v94
	s_waitcnt vmcnt(1)
	ds_bpermute_b32 v99, v81, v95
	s_waitcnt vmcnt(0)
	ds_bpermute_b32 v98, v81, v68
	ds_bpermute_b32 v116, v81, v69
	s_and_saveexec_b64 s[48:49], vcc
	s_cbranch_execz .LBB1717_110
; %bb.109:                              ;   in Loop: Header=BB1717_103 Depth=1
	v_cmp_eq_u32_e32 vcc, 0, v95
	s_waitcnt lgkmcnt(1)
	v_cndmask_b32_e32 v98, 0, v98, vcc
	v_add_u32_e32 v99, v99, v95
	s_waitcnt lgkmcnt(0)
	v_cndmask_b32_e32 v95, 0, v116, vcc
	v_add_co_u32_e32 v68, vcc, v98, v68
	v_addc_co_u32_e32 v69, vcc, v95, v69, vcc
	v_mov_b32_e32 v95, v99
.LBB1717_110:                           ;   in Loop: Header=BB1717_103 Depth=1
	s_or_b64 exec, exec, s[48:49]
	s_waitcnt lgkmcnt(2)
	ds_bpermute_b32 v99, v82, v95
	s_waitcnt lgkmcnt(2)
	ds_bpermute_b32 v98, v82, v68
	s_waitcnt lgkmcnt(2)
	ds_bpermute_b32 v116, v82, v69
	v_cmp_le_u32_e32 vcc, v83, v94
	s_and_saveexec_b64 s[48:49], vcc
	s_cbranch_execz .LBB1717_112
; %bb.111:                              ;   in Loop: Header=BB1717_103 Depth=1
	v_cmp_eq_u32_e32 vcc, 0, v95
	s_waitcnt lgkmcnt(1)
	v_cndmask_b32_e32 v98, 0, v98, vcc
	v_add_u32_e32 v99, v99, v95
	s_waitcnt lgkmcnt(0)
	v_cndmask_b32_e32 v95, 0, v116, vcc
	v_add_co_u32_e32 v68, vcc, v98, v68
	v_addc_co_u32_e32 v69, vcc, v95, v69, vcc
	v_mov_b32_e32 v95, v99
.LBB1717_112:                           ;   in Loop: Header=BB1717_103 Depth=1
	s_or_b64 exec, exec, s[48:49]
	s_waitcnt lgkmcnt(2)
	ds_bpermute_b32 v99, v84, v95
	s_waitcnt lgkmcnt(2)
	ds_bpermute_b32 v98, v84, v68
	s_waitcnt lgkmcnt(2)
	ds_bpermute_b32 v116, v84, v69
	v_cmp_le_u32_e32 vcc, v85, v94
	;; [unrolled: 21-line block ×5, first 2 shown]
	s_and_saveexec_b64 s[48:49], vcc
	s_cbranch_execz .LBB1717_102
; %bb.119:                              ;   in Loop: Header=BB1717_103 Depth=1
	v_cmp_eq_u32_e32 vcc, 0, v95
	s_waitcnt lgkmcnt(1)
	v_cndmask_b32_e32 v98, 0, v98, vcc
	v_add_u32_e32 v94, v99, v95
	s_waitcnt lgkmcnt(0)
	v_cndmask_b32_e32 v95, 0, v116, vcc
	v_add_co_u32_e32 v68, vcc, v98, v68
	v_addc_co_u32_e32 v69, vcc, v95, v69, vcc
	v_mov_b32_e32 v95, v94
	s_branch .LBB1717_102
.LBB1717_120:                           ;   in Loop: Header=BB1717_103 Depth=1
                                        ; implicit-def: $vgpr68_vgpr69
                                        ; implicit-def: $vgpr94
                                        ; implicit-def: $vgpr79
	s_cbranch_execz .LBB1717_103
; %bb.121:
	s_and_saveexec_b64 s[36:37], s[28:29]
	s_cbranch_execz .LBB1717_123
; %bb.122:
	s_mov_b32 s49, 0
	v_cmp_eq_u32_e32 vcc, 0, v78
	s_add_i32 s48, s62, 64
	v_cndmask_b32_e32 v62, 0, v66, vcc
	s_lshl_b64 s[58:59], s[48:49], 4
	v_cndmask_b32_e32 v63, 0, v67, vcc
	v_add_co_u32_e32 v62, vcc, v62, v60
	s_add_u32 s58, s38, s58
	v_add_u32_e32 v64, v91, v78
	v_addc_co_u32_e32 v63, vcc, v63, v61, vcc
	s_addc_u32 s59, s39, s59
	v_mov_b32_e32 v65, 0
	global_store_dword v65, v64, s[58:59]
	global_store_dwordx2 v65, v[62:63], s[58:59] offset:8
	v_mov_b32_e32 v62, s48
	v_mov_b32_e32 v63, 2
	s_waitcnt vmcnt(0) lgkmcnt(0)
	buffer_wbinvl1_vol
	global_store_byte v62, v63, s[40:41]
	ds_write_b32 v65, v78 offset:4096
	ds_write_b64 v65, v[60:61] offset:4104
	ds_write_b32 v65, v91 offset:4112
	ds_write_b64 v65, v[66:67] offset:4120
.LBB1717_123:
	s_or_b64 exec, exec, s[36:37]
	s_and_b64 exec, exec, s[0:1]
	s_cbranch_execz .LBB1717_125
; %bb.124:
	v_mov_b32_e32 v60, 0
	ds_write_b32 v60, v91 offset:4176
	ds_write_b64 v60, v[66:67] offset:4184
.LBB1717_125:
	s_or_b64 exec, exec, s[42:43]
	v_mov_b32_e32 v63, 0
	s_waitcnt lgkmcnt(0)
	s_barrier
	ds_read_b32 v62, v63 offset:4176
	ds_read_b64 v[60:61], v63 offset:4184
	v_cndmask_b32_e64 v64, v71, v70, s[28:29]
	v_cmp_eq_u32_e32 vcc, 0, v64
	v_cndmask_b32_e64 v58, v76, v58, s[28:29]
	v_cndmask_b32_e64 v59, v77, v59, s[28:29]
	s_waitcnt lgkmcnt(0)
	v_cndmask_b32_e32 v66, 0, v60, vcc
	v_cndmask_b32_e32 v65, 0, v61, vcc
	v_add_co_u32_e32 v58, vcc, v66, v58
	v_addc_co_u32_e32 v65, vcc, v65, v59, vcc
	v_cndmask_b32_e64 v92, v58, v60, s[0:1]
	v_cmp_eq_u32_e32 vcc, 0, v113
	v_cndmask_b32_e64 v93, v65, v61, s[0:1]
	v_cndmask_b32_e32 v60, 0, v92, vcc
	v_cndmask_b32_e64 v59, v64, 0, s[0:1]
	v_cndmask_b32_e32 v58, 0, v93, vcc
	v_add_co_u32_e32 v64, vcc, v60, v54
	v_addc_co_u32_e32 v65, vcc, v58, v55, vcc
	v_cndmask_b32_e64 v60, 0, v64, s[26:27]
	v_cndmask_b32_e64 v58, 0, v65, s[26:27]
	v_add_co_u32_e32 v66, vcc, v60, v56
	v_addc_co_u32_e32 v67, vcc, v58, v57, vcc
	v_cndmask_b32_e64 v60, 0, v66, s[24:25]
	v_cndmask_b32_e64 v58, 0, v67, s[24:25]
	;; [unrolled: 4-line block ×11, first 2 shown]
	v_add_co_u32_e32 v90, vcc, v60, v36
	v_add_u32_e32 v59, v62, v59
	v_addc_co_u32_e32 v91, vcc, v58, v37, vcc
	s_barrier
	ds_read_b32 v58, v63 offset:4096
	ds_read_b64 v[60:61], v63 offset:4104
	ds_read_b32 v62, v63 offset:4112
	ds_read_b64 v[116:117], v63 offset:4120
	v_cndmask_b32_e64 v94, 0, v90, s[4:5]
	v_cndmask_b32_e64 v95, 0, v91, s[4:5]
	v_add_co_u32_e32 v94, vcc, v94, v30
	v_addc_co_u32_e32 v95, vcc, v95, v31, vcc
	s_waitcnt lgkmcnt(3)
	v_cmp_eq_u32_e32 vcc, 0, v58
	s_waitcnt lgkmcnt(0)
	v_cndmask_b32_e32 v116, 0, v116, vcc
	v_cndmask_b32_e32 v63, 0, v117, vcc
	v_add_co_u32_e32 v60, vcc, v116, v60
	v_cndmask_b32_e64 v99, 0, v95, s[2:3]
	v_cndmask_b32_e64 v98, 0, v94, s[2:3]
	v_addc_co_u32_e32 v61, vcc, v63, v61, vcc
	s_branch .LBB1717_154
.LBB1717_126:
                                        ; implicit-def: $vgpr58
                                        ; implicit-def: $vgpr60_vgpr61
                                        ; implicit-def: $vgpr62
                                        ; implicit-def: $vgpr92_vgpr93
                                        ; implicit-def: $vgpr64_vgpr65
                                        ; implicit-def: $vgpr66_vgpr67
                                        ; implicit-def: $vgpr68_vgpr69
                                        ; implicit-def: $vgpr70_vgpr71
                                        ; implicit-def: $vgpr76_vgpr77
                                        ; implicit-def: $vgpr78_vgpr79
                                        ; implicit-def: $vgpr80_vgpr81
                                        ; implicit-def: $vgpr82_vgpr83
                                        ; implicit-def: $vgpr84_vgpr85
                                        ; implicit-def: $vgpr86_vgpr87
                                        ; implicit-def: $vgpr88_vgpr89
                                        ; implicit-def: $vgpr90_vgpr91
                                        ; implicit-def: $vgpr94_vgpr95
                                        ; implicit-def: $vgpr98_vgpr99
                                        ; implicit-def: $vgpr59
	s_cbranch_execz .LBB1717_154
; %bb.127:
	s_and_b64 s[2:3], s[30:31], exec
	s_cselect_b32 s3, 0, s35
	s_cselect_b32 s2, 0, s34
	s_cmp_eq_u64 s[2:3], 0
	s_cbranch_scc1 .LBB1717_129
; %bb.128:
	v_mov_b32_e32 v58, 0
	global_load_dwordx2 v[96:97], v58, s[2:3]
.LBB1717_129:
	v_cmp_eq_u32_e64 s[24:25], 0, v112
	v_cndmask_b32_e64 v59, 0, v54, s[24:25]
	v_cndmask_b32_e64 v58, 0, v55, s[24:25]
	v_add_co_u32_e32 v59, vcc, v59, v56
	v_cmp_eq_u32_e64 s[22:23], 0, v111
	v_addc_co_u32_e32 v58, vcc, v58, v57, vcc
	v_cndmask_b32_e64 v59, 0, v59, s[22:23]
	v_cndmask_b32_e64 v58, 0, v58, s[22:23]
	v_add_co_u32_e32 v59, vcc, v59, v50
	v_cmp_eq_u32_e64 s[20:21], 0, v110
	v_addc_co_u32_e32 v58, vcc, v58, v51, vcc
	;; [unrolled: 5-line block ×11, first 2 shown]
	v_cndmask_b32_e64 v59, 0, v59, s[4:5]
	v_cndmask_b32_e64 v58, 0, v58, s[4:5]
	v_add_co_u32_e32 v59, vcc, v59, v30
	v_addc_co_u32_e32 v58, vcc, v58, v31, vcc
	v_cmp_eq_u32_e32 vcc, 0, v100
	v_add3_u32 v60, v115, v108, v107
	v_cndmask_b32_e32 v59, 0, v59, vcc
	v_add3_u32 v60, v60, v106, v105
	v_cndmask_b32_e32 v58, 0, v58, vcc
	v_add_co_u32_e64 v59, s[26:27], v59, v32
	v_add3_u32 v60, v60, v104, v103
	v_addc_co_u32_e64 v58, s[26:27], v58, v33, s[26:27]
	v_add3_u32 v60, v60, v102, v101
	v_cmp_eq_u32_e64 s[26:27], 0, v1
	v_add3_u32 v63, v60, v100, v1
	v_cndmask_b32_e64 v60, 0, v58, s[26:27]
	v_cndmask_b32_e64 v58, 0, v59, s[26:27]
	v_add_co_u32_e64 v58, s[26:27], v58, v72
	v_mbcnt_hi_u32_b32 v62, -1, v114
	v_addc_co_u32_e64 v59, s[26:27], v60, v73, s[26:27]
	v_and_b32_e32 v60, 15, v62
	v_mov_b32_dpp v64, v63 row_shr:1 row_mask:0xf bank_mask:0xf
	v_mov_b32_dpp v61, v58 row_shr:1 row_mask:0xf bank_mask:0xf
	;; [unrolled: 1-line block ×3, first 2 shown]
	v_cmp_ne_u32_e64 s[26:27], 0, v60
	s_and_saveexec_b64 s[28:29], s[26:27]
; %bb.130:
	v_cmp_eq_u32_e64 s[26:27], 0, v63
	v_cndmask_b32_e64 v61, 0, v61, s[26:27]
	v_add_u32_e32 v64, v64, v63
	v_cndmask_b32_e64 v63, 0, v65, s[26:27]
	v_add_co_u32_e64 v58, s[26:27], v61, v58
	v_addc_co_u32_e64 v59, s[26:27], v63, v59, s[26:27]
	v_mov_b32_e32 v63, v64
; %bb.131:
	s_or_b64 exec, exec, s[28:29]
	s_nop 0
	v_mov_b32_dpp v64, v63 row_shr:2 row_mask:0xf bank_mask:0xf
	v_mov_b32_dpp v61, v58 row_shr:2 row_mask:0xf bank_mask:0xf
	v_mov_b32_dpp v65, v59 row_shr:2 row_mask:0xf bank_mask:0xf
	v_cmp_lt_u32_e64 s[26:27], 1, v60
	s_and_saveexec_b64 s[28:29], s[26:27]
; %bb.132:
	v_cmp_eq_u32_e64 s[26:27], 0, v63
	v_cndmask_b32_e64 v61, 0, v61, s[26:27]
	v_add_u32_e32 v64, v64, v63
	v_cndmask_b32_e64 v63, 0, v65, s[26:27]
	v_add_co_u32_e64 v58, s[26:27], v61, v58
	v_addc_co_u32_e64 v59, s[26:27], v63, v59, s[26:27]
	v_mov_b32_e32 v63, v64
; %bb.133:
	s_or_b64 exec, exec, s[28:29]
	s_nop 0
	v_mov_b32_dpp v64, v63 row_shr:4 row_mask:0xf bank_mask:0xf
	v_mov_b32_dpp v61, v58 row_shr:4 row_mask:0xf bank_mask:0xf
	v_mov_b32_dpp v65, v59 row_shr:4 row_mask:0xf bank_mask:0xf
	v_cmp_lt_u32_e64 s[26:27], 3, v60
	;; [unrolled: 16-line block ×3, first 2 shown]
	s_and_saveexec_b64 s[28:29], s[26:27]
; %bb.136:
	v_cmp_eq_u32_e64 s[26:27], 0, v63
	v_cndmask_b32_e64 v61, 0, v61, s[26:27]
	v_add_u32_e32 v60, v64, v63
	v_cndmask_b32_e64 v63, 0, v65, s[26:27]
	v_add_co_u32_e64 v58, s[26:27], v61, v58
	v_addc_co_u32_e64 v59, s[26:27], v63, v59, s[26:27]
	v_mov_b32_e32 v63, v60
; %bb.137:
	s_or_b64 exec, exec, s[28:29]
	v_and_b32_e32 v65, 16, v62
	v_mov_b32_dpp v61, v63 row_bcast:15 row_mask:0xf bank_mask:0xf
	v_mov_b32_dpp v60, v58 row_bcast:15 row_mask:0xf bank_mask:0xf
	;; [unrolled: 1-line block ×3, first 2 shown]
	v_cmp_ne_u32_e64 s[26:27], 0, v65
	s_and_saveexec_b64 s[28:29], s[26:27]
; %bb.138:
	v_cmp_eq_u32_e64 s[26:27], 0, v63
	v_cndmask_b32_e64 v60, 0, v60, s[26:27]
	v_add_u32_e32 v61, v61, v63
	v_cndmask_b32_e64 v63, 0, v64, s[26:27]
	v_add_co_u32_e64 v58, s[26:27], v60, v58
	v_addc_co_u32_e64 v59, s[26:27], v63, v59, s[26:27]
	v_mov_b32_e32 v63, v61
; %bb.139:
	s_or_b64 exec, exec, s[28:29]
	s_nop 0
	v_mov_b32_dpp v61, v63 row_bcast:31 row_mask:0xf bank_mask:0xf
	v_mov_b32_dpp v60, v58 row_bcast:31 row_mask:0xf bank_mask:0xf
	;; [unrolled: 1-line block ×3, first 2 shown]
	v_cmp_lt_u32_e64 s[26:27], 31, v62
	s_and_saveexec_b64 s[28:29], s[26:27]
; %bb.140:
	v_cmp_eq_u32_e64 s[26:27], 0, v63
	v_cndmask_b32_e64 v60, 0, v60, s[26:27]
	v_add_u32_e32 v61, v61, v63
	v_cndmask_b32_e64 v63, 0, v64, s[26:27]
	v_add_co_u32_e64 v58, s[26:27], v60, v58
	v_addc_co_u32_e64 v59, s[26:27], v63, v59, s[26:27]
	v_mov_b32_e32 v63, v61
; %bb.141:
	s_or_b64 exec, exec, s[28:29]
	v_lshrrev_b32_e32 v60, 6, v0
	v_or_b32_e32 v61, 63, v0
	v_cmp_eq_u32_e64 s[26:27], v61, v0
	v_lshlrev_b32_e32 v64, 4, v60
	s_and_saveexec_b64 s[28:29], s[26:27]
	s_cbranch_execz .LBB1717_143
; %bb.142:
	ds_write_b32 v64, v63 offset:4128
	ds_write_b64 v64, v[58:59] offset:4136
.LBB1717_143:
	s_or_b64 exec, exec, s[28:29]
	v_cmp_gt_u32_e64 s[26:27], 4, v0
	s_waitcnt lgkmcnt(0)
	s_barrier
	s_and_saveexec_b64 s[28:29], s[26:27]
	s_cbranch_execz .LBB1717_149
; %bb.144:
	v_lshlrev_b32_e32 v65, 4, v0
	ds_read_b32 v66, v65 offset:4128
	ds_read_b64 v[60:61], v65 offset:4136
	v_and_b32_e32 v67, 3, v62
	v_cmp_ne_u32_e64 s[26:27], 0, v67
	s_waitcnt lgkmcnt(1)
	v_mov_b32_dpp v69, v66 row_shr:1 row_mask:0xf bank_mask:0xf
	s_waitcnt lgkmcnt(0)
	v_mov_b32_dpp v68, v60 row_shr:1 row_mask:0xf bank_mask:0xf
	v_mov_b32_dpp v70, v61 row_shr:1 row_mask:0xf bank_mask:0xf
	s_and_saveexec_b64 s[34:35], s[26:27]
; %bb.145:
	v_cmp_eq_u32_e64 s[26:27], 0, v66
	v_cndmask_b32_e64 v68, 0, v68, s[26:27]
	v_add_u32_e32 v69, v69, v66
	v_cndmask_b32_e64 v66, 0, v70, s[26:27]
	v_add_co_u32_e64 v60, s[26:27], v68, v60
	v_addc_co_u32_e64 v61, s[26:27], v66, v61, s[26:27]
	v_mov_b32_e32 v66, v69
; %bb.146:
	s_or_b64 exec, exec, s[34:35]
	s_nop 0
	v_mov_b32_dpp v69, v66 row_shr:2 row_mask:0xf bank_mask:0xf
	v_mov_b32_dpp v68, v60 row_shr:2 row_mask:0xf bank_mask:0xf
	;; [unrolled: 1-line block ×3, first 2 shown]
	v_cmp_lt_u32_e64 s[26:27], 1, v67
	s_and_saveexec_b64 s[34:35], s[26:27]
; %bb.147:
	v_cmp_eq_u32_e64 s[26:27], 0, v66
	v_cndmask_b32_e64 v68, 0, v68, s[26:27]
	v_add_u32_e32 v67, v69, v66
	v_cndmask_b32_e64 v66, 0, v70, s[26:27]
	v_add_co_u32_e64 v60, s[26:27], v68, v60
	v_addc_co_u32_e64 v61, s[26:27], v66, v61, s[26:27]
	v_mov_b32_e32 v66, v67
; %bb.148:
	s_or_b64 exec, exec, s[34:35]
	ds_write_b32 v65, v66 offset:4128
	ds_write_b64 v65, v[60:61] offset:4136
.LBB1717_149:
	s_or_b64 exec, exec, s[28:29]
	v_cmp_lt_u32_e64 s[26:27], 63, v0
	v_mov_b32_e32 v72, 0
	v_mov_b32_e32 v65, 0
	s_waitcnt vmcnt(0)
	v_pk_mov_b32 v[60:61], v[96:97], v[96:97] op_sel:[0,1]
	s_waitcnt lgkmcnt(0)
	s_barrier
	s_and_saveexec_b64 s[28:29], s[26:27]
	s_cbranch_execz .LBB1717_151
; %bb.150:
	ds_read_b32 v65, v64 offset:4112
	ds_read_b64 v[60:61], v64 offset:4120
	s_waitcnt lgkmcnt(1)
	v_cmp_eq_u32_e64 s[26:27], 0, v65
	v_cndmask_b32_e64 v66, 0, v96, s[26:27]
	v_cndmask_b32_e64 v64, 0, v97, s[26:27]
	s_waitcnt lgkmcnt(0)
	v_add_co_u32_e64 v60, s[26:27], v66, v60
	v_addc_co_u32_e64 v61, s[26:27], v64, v61, s[26:27]
.LBB1717_151:
	s_or_b64 exec, exec, s[28:29]
	v_cmp_eq_u32_e64 s[26:27], 0, v63
	v_cndmask_b32_e64 v66, 0, v60, s[26:27]
	v_add_u32_e32 v64, v65, v63
	v_cndmask_b32_e64 v63, 0, v61, s[26:27]
	v_add_co_u32_e64 v58, s[26:27], v66, v58
	v_addc_co_u32_e64 v59, s[26:27], v63, v59, s[26:27]
	v_add_u32_e32 v63, -1, v62
	v_and_b32_e32 v66, 64, v62
	v_cmp_lt_i32_e64 s[26:27], v63, v66
	v_cndmask_b32_e64 v63, v63, v62, s[26:27]
	v_lshlrev_b32_e32 v63, 2, v63
	ds_bpermute_b32 v58, v63, v58
	ds_bpermute_b32 v64, v63, v64
	;; [unrolled: 1-line block ×3, first 2 shown]
	v_cmp_eq_u32_e64 s[26:27], 0, v62
	s_waitcnt lgkmcnt(2)
	v_cndmask_b32_e64 v92, v58, v60, s[26:27]
	s_waitcnt lgkmcnt(1)
	v_cndmask_b32_e64 v59, v64, v65, s[26:27]
	;; [unrolled: 2-line block ×3, first 2 shown]
	v_cndmask_b32_e64 v58, v92, v96, s[0:1]
	v_cmp_eq_u32_e64 s[26:27], 0, v113
	v_cndmask_b32_e64 v60, v93, v97, s[0:1]
	v_cndmask_b32_e64 v58, 0, v58, s[26:27]
	;; [unrolled: 1-line block ×3, first 2 shown]
	v_add_co_u32_e64 v64, s[26:27], v58, v54
	v_addc_co_u32_e64 v65, s[26:27], v60, v55, s[26:27]
	v_cndmask_b32_e64 v55, 0, v64, s[24:25]
	v_cndmask_b32_e64 v54, 0, v65, s[24:25]
	v_add_co_u32_e64 v66, s[24:25], v55, v56
	v_addc_co_u32_e64 v67, s[24:25], v54, v57, s[24:25]
	v_cndmask_b32_e64 v55, 0, v66, s[22:23]
	v_cndmask_b32_e64 v54, 0, v67, s[22:23]
	;; [unrolled: 4-line block ×11, first 2 shown]
	v_add_co_u32_e64 v90, s[2:3], v35, v36
	v_addc_co_u32_e64 v91, s[2:3], v34, v37, s[2:3]
	v_cndmask_b32_e64 v35, 0, v90, s[4:5]
	ds_read_b32 v58, v72 offset:4176
	v_cndmask_b32_e64 v34, 0, v91, s[4:5]
	v_add_co_u32_e64 v94, s[2:3], v35, v30
	v_addc_co_u32_e64 v95, s[2:3], v34, v31, s[2:3]
	ds_read_b64 v[30:31], v72 offset:4184
	v_cndmask_b32_e32 v99, 0, v95, vcc
	v_cndmask_b32_e32 v98, 0, v94, vcc
	s_waitcnt lgkmcnt(1)
	v_cmp_eq_u32_e32 vcc, 0, v58
	v_cndmask_b32_e32 v35, 0, v96, vcc
	v_cndmask_b32_e32 v34, 0, v97, vcc
	s_waitcnt lgkmcnt(0)
	v_add_co_u32_e32 v60, vcc, v35, v30
	v_addc_co_u32_e32 v61, vcc, v34, v31, vcc
	s_and_saveexec_b64 s[2:3], s[0:1]
	s_cbranch_execz .LBB1717_153
; %bb.152:
	v_mov_b32_e32 v59, 0
	v_mov_b32_e32 v30, 2
	v_pk_mov_b32 v[92:93], v[96:97], v[96:97] op_sel:[0,1]
	global_store_dword v59, v58, s[38:39] offset:1024
	global_store_dwordx2 v59, v[60:61], s[38:39] offset:1032
	s_waitcnt vmcnt(0)
	buffer_wbinvl1_vol
	global_store_byte v59, v30, s[40:41] offset:64
.LBB1717_153:
	s_or_b64 exec, exec, s[2:3]
	v_mov_b32_e32 v62, 0
.LBB1717_154:
	s_and_b64 s[2:3], s[30:31], exec
	s_cselect_b32 s3, 0, s51
	s_cselect_b32 s2, 0, s50
	s_cmp_eq_u64 s[2:3], 0
	v_pk_mov_b32 v[30:31], 0, 0
	s_barrier
	s_cbranch_scc1 .LBB1717_156
; %bb.155:
	v_mov_b32_e32 v30, 0
	global_load_dwordx2 v[30:31], v30, s[2:3]
.LBB1717_156:
	s_waitcnt vmcnt(0)
	v_lshlrev_b64 v[34:35], 3, v[30:31]
	v_mov_b32_e32 v36, s53
	v_add_co_u32_e32 v52, vcc, s52, v34
	v_mov_b32_e32 v63, 0
	v_addc_co_u32_e32 v53, vcc, v36, v35, vcc
	v_lshlrev_b64 v[36:37], 3, v[62:63]
	v_add_co_u32_e32 v52, vcc, v52, v36
	v_addc_co_u32_e32 v53, vcc, v53, v37, vcc
	v_cmp_eq_u32_e32 vcc, 0, v113
	v_cndmask_b32_e64 v54, 1, 2, vcc
	v_cmp_eq_u32_e32 vcc, 0, v112
	v_cndmask_b32_e64 v55, 1, 2, vcc
	v_cmp_eq_u32_e32 vcc, 0, v111
	v_and_b32_e32 v54, v55, v54
	v_cndmask_b32_e64 v55, 1, 2, vcc
	v_cmp_eq_u32_e32 vcc, 0, v110
	v_add_u32_e32 v51, v59, v113
	v_and_b32_e32 v54, v54, v55
	v_cndmask_b32_e64 v55, 1, 2, vcc
	v_cmp_eq_u32_e32 vcc, 0, v109
	v_add_u32_e32 v50, v51, v112
	;; [unrolled: 4-line block ×12, first 2 shown]
	v_and_b32_e32 v54, v54, v55
	v_cndmask_b32_e64 v55, 1, 2, vcc
	s_movk_i32 s34, 0x100
	v_add_u32_e32 v39, v40, v101
	v_and_b32_e32 v54, v54, v55
	v_cmp_gt_u32_e32 vcc, s34, v58
	v_add_u32_e32 v38, v39, v100
	v_cmp_ne_u32_e64 s[30:31], 0, v113
	v_cmp_ne_u32_e64 s[28:29], 0, v112
	;; [unrolled: 1-line block ×15, first 2 shown]
	s_mov_b64 s[36:37], -1
	v_cmp_gt_i16_e64 s[34:35], 2, v54
	s_cbranch_vccz .LBB1717_163
; %bb.157:
	s_and_saveexec_b64 s[36:37], s[34:35]
	s_cbranch_execz .LBB1717_162
; %bb.158:
	v_cmp_ne_u16_e32 vcc, 1, v54
	s_mov_b64 s[38:39], 0
	s_and_saveexec_b64 s[34:35], vcc
	s_xor_b64 s[34:35], exec, s[34:35]
	s_cbranch_execnz .LBB1717_195
; %bb.159:
	s_andn2_saveexec_b64 s[34:35], s[34:35]
	s_cbranch_execnz .LBB1717_211
.LBB1717_160:
	s_or_b64 exec, exec, s[34:35]
	s_and_b64 exec, exec, s[38:39]
	s_cbranch_execz .LBB1717_162
.LBB1717_161:
	v_sub_u32_e32 v56, v38, v62
	v_mov_b32_e32 v57, 0
	v_lshlrev_b64 v[56:57], 3, v[56:57]
	v_add_co_u32_e32 v56, vcc, v52, v56
	v_addc_co_u32_e32 v57, vcc, v53, v57, vcc
	global_store_dwordx2 v[56:57], v[74:75], off
.LBB1717_162:
	s_or_b64 exec, exec, s[36:37]
	s_mov_b64 s[36:37], 0
.LBB1717_163:
	s_and_b64 vcc, exec, s[36:37]
	s_cbranch_vccz .LBB1717_173
; %bb.164:
	v_cmp_gt_i16_e32 vcc, 2, v54
	s_and_saveexec_b64 s[34:35], vcc
	s_cbranch_execz .LBB1717_169
; %bb.165:
	v_cmp_ne_u16_e32 vcc, 1, v54
	s_mov_b64 s[38:39], 0
	s_and_saveexec_b64 s[36:37], vcc
	s_xor_b64 s[36:37], exec, s[36:37]
	s_cbranch_execnz .LBB1717_212
; %bb.166:
	s_andn2_saveexec_b64 s[2:3], s[36:37]
	s_cbranch_execnz .LBB1717_228
.LBB1717_167:
	s_or_b64 exec, exec, s[2:3]
	s_and_b64 exec, exec, s[38:39]
	s_cbranch_execz .LBB1717_169
.LBB1717_168:
	v_sub_u32_e32 v2, v38, v62
	v_lshlrev_b32_e32 v2, 3, v2
	ds_write_b64 v2, v[74:75]
.LBB1717_169:
	s_or_b64 exec, exec, s[34:35]
	v_cmp_lt_u32_e32 vcc, v0, v58
	s_waitcnt lgkmcnt(0)
	s_barrier
	s_and_saveexec_b64 s[2:3], vcc
	s_cbranch_execz .LBB1717_172
; %bb.170:
	v_lshlrev_b32_e32 v4, 3, v0
	s_mov_b64 s[4:5], 0
	v_mov_b32_e32 v3, 0
	v_mov_b32_e32 v2, v0
.LBB1717_171:                           ; =>This Inner Loop Header: Depth=1
	v_lshlrev_b64 v[6:7], 3, v[2:3]
	ds_read_b64 v[8:9], v4
	v_add_co_u32_e32 v6, vcc, v52, v6
	v_add_u32_e32 v2, 0x100, v2
	v_addc_co_u32_e32 v7, vcc, v53, v7, vcc
	v_cmp_ge_u32_e32 vcc, v2, v58
	v_add_u32_e32 v4, 0x800, v4
	s_or_b64 s[4:5], vcc, s[4:5]
	s_waitcnt lgkmcnt(0)
	global_store_dwordx2 v[6:7], v[8:9], off
	s_andn2_b64 exec, exec, s[4:5]
	s_cbranch_execnz .LBB1717_171
.LBB1717_172:
	s_or_b64 exec, exec, s[2:3]
.LBB1717_173:
	s_cmpk_lg_i32 s33, 0xf00
	s_cselect_b64 s[2:3], -1, 0
	v_cndmask_b32_e64 v8, 0, 1, s[46:47]
	s_and_b64 s[2:3], s[2:3], s[44:45]
	v_sub_u32_e32 v4, v58, v8
	v_cndmask_b32_e64 v5, 0, 1, s[2:3]
	s_and_b64 s[0:1], s[0:1], s[46:47]
	v_add_co_u32_e32 v2, vcc, v98, v32
	v_add_u32_e32 v4, v4, v5
	v_cndmask_b32_e64 v5, v113, 0, s[0:1]
	s_mul_hi_u32 s0, s33, 0x88888889
	v_addc_co_u32_e32 v3, vcc, v99, v33, vcc
	s_lshr_b32 s0, s0, 3
	v_mad_i32_i24 v6, v0, -15, s33
	v_cmp_eq_u32_e32 vcc, s0, v0
	v_cmp_ne_u32_e64 s[0:1], 0, v6
	v_cndmask_b32_e64 v7, 1, v5, s[0:1]
	v_cmp_ne_u32_e64 s[0:1], 1, v6
	v_cndmask_b32_e64 v9, 1, v112, s[0:1]
	;; [unrolled: 2-line block ×15, first 2 shown]
	s_and_b64 vcc, vcc, s[44:45]
	v_cndmask_b32_e32 v22, v1, v6, vcc
	v_cndmask_b32_e32 v21, v100, v21, vcc
	;; [unrolled: 1-line block ×15, first 2 shown]
	v_mov_b32_e32 v1, s55
	v_add_co_u32_e32 v5, vcc, s54, v34
	v_addc_co_u32_e32 v6, vcc, v1, v35, vcc
	v_add_co_u32_e32 v1, vcc, v5, v36
	v_addc_co_u32_e32 v5, vcc, v6, v37, vcc
	v_lshlrev_b32_e32 v6, 3, v8
	v_add_co_u32_e32 v6, vcc, v6, v1
	v_addc_co_u32_e32 v7, vcc, 0, v5, vcc
	v_add_co_u32_e32 v6, vcc, -8, v6
	v_addc_co_u32_e32 v7, vcc, -1, v7, vcc
	v_cmp_eq_u32_e32 vcc, 0, v23
	v_cmp_ne_u32_e64 s[28:29], 0, v23
	v_cndmask_b32_e64 v23, 1, 2, vcc
	v_cmp_eq_u32_e32 vcc, 0, v9
	v_cmp_ne_u32_e64 s[26:27], 0, v9
	v_cndmask_b32_e64 v9, 1, 2, vcc
	v_cmp_eq_u32_e32 vcc, 0, v10
	v_and_b32_e32 v9, v9, v23
	v_cmp_ne_u32_e64 s[24:25], 0, v10
	v_cndmask_b32_e64 v10, 1, 2, vcc
	v_cmp_eq_u32_e32 vcc, 0, v11
	v_and_b32_e32 v9, v9, v10
	v_cndmask_b32_e64 v10, 1, 2, vcc
	v_cmp_eq_u32_e32 vcc, 0, v12
	v_and_b32_e32 v9, v9, v10
	;; [unrolled: 3-line block ×12, first 2 shown]
	v_cndmask_b32_e64 v10, 1, 2, vcc
	s_movk_i32 s30, 0x100
	v_and_b32_e32 v9, v9, v10
	v_cmp_gt_u32_e32 vcc, s30, v4
	v_add_u32_e32 v8, v62, v8
	v_cmp_ne_u32_e64 s[22:23], 0, v11
	v_cmp_ne_u32_e64 s[20:21], 0, v12
	;; [unrolled: 1-line block ×12, first 2 shown]
	s_mov_b64 s[34:35], -1
	v_cmp_gt_i16_e64 s[30:31], 2, v9
	s_barrier
	s_cbranch_vccz .LBB1717_180
; %bb.174:
	s_and_saveexec_b64 s[34:35], s[30:31]
	s_cbranch_execz .LBB1717_179
; %bb.175:
	v_cmp_ne_u16_e32 vcc, 1, v9
	s_mov_b64 s[36:37], 0
	s_and_saveexec_b64 s[30:31], vcc
	s_xor_b64 s[30:31], exec, s[30:31]
	s_cbranch_execnz .LBB1717_229
; %bb.176:
	s_andn2_saveexec_b64 s[30:31], s[30:31]
	s_cbranch_execnz .LBB1717_245
.LBB1717_177:
	s_or_b64 exec, exec, s[30:31]
	s_and_b64 exec, exec, s[36:37]
	s_cbranch_execz .LBB1717_179
.LBB1717_178:
	v_sub_u32_e32 v10, v38, v8
	v_mov_b32_e32 v11, 0
	v_lshlrev_b64 v[10:11], 3, v[10:11]
	v_add_co_u32_e32 v10, vcc, v6, v10
	v_addc_co_u32_e32 v11, vcc, v7, v11, vcc
	global_store_dwordx2 v[10:11], v[2:3], off
.LBB1717_179:
	s_or_b64 exec, exec, s[34:35]
	s_mov_b64 s[34:35], 0
.LBB1717_180:
	s_and_b64 vcc, exec, s[34:35]
	s_cbranch_vccz .LBB1717_190
; %bb.181:
	v_cmp_gt_i16_e32 vcc, 2, v9
	s_and_saveexec_b64 s[30:31], vcc
	s_cbranch_execz .LBB1717_186
; %bb.182:
	v_cmp_ne_u16_e32 vcc, 1, v9
	s_mov_b64 s[36:37], 0
	s_and_saveexec_b64 s[34:35], vcc
	s_xor_b64 s[34:35], exec, s[34:35]
	s_cbranch_execnz .LBB1717_246
; %bb.183:
	s_andn2_saveexec_b64 s[0:1], s[34:35]
	s_cbranch_execnz .LBB1717_262
.LBB1717_184:
	s_or_b64 exec, exec, s[0:1]
	s_and_b64 exec, exec, s[36:37]
	s_cbranch_execz .LBB1717_186
.LBB1717_185:
	v_sub_u32_e32 v8, v38, v8
	v_lshlrev_b32_e32 v8, 3, v8
	ds_write_b64 v8, v[2:3]
.LBB1717_186:
	s_or_b64 exec, exec, s[30:31]
	v_cmp_lt_u32_e32 vcc, v0, v4
	s_waitcnt lgkmcnt(0)
	s_barrier
	s_and_saveexec_b64 s[0:1], vcc
	s_cbranch_execz .LBB1717_189
; %bb.187:
	v_lshlrev_b32_e32 v8, 3, v0
	s_mov_b64 s[2:3], 0
	v_mov_b32_e32 v3, 0
	v_mov_b32_e32 v2, v0
.LBB1717_188:                           ; =>This Inner Loop Header: Depth=1
	v_lshlrev_b64 v[10:11], 3, v[2:3]
	ds_read_b64 v[12:13], v8
	v_add_co_u32_e32 v10, vcc, v6, v10
	v_add_u32_e32 v2, 0x100, v2
	v_addc_co_u32_e32 v11, vcc, v7, v11, vcc
	v_cmp_ge_u32_e32 vcc, v2, v4
	v_add_u32_e32 v8, 0x800, v8
	s_or_b64 s[2:3], vcc, s[2:3]
	s_waitcnt lgkmcnt(0)
	global_store_dwordx2 v[10:11], v[12:13], off
	s_andn2_b64 exec, exec, s[2:3]
	s_cbranch_execnz .LBB1717_188
.LBB1717_189:
	s_or_b64 exec, exec, s[0:1]
.LBB1717_190:
	s_movk_i32 s0, 0xff
	v_cmp_eq_u32_e32 vcc, s0, v0
	s_and_b64 s[0:1], vcc, s[44:45]
	s_and_saveexec_b64 s[2:3], s[0:1]
	s_cbranch_execz .LBB1717_193
; %bb.191:
	v_add_co_u32_e32 v0, vcc, v58, v62
	v_addc_co_u32_e64 v3, s[0:1], 0, 0, vcc
	v_add_co_u32_e32 v2, vcc, v0, v30
	v_mov_b32_e32 v59, 0
	v_addc_co_u32_e32 v3, vcc, v3, v31, vcc
	s_cmpk_lg_i32 s33, 0xf00
	global_store_dwordx2 v59, v[2:3], s[56:57]
	s_cbranch_scc1 .LBB1717_193
; %bb.192:
	v_lshlrev_b64 v[2:3], 3, v[58:59]
	v_add_co_u32_e32 v0, vcc, v1, v2
	v_addc_co_u32_e32 v1, vcc, v5, v3, vcc
	global_store_dwordx2 v[0:1], v[60:61], off offset:-8
.LBB1717_193:
	s_endpgm
.LBB1717_194:
	s_or_b64 exec, exec, s[6:7]
	v_mov_b32_e32 v113, s8
	s_and_saveexec_b64 s[2:3], s[58:59]
	s_cbranch_execnz .LBB1717_58
	s_branch .LBB1717_59
.LBB1717_195:
	s_and_saveexec_b64 s[38:39], s[30:31]
	s_cbranch_execnz .LBB1717_263
; %bb.196:
	s_or_b64 exec, exec, s[38:39]
	s_and_saveexec_b64 s[38:39], s[28:29]
	s_cbranch_execnz .LBB1717_264
.LBB1717_197:
	s_or_b64 exec, exec, s[38:39]
	s_and_saveexec_b64 s[38:39], s[26:27]
	s_cbranch_execnz .LBB1717_265
.LBB1717_198:
	s_or_b64 exec, exec, s[38:39]
	s_and_saveexec_b64 s[38:39], s[24:25]
	s_cbranch_execnz .LBB1717_266
.LBB1717_199:
	s_or_b64 exec, exec, s[38:39]
	s_and_saveexec_b64 s[38:39], s[22:23]
	s_cbranch_execnz .LBB1717_267
.LBB1717_200:
	s_or_b64 exec, exec, s[38:39]
	s_and_saveexec_b64 s[38:39], s[20:21]
	s_cbranch_execnz .LBB1717_268
.LBB1717_201:
	s_or_b64 exec, exec, s[38:39]
	s_and_saveexec_b64 s[38:39], s[18:19]
	s_cbranch_execnz .LBB1717_269
.LBB1717_202:
	s_or_b64 exec, exec, s[38:39]
	s_and_saveexec_b64 s[38:39], s[16:17]
	s_cbranch_execnz .LBB1717_270
.LBB1717_203:
	s_or_b64 exec, exec, s[38:39]
	s_and_saveexec_b64 s[38:39], s[14:15]
	s_cbranch_execnz .LBB1717_271
.LBB1717_204:
	s_or_b64 exec, exec, s[38:39]
	s_and_saveexec_b64 s[38:39], s[12:13]
	s_cbranch_execnz .LBB1717_272
.LBB1717_205:
	s_or_b64 exec, exec, s[38:39]
	s_and_saveexec_b64 s[38:39], s[10:11]
	s_cbranch_execnz .LBB1717_273
.LBB1717_206:
	s_or_b64 exec, exec, s[38:39]
	s_and_saveexec_b64 s[38:39], s[8:9]
	s_cbranch_execnz .LBB1717_274
.LBB1717_207:
	s_or_b64 exec, exec, s[38:39]
	s_and_saveexec_b64 s[38:39], s[6:7]
	s_cbranch_execnz .LBB1717_275
.LBB1717_208:
	s_or_b64 exec, exec, s[38:39]
	s_and_saveexec_b64 s[38:39], s[4:5]
	s_cbranch_execz .LBB1717_210
.LBB1717_209:
	v_sub_u32_e32 v56, v39, v62
	v_mov_b32_e32 v57, 0
	v_lshlrev_b64 v[56:57], 3, v[56:57]
	v_add_co_u32_e32 v56, vcc, v52, v56
	v_addc_co_u32_e32 v57, vcc, v53, v57, vcc
	global_store_dwordx2 v[56:57], v[4:5], off
.LBB1717_210:
	s_or_b64 exec, exec, s[38:39]
	s_and_b64 s[38:39], s[2:3], exec
	s_andn2_saveexec_b64 s[34:35], s[34:35]
	s_cbranch_execz .LBB1717_160
.LBB1717_211:
	v_sub_u32_e32 v56, v59, v62
	v_mov_b32_e32 v57, 0
	v_lshlrev_b64 v[72:73], 3, v[56:57]
	v_add_co_u32_e32 v72, vcc, v52, v72
	v_addc_co_u32_e32 v73, vcc, v53, v73, vcc
	v_sub_u32_e32 v56, v51, v62
	global_store_dwordx2 v[72:73], v[26:27], off
	v_lshlrev_b64 v[72:73], 3, v[56:57]
	v_add_co_u32_e32 v72, vcc, v52, v72
	v_addc_co_u32_e32 v73, vcc, v53, v73, vcc
	v_sub_u32_e32 v56, v50, v62
	global_store_dwordx2 v[72:73], v[28:29], off
	;; [unrolled: 5-line block ×12, first 2 shown]
	v_lshlrev_b64 v[72:73], 3, v[56:57]
	v_add_co_u32_e32 v72, vcc, v52, v72
	v_sub_u32_e32 v56, v39, v62
	v_addc_co_u32_e32 v73, vcc, v53, v73, vcc
	v_lshlrev_b64 v[56:57], 3, v[56:57]
	v_add_co_u32_e32 v56, vcc, v52, v56
	v_addc_co_u32_e32 v57, vcc, v53, v57, vcc
	s_or_b64 s[38:39], s[38:39], exec
	global_store_dwordx2 v[72:73], v[2:3], off
	global_store_dwordx2 v[56:57], v[4:5], off
	s_or_b64 exec, exec, s[34:35]
	s_and_b64 exec, exec, s[38:39]
	s_cbranch_execnz .LBB1717_161
	s_branch .LBB1717_162
.LBB1717_212:
	s_and_saveexec_b64 s[38:39], s[30:31]
	s_cbranch_execnz .LBB1717_276
; %bb.213:
	s_or_b64 exec, exec, s[38:39]
	s_and_saveexec_b64 s[30:31], s[28:29]
	s_cbranch_execnz .LBB1717_277
.LBB1717_214:
	s_or_b64 exec, exec, s[30:31]
	s_and_saveexec_b64 s[28:29], s[26:27]
	s_cbranch_execnz .LBB1717_278
.LBB1717_215:
	s_or_b64 exec, exec, s[28:29]
	s_and_saveexec_b64 s[26:27], s[24:25]
	s_cbranch_execnz .LBB1717_279
.LBB1717_216:
	s_or_b64 exec, exec, s[26:27]
	s_and_saveexec_b64 s[24:25], s[22:23]
	s_cbranch_execnz .LBB1717_280
.LBB1717_217:
	s_or_b64 exec, exec, s[24:25]
	s_and_saveexec_b64 s[22:23], s[20:21]
	s_cbranch_execnz .LBB1717_281
.LBB1717_218:
	s_or_b64 exec, exec, s[22:23]
	s_and_saveexec_b64 s[20:21], s[18:19]
	s_cbranch_execnz .LBB1717_282
.LBB1717_219:
	s_or_b64 exec, exec, s[20:21]
	s_and_saveexec_b64 s[18:19], s[16:17]
	s_cbranch_execnz .LBB1717_283
.LBB1717_220:
	s_or_b64 exec, exec, s[18:19]
	s_and_saveexec_b64 s[16:17], s[14:15]
	s_cbranch_execnz .LBB1717_284
.LBB1717_221:
	s_or_b64 exec, exec, s[16:17]
	s_and_saveexec_b64 s[14:15], s[12:13]
	s_cbranch_execnz .LBB1717_285
.LBB1717_222:
	s_or_b64 exec, exec, s[14:15]
	s_and_saveexec_b64 s[12:13], s[10:11]
	s_cbranch_execnz .LBB1717_286
.LBB1717_223:
	s_or_b64 exec, exec, s[12:13]
	s_and_saveexec_b64 s[10:11], s[8:9]
	s_cbranch_execnz .LBB1717_287
.LBB1717_224:
	s_or_b64 exec, exec, s[10:11]
	s_and_saveexec_b64 s[8:9], s[6:7]
	s_cbranch_execnz .LBB1717_288
.LBB1717_225:
	s_or_b64 exec, exec, s[8:9]
	s_and_saveexec_b64 s[6:7], s[4:5]
	s_cbranch_execz .LBB1717_227
.LBB1717_226:
	v_sub_u32_e32 v2, v39, v62
	v_lshlrev_b32_e32 v2, 3, v2
	ds_write_b64 v2, v[4:5]
.LBB1717_227:
	s_or_b64 exec, exec, s[6:7]
	s_and_b64 s[38:39], s[2:3], exec
                                        ; implicit-def: $vgpr2_vgpr3
                                        ; implicit-def: $vgpr6_vgpr7
                                        ; implicit-def: $vgpr10_vgpr11
                                        ; implicit-def: $vgpr14_vgpr15
                                        ; implicit-def: $vgpr18_vgpr19
                                        ; implicit-def: $vgpr22_vgpr23
                                        ; implicit-def: $vgpr26_vgpr27
	s_andn2_saveexec_b64 s[2:3], s[36:37]
	s_cbranch_execz .LBB1717_167
.LBB1717_228:
	v_sub_u32_e32 v54, v59, v62
	v_lshlrev_b32_e32 v54, 3, v54
	ds_write_b64 v54, v[26:27]
	v_sub_u32_e32 v26, v51, v62
	v_lshlrev_b32_e32 v26, 3, v26
	ds_write_b64 v26, v[28:29]
	;; [unrolled: 3-line block ×13, first 2 shown]
	v_sub_u32_e32 v2, v39, v62
	v_lshlrev_b32_e32 v2, 3, v2
	s_or_b64 s[38:39], s[38:39], exec
	ds_write_b64 v2, v[4:5]
	s_or_b64 exec, exec, s[2:3]
	s_and_b64 exec, exec, s[38:39]
	s_cbranch_execnz .LBB1717_168
	s_branch .LBB1717_169
.LBB1717_229:
	s_and_saveexec_b64 s[36:37], s[28:29]
	s_cbranch_execnz .LBB1717_289
; %bb.230:
	s_or_b64 exec, exec, s[36:37]
	s_and_saveexec_b64 s[36:37], s[26:27]
	s_cbranch_execnz .LBB1717_290
.LBB1717_231:
	s_or_b64 exec, exec, s[36:37]
	s_and_saveexec_b64 s[36:37], s[24:25]
	s_cbranch_execnz .LBB1717_291
.LBB1717_232:
	s_or_b64 exec, exec, s[36:37]
	s_and_saveexec_b64 s[36:37], s[22:23]
	s_cbranch_execnz .LBB1717_292
.LBB1717_233:
	s_or_b64 exec, exec, s[36:37]
	s_and_saveexec_b64 s[36:37], s[20:21]
	s_cbranch_execnz .LBB1717_293
.LBB1717_234:
	s_or_b64 exec, exec, s[36:37]
	s_and_saveexec_b64 s[36:37], s[18:19]
	s_cbranch_execnz .LBB1717_294
.LBB1717_235:
	s_or_b64 exec, exec, s[36:37]
	s_and_saveexec_b64 s[36:37], s[16:17]
	s_cbranch_execnz .LBB1717_295
.LBB1717_236:
	s_or_b64 exec, exec, s[36:37]
	s_and_saveexec_b64 s[36:37], s[14:15]
	s_cbranch_execnz .LBB1717_296
.LBB1717_237:
	s_or_b64 exec, exec, s[36:37]
	s_and_saveexec_b64 s[36:37], s[12:13]
	s_cbranch_execnz .LBB1717_297
.LBB1717_238:
	s_or_b64 exec, exec, s[36:37]
	s_and_saveexec_b64 s[36:37], s[10:11]
	s_cbranch_execnz .LBB1717_298
.LBB1717_239:
	s_or_b64 exec, exec, s[36:37]
	s_and_saveexec_b64 s[36:37], s[8:9]
	s_cbranch_execnz .LBB1717_299
.LBB1717_240:
	s_or_b64 exec, exec, s[36:37]
	s_and_saveexec_b64 s[36:37], s[6:7]
	s_cbranch_execnz .LBB1717_300
.LBB1717_241:
	s_or_b64 exec, exec, s[36:37]
	s_and_saveexec_b64 s[36:37], s[4:5]
	s_cbranch_execnz .LBB1717_301
.LBB1717_242:
	s_or_b64 exec, exec, s[36:37]
	s_and_saveexec_b64 s[36:37], s[2:3]
	s_cbranch_execz .LBB1717_244
.LBB1717_243:
	v_sub_u32_e32 v10, v39, v8
	v_mov_b32_e32 v11, 0
	v_lshlrev_b64 v[10:11], 3, v[10:11]
	v_add_co_u32_e32 v10, vcc, v6, v10
	v_addc_co_u32_e32 v11, vcc, v7, v11, vcc
	global_store_dwordx2 v[10:11], v[94:95], off
.LBB1717_244:
	s_or_b64 exec, exec, s[36:37]
	s_and_b64 s[36:37], s[0:1], exec
	s_andn2_saveexec_b64 s[30:31], s[30:31]
	s_cbranch_execz .LBB1717_177
.LBB1717_245:
	v_sub_u32_e32 v10, v59, v8
	v_mov_b32_e32 v11, 0
	v_lshlrev_b64 v[12:13], 3, v[10:11]
	v_add_co_u32_e32 v12, vcc, v6, v12
	v_addc_co_u32_e32 v13, vcc, v7, v13, vcc
	v_sub_u32_e32 v10, v51, v8
	global_store_dwordx2 v[12:13], v[92:93], off
	v_lshlrev_b64 v[12:13], 3, v[10:11]
	v_add_co_u32_e32 v12, vcc, v6, v12
	v_addc_co_u32_e32 v13, vcc, v7, v13, vcc
	v_sub_u32_e32 v10, v50, v8
	global_store_dwordx2 v[12:13], v[64:65], off
	;; [unrolled: 5-line block ×12, first 2 shown]
	v_lshlrev_b64 v[12:13], 3, v[10:11]
	v_add_co_u32_e32 v12, vcc, v6, v12
	v_sub_u32_e32 v10, v39, v8
	v_addc_co_u32_e32 v13, vcc, v7, v13, vcc
	v_lshlrev_b64 v[10:11], 3, v[10:11]
	v_add_co_u32_e32 v10, vcc, v6, v10
	v_addc_co_u32_e32 v11, vcc, v7, v11, vcc
	s_or_b64 s[36:37], s[36:37], exec
	global_store_dwordx2 v[12:13], v[90:91], off
	global_store_dwordx2 v[10:11], v[94:95], off
	s_or_b64 exec, exec, s[30:31]
	s_and_b64 exec, exec, s[36:37]
	s_cbranch_execnz .LBB1717_178
	s_branch .LBB1717_179
.LBB1717_246:
	s_and_saveexec_b64 s[36:37], s[28:29]
	s_cbranch_execnz .LBB1717_302
; %bb.247:
	s_or_b64 exec, exec, s[36:37]
	s_and_saveexec_b64 s[28:29], s[26:27]
	s_cbranch_execnz .LBB1717_303
.LBB1717_248:
	s_or_b64 exec, exec, s[28:29]
	s_and_saveexec_b64 s[26:27], s[24:25]
	s_cbranch_execnz .LBB1717_304
.LBB1717_249:
	s_or_b64 exec, exec, s[26:27]
	s_and_saveexec_b64 s[24:25], s[22:23]
	s_cbranch_execnz .LBB1717_305
.LBB1717_250:
	s_or_b64 exec, exec, s[24:25]
	s_and_saveexec_b64 s[22:23], s[20:21]
	s_cbranch_execnz .LBB1717_306
.LBB1717_251:
	s_or_b64 exec, exec, s[22:23]
	s_and_saveexec_b64 s[20:21], s[18:19]
	s_cbranch_execnz .LBB1717_307
.LBB1717_252:
	s_or_b64 exec, exec, s[20:21]
	s_and_saveexec_b64 s[18:19], s[16:17]
	s_cbranch_execnz .LBB1717_308
.LBB1717_253:
	s_or_b64 exec, exec, s[18:19]
	s_and_saveexec_b64 s[16:17], s[14:15]
	s_cbranch_execnz .LBB1717_309
.LBB1717_254:
	s_or_b64 exec, exec, s[16:17]
	s_and_saveexec_b64 s[14:15], s[12:13]
	s_cbranch_execnz .LBB1717_310
.LBB1717_255:
	s_or_b64 exec, exec, s[14:15]
	s_and_saveexec_b64 s[12:13], s[10:11]
	s_cbranch_execnz .LBB1717_311
.LBB1717_256:
	s_or_b64 exec, exec, s[12:13]
	s_and_saveexec_b64 s[10:11], s[8:9]
	s_cbranch_execnz .LBB1717_312
.LBB1717_257:
	s_or_b64 exec, exec, s[10:11]
	s_and_saveexec_b64 s[8:9], s[6:7]
	s_cbranch_execnz .LBB1717_313
.LBB1717_258:
	s_or_b64 exec, exec, s[8:9]
	s_and_saveexec_b64 s[6:7], s[4:5]
	s_cbranch_execnz .LBB1717_314
.LBB1717_259:
	s_or_b64 exec, exec, s[6:7]
	s_and_saveexec_b64 s[4:5], s[2:3]
	s_cbranch_execz .LBB1717_261
.LBB1717_260:
	v_sub_u32_e32 v9, v39, v8
	v_lshlrev_b32_e32 v9, 3, v9
	ds_write_b64 v9, v[94:95]
.LBB1717_261:
	s_or_b64 exec, exec, s[4:5]
	s_and_b64 s[36:37], s[0:1], exec
                                        ; implicit-def: $vgpr92_vgpr93
                                        ; implicit-def: $vgpr64_vgpr65
                                        ; implicit-def: $vgpr66_vgpr67
                                        ; implicit-def: $vgpr68_vgpr69
                                        ; implicit-def: $vgpr70_vgpr71
                                        ; implicit-def: $vgpr76_vgpr77
                                        ; implicit-def: $vgpr78_vgpr79
                                        ; implicit-def: $vgpr80_vgpr81
                                        ; implicit-def: $vgpr82_vgpr83
                                        ; implicit-def: $vgpr84_vgpr85
                                        ; implicit-def: $vgpr86_vgpr87
                                        ; implicit-def: $vgpr88_vgpr89
                                        ; implicit-def: $vgpr90_vgpr91
                                        ; implicit-def: $vgpr94_vgpr95
                                        ; implicit-def: $vgpr59
                                        ; implicit-def: $vgpr51
                                        ; implicit-def: $vgpr50
                                        ; implicit-def: $vgpr49
                                        ; implicit-def: $vgpr48
                                        ; implicit-def: $vgpr47
                                        ; implicit-def: $vgpr46
                                        ; implicit-def: $vgpr45
                                        ; implicit-def: $vgpr44
                                        ; implicit-def: $vgpr43
                                        ; implicit-def: $vgpr42
                                        ; implicit-def: $vgpr41
                                        ; implicit-def: $vgpr40
                                        ; implicit-def: $vgpr39
	s_andn2_saveexec_b64 s[0:1], s[34:35]
	s_cbranch_execz .LBB1717_184
.LBB1717_262:
	v_sub_u32_e32 v9, v59, v8
	v_lshlrev_b32_e32 v9, 3, v9
	ds_write_b64 v9, v[92:93]
	v_sub_u32_e32 v9, v51, v8
	v_lshlrev_b32_e32 v9, 3, v9
	ds_write_b64 v9, v[64:65]
	;; [unrolled: 3-line block ×13, first 2 shown]
	v_sub_u32_e32 v9, v39, v8
	v_lshlrev_b32_e32 v9, 3, v9
	s_or_b64 s[36:37], s[36:37], exec
	ds_write_b64 v9, v[94:95]
	s_or_b64 exec, exec, s[0:1]
	s_and_b64 exec, exec, s[36:37]
	s_cbranch_execnz .LBB1717_185
	s_branch .LBB1717_186
.LBB1717_263:
	v_sub_u32_e32 v56, v59, v62
	v_mov_b32_e32 v57, 0
	v_lshlrev_b64 v[56:57], 3, v[56:57]
	v_add_co_u32_e32 v56, vcc, v52, v56
	v_addc_co_u32_e32 v57, vcc, v53, v57, vcc
	global_store_dwordx2 v[56:57], v[26:27], off
	s_or_b64 exec, exec, s[38:39]
	s_and_saveexec_b64 s[38:39], s[28:29]
	s_cbranch_execz .LBB1717_197
.LBB1717_264:
	v_sub_u32_e32 v56, v51, v62
	v_mov_b32_e32 v57, 0
	v_lshlrev_b64 v[56:57], 3, v[56:57]
	v_add_co_u32_e32 v56, vcc, v52, v56
	v_addc_co_u32_e32 v57, vcc, v53, v57, vcc
	global_store_dwordx2 v[56:57], v[28:29], off
	s_or_b64 exec, exec, s[38:39]
	s_and_saveexec_b64 s[38:39], s[26:27]
	s_cbranch_execz .LBB1717_198
.LBB1717_265:
	v_sub_u32_e32 v56, v50, v62
	v_mov_b32_e32 v57, 0
	v_lshlrev_b64 v[56:57], 3, v[56:57]
	v_add_co_u32_e32 v56, vcc, v52, v56
	v_addc_co_u32_e32 v57, vcc, v53, v57, vcc
	global_store_dwordx2 v[56:57], v[22:23], off
	s_or_b64 exec, exec, s[38:39]
	s_and_saveexec_b64 s[38:39], s[24:25]
	s_cbranch_execz .LBB1717_199
.LBB1717_266:
	v_sub_u32_e32 v56, v49, v62
	v_mov_b32_e32 v57, 0
	v_lshlrev_b64 v[56:57], 3, v[56:57]
	v_add_co_u32_e32 v56, vcc, v52, v56
	v_addc_co_u32_e32 v57, vcc, v53, v57, vcc
	global_store_dwordx2 v[56:57], v[24:25], off
	s_or_b64 exec, exec, s[38:39]
	s_and_saveexec_b64 s[38:39], s[22:23]
	s_cbranch_execz .LBB1717_200
.LBB1717_267:
	v_sub_u32_e32 v56, v48, v62
	v_mov_b32_e32 v57, 0
	v_lshlrev_b64 v[56:57], 3, v[56:57]
	v_add_co_u32_e32 v56, vcc, v52, v56
	v_addc_co_u32_e32 v57, vcc, v53, v57, vcc
	global_store_dwordx2 v[56:57], v[18:19], off
	s_or_b64 exec, exec, s[38:39]
	s_and_saveexec_b64 s[38:39], s[20:21]
	s_cbranch_execz .LBB1717_201
.LBB1717_268:
	v_sub_u32_e32 v56, v47, v62
	v_mov_b32_e32 v57, 0
	v_lshlrev_b64 v[56:57], 3, v[56:57]
	v_add_co_u32_e32 v56, vcc, v52, v56
	v_addc_co_u32_e32 v57, vcc, v53, v57, vcc
	global_store_dwordx2 v[56:57], v[20:21], off
	s_or_b64 exec, exec, s[38:39]
	s_and_saveexec_b64 s[38:39], s[18:19]
	s_cbranch_execz .LBB1717_202
.LBB1717_269:
	v_sub_u32_e32 v56, v46, v62
	v_mov_b32_e32 v57, 0
	v_lshlrev_b64 v[56:57], 3, v[56:57]
	v_add_co_u32_e32 v56, vcc, v52, v56
	v_addc_co_u32_e32 v57, vcc, v53, v57, vcc
	global_store_dwordx2 v[56:57], v[14:15], off
	s_or_b64 exec, exec, s[38:39]
	s_and_saveexec_b64 s[38:39], s[16:17]
	s_cbranch_execz .LBB1717_203
.LBB1717_270:
	v_sub_u32_e32 v56, v45, v62
	v_mov_b32_e32 v57, 0
	v_lshlrev_b64 v[56:57], 3, v[56:57]
	v_add_co_u32_e32 v56, vcc, v52, v56
	v_addc_co_u32_e32 v57, vcc, v53, v57, vcc
	global_store_dwordx2 v[56:57], v[16:17], off
	s_or_b64 exec, exec, s[38:39]
	s_and_saveexec_b64 s[38:39], s[14:15]
	s_cbranch_execz .LBB1717_204
.LBB1717_271:
	v_sub_u32_e32 v56, v44, v62
	v_mov_b32_e32 v57, 0
	v_lshlrev_b64 v[56:57], 3, v[56:57]
	v_add_co_u32_e32 v56, vcc, v52, v56
	v_addc_co_u32_e32 v57, vcc, v53, v57, vcc
	global_store_dwordx2 v[56:57], v[10:11], off
	s_or_b64 exec, exec, s[38:39]
	s_and_saveexec_b64 s[38:39], s[12:13]
	s_cbranch_execz .LBB1717_205
.LBB1717_272:
	v_sub_u32_e32 v56, v43, v62
	v_mov_b32_e32 v57, 0
	v_lshlrev_b64 v[56:57], 3, v[56:57]
	v_add_co_u32_e32 v56, vcc, v52, v56
	v_addc_co_u32_e32 v57, vcc, v53, v57, vcc
	global_store_dwordx2 v[56:57], v[12:13], off
	s_or_b64 exec, exec, s[38:39]
	s_and_saveexec_b64 s[38:39], s[10:11]
	s_cbranch_execz .LBB1717_206
.LBB1717_273:
	v_sub_u32_e32 v56, v42, v62
	v_mov_b32_e32 v57, 0
	v_lshlrev_b64 v[56:57], 3, v[56:57]
	v_add_co_u32_e32 v56, vcc, v52, v56
	v_addc_co_u32_e32 v57, vcc, v53, v57, vcc
	global_store_dwordx2 v[56:57], v[6:7], off
	s_or_b64 exec, exec, s[38:39]
	s_and_saveexec_b64 s[38:39], s[8:9]
	s_cbranch_execz .LBB1717_207
.LBB1717_274:
	v_sub_u32_e32 v56, v41, v62
	v_mov_b32_e32 v57, 0
	v_lshlrev_b64 v[56:57], 3, v[56:57]
	v_add_co_u32_e32 v56, vcc, v52, v56
	v_addc_co_u32_e32 v57, vcc, v53, v57, vcc
	global_store_dwordx2 v[56:57], v[8:9], off
	s_or_b64 exec, exec, s[38:39]
	s_and_saveexec_b64 s[38:39], s[6:7]
	s_cbranch_execz .LBB1717_208
.LBB1717_275:
	v_sub_u32_e32 v56, v40, v62
	v_mov_b32_e32 v57, 0
	v_lshlrev_b64 v[56:57], 3, v[56:57]
	v_add_co_u32_e32 v56, vcc, v52, v56
	v_addc_co_u32_e32 v57, vcc, v53, v57, vcc
	global_store_dwordx2 v[56:57], v[2:3], off
	s_or_b64 exec, exec, s[38:39]
	s_and_saveexec_b64 s[38:39], s[4:5]
	s_cbranch_execnz .LBB1717_209
	s_branch .LBB1717_210
.LBB1717_276:
	v_sub_u32_e32 v54, v59, v62
	v_lshlrev_b32_e32 v54, 3, v54
	ds_write_b64 v54, v[26:27]
	s_or_b64 exec, exec, s[38:39]
	s_and_saveexec_b64 s[30:31], s[28:29]
	s_cbranch_execz .LBB1717_214
.LBB1717_277:
	v_sub_u32_e32 v26, v51, v62
	v_lshlrev_b32_e32 v26, 3, v26
	ds_write_b64 v26, v[28:29]
	s_or_b64 exec, exec, s[30:31]
	s_and_saveexec_b64 s[28:29], s[26:27]
	s_cbranch_execz .LBB1717_215
.LBB1717_278:
	v_sub_u32_e32 v26, v50, v62
	v_lshlrev_b32_e32 v26, 3, v26
	ds_write_b64 v26, v[22:23]
	s_or_b64 exec, exec, s[28:29]
	s_and_saveexec_b64 s[26:27], s[24:25]
	s_cbranch_execz .LBB1717_216
.LBB1717_279:
	v_sub_u32_e32 v22, v49, v62
	v_lshlrev_b32_e32 v22, 3, v22
	ds_write_b64 v22, v[24:25]
	s_or_b64 exec, exec, s[26:27]
	s_and_saveexec_b64 s[24:25], s[22:23]
	s_cbranch_execz .LBB1717_217
.LBB1717_280:
	v_sub_u32_e32 v22, v48, v62
	v_lshlrev_b32_e32 v22, 3, v22
	ds_write_b64 v22, v[18:19]
	s_or_b64 exec, exec, s[24:25]
	s_and_saveexec_b64 s[22:23], s[20:21]
	s_cbranch_execz .LBB1717_218
.LBB1717_281:
	v_sub_u32_e32 v18, v47, v62
	v_lshlrev_b32_e32 v18, 3, v18
	ds_write_b64 v18, v[20:21]
	s_or_b64 exec, exec, s[22:23]
	s_and_saveexec_b64 s[20:21], s[18:19]
	s_cbranch_execz .LBB1717_219
.LBB1717_282:
	v_sub_u32_e32 v18, v46, v62
	v_lshlrev_b32_e32 v18, 3, v18
	ds_write_b64 v18, v[14:15]
	s_or_b64 exec, exec, s[20:21]
	s_and_saveexec_b64 s[18:19], s[16:17]
	s_cbranch_execz .LBB1717_220
.LBB1717_283:
	v_sub_u32_e32 v14, v45, v62
	v_lshlrev_b32_e32 v14, 3, v14
	ds_write_b64 v14, v[16:17]
	s_or_b64 exec, exec, s[18:19]
	s_and_saveexec_b64 s[16:17], s[14:15]
	s_cbranch_execz .LBB1717_221
.LBB1717_284:
	v_sub_u32_e32 v14, v44, v62
	v_lshlrev_b32_e32 v14, 3, v14
	ds_write_b64 v14, v[10:11]
	s_or_b64 exec, exec, s[16:17]
	s_and_saveexec_b64 s[14:15], s[12:13]
	s_cbranch_execz .LBB1717_222
.LBB1717_285:
	v_sub_u32_e32 v10, v43, v62
	v_lshlrev_b32_e32 v10, 3, v10
	ds_write_b64 v10, v[12:13]
	s_or_b64 exec, exec, s[14:15]
	s_and_saveexec_b64 s[12:13], s[10:11]
	s_cbranch_execz .LBB1717_223
.LBB1717_286:
	v_sub_u32_e32 v10, v42, v62
	v_lshlrev_b32_e32 v10, 3, v10
	ds_write_b64 v10, v[6:7]
	s_or_b64 exec, exec, s[12:13]
	s_and_saveexec_b64 s[10:11], s[8:9]
	s_cbranch_execz .LBB1717_224
.LBB1717_287:
	v_sub_u32_e32 v6, v41, v62
	v_lshlrev_b32_e32 v6, 3, v6
	ds_write_b64 v6, v[8:9]
	s_or_b64 exec, exec, s[10:11]
	s_and_saveexec_b64 s[8:9], s[6:7]
	s_cbranch_execz .LBB1717_225
.LBB1717_288:
	v_sub_u32_e32 v6, v40, v62
	v_lshlrev_b32_e32 v6, 3, v6
	ds_write_b64 v6, v[2:3]
	s_or_b64 exec, exec, s[8:9]
	s_and_saveexec_b64 s[6:7], s[4:5]
	s_cbranch_execnz .LBB1717_226
	s_branch .LBB1717_227
.LBB1717_289:
	v_sub_u32_e32 v10, v59, v8
	v_mov_b32_e32 v11, 0
	v_lshlrev_b64 v[10:11], 3, v[10:11]
	v_add_co_u32_e32 v10, vcc, v6, v10
	v_addc_co_u32_e32 v11, vcc, v7, v11, vcc
	global_store_dwordx2 v[10:11], v[92:93], off
	s_or_b64 exec, exec, s[36:37]
	s_and_saveexec_b64 s[36:37], s[26:27]
	s_cbranch_execz .LBB1717_231
.LBB1717_290:
	v_sub_u32_e32 v10, v51, v8
	v_mov_b32_e32 v11, 0
	v_lshlrev_b64 v[10:11], 3, v[10:11]
	v_add_co_u32_e32 v10, vcc, v6, v10
	v_addc_co_u32_e32 v11, vcc, v7, v11, vcc
	global_store_dwordx2 v[10:11], v[64:65], off
	s_or_b64 exec, exec, s[36:37]
	s_and_saveexec_b64 s[36:37], s[24:25]
	s_cbranch_execz .LBB1717_232
.LBB1717_291:
	v_sub_u32_e32 v10, v50, v8
	v_mov_b32_e32 v11, 0
	v_lshlrev_b64 v[10:11], 3, v[10:11]
	v_add_co_u32_e32 v10, vcc, v6, v10
	v_addc_co_u32_e32 v11, vcc, v7, v11, vcc
	global_store_dwordx2 v[10:11], v[66:67], off
	s_or_b64 exec, exec, s[36:37]
	s_and_saveexec_b64 s[36:37], s[22:23]
	s_cbranch_execz .LBB1717_233
.LBB1717_292:
	v_sub_u32_e32 v10, v49, v8
	v_mov_b32_e32 v11, 0
	v_lshlrev_b64 v[10:11], 3, v[10:11]
	v_add_co_u32_e32 v10, vcc, v6, v10
	v_addc_co_u32_e32 v11, vcc, v7, v11, vcc
	global_store_dwordx2 v[10:11], v[68:69], off
	s_or_b64 exec, exec, s[36:37]
	s_and_saveexec_b64 s[36:37], s[20:21]
	s_cbranch_execz .LBB1717_234
.LBB1717_293:
	v_sub_u32_e32 v10, v48, v8
	v_mov_b32_e32 v11, 0
	v_lshlrev_b64 v[10:11], 3, v[10:11]
	v_add_co_u32_e32 v10, vcc, v6, v10
	v_addc_co_u32_e32 v11, vcc, v7, v11, vcc
	global_store_dwordx2 v[10:11], v[70:71], off
	s_or_b64 exec, exec, s[36:37]
	s_and_saveexec_b64 s[36:37], s[18:19]
	s_cbranch_execz .LBB1717_235
.LBB1717_294:
	v_sub_u32_e32 v10, v47, v8
	v_mov_b32_e32 v11, 0
	v_lshlrev_b64 v[10:11], 3, v[10:11]
	v_add_co_u32_e32 v10, vcc, v6, v10
	v_addc_co_u32_e32 v11, vcc, v7, v11, vcc
	global_store_dwordx2 v[10:11], v[76:77], off
	s_or_b64 exec, exec, s[36:37]
	s_and_saveexec_b64 s[36:37], s[16:17]
	s_cbranch_execz .LBB1717_236
.LBB1717_295:
	v_sub_u32_e32 v10, v46, v8
	v_mov_b32_e32 v11, 0
	v_lshlrev_b64 v[10:11], 3, v[10:11]
	v_add_co_u32_e32 v10, vcc, v6, v10
	v_addc_co_u32_e32 v11, vcc, v7, v11, vcc
	global_store_dwordx2 v[10:11], v[78:79], off
	s_or_b64 exec, exec, s[36:37]
	s_and_saveexec_b64 s[36:37], s[14:15]
	s_cbranch_execz .LBB1717_237
.LBB1717_296:
	v_sub_u32_e32 v10, v45, v8
	v_mov_b32_e32 v11, 0
	v_lshlrev_b64 v[10:11], 3, v[10:11]
	v_add_co_u32_e32 v10, vcc, v6, v10
	v_addc_co_u32_e32 v11, vcc, v7, v11, vcc
	global_store_dwordx2 v[10:11], v[80:81], off
	s_or_b64 exec, exec, s[36:37]
	s_and_saveexec_b64 s[36:37], s[12:13]
	s_cbranch_execz .LBB1717_238
.LBB1717_297:
	v_sub_u32_e32 v10, v44, v8
	v_mov_b32_e32 v11, 0
	v_lshlrev_b64 v[10:11], 3, v[10:11]
	v_add_co_u32_e32 v10, vcc, v6, v10
	v_addc_co_u32_e32 v11, vcc, v7, v11, vcc
	global_store_dwordx2 v[10:11], v[82:83], off
	s_or_b64 exec, exec, s[36:37]
	s_and_saveexec_b64 s[36:37], s[10:11]
	s_cbranch_execz .LBB1717_239
.LBB1717_298:
	v_sub_u32_e32 v10, v43, v8
	v_mov_b32_e32 v11, 0
	v_lshlrev_b64 v[10:11], 3, v[10:11]
	v_add_co_u32_e32 v10, vcc, v6, v10
	v_addc_co_u32_e32 v11, vcc, v7, v11, vcc
	global_store_dwordx2 v[10:11], v[84:85], off
	s_or_b64 exec, exec, s[36:37]
	s_and_saveexec_b64 s[36:37], s[8:9]
	s_cbranch_execz .LBB1717_240
.LBB1717_299:
	v_sub_u32_e32 v10, v42, v8
	v_mov_b32_e32 v11, 0
	v_lshlrev_b64 v[10:11], 3, v[10:11]
	v_add_co_u32_e32 v10, vcc, v6, v10
	v_addc_co_u32_e32 v11, vcc, v7, v11, vcc
	global_store_dwordx2 v[10:11], v[86:87], off
	s_or_b64 exec, exec, s[36:37]
	s_and_saveexec_b64 s[36:37], s[6:7]
	s_cbranch_execz .LBB1717_241
.LBB1717_300:
	v_sub_u32_e32 v10, v41, v8
	v_mov_b32_e32 v11, 0
	v_lshlrev_b64 v[10:11], 3, v[10:11]
	v_add_co_u32_e32 v10, vcc, v6, v10
	v_addc_co_u32_e32 v11, vcc, v7, v11, vcc
	global_store_dwordx2 v[10:11], v[88:89], off
	s_or_b64 exec, exec, s[36:37]
	s_and_saveexec_b64 s[36:37], s[4:5]
	s_cbranch_execz .LBB1717_242
.LBB1717_301:
	v_sub_u32_e32 v10, v40, v8
	v_mov_b32_e32 v11, 0
	v_lshlrev_b64 v[10:11], 3, v[10:11]
	v_add_co_u32_e32 v10, vcc, v6, v10
	v_addc_co_u32_e32 v11, vcc, v7, v11, vcc
	global_store_dwordx2 v[10:11], v[90:91], off
	s_or_b64 exec, exec, s[36:37]
	s_and_saveexec_b64 s[36:37], s[2:3]
	s_cbranch_execnz .LBB1717_243
	s_branch .LBB1717_244
.LBB1717_302:
	v_sub_u32_e32 v9, v59, v8
	v_lshlrev_b32_e32 v9, 3, v9
	ds_write_b64 v9, v[92:93]
	s_or_b64 exec, exec, s[36:37]
	s_and_saveexec_b64 s[28:29], s[26:27]
	s_cbranch_execz .LBB1717_248
.LBB1717_303:
	v_sub_u32_e32 v9, v51, v8
	v_lshlrev_b32_e32 v9, 3, v9
	ds_write_b64 v9, v[64:65]
	s_or_b64 exec, exec, s[28:29]
	s_and_saveexec_b64 s[26:27], s[24:25]
	s_cbranch_execz .LBB1717_249
.LBB1717_304:
	v_sub_u32_e32 v9, v50, v8
	v_lshlrev_b32_e32 v9, 3, v9
	ds_write_b64 v9, v[66:67]
	s_or_b64 exec, exec, s[26:27]
	s_and_saveexec_b64 s[24:25], s[22:23]
	s_cbranch_execz .LBB1717_250
.LBB1717_305:
	v_sub_u32_e32 v9, v49, v8
	v_lshlrev_b32_e32 v9, 3, v9
	ds_write_b64 v9, v[68:69]
	s_or_b64 exec, exec, s[24:25]
	s_and_saveexec_b64 s[22:23], s[20:21]
	s_cbranch_execz .LBB1717_251
.LBB1717_306:
	v_sub_u32_e32 v9, v48, v8
	v_lshlrev_b32_e32 v9, 3, v9
	ds_write_b64 v9, v[70:71]
	s_or_b64 exec, exec, s[22:23]
	s_and_saveexec_b64 s[20:21], s[18:19]
	s_cbranch_execz .LBB1717_252
.LBB1717_307:
	v_sub_u32_e32 v9, v47, v8
	v_lshlrev_b32_e32 v9, 3, v9
	ds_write_b64 v9, v[76:77]
	s_or_b64 exec, exec, s[20:21]
	s_and_saveexec_b64 s[18:19], s[16:17]
	s_cbranch_execz .LBB1717_253
.LBB1717_308:
	v_sub_u32_e32 v9, v46, v8
	v_lshlrev_b32_e32 v9, 3, v9
	ds_write_b64 v9, v[78:79]
	s_or_b64 exec, exec, s[18:19]
	s_and_saveexec_b64 s[16:17], s[14:15]
	s_cbranch_execz .LBB1717_254
.LBB1717_309:
	v_sub_u32_e32 v9, v45, v8
	v_lshlrev_b32_e32 v9, 3, v9
	ds_write_b64 v9, v[80:81]
	s_or_b64 exec, exec, s[16:17]
	s_and_saveexec_b64 s[14:15], s[12:13]
	s_cbranch_execz .LBB1717_255
.LBB1717_310:
	v_sub_u32_e32 v9, v44, v8
	v_lshlrev_b32_e32 v9, 3, v9
	ds_write_b64 v9, v[82:83]
	s_or_b64 exec, exec, s[14:15]
	s_and_saveexec_b64 s[12:13], s[10:11]
	s_cbranch_execz .LBB1717_256
.LBB1717_311:
	v_sub_u32_e32 v9, v43, v8
	v_lshlrev_b32_e32 v9, 3, v9
	ds_write_b64 v9, v[84:85]
	s_or_b64 exec, exec, s[12:13]
	s_and_saveexec_b64 s[10:11], s[8:9]
	s_cbranch_execz .LBB1717_257
.LBB1717_312:
	v_sub_u32_e32 v9, v42, v8
	v_lshlrev_b32_e32 v9, 3, v9
	ds_write_b64 v9, v[86:87]
	s_or_b64 exec, exec, s[10:11]
	s_and_saveexec_b64 s[8:9], s[6:7]
	s_cbranch_execz .LBB1717_258
.LBB1717_313:
	v_sub_u32_e32 v9, v41, v8
	v_lshlrev_b32_e32 v9, 3, v9
	ds_write_b64 v9, v[88:89]
	s_or_b64 exec, exec, s[8:9]
	s_and_saveexec_b64 s[6:7], s[4:5]
	s_cbranch_execz .LBB1717_259
.LBB1717_314:
	v_sub_u32_e32 v9, v40, v8
	v_lshlrev_b32_e32 v9, 3, v9
	ds_write_b64 v9, v[90:91]
	s_or_b64 exec, exec, s[6:7]
	s_and_saveexec_b64 s[4:5], s[2:3]
	s_cbranch_execnz .LBB1717_260
	s_branch .LBB1717_261
	.section	.rodata,"a",@progbits
	.p2align	6, 0x0
	.amdhsa_kernel _ZN7rocprim17ROCPRIM_400000_NS6detail17trampoline_kernelINS0_14default_configENS1_29reduce_by_key_config_selectorIdlN6thrust23THRUST_200600_302600_NS4plusIlEEEEZZNS1_33reduce_by_key_impl_wrapped_configILNS1_25lookback_scan_determinismE0ES3_S9_PdNS6_17constant_iteratorIiNS6_11use_defaultESE_EENS6_10device_ptrIdEENSG_IlEEPmS8_NS6_8equal_toIdEEEE10hipError_tPvRmT2_T3_mT4_T5_T6_T7_T8_P12ihipStream_tbENKUlT_T0_E_clISt17integral_constantIbLb0EES12_IbLb1EEEEDaSY_SZ_EUlSY_E_NS1_11comp_targetILNS1_3genE4ELNS1_11target_archE910ELNS1_3gpuE8ELNS1_3repE0EEENS1_30default_config_static_selectorELNS0_4arch9wavefront6targetE1EEEvT1_
		.amdhsa_group_segment_fixed_size 30720
		.amdhsa_private_segment_fixed_size 0
		.amdhsa_kernarg_size 144
		.amdhsa_user_sgpr_count 6
		.amdhsa_user_sgpr_private_segment_buffer 1
		.amdhsa_user_sgpr_dispatch_ptr 0
		.amdhsa_user_sgpr_queue_ptr 0
		.amdhsa_user_sgpr_kernarg_segment_ptr 1
		.amdhsa_user_sgpr_dispatch_id 0
		.amdhsa_user_sgpr_flat_scratch_init 0
		.amdhsa_user_sgpr_kernarg_preload_length 0
		.amdhsa_user_sgpr_kernarg_preload_offset 0
		.amdhsa_user_sgpr_private_segment_size 0
		.amdhsa_uses_dynamic_stack 0
		.amdhsa_system_sgpr_private_segment_wavefront_offset 0
		.amdhsa_system_sgpr_workgroup_id_x 1
		.amdhsa_system_sgpr_workgroup_id_y 0
		.amdhsa_system_sgpr_workgroup_id_z 0
		.amdhsa_system_sgpr_workgroup_info 0
		.amdhsa_system_vgpr_workitem_id 0
		.amdhsa_next_free_vgpr 118
		.amdhsa_next_free_sgpr 63
		.amdhsa_accum_offset 120
		.amdhsa_reserve_vcc 1
		.amdhsa_reserve_flat_scratch 0
		.amdhsa_float_round_mode_32 0
		.amdhsa_float_round_mode_16_64 0
		.amdhsa_float_denorm_mode_32 3
		.amdhsa_float_denorm_mode_16_64 3
		.amdhsa_dx10_clamp 1
		.amdhsa_ieee_mode 1
		.amdhsa_fp16_overflow 0
		.amdhsa_tg_split 0
		.amdhsa_exception_fp_ieee_invalid_op 0
		.amdhsa_exception_fp_denorm_src 0
		.amdhsa_exception_fp_ieee_div_zero 0
		.amdhsa_exception_fp_ieee_overflow 0
		.amdhsa_exception_fp_ieee_underflow 0
		.amdhsa_exception_fp_ieee_inexact 0
		.amdhsa_exception_int_div_zero 0
	.end_amdhsa_kernel
	.section	.text._ZN7rocprim17ROCPRIM_400000_NS6detail17trampoline_kernelINS0_14default_configENS1_29reduce_by_key_config_selectorIdlN6thrust23THRUST_200600_302600_NS4plusIlEEEEZZNS1_33reduce_by_key_impl_wrapped_configILNS1_25lookback_scan_determinismE0ES3_S9_PdNS6_17constant_iteratorIiNS6_11use_defaultESE_EENS6_10device_ptrIdEENSG_IlEEPmS8_NS6_8equal_toIdEEEE10hipError_tPvRmT2_T3_mT4_T5_T6_T7_T8_P12ihipStream_tbENKUlT_T0_E_clISt17integral_constantIbLb0EES12_IbLb1EEEEDaSY_SZ_EUlSY_E_NS1_11comp_targetILNS1_3genE4ELNS1_11target_archE910ELNS1_3gpuE8ELNS1_3repE0EEENS1_30default_config_static_selectorELNS0_4arch9wavefront6targetE1EEEvT1_,"axG",@progbits,_ZN7rocprim17ROCPRIM_400000_NS6detail17trampoline_kernelINS0_14default_configENS1_29reduce_by_key_config_selectorIdlN6thrust23THRUST_200600_302600_NS4plusIlEEEEZZNS1_33reduce_by_key_impl_wrapped_configILNS1_25lookback_scan_determinismE0ES3_S9_PdNS6_17constant_iteratorIiNS6_11use_defaultESE_EENS6_10device_ptrIdEENSG_IlEEPmS8_NS6_8equal_toIdEEEE10hipError_tPvRmT2_T3_mT4_T5_T6_T7_T8_P12ihipStream_tbENKUlT_T0_E_clISt17integral_constantIbLb0EES12_IbLb1EEEEDaSY_SZ_EUlSY_E_NS1_11comp_targetILNS1_3genE4ELNS1_11target_archE910ELNS1_3gpuE8ELNS1_3repE0EEENS1_30default_config_static_selectorELNS0_4arch9wavefront6targetE1EEEvT1_,comdat
.Lfunc_end1717:
	.size	_ZN7rocprim17ROCPRIM_400000_NS6detail17trampoline_kernelINS0_14default_configENS1_29reduce_by_key_config_selectorIdlN6thrust23THRUST_200600_302600_NS4plusIlEEEEZZNS1_33reduce_by_key_impl_wrapped_configILNS1_25lookback_scan_determinismE0ES3_S9_PdNS6_17constant_iteratorIiNS6_11use_defaultESE_EENS6_10device_ptrIdEENSG_IlEEPmS8_NS6_8equal_toIdEEEE10hipError_tPvRmT2_T3_mT4_T5_T6_T7_T8_P12ihipStream_tbENKUlT_T0_E_clISt17integral_constantIbLb0EES12_IbLb1EEEEDaSY_SZ_EUlSY_E_NS1_11comp_targetILNS1_3genE4ELNS1_11target_archE910ELNS1_3gpuE8ELNS1_3repE0EEENS1_30default_config_static_selectorELNS0_4arch9wavefront6targetE1EEEvT1_, .Lfunc_end1717-_ZN7rocprim17ROCPRIM_400000_NS6detail17trampoline_kernelINS0_14default_configENS1_29reduce_by_key_config_selectorIdlN6thrust23THRUST_200600_302600_NS4plusIlEEEEZZNS1_33reduce_by_key_impl_wrapped_configILNS1_25lookback_scan_determinismE0ES3_S9_PdNS6_17constant_iteratorIiNS6_11use_defaultESE_EENS6_10device_ptrIdEENSG_IlEEPmS8_NS6_8equal_toIdEEEE10hipError_tPvRmT2_T3_mT4_T5_T6_T7_T8_P12ihipStream_tbENKUlT_T0_E_clISt17integral_constantIbLb0EES12_IbLb1EEEEDaSY_SZ_EUlSY_E_NS1_11comp_targetILNS1_3genE4ELNS1_11target_archE910ELNS1_3gpuE8ELNS1_3repE0EEENS1_30default_config_static_selectorELNS0_4arch9wavefront6targetE1EEEvT1_
                                        ; -- End function
	.section	.AMDGPU.csdata,"",@progbits
; Kernel info:
; codeLenInByte = 15924
; NumSgprs: 67
; NumVgprs: 118
; NumAgprs: 0
; TotalNumVgprs: 118
; ScratchSize: 0
; MemoryBound: 0
; FloatMode: 240
; IeeeMode: 1
; LDSByteSize: 30720 bytes/workgroup (compile time only)
; SGPRBlocks: 8
; VGPRBlocks: 14
; NumSGPRsForWavesPerEU: 67
; NumVGPRsForWavesPerEU: 118
; AccumOffset: 120
; Occupancy: 2
; WaveLimiterHint : 1
; COMPUTE_PGM_RSRC2:SCRATCH_EN: 0
; COMPUTE_PGM_RSRC2:USER_SGPR: 6
; COMPUTE_PGM_RSRC2:TRAP_HANDLER: 0
; COMPUTE_PGM_RSRC2:TGID_X_EN: 1
; COMPUTE_PGM_RSRC2:TGID_Y_EN: 0
; COMPUTE_PGM_RSRC2:TGID_Z_EN: 0
; COMPUTE_PGM_RSRC2:TIDIG_COMP_CNT: 0
; COMPUTE_PGM_RSRC3_GFX90A:ACCUM_OFFSET: 29
; COMPUTE_PGM_RSRC3_GFX90A:TG_SPLIT: 0
	.section	.text._ZN7rocprim17ROCPRIM_400000_NS6detail17trampoline_kernelINS0_14default_configENS1_29reduce_by_key_config_selectorIdlN6thrust23THRUST_200600_302600_NS4plusIlEEEEZZNS1_33reduce_by_key_impl_wrapped_configILNS1_25lookback_scan_determinismE0ES3_S9_PdNS6_17constant_iteratorIiNS6_11use_defaultESE_EENS6_10device_ptrIdEENSG_IlEEPmS8_NS6_8equal_toIdEEEE10hipError_tPvRmT2_T3_mT4_T5_T6_T7_T8_P12ihipStream_tbENKUlT_T0_E_clISt17integral_constantIbLb0EES12_IbLb1EEEEDaSY_SZ_EUlSY_E_NS1_11comp_targetILNS1_3genE3ELNS1_11target_archE908ELNS1_3gpuE7ELNS1_3repE0EEENS1_30default_config_static_selectorELNS0_4arch9wavefront6targetE1EEEvT1_,"axG",@progbits,_ZN7rocprim17ROCPRIM_400000_NS6detail17trampoline_kernelINS0_14default_configENS1_29reduce_by_key_config_selectorIdlN6thrust23THRUST_200600_302600_NS4plusIlEEEEZZNS1_33reduce_by_key_impl_wrapped_configILNS1_25lookback_scan_determinismE0ES3_S9_PdNS6_17constant_iteratorIiNS6_11use_defaultESE_EENS6_10device_ptrIdEENSG_IlEEPmS8_NS6_8equal_toIdEEEE10hipError_tPvRmT2_T3_mT4_T5_T6_T7_T8_P12ihipStream_tbENKUlT_T0_E_clISt17integral_constantIbLb0EES12_IbLb1EEEEDaSY_SZ_EUlSY_E_NS1_11comp_targetILNS1_3genE3ELNS1_11target_archE908ELNS1_3gpuE7ELNS1_3repE0EEENS1_30default_config_static_selectorELNS0_4arch9wavefront6targetE1EEEvT1_,comdat
	.protected	_ZN7rocprim17ROCPRIM_400000_NS6detail17trampoline_kernelINS0_14default_configENS1_29reduce_by_key_config_selectorIdlN6thrust23THRUST_200600_302600_NS4plusIlEEEEZZNS1_33reduce_by_key_impl_wrapped_configILNS1_25lookback_scan_determinismE0ES3_S9_PdNS6_17constant_iteratorIiNS6_11use_defaultESE_EENS6_10device_ptrIdEENSG_IlEEPmS8_NS6_8equal_toIdEEEE10hipError_tPvRmT2_T3_mT4_T5_T6_T7_T8_P12ihipStream_tbENKUlT_T0_E_clISt17integral_constantIbLb0EES12_IbLb1EEEEDaSY_SZ_EUlSY_E_NS1_11comp_targetILNS1_3genE3ELNS1_11target_archE908ELNS1_3gpuE7ELNS1_3repE0EEENS1_30default_config_static_selectorELNS0_4arch9wavefront6targetE1EEEvT1_ ; -- Begin function _ZN7rocprim17ROCPRIM_400000_NS6detail17trampoline_kernelINS0_14default_configENS1_29reduce_by_key_config_selectorIdlN6thrust23THRUST_200600_302600_NS4plusIlEEEEZZNS1_33reduce_by_key_impl_wrapped_configILNS1_25lookback_scan_determinismE0ES3_S9_PdNS6_17constant_iteratorIiNS6_11use_defaultESE_EENS6_10device_ptrIdEENSG_IlEEPmS8_NS6_8equal_toIdEEEE10hipError_tPvRmT2_T3_mT4_T5_T6_T7_T8_P12ihipStream_tbENKUlT_T0_E_clISt17integral_constantIbLb0EES12_IbLb1EEEEDaSY_SZ_EUlSY_E_NS1_11comp_targetILNS1_3genE3ELNS1_11target_archE908ELNS1_3gpuE7ELNS1_3repE0EEENS1_30default_config_static_selectorELNS0_4arch9wavefront6targetE1EEEvT1_
	.globl	_ZN7rocprim17ROCPRIM_400000_NS6detail17trampoline_kernelINS0_14default_configENS1_29reduce_by_key_config_selectorIdlN6thrust23THRUST_200600_302600_NS4plusIlEEEEZZNS1_33reduce_by_key_impl_wrapped_configILNS1_25lookback_scan_determinismE0ES3_S9_PdNS6_17constant_iteratorIiNS6_11use_defaultESE_EENS6_10device_ptrIdEENSG_IlEEPmS8_NS6_8equal_toIdEEEE10hipError_tPvRmT2_T3_mT4_T5_T6_T7_T8_P12ihipStream_tbENKUlT_T0_E_clISt17integral_constantIbLb0EES12_IbLb1EEEEDaSY_SZ_EUlSY_E_NS1_11comp_targetILNS1_3genE3ELNS1_11target_archE908ELNS1_3gpuE7ELNS1_3repE0EEENS1_30default_config_static_selectorELNS0_4arch9wavefront6targetE1EEEvT1_
	.p2align	8
	.type	_ZN7rocprim17ROCPRIM_400000_NS6detail17trampoline_kernelINS0_14default_configENS1_29reduce_by_key_config_selectorIdlN6thrust23THRUST_200600_302600_NS4plusIlEEEEZZNS1_33reduce_by_key_impl_wrapped_configILNS1_25lookback_scan_determinismE0ES3_S9_PdNS6_17constant_iteratorIiNS6_11use_defaultESE_EENS6_10device_ptrIdEENSG_IlEEPmS8_NS6_8equal_toIdEEEE10hipError_tPvRmT2_T3_mT4_T5_T6_T7_T8_P12ihipStream_tbENKUlT_T0_E_clISt17integral_constantIbLb0EES12_IbLb1EEEEDaSY_SZ_EUlSY_E_NS1_11comp_targetILNS1_3genE3ELNS1_11target_archE908ELNS1_3gpuE7ELNS1_3repE0EEENS1_30default_config_static_selectorELNS0_4arch9wavefront6targetE1EEEvT1_,@function
_ZN7rocprim17ROCPRIM_400000_NS6detail17trampoline_kernelINS0_14default_configENS1_29reduce_by_key_config_selectorIdlN6thrust23THRUST_200600_302600_NS4plusIlEEEEZZNS1_33reduce_by_key_impl_wrapped_configILNS1_25lookback_scan_determinismE0ES3_S9_PdNS6_17constant_iteratorIiNS6_11use_defaultESE_EENS6_10device_ptrIdEENSG_IlEEPmS8_NS6_8equal_toIdEEEE10hipError_tPvRmT2_T3_mT4_T5_T6_T7_T8_P12ihipStream_tbENKUlT_T0_E_clISt17integral_constantIbLb0EES12_IbLb1EEEEDaSY_SZ_EUlSY_E_NS1_11comp_targetILNS1_3genE3ELNS1_11target_archE908ELNS1_3gpuE7ELNS1_3repE0EEENS1_30default_config_static_selectorELNS0_4arch9wavefront6targetE1EEEvT1_: ; @_ZN7rocprim17ROCPRIM_400000_NS6detail17trampoline_kernelINS0_14default_configENS1_29reduce_by_key_config_selectorIdlN6thrust23THRUST_200600_302600_NS4plusIlEEEEZZNS1_33reduce_by_key_impl_wrapped_configILNS1_25lookback_scan_determinismE0ES3_S9_PdNS6_17constant_iteratorIiNS6_11use_defaultESE_EENS6_10device_ptrIdEENSG_IlEEPmS8_NS6_8equal_toIdEEEE10hipError_tPvRmT2_T3_mT4_T5_T6_T7_T8_P12ihipStream_tbENKUlT_T0_E_clISt17integral_constantIbLb0EES12_IbLb1EEEEDaSY_SZ_EUlSY_E_NS1_11comp_targetILNS1_3genE3ELNS1_11target_archE908ELNS1_3gpuE7ELNS1_3repE0EEENS1_30default_config_static_selectorELNS0_4arch9wavefront6targetE1EEEvT1_
; %bb.0:
	.section	.rodata,"a",@progbits
	.p2align	6, 0x0
	.amdhsa_kernel _ZN7rocprim17ROCPRIM_400000_NS6detail17trampoline_kernelINS0_14default_configENS1_29reduce_by_key_config_selectorIdlN6thrust23THRUST_200600_302600_NS4plusIlEEEEZZNS1_33reduce_by_key_impl_wrapped_configILNS1_25lookback_scan_determinismE0ES3_S9_PdNS6_17constant_iteratorIiNS6_11use_defaultESE_EENS6_10device_ptrIdEENSG_IlEEPmS8_NS6_8equal_toIdEEEE10hipError_tPvRmT2_T3_mT4_T5_T6_T7_T8_P12ihipStream_tbENKUlT_T0_E_clISt17integral_constantIbLb0EES12_IbLb1EEEEDaSY_SZ_EUlSY_E_NS1_11comp_targetILNS1_3genE3ELNS1_11target_archE908ELNS1_3gpuE7ELNS1_3repE0EEENS1_30default_config_static_selectorELNS0_4arch9wavefront6targetE1EEEvT1_
		.amdhsa_group_segment_fixed_size 0
		.amdhsa_private_segment_fixed_size 0
		.amdhsa_kernarg_size 144
		.amdhsa_user_sgpr_count 6
		.amdhsa_user_sgpr_private_segment_buffer 1
		.amdhsa_user_sgpr_dispatch_ptr 0
		.amdhsa_user_sgpr_queue_ptr 0
		.amdhsa_user_sgpr_kernarg_segment_ptr 1
		.amdhsa_user_sgpr_dispatch_id 0
		.amdhsa_user_sgpr_flat_scratch_init 0
		.amdhsa_user_sgpr_kernarg_preload_length 0
		.amdhsa_user_sgpr_kernarg_preload_offset 0
		.amdhsa_user_sgpr_private_segment_size 0
		.amdhsa_uses_dynamic_stack 0
		.amdhsa_system_sgpr_private_segment_wavefront_offset 0
		.amdhsa_system_sgpr_workgroup_id_x 1
		.amdhsa_system_sgpr_workgroup_id_y 0
		.amdhsa_system_sgpr_workgroup_id_z 0
		.amdhsa_system_sgpr_workgroup_info 0
		.amdhsa_system_vgpr_workitem_id 0
		.amdhsa_next_free_vgpr 1
		.amdhsa_next_free_sgpr 0
		.amdhsa_accum_offset 4
		.amdhsa_reserve_vcc 0
		.amdhsa_reserve_flat_scratch 0
		.amdhsa_float_round_mode_32 0
		.amdhsa_float_round_mode_16_64 0
		.amdhsa_float_denorm_mode_32 3
		.amdhsa_float_denorm_mode_16_64 3
		.amdhsa_dx10_clamp 1
		.amdhsa_ieee_mode 1
		.amdhsa_fp16_overflow 0
		.amdhsa_tg_split 0
		.amdhsa_exception_fp_ieee_invalid_op 0
		.amdhsa_exception_fp_denorm_src 0
		.amdhsa_exception_fp_ieee_div_zero 0
		.amdhsa_exception_fp_ieee_overflow 0
		.amdhsa_exception_fp_ieee_underflow 0
		.amdhsa_exception_fp_ieee_inexact 0
		.amdhsa_exception_int_div_zero 0
	.end_amdhsa_kernel
	.section	.text._ZN7rocprim17ROCPRIM_400000_NS6detail17trampoline_kernelINS0_14default_configENS1_29reduce_by_key_config_selectorIdlN6thrust23THRUST_200600_302600_NS4plusIlEEEEZZNS1_33reduce_by_key_impl_wrapped_configILNS1_25lookback_scan_determinismE0ES3_S9_PdNS6_17constant_iteratorIiNS6_11use_defaultESE_EENS6_10device_ptrIdEENSG_IlEEPmS8_NS6_8equal_toIdEEEE10hipError_tPvRmT2_T3_mT4_T5_T6_T7_T8_P12ihipStream_tbENKUlT_T0_E_clISt17integral_constantIbLb0EES12_IbLb1EEEEDaSY_SZ_EUlSY_E_NS1_11comp_targetILNS1_3genE3ELNS1_11target_archE908ELNS1_3gpuE7ELNS1_3repE0EEENS1_30default_config_static_selectorELNS0_4arch9wavefront6targetE1EEEvT1_,"axG",@progbits,_ZN7rocprim17ROCPRIM_400000_NS6detail17trampoline_kernelINS0_14default_configENS1_29reduce_by_key_config_selectorIdlN6thrust23THRUST_200600_302600_NS4plusIlEEEEZZNS1_33reduce_by_key_impl_wrapped_configILNS1_25lookback_scan_determinismE0ES3_S9_PdNS6_17constant_iteratorIiNS6_11use_defaultESE_EENS6_10device_ptrIdEENSG_IlEEPmS8_NS6_8equal_toIdEEEE10hipError_tPvRmT2_T3_mT4_T5_T6_T7_T8_P12ihipStream_tbENKUlT_T0_E_clISt17integral_constantIbLb0EES12_IbLb1EEEEDaSY_SZ_EUlSY_E_NS1_11comp_targetILNS1_3genE3ELNS1_11target_archE908ELNS1_3gpuE7ELNS1_3repE0EEENS1_30default_config_static_selectorELNS0_4arch9wavefront6targetE1EEEvT1_,comdat
.Lfunc_end1718:
	.size	_ZN7rocprim17ROCPRIM_400000_NS6detail17trampoline_kernelINS0_14default_configENS1_29reduce_by_key_config_selectorIdlN6thrust23THRUST_200600_302600_NS4plusIlEEEEZZNS1_33reduce_by_key_impl_wrapped_configILNS1_25lookback_scan_determinismE0ES3_S9_PdNS6_17constant_iteratorIiNS6_11use_defaultESE_EENS6_10device_ptrIdEENSG_IlEEPmS8_NS6_8equal_toIdEEEE10hipError_tPvRmT2_T3_mT4_T5_T6_T7_T8_P12ihipStream_tbENKUlT_T0_E_clISt17integral_constantIbLb0EES12_IbLb1EEEEDaSY_SZ_EUlSY_E_NS1_11comp_targetILNS1_3genE3ELNS1_11target_archE908ELNS1_3gpuE7ELNS1_3repE0EEENS1_30default_config_static_selectorELNS0_4arch9wavefront6targetE1EEEvT1_, .Lfunc_end1718-_ZN7rocprim17ROCPRIM_400000_NS6detail17trampoline_kernelINS0_14default_configENS1_29reduce_by_key_config_selectorIdlN6thrust23THRUST_200600_302600_NS4plusIlEEEEZZNS1_33reduce_by_key_impl_wrapped_configILNS1_25lookback_scan_determinismE0ES3_S9_PdNS6_17constant_iteratorIiNS6_11use_defaultESE_EENS6_10device_ptrIdEENSG_IlEEPmS8_NS6_8equal_toIdEEEE10hipError_tPvRmT2_T3_mT4_T5_T6_T7_T8_P12ihipStream_tbENKUlT_T0_E_clISt17integral_constantIbLb0EES12_IbLb1EEEEDaSY_SZ_EUlSY_E_NS1_11comp_targetILNS1_3genE3ELNS1_11target_archE908ELNS1_3gpuE7ELNS1_3repE0EEENS1_30default_config_static_selectorELNS0_4arch9wavefront6targetE1EEEvT1_
                                        ; -- End function
	.section	.AMDGPU.csdata,"",@progbits
; Kernel info:
; codeLenInByte = 0
; NumSgprs: 4
; NumVgprs: 0
; NumAgprs: 0
; TotalNumVgprs: 0
; ScratchSize: 0
; MemoryBound: 0
; FloatMode: 240
; IeeeMode: 1
; LDSByteSize: 0 bytes/workgroup (compile time only)
; SGPRBlocks: 0
; VGPRBlocks: 0
; NumSGPRsForWavesPerEU: 4
; NumVGPRsForWavesPerEU: 1
; AccumOffset: 4
; Occupancy: 8
; WaveLimiterHint : 0
; COMPUTE_PGM_RSRC2:SCRATCH_EN: 0
; COMPUTE_PGM_RSRC2:USER_SGPR: 6
; COMPUTE_PGM_RSRC2:TRAP_HANDLER: 0
; COMPUTE_PGM_RSRC2:TGID_X_EN: 1
; COMPUTE_PGM_RSRC2:TGID_Y_EN: 0
; COMPUTE_PGM_RSRC2:TGID_Z_EN: 0
; COMPUTE_PGM_RSRC2:TIDIG_COMP_CNT: 0
; COMPUTE_PGM_RSRC3_GFX90A:ACCUM_OFFSET: 0
; COMPUTE_PGM_RSRC3_GFX90A:TG_SPLIT: 0
	.section	.text._ZN7rocprim17ROCPRIM_400000_NS6detail17trampoline_kernelINS0_14default_configENS1_29reduce_by_key_config_selectorIdlN6thrust23THRUST_200600_302600_NS4plusIlEEEEZZNS1_33reduce_by_key_impl_wrapped_configILNS1_25lookback_scan_determinismE0ES3_S9_PdNS6_17constant_iteratorIiNS6_11use_defaultESE_EENS6_10device_ptrIdEENSG_IlEEPmS8_NS6_8equal_toIdEEEE10hipError_tPvRmT2_T3_mT4_T5_T6_T7_T8_P12ihipStream_tbENKUlT_T0_E_clISt17integral_constantIbLb0EES12_IbLb1EEEEDaSY_SZ_EUlSY_E_NS1_11comp_targetILNS1_3genE2ELNS1_11target_archE906ELNS1_3gpuE6ELNS1_3repE0EEENS1_30default_config_static_selectorELNS0_4arch9wavefront6targetE1EEEvT1_,"axG",@progbits,_ZN7rocprim17ROCPRIM_400000_NS6detail17trampoline_kernelINS0_14default_configENS1_29reduce_by_key_config_selectorIdlN6thrust23THRUST_200600_302600_NS4plusIlEEEEZZNS1_33reduce_by_key_impl_wrapped_configILNS1_25lookback_scan_determinismE0ES3_S9_PdNS6_17constant_iteratorIiNS6_11use_defaultESE_EENS6_10device_ptrIdEENSG_IlEEPmS8_NS6_8equal_toIdEEEE10hipError_tPvRmT2_T3_mT4_T5_T6_T7_T8_P12ihipStream_tbENKUlT_T0_E_clISt17integral_constantIbLb0EES12_IbLb1EEEEDaSY_SZ_EUlSY_E_NS1_11comp_targetILNS1_3genE2ELNS1_11target_archE906ELNS1_3gpuE6ELNS1_3repE0EEENS1_30default_config_static_selectorELNS0_4arch9wavefront6targetE1EEEvT1_,comdat
	.protected	_ZN7rocprim17ROCPRIM_400000_NS6detail17trampoline_kernelINS0_14default_configENS1_29reduce_by_key_config_selectorIdlN6thrust23THRUST_200600_302600_NS4plusIlEEEEZZNS1_33reduce_by_key_impl_wrapped_configILNS1_25lookback_scan_determinismE0ES3_S9_PdNS6_17constant_iteratorIiNS6_11use_defaultESE_EENS6_10device_ptrIdEENSG_IlEEPmS8_NS6_8equal_toIdEEEE10hipError_tPvRmT2_T3_mT4_T5_T6_T7_T8_P12ihipStream_tbENKUlT_T0_E_clISt17integral_constantIbLb0EES12_IbLb1EEEEDaSY_SZ_EUlSY_E_NS1_11comp_targetILNS1_3genE2ELNS1_11target_archE906ELNS1_3gpuE6ELNS1_3repE0EEENS1_30default_config_static_selectorELNS0_4arch9wavefront6targetE1EEEvT1_ ; -- Begin function _ZN7rocprim17ROCPRIM_400000_NS6detail17trampoline_kernelINS0_14default_configENS1_29reduce_by_key_config_selectorIdlN6thrust23THRUST_200600_302600_NS4plusIlEEEEZZNS1_33reduce_by_key_impl_wrapped_configILNS1_25lookback_scan_determinismE0ES3_S9_PdNS6_17constant_iteratorIiNS6_11use_defaultESE_EENS6_10device_ptrIdEENSG_IlEEPmS8_NS6_8equal_toIdEEEE10hipError_tPvRmT2_T3_mT4_T5_T6_T7_T8_P12ihipStream_tbENKUlT_T0_E_clISt17integral_constantIbLb0EES12_IbLb1EEEEDaSY_SZ_EUlSY_E_NS1_11comp_targetILNS1_3genE2ELNS1_11target_archE906ELNS1_3gpuE6ELNS1_3repE0EEENS1_30default_config_static_selectorELNS0_4arch9wavefront6targetE1EEEvT1_
	.globl	_ZN7rocprim17ROCPRIM_400000_NS6detail17trampoline_kernelINS0_14default_configENS1_29reduce_by_key_config_selectorIdlN6thrust23THRUST_200600_302600_NS4plusIlEEEEZZNS1_33reduce_by_key_impl_wrapped_configILNS1_25lookback_scan_determinismE0ES3_S9_PdNS6_17constant_iteratorIiNS6_11use_defaultESE_EENS6_10device_ptrIdEENSG_IlEEPmS8_NS6_8equal_toIdEEEE10hipError_tPvRmT2_T3_mT4_T5_T6_T7_T8_P12ihipStream_tbENKUlT_T0_E_clISt17integral_constantIbLb0EES12_IbLb1EEEEDaSY_SZ_EUlSY_E_NS1_11comp_targetILNS1_3genE2ELNS1_11target_archE906ELNS1_3gpuE6ELNS1_3repE0EEENS1_30default_config_static_selectorELNS0_4arch9wavefront6targetE1EEEvT1_
	.p2align	8
	.type	_ZN7rocprim17ROCPRIM_400000_NS6detail17trampoline_kernelINS0_14default_configENS1_29reduce_by_key_config_selectorIdlN6thrust23THRUST_200600_302600_NS4plusIlEEEEZZNS1_33reduce_by_key_impl_wrapped_configILNS1_25lookback_scan_determinismE0ES3_S9_PdNS6_17constant_iteratorIiNS6_11use_defaultESE_EENS6_10device_ptrIdEENSG_IlEEPmS8_NS6_8equal_toIdEEEE10hipError_tPvRmT2_T3_mT4_T5_T6_T7_T8_P12ihipStream_tbENKUlT_T0_E_clISt17integral_constantIbLb0EES12_IbLb1EEEEDaSY_SZ_EUlSY_E_NS1_11comp_targetILNS1_3genE2ELNS1_11target_archE906ELNS1_3gpuE6ELNS1_3repE0EEENS1_30default_config_static_selectorELNS0_4arch9wavefront6targetE1EEEvT1_,@function
_ZN7rocprim17ROCPRIM_400000_NS6detail17trampoline_kernelINS0_14default_configENS1_29reduce_by_key_config_selectorIdlN6thrust23THRUST_200600_302600_NS4plusIlEEEEZZNS1_33reduce_by_key_impl_wrapped_configILNS1_25lookback_scan_determinismE0ES3_S9_PdNS6_17constant_iteratorIiNS6_11use_defaultESE_EENS6_10device_ptrIdEENSG_IlEEPmS8_NS6_8equal_toIdEEEE10hipError_tPvRmT2_T3_mT4_T5_T6_T7_T8_P12ihipStream_tbENKUlT_T0_E_clISt17integral_constantIbLb0EES12_IbLb1EEEEDaSY_SZ_EUlSY_E_NS1_11comp_targetILNS1_3genE2ELNS1_11target_archE906ELNS1_3gpuE6ELNS1_3repE0EEENS1_30default_config_static_selectorELNS0_4arch9wavefront6targetE1EEEvT1_: ; @_ZN7rocprim17ROCPRIM_400000_NS6detail17trampoline_kernelINS0_14default_configENS1_29reduce_by_key_config_selectorIdlN6thrust23THRUST_200600_302600_NS4plusIlEEEEZZNS1_33reduce_by_key_impl_wrapped_configILNS1_25lookback_scan_determinismE0ES3_S9_PdNS6_17constant_iteratorIiNS6_11use_defaultESE_EENS6_10device_ptrIdEENSG_IlEEPmS8_NS6_8equal_toIdEEEE10hipError_tPvRmT2_T3_mT4_T5_T6_T7_T8_P12ihipStream_tbENKUlT_T0_E_clISt17integral_constantIbLb0EES12_IbLb1EEEEDaSY_SZ_EUlSY_E_NS1_11comp_targetILNS1_3genE2ELNS1_11target_archE906ELNS1_3gpuE6ELNS1_3repE0EEENS1_30default_config_static_selectorELNS0_4arch9wavefront6targetE1EEEvT1_
; %bb.0:
	.section	.rodata,"a",@progbits
	.p2align	6, 0x0
	.amdhsa_kernel _ZN7rocprim17ROCPRIM_400000_NS6detail17trampoline_kernelINS0_14default_configENS1_29reduce_by_key_config_selectorIdlN6thrust23THRUST_200600_302600_NS4plusIlEEEEZZNS1_33reduce_by_key_impl_wrapped_configILNS1_25lookback_scan_determinismE0ES3_S9_PdNS6_17constant_iteratorIiNS6_11use_defaultESE_EENS6_10device_ptrIdEENSG_IlEEPmS8_NS6_8equal_toIdEEEE10hipError_tPvRmT2_T3_mT4_T5_T6_T7_T8_P12ihipStream_tbENKUlT_T0_E_clISt17integral_constantIbLb0EES12_IbLb1EEEEDaSY_SZ_EUlSY_E_NS1_11comp_targetILNS1_3genE2ELNS1_11target_archE906ELNS1_3gpuE6ELNS1_3repE0EEENS1_30default_config_static_selectorELNS0_4arch9wavefront6targetE1EEEvT1_
		.amdhsa_group_segment_fixed_size 0
		.amdhsa_private_segment_fixed_size 0
		.amdhsa_kernarg_size 144
		.amdhsa_user_sgpr_count 6
		.amdhsa_user_sgpr_private_segment_buffer 1
		.amdhsa_user_sgpr_dispatch_ptr 0
		.amdhsa_user_sgpr_queue_ptr 0
		.amdhsa_user_sgpr_kernarg_segment_ptr 1
		.amdhsa_user_sgpr_dispatch_id 0
		.amdhsa_user_sgpr_flat_scratch_init 0
		.amdhsa_user_sgpr_kernarg_preload_length 0
		.amdhsa_user_sgpr_kernarg_preload_offset 0
		.amdhsa_user_sgpr_private_segment_size 0
		.amdhsa_uses_dynamic_stack 0
		.amdhsa_system_sgpr_private_segment_wavefront_offset 0
		.amdhsa_system_sgpr_workgroup_id_x 1
		.amdhsa_system_sgpr_workgroup_id_y 0
		.amdhsa_system_sgpr_workgroup_id_z 0
		.amdhsa_system_sgpr_workgroup_info 0
		.amdhsa_system_vgpr_workitem_id 0
		.amdhsa_next_free_vgpr 1
		.amdhsa_next_free_sgpr 0
		.amdhsa_accum_offset 4
		.amdhsa_reserve_vcc 0
		.amdhsa_reserve_flat_scratch 0
		.amdhsa_float_round_mode_32 0
		.amdhsa_float_round_mode_16_64 0
		.amdhsa_float_denorm_mode_32 3
		.amdhsa_float_denorm_mode_16_64 3
		.amdhsa_dx10_clamp 1
		.amdhsa_ieee_mode 1
		.amdhsa_fp16_overflow 0
		.amdhsa_tg_split 0
		.amdhsa_exception_fp_ieee_invalid_op 0
		.amdhsa_exception_fp_denorm_src 0
		.amdhsa_exception_fp_ieee_div_zero 0
		.amdhsa_exception_fp_ieee_overflow 0
		.amdhsa_exception_fp_ieee_underflow 0
		.amdhsa_exception_fp_ieee_inexact 0
		.amdhsa_exception_int_div_zero 0
	.end_amdhsa_kernel
	.section	.text._ZN7rocprim17ROCPRIM_400000_NS6detail17trampoline_kernelINS0_14default_configENS1_29reduce_by_key_config_selectorIdlN6thrust23THRUST_200600_302600_NS4plusIlEEEEZZNS1_33reduce_by_key_impl_wrapped_configILNS1_25lookback_scan_determinismE0ES3_S9_PdNS6_17constant_iteratorIiNS6_11use_defaultESE_EENS6_10device_ptrIdEENSG_IlEEPmS8_NS6_8equal_toIdEEEE10hipError_tPvRmT2_T3_mT4_T5_T6_T7_T8_P12ihipStream_tbENKUlT_T0_E_clISt17integral_constantIbLb0EES12_IbLb1EEEEDaSY_SZ_EUlSY_E_NS1_11comp_targetILNS1_3genE2ELNS1_11target_archE906ELNS1_3gpuE6ELNS1_3repE0EEENS1_30default_config_static_selectorELNS0_4arch9wavefront6targetE1EEEvT1_,"axG",@progbits,_ZN7rocprim17ROCPRIM_400000_NS6detail17trampoline_kernelINS0_14default_configENS1_29reduce_by_key_config_selectorIdlN6thrust23THRUST_200600_302600_NS4plusIlEEEEZZNS1_33reduce_by_key_impl_wrapped_configILNS1_25lookback_scan_determinismE0ES3_S9_PdNS6_17constant_iteratorIiNS6_11use_defaultESE_EENS6_10device_ptrIdEENSG_IlEEPmS8_NS6_8equal_toIdEEEE10hipError_tPvRmT2_T3_mT4_T5_T6_T7_T8_P12ihipStream_tbENKUlT_T0_E_clISt17integral_constantIbLb0EES12_IbLb1EEEEDaSY_SZ_EUlSY_E_NS1_11comp_targetILNS1_3genE2ELNS1_11target_archE906ELNS1_3gpuE6ELNS1_3repE0EEENS1_30default_config_static_selectorELNS0_4arch9wavefront6targetE1EEEvT1_,comdat
.Lfunc_end1719:
	.size	_ZN7rocprim17ROCPRIM_400000_NS6detail17trampoline_kernelINS0_14default_configENS1_29reduce_by_key_config_selectorIdlN6thrust23THRUST_200600_302600_NS4plusIlEEEEZZNS1_33reduce_by_key_impl_wrapped_configILNS1_25lookback_scan_determinismE0ES3_S9_PdNS6_17constant_iteratorIiNS6_11use_defaultESE_EENS6_10device_ptrIdEENSG_IlEEPmS8_NS6_8equal_toIdEEEE10hipError_tPvRmT2_T3_mT4_T5_T6_T7_T8_P12ihipStream_tbENKUlT_T0_E_clISt17integral_constantIbLb0EES12_IbLb1EEEEDaSY_SZ_EUlSY_E_NS1_11comp_targetILNS1_3genE2ELNS1_11target_archE906ELNS1_3gpuE6ELNS1_3repE0EEENS1_30default_config_static_selectorELNS0_4arch9wavefront6targetE1EEEvT1_, .Lfunc_end1719-_ZN7rocprim17ROCPRIM_400000_NS6detail17trampoline_kernelINS0_14default_configENS1_29reduce_by_key_config_selectorIdlN6thrust23THRUST_200600_302600_NS4plusIlEEEEZZNS1_33reduce_by_key_impl_wrapped_configILNS1_25lookback_scan_determinismE0ES3_S9_PdNS6_17constant_iteratorIiNS6_11use_defaultESE_EENS6_10device_ptrIdEENSG_IlEEPmS8_NS6_8equal_toIdEEEE10hipError_tPvRmT2_T3_mT4_T5_T6_T7_T8_P12ihipStream_tbENKUlT_T0_E_clISt17integral_constantIbLb0EES12_IbLb1EEEEDaSY_SZ_EUlSY_E_NS1_11comp_targetILNS1_3genE2ELNS1_11target_archE906ELNS1_3gpuE6ELNS1_3repE0EEENS1_30default_config_static_selectorELNS0_4arch9wavefront6targetE1EEEvT1_
                                        ; -- End function
	.section	.AMDGPU.csdata,"",@progbits
; Kernel info:
; codeLenInByte = 0
; NumSgprs: 4
; NumVgprs: 0
; NumAgprs: 0
; TotalNumVgprs: 0
; ScratchSize: 0
; MemoryBound: 0
; FloatMode: 240
; IeeeMode: 1
; LDSByteSize: 0 bytes/workgroup (compile time only)
; SGPRBlocks: 0
; VGPRBlocks: 0
; NumSGPRsForWavesPerEU: 4
; NumVGPRsForWavesPerEU: 1
; AccumOffset: 4
; Occupancy: 8
; WaveLimiterHint : 0
; COMPUTE_PGM_RSRC2:SCRATCH_EN: 0
; COMPUTE_PGM_RSRC2:USER_SGPR: 6
; COMPUTE_PGM_RSRC2:TRAP_HANDLER: 0
; COMPUTE_PGM_RSRC2:TGID_X_EN: 1
; COMPUTE_PGM_RSRC2:TGID_Y_EN: 0
; COMPUTE_PGM_RSRC2:TGID_Z_EN: 0
; COMPUTE_PGM_RSRC2:TIDIG_COMP_CNT: 0
; COMPUTE_PGM_RSRC3_GFX90A:ACCUM_OFFSET: 0
; COMPUTE_PGM_RSRC3_GFX90A:TG_SPLIT: 0
	.section	.text._ZN7rocprim17ROCPRIM_400000_NS6detail17trampoline_kernelINS0_14default_configENS1_29reduce_by_key_config_selectorIdlN6thrust23THRUST_200600_302600_NS4plusIlEEEEZZNS1_33reduce_by_key_impl_wrapped_configILNS1_25lookback_scan_determinismE0ES3_S9_PdNS6_17constant_iteratorIiNS6_11use_defaultESE_EENS6_10device_ptrIdEENSG_IlEEPmS8_NS6_8equal_toIdEEEE10hipError_tPvRmT2_T3_mT4_T5_T6_T7_T8_P12ihipStream_tbENKUlT_T0_E_clISt17integral_constantIbLb0EES12_IbLb1EEEEDaSY_SZ_EUlSY_E_NS1_11comp_targetILNS1_3genE10ELNS1_11target_archE1201ELNS1_3gpuE5ELNS1_3repE0EEENS1_30default_config_static_selectorELNS0_4arch9wavefront6targetE1EEEvT1_,"axG",@progbits,_ZN7rocprim17ROCPRIM_400000_NS6detail17trampoline_kernelINS0_14default_configENS1_29reduce_by_key_config_selectorIdlN6thrust23THRUST_200600_302600_NS4plusIlEEEEZZNS1_33reduce_by_key_impl_wrapped_configILNS1_25lookback_scan_determinismE0ES3_S9_PdNS6_17constant_iteratorIiNS6_11use_defaultESE_EENS6_10device_ptrIdEENSG_IlEEPmS8_NS6_8equal_toIdEEEE10hipError_tPvRmT2_T3_mT4_T5_T6_T7_T8_P12ihipStream_tbENKUlT_T0_E_clISt17integral_constantIbLb0EES12_IbLb1EEEEDaSY_SZ_EUlSY_E_NS1_11comp_targetILNS1_3genE10ELNS1_11target_archE1201ELNS1_3gpuE5ELNS1_3repE0EEENS1_30default_config_static_selectorELNS0_4arch9wavefront6targetE1EEEvT1_,comdat
	.protected	_ZN7rocprim17ROCPRIM_400000_NS6detail17trampoline_kernelINS0_14default_configENS1_29reduce_by_key_config_selectorIdlN6thrust23THRUST_200600_302600_NS4plusIlEEEEZZNS1_33reduce_by_key_impl_wrapped_configILNS1_25lookback_scan_determinismE0ES3_S9_PdNS6_17constant_iteratorIiNS6_11use_defaultESE_EENS6_10device_ptrIdEENSG_IlEEPmS8_NS6_8equal_toIdEEEE10hipError_tPvRmT2_T3_mT4_T5_T6_T7_T8_P12ihipStream_tbENKUlT_T0_E_clISt17integral_constantIbLb0EES12_IbLb1EEEEDaSY_SZ_EUlSY_E_NS1_11comp_targetILNS1_3genE10ELNS1_11target_archE1201ELNS1_3gpuE5ELNS1_3repE0EEENS1_30default_config_static_selectorELNS0_4arch9wavefront6targetE1EEEvT1_ ; -- Begin function _ZN7rocprim17ROCPRIM_400000_NS6detail17trampoline_kernelINS0_14default_configENS1_29reduce_by_key_config_selectorIdlN6thrust23THRUST_200600_302600_NS4plusIlEEEEZZNS1_33reduce_by_key_impl_wrapped_configILNS1_25lookback_scan_determinismE0ES3_S9_PdNS6_17constant_iteratorIiNS6_11use_defaultESE_EENS6_10device_ptrIdEENSG_IlEEPmS8_NS6_8equal_toIdEEEE10hipError_tPvRmT2_T3_mT4_T5_T6_T7_T8_P12ihipStream_tbENKUlT_T0_E_clISt17integral_constantIbLb0EES12_IbLb1EEEEDaSY_SZ_EUlSY_E_NS1_11comp_targetILNS1_3genE10ELNS1_11target_archE1201ELNS1_3gpuE5ELNS1_3repE0EEENS1_30default_config_static_selectorELNS0_4arch9wavefront6targetE1EEEvT1_
	.globl	_ZN7rocprim17ROCPRIM_400000_NS6detail17trampoline_kernelINS0_14default_configENS1_29reduce_by_key_config_selectorIdlN6thrust23THRUST_200600_302600_NS4plusIlEEEEZZNS1_33reduce_by_key_impl_wrapped_configILNS1_25lookback_scan_determinismE0ES3_S9_PdNS6_17constant_iteratorIiNS6_11use_defaultESE_EENS6_10device_ptrIdEENSG_IlEEPmS8_NS6_8equal_toIdEEEE10hipError_tPvRmT2_T3_mT4_T5_T6_T7_T8_P12ihipStream_tbENKUlT_T0_E_clISt17integral_constantIbLb0EES12_IbLb1EEEEDaSY_SZ_EUlSY_E_NS1_11comp_targetILNS1_3genE10ELNS1_11target_archE1201ELNS1_3gpuE5ELNS1_3repE0EEENS1_30default_config_static_selectorELNS0_4arch9wavefront6targetE1EEEvT1_
	.p2align	8
	.type	_ZN7rocprim17ROCPRIM_400000_NS6detail17trampoline_kernelINS0_14default_configENS1_29reduce_by_key_config_selectorIdlN6thrust23THRUST_200600_302600_NS4plusIlEEEEZZNS1_33reduce_by_key_impl_wrapped_configILNS1_25lookback_scan_determinismE0ES3_S9_PdNS6_17constant_iteratorIiNS6_11use_defaultESE_EENS6_10device_ptrIdEENSG_IlEEPmS8_NS6_8equal_toIdEEEE10hipError_tPvRmT2_T3_mT4_T5_T6_T7_T8_P12ihipStream_tbENKUlT_T0_E_clISt17integral_constantIbLb0EES12_IbLb1EEEEDaSY_SZ_EUlSY_E_NS1_11comp_targetILNS1_3genE10ELNS1_11target_archE1201ELNS1_3gpuE5ELNS1_3repE0EEENS1_30default_config_static_selectorELNS0_4arch9wavefront6targetE1EEEvT1_,@function
_ZN7rocprim17ROCPRIM_400000_NS6detail17trampoline_kernelINS0_14default_configENS1_29reduce_by_key_config_selectorIdlN6thrust23THRUST_200600_302600_NS4plusIlEEEEZZNS1_33reduce_by_key_impl_wrapped_configILNS1_25lookback_scan_determinismE0ES3_S9_PdNS6_17constant_iteratorIiNS6_11use_defaultESE_EENS6_10device_ptrIdEENSG_IlEEPmS8_NS6_8equal_toIdEEEE10hipError_tPvRmT2_T3_mT4_T5_T6_T7_T8_P12ihipStream_tbENKUlT_T0_E_clISt17integral_constantIbLb0EES12_IbLb1EEEEDaSY_SZ_EUlSY_E_NS1_11comp_targetILNS1_3genE10ELNS1_11target_archE1201ELNS1_3gpuE5ELNS1_3repE0EEENS1_30default_config_static_selectorELNS0_4arch9wavefront6targetE1EEEvT1_: ; @_ZN7rocprim17ROCPRIM_400000_NS6detail17trampoline_kernelINS0_14default_configENS1_29reduce_by_key_config_selectorIdlN6thrust23THRUST_200600_302600_NS4plusIlEEEEZZNS1_33reduce_by_key_impl_wrapped_configILNS1_25lookback_scan_determinismE0ES3_S9_PdNS6_17constant_iteratorIiNS6_11use_defaultESE_EENS6_10device_ptrIdEENSG_IlEEPmS8_NS6_8equal_toIdEEEE10hipError_tPvRmT2_T3_mT4_T5_T6_T7_T8_P12ihipStream_tbENKUlT_T0_E_clISt17integral_constantIbLb0EES12_IbLb1EEEEDaSY_SZ_EUlSY_E_NS1_11comp_targetILNS1_3genE10ELNS1_11target_archE1201ELNS1_3gpuE5ELNS1_3repE0EEENS1_30default_config_static_selectorELNS0_4arch9wavefront6targetE1EEEvT1_
; %bb.0:
	.section	.rodata,"a",@progbits
	.p2align	6, 0x0
	.amdhsa_kernel _ZN7rocprim17ROCPRIM_400000_NS6detail17trampoline_kernelINS0_14default_configENS1_29reduce_by_key_config_selectorIdlN6thrust23THRUST_200600_302600_NS4plusIlEEEEZZNS1_33reduce_by_key_impl_wrapped_configILNS1_25lookback_scan_determinismE0ES3_S9_PdNS6_17constant_iteratorIiNS6_11use_defaultESE_EENS6_10device_ptrIdEENSG_IlEEPmS8_NS6_8equal_toIdEEEE10hipError_tPvRmT2_T3_mT4_T5_T6_T7_T8_P12ihipStream_tbENKUlT_T0_E_clISt17integral_constantIbLb0EES12_IbLb1EEEEDaSY_SZ_EUlSY_E_NS1_11comp_targetILNS1_3genE10ELNS1_11target_archE1201ELNS1_3gpuE5ELNS1_3repE0EEENS1_30default_config_static_selectorELNS0_4arch9wavefront6targetE1EEEvT1_
		.amdhsa_group_segment_fixed_size 0
		.amdhsa_private_segment_fixed_size 0
		.amdhsa_kernarg_size 144
		.amdhsa_user_sgpr_count 6
		.amdhsa_user_sgpr_private_segment_buffer 1
		.amdhsa_user_sgpr_dispatch_ptr 0
		.amdhsa_user_sgpr_queue_ptr 0
		.amdhsa_user_sgpr_kernarg_segment_ptr 1
		.amdhsa_user_sgpr_dispatch_id 0
		.amdhsa_user_sgpr_flat_scratch_init 0
		.amdhsa_user_sgpr_kernarg_preload_length 0
		.amdhsa_user_sgpr_kernarg_preload_offset 0
		.amdhsa_user_sgpr_private_segment_size 0
		.amdhsa_uses_dynamic_stack 0
		.amdhsa_system_sgpr_private_segment_wavefront_offset 0
		.amdhsa_system_sgpr_workgroup_id_x 1
		.amdhsa_system_sgpr_workgroup_id_y 0
		.amdhsa_system_sgpr_workgroup_id_z 0
		.amdhsa_system_sgpr_workgroup_info 0
		.amdhsa_system_vgpr_workitem_id 0
		.amdhsa_next_free_vgpr 1
		.amdhsa_next_free_sgpr 0
		.amdhsa_accum_offset 4
		.amdhsa_reserve_vcc 0
		.amdhsa_reserve_flat_scratch 0
		.amdhsa_float_round_mode_32 0
		.amdhsa_float_round_mode_16_64 0
		.amdhsa_float_denorm_mode_32 3
		.amdhsa_float_denorm_mode_16_64 3
		.amdhsa_dx10_clamp 1
		.amdhsa_ieee_mode 1
		.amdhsa_fp16_overflow 0
		.amdhsa_tg_split 0
		.amdhsa_exception_fp_ieee_invalid_op 0
		.amdhsa_exception_fp_denorm_src 0
		.amdhsa_exception_fp_ieee_div_zero 0
		.amdhsa_exception_fp_ieee_overflow 0
		.amdhsa_exception_fp_ieee_underflow 0
		.amdhsa_exception_fp_ieee_inexact 0
		.amdhsa_exception_int_div_zero 0
	.end_amdhsa_kernel
	.section	.text._ZN7rocprim17ROCPRIM_400000_NS6detail17trampoline_kernelINS0_14default_configENS1_29reduce_by_key_config_selectorIdlN6thrust23THRUST_200600_302600_NS4plusIlEEEEZZNS1_33reduce_by_key_impl_wrapped_configILNS1_25lookback_scan_determinismE0ES3_S9_PdNS6_17constant_iteratorIiNS6_11use_defaultESE_EENS6_10device_ptrIdEENSG_IlEEPmS8_NS6_8equal_toIdEEEE10hipError_tPvRmT2_T3_mT4_T5_T6_T7_T8_P12ihipStream_tbENKUlT_T0_E_clISt17integral_constantIbLb0EES12_IbLb1EEEEDaSY_SZ_EUlSY_E_NS1_11comp_targetILNS1_3genE10ELNS1_11target_archE1201ELNS1_3gpuE5ELNS1_3repE0EEENS1_30default_config_static_selectorELNS0_4arch9wavefront6targetE1EEEvT1_,"axG",@progbits,_ZN7rocprim17ROCPRIM_400000_NS6detail17trampoline_kernelINS0_14default_configENS1_29reduce_by_key_config_selectorIdlN6thrust23THRUST_200600_302600_NS4plusIlEEEEZZNS1_33reduce_by_key_impl_wrapped_configILNS1_25lookback_scan_determinismE0ES3_S9_PdNS6_17constant_iteratorIiNS6_11use_defaultESE_EENS6_10device_ptrIdEENSG_IlEEPmS8_NS6_8equal_toIdEEEE10hipError_tPvRmT2_T3_mT4_T5_T6_T7_T8_P12ihipStream_tbENKUlT_T0_E_clISt17integral_constantIbLb0EES12_IbLb1EEEEDaSY_SZ_EUlSY_E_NS1_11comp_targetILNS1_3genE10ELNS1_11target_archE1201ELNS1_3gpuE5ELNS1_3repE0EEENS1_30default_config_static_selectorELNS0_4arch9wavefront6targetE1EEEvT1_,comdat
.Lfunc_end1720:
	.size	_ZN7rocprim17ROCPRIM_400000_NS6detail17trampoline_kernelINS0_14default_configENS1_29reduce_by_key_config_selectorIdlN6thrust23THRUST_200600_302600_NS4plusIlEEEEZZNS1_33reduce_by_key_impl_wrapped_configILNS1_25lookback_scan_determinismE0ES3_S9_PdNS6_17constant_iteratorIiNS6_11use_defaultESE_EENS6_10device_ptrIdEENSG_IlEEPmS8_NS6_8equal_toIdEEEE10hipError_tPvRmT2_T3_mT4_T5_T6_T7_T8_P12ihipStream_tbENKUlT_T0_E_clISt17integral_constantIbLb0EES12_IbLb1EEEEDaSY_SZ_EUlSY_E_NS1_11comp_targetILNS1_3genE10ELNS1_11target_archE1201ELNS1_3gpuE5ELNS1_3repE0EEENS1_30default_config_static_selectorELNS0_4arch9wavefront6targetE1EEEvT1_, .Lfunc_end1720-_ZN7rocprim17ROCPRIM_400000_NS6detail17trampoline_kernelINS0_14default_configENS1_29reduce_by_key_config_selectorIdlN6thrust23THRUST_200600_302600_NS4plusIlEEEEZZNS1_33reduce_by_key_impl_wrapped_configILNS1_25lookback_scan_determinismE0ES3_S9_PdNS6_17constant_iteratorIiNS6_11use_defaultESE_EENS6_10device_ptrIdEENSG_IlEEPmS8_NS6_8equal_toIdEEEE10hipError_tPvRmT2_T3_mT4_T5_T6_T7_T8_P12ihipStream_tbENKUlT_T0_E_clISt17integral_constantIbLb0EES12_IbLb1EEEEDaSY_SZ_EUlSY_E_NS1_11comp_targetILNS1_3genE10ELNS1_11target_archE1201ELNS1_3gpuE5ELNS1_3repE0EEENS1_30default_config_static_selectorELNS0_4arch9wavefront6targetE1EEEvT1_
                                        ; -- End function
	.section	.AMDGPU.csdata,"",@progbits
; Kernel info:
; codeLenInByte = 0
; NumSgprs: 4
; NumVgprs: 0
; NumAgprs: 0
; TotalNumVgprs: 0
; ScratchSize: 0
; MemoryBound: 0
; FloatMode: 240
; IeeeMode: 1
; LDSByteSize: 0 bytes/workgroup (compile time only)
; SGPRBlocks: 0
; VGPRBlocks: 0
; NumSGPRsForWavesPerEU: 4
; NumVGPRsForWavesPerEU: 1
; AccumOffset: 4
; Occupancy: 8
; WaveLimiterHint : 0
; COMPUTE_PGM_RSRC2:SCRATCH_EN: 0
; COMPUTE_PGM_RSRC2:USER_SGPR: 6
; COMPUTE_PGM_RSRC2:TRAP_HANDLER: 0
; COMPUTE_PGM_RSRC2:TGID_X_EN: 1
; COMPUTE_PGM_RSRC2:TGID_Y_EN: 0
; COMPUTE_PGM_RSRC2:TGID_Z_EN: 0
; COMPUTE_PGM_RSRC2:TIDIG_COMP_CNT: 0
; COMPUTE_PGM_RSRC3_GFX90A:ACCUM_OFFSET: 0
; COMPUTE_PGM_RSRC3_GFX90A:TG_SPLIT: 0
	.section	.text._ZN7rocprim17ROCPRIM_400000_NS6detail17trampoline_kernelINS0_14default_configENS1_29reduce_by_key_config_selectorIdlN6thrust23THRUST_200600_302600_NS4plusIlEEEEZZNS1_33reduce_by_key_impl_wrapped_configILNS1_25lookback_scan_determinismE0ES3_S9_PdNS6_17constant_iteratorIiNS6_11use_defaultESE_EENS6_10device_ptrIdEENSG_IlEEPmS8_NS6_8equal_toIdEEEE10hipError_tPvRmT2_T3_mT4_T5_T6_T7_T8_P12ihipStream_tbENKUlT_T0_E_clISt17integral_constantIbLb0EES12_IbLb1EEEEDaSY_SZ_EUlSY_E_NS1_11comp_targetILNS1_3genE10ELNS1_11target_archE1200ELNS1_3gpuE4ELNS1_3repE0EEENS1_30default_config_static_selectorELNS0_4arch9wavefront6targetE1EEEvT1_,"axG",@progbits,_ZN7rocprim17ROCPRIM_400000_NS6detail17trampoline_kernelINS0_14default_configENS1_29reduce_by_key_config_selectorIdlN6thrust23THRUST_200600_302600_NS4plusIlEEEEZZNS1_33reduce_by_key_impl_wrapped_configILNS1_25lookback_scan_determinismE0ES3_S9_PdNS6_17constant_iteratorIiNS6_11use_defaultESE_EENS6_10device_ptrIdEENSG_IlEEPmS8_NS6_8equal_toIdEEEE10hipError_tPvRmT2_T3_mT4_T5_T6_T7_T8_P12ihipStream_tbENKUlT_T0_E_clISt17integral_constantIbLb0EES12_IbLb1EEEEDaSY_SZ_EUlSY_E_NS1_11comp_targetILNS1_3genE10ELNS1_11target_archE1200ELNS1_3gpuE4ELNS1_3repE0EEENS1_30default_config_static_selectorELNS0_4arch9wavefront6targetE1EEEvT1_,comdat
	.protected	_ZN7rocprim17ROCPRIM_400000_NS6detail17trampoline_kernelINS0_14default_configENS1_29reduce_by_key_config_selectorIdlN6thrust23THRUST_200600_302600_NS4plusIlEEEEZZNS1_33reduce_by_key_impl_wrapped_configILNS1_25lookback_scan_determinismE0ES3_S9_PdNS6_17constant_iteratorIiNS6_11use_defaultESE_EENS6_10device_ptrIdEENSG_IlEEPmS8_NS6_8equal_toIdEEEE10hipError_tPvRmT2_T3_mT4_T5_T6_T7_T8_P12ihipStream_tbENKUlT_T0_E_clISt17integral_constantIbLb0EES12_IbLb1EEEEDaSY_SZ_EUlSY_E_NS1_11comp_targetILNS1_3genE10ELNS1_11target_archE1200ELNS1_3gpuE4ELNS1_3repE0EEENS1_30default_config_static_selectorELNS0_4arch9wavefront6targetE1EEEvT1_ ; -- Begin function _ZN7rocprim17ROCPRIM_400000_NS6detail17trampoline_kernelINS0_14default_configENS1_29reduce_by_key_config_selectorIdlN6thrust23THRUST_200600_302600_NS4plusIlEEEEZZNS1_33reduce_by_key_impl_wrapped_configILNS1_25lookback_scan_determinismE0ES3_S9_PdNS6_17constant_iteratorIiNS6_11use_defaultESE_EENS6_10device_ptrIdEENSG_IlEEPmS8_NS6_8equal_toIdEEEE10hipError_tPvRmT2_T3_mT4_T5_T6_T7_T8_P12ihipStream_tbENKUlT_T0_E_clISt17integral_constantIbLb0EES12_IbLb1EEEEDaSY_SZ_EUlSY_E_NS1_11comp_targetILNS1_3genE10ELNS1_11target_archE1200ELNS1_3gpuE4ELNS1_3repE0EEENS1_30default_config_static_selectorELNS0_4arch9wavefront6targetE1EEEvT1_
	.globl	_ZN7rocprim17ROCPRIM_400000_NS6detail17trampoline_kernelINS0_14default_configENS1_29reduce_by_key_config_selectorIdlN6thrust23THRUST_200600_302600_NS4plusIlEEEEZZNS1_33reduce_by_key_impl_wrapped_configILNS1_25lookback_scan_determinismE0ES3_S9_PdNS6_17constant_iteratorIiNS6_11use_defaultESE_EENS6_10device_ptrIdEENSG_IlEEPmS8_NS6_8equal_toIdEEEE10hipError_tPvRmT2_T3_mT4_T5_T6_T7_T8_P12ihipStream_tbENKUlT_T0_E_clISt17integral_constantIbLb0EES12_IbLb1EEEEDaSY_SZ_EUlSY_E_NS1_11comp_targetILNS1_3genE10ELNS1_11target_archE1200ELNS1_3gpuE4ELNS1_3repE0EEENS1_30default_config_static_selectorELNS0_4arch9wavefront6targetE1EEEvT1_
	.p2align	8
	.type	_ZN7rocprim17ROCPRIM_400000_NS6detail17trampoline_kernelINS0_14default_configENS1_29reduce_by_key_config_selectorIdlN6thrust23THRUST_200600_302600_NS4plusIlEEEEZZNS1_33reduce_by_key_impl_wrapped_configILNS1_25lookback_scan_determinismE0ES3_S9_PdNS6_17constant_iteratorIiNS6_11use_defaultESE_EENS6_10device_ptrIdEENSG_IlEEPmS8_NS6_8equal_toIdEEEE10hipError_tPvRmT2_T3_mT4_T5_T6_T7_T8_P12ihipStream_tbENKUlT_T0_E_clISt17integral_constantIbLb0EES12_IbLb1EEEEDaSY_SZ_EUlSY_E_NS1_11comp_targetILNS1_3genE10ELNS1_11target_archE1200ELNS1_3gpuE4ELNS1_3repE0EEENS1_30default_config_static_selectorELNS0_4arch9wavefront6targetE1EEEvT1_,@function
_ZN7rocprim17ROCPRIM_400000_NS6detail17trampoline_kernelINS0_14default_configENS1_29reduce_by_key_config_selectorIdlN6thrust23THRUST_200600_302600_NS4plusIlEEEEZZNS1_33reduce_by_key_impl_wrapped_configILNS1_25lookback_scan_determinismE0ES3_S9_PdNS6_17constant_iteratorIiNS6_11use_defaultESE_EENS6_10device_ptrIdEENSG_IlEEPmS8_NS6_8equal_toIdEEEE10hipError_tPvRmT2_T3_mT4_T5_T6_T7_T8_P12ihipStream_tbENKUlT_T0_E_clISt17integral_constantIbLb0EES12_IbLb1EEEEDaSY_SZ_EUlSY_E_NS1_11comp_targetILNS1_3genE10ELNS1_11target_archE1200ELNS1_3gpuE4ELNS1_3repE0EEENS1_30default_config_static_selectorELNS0_4arch9wavefront6targetE1EEEvT1_: ; @_ZN7rocprim17ROCPRIM_400000_NS6detail17trampoline_kernelINS0_14default_configENS1_29reduce_by_key_config_selectorIdlN6thrust23THRUST_200600_302600_NS4plusIlEEEEZZNS1_33reduce_by_key_impl_wrapped_configILNS1_25lookback_scan_determinismE0ES3_S9_PdNS6_17constant_iteratorIiNS6_11use_defaultESE_EENS6_10device_ptrIdEENSG_IlEEPmS8_NS6_8equal_toIdEEEE10hipError_tPvRmT2_T3_mT4_T5_T6_T7_T8_P12ihipStream_tbENKUlT_T0_E_clISt17integral_constantIbLb0EES12_IbLb1EEEEDaSY_SZ_EUlSY_E_NS1_11comp_targetILNS1_3genE10ELNS1_11target_archE1200ELNS1_3gpuE4ELNS1_3repE0EEENS1_30default_config_static_selectorELNS0_4arch9wavefront6targetE1EEEvT1_
; %bb.0:
	.section	.rodata,"a",@progbits
	.p2align	6, 0x0
	.amdhsa_kernel _ZN7rocprim17ROCPRIM_400000_NS6detail17trampoline_kernelINS0_14default_configENS1_29reduce_by_key_config_selectorIdlN6thrust23THRUST_200600_302600_NS4plusIlEEEEZZNS1_33reduce_by_key_impl_wrapped_configILNS1_25lookback_scan_determinismE0ES3_S9_PdNS6_17constant_iteratorIiNS6_11use_defaultESE_EENS6_10device_ptrIdEENSG_IlEEPmS8_NS6_8equal_toIdEEEE10hipError_tPvRmT2_T3_mT4_T5_T6_T7_T8_P12ihipStream_tbENKUlT_T0_E_clISt17integral_constantIbLb0EES12_IbLb1EEEEDaSY_SZ_EUlSY_E_NS1_11comp_targetILNS1_3genE10ELNS1_11target_archE1200ELNS1_3gpuE4ELNS1_3repE0EEENS1_30default_config_static_selectorELNS0_4arch9wavefront6targetE1EEEvT1_
		.amdhsa_group_segment_fixed_size 0
		.amdhsa_private_segment_fixed_size 0
		.amdhsa_kernarg_size 144
		.amdhsa_user_sgpr_count 6
		.amdhsa_user_sgpr_private_segment_buffer 1
		.amdhsa_user_sgpr_dispatch_ptr 0
		.amdhsa_user_sgpr_queue_ptr 0
		.amdhsa_user_sgpr_kernarg_segment_ptr 1
		.amdhsa_user_sgpr_dispatch_id 0
		.amdhsa_user_sgpr_flat_scratch_init 0
		.amdhsa_user_sgpr_kernarg_preload_length 0
		.amdhsa_user_sgpr_kernarg_preload_offset 0
		.amdhsa_user_sgpr_private_segment_size 0
		.amdhsa_uses_dynamic_stack 0
		.amdhsa_system_sgpr_private_segment_wavefront_offset 0
		.amdhsa_system_sgpr_workgroup_id_x 1
		.amdhsa_system_sgpr_workgroup_id_y 0
		.amdhsa_system_sgpr_workgroup_id_z 0
		.amdhsa_system_sgpr_workgroup_info 0
		.amdhsa_system_vgpr_workitem_id 0
		.amdhsa_next_free_vgpr 1
		.amdhsa_next_free_sgpr 0
		.amdhsa_accum_offset 4
		.amdhsa_reserve_vcc 0
		.amdhsa_reserve_flat_scratch 0
		.amdhsa_float_round_mode_32 0
		.amdhsa_float_round_mode_16_64 0
		.amdhsa_float_denorm_mode_32 3
		.amdhsa_float_denorm_mode_16_64 3
		.amdhsa_dx10_clamp 1
		.amdhsa_ieee_mode 1
		.amdhsa_fp16_overflow 0
		.amdhsa_tg_split 0
		.amdhsa_exception_fp_ieee_invalid_op 0
		.amdhsa_exception_fp_denorm_src 0
		.amdhsa_exception_fp_ieee_div_zero 0
		.amdhsa_exception_fp_ieee_overflow 0
		.amdhsa_exception_fp_ieee_underflow 0
		.amdhsa_exception_fp_ieee_inexact 0
		.amdhsa_exception_int_div_zero 0
	.end_amdhsa_kernel
	.section	.text._ZN7rocprim17ROCPRIM_400000_NS6detail17trampoline_kernelINS0_14default_configENS1_29reduce_by_key_config_selectorIdlN6thrust23THRUST_200600_302600_NS4plusIlEEEEZZNS1_33reduce_by_key_impl_wrapped_configILNS1_25lookback_scan_determinismE0ES3_S9_PdNS6_17constant_iteratorIiNS6_11use_defaultESE_EENS6_10device_ptrIdEENSG_IlEEPmS8_NS6_8equal_toIdEEEE10hipError_tPvRmT2_T3_mT4_T5_T6_T7_T8_P12ihipStream_tbENKUlT_T0_E_clISt17integral_constantIbLb0EES12_IbLb1EEEEDaSY_SZ_EUlSY_E_NS1_11comp_targetILNS1_3genE10ELNS1_11target_archE1200ELNS1_3gpuE4ELNS1_3repE0EEENS1_30default_config_static_selectorELNS0_4arch9wavefront6targetE1EEEvT1_,"axG",@progbits,_ZN7rocprim17ROCPRIM_400000_NS6detail17trampoline_kernelINS0_14default_configENS1_29reduce_by_key_config_selectorIdlN6thrust23THRUST_200600_302600_NS4plusIlEEEEZZNS1_33reduce_by_key_impl_wrapped_configILNS1_25lookback_scan_determinismE0ES3_S9_PdNS6_17constant_iteratorIiNS6_11use_defaultESE_EENS6_10device_ptrIdEENSG_IlEEPmS8_NS6_8equal_toIdEEEE10hipError_tPvRmT2_T3_mT4_T5_T6_T7_T8_P12ihipStream_tbENKUlT_T0_E_clISt17integral_constantIbLb0EES12_IbLb1EEEEDaSY_SZ_EUlSY_E_NS1_11comp_targetILNS1_3genE10ELNS1_11target_archE1200ELNS1_3gpuE4ELNS1_3repE0EEENS1_30default_config_static_selectorELNS0_4arch9wavefront6targetE1EEEvT1_,comdat
.Lfunc_end1721:
	.size	_ZN7rocprim17ROCPRIM_400000_NS6detail17trampoline_kernelINS0_14default_configENS1_29reduce_by_key_config_selectorIdlN6thrust23THRUST_200600_302600_NS4plusIlEEEEZZNS1_33reduce_by_key_impl_wrapped_configILNS1_25lookback_scan_determinismE0ES3_S9_PdNS6_17constant_iteratorIiNS6_11use_defaultESE_EENS6_10device_ptrIdEENSG_IlEEPmS8_NS6_8equal_toIdEEEE10hipError_tPvRmT2_T3_mT4_T5_T6_T7_T8_P12ihipStream_tbENKUlT_T0_E_clISt17integral_constantIbLb0EES12_IbLb1EEEEDaSY_SZ_EUlSY_E_NS1_11comp_targetILNS1_3genE10ELNS1_11target_archE1200ELNS1_3gpuE4ELNS1_3repE0EEENS1_30default_config_static_selectorELNS0_4arch9wavefront6targetE1EEEvT1_, .Lfunc_end1721-_ZN7rocprim17ROCPRIM_400000_NS6detail17trampoline_kernelINS0_14default_configENS1_29reduce_by_key_config_selectorIdlN6thrust23THRUST_200600_302600_NS4plusIlEEEEZZNS1_33reduce_by_key_impl_wrapped_configILNS1_25lookback_scan_determinismE0ES3_S9_PdNS6_17constant_iteratorIiNS6_11use_defaultESE_EENS6_10device_ptrIdEENSG_IlEEPmS8_NS6_8equal_toIdEEEE10hipError_tPvRmT2_T3_mT4_T5_T6_T7_T8_P12ihipStream_tbENKUlT_T0_E_clISt17integral_constantIbLb0EES12_IbLb1EEEEDaSY_SZ_EUlSY_E_NS1_11comp_targetILNS1_3genE10ELNS1_11target_archE1200ELNS1_3gpuE4ELNS1_3repE0EEENS1_30default_config_static_selectorELNS0_4arch9wavefront6targetE1EEEvT1_
                                        ; -- End function
	.section	.AMDGPU.csdata,"",@progbits
; Kernel info:
; codeLenInByte = 0
; NumSgprs: 4
; NumVgprs: 0
; NumAgprs: 0
; TotalNumVgprs: 0
; ScratchSize: 0
; MemoryBound: 0
; FloatMode: 240
; IeeeMode: 1
; LDSByteSize: 0 bytes/workgroup (compile time only)
; SGPRBlocks: 0
; VGPRBlocks: 0
; NumSGPRsForWavesPerEU: 4
; NumVGPRsForWavesPerEU: 1
; AccumOffset: 4
; Occupancy: 8
; WaveLimiterHint : 0
; COMPUTE_PGM_RSRC2:SCRATCH_EN: 0
; COMPUTE_PGM_RSRC2:USER_SGPR: 6
; COMPUTE_PGM_RSRC2:TRAP_HANDLER: 0
; COMPUTE_PGM_RSRC2:TGID_X_EN: 1
; COMPUTE_PGM_RSRC2:TGID_Y_EN: 0
; COMPUTE_PGM_RSRC2:TGID_Z_EN: 0
; COMPUTE_PGM_RSRC2:TIDIG_COMP_CNT: 0
; COMPUTE_PGM_RSRC3_GFX90A:ACCUM_OFFSET: 0
; COMPUTE_PGM_RSRC3_GFX90A:TG_SPLIT: 0
	.section	.text._ZN7rocprim17ROCPRIM_400000_NS6detail17trampoline_kernelINS0_14default_configENS1_29reduce_by_key_config_selectorIdlN6thrust23THRUST_200600_302600_NS4plusIlEEEEZZNS1_33reduce_by_key_impl_wrapped_configILNS1_25lookback_scan_determinismE0ES3_S9_PdNS6_17constant_iteratorIiNS6_11use_defaultESE_EENS6_10device_ptrIdEENSG_IlEEPmS8_NS6_8equal_toIdEEEE10hipError_tPvRmT2_T3_mT4_T5_T6_T7_T8_P12ihipStream_tbENKUlT_T0_E_clISt17integral_constantIbLb0EES12_IbLb1EEEEDaSY_SZ_EUlSY_E_NS1_11comp_targetILNS1_3genE9ELNS1_11target_archE1100ELNS1_3gpuE3ELNS1_3repE0EEENS1_30default_config_static_selectorELNS0_4arch9wavefront6targetE1EEEvT1_,"axG",@progbits,_ZN7rocprim17ROCPRIM_400000_NS6detail17trampoline_kernelINS0_14default_configENS1_29reduce_by_key_config_selectorIdlN6thrust23THRUST_200600_302600_NS4plusIlEEEEZZNS1_33reduce_by_key_impl_wrapped_configILNS1_25lookback_scan_determinismE0ES3_S9_PdNS6_17constant_iteratorIiNS6_11use_defaultESE_EENS6_10device_ptrIdEENSG_IlEEPmS8_NS6_8equal_toIdEEEE10hipError_tPvRmT2_T3_mT4_T5_T6_T7_T8_P12ihipStream_tbENKUlT_T0_E_clISt17integral_constantIbLb0EES12_IbLb1EEEEDaSY_SZ_EUlSY_E_NS1_11comp_targetILNS1_3genE9ELNS1_11target_archE1100ELNS1_3gpuE3ELNS1_3repE0EEENS1_30default_config_static_selectorELNS0_4arch9wavefront6targetE1EEEvT1_,comdat
	.protected	_ZN7rocprim17ROCPRIM_400000_NS6detail17trampoline_kernelINS0_14default_configENS1_29reduce_by_key_config_selectorIdlN6thrust23THRUST_200600_302600_NS4plusIlEEEEZZNS1_33reduce_by_key_impl_wrapped_configILNS1_25lookback_scan_determinismE0ES3_S9_PdNS6_17constant_iteratorIiNS6_11use_defaultESE_EENS6_10device_ptrIdEENSG_IlEEPmS8_NS6_8equal_toIdEEEE10hipError_tPvRmT2_T3_mT4_T5_T6_T7_T8_P12ihipStream_tbENKUlT_T0_E_clISt17integral_constantIbLb0EES12_IbLb1EEEEDaSY_SZ_EUlSY_E_NS1_11comp_targetILNS1_3genE9ELNS1_11target_archE1100ELNS1_3gpuE3ELNS1_3repE0EEENS1_30default_config_static_selectorELNS0_4arch9wavefront6targetE1EEEvT1_ ; -- Begin function _ZN7rocprim17ROCPRIM_400000_NS6detail17trampoline_kernelINS0_14default_configENS1_29reduce_by_key_config_selectorIdlN6thrust23THRUST_200600_302600_NS4plusIlEEEEZZNS1_33reduce_by_key_impl_wrapped_configILNS1_25lookback_scan_determinismE0ES3_S9_PdNS6_17constant_iteratorIiNS6_11use_defaultESE_EENS6_10device_ptrIdEENSG_IlEEPmS8_NS6_8equal_toIdEEEE10hipError_tPvRmT2_T3_mT4_T5_T6_T7_T8_P12ihipStream_tbENKUlT_T0_E_clISt17integral_constantIbLb0EES12_IbLb1EEEEDaSY_SZ_EUlSY_E_NS1_11comp_targetILNS1_3genE9ELNS1_11target_archE1100ELNS1_3gpuE3ELNS1_3repE0EEENS1_30default_config_static_selectorELNS0_4arch9wavefront6targetE1EEEvT1_
	.globl	_ZN7rocprim17ROCPRIM_400000_NS6detail17trampoline_kernelINS0_14default_configENS1_29reduce_by_key_config_selectorIdlN6thrust23THRUST_200600_302600_NS4plusIlEEEEZZNS1_33reduce_by_key_impl_wrapped_configILNS1_25lookback_scan_determinismE0ES3_S9_PdNS6_17constant_iteratorIiNS6_11use_defaultESE_EENS6_10device_ptrIdEENSG_IlEEPmS8_NS6_8equal_toIdEEEE10hipError_tPvRmT2_T3_mT4_T5_T6_T7_T8_P12ihipStream_tbENKUlT_T0_E_clISt17integral_constantIbLb0EES12_IbLb1EEEEDaSY_SZ_EUlSY_E_NS1_11comp_targetILNS1_3genE9ELNS1_11target_archE1100ELNS1_3gpuE3ELNS1_3repE0EEENS1_30default_config_static_selectorELNS0_4arch9wavefront6targetE1EEEvT1_
	.p2align	8
	.type	_ZN7rocprim17ROCPRIM_400000_NS6detail17trampoline_kernelINS0_14default_configENS1_29reduce_by_key_config_selectorIdlN6thrust23THRUST_200600_302600_NS4plusIlEEEEZZNS1_33reduce_by_key_impl_wrapped_configILNS1_25lookback_scan_determinismE0ES3_S9_PdNS6_17constant_iteratorIiNS6_11use_defaultESE_EENS6_10device_ptrIdEENSG_IlEEPmS8_NS6_8equal_toIdEEEE10hipError_tPvRmT2_T3_mT4_T5_T6_T7_T8_P12ihipStream_tbENKUlT_T0_E_clISt17integral_constantIbLb0EES12_IbLb1EEEEDaSY_SZ_EUlSY_E_NS1_11comp_targetILNS1_3genE9ELNS1_11target_archE1100ELNS1_3gpuE3ELNS1_3repE0EEENS1_30default_config_static_selectorELNS0_4arch9wavefront6targetE1EEEvT1_,@function
_ZN7rocprim17ROCPRIM_400000_NS6detail17trampoline_kernelINS0_14default_configENS1_29reduce_by_key_config_selectorIdlN6thrust23THRUST_200600_302600_NS4plusIlEEEEZZNS1_33reduce_by_key_impl_wrapped_configILNS1_25lookback_scan_determinismE0ES3_S9_PdNS6_17constant_iteratorIiNS6_11use_defaultESE_EENS6_10device_ptrIdEENSG_IlEEPmS8_NS6_8equal_toIdEEEE10hipError_tPvRmT2_T3_mT4_T5_T6_T7_T8_P12ihipStream_tbENKUlT_T0_E_clISt17integral_constantIbLb0EES12_IbLb1EEEEDaSY_SZ_EUlSY_E_NS1_11comp_targetILNS1_3genE9ELNS1_11target_archE1100ELNS1_3gpuE3ELNS1_3repE0EEENS1_30default_config_static_selectorELNS0_4arch9wavefront6targetE1EEEvT1_: ; @_ZN7rocprim17ROCPRIM_400000_NS6detail17trampoline_kernelINS0_14default_configENS1_29reduce_by_key_config_selectorIdlN6thrust23THRUST_200600_302600_NS4plusIlEEEEZZNS1_33reduce_by_key_impl_wrapped_configILNS1_25lookback_scan_determinismE0ES3_S9_PdNS6_17constant_iteratorIiNS6_11use_defaultESE_EENS6_10device_ptrIdEENSG_IlEEPmS8_NS6_8equal_toIdEEEE10hipError_tPvRmT2_T3_mT4_T5_T6_T7_T8_P12ihipStream_tbENKUlT_T0_E_clISt17integral_constantIbLb0EES12_IbLb1EEEEDaSY_SZ_EUlSY_E_NS1_11comp_targetILNS1_3genE9ELNS1_11target_archE1100ELNS1_3gpuE3ELNS1_3repE0EEENS1_30default_config_static_selectorELNS0_4arch9wavefront6targetE1EEEvT1_
; %bb.0:
	.section	.rodata,"a",@progbits
	.p2align	6, 0x0
	.amdhsa_kernel _ZN7rocprim17ROCPRIM_400000_NS6detail17trampoline_kernelINS0_14default_configENS1_29reduce_by_key_config_selectorIdlN6thrust23THRUST_200600_302600_NS4plusIlEEEEZZNS1_33reduce_by_key_impl_wrapped_configILNS1_25lookback_scan_determinismE0ES3_S9_PdNS6_17constant_iteratorIiNS6_11use_defaultESE_EENS6_10device_ptrIdEENSG_IlEEPmS8_NS6_8equal_toIdEEEE10hipError_tPvRmT2_T3_mT4_T5_T6_T7_T8_P12ihipStream_tbENKUlT_T0_E_clISt17integral_constantIbLb0EES12_IbLb1EEEEDaSY_SZ_EUlSY_E_NS1_11comp_targetILNS1_3genE9ELNS1_11target_archE1100ELNS1_3gpuE3ELNS1_3repE0EEENS1_30default_config_static_selectorELNS0_4arch9wavefront6targetE1EEEvT1_
		.amdhsa_group_segment_fixed_size 0
		.amdhsa_private_segment_fixed_size 0
		.amdhsa_kernarg_size 144
		.amdhsa_user_sgpr_count 6
		.amdhsa_user_sgpr_private_segment_buffer 1
		.amdhsa_user_sgpr_dispatch_ptr 0
		.amdhsa_user_sgpr_queue_ptr 0
		.amdhsa_user_sgpr_kernarg_segment_ptr 1
		.amdhsa_user_sgpr_dispatch_id 0
		.amdhsa_user_sgpr_flat_scratch_init 0
		.amdhsa_user_sgpr_kernarg_preload_length 0
		.amdhsa_user_sgpr_kernarg_preload_offset 0
		.amdhsa_user_sgpr_private_segment_size 0
		.amdhsa_uses_dynamic_stack 0
		.amdhsa_system_sgpr_private_segment_wavefront_offset 0
		.amdhsa_system_sgpr_workgroup_id_x 1
		.amdhsa_system_sgpr_workgroup_id_y 0
		.amdhsa_system_sgpr_workgroup_id_z 0
		.amdhsa_system_sgpr_workgroup_info 0
		.amdhsa_system_vgpr_workitem_id 0
		.amdhsa_next_free_vgpr 1
		.amdhsa_next_free_sgpr 0
		.amdhsa_accum_offset 4
		.amdhsa_reserve_vcc 0
		.amdhsa_reserve_flat_scratch 0
		.amdhsa_float_round_mode_32 0
		.amdhsa_float_round_mode_16_64 0
		.amdhsa_float_denorm_mode_32 3
		.amdhsa_float_denorm_mode_16_64 3
		.amdhsa_dx10_clamp 1
		.amdhsa_ieee_mode 1
		.amdhsa_fp16_overflow 0
		.amdhsa_tg_split 0
		.amdhsa_exception_fp_ieee_invalid_op 0
		.amdhsa_exception_fp_denorm_src 0
		.amdhsa_exception_fp_ieee_div_zero 0
		.amdhsa_exception_fp_ieee_overflow 0
		.amdhsa_exception_fp_ieee_underflow 0
		.amdhsa_exception_fp_ieee_inexact 0
		.amdhsa_exception_int_div_zero 0
	.end_amdhsa_kernel
	.section	.text._ZN7rocprim17ROCPRIM_400000_NS6detail17trampoline_kernelINS0_14default_configENS1_29reduce_by_key_config_selectorIdlN6thrust23THRUST_200600_302600_NS4plusIlEEEEZZNS1_33reduce_by_key_impl_wrapped_configILNS1_25lookback_scan_determinismE0ES3_S9_PdNS6_17constant_iteratorIiNS6_11use_defaultESE_EENS6_10device_ptrIdEENSG_IlEEPmS8_NS6_8equal_toIdEEEE10hipError_tPvRmT2_T3_mT4_T5_T6_T7_T8_P12ihipStream_tbENKUlT_T0_E_clISt17integral_constantIbLb0EES12_IbLb1EEEEDaSY_SZ_EUlSY_E_NS1_11comp_targetILNS1_3genE9ELNS1_11target_archE1100ELNS1_3gpuE3ELNS1_3repE0EEENS1_30default_config_static_selectorELNS0_4arch9wavefront6targetE1EEEvT1_,"axG",@progbits,_ZN7rocprim17ROCPRIM_400000_NS6detail17trampoline_kernelINS0_14default_configENS1_29reduce_by_key_config_selectorIdlN6thrust23THRUST_200600_302600_NS4plusIlEEEEZZNS1_33reduce_by_key_impl_wrapped_configILNS1_25lookback_scan_determinismE0ES3_S9_PdNS6_17constant_iteratorIiNS6_11use_defaultESE_EENS6_10device_ptrIdEENSG_IlEEPmS8_NS6_8equal_toIdEEEE10hipError_tPvRmT2_T3_mT4_T5_T6_T7_T8_P12ihipStream_tbENKUlT_T0_E_clISt17integral_constantIbLb0EES12_IbLb1EEEEDaSY_SZ_EUlSY_E_NS1_11comp_targetILNS1_3genE9ELNS1_11target_archE1100ELNS1_3gpuE3ELNS1_3repE0EEENS1_30default_config_static_selectorELNS0_4arch9wavefront6targetE1EEEvT1_,comdat
.Lfunc_end1722:
	.size	_ZN7rocprim17ROCPRIM_400000_NS6detail17trampoline_kernelINS0_14default_configENS1_29reduce_by_key_config_selectorIdlN6thrust23THRUST_200600_302600_NS4plusIlEEEEZZNS1_33reduce_by_key_impl_wrapped_configILNS1_25lookback_scan_determinismE0ES3_S9_PdNS6_17constant_iteratorIiNS6_11use_defaultESE_EENS6_10device_ptrIdEENSG_IlEEPmS8_NS6_8equal_toIdEEEE10hipError_tPvRmT2_T3_mT4_T5_T6_T7_T8_P12ihipStream_tbENKUlT_T0_E_clISt17integral_constantIbLb0EES12_IbLb1EEEEDaSY_SZ_EUlSY_E_NS1_11comp_targetILNS1_3genE9ELNS1_11target_archE1100ELNS1_3gpuE3ELNS1_3repE0EEENS1_30default_config_static_selectorELNS0_4arch9wavefront6targetE1EEEvT1_, .Lfunc_end1722-_ZN7rocprim17ROCPRIM_400000_NS6detail17trampoline_kernelINS0_14default_configENS1_29reduce_by_key_config_selectorIdlN6thrust23THRUST_200600_302600_NS4plusIlEEEEZZNS1_33reduce_by_key_impl_wrapped_configILNS1_25lookback_scan_determinismE0ES3_S9_PdNS6_17constant_iteratorIiNS6_11use_defaultESE_EENS6_10device_ptrIdEENSG_IlEEPmS8_NS6_8equal_toIdEEEE10hipError_tPvRmT2_T3_mT4_T5_T6_T7_T8_P12ihipStream_tbENKUlT_T0_E_clISt17integral_constantIbLb0EES12_IbLb1EEEEDaSY_SZ_EUlSY_E_NS1_11comp_targetILNS1_3genE9ELNS1_11target_archE1100ELNS1_3gpuE3ELNS1_3repE0EEENS1_30default_config_static_selectorELNS0_4arch9wavefront6targetE1EEEvT1_
                                        ; -- End function
	.section	.AMDGPU.csdata,"",@progbits
; Kernel info:
; codeLenInByte = 0
; NumSgprs: 4
; NumVgprs: 0
; NumAgprs: 0
; TotalNumVgprs: 0
; ScratchSize: 0
; MemoryBound: 0
; FloatMode: 240
; IeeeMode: 1
; LDSByteSize: 0 bytes/workgroup (compile time only)
; SGPRBlocks: 0
; VGPRBlocks: 0
; NumSGPRsForWavesPerEU: 4
; NumVGPRsForWavesPerEU: 1
; AccumOffset: 4
; Occupancy: 8
; WaveLimiterHint : 0
; COMPUTE_PGM_RSRC2:SCRATCH_EN: 0
; COMPUTE_PGM_RSRC2:USER_SGPR: 6
; COMPUTE_PGM_RSRC2:TRAP_HANDLER: 0
; COMPUTE_PGM_RSRC2:TGID_X_EN: 1
; COMPUTE_PGM_RSRC2:TGID_Y_EN: 0
; COMPUTE_PGM_RSRC2:TGID_Z_EN: 0
; COMPUTE_PGM_RSRC2:TIDIG_COMP_CNT: 0
; COMPUTE_PGM_RSRC3_GFX90A:ACCUM_OFFSET: 0
; COMPUTE_PGM_RSRC3_GFX90A:TG_SPLIT: 0
	.section	.text._ZN7rocprim17ROCPRIM_400000_NS6detail17trampoline_kernelINS0_14default_configENS1_29reduce_by_key_config_selectorIdlN6thrust23THRUST_200600_302600_NS4plusIlEEEEZZNS1_33reduce_by_key_impl_wrapped_configILNS1_25lookback_scan_determinismE0ES3_S9_PdNS6_17constant_iteratorIiNS6_11use_defaultESE_EENS6_10device_ptrIdEENSG_IlEEPmS8_NS6_8equal_toIdEEEE10hipError_tPvRmT2_T3_mT4_T5_T6_T7_T8_P12ihipStream_tbENKUlT_T0_E_clISt17integral_constantIbLb0EES12_IbLb1EEEEDaSY_SZ_EUlSY_E_NS1_11comp_targetILNS1_3genE8ELNS1_11target_archE1030ELNS1_3gpuE2ELNS1_3repE0EEENS1_30default_config_static_selectorELNS0_4arch9wavefront6targetE1EEEvT1_,"axG",@progbits,_ZN7rocprim17ROCPRIM_400000_NS6detail17trampoline_kernelINS0_14default_configENS1_29reduce_by_key_config_selectorIdlN6thrust23THRUST_200600_302600_NS4plusIlEEEEZZNS1_33reduce_by_key_impl_wrapped_configILNS1_25lookback_scan_determinismE0ES3_S9_PdNS6_17constant_iteratorIiNS6_11use_defaultESE_EENS6_10device_ptrIdEENSG_IlEEPmS8_NS6_8equal_toIdEEEE10hipError_tPvRmT2_T3_mT4_T5_T6_T7_T8_P12ihipStream_tbENKUlT_T0_E_clISt17integral_constantIbLb0EES12_IbLb1EEEEDaSY_SZ_EUlSY_E_NS1_11comp_targetILNS1_3genE8ELNS1_11target_archE1030ELNS1_3gpuE2ELNS1_3repE0EEENS1_30default_config_static_selectorELNS0_4arch9wavefront6targetE1EEEvT1_,comdat
	.protected	_ZN7rocprim17ROCPRIM_400000_NS6detail17trampoline_kernelINS0_14default_configENS1_29reduce_by_key_config_selectorIdlN6thrust23THRUST_200600_302600_NS4plusIlEEEEZZNS1_33reduce_by_key_impl_wrapped_configILNS1_25lookback_scan_determinismE0ES3_S9_PdNS6_17constant_iteratorIiNS6_11use_defaultESE_EENS6_10device_ptrIdEENSG_IlEEPmS8_NS6_8equal_toIdEEEE10hipError_tPvRmT2_T3_mT4_T5_T6_T7_T8_P12ihipStream_tbENKUlT_T0_E_clISt17integral_constantIbLb0EES12_IbLb1EEEEDaSY_SZ_EUlSY_E_NS1_11comp_targetILNS1_3genE8ELNS1_11target_archE1030ELNS1_3gpuE2ELNS1_3repE0EEENS1_30default_config_static_selectorELNS0_4arch9wavefront6targetE1EEEvT1_ ; -- Begin function _ZN7rocprim17ROCPRIM_400000_NS6detail17trampoline_kernelINS0_14default_configENS1_29reduce_by_key_config_selectorIdlN6thrust23THRUST_200600_302600_NS4plusIlEEEEZZNS1_33reduce_by_key_impl_wrapped_configILNS1_25lookback_scan_determinismE0ES3_S9_PdNS6_17constant_iteratorIiNS6_11use_defaultESE_EENS6_10device_ptrIdEENSG_IlEEPmS8_NS6_8equal_toIdEEEE10hipError_tPvRmT2_T3_mT4_T5_T6_T7_T8_P12ihipStream_tbENKUlT_T0_E_clISt17integral_constantIbLb0EES12_IbLb1EEEEDaSY_SZ_EUlSY_E_NS1_11comp_targetILNS1_3genE8ELNS1_11target_archE1030ELNS1_3gpuE2ELNS1_3repE0EEENS1_30default_config_static_selectorELNS0_4arch9wavefront6targetE1EEEvT1_
	.globl	_ZN7rocprim17ROCPRIM_400000_NS6detail17trampoline_kernelINS0_14default_configENS1_29reduce_by_key_config_selectorIdlN6thrust23THRUST_200600_302600_NS4plusIlEEEEZZNS1_33reduce_by_key_impl_wrapped_configILNS1_25lookback_scan_determinismE0ES3_S9_PdNS6_17constant_iteratorIiNS6_11use_defaultESE_EENS6_10device_ptrIdEENSG_IlEEPmS8_NS6_8equal_toIdEEEE10hipError_tPvRmT2_T3_mT4_T5_T6_T7_T8_P12ihipStream_tbENKUlT_T0_E_clISt17integral_constantIbLb0EES12_IbLb1EEEEDaSY_SZ_EUlSY_E_NS1_11comp_targetILNS1_3genE8ELNS1_11target_archE1030ELNS1_3gpuE2ELNS1_3repE0EEENS1_30default_config_static_selectorELNS0_4arch9wavefront6targetE1EEEvT1_
	.p2align	8
	.type	_ZN7rocprim17ROCPRIM_400000_NS6detail17trampoline_kernelINS0_14default_configENS1_29reduce_by_key_config_selectorIdlN6thrust23THRUST_200600_302600_NS4plusIlEEEEZZNS1_33reduce_by_key_impl_wrapped_configILNS1_25lookback_scan_determinismE0ES3_S9_PdNS6_17constant_iteratorIiNS6_11use_defaultESE_EENS6_10device_ptrIdEENSG_IlEEPmS8_NS6_8equal_toIdEEEE10hipError_tPvRmT2_T3_mT4_T5_T6_T7_T8_P12ihipStream_tbENKUlT_T0_E_clISt17integral_constantIbLb0EES12_IbLb1EEEEDaSY_SZ_EUlSY_E_NS1_11comp_targetILNS1_3genE8ELNS1_11target_archE1030ELNS1_3gpuE2ELNS1_3repE0EEENS1_30default_config_static_selectorELNS0_4arch9wavefront6targetE1EEEvT1_,@function
_ZN7rocprim17ROCPRIM_400000_NS6detail17trampoline_kernelINS0_14default_configENS1_29reduce_by_key_config_selectorIdlN6thrust23THRUST_200600_302600_NS4plusIlEEEEZZNS1_33reduce_by_key_impl_wrapped_configILNS1_25lookback_scan_determinismE0ES3_S9_PdNS6_17constant_iteratorIiNS6_11use_defaultESE_EENS6_10device_ptrIdEENSG_IlEEPmS8_NS6_8equal_toIdEEEE10hipError_tPvRmT2_T3_mT4_T5_T6_T7_T8_P12ihipStream_tbENKUlT_T0_E_clISt17integral_constantIbLb0EES12_IbLb1EEEEDaSY_SZ_EUlSY_E_NS1_11comp_targetILNS1_3genE8ELNS1_11target_archE1030ELNS1_3gpuE2ELNS1_3repE0EEENS1_30default_config_static_selectorELNS0_4arch9wavefront6targetE1EEEvT1_: ; @_ZN7rocprim17ROCPRIM_400000_NS6detail17trampoline_kernelINS0_14default_configENS1_29reduce_by_key_config_selectorIdlN6thrust23THRUST_200600_302600_NS4plusIlEEEEZZNS1_33reduce_by_key_impl_wrapped_configILNS1_25lookback_scan_determinismE0ES3_S9_PdNS6_17constant_iteratorIiNS6_11use_defaultESE_EENS6_10device_ptrIdEENSG_IlEEPmS8_NS6_8equal_toIdEEEE10hipError_tPvRmT2_T3_mT4_T5_T6_T7_T8_P12ihipStream_tbENKUlT_T0_E_clISt17integral_constantIbLb0EES12_IbLb1EEEEDaSY_SZ_EUlSY_E_NS1_11comp_targetILNS1_3genE8ELNS1_11target_archE1030ELNS1_3gpuE2ELNS1_3repE0EEENS1_30default_config_static_selectorELNS0_4arch9wavefront6targetE1EEEvT1_
; %bb.0:
	.section	.rodata,"a",@progbits
	.p2align	6, 0x0
	.amdhsa_kernel _ZN7rocprim17ROCPRIM_400000_NS6detail17trampoline_kernelINS0_14default_configENS1_29reduce_by_key_config_selectorIdlN6thrust23THRUST_200600_302600_NS4plusIlEEEEZZNS1_33reduce_by_key_impl_wrapped_configILNS1_25lookback_scan_determinismE0ES3_S9_PdNS6_17constant_iteratorIiNS6_11use_defaultESE_EENS6_10device_ptrIdEENSG_IlEEPmS8_NS6_8equal_toIdEEEE10hipError_tPvRmT2_T3_mT4_T5_T6_T7_T8_P12ihipStream_tbENKUlT_T0_E_clISt17integral_constantIbLb0EES12_IbLb1EEEEDaSY_SZ_EUlSY_E_NS1_11comp_targetILNS1_3genE8ELNS1_11target_archE1030ELNS1_3gpuE2ELNS1_3repE0EEENS1_30default_config_static_selectorELNS0_4arch9wavefront6targetE1EEEvT1_
		.amdhsa_group_segment_fixed_size 0
		.amdhsa_private_segment_fixed_size 0
		.amdhsa_kernarg_size 144
		.amdhsa_user_sgpr_count 6
		.amdhsa_user_sgpr_private_segment_buffer 1
		.amdhsa_user_sgpr_dispatch_ptr 0
		.amdhsa_user_sgpr_queue_ptr 0
		.amdhsa_user_sgpr_kernarg_segment_ptr 1
		.amdhsa_user_sgpr_dispatch_id 0
		.amdhsa_user_sgpr_flat_scratch_init 0
		.amdhsa_user_sgpr_kernarg_preload_length 0
		.amdhsa_user_sgpr_kernarg_preload_offset 0
		.amdhsa_user_sgpr_private_segment_size 0
		.amdhsa_uses_dynamic_stack 0
		.amdhsa_system_sgpr_private_segment_wavefront_offset 0
		.amdhsa_system_sgpr_workgroup_id_x 1
		.amdhsa_system_sgpr_workgroup_id_y 0
		.amdhsa_system_sgpr_workgroup_id_z 0
		.amdhsa_system_sgpr_workgroup_info 0
		.amdhsa_system_vgpr_workitem_id 0
		.amdhsa_next_free_vgpr 1
		.amdhsa_next_free_sgpr 0
		.amdhsa_accum_offset 4
		.amdhsa_reserve_vcc 0
		.amdhsa_reserve_flat_scratch 0
		.amdhsa_float_round_mode_32 0
		.amdhsa_float_round_mode_16_64 0
		.amdhsa_float_denorm_mode_32 3
		.amdhsa_float_denorm_mode_16_64 3
		.amdhsa_dx10_clamp 1
		.amdhsa_ieee_mode 1
		.amdhsa_fp16_overflow 0
		.amdhsa_tg_split 0
		.amdhsa_exception_fp_ieee_invalid_op 0
		.amdhsa_exception_fp_denorm_src 0
		.amdhsa_exception_fp_ieee_div_zero 0
		.amdhsa_exception_fp_ieee_overflow 0
		.amdhsa_exception_fp_ieee_underflow 0
		.amdhsa_exception_fp_ieee_inexact 0
		.amdhsa_exception_int_div_zero 0
	.end_amdhsa_kernel
	.section	.text._ZN7rocprim17ROCPRIM_400000_NS6detail17trampoline_kernelINS0_14default_configENS1_29reduce_by_key_config_selectorIdlN6thrust23THRUST_200600_302600_NS4plusIlEEEEZZNS1_33reduce_by_key_impl_wrapped_configILNS1_25lookback_scan_determinismE0ES3_S9_PdNS6_17constant_iteratorIiNS6_11use_defaultESE_EENS6_10device_ptrIdEENSG_IlEEPmS8_NS6_8equal_toIdEEEE10hipError_tPvRmT2_T3_mT4_T5_T6_T7_T8_P12ihipStream_tbENKUlT_T0_E_clISt17integral_constantIbLb0EES12_IbLb1EEEEDaSY_SZ_EUlSY_E_NS1_11comp_targetILNS1_3genE8ELNS1_11target_archE1030ELNS1_3gpuE2ELNS1_3repE0EEENS1_30default_config_static_selectorELNS0_4arch9wavefront6targetE1EEEvT1_,"axG",@progbits,_ZN7rocprim17ROCPRIM_400000_NS6detail17trampoline_kernelINS0_14default_configENS1_29reduce_by_key_config_selectorIdlN6thrust23THRUST_200600_302600_NS4plusIlEEEEZZNS1_33reduce_by_key_impl_wrapped_configILNS1_25lookback_scan_determinismE0ES3_S9_PdNS6_17constant_iteratorIiNS6_11use_defaultESE_EENS6_10device_ptrIdEENSG_IlEEPmS8_NS6_8equal_toIdEEEE10hipError_tPvRmT2_T3_mT4_T5_T6_T7_T8_P12ihipStream_tbENKUlT_T0_E_clISt17integral_constantIbLb0EES12_IbLb1EEEEDaSY_SZ_EUlSY_E_NS1_11comp_targetILNS1_3genE8ELNS1_11target_archE1030ELNS1_3gpuE2ELNS1_3repE0EEENS1_30default_config_static_selectorELNS0_4arch9wavefront6targetE1EEEvT1_,comdat
.Lfunc_end1723:
	.size	_ZN7rocprim17ROCPRIM_400000_NS6detail17trampoline_kernelINS0_14default_configENS1_29reduce_by_key_config_selectorIdlN6thrust23THRUST_200600_302600_NS4plusIlEEEEZZNS1_33reduce_by_key_impl_wrapped_configILNS1_25lookback_scan_determinismE0ES3_S9_PdNS6_17constant_iteratorIiNS6_11use_defaultESE_EENS6_10device_ptrIdEENSG_IlEEPmS8_NS6_8equal_toIdEEEE10hipError_tPvRmT2_T3_mT4_T5_T6_T7_T8_P12ihipStream_tbENKUlT_T0_E_clISt17integral_constantIbLb0EES12_IbLb1EEEEDaSY_SZ_EUlSY_E_NS1_11comp_targetILNS1_3genE8ELNS1_11target_archE1030ELNS1_3gpuE2ELNS1_3repE0EEENS1_30default_config_static_selectorELNS0_4arch9wavefront6targetE1EEEvT1_, .Lfunc_end1723-_ZN7rocprim17ROCPRIM_400000_NS6detail17trampoline_kernelINS0_14default_configENS1_29reduce_by_key_config_selectorIdlN6thrust23THRUST_200600_302600_NS4plusIlEEEEZZNS1_33reduce_by_key_impl_wrapped_configILNS1_25lookback_scan_determinismE0ES3_S9_PdNS6_17constant_iteratorIiNS6_11use_defaultESE_EENS6_10device_ptrIdEENSG_IlEEPmS8_NS6_8equal_toIdEEEE10hipError_tPvRmT2_T3_mT4_T5_T6_T7_T8_P12ihipStream_tbENKUlT_T0_E_clISt17integral_constantIbLb0EES12_IbLb1EEEEDaSY_SZ_EUlSY_E_NS1_11comp_targetILNS1_3genE8ELNS1_11target_archE1030ELNS1_3gpuE2ELNS1_3repE0EEENS1_30default_config_static_selectorELNS0_4arch9wavefront6targetE1EEEvT1_
                                        ; -- End function
	.section	.AMDGPU.csdata,"",@progbits
; Kernel info:
; codeLenInByte = 0
; NumSgprs: 4
; NumVgprs: 0
; NumAgprs: 0
; TotalNumVgprs: 0
; ScratchSize: 0
; MemoryBound: 0
; FloatMode: 240
; IeeeMode: 1
; LDSByteSize: 0 bytes/workgroup (compile time only)
; SGPRBlocks: 0
; VGPRBlocks: 0
; NumSGPRsForWavesPerEU: 4
; NumVGPRsForWavesPerEU: 1
; AccumOffset: 4
; Occupancy: 8
; WaveLimiterHint : 0
; COMPUTE_PGM_RSRC2:SCRATCH_EN: 0
; COMPUTE_PGM_RSRC2:USER_SGPR: 6
; COMPUTE_PGM_RSRC2:TRAP_HANDLER: 0
; COMPUTE_PGM_RSRC2:TGID_X_EN: 1
; COMPUTE_PGM_RSRC2:TGID_Y_EN: 0
; COMPUTE_PGM_RSRC2:TGID_Z_EN: 0
; COMPUTE_PGM_RSRC2:TIDIG_COMP_CNT: 0
; COMPUTE_PGM_RSRC3_GFX90A:ACCUM_OFFSET: 0
; COMPUTE_PGM_RSRC3_GFX90A:TG_SPLIT: 0
	.section	.text._ZN7rocprim17ROCPRIM_400000_NS6detail17trampoline_kernelINS0_14default_configENS1_22reduce_config_selectorIN6thrust23THRUST_200600_302600_NS5tupleIblNS6_9null_typeES8_S8_S8_S8_S8_S8_S8_EEEEZNS1_11reduce_implILb1ES3_NS6_12zip_iteratorINS7_INS6_11hip_rocprim26transform_input_iterator_tIbPdNS6_6detail10functional5actorINSH_9compositeIJNSH_27transparent_binary_operatorINS6_8equal_toIvEEEENSI_INSH_8argumentILj0EEEEENSH_5valueIdEEEEEEEEENSD_19counting_iterator_tIlEES8_S8_S8_S8_S8_S8_S8_S8_EEEEPS9_S9_NSD_9__find_if7functorIS9_EEEE10hipError_tPvRmT1_T2_T3_mT4_P12ihipStream_tbEUlT_E0_NS1_11comp_targetILNS1_3genE0ELNS1_11target_archE4294967295ELNS1_3gpuE0ELNS1_3repE0EEENS1_30default_config_static_selectorELNS0_4arch9wavefront6targetE1EEEvS17_,"axG",@progbits,_ZN7rocprim17ROCPRIM_400000_NS6detail17trampoline_kernelINS0_14default_configENS1_22reduce_config_selectorIN6thrust23THRUST_200600_302600_NS5tupleIblNS6_9null_typeES8_S8_S8_S8_S8_S8_S8_EEEEZNS1_11reduce_implILb1ES3_NS6_12zip_iteratorINS7_INS6_11hip_rocprim26transform_input_iterator_tIbPdNS6_6detail10functional5actorINSH_9compositeIJNSH_27transparent_binary_operatorINS6_8equal_toIvEEEENSI_INSH_8argumentILj0EEEEENSH_5valueIdEEEEEEEEENSD_19counting_iterator_tIlEES8_S8_S8_S8_S8_S8_S8_S8_EEEEPS9_S9_NSD_9__find_if7functorIS9_EEEE10hipError_tPvRmT1_T2_T3_mT4_P12ihipStream_tbEUlT_E0_NS1_11comp_targetILNS1_3genE0ELNS1_11target_archE4294967295ELNS1_3gpuE0ELNS1_3repE0EEENS1_30default_config_static_selectorELNS0_4arch9wavefront6targetE1EEEvS17_,comdat
	.protected	_ZN7rocprim17ROCPRIM_400000_NS6detail17trampoline_kernelINS0_14default_configENS1_22reduce_config_selectorIN6thrust23THRUST_200600_302600_NS5tupleIblNS6_9null_typeES8_S8_S8_S8_S8_S8_S8_EEEEZNS1_11reduce_implILb1ES3_NS6_12zip_iteratorINS7_INS6_11hip_rocprim26transform_input_iterator_tIbPdNS6_6detail10functional5actorINSH_9compositeIJNSH_27transparent_binary_operatorINS6_8equal_toIvEEEENSI_INSH_8argumentILj0EEEEENSH_5valueIdEEEEEEEEENSD_19counting_iterator_tIlEES8_S8_S8_S8_S8_S8_S8_S8_EEEEPS9_S9_NSD_9__find_if7functorIS9_EEEE10hipError_tPvRmT1_T2_T3_mT4_P12ihipStream_tbEUlT_E0_NS1_11comp_targetILNS1_3genE0ELNS1_11target_archE4294967295ELNS1_3gpuE0ELNS1_3repE0EEENS1_30default_config_static_selectorELNS0_4arch9wavefront6targetE1EEEvS17_ ; -- Begin function _ZN7rocprim17ROCPRIM_400000_NS6detail17trampoline_kernelINS0_14default_configENS1_22reduce_config_selectorIN6thrust23THRUST_200600_302600_NS5tupleIblNS6_9null_typeES8_S8_S8_S8_S8_S8_S8_EEEEZNS1_11reduce_implILb1ES3_NS6_12zip_iteratorINS7_INS6_11hip_rocprim26transform_input_iterator_tIbPdNS6_6detail10functional5actorINSH_9compositeIJNSH_27transparent_binary_operatorINS6_8equal_toIvEEEENSI_INSH_8argumentILj0EEEEENSH_5valueIdEEEEEEEEENSD_19counting_iterator_tIlEES8_S8_S8_S8_S8_S8_S8_S8_EEEEPS9_S9_NSD_9__find_if7functorIS9_EEEE10hipError_tPvRmT1_T2_T3_mT4_P12ihipStream_tbEUlT_E0_NS1_11comp_targetILNS1_3genE0ELNS1_11target_archE4294967295ELNS1_3gpuE0ELNS1_3repE0EEENS1_30default_config_static_selectorELNS0_4arch9wavefront6targetE1EEEvS17_
	.globl	_ZN7rocprim17ROCPRIM_400000_NS6detail17trampoline_kernelINS0_14default_configENS1_22reduce_config_selectorIN6thrust23THRUST_200600_302600_NS5tupleIblNS6_9null_typeES8_S8_S8_S8_S8_S8_S8_EEEEZNS1_11reduce_implILb1ES3_NS6_12zip_iteratorINS7_INS6_11hip_rocprim26transform_input_iterator_tIbPdNS6_6detail10functional5actorINSH_9compositeIJNSH_27transparent_binary_operatorINS6_8equal_toIvEEEENSI_INSH_8argumentILj0EEEEENSH_5valueIdEEEEEEEEENSD_19counting_iterator_tIlEES8_S8_S8_S8_S8_S8_S8_S8_EEEEPS9_S9_NSD_9__find_if7functorIS9_EEEE10hipError_tPvRmT1_T2_T3_mT4_P12ihipStream_tbEUlT_E0_NS1_11comp_targetILNS1_3genE0ELNS1_11target_archE4294967295ELNS1_3gpuE0ELNS1_3repE0EEENS1_30default_config_static_selectorELNS0_4arch9wavefront6targetE1EEEvS17_
	.p2align	8
	.type	_ZN7rocprim17ROCPRIM_400000_NS6detail17trampoline_kernelINS0_14default_configENS1_22reduce_config_selectorIN6thrust23THRUST_200600_302600_NS5tupleIblNS6_9null_typeES8_S8_S8_S8_S8_S8_S8_EEEEZNS1_11reduce_implILb1ES3_NS6_12zip_iteratorINS7_INS6_11hip_rocprim26transform_input_iterator_tIbPdNS6_6detail10functional5actorINSH_9compositeIJNSH_27transparent_binary_operatorINS6_8equal_toIvEEEENSI_INSH_8argumentILj0EEEEENSH_5valueIdEEEEEEEEENSD_19counting_iterator_tIlEES8_S8_S8_S8_S8_S8_S8_S8_EEEEPS9_S9_NSD_9__find_if7functorIS9_EEEE10hipError_tPvRmT1_T2_T3_mT4_P12ihipStream_tbEUlT_E0_NS1_11comp_targetILNS1_3genE0ELNS1_11target_archE4294967295ELNS1_3gpuE0ELNS1_3repE0EEENS1_30default_config_static_selectorELNS0_4arch9wavefront6targetE1EEEvS17_,@function
_ZN7rocprim17ROCPRIM_400000_NS6detail17trampoline_kernelINS0_14default_configENS1_22reduce_config_selectorIN6thrust23THRUST_200600_302600_NS5tupleIblNS6_9null_typeES8_S8_S8_S8_S8_S8_S8_EEEEZNS1_11reduce_implILb1ES3_NS6_12zip_iteratorINS7_INS6_11hip_rocprim26transform_input_iterator_tIbPdNS6_6detail10functional5actorINSH_9compositeIJNSH_27transparent_binary_operatorINS6_8equal_toIvEEEENSI_INSH_8argumentILj0EEEEENSH_5valueIdEEEEEEEEENSD_19counting_iterator_tIlEES8_S8_S8_S8_S8_S8_S8_S8_EEEEPS9_S9_NSD_9__find_if7functorIS9_EEEE10hipError_tPvRmT1_T2_T3_mT4_P12ihipStream_tbEUlT_E0_NS1_11comp_targetILNS1_3genE0ELNS1_11target_archE4294967295ELNS1_3gpuE0ELNS1_3repE0EEENS1_30default_config_static_selectorELNS0_4arch9wavefront6targetE1EEEvS17_: ; @_ZN7rocprim17ROCPRIM_400000_NS6detail17trampoline_kernelINS0_14default_configENS1_22reduce_config_selectorIN6thrust23THRUST_200600_302600_NS5tupleIblNS6_9null_typeES8_S8_S8_S8_S8_S8_S8_EEEEZNS1_11reduce_implILb1ES3_NS6_12zip_iteratorINS7_INS6_11hip_rocprim26transform_input_iterator_tIbPdNS6_6detail10functional5actorINSH_9compositeIJNSH_27transparent_binary_operatorINS6_8equal_toIvEEEENSI_INSH_8argumentILj0EEEEENSH_5valueIdEEEEEEEEENSD_19counting_iterator_tIlEES8_S8_S8_S8_S8_S8_S8_S8_EEEEPS9_S9_NSD_9__find_if7functorIS9_EEEE10hipError_tPvRmT1_T2_T3_mT4_P12ihipStream_tbEUlT_E0_NS1_11comp_targetILNS1_3genE0ELNS1_11target_archE4294967295ELNS1_3gpuE0ELNS1_3repE0EEENS1_30default_config_static_selectorELNS0_4arch9wavefront6targetE1EEEvS17_
; %bb.0:
	.section	.rodata,"a",@progbits
	.p2align	6, 0x0
	.amdhsa_kernel _ZN7rocprim17ROCPRIM_400000_NS6detail17trampoline_kernelINS0_14default_configENS1_22reduce_config_selectorIN6thrust23THRUST_200600_302600_NS5tupleIblNS6_9null_typeES8_S8_S8_S8_S8_S8_S8_EEEEZNS1_11reduce_implILb1ES3_NS6_12zip_iteratorINS7_INS6_11hip_rocprim26transform_input_iterator_tIbPdNS6_6detail10functional5actorINSH_9compositeIJNSH_27transparent_binary_operatorINS6_8equal_toIvEEEENSI_INSH_8argumentILj0EEEEENSH_5valueIdEEEEEEEEENSD_19counting_iterator_tIlEES8_S8_S8_S8_S8_S8_S8_S8_EEEEPS9_S9_NSD_9__find_if7functorIS9_EEEE10hipError_tPvRmT1_T2_T3_mT4_P12ihipStream_tbEUlT_E0_NS1_11comp_targetILNS1_3genE0ELNS1_11target_archE4294967295ELNS1_3gpuE0ELNS1_3repE0EEENS1_30default_config_static_selectorELNS0_4arch9wavefront6targetE1EEEvS17_
		.amdhsa_group_segment_fixed_size 0
		.amdhsa_private_segment_fixed_size 0
		.amdhsa_kernarg_size 96
		.amdhsa_user_sgpr_count 6
		.amdhsa_user_sgpr_private_segment_buffer 1
		.amdhsa_user_sgpr_dispatch_ptr 0
		.amdhsa_user_sgpr_queue_ptr 0
		.amdhsa_user_sgpr_kernarg_segment_ptr 1
		.amdhsa_user_sgpr_dispatch_id 0
		.amdhsa_user_sgpr_flat_scratch_init 0
		.amdhsa_user_sgpr_kernarg_preload_length 0
		.amdhsa_user_sgpr_kernarg_preload_offset 0
		.amdhsa_user_sgpr_private_segment_size 0
		.amdhsa_uses_dynamic_stack 0
		.amdhsa_system_sgpr_private_segment_wavefront_offset 0
		.amdhsa_system_sgpr_workgroup_id_x 1
		.amdhsa_system_sgpr_workgroup_id_y 0
		.amdhsa_system_sgpr_workgroup_id_z 0
		.amdhsa_system_sgpr_workgroup_info 0
		.amdhsa_system_vgpr_workitem_id 0
		.amdhsa_next_free_vgpr 1
		.amdhsa_next_free_sgpr 0
		.amdhsa_accum_offset 4
		.amdhsa_reserve_vcc 0
		.amdhsa_reserve_flat_scratch 0
		.amdhsa_float_round_mode_32 0
		.amdhsa_float_round_mode_16_64 0
		.amdhsa_float_denorm_mode_32 3
		.amdhsa_float_denorm_mode_16_64 3
		.amdhsa_dx10_clamp 1
		.amdhsa_ieee_mode 1
		.amdhsa_fp16_overflow 0
		.amdhsa_tg_split 0
		.amdhsa_exception_fp_ieee_invalid_op 0
		.amdhsa_exception_fp_denorm_src 0
		.amdhsa_exception_fp_ieee_div_zero 0
		.amdhsa_exception_fp_ieee_overflow 0
		.amdhsa_exception_fp_ieee_underflow 0
		.amdhsa_exception_fp_ieee_inexact 0
		.amdhsa_exception_int_div_zero 0
	.end_amdhsa_kernel
	.section	.text._ZN7rocprim17ROCPRIM_400000_NS6detail17trampoline_kernelINS0_14default_configENS1_22reduce_config_selectorIN6thrust23THRUST_200600_302600_NS5tupleIblNS6_9null_typeES8_S8_S8_S8_S8_S8_S8_EEEEZNS1_11reduce_implILb1ES3_NS6_12zip_iteratorINS7_INS6_11hip_rocprim26transform_input_iterator_tIbPdNS6_6detail10functional5actorINSH_9compositeIJNSH_27transparent_binary_operatorINS6_8equal_toIvEEEENSI_INSH_8argumentILj0EEEEENSH_5valueIdEEEEEEEEENSD_19counting_iterator_tIlEES8_S8_S8_S8_S8_S8_S8_S8_EEEEPS9_S9_NSD_9__find_if7functorIS9_EEEE10hipError_tPvRmT1_T2_T3_mT4_P12ihipStream_tbEUlT_E0_NS1_11comp_targetILNS1_3genE0ELNS1_11target_archE4294967295ELNS1_3gpuE0ELNS1_3repE0EEENS1_30default_config_static_selectorELNS0_4arch9wavefront6targetE1EEEvS17_,"axG",@progbits,_ZN7rocprim17ROCPRIM_400000_NS6detail17trampoline_kernelINS0_14default_configENS1_22reduce_config_selectorIN6thrust23THRUST_200600_302600_NS5tupleIblNS6_9null_typeES8_S8_S8_S8_S8_S8_S8_EEEEZNS1_11reduce_implILb1ES3_NS6_12zip_iteratorINS7_INS6_11hip_rocprim26transform_input_iterator_tIbPdNS6_6detail10functional5actorINSH_9compositeIJNSH_27transparent_binary_operatorINS6_8equal_toIvEEEENSI_INSH_8argumentILj0EEEEENSH_5valueIdEEEEEEEEENSD_19counting_iterator_tIlEES8_S8_S8_S8_S8_S8_S8_S8_EEEEPS9_S9_NSD_9__find_if7functorIS9_EEEE10hipError_tPvRmT1_T2_T3_mT4_P12ihipStream_tbEUlT_E0_NS1_11comp_targetILNS1_3genE0ELNS1_11target_archE4294967295ELNS1_3gpuE0ELNS1_3repE0EEENS1_30default_config_static_selectorELNS0_4arch9wavefront6targetE1EEEvS17_,comdat
.Lfunc_end1724:
	.size	_ZN7rocprim17ROCPRIM_400000_NS6detail17trampoline_kernelINS0_14default_configENS1_22reduce_config_selectorIN6thrust23THRUST_200600_302600_NS5tupleIblNS6_9null_typeES8_S8_S8_S8_S8_S8_S8_EEEEZNS1_11reduce_implILb1ES3_NS6_12zip_iteratorINS7_INS6_11hip_rocprim26transform_input_iterator_tIbPdNS6_6detail10functional5actorINSH_9compositeIJNSH_27transparent_binary_operatorINS6_8equal_toIvEEEENSI_INSH_8argumentILj0EEEEENSH_5valueIdEEEEEEEEENSD_19counting_iterator_tIlEES8_S8_S8_S8_S8_S8_S8_S8_EEEEPS9_S9_NSD_9__find_if7functorIS9_EEEE10hipError_tPvRmT1_T2_T3_mT4_P12ihipStream_tbEUlT_E0_NS1_11comp_targetILNS1_3genE0ELNS1_11target_archE4294967295ELNS1_3gpuE0ELNS1_3repE0EEENS1_30default_config_static_selectorELNS0_4arch9wavefront6targetE1EEEvS17_, .Lfunc_end1724-_ZN7rocprim17ROCPRIM_400000_NS6detail17trampoline_kernelINS0_14default_configENS1_22reduce_config_selectorIN6thrust23THRUST_200600_302600_NS5tupleIblNS6_9null_typeES8_S8_S8_S8_S8_S8_S8_EEEEZNS1_11reduce_implILb1ES3_NS6_12zip_iteratorINS7_INS6_11hip_rocprim26transform_input_iterator_tIbPdNS6_6detail10functional5actorINSH_9compositeIJNSH_27transparent_binary_operatorINS6_8equal_toIvEEEENSI_INSH_8argumentILj0EEEEENSH_5valueIdEEEEEEEEENSD_19counting_iterator_tIlEES8_S8_S8_S8_S8_S8_S8_S8_EEEEPS9_S9_NSD_9__find_if7functorIS9_EEEE10hipError_tPvRmT1_T2_T3_mT4_P12ihipStream_tbEUlT_E0_NS1_11comp_targetILNS1_3genE0ELNS1_11target_archE4294967295ELNS1_3gpuE0ELNS1_3repE0EEENS1_30default_config_static_selectorELNS0_4arch9wavefront6targetE1EEEvS17_
                                        ; -- End function
	.section	.AMDGPU.csdata,"",@progbits
; Kernel info:
; codeLenInByte = 0
; NumSgprs: 4
; NumVgprs: 0
; NumAgprs: 0
; TotalNumVgprs: 0
; ScratchSize: 0
; MemoryBound: 0
; FloatMode: 240
; IeeeMode: 1
; LDSByteSize: 0 bytes/workgroup (compile time only)
; SGPRBlocks: 0
; VGPRBlocks: 0
; NumSGPRsForWavesPerEU: 4
; NumVGPRsForWavesPerEU: 1
; AccumOffset: 4
; Occupancy: 8
; WaveLimiterHint : 0
; COMPUTE_PGM_RSRC2:SCRATCH_EN: 0
; COMPUTE_PGM_RSRC2:USER_SGPR: 6
; COMPUTE_PGM_RSRC2:TRAP_HANDLER: 0
; COMPUTE_PGM_RSRC2:TGID_X_EN: 1
; COMPUTE_PGM_RSRC2:TGID_Y_EN: 0
; COMPUTE_PGM_RSRC2:TGID_Z_EN: 0
; COMPUTE_PGM_RSRC2:TIDIG_COMP_CNT: 0
; COMPUTE_PGM_RSRC3_GFX90A:ACCUM_OFFSET: 0
; COMPUTE_PGM_RSRC3_GFX90A:TG_SPLIT: 0
	.section	.text._ZN7rocprim17ROCPRIM_400000_NS6detail17trampoline_kernelINS0_14default_configENS1_22reduce_config_selectorIN6thrust23THRUST_200600_302600_NS5tupleIblNS6_9null_typeES8_S8_S8_S8_S8_S8_S8_EEEEZNS1_11reduce_implILb1ES3_NS6_12zip_iteratorINS7_INS6_11hip_rocprim26transform_input_iterator_tIbPdNS6_6detail10functional5actorINSH_9compositeIJNSH_27transparent_binary_operatorINS6_8equal_toIvEEEENSI_INSH_8argumentILj0EEEEENSH_5valueIdEEEEEEEEENSD_19counting_iterator_tIlEES8_S8_S8_S8_S8_S8_S8_S8_EEEEPS9_S9_NSD_9__find_if7functorIS9_EEEE10hipError_tPvRmT1_T2_T3_mT4_P12ihipStream_tbEUlT_E0_NS1_11comp_targetILNS1_3genE5ELNS1_11target_archE942ELNS1_3gpuE9ELNS1_3repE0EEENS1_30default_config_static_selectorELNS0_4arch9wavefront6targetE1EEEvS17_,"axG",@progbits,_ZN7rocprim17ROCPRIM_400000_NS6detail17trampoline_kernelINS0_14default_configENS1_22reduce_config_selectorIN6thrust23THRUST_200600_302600_NS5tupleIblNS6_9null_typeES8_S8_S8_S8_S8_S8_S8_EEEEZNS1_11reduce_implILb1ES3_NS6_12zip_iteratorINS7_INS6_11hip_rocprim26transform_input_iterator_tIbPdNS6_6detail10functional5actorINSH_9compositeIJNSH_27transparent_binary_operatorINS6_8equal_toIvEEEENSI_INSH_8argumentILj0EEEEENSH_5valueIdEEEEEEEEENSD_19counting_iterator_tIlEES8_S8_S8_S8_S8_S8_S8_S8_EEEEPS9_S9_NSD_9__find_if7functorIS9_EEEE10hipError_tPvRmT1_T2_T3_mT4_P12ihipStream_tbEUlT_E0_NS1_11comp_targetILNS1_3genE5ELNS1_11target_archE942ELNS1_3gpuE9ELNS1_3repE0EEENS1_30default_config_static_selectorELNS0_4arch9wavefront6targetE1EEEvS17_,comdat
	.protected	_ZN7rocprim17ROCPRIM_400000_NS6detail17trampoline_kernelINS0_14default_configENS1_22reduce_config_selectorIN6thrust23THRUST_200600_302600_NS5tupleIblNS6_9null_typeES8_S8_S8_S8_S8_S8_S8_EEEEZNS1_11reduce_implILb1ES3_NS6_12zip_iteratorINS7_INS6_11hip_rocprim26transform_input_iterator_tIbPdNS6_6detail10functional5actorINSH_9compositeIJNSH_27transparent_binary_operatorINS6_8equal_toIvEEEENSI_INSH_8argumentILj0EEEEENSH_5valueIdEEEEEEEEENSD_19counting_iterator_tIlEES8_S8_S8_S8_S8_S8_S8_S8_EEEEPS9_S9_NSD_9__find_if7functorIS9_EEEE10hipError_tPvRmT1_T2_T3_mT4_P12ihipStream_tbEUlT_E0_NS1_11comp_targetILNS1_3genE5ELNS1_11target_archE942ELNS1_3gpuE9ELNS1_3repE0EEENS1_30default_config_static_selectorELNS0_4arch9wavefront6targetE1EEEvS17_ ; -- Begin function _ZN7rocprim17ROCPRIM_400000_NS6detail17trampoline_kernelINS0_14default_configENS1_22reduce_config_selectorIN6thrust23THRUST_200600_302600_NS5tupleIblNS6_9null_typeES8_S8_S8_S8_S8_S8_S8_EEEEZNS1_11reduce_implILb1ES3_NS6_12zip_iteratorINS7_INS6_11hip_rocprim26transform_input_iterator_tIbPdNS6_6detail10functional5actorINSH_9compositeIJNSH_27transparent_binary_operatorINS6_8equal_toIvEEEENSI_INSH_8argumentILj0EEEEENSH_5valueIdEEEEEEEEENSD_19counting_iterator_tIlEES8_S8_S8_S8_S8_S8_S8_S8_EEEEPS9_S9_NSD_9__find_if7functorIS9_EEEE10hipError_tPvRmT1_T2_T3_mT4_P12ihipStream_tbEUlT_E0_NS1_11comp_targetILNS1_3genE5ELNS1_11target_archE942ELNS1_3gpuE9ELNS1_3repE0EEENS1_30default_config_static_selectorELNS0_4arch9wavefront6targetE1EEEvS17_
	.globl	_ZN7rocprim17ROCPRIM_400000_NS6detail17trampoline_kernelINS0_14default_configENS1_22reduce_config_selectorIN6thrust23THRUST_200600_302600_NS5tupleIblNS6_9null_typeES8_S8_S8_S8_S8_S8_S8_EEEEZNS1_11reduce_implILb1ES3_NS6_12zip_iteratorINS7_INS6_11hip_rocprim26transform_input_iterator_tIbPdNS6_6detail10functional5actorINSH_9compositeIJNSH_27transparent_binary_operatorINS6_8equal_toIvEEEENSI_INSH_8argumentILj0EEEEENSH_5valueIdEEEEEEEEENSD_19counting_iterator_tIlEES8_S8_S8_S8_S8_S8_S8_S8_EEEEPS9_S9_NSD_9__find_if7functorIS9_EEEE10hipError_tPvRmT1_T2_T3_mT4_P12ihipStream_tbEUlT_E0_NS1_11comp_targetILNS1_3genE5ELNS1_11target_archE942ELNS1_3gpuE9ELNS1_3repE0EEENS1_30default_config_static_selectorELNS0_4arch9wavefront6targetE1EEEvS17_
	.p2align	8
	.type	_ZN7rocprim17ROCPRIM_400000_NS6detail17trampoline_kernelINS0_14default_configENS1_22reduce_config_selectorIN6thrust23THRUST_200600_302600_NS5tupleIblNS6_9null_typeES8_S8_S8_S8_S8_S8_S8_EEEEZNS1_11reduce_implILb1ES3_NS6_12zip_iteratorINS7_INS6_11hip_rocprim26transform_input_iterator_tIbPdNS6_6detail10functional5actorINSH_9compositeIJNSH_27transparent_binary_operatorINS6_8equal_toIvEEEENSI_INSH_8argumentILj0EEEEENSH_5valueIdEEEEEEEEENSD_19counting_iterator_tIlEES8_S8_S8_S8_S8_S8_S8_S8_EEEEPS9_S9_NSD_9__find_if7functorIS9_EEEE10hipError_tPvRmT1_T2_T3_mT4_P12ihipStream_tbEUlT_E0_NS1_11comp_targetILNS1_3genE5ELNS1_11target_archE942ELNS1_3gpuE9ELNS1_3repE0EEENS1_30default_config_static_selectorELNS0_4arch9wavefront6targetE1EEEvS17_,@function
_ZN7rocprim17ROCPRIM_400000_NS6detail17trampoline_kernelINS0_14default_configENS1_22reduce_config_selectorIN6thrust23THRUST_200600_302600_NS5tupleIblNS6_9null_typeES8_S8_S8_S8_S8_S8_S8_EEEEZNS1_11reduce_implILb1ES3_NS6_12zip_iteratorINS7_INS6_11hip_rocprim26transform_input_iterator_tIbPdNS6_6detail10functional5actorINSH_9compositeIJNSH_27transparent_binary_operatorINS6_8equal_toIvEEEENSI_INSH_8argumentILj0EEEEENSH_5valueIdEEEEEEEEENSD_19counting_iterator_tIlEES8_S8_S8_S8_S8_S8_S8_S8_EEEEPS9_S9_NSD_9__find_if7functorIS9_EEEE10hipError_tPvRmT1_T2_T3_mT4_P12ihipStream_tbEUlT_E0_NS1_11comp_targetILNS1_3genE5ELNS1_11target_archE942ELNS1_3gpuE9ELNS1_3repE0EEENS1_30default_config_static_selectorELNS0_4arch9wavefront6targetE1EEEvS17_: ; @_ZN7rocprim17ROCPRIM_400000_NS6detail17trampoline_kernelINS0_14default_configENS1_22reduce_config_selectorIN6thrust23THRUST_200600_302600_NS5tupleIblNS6_9null_typeES8_S8_S8_S8_S8_S8_S8_EEEEZNS1_11reduce_implILb1ES3_NS6_12zip_iteratorINS7_INS6_11hip_rocprim26transform_input_iterator_tIbPdNS6_6detail10functional5actorINSH_9compositeIJNSH_27transparent_binary_operatorINS6_8equal_toIvEEEENSI_INSH_8argumentILj0EEEEENSH_5valueIdEEEEEEEEENSD_19counting_iterator_tIlEES8_S8_S8_S8_S8_S8_S8_S8_EEEEPS9_S9_NSD_9__find_if7functorIS9_EEEE10hipError_tPvRmT1_T2_T3_mT4_P12ihipStream_tbEUlT_E0_NS1_11comp_targetILNS1_3genE5ELNS1_11target_archE942ELNS1_3gpuE9ELNS1_3repE0EEENS1_30default_config_static_selectorELNS0_4arch9wavefront6targetE1EEEvS17_
; %bb.0:
	.section	.rodata,"a",@progbits
	.p2align	6, 0x0
	.amdhsa_kernel _ZN7rocprim17ROCPRIM_400000_NS6detail17trampoline_kernelINS0_14default_configENS1_22reduce_config_selectorIN6thrust23THRUST_200600_302600_NS5tupleIblNS6_9null_typeES8_S8_S8_S8_S8_S8_S8_EEEEZNS1_11reduce_implILb1ES3_NS6_12zip_iteratorINS7_INS6_11hip_rocprim26transform_input_iterator_tIbPdNS6_6detail10functional5actorINSH_9compositeIJNSH_27transparent_binary_operatorINS6_8equal_toIvEEEENSI_INSH_8argumentILj0EEEEENSH_5valueIdEEEEEEEEENSD_19counting_iterator_tIlEES8_S8_S8_S8_S8_S8_S8_S8_EEEEPS9_S9_NSD_9__find_if7functorIS9_EEEE10hipError_tPvRmT1_T2_T3_mT4_P12ihipStream_tbEUlT_E0_NS1_11comp_targetILNS1_3genE5ELNS1_11target_archE942ELNS1_3gpuE9ELNS1_3repE0EEENS1_30default_config_static_selectorELNS0_4arch9wavefront6targetE1EEEvS17_
		.amdhsa_group_segment_fixed_size 0
		.amdhsa_private_segment_fixed_size 0
		.amdhsa_kernarg_size 96
		.amdhsa_user_sgpr_count 6
		.amdhsa_user_sgpr_private_segment_buffer 1
		.amdhsa_user_sgpr_dispatch_ptr 0
		.amdhsa_user_sgpr_queue_ptr 0
		.amdhsa_user_sgpr_kernarg_segment_ptr 1
		.amdhsa_user_sgpr_dispatch_id 0
		.amdhsa_user_sgpr_flat_scratch_init 0
		.amdhsa_user_sgpr_kernarg_preload_length 0
		.amdhsa_user_sgpr_kernarg_preload_offset 0
		.amdhsa_user_sgpr_private_segment_size 0
		.amdhsa_uses_dynamic_stack 0
		.amdhsa_system_sgpr_private_segment_wavefront_offset 0
		.amdhsa_system_sgpr_workgroup_id_x 1
		.amdhsa_system_sgpr_workgroup_id_y 0
		.amdhsa_system_sgpr_workgroup_id_z 0
		.amdhsa_system_sgpr_workgroup_info 0
		.amdhsa_system_vgpr_workitem_id 0
		.amdhsa_next_free_vgpr 1
		.amdhsa_next_free_sgpr 0
		.amdhsa_accum_offset 4
		.amdhsa_reserve_vcc 0
		.amdhsa_reserve_flat_scratch 0
		.amdhsa_float_round_mode_32 0
		.amdhsa_float_round_mode_16_64 0
		.amdhsa_float_denorm_mode_32 3
		.amdhsa_float_denorm_mode_16_64 3
		.amdhsa_dx10_clamp 1
		.amdhsa_ieee_mode 1
		.amdhsa_fp16_overflow 0
		.amdhsa_tg_split 0
		.amdhsa_exception_fp_ieee_invalid_op 0
		.amdhsa_exception_fp_denorm_src 0
		.amdhsa_exception_fp_ieee_div_zero 0
		.amdhsa_exception_fp_ieee_overflow 0
		.amdhsa_exception_fp_ieee_underflow 0
		.amdhsa_exception_fp_ieee_inexact 0
		.amdhsa_exception_int_div_zero 0
	.end_amdhsa_kernel
	.section	.text._ZN7rocprim17ROCPRIM_400000_NS6detail17trampoline_kernelINS0_14default_configENS1_22reduce_config_selectorIN6thrust23THRUST_200600_302600_NS5tupleIblNS6_9null_typeES8_S8_S8_S8_S8_S8_S8_EEEEZNS1_11reduce_implILb1ES3_NS6_12zip_iteratorINS7_INS6_11hip_rocprim26transform_input_iterator_tIbPdNS6_6detail10functional5actorINSH_9compositeIJNSH_27transparent_binary_operatorINS6_8equal_toIvEEEENSI_INSH_8argumentILj0EEEEENSH_5valueIdEEEEEEEEENSD_19counting_iterator_tIlEES8_S8_S8_S8_S8_S8_S8_S8_EEEEPS9_S9_NSD_9__find_if7functorIS9_EEEE10hipError_tPvRmT1_T2_T3_mT4_P12ihipStream_tbEUlT_E0_NS1_11comp_targetILNS1_3genE5ELNS1_11target_archE942ELNS1_3gpuE9ELNS1_3repE0EEENS1_30default_config_static_selectorELNS0_4arch9wavefront6targetE1EEEvS17_,"axG",@progbits,_ZN7rocprim17ROCPRIM_400000_NS6detail17trampoline_kernelINS0_14default_configENS1_22reduce_config_selectorIN6thrust23THRUST_200600_302600_NS5tupleIblNS6_9null_typeES8_S8_S8_S8_S8_S8_S8_EEEEZNS1_11reduce_implILb1ES3_NS6_12zip_iteratorINS7_INS6_11hip_rocprim26transform_input_iterator_tIbPdNS6_6detail10functional5actorINSH_9compositeIJNSH_27transparent_binary_operatorINS6_8equal_toIvEEEENSI_INSH_8argumentILj0EEEEENSH_5valueIdEEEEEEEEENSD_19counting_iterator_tIlEES8_S8_S8_S8_S8_S8_S8_S8_EEEEPS9_S9_NSD_9__find_if7functorIS9_EEEE10hipError_tPvRmT1_T2_T3_mT4_P12ihipStream_tbEUlT_E0_NS1_11comp_targetILNS1_3genE5ELNS1_11target_archE942ELNS1_3gpuE9ELNS1_3repE0EEENS1_30default_config_static_selectorELNS0_4arch9wavefront6targetE1EEEvS17_,comdat
.Lfunc_end1725:
	.size	_ZN7rocprim17ROCPRIM_400000_NS6detail17trampoline_kernelINS0_14default_configENS1_22reduce_config_selectorIN6thrust23THRUST_200600_302600_NS5tupleIblNS6_9null_typeES8_S8_S8_S8_S8_S8_S8_EEEEZNS1_11reduce_implILb1ES3_NS6_12zip_iteratorINS7_INS6_11hip_rocprim26transform_input_iterator_tIbPdNS6_6detail10functional5actorINSH_9compositeIJNSH_27transparent_binary_operatorINS6_8equal_toIvEEEENSI_INSH_8argumentILj0EEEEENSH_5valueIdEEEEEEEEENSD_19counting_iterator_tIlEES8_S8_S8_S8_S8_S8_S8_S8_EEEEPS9_S9_NSD_9__find_if7functorIS9_EEEE10hipError_tPvRmT1_T2_T3_mT4_P12ihipStream_tbEUlT_E0_NS1_11comp_targetILNS1_3genE5ELNS1_11target_archE942ELNS1_3gpuE9ELNS1_3repE0EEENS1_30default_config_static_selectorELNS0_4arch9wavefront6targetE1EEEvS17_, .Lfunc_end1725-_ZN7rocprim17ROCPRIM_400000_NS6detail17trampoline_kernelINS0_14default_configENS1_22reduce_config_selectorIN6thrust23THRUST_200600_302600_NS5tupleIblNS6_9null_typeES8_S8_S8_S8_S8_S8_S8_EEEEZNS1_11reduce_implILb1ES3_NS6_12zip_iteratorINS7_INS6_11hip_rocprim26transform_input_iterator_tIbPdNS6_6detail10functional5actorINSH_9compositeIJNSH_27transparent_binary_operatorINS6_8equal_toIvEEEENSI_INSH_8argumentILj0EEEEENSH_5valueIdEEEEEEEEENSD_19counting_iterator_tIlEES8_S8_S8_S8_S8_S8_S8_S8_EEEEPS9_S9_NSD_9__find_if7functorIS9_EEEE10hipError_tPvRmT1_T2_T3_mT4_P12ihipStream_tbEUlT_E0_NS1_11comp_targetILNS1_3genE5ELNS1_11target_archE942ELNS1_3gpuE9ELNS1_3repE0EEENS1_30default_config_static_selectorELNS0_4arch9wavefront6targetE1EEEvS17_
                                        ; -- End function
	.section	.AMDGPU.csdata,"",@progbits
; Kernel info:
; codeLenInByte = 0
; NumSgprs: 4
; NumVgprs: 0
; NumAgprs: 0
; TotalNumVgprs: 0
; ScratchSize: 0
; MemoryBound: 0
; FloatMode: 240
; IeeeMode: 1
; LDSByteSize: 0 bytes/workgroup (compile time only)
; SGPRBlocks: 0
; VGPRBlocks: 0
; NumSGPRsForWavesPerEU: 4
; NumVGPRsForWavesPerEU: 1
; AccumOffset: 4
; Occupancy: 8
; WaveLimiterHint : 0
; COMPUTE_PGM_RSRC2:SCRATCH_EN: 0
; COMPUTE_PGM_RSRC2:USER_SGPR: 6
; COMPUTE_PGM_RSRC2:TRAP_HANDLER: 0
; COMPUTE_PGM_RSRC2:TGID_X_EN: 1
; COMPUTE_PGM_RSRC2:TGID_Y_EN: 0
; COMPUTE_PGM_RSRC2:TGID_Z_EN: 0
; COMPUTE_PGM_RSRC2:TIDIG_COMP_CNT: 0
; COMPUTE_PGM_RSRC3_GFX90A:ACCUM_OFFSET: 0
; COMPUTE_PGM_RSRC3_GFX90A:TG_SPLIT: 0
	.section	.text._ZN7rocprim17ROCPRIM_400000_NS6detail17trampoline_kernelINS0_14default_configENS1_22reduce_config_selectorIN6thrust23THRUST_200600_302600_NS5tupleIblNS6_9null_typeES8_S8_S8_S8_S8_S8_S8_EEEEZNS1_11reduce_implILb1ES3_NS6_12zip_iteratorINS7_INS6_11hip_rocprim26transform_input_iterator_tIbPdNS6_6detail10functional5actorINSH_9compositeIJNSH_27transparent_binary_operatorINS6_8equal_toIvEEEENSI_INSH_8argumentILj0EEEEENSH_5valueIdEEEEEEEEENSD_19counting_iterator_tIlEES8_S8_S8_S8_S8_S8_S8_S8_EEEEPS9_S9_NSD_9__find_if7functorIS9_EEEE10hipError_tPvRmT1_T2_T3_mT4_P12ihipStream_tbEUlT_E0_NS1_11comp_targetILNS1_3genE4ELNS1_11target_archE910ELNS1_3gpuE8ELNS1_3repE0EEENS1_30default_config_static_selectorELNS0_4arch9wavefront6targetE1EEEvS17_,"axG",@progbits,_ZN7rocprim17ROCPRIM_400000_NS6detail17trampoline_kernelINS0_14default_configENS1_22reduce_config_selectorIN6thrust23THRUST_200600_302600_NS5tupleIblNS6_9null_typeES8_S8_S8_S8_S8_S8_S8_EEEEZNS1_11reduce_implILb1ES3_NS6_12zip_iteratorINS7_INS6_11hip_rocprim26transform_input_iterator_tIbPdNS6_6detail10functional5actorINSH_9compositeIJNSH_27transparent_binary_operatorINS6_8equal_toIvEEEENSI_INSH_8argumentILj0EEEEENSH_5valueIdEEEEEEEEENSD_19counting_iterator_tIlEES8_S8_S8_S8_S8_S8_S8_S8_EEEEPS9_S9_NSD_9__find_if7functorIS9_EEEE10hipError_tPvRmT1_T2_T3_mT4_P12ihipStream_tbEUlT_E0_NS1_11comp_targetILNS1_3genE4ELNS1_11target_archE910ELNS1_3gpuE8ELNS1_3repE0EEENS1_30default_config_static_selectorELNS0_4arch9wavefront6targetE1EEEvS17_,comdat
	.protected	_ZN7rocprim17ROCPRIM_400000_NS6detail17trampoline_kernelINS0_14default_configENS1_22reduce_config_selectorIN6thrust23THRUST_200600_302600_NS5tupleIblNS6_9null_typeES8_S8_S8_S8_S8_S8_S8_EEEEZNS1_11reduce_implILb1ES3_NS6_12zip_iteratorINS7_INS6_11hip_rocprim26transform_input_iterator_tIbPdNS6_6detail10functional5actorINSH_9compositeIJNSH_27transparent_binary_operatorINS6_8equal_toIvEEEENSI_INSH_8argumentILj0EEEEENSH_5valueIdEEEEEEEEENSD_19counting_iterator_tIlEES8_S8_S8_S8_S8_S8_S8_S8_EEEEPS9_S9_NSD_9__find_if7functorIS9_EEEE10hipError_tPvRmT1_T2_T3_mT4_P12ihipStream_tbEUlT_E0_NS1_11comp_targetILNS1_3genE4ELNS1_11target_archE910ELNS1_3gpuE8ELNS1_3repE0EEENS1_30default_config_static_selectorELNS0_4arch9wavefront6targetE1EEEvS17_ ; -- Begin function _ZN7rocprim17ROCPRIM_400000_NS6detail17trampoline_kernelINS0_14default_configENS1_22reduce_config_selectorIN6thrust23THRUST_200600_302600_NS5tupleIblNS6_9null_typeES8_S8_S8_S8_S8_S8_S8_EEEEZNS1_11reduce_implILb1ES3_NS6_12zip_iteratorINS7_INS6_11hip_rocprim26transform_input_iterator_tIbPdNS6_6detail10functional5actorINSH_9compositeIJNSH_27transparent_binary_operatorINS6_8equal_toIvEEEENSI_INSH_8argumentILj0EEEEENSH_5valueIdEEEEEEEEENSD_19counting_iterator_tIlEES8_S8_S8_S8_S8_S8_S8_S8_EEEEPS9_S9_NSD_9__find_if7functorIS9_EEEE10hipError_tPvRmT1_T2_T3_mT4_P12ihipStream_tbEUlT_E0_NS1_11comp_targetILNS1_3genE4ELNS1_11target_archE910ELNS1_3gpuE8ELNS1_3repE0EEENS1_30default_config_static_selectorELNS0_4arch9wavefront6targetE1EEEvS17_
	.globl	_ZN7rocprim17ROCPRIM_400000_NS6detail17trampoline_kernelINS0_14default_configENS1_22reduce_config_selectorIN6thrust23THRUST_200600_302600_NS5tupleIblNS6_9null_typeES8_S8_S8_S8_S8_S8_S8_EEEEZNS1_11reduce_implILb1ES3_NS6_12zip_iteratorINS7_INS6_11hip_rocprim26transform_input_iterator_tIbPdNS6_6detail10functional5actorINSH_9compositeIJNSH_27transparent_binary_operatorINS6_8equal_toIvEEEENSI_INSH_8argumentILj0EEEEENSH_5valueIdEEEEEEEEENSD_19counting_iterator_tIlEES8_S8_S8_S8_S8_S8_S8_S8_EEEEPS9_S9_NSD_9__find_if7functorIS9_EEEE10hipError_tPvRmT1_T2_T3_mT4_P12ihipStream_tbEUlT_E0_NS1_11comp_targetILNS1_3genE4ELNS1_11target_archE910ELNS1_3gpuE8ELNS1_3repE0EEENS1_30default_config_static_selectorELNS0_4arch9wavefront6targetE1EEEvS17_
	.p2align	8
	.type	_ZN7rocprim17ROCPRIM_400000_NS6detail17trampoline_kernelINS0_14default_configENS1_22reduce_config_selectorIN6thrust23THRUST_200600_302600_NS5tupleIblNS6_9null_typeES8_S8_S8_S8_S8_S8_S8_EEEEZNS1_11reduce_implILb1ES3_NS6_12zip_iteratorINS7_INS6_11hip_rocprim26transform_input_iterator_tIbPdNS6_6detail10functional5actorINSH_9compositeIJNSH_27transparent_binary_operatorINS6_8equal_toIvEEEENSI_INSH_8argumentILj0EEEEENSH_5valueIdEEEEEEEEENSD_19counting_iterator_tIlEES8_S8_S8_S8_S8_S8_S8_S8_EEEEPS9_S9_NSD_9__find_if7functorIS9_EEEE10hipError_tPvRmT1_T2_T3_mT4_P12ihipStream_tbEUlT_E0_NS1_11comp_targetILNS1_3genE4ELNS1_11target_archE910ELNS1_3gpuE8ELNS1_3repE0EEENS1_30default_config_static_selectorELNS0_4arch9wavefront6targetE1EEEvS17_,@function
_ZN7rocprim17ROCPRIM_400000_NS6detail17trampoline_kernelINS0_14default_configENS1_22reduce_config_selectorIN6thrust23THRUST_200600_302600_NS5tupleIblNS6_9null_typeES8_S8_S8_S8_S8_S8_S8_EEEEZNS1_11reduce_implILb1ES3_NS6_12zip_iteratorINS7_INS6_11hip_rocprim26transform_input_iterator_tIbPdNS6_6detail10functional5actorINSH_9compositeIJNSH_27transparent_binary_operatorINS6_8equal_toIvEEEENSI_INSH_8argumentILj0EEEEENSH_5valueIdEEEEEEEEENSD_19counting_iterator_tIlEES8_S8_S8_S8_S8_S8_S8_S8_EEEEPS9_S9_NSD_9__find_if7functorIS9_EEEE10hipError_tPvRmT1_T2_T3_mT4_P12ihipStream_tbEUlT_E0_NS1_11comp_targetILNS1_3genE4ELNS1_11target_archE910ELNS1_3gpuE8ELNS1_3repE0EEENS1_30default_config_static_selectorELNS0_4arch9wavefront6targetE1EEEvS17_: ; @_ZN7rocprim17ROCPRIM_400000_NS6detail17trampoline_kernelINS0_14default_configENS1_22reduce_config_selectorIN6thrust23THRUST_200600_302600_NS5tupleIblNS6_9null_typeES8_S8_S8_S8_S8_S8_S8_EEEEZNS1_11reduce_implILb1ES3_NS6_12zip_iteratorINS7_INS6_11hip_rocprim26transform_input_iterator_tIbPdNS6_6detail10functional5actorINSH_9compositeIJNSH_27transparent_binary_operatorINS6_8equal_toIvEEEENSI_INSH_8argumentILj0EEEEENSH_5valueIdEEEEEEEEENSD_19counting_iterator_tIlEES8_S8_S8_S8_S8_S8_S8_S8_EEEEPS9_S9_NSD_9__find_if7functorIS9_EEEE10hipError_tPvRmT1_T2_T3_mT4_P12ihipStream_tbEUlT_E0_NS1_11comp_targetILNS1_3genE4ELNS1_11target_archE910ELNS1_3gpuE8ELNS1_3repE0EEENS1_30default_config_static_selectorELNS0_4arch9wavefront6targetE1EEEvS17_
; %bb.0:
	s_load_dwordx8 s[8:15], s[4:5], 0x10
	s_load_dwordx2 s[0:1], s[4:5], 0x0
	s_load_dwordx2 s[2:3], s[4:5], 0x40
	s_load_dwordx4 s[16:19], s[4:5], 0x30
	s_mov_b32 s23, 0
	s_waitcnt lgkmcnt(0)
	s_lshl_b64 s[20:21], s[12:13], 3
	s_add_u32 s24, s0, s20
	s_addc_u32 s25, s1, s21
	s_lshl_b32 s22, s6, 9
	s_lshr_b64 s[0:1], s[14:15], 9
	s_lshl_b64 s[20:21], s[22:23], 3
	s_add_u32 s20, s24, s20
	s_addc_u32 s21, s25, s21
	s_add_u32 s10, s10, s22
	s_addc_u32 s11, s11, 0
	s_mov_b32 s7, s23
	s_add_u32 s23, s10, s12
	s_addc_u32 s13, s11, s13
	s_cmp_lg_u64 s[0:1], s[6:7]
	v_lshlrev_b32_e32 v1, 3, v0
	s_cbranch_scc0 .LBB1726_18
; %bb.1:
	global_load_dwordx2 v[2:3], v1, s[20:21] offset:2048
	global_load_dwordx2 v[4:5], v1, s[20:21]
	v_mov_b32_e32 v6, s13
	v_add_co_u32_e32 v7, vcc, s23, v0
	v_addc_co_u32_e32 v6, vcc, 0, v6, vcc
	v_add_co_u32_e32 v8, vcc, 0x100, v7
	v_addc_co_u32_e32 v9, vcc, 0, v6, vcc
	s_waitcnt vmcnt(1)
	v_cmp_eq_f64_e32 vcc, s[8:9], v[2:3]
	s_waitcnt vmcnt(0)
	v_cmp_eq_f64_e64 s[0:1], s[8:9], v[4:5]
	v_cndmask_b32_e64 v3, v9, v6, s[0:1]
	v_cndmask_b32_e64 v2, v8, v7, s[0:1]
	s_or_b64 s[0:1], s[0:1], vcc
	v_cndmask_b32_e64 v6, 0, 1, s[0:1]
	v_mov_b32_dpp v4, v2 quad_perm:[1,0,3,2] row_mask:0xf bank_mask:0xf bound_ctrl:1
	v_mov_b32_dpp v5, v3 quad_perm:[1,0,3,2] row_mask:0xf bank_mask:0xf bound_ctrl:1
	;; [unrolled: 1-line block ×3, first 2 shown]
	v_and_b32_e32 v8, 1, v7
	v_cmp_eq_u32_e32 vcc, 1, v8
	s_and_saveexec_b64 s[10:11], vcc
; %bb.2:
	v_cmp_lt_i64_e32 vcc, v[2:3], v[4:5]
	v_cndmask_b32_e64 v7, v7, 1, s[0:1]
	s_and_b64 vcc, s[0:1], vcc
	v_cndmask_b32_e32 v2, v4, v2, vcc
	v_and_b32_e32 v4, 1, v7
	v_cndmask_b32_e32 v3, v5, v3, vcc
	v_cmp_eq_u32_e32 vcc, 1, v4
	s_andn2_b64 s[0:1], s[0:1], exec
	s_and_b64 s[24:25], vcc, exec
	v_and_b32_e32 v6, 0xff, v7
	s_or_b64 s[0:1], s[0:1], s[24:25]
; %bb.3:
	s_or_b64 exec, exec, s[10:11]
	v_mov_b32_dpp v7, v6 quad_perm:[2,3,0,1] row_mask:0xf bank_mask:0xf bound_ctrl:1
	v_and_b32_e32 v8, 1, v7
	v_mov_b32_dpp v4, v2 quad_perm:[2,3,0,1] row_mask:0xf bank_mask:0xf bound_ctrl:1
	v_mov_b32_dpp v5, v3 quad_perm:[2,3,0,1] row_mask:0xf bank_mask:0xf bound_ctrl:1
	v_cmp_eq_u32_e32 vcc, 1, v8
	s_and_saveexec_b64 s[10:11], vcc
; %bb.4:
	v_cmp_lt_i64_e32 vcc, v[2:3], v[4:5]
	v_cndmask_b32_e64 v7, v7, 1, s[0:1]
	s_and_b64 vcc, s[0:1], vcc
	v_cndmask_b32_e32 v2, v4, v2, vcc
	v_and_b32_e32 v4, 1, v7
	v_cndmask_b32_e32 v3, v5, v3, vcc
	v_cmp_eq_u32_e32 vcc, 1, v4
	s_andn2_b64 s[0:1], s[0:1], exec
	s_and_b64 s[24:25], vcc, exec
	v_and_b32_e32 v6, 0xff, v7
	s_or_b64 s[0:1], s[0:1], s[24:25]
; %bb.5:
	s_or_b64 exec, exec, s[10:11]
	v_mov_b32_dpp v7, v6 row_ror:4 row_mask:0xf bank_mask:0xf bound_ctrl:1
	v_and_b32_e32 v8, 1, v7
	v_mov_b32_dpp v4, v2 row_ror:4 row_mask:0xf bank_mask:0xf bound_ctrl:1
	v_mov_b32_dpp v5, v3 row_ror:4 row_mask:0xf bank_mask:0xf bound_ctrl:1
	v_cmp_eq_u32_e32 vcc, 1, v8
	s_and_saveexec_b64 s[10:11], vcc
; %bb.6:
	v_cmp_lt_i64_e32 vcc, v[2:3], v[4:5]
	v_cndmask_b32_e64 v7, v7, 1, s[0:1]
	s_and_b64 vcc, s[0:1], vcc
	v_cndmask_b32_e32 v2, v4, v2, vcc
	v_and_b32_e32 v4, 1, v7
	v_cndmask_b32_e32 v3, v5, v3, vcc
	v_cmp_eq_u32_e32 vcc, 1, v4
	s_andn2_b64 s[0:1], s[0:1], exec
	s_and_b64 s[24:25], vcc, exec
	v_and_b32_e32 v6, 0xff, v7
	s_or_b64 s[0:1], s[0:1], s[24:25]
; %bb.7:
	s_or_b64 exec, exec, s[10:11]
	v_mov_b32_dpp v7, v6 row_ror:8 row_mask:0xf bank_mask:0xf bound_ctrl:1
	v_and_b32_e32 v8, 1, v7
	v_mov_b32_dpp v4, v2 row_ror:8 row_mask:0xf bank_mask:0xf bound_ctrl:1
	v_mov_b32_dpp v5, v3 row_ror:8 row_mask:0xf bank_mask:0xf bound_ctrl:1
	v_cmp_eq_u32_e32 vcc, 1, v8
	s_and_saveexec_b64 s[10:11], vcc
; %bb.8:
	v_cmp_lt_i64_e32 vcc, v[2:3], v[4:5]
	v_cndmask_b32_e64 v7, v7, 1, s[0:1]
	s_and_b64 vcc, s[0:1], vcc
	v_cndmask_b32_e32 v2, v4, v2, vcc
	v_and_b32_e32 v4, 1, v7
	v_cndmask_b32_e32 v3, v5, v3, vcc
	v_cmp_eq_u32_e32 vcc, 1, v4
	s_andn2_b64 s[0:1], s[0:1], exec
	s_and_b64 s[24:25], vcc, exec
	v_and_b32_e32 v6, 0xff, v7
	s_or_b64 s[0:1], s[0:1], s[24:25]
; %bb.9:
	s_or_b64 exec, exec, s[10:11]
	v_mov_b32_dpp v7, v6 row_bcast:15 row_mask:0xf bank_mask:0xf bound_ctrl:1
	v_and_b32_e32 v8, 1, v7
	v_mov_b32_dpp v4, v2 row_bcast:15 row_mask:0xf bank_mask:0xf bound_ctrl:1
	v_mov_b32_dpp v5, v3 row_bcast:15 row_mask:0xf bank_mask:0xf bound_ctrl:1
	v_cmp_eq_u32_e32 vcc, 1, v8
	s_and_saveexec_b64 s[10:11], vcc
; %bb.10:
	v_cmp_lt_i64_e32 vcc, v[2:3], v[4:5]
	v_cndmask_b32_e64 v7, v7, 1, s[0:1]
	s_and_b64 vcc, s[0:1], vcc
	v_cndmask_b32_e32 v2, v4, v2, vcc
	v_and_b32_e32 v4, 1, v7
	v_cndmask_b32_e32 v3, v5, v3, vcc
	v_cmp_eq_u32_e32 vcc, 1, v4
	s_andn2_b64 s[0:1], s[0:1], exec
	s_and_b64 s[24:25], vcc, exec
	v_and_b32_e32 v6, 0xff, v7
	s_or_b64 s[0:1], s[0:1], s[24:25]
; %bb.11:
	s_or_b64 exec, exec, s[10:11]
	v_mov_b32_dpp v7, v6 row_bcast:31 row_mask:0xf bank_mask:0xf bound_ctrl:1
	v_and_b32_e32 v8, 1, v7
	v_mov_b32_dpp v4, v2 row_bcast:31 row_mask:0xf bank_mask:0xf bound_ctrl:1
	v_mov_b32_dpp v5, v3 row_bcast:31 row_mask:0xf bank_mask:0xf bound_ctrl:1
	v_cmp_eq_u32_e32 vcc, 1, v8
	s_and_saveexec_b64 s[10:11], vcc
; %bb.12:
	v_cmp_lt_i64_e32 vcc, v[2:3], v[4:5]
	v_and_b32_e32 v6, 0xff, v7
	s_and_b64 vcc, s[0:1], vcc
	v_cndmask_b32_e32 v2, v4, v2, vcc
	v_cndmask_b32_e32 v3, v5, v3, vcc
	v_cndmask_b32_e64 v6, v6, 1, s[0:1]
; %bb.13:
	s_or_b64 exec, exec, s[10:11]
	v_mbcnt_lo_u32_b32 v4, -1, 0
	v_mbcnt_hi_u32_b32 v4, -1, v4
	v_bfrev_b32_e32 v5, 0.5
	v_lshl_or_b32 v5, v4, 2, v5
	ds_bpermute_b32 v6, v5, v6
	ds_bpermute_b32 v2, v5, v2
	;; [unrolled: 1-line block ×3, first 2 shown]
	v_cmp_eq_u32_e32 vcc, 0, v4
	s_and_saveexec_b64 s[0:1], vcc
	s_cbranch_execz .LBB1726_15
; %bb.14:
	v_lshrrev_b32_e32 v5, 2, v0
	v_and_b32_e32 v5, 48, v5
	s_waitcnt lgkmcnt(2)
	ds_write_b8 v5, v6
	s_waitcnt lgkmcnt(1)
	ds_write_b64 v5, v[2:3] offset:8
.LBB1726_15:
	s_or_b64 exec, exec, s[0:1]
	v_cmp_gt_u32_e32 vcc, 64, v0
	s_waitcnt lgkmcnt(0)
	s_barrier
	s_and_saveexec_b64 s[10:11], vcc
	s_cbranch_execz .LBB1726_17
; %bb.16:
	v_and_b32_e32 v5, 3, v4
	v_lshlrev_b32_e32 v2, 4, v5
	ds_read_u8 v8, v2
	ds_read_b64 v[2:3], v2 offset:8
	v_cmp_ne_u32_e32 vcc, 3, v5
	v_addc_co_u32_e32 v6, vcc, 0, v4, vcc
	s_waitcnt lgkmcnt(1)
	v_and_b32_e32 v7, 0xff, v8
	v_lshlrev_b32_e32 v9, 2, v6
	ds_bpermute_b32 v10, v9, v7
	s_waitcnt lgkmcnt(1)
	ds_bpermute_b32 v6, v9, v2
	ds_bpermute_b32 v7, v9, v3
	v_and_b32_e32 v9, 1, v8
	s_waitcnt lgkmcnt(2)
	v_and_b32_e32 v11, 1, v10
	v_cmp_eq_u32_e64 s[0:1], 1, v11
	s_waitcnt lgkmcnt(0)
	v_cmp_lt_i64_e32 vcc, v[6:7], v[2:3]
	s_and_b64 vcc, s[0:1], vcc
	v_cndmask_b32_e64 v8, v8, 1, s[0:1]
	v_cndmask_b32_e32 v2, v2, v6, vcc
	v_cndmask_b32_e32 v3, v3, v7, vcc
	v_cmp_eq_u32_e32 vcc, 1, v9
	v_cndmask_b32_e32 v8, v10, v8, vcc
	v_cndmask_b32_e32 v3, v7, v3, vcc
	;; [unrolled: 1-line block ×3, first 2 shown]
	v_cmp_gt_u32_e32 vcc, 2, v5
	v_cndmask_b32_e64 v5, 0, 1, vcc
	v_lshlrev_b32_e32 v5, 1, v5
	v_and_b32_e32 v6, 0xff, v8
	v_add_lshl_u32 v5, v5, v4, 2
	ds_bpermute_b32 v6, v5, v6
	ds_bpermute_b32 v4, v5, v2
	;; [unrolled: 1-line block ×3, first 2 shown]
	v_and_b32_e32 v7, 1, v8
	s_waitcnt lgkmcnt(2)
	v_and_b32_e32 v9, 1, v6
	v_cmp_eq_u32_e64 s[0:1], 1, v9
	s_waitcnt lgkmcnt(0)
	v_cmp_lt_i64_e32 vcc, v[4:5], v[2:3]
	s_and_b64 vcc, s[0:1], vcc
	v_cndmask_b32_e64 v8, v8, 1, s[0:1]
	v_cndmask_b32_e32 v2, v2, v4, vcc
	v_cndmask_b32_e32 v3, v3, v5, vcc
	v_cmp_eq_u32_e32 vcc, 1, v7
	v_cndmask_b32_e32 v6, v6, v8, vcc
	v_cndmask_b32_e32 v3, v5, v3, vcc
	;; [unrolled: 1-line block ×3, first 2 shown]
	v_and_b32_e32 v6, 0xff, v6
.LBB1726_17:
	s_or_b64 exec, exec, s[10:11]
	s_load_dword s12, s[4:5], 0x48
	s_load_dwordx2 s[10:11], s[4:5], 0x50
	s_branch .LBB1726_46
.LBB1726_18:
                                        ; implicit-def: $vgpr2_vgpr3
                                        ; implicit-def: $vgpr6
	s_load_dword s12, s[4:5], 0x48
	s_load_dwordx2 s[10:11], s[4:5], 0x50
	s_cbranch_execz .LBB1726_46
; %bb.19:
	s_sub_i32 s22, s14, s22
	v_pk_mov_b32 v[4:5], 0, 0
	v_cmp_gt_u32_e32 vcc, s22, v0
	v_mov_b32_e32 v6, 0
	v_pk_mov_b32 v[2:3], v[4:5], v[4:5] op_sel:[0,1]
	v_mov_b32_e32 v7, 0
	s_and_saveexec_b64 s[0:1], vcc
	s_cbranch_execz .LBB1726_21
; %bb.20:
	global_load_dwordx2 v[8:9], v1, s[20:21]
	v_mov_b32_e32 v3, s13
	v_add_co_u32_e32 v2, vcc, s23, v0
	v_addc_co_u32_e32 v3, vcc, 0, v3, vcc
	s_waitcnt vmcnt(0)
	v_cmp_eq_f64_e32 vcc, s[8:9], v[8:9]
	v_cndmask_b32_e64 v7, 0, 1, vcc
.LBB1726_21:
	s_or_b64 exec, exec, s[0:1]
	v_or_b32_e32 v8, 0x100, v0
	v_cmp_gt_u32_e32 vcc, s22, v8
	s_and_saveexec_b64 s[4:5], vcc
	s_cbranch_execz .LBB1726_23
; %bb.22:
	global_load_dwordx2 v[10:11], v1, s[20:21] offset:2048
	v_mov_b32_e32 v1, s13
	v_add_co_u32_e64 v4, s[0:1], s23, v8
	v_addc_co_u32_e64 v5, s[0:1], 0, v1, s[0:1]
	s_waitcnt vmcnt(0)
	v_cmp_eq_f64_e64 s[0:1], s[8:9], v[10:11]
	v_cndmask_b32_e64 v6, 0, 1, s[0:1]
.LBB1726_23:
	s_or_b64 exec, exec, s[4:5]
	s_and_saveexec_b64 s[4:5], vcc
	s_cbranch_execz .LBB1726_25
; %bb.24:
	v_and_b32_e32 v8, 1, v6
	v_cmp_lt_i64_e32 vcc, v[4:5], v[2:3]
	v_cmp_eq_u32_e64 s[0:1], 1, v8
	v_and_b32_e32 v1, 1, v7
	s_and_b64 vcc, s[0:1], vcc
	v_cndmask_b32_e64 v7, v7, 1, s[0:1]
	v_cndmask_b32_e32 v2, v2, v4, vcc
	v_cndmask_b32_e32 v3, v3, v5, vcc
	v_cmp_eq_u32_e32 vcc, 1, v1
	v_cndmask_b32_e32 v7, v6, v7, vcc
	v_cndmask_b32_e32 v3, v5, v3, vcc
	;; [unrolled: 1-line block ×3, first 2 shown]
.LBB1726_25:
	s_or_b64 exec, exec, s[4:5]
	v_mbcnt_lo_u32_b32 v1, -1, 0
	v_mbcnt_hi_u32_b32 v1, -1, v1
	v_and_b32_e32 v8, 63, v1
	v_cmp_ne_u32_e32 vcc, 63, v8
	v_addc_co_u32_e32 v4, vcc, 0, v1, vcc
	v_and_b32_e32 v6, 0xffff, v7
	v_lshlrev_b32_e32 v5, 2, v4
	ds_bpermute_b32 v10, v5, v6
	ds_bpermute_b32 v4, v5, v2
	;; [unrolled: 1-line block ×3, first 2 shown]
	s_min_u32 s8, s22, 0x100
	v_and_b32_e32 v9, 0xc0, v0
	v_sub_u32_e64 v9, s8, v9 clamp
	v_add_u32_e32 v11, 1, v8
	v_cmp_lt_u32_e32 vcc, v11, v9
	s_and_saveexec_b64 s[4:5], vcc
	s_cbranch_execz .LBB1726_27
; %bb.26:
	s_waitcnt lgkmcnt(0)
	v_and_b32_e32 v11, 1, v10
	v_cmp_lt_i64_e32 vcc, v[4:5], v[2:3]
	v_cmp_eq_u32_e64 s[0:1], 1, v11
	v_and_b32_e32 v6, 1, v7
	s_and_b64 vcc, s[0:1], vcc
	v_cndmask_b32_e64 v7, v7, 1, s[0:1]
	v_cndmask_b32_e32 v2, v2, v4, vcc
	v_cndmask_b32_e32 v3, v3, v5, vcc
	v_cmp_eq_u32_e32 vcc, 1, v6
	v_cndmask_b32_e32 v7, v10, v7, vcc
	v_cndmask_b32_e32 v3, v5, v3, vcc
	v_cndmask_b32_e32 v2, v4, v2, vcc
	v_and_b32_e32 v6, 0xff, v7
.LBB1726_27:
	s_or_b64 exec, exec, s[4:5]
	v_cmp_gt_u32_e32 vcc, 62, v8
	s_waitcnt lgkmcnt(0)
	v_cndmask_b32_e64 v4, 0, 1, vcc
	v_lshlrev_b32_e32 v4, 1, v4
	v_add_lshl_u32 v5, v4, v1, 2
	ds_bpermute_b32 v10, v5, v6
	ds_bpermute_b32 v4, v5, v2
	ds_bpermute_b32 v5, v5, v3
	v_add_u32_e32 v11, 2, v8
	v_cmp_lt_u32_e32 vcc, v11, v9
	s_and_saveexec_b64 s[4:5], vcc
	s_cbranch_execz .LBB1726_29
; %bb.28:
	s_waitcnt lgkmcnt(2)
	v_and_b32_e32 v11, 1, v10
	s_waitcnt lgkmcnt(0)
	v_cmp_lt_i64_e32 vcc, v[4:5], v[2:3]
	v_cmp_eq_u32_e64 s[0:1], 1, v11
	v_and_b32_e32 v6, 1, v7
	s_and_b64 vcc, s[0:1], vcc
	v_cndmask_b32_e64 v7, v7, 1, s[0:1]
	v_cndmask_b32_e32 v2, v2, v4, vcc
	v_cndmask_b32_e32 v3, v3, v5, vcc
	v_cmp_eq_u32_e32 vcc, 1, v6
	v_cndmask_b32_e32 v7, v10, v7, vcc
	v_cndmask_b32_e32 v3, v5, v3, vcc
	v_cndmask_b32_e32 v2, v4, v2, vcc
	v_and_b32_e32 v6, 0xff, v7
.LBB1726_29:
	s_or_b64 exec, exec, s[4:5]
	v_cmp_gt_u32_e32 vcc, 60, v8
	s_waitcnt lgkmcnt(1)
	v_cndmask_b32_e64 v4, 0, 1, vcc
	v_lshlrev_b32_e32 v4, 2, v4
	s_waitcnt lgkmcnt(0)
	v_add_lshl_u32 v5, v4, v1, 2
	ds_bpermute_b32 v10, v5, v6
	ds_bpermute_b32 v4, v5, v2
	ds_bpermute_b32 v5, v5, v3
	v_add_u32_e32 v11, 4, v8
	v_cmp_lt_u32_e32 vcc, v11, v9
	s_and_saveexec_b64 s[4:5], vcc
	s_cbranch_execz .LBB1726_31
; %bb.30:
	s_waitcnt lgkmcnt(2)
	v_and_b32_e32 v11, 1, v10
	s_waitcnt lgkmcnt(0)
	v_cmp_lt_i64_e32 vcc, v[4:5], v[2:3]
	v_cmp_eq_u32_e64 s[0:1], 1, v11
	v_and_b32_e32 v6, 1, v7
	s_and_b64 vcc, s[0:1], vcc
	v_cndmask_b32_e64 v7, v7, 1, s[0:1]
	v_cndmask_b32_e32 v2, v2, v4, vcc
	v_cndmask_b32_e32 v3, v3, v5, vcc
	v_cmp_eq_u32_e32 vcc, 1, v6
	v_cndmask_b32_e32 v7, v10, v7, vcc
	v_cndmask_b32_e32 v3, v5, v3, vcc
	v_cndmask_b32_e32 v2, v4, v2, vcc
	v_and_b32_e32 v6, 0xff, v7
.LBB1726_31:
	s_or_b64 exec, exec, s[4:5]
	v_cmp_gt_u32_e32 vcc, 56, v8
	s_waitcnt lgkmcnt(1)
	v_cndmask_b32_e64 v4, 0, 1, vcc
	v_lshlrev_b32_e32 v4, 3, v4
	s_waitcnt lgkmcnt(0)
	;; [unrolled: 31-line block ×4, first 2 shown]
	v_add_lshl_u32 v5, v4, v1, 2
	ds_bpermute_b32 v10, v5, v6
	ds_bpermute_b32 v4, v5, v2
	;; [unrolled: 1-line block ×3, first 2 shown]
	v_add_u32_e32 v8, 32, v8
	v_cmp_lt_u32_e32 vcc, v8, v9
	s_and_saveexec_b64 s[4:5], vcc
	s_cbranch_execz .LBB1726_37
; %bb.36:
	s_waitcnt lgkmcnt(2)
	v_and_b32_e32 v8, 1, v10
	s_waitcnt lgkmcnt(0)
	v_cmp_lt_i64_e32 vcc, v[4:5], v[2:3]
	v_cmp_eq_u32_e64 s[0:1], 1, v8
	v_and_b32_e32 v6, 1, v7
	s_and_b64 vcc, s[0:1], vcc
	v_cndmask_b32_e64 v7, v7, 1, s[0:1]
	v_cndmask_b32_e32 v2, v2, v4, vcc
	v_cndmask_b32_e32 v3, v3, v5, vcc
	v_cmp_eq_u32_e32 vcc, 1, v6
	v_cndmask_b32_e32 v7, v10, v7, vcc
	v_cndmask_b32_e32 v3, v5, v3, vcc
	;; [unrolled: 1-line block ×3, first 2 shown]
	v_and_b32_e32 v6, 0xff, v7
.LBB1726_37:
	s_or_b64 exec, exec, s[4:5]
	v_cmp_eq_u32_e32 vcc, 0, v1
	s_and_saveexec_b64 s[0:1], vcc
	s_cbranch_execz .LBB1726_39
; %bb.38:
	s_waitcnt lgkmcnt(1)
	v_lshrrev_b32_e32 v4, 2, v0
	v_and_b32_e32 v4, 48, v4
	ds_write_b8 v4, v7 offset:64
	ds_write_b64 v4, v[2:3] offset:72
.LBB1726_39:
	s_or_b64 exec, exec, s[0:1]
	v_cmp_gt_u32_e32 vcc, 4, v0
	s_waitcnt lgkmcnt(0)
	s_barrier
	s_and_saveexec_b64 s[4:5], vcc
	s_cbranch_execz .LBB1726_45
; %bb.40:
	v_lshlrev_b32_e32 v2, 4, v1
	ds_read_u8 v7, v2 offset:64
	ds_read_b64 v[2:3], v2 offset:72
	v_and_b32_e32 v8, 3, v1
	v_cmp_ne_u32_e32 vcc, 3, v8
	v_addc_co_u32_e32 v4, vcc, 0, v1, vcc
	s_waitcnt lgkmcnt(1)
	v_and_b32_e32 v6, 0xff, v7
	v_lshlrev_b32_e32 v5, 2, v4
	ds_bpermute_b32 v9, v5, v6
	s_waitcnt lgkmcnt(1)
	ds_bpermute_b32 v4, v5, v2
	ds_bpermute_b32 v5, v5, v3
	s_add_i32 s8, s8, 63
	s_lshr_b32 s13, s8, 6
	v_add_u32_e32 v10, 1, v8
	v_cmp_gt_u32_e32 vcc, s13, v10
	s_and_saveexec_b64 s[8:9], vcc
	s_cbranch_execz .LBB1726_42
; %bb.41:
	s_waitcnt lgkmcnt(2)
	v_and_b32_e32 v10, 1, v9
	s_waitcnt lgkmcnt(0)
	v_cmp_lt_i64_e32 vcc, v[4:5], v[2:3]
	v_cmp_eq_u32_e64 s[0:1], 1, v10
	v_and_b32_e32 v6, 1, v7
	s_and_b64 vcc, s[0:1], vcc
	v_cndmask_b32_e64 v7, v7, 1, s[0:1]
	v_cndmask_b32_e32 v2, v2, v4, vcc
	v_cndmask_b32_e32 v3, v3, v5, vcc
	v_cmp_eq_u32_e32 vcc, 1, v6
	v_cndmask_b32_e32 v7, v9, v7, vcc
	v_cndmask_b32_e32 v3, v5, v3, vcc
	;; [unrolled: 1-line block ×3, first 2 shown]
	v_and_b32_e32 v6, 0xff, v7
.LBB1726_42:
	s_or_b64 exec, exec, s[8:9]
	v_cmp_gt_u32_e32 vcc, 2, v8
	s_waitcnt lgkmcnt(1)
	v_cndmask_b32_e64 v4, 0, 1, vcc
	v_lshlrev_b32_e32 v4, 1, v4
	s_waitcnt lgkmcnt(0)
	v_add_lshl_u32 v5, v4, v1, 2
	ds_bpermute_b32 v1, v5, v6
	ds_bpermute_b32 v4, v5, v2
	;; [unrolled: 1-line block ×3, first 2 shown]
	v_add_u32_e32 v8, 2, v8
	v_cmp_gt_u32_e32 vcc, s13, v8
	s_and_saveexec_b64 s[8:9], vcc
	s_cbranch_execz .LBB1726_44
; %bb.43:
	s_waitcnt lgkmcnt(2)
	v_and_b32_e32 v8, 1, v1
	s_waitcnt lgkmcnt(0)
	v_cmp_lt_i64_e32 vcc, v[4:5], v[2:3]
	v_cmp_eq_u32_e64 s[0:1], 1, v8
	v_and_b32_e32 v6, 1, v7
	s_and_b64 vcc, s[0:1], vcc
	v_cndmask_b32_e64 v7, v7, 1, s[0:1]
	v_cndmask_b32_e32 v2, v2, v4, vcc
	v_cndmask_b32_e32 v3, v3, v5, vcc
	v_cmp_eq_u32_e32 vcc, 1, v6
	v_cndmask_b32_e32 v1, v1, v7, vcc
	v_cndmask_b32_e32 v3, v5, v3, vcc
	;; [unrolled: 1-line block ×3, first 2 shown]
	v_and_b32_e32 v6, 0xff, v1
.LBB1726_44:
	s_or_b64 exec, exec, s[8:9]
.LBB1726_45:
	s_or_b64 exec, exec, s[4:5]
.LBB1726_46:
	v_cmp_eq_u32_e32 vcc, 0, v0
	s_and_saveexec_b64 s[0:1], vcc
	s_cbranch_execnz .LBB1726_48
; %bb.47:
	s_endpgm
.LBB1726_48:
	s_mul_i32 s0, s2, s19
	s_mul_hi_u32 s1, s2, s18
	s_add_i32 s0, s1, s0
	s_mul_i32 s1, s3, s18
	s_add_i32 s1, s0, s1
	s_mul_i32 s0, s2, s18
	s_lshl_b64 s[0:1], s[0:1], 4
	s_add_u32 s2, s16, s0
	s_addc_u32 s3, s17, s1
	s_cmp_eq_u64 s[14:15], 0
	s_waitcnt lgkmcnt(0)
	v_mov_b32_e32 v0, s11
	s_cselect_b64 vcc, -1, 0
	v_cndmask_b32_e32 v1, v3, v0, vcc
	v_mov_b32_e32 v0, s10
	s_lshl_b64 s[0:1], s[6:7], 4
	v_cndmask_b32_e32 v0, v2, v0, vcc
	v_mov_b32_e32 v2, s12
	s_add_u32 s0, s2, s0
	v_cndmask_b32_e32 v2, v6, v2, vcc
	s_addc_u32 s1, s3, s1
	v_mov_b32_e32 v3, 0
	global_store_byte v3, v2, s[0:1]
	global_store_dwordx2 v3, v[0:1], s[0:1] offset:8
	s_endpgm
	.section	.rodata,"a",@progbits
	.p2align	6, 0x0
	.amdhsa_kernel _ZN7rocprim17ROCPRIM_400000_NS6detail17trampoline_kernelINS0_14default_configENS1_22reduce_config_selectorIN6thrust23THRUST_200600_302600_NS5tupleIblNS6_9null_typeES8_S8_S8_S8_S8_S8_S8_EEEEZNS1_11reduce_implILb1ES3_NS6_12zip_iteratorINS7_INS6_11hip_rocprim26transform_input_iterator_tIbPdNS6_6detail10functional5actorINSH_9compositeIJNSH_27transparent_binary_operatorINS6_8equal_toIvEEEENSI_INSH_8argumentILj0EEEEENSH_5valueIdEEEEEEEEENSD_19counting_iterator_tIlEES8_S8_S8_S8_S8_S8_S8_S8_EEEEPS9_S9_NSD_9__find_if7functorIS9_EEEE10hipError_tPvRmT1_T2_T3_mT4_P12ihipStream_tbEUlT_E0_NS1_11comp_targetILNS1_3genE4ELNS1_11target_archE910ELNS1_3gpuE8ELNS1_3repE0EEENS1_30default_config_static_selectorELNS0_4arch9wavefront6targetE1EEEvS17_
		.amdhsa_group_segment_fixed_size 128
		.amdhsa_private_segment_fixed_size 0
		.amdhsa_kernarg_size 96
		.amdhsa_user_sgpr_count 6
		.amdhsa_user_sgpr_private_segment_buffer 1
		.amdhsa_user_sgpr_dispatch_ptr 0
		.amdhsa_user_sgpr_queue_ptr 0
		.amdhsa_user_sgpr_kernarg_segment_ptr 1
		.amdhsa_user_sgpr_dispatch_id 0
		.amdhsa_user_sgpr_flat_scratch_init 0
		.amdhsa_user_sgpr_kernarg_preload_length 0
		.amdhsa_user_sgpr_kernarg_preload_offset 0
		.amdhsa_user_sgpr_private_segment_size 0
		.amdhsa_uses_dynamic_stack 0
		.amdhsa_system_sgpr_private_segment_wavefront_offset 0
		.amdhsa_system_sgpr_workgroup_id_x 1
		.amdhsa_system_sgpr_workgroup_id_y 0
		.amdhsa_system_sgpr_workgroup_id_z 0
		.amdhsa_system_sgpr_workgroup_info 0
		.amdhsa_system_vgpr_workitem_id 0
		.amdhsa_next_free_vgpr 12
		.amdhsa_next_free_sgpr 26
		.amdhsa_accum_offset 12
		.amdhsa_reserve_vcc 1
		.amdhsa_reserve_flat_scratch 0
		.amdhsa_float_round_mode_32 0
		.amdhsa_float_round_mode_16_64 0
		.amdhsa_float_denorm_mode_32 3
		.amdhsa_float_denorm_mode_16_64 3
		.amdhsa_dx10_clamp 1
		.amdhsa_ieee_mode 1
		.amdhsa_fp16_overflow 0
		.amdhsa_tg_split 0
		.amdhsa_exception_fp_ieee_invalid_op 0
		.amdhsa_exception_fp_denorm_src 0
		.amdhsa_exception_fp_ieee_div_zero 0
		.amdhsa_exception_fp_ieee_overflow 0
		.amdhsa_exception_fp_ieee_underflow 0
		.amdhsa_exception_fp_ieee_inexact 0
		.amdhsa_exception_int_div_zero 0
	.end_amdhsa_kernel
	.section	.text._ZN7rocprim17ROCPRIM_400000_NS6detail17trampoline_kernelINS0_14default_configENS1_22reduce_config_selectorIN6thrust23THRUST_200600_302600_NS5tupleIblNS6_9null_typeES8_S8_S8_S8_S8_S8_S8_EEEEZNS1_11reduce_implILb1ES3_NS6_12zip_iteratorINS7_INS6_11hip_rocprim26transform_input_iterator_tIbPdNS6_6detail10functional5actorINSH_9compositeIJNSH_27transparent_binary_operatorINS6_8equal_toIvEEEENSI_INSH_8argumentILj0EEEEENSH_5valueIdEEEEEEEEENSD_19counting_iterator_tIlEES8_S8_S8_S8_S8_S8_S8_S8_EEEEPS9_S9_NSD_9__find_if7functorIS9_EEEE10hipError_tPvRmT1_T2_T3_mT4_P12ihipStream_tbEUlT_E0_NS1_11comp_targetILNS1_3genE4ELNS1_11target_archE910ELNS1_3gpuE8ELNS1_3repE0EEENS1_30default_config_static_selectorELNS0_4arch9wavefront6targetE1EEEvS17_,"axG",@progbits,_ZN7rocprim17ROCPRIM_400000_NS6detail17trampoline_kernelINS0_14default_configENS1_22reduce_config_selectorIN6thrust23THRUST_200600_302600_NS5tupleIblNS6_9null_typeES8_S8_S8_S8_S8_S8_S8_EEEEZNS1_11reduce_implILb1ES3_NS6_12zip_iteratorINS7_INS6_11hip_rocprim26transform_input_iterator_tIbPdNS6_6detail10functional5actorINSH_9compositeIJNSH_27transparent_binary_operatorINS6_8equal_toIvEEEENSI_INSH_8argumentILj0EEEEENSH_5valueIdEEEEEEEEENSD_19counting_iterator_tIlEES8_S8_S8_S8_S8_S8_S8_S8_EEEEPS9_S9_NSD_9__find_if7functorIS9_EEEE10hipError_tPvRmT1_T2_T3_mT4_P12ihipStream_tbEUlT_E0_NS1_11comp_targetILNS1_3genE4ELNS1_11target_archE910ELNS1_3gpuE8ELNS1_3repE0EEENS1_30default_config_static_selectorELNS0_4arch9wavefront6targetE1EEEvS17_,comdat
.Lfunc_end1726:
	.size	_ZN7rocprim17ROCPRIM_400000_NS6detail17trampoline_kernelINS0_14default_configENS1_22reduce_config_selectorIN6thrust23THRUST_200600_302600_NS5tupleIblNS6_9null_typeES8_S8_S8_S8_S8_S8_S8_EEEEZNS1_11reduce_implILb1ES3_NS6_12zip_iteratorINS7_INS6_11hip_rocprim26transform_input_iterator_tIbPdNS6_6detail10functional5actorINSH_9compositeIJNSH_27transparent_binary_operatorINS6_8equal_toIvEEEENSI_INSH_8argumentILj0EEEEENSH_5valueIdEEEEEEEEENSD_19counting_iterator_tIlEES8_S8_S8_S8_S8_S8_S8_S8_EEEEPS9_S9_NSD_9__find_if7functorIS9_EEEE10hipError_tPvRmT1_T2_T3_mT4_P12ihipStream_tbEUlT_E0_NS1_11comp_targetILNS1_3genE4ELNS1_11target_archE910ELNS1_3gpuE8ELNS1_3repE0EEENS1_30default_config_static_selectorELNS0_4arch9wavefront6targetE1EEEvS17_, .Lfunc_end1726-_ZN7rocprim17ROCPRIM_400000_NS6detail17trampoline_kernelINS0_14default_configENS1_22reduce_config_selectorIN6thrust23THRUST_200600_302600_NS5tupleIblNS6_9null_typeES8_S8_S8_S8_S8_S8_S8_EEEEZNS1_11reduce_implILb1ES3_NS6_12zip_iteratorINS7_INS6_11hip_rocprim26transform_input_iterator_tIbPdNS6_6detail10functional5actorINSH_9compositeIJNSH_27transparent_binary_operatorINS6_8equal_toIvEEEENSI_INSH_8argumentILj0EEEEENSH_5valueIdEEEEEEEEENSD_19counting_iterator_tIlEES8_S8_S8_S8_S8_S8_S8_S8_EEEEPS9_S9_NSD_9__find_if7functorIS9_EEEE10hipError_tPvRmT1_T2_T3_mT4_P12ihipStream_tbEUlT_E0_NS1_11comp_targetILNS1_3genE4ELNS1_11target_archE910ELNS1_3gpuE8ELNS1_3repE0EEENS1_30default_config_static_selectorELNS0_4arch9wavefront6targetE1EEEvS17_
                                        ; -- End function
	.section	.AMDGPU.csdata,"",@progbits
; Kernel info:
; codeLenInByte = 2804
; NumSgprs: 30
; NumVgprs: 12
; NumAgprs: 0
; TotalNumVgprs: 12
; ScratchSize: 0
; MemoryBound: 0
; FloatMode: 240
; IeeeMode: 1
; LDSByteSize: 128 bytes/workgroup (compile time only)
; SGPRBlocks: 3
; VGPRBlocks: 1
; NumSGPRsForWavesPerEU: 30
; NumVGPRsForWavesPerEU: 12
; AccumOffset: 12
; Occupancy: 8
; WaveLimiterHint : 1
; COMPUTE_PGM_RSRC2:SCRATCH_EN: 0
; COMPUTE_PGM_RSRC2:USER_SGPR: 6
; COMPUTE_PGM_RSRC2:TRAP_HANDLER: 0
; COMPUTE_PGM_RSRC2:TGID_X_EN: 1
; COMPUTE_PGM_RSRC2:TGID_Y_EN: 0
; COMPUTE_PGM_RSRC2:TGID_Z_EN: 0
; COMPUTE_PGM_RSRC2:TIDIG_COMP_CNT: 0
; COMPUTE_PGM_RSRC3_GFX90A:ACCUM_OFFSET: 2
; COMPUTE_PGM_RSRC3_GFX90A:TG_SPLIT: 0
	.section	.text._ZN7rocprim17ROCPRIM_400000_NS6detail17trampoline_kernelINS0_14default_configENS1_22reduce_config_selectorIN6thrust23THRUST_200600_302600_NS5tupleIblNS6_9null_typeES8_S8_S8_S8_S8_S8_S8_EEEEZNS1_11reduce_implILb1ES3_NS6_12zip_iteratorINS7_INS6_11hip_rocprim26transform_input_iterator_tIbPdNS6_6detail10functional5actorINSH_9compositeIJNSH_27transparent_binary_operatorINS6_8equal_toIvEEEENSI_INSH_8argumentILj0EEEEENSH_5valueIdEEEEEEEEENSD_19counting_iterator_tIlEES8_S8_S8_S8_S8_S8_S8_S8_EEEEPS9_S9_NSD_9__find_if7functorIS9_EEEE10hipError_tPvRmT1_T2_T3_mT4_P12ihipStream_tbEUlT_E0_NS1_11comp_targetILNS1_3genE3ELNS1_11target_archE908ELNS1_3gpuE7ELNS1_3repE0EEENS1_30default_config_static_selectorELNS0_4arch9wavefront6targetE1EEEvS17_,"axG",@progbits,_ZN7rocprim17ROCPRIM_400000_NS6detail17trampoline_kernelINS0_14default_configENS1_22reduce_config_selectorIN6thrust23THRUST_200600_302600_NS5tupleIblNS6_9null_typeES8_S8_S8_S8_S8_S8_S8_EEEEZNS1_11reduce_implILb1ES3_NS6_12zip_iteratorINS7_INS6_11hip_rocprim26transform_input_iterator_tIbPdNS6_6detail10functional5actorINSH_9compositeIJNSH_27transparent_binary_operatorINS6_8equal_toIvEEEENSI_INSH_8argumentILj0EEEEENSH_5valueIdEEEEEEEEENSD_19counting_iterator_tIlEES8_S8_S8_S8_S8_S8_S8_S8_EEEEPS9_S9_NSD_9__find_if7functorIS9_EEEE10hipError_tPvRmT1_T2_T3_mT4_P12ihipStream_tbEUlT_E0_NS1_11comp_targetILNS1_3genE3ELNS1_11target_archE908ELNS1_3gpuE7ELNS1_3repE0EEENS1_30default_config_static_selectorELNS0_4arch9wavefront6targetE1EEEvS17_,comdat
	.protected	_ZN7rocprim17ROCPRIM_400000_NS6detail17trampoline_kernelINS0_14default_configENS1_22reduce_config_selectorIN6thrust23THRUST_200600_302600_NS5tupleIblNS6_9null_typeES8_S8_S8_S8_S8_S8_S8_EEEEZNS1_11reduce_implILb1ES3_NS6_12zip_iteratorINS7_INS6_11hip_rocprim26transform_input_iterator_tIbPdNS6_6detail10functional5actorINSH_9compositeIJNSH_27transparent_binary_operatorINS6_8equal_toIvEEEENSI_INSH_8argumentILj0EEEEENSH_5valueIdEEEEEEEEENSD_19counting_iterator_tIlEES8_S8_S8_S8_S8_S8_S8_S8_EEEEPS9_S9_NSD_9__find_if7functorIS9_EEEE10hipError_tPvRmT1_T2_T3_mT4_P12ihipStream_tbEUlT_E0_NS1_11comp_targetILNS1_3genE3ELNS1_11target_archE908ELNS1_3gpuE7ELNS1_3repE0EEENS1_30default_config_static_selectorELNS0_4arch9wavefront6targetE1EEEvS17_ ; -- Begin function _ZN7rocprim17ROCPRIM_400000_NS6detail17trampoline_kernelINS0_14default_configENS1_22reduce_config_selectorIN6thrust23THRUST_200600_302600_NS5tupleIblNS6_9null_typeES8_S8_S8_S8_S8_S8_S8_EEEEZNS1_11reduce_implILb1ES3_NS6_12zip_iteratorINS7_INS6_11hip_rocprim26transform_input_iterator_tIbPdNS6_6detail10functional5actorINSH_9compositeIJNSH_27transparent_binary_operatorINS6_8equal_toIvEEEENSI_INSH_8argumentILj0EEEEENSH_5valueIdEEEEEEEEENSD_19counting_iterator_tIlEES8_S8_S8_S8_S8_S8_S8_S8_EEEEPS9_S9_NSD_9__find_if7functorIS9_EEEE10hipError_tPvRmT1_T2_T3_mT4_P12ihipStream_tbEUlT_E0_NS1_11comp_targetILNS1_3genE3ELNS1_11target_archE908ELNS1_3gpuE7ELNS1_3repE0EEENS1_30default_config_static_selectorELNS0_4arch9wavefront6targetE1EEEvS17_
	.globl	_ZN7rocprim17ROCPRIM_400000_NS6detail17trampoline_kernelINS0_14default_configENS1_22reduce_config_selectorIN6thrust23THRUST_200600_302600_NS5tupleIblNS6_9null_typeES8_S8_S8_S8_S8_S8_S8_EEEEZNS1_11reduce_implILb1ES3_NS6_12zip_iteratorINS7_INS6_11hip_rocprim26transform_input_iterator_tIbPdNS6_6detail10functional5actorINSH_9compositeIJNSH_27transparent_binary_operatorINS6_8equal_toIvEEEENSI_INSH_8argumentILj0EEEEENSH_5valueIdEEEEEEEEENSD_19counting_iterator_tIlEES8_S8_S8_S8_S8_S8_S8_S8_EEEEPS9_S9_NSD_9__find_if7functorIS9_EEEE10hipError_tPvRmT1_T2_T3_mT4_P12ihipStream_tbEUlT_E0_NS1_11comp_targetILNS1_3genE3ELNS1_11target_archE908ELNS1_3gpuE7ELNS1_3repE0EEENS1_30default_config_static_selectorELNS0_4arch9wavefront6targetE1EEEvS17_
	.p2align	8
	.type	_ZN7rocprim17ROCPRIM_400000_NS6detail17trampoline_kernelINS0_14default_configENS1_22reduce_config_selectorIN6thrust23THRUST_200600_302600_NS5tupleIblNS6_9null_typeES8_S8_S8_S8_S8_S8_S8_EEEEZNS1_11reduce_implILb1ES3_NS6_12zip_iteratorINS7_INS6_11hip_rocprim26transform_input_iterator_tIbPdNS6_6detail10functional5actorINSH_9compositeIJNSH_27transparent_binary_operatorINS6_8equal_toIvEEEENSI_INSH_8argumentILj0EEEEENSH_5valueIdEEEEEEEEENSD_19counting_iterator_tIlEES8_S8_S8_S8_S8_S8_S8_S8_EEEEPS9_S9_NSD_9__find_if7functorIS9_EEEE10hipError_tPvRmT1_T2_T3_mT4_P12ihipStream_tbEUlT_E0_NS1_11comp_targetILNS1_3genE3ELNS1_11target_archE908ELNS1_3gpuE7ELNS1_3repE0EEENS1_30default_config_static_selectorELNS0_4arch9wavefront6targetE1EEEvS17_,@function
_ZN7rocprim17ROCPRIM_400000_NS6detail17trampoline_kernelINS0_14default_configENS1_22reduce_config_selectorIN6thrust23THRUST_200600_302600_NS5tupleIblNS6_9null_typeES8_S8_S8_S8_S8_S8_S8_EEEEZNS1_11reduce_implILb1ES3_NS6_12zip_iteratorINS7_INS6_11hip_rocprim26transform_input_iterator_tIbPdNS6_6detail10functional5actorINSH_9compositeIJNSH_27transparent_binary_operatorINS6_8equal_toIvEEEENSI_INSH_8argumentILj0EEEEENSH_5valueIdEEEEEEEEENSD_19counting_iterator_tIlEES8_S8_S8_S8_S8_S8_S8_S8_EEEEPS9_S9_NSD_9__find_if7functorIS9_EEEE10hipError_tPvRmT1_T2_T3_mT4_P12ihipStream_tbEUlT_E0_NS1_11comp_targetILNS1_3genE3ELNS1_11target_archE908ELNS1_3gpuE7ELNS1_3repE0EEENS1_30default_config_static_selectorELNS0_4arch9wavefront6targetE1EEEvS17_: ; @_ZN7rocprim17ROCPRIM_400000_NS6detail17trampoline_kernelINS0_14default_configENS1_22reduce_config_selectorIN6thrust23THRUST_200600_302600_NS5tupleIblNS6_9null_typeES8_S8_S8_S8_S8_S8_S8_EEEEZNS1_11reduce_implILb1ES3_NS6_12zip_iteratorINS7_INS6_11hip_rocprim26transform_input_iterator_tIbPdNS6_6detail10functional5actorINSH_9compositeIJNSH_27transparent_binary_operatorINS6_8equal_toIvEEEENSI_INSH_8argumentILj0EEEEENSH_5valueIdEEEEEEEEENSD_19counting_iterator_tIlEES8_S8_S8_S8_S8_S8_S8_S8_EEEEPS9_S9_NSD_9__find_if7functorIS9_EEEE10hipError_tPvRmT1_T2_T3_mT4_P12ihipStream_tbEUlT_E0_NS1_11comp_targetILNS1_3genE3ELNS1_11target_archE908ELNS1_3gpuE7ELNS1_3repE0EEENS1_30default_config_static_selectorELNS0_4arch9wavefront6targetE1EEEvS17_
; %bb.0:
	.section	.rodata,"a",@progbits
	.p2align	6, 0x0
	.amdhsa_kernel _ZN7rocprim17ROCPRIM_400000_NS6detail17trampoline_kernelINS0_14default_configENS1_22reduce_config_selectorIN6thrust23THRUST_200600_302600_NS5tupleIblNS6_9null_typeES8_S8_S8_S8_S8_S8_S8_EEEEZNS1_11reduce_implILb1ES3_NS6_12zip_iteratorINS7_INS6_11hip_rocprim26transform_input_iterator_tIbPdNS6_6detail10functional5actorINSH_9compositeIJNSH_27transparent_binary_operatorINS6_8equal_toIvEEEENSI_INSH_8argumentILj0EEEEENSH_5valueIdEEEEEEEEENSD_19counting_iterator_tIlEES8_S8_S8_S8_S8_S8_S8_S8_EEEEPS9_S9_NSD_9__find_if7functorIS9_EEEE10hipError_tPvRmT1_T2_T3_mT4_P12ihipStream_tbEUlT_E0_NS1_11comp_targetILNS1_3genE3ELNS1_11target_archE908ELNS1_3gpuE7ELNS1_3repE0EEENS1_30default_config_static_selectorELNS0_4arch9wavefront6targetE1EEEvS17_
		.amdhsa_group_segment_fixed_size 0
		.amdhsa_private_segment_fixed_size 0
		.amdhsa_kernarg_size 96
		.amdhsa_user_sgpr_count 6
		.amdhsa_user_sgpr_private_segment_buffer 1
		.amdhsa_user_sgpr_dispatch_ptr 0
		.amdhsa_user_sgpr_queue_ptr 0
		.amdhsa_user_sgpr_kernarg_segment_ptr 1
		.amdhsa_user_sgpr_dispatch_id 0
		.amdhsa_user_sgpr_flat_scratch_init 0
		.amdhsa_user_sgpr_kernarg_preload_length 0
		.amdhsa_user_sgpr_kernarg_preload_offset 0
		.amdhsa_user_sgpr_private_segment_size 0
		.amdhsa_uses_dynamic_stack 0
		.amdhsa_system_sgpr_private_segment_wavefront_offset 0
		.amdhsa_system_sgpr_workgroup_id_x 1
		.amdhsa_system_sgpr_workgroup_id_y 0
		.amdhsa_system_sgpr_workgroup_id_z 0
		.amdhsa_system_sgpr_workgroup_info 0
		.amdhsa_system_vgpr_workitem_id 0
		.amdhsa_next_free_vgpr 1
		.amdhsa_next_free_sgpr 0
		.amdhsa_accum_offset 4
		.amdhsa_reserve_vcc 0
		.amdhsa_reserve_flat_scratch 0
		.amdhsa_float_round_mode_32 0
		.amdhsa_float_round_mode_16_64 0
		.amdhsa_float_denorm_mode_32 3
		.amdhsa_float_denorm_mode_16_64 3
		.amdhsa_dx10_clamp 1
		.amdhsa_ieee_mode 1
		.amdhsa_fp16_overflow 0
		.amdhsa_tg_split 0
		.amdhsa_exception_fp_ieee_invalid_op 0
		.amdhsa_exception_fp_denorm_src 0
		.amdhsa_exception_fp_ieee_div_zero 0
		.amdhsa_exception_fp_ieee_overflow 0
		.amdhsa_exception_fp_ieee_underflow 0
		.amdhsa_exception_fp_ieee_inexact 0
		.amdhsa_exception_int_div_zero 0
	.end_amdhsa_kernel
	.section	.text._ZN7rocprim17ROCPRIM_400000_NS6detail17trampoline_kernelINS0_14default_configENS1_22reduce_config_selectorIN6thrust23THRUST_200600_302600_NS5tupleIblNS6_9null_typeES8_S8_S8_S8_S8_S8_S8_EEEEZNS1_11reduce_implILb1ES3_NS6_12zip_iteratorINS7_INS6_11hip_rocprim26transform_input_iterator_tIbPdNS6_6detail10functional5actorINSH_9compositeIJNSH_27transparent_binary_operatorINS6_8equal_toIvEEEENSI_INSH_8argumentILj0EEEEENSH_5valueIdEEEEEEEEENSD_19counting_iterator_tIlEES8_S8_S8_S8_S8_S8_S8_S8_EEEEPS9_S9_NSD_9__find_if7functorIS9_EEEE10hipError_tPvRmT1_T2_T3_mT4_P12ihipStream_tbEUlT_E0_NS1_11comp_targetILNS1_3genE3ELNS1_11target_archE908ELNS1_3gpuE7ELNS1_3repE0EEENS1_30default_config_static_selectorELNS0_4arch9wavefront6targetE1EEEvS17_,"axG",@progbits,_ZN7rocprim17ROCPRIM_400000_NS6detail17trampoline_kernelINS0_14default_configENS1_22reduce_config_selectorIN6thrust23THRUST_200600_302600_NS5tupleIblNS6_9null_typeES8_S8_S8_S8_S8_S8_S8_EEEEZNS1_11reduce_implILb1ES3_NS6_12zip_iteratorINS7_INS6_11hip_rocprim26transform_input_iterator_tIbPdNS6_6detail10functional5actorINSH_9compositeIJNSH_27transparent_binary_operatorINS6_8equal_toIvEEEENSI_INSH_8argumentILj0EEEEENSH_5valueIdEEEEEEEEENSD_19counting_iterator_tIlEES8_S8_S8_S8_S8_S8_S8_S8_EEEEPS9_S9_NSD_9__find_if7functorIS9_EEEE10hipError_tPvRmT1_T2_T3_mT4_P12ihipStream_tbEUlT_E0_NS1_11comp_targetILNS1_3genE3ELNS1_11target_archE908ELNS1_3gpuE7ELNS1_3repE0EEENS1_30default_config_static_selectorELNS0_4arch9wavefront6targetE1EEEvS17_,comdat
.Lfunc_end1727:
	.size	_ZN7rocprim17ROCPRIM_400000_NS6detail17trampoline_kernelINS0_14default_configENS1_22reduce_config_selectorIN6thrust23THRUST_200600_302600_NS5tupleIblNS6_9null_typeES8_S8_S8_S8_S8_S8_S8_EEEEZNS1_11reduce_implILb1ES3_NS6_12zip_iteratorINS7_INS6_11hip_rocprim26transform_input_iterator_tIbPdNS6_6detail10functional5actorINSH_9compositeIJNSH_27transparent_binary_operatorINS6_8equal_toIvEEEENSI_INSH_8argumentILj0EEEEENSH_5valueIdEEEEEEEEENSD_19counting_iterator_tIlEES8_S8_S8_S8_S8_S8_S8_S8_EEEEPS9_S9_NSD_9__find_if7functorIS9_EEEE10hipError_tPvRmT1_T2_T3_mT4_P12ihipStream_tbEUlT_E0_NS1_11comp_targetILNS1_3genE3ELNS1_11target_archE908ELNS1_3gpuE7ELNS1_3repE0EEENS1_30default_config_static_selectorELNS0_4arch9wavefront6targetE1EEEvS17_, .Lfunc_end1727-_ZN7rocprim17ROCPRIM_400000_NS6detail17trampoline_kernelINS0_14default_configENS1_22reduce_config_selectorIN6thrust23THRUST_200600_302600_NS5tupleIblNS6_9null_typeES8_S8_S8_S8_S8_S8_S8_EEEEZNS1_11reduce_implILb1ES3_NS6_12zip_iteratorINS7_INS6_11hip_rocprim26transform_input_iterator_tIbPdNS6_6detail10functional5actorINSH_9compositeIJNSH_27transparent_binary_operatorINS6_8equal_toIvEEEENSI_INSH_8argumentILj0EEEEENSH_5valueIdEEEEEEEEENSD_19counting_iterator_tIlEES8_S8_S8_S8_S8_S8_S8_S8_EEEEPS9_S9_NSD_9__find_if7functorIS9_EEEE10hipError_tPvRmT1_T2_T3_mT4_P12ihipStream_tbEUlT_E0_NS1_11comp_targetILNS1_3genE3ELNS1_11target_archE908ELNS1_3gpuE7ELNS1_3repE0EEENS1_30default_config_static_selectorELNS0_4arch9wavefront6targetE1EEEvS17_
                                        ; -- End function
	.section	.AMDGPU.csdata,"",@progbits
; Kernel info:
; codeLenInByte = 0
; NumSgprs: 4
; NumVgprs: 0
; NumAgprs: 0
; TotalNumVgprs: 0
; ScratchSize: 0
; MemoryBound: 0
; FloatMode: 240
; IeeeMode: 1
; LDSByteSize: 0 bytes/workgroup (compile time only)
; SGPRBlocks: 0
; VGPRBlocks: 0
; NumSGPRsForWavesPerEU: 4
; NumVGPRsForWavesPerEU: 1
; AccumOffset: 4
; Occupancy: 8
; WaveLimiterHint : 0
; COMPUTE_PGM_RSRC2:SCRATCH_EN: 0
; COMPUTE_PGM_RSRC2:USER_SGPR: 6
; COMPUTE_PGM_RSRC2:TRAP_HANDLER: 0
; COMPUTE_PGM_RSRC2:TGID_X_EN: 1
; COMPUTE_PGM_RSRC2:TGID_Y_EN: 0
; COMPUTE_PGM_RSRC2:TGID_Z_EN: 0
; COMPUTE_PGM_RSRC2:TIDIG_COMP_CNT: 0
; COMPUTE_PGM_RSRC3_GFX90A:ACCUM_OFFSET: 0
; COMPUTE_PGM_RSRC3_GFX90A:TG_SPLIT: 0
	.section	.text._ZN7rocprim17ROCPRIM_400000_NS6detail17trampoline_kernelINS0_14default_configENS1_22reduce_config_selectorIN6thrust23THRUST_200600_302600_NS5tupleIblNS6_9null_typeES8_S8_S8_S8_S8_S8_S8_EEEEZNS1_11reduce_implILb1ES3_NS6_12zip_iteratorINS7_INS6_11hip_rocprim26transform_input_iterator_tIbPdNS6_6detail10functional5actorINSH_9compositeIJNSH_27transparent_binary_operatorINS6_8equal_toIvEEEENSI_INSH_8argumentILj0EEEEENSH_5valueIdEEEEEEEEENSD_19counting_iterator_tIlEES8_S8_S8_S8_S8_S8_S8_S8_EEEEPS9_S9_NSD_9__find_if7functorIS9_EEEE10hipError_tPvRmT1_T2_T3_mT4_P12ihipStream_tbEUlT_E0_NS1_11comp_targetILNS1_3genE2ELNS1_11target_archE906ELNS1_3gpuE6ELNS1_3repE0EEENS1_30default_config_static_selectorELNS0_4arch9wavefront6targetE1EEEvS17_,"axG",@progbits,_ZN7rocprim17ROCPRIM_400000_NS6detail17trampoline_kernelINS0_14default_configENS1_22reduce_config_selectorIN6thrust23THRUST_200600_302600_NS5tupleIblNS6_9null_typeES8_S8_S8_S8_S8_S8_S8_EEEEZNS1_11reduce_implILb1ES3_NS6_12zip_iteratorINS7_INS6_11hip_rocprim26transform_input_iterator_tIbPdNS6_6detail10functional5actorINSH_9compositeIJNSH_27transparent_binary_operatorINS6_8equal_toIvEEEENSI_INSH_8argumentILj0EEEEENSH_5valueIdEEEEEEEEENSD_19counting_iterator_tIlEES8_S8_S8_S8_S8_S8_S8_S8_EEEEPS9_S9_NSD_9__find_if7functorIS9_EEEE10hipError_tPvRmT1_T2_T3_mT4_P12ihipStream_tbEUlT_E0_NS1_11comp_targetILNS1_3genE2ELNS1_11target_archE906ELNS1_3gpuE6ELNS1_3repE0EEENS1_30default_config_static_selectorELNS0_4arch9wavefront6targetE1EEEvS17_,comdat
	.protected	_ZN7rocprim17ROCPRIM_400000_NS6detail17trampoline_kernelINS0_14default_configENS1_22reduce_config_selectorIN6thrust23THRUST_200600_302600_NS5tupleIblNS6_9null_typeES8_S8_S8_S8_S8_S8_S8_EEEEZNS1_11reduce_implILb1ES3_NS6_12zip_iteratorINS7_INS6_11hip_rocprim26transform_input_iterator_tIbPdNS6_6detail10functional5actorINSH_9compositeIJNSH_27transparent_binary_operatorINS6_8equal_toIvEEEENSI_INSH_8argumentILj0EEEEENSH_5valueIdEEEEEEEEENSD_19counting_iterator_tIlEES8_S8_S8_S8_S8_S8_S8_S8_EEEEPS9_S9_NSD_9__find_if7functorIS9_EEEE10hipError_tPvRmT1_T2_T3_mT4_P12ihipStream_tbEUlT_E0_NS1_11comp_targetILNS1_3genE2ELNS1_11target_archE906ELNS1_3gpuE6ELNS1_3repE0EEENS1_30default_config_static_selectorELNS0_4arch9wavefront6targetE1EEEvS17_ ; -- Begin function _ZN7rocprim17ROCPRIM_400000_NS6detail17trampoline_kernelINS0_14default_configENS1_22reduce_config_selectorIN6thrust23THRUST_200600_302600_NS5tupleIblNS6_9null_typeES8_S8_S8_S8_S8_S8_S8_EEEEZNS1_11reduce_implILb1ES3_NS6_12zip_iteratorINS7_INS6_11hip_rocprim26transform_input_iterator_tIbPdNS6_6detail10functional5actorINSH_9compositeIJNSH_27transparent_binary_operatorINS6_8equal_toIvEEEENSI_INSH_8argumentILj0EEEEENSH_5valueIdEEEEEEEEENSD_19counting_iterator_tIlEES8_S8_S8_S8_S8_S8_S8_S8_EEEEPS9_S9_NSD_9__find_if7functorIS9_EEEE10hipError_tPvRmT1_T2_T3_mT4_P12ihipStream_tbEUlT_E0_NS1_11comp_targetILNS1_3genE2ELNS1_11target_archE906ELNS1_3gpuE6ELNS1_3repE0EEENS1_30default_config_static_selectorELNS0_4arch9wavefront6targetE1EEEvS17_
	.globl	_ZN7rocprim17ROCPRIM_400000_NS6detail17trampoline_kernelINS0_14default_configENS1_22reduce_config_selectorIN6thrust23THRUST_200600_302600_NS5tupleIblNS6_9null_typeES8_S8_S8_S8_S8_S8_S8_EEEEZNS1_11reduce_implILb1ES3_NS6_12zip_iteratorINS7_INS6_11hip_rocprim26transform_input_iterator_tIbPdNS6_6detail10functional5actorINSH_9compositeIJNSH_27transparent_binary_operatorINS6_8equal_toIvEEEENSI_INSH_8argumentILj0EEEEENSH_5valueIdEEEEEEEEENSD_19counting_iterator_tIlEES8_S8_S8_S8_S8_S8_S8_S8_EEEEPS9_S9_NSD_9__find_if7functorIS9_EEEE10hipError_tPvRmT1_T2_T3_mT4_P12ihipStream_tbEUlT_E0_NS1_11comp_targetILNS1_3genE2ELNS1_11target_archE906ELNS1_3gpuE6ELNS1_3repE0EEENS1_30default_config_static_selectorELNS0_4arch9wavefront6targetE1EEEvS17_
	.p2align	8
	.type	_ZN7rocprim17ROCPRIM_400000_NS6detail17trampoline_kernelINS0_14default_configENS1_22reduce_config_selectorIN6thrust23THRUST_200600_302600_NS5tupleIblNS6_9null_typeES8_S8_S8_S8_S8_S8_S8_EEEEZNS1_11reduce_implILb1ES3_NS6_12zip_iteratorINS7_INS6_11hip_rocprim26transform_input_iterator_tIbPdNS6_6detail10functional5actorINSH_9compositeIJNSH_27transparent_binary_operatorINS6_8equal_toIvEEEENSI_INSH_8argumentILj0EEEEENSH_5valueIdEEEEEEEEENSD_19counting_iterator_tIlEES8_S8_S8_S8_S8_S8_S8_S8_EEEEPS9_S9_NSD_9__find_if7functorIS9_EEEE10hipError_tPvRmT1_T2_T3_mT4_P12ihipStream_tbEUlT_E0_NS1_11comp_targetILNS1_3genE2ELNS1_11target_archE906ELNS1_3gpuE6ELNS1_3repE0EEENS1_30default_config_static_selectorELNS0_4arch9wavefront6targetE1EEEvS17_,@function
_ZN7rocprim17ROCPRIM_400000_NS6detail17trampoline_kernelINS0_14default_configENS1_22reduce_config_selectorIN6thrust23THRUST_200600_302600_NS5tupleIblNS6_9null_typeES8_S8_S8_S8_S8_S8_S8_EEEEZNS1_11reduce_implILb1ES3_NS6_12zip_iteratorINS7_INS6_11hip_rocprim26transform_input_iterator_tIbPdNS6_6detail10functional5actorINSH_9compositeIJNSH_27transparent_binary_operatorINS6_8equal_toIvEEEENSI_INSH_8argumentILj0EEEEENSH_5valueIdEEEEEEEEENSD_19counting_iterator_tIlEES8_S8_S8_S8_S8_S8_S8_S8_EEEEPS9_S9_NSD_9__find_if7functorIS9_EEEE10hipError_tPvRmT1_T2_T3_mT4_P12ihipStream_tbEUlT_E0_NS1_11comp_targetILNS1_3genE2ELNS1_11target_archE906ELNS1_3gpuE6ELNS1_3repE0EEENS1_30default_config_static_selectorELNS0_4arch9wavefront6targetE1EEEvS17_: ; @_ZN7rocprim17ROCPRIM_400000_NS6detail17trampoline_kernelINS0_14default_configENS1_22reduce_config_selectorIN6thrust23THRUST_200600_302600_NS5tupleIblNS6_9null_typeES8_S8_S8_S8_S8_S8_S8_EEEEZNS1_11reduce_implILb1ES3_NS6_12zip_iteratorINS7_INS6_11hip_rocprim26transform_input_iterator_tIbPdNS6_6detail10functional5actorINSH_9compositeIJNSH_27transparent_binary_operatorINS6_8equal_toIvEEEENSI_INSH_8argumentILj0EEEEENSH_5valueIdEEEEEEEEENSD_19counting_iterator_tIlEES8_S8_S8_S8_S8_S8_S8_S8_EEEEPS9_S9_NSD_9__find_if7functorIS9_EEEE10hipError_tPvRmT1_T2_T3_mT4_P12ihipStream_tbEUlT_E0_NS1_11comp_targetILNS1_3genE2ELNS1_11target_archE906ELNS1_3gpuE6ELNS1_3repE0EEENS1_30default_config_static_selectorELNS0_4arch9wavefront6targetE1EEEvS17_
; %bb.0:
	.section	.rodata,"a",@progbits
	.p2align	6, 0x0
	.amdhsa_kernel _ZN7rocprim17ROCPRIM_400000_NS6detail17trampoline_kernelINS0_14default_configENS1_22reduce_config_selectorIN6thrust23THRUST_200600_302600_NS5tupleIblNS6_9null_typeES8_S8_S8_S8_S8_S8_S8_EEEEZNS1_11reduce_implILb1ES3_NS6_12zip_iteratorINS7_INS6_11hip_rocprim26transform_input_iterator_tIbPdNS6_6detail10functional5actorINSH_9compositeIJNSH_27transparent_binary_operatorINS6_8equal_toIvEEEENSI_INSH_8argumentILj0EEEEENSH_5valueIdEEEEEEEEENSD_19counting_iterator_tIlEES8_S8_S8_S8_S8_S8_S8_S8_EEEEPS9_S9_NSD_9__find_if7functorIS9_EEEE10hipError_tPvRmT1_T2_T3_mT4_P12ihipStream_tbEUlT_E0_NS1_11comp_targetILNS1_3genE2ELNS1_11target_archE906ELNS1_3gpuE6ELNS1_3repE0EEENS1_30default_config_static_selectorELNS0_4arch9wavefront6targetE1EEEvS17_
		.amdhsa_group_segment_fixed_size 0
		.amdhsa_private_segment_fixed_size 0
		.amdhsa_kernarg_size 96
		.amdhsa_user_sgpr_count 6
		.amdhsa_user_sgpr_private_segment_buffer 1
		.amdhsa_user_sgpr_dispatch_ptr 0
		.amdhsa_user_sgpr_queue_ptr 0
		.amdhsa_user_sgpr_kernarg_segment_ptr 1
		.amdhsa_user_sgpr_dispatch_id 0
		.amdhsa_user_sgpr_flat_scratch_init 0
		.amdhsa_user_sgpr_kernarg_preload_length 0
		.amdhsa_user_sgpr_kernarg_preload_offset 0
		.amdhsa_user_sgpr_private_segment_size 0
		.amdhsa_uses_dynamic_stack 0
		.amdhsa_system_sgpr_private_segment_wavefront_offset 0
		.amdhsa_system_sgpr_workgroup_id_x 1
		.amdhsa_system_sgpr_workgroup_id_y 0
		.amdhsa_system_sgpr_workgroup_id_z 0
		.amdhsa_system_sgpr_workgroup_info 0
		.amdhsa_system_vgpr_workitem_id 0
		.amdhsa_next_free_vgpr 1
		.amdhsa_next_free_sgpr 0
		.amdhsa_accum_offset 4
		.amdhsa_reserve_vcc 0
		.amdhsa_reserve_flat_scratch 0
		.amdhsa_float_round_mode_32 0
		.amdhsa_float_round_mode_16_64 0
		.amdhsa_float_denorm_mode_32 3
		.amdhsa_float_denorm_mode_16_64 3
		.amdhsa_dx10_clamp 1
		.amdhsa_ieee_mode 1
		.amdhsa_fp16_overflow 0
		.amdhsa_tg_split 0
		.amdhsa_exception_fp_ieee_invalid_op 0
		.amdhsa_exception_fp_denorm_src 0
		.amdhsa_exception_fp_ieee_div_zero 0
		.amdhsa_exception_fp_ieee_overflow 0
		.amdhsa_exception_fp_ieee_underflow 0
		.amdhsa_exception_fp_ieee_inexact 0
		.amdhsa_exception_int_div_zero 0
	.end_amdhsa_kernel
	.section	.text._ZN7rocprim17ROCPRIM_400000_NS6detail17trampoline_kernelINS0_14default_configENS1_22reduce_config_selectorIN6thrust23THRUST_200600_302600_NS5tupleIblNS6_9null_typeES8_S8_S8_S8_S8_S8_S8_EEEEZNS1_11reduce_implILb1ES3_NS6_12zip_iteratorINS7_INS6_11hip_rocprim26transform_input_iterator_tIbPdNS6_6detail10functional5actorINSH_9compositeIJNSH_27transparent_binary_operatorINS6_8equal_toIvEEEENSI_INSH_8argumentILj0EEEEENSH_5valueIdEEEEEEEEENSD_19counting_iterator_tIlEES8_S8_S8_S8_S8_S8_S8_S8_EEEEPS9_S9_NSD_9__find_if7functorIS9_EEEE10hipError_tPvRmT1_T2_T3_mT4_P12ihipStream_tbEUlT_E0_NS1_11comp_targetILNS1_3genE2ELNS1_11target_archE906ELNS1_3gpuE6ELNS1_3repE0EEENS1_30default_config_static_selectorELNS0_4arch9wavefront6targetE1EEEvS17_,"axG",@progbits,_ZN7rocprim17ROCPRIM_400000_NS6detail17trampoline_kernelINS0_14default_configENS1_22reduce_config_selectorIN6thrust23THRUST_200600_302600_NS5tupleIblNS6_9null_typeES8_S8_S8_S8_S8_S8_S8_EEEEZNS1_11reduce_implILb1ES3_NS6_12zip_iteratorINS7_INS6_11hip_rocprim26transform_input_iterator_tIbPdNS6_6detail10functional5actorINSH_9compositeIJNSH_27transparent_binary_operatorINS6_8equal_toIvEEEENSI_INSH_8argumentILj0EEEEENSH_5valueIdEEEEEEEEENSD_19counting_iterator_tIlEES8_S8_S8_S8_S8_S8_S8_S8_EEEEPS9_S9_NSD_9__find_if7functorIS9_EEEE10hipError_tPvRmT1_T2_T3_mT4_P12ihipStream_tbEUlT_E0_NS1_11comp_targetILNS1_3genE2ELNS1_11target_archE906ELNS1_3gpuE6ELNS1_3repE0EEENS1_30default_config_static_selectorELNS0_4arch9wavefront6targetE1EEEvS17_,comdat
.Lfunc_end1728:
	.size	_ZN7rocprim17ROCPRIM_400000_NS6detail17trampoline_kernelINS0_14default_configENS1_22reduce_config_selectorIN6thrust23THRUST_200600_302600_NS5tupleIblNS6_9null_typeES8_S8_S8_S8_S8_S8_S8_EEEEZNS1_11reduce_implILb1ES3_NS6_12zip_iteratorINS7_INS6_11hip_rocprim26transform_input_iterator_tIbPdNS6_6detail10functional5actorINSH_9compositeIJNSH_27transparent_binary_operatorINS6_8equal_toIvEEEENSI_INSH_8argumentILj0EEEEENSH_5valueIdEEEEEEEEENSD_19counting_iterator_tIlEES8_S8_S8_S8_S8_S8_S8_S8_EEEEPS9_S9_NSD_9__find_if7functorIS9_EEEE10hipError_tPvRmT1_T2_T3_mT4_P12ihipStream_tbEUlT_E0_NS1_11comp_targetILNS1_3genE2ELNS1_11target_archE906ELNS1_3gpuE6ELNS1_3repE0EEENS1_30default_config_static_selectorELNS0_4arch9wavefront6targetE1EEEvS17_, .Lfunc_end1728-_ZN7rocprim17ROCPRIM_400000_NS6detail17trampoline_kernelINS0_14default_configENS1_22reduce_config_selectorIN6thrust23THRUST_200600_302600_NS5tupleIblNS6_9null_typeES8_S8_S8_S8_S8_S8_S8_EEEEZNS1_11reduce_implILb1ES3_NS6_12zip_iteratorINS7_INS6_11hip_rocprim26transform_input_iterator_tIbPdNS6_6detail10functional5actorINSH_9compositeIJNSH_27transparent_binary_operatorINS6_8equal_toIvEEEENSI_INSH_8argumentILj0EEEEENSH_5valueIdEEEEEEEEENSD_19counting_iterator_tIlEES8_S8_S8_S8_S8_S8_S8_S8_EEEEPS9_S9_NSD_9__find_if7functorIS9_EEEE10hipError_tPvRmT1_T2_T3_mT4_P12ihipStream_tbEUlT_E0_NS1_11comp_targetILNS1_3genE2ELNS1_11target_archE906ELNS1_3gpuE6ELNS1_3repE0EEENS1_30default_config_static_selectorELNS0_4arch9wavefront6targetE1EEEvS17_
                                        ; -- End function
	.section	.AMDGPU.csdata,"",@progbits
; Kernel info:
; codeLenInByte = 0
; NumSgprs: 4
; NumVgprs: 0
; NumAgprs: 0
; TotalNumVgprs: 0
; ScratchSize: 0
; MemoryBound: 0
; FloatMode: 240
; IeeeMode: 1
; LDSByteSize: 0 bytes/workgroup (compile time only)
; SGPRBlocks: 0
; VGPRBlocks: 0
; NumSGPRsForWavesPerEU: 4
; NumVGPRsForWavesPerEU: 1
; AccumOffset: 4
; Occupancy: 8
; WaveLimiterHint : 0
; COMPUTE_PGM_RSRC2:SCRATCH_EN: 0
; COMPUTE_PGM_RSRC2:USER_SGPR: 6
; COMPUTE_PGM_RSRC2:TRAP_HANDLER: 0
; COMPUTE_PGM_RSRC2:TGID_X_EN: 1
; COMPUTE_PGM_RSRC2:TGID_Y_EN: 0
; COMPUTE_PGM_RSRC2:TGID_Z_EN: 0
; COMPUTE_PGM_RSRC2:TIDIG_COMP_CNT: 0
; COMPUTE_PGM_RSRC3_GFX90A:ACCUM_OFFSET: 0
; COMPUTE_PGM_RSRC3_GFX90A:TG_SPLIT: 0
	.section	.text._ZN7rocprim17ROCPRIM_400000_NS6detail17trampoline_kernelINS0_14default_configENS1_22reduce_config_selectorIN6thrust23THRUST_200600_302600_NS5tupleIblNS6_9null_typeES8_S8_S8_S8_S8_S8_S8_EEEEZNS1_11reduce_implILb1ES3_NS6_12zip_iteratorINS7_INS6_11hip_rocprim26transform_input_iterator_tIbPdNS6_6detail10functional5actorINSH_9compositeIJNSH_27transparent_binary_operatorINS6_8equal_toIvEEEENSI_INSH_8argumentILj0EEEEENSH_5valueIdEEEEEEEEENSD_19counting_iterator_tIlEES8_S8_S8_S8_S8_S8_S8_S8_EEEEPS9_S9_NSD_9__find_if7functorIS9_EEEE10hipError_tPvRmT1_T2_T3_mT4_P12ihipStream_tbEUlT_E0_NS1_11comp_targetILNS1_3genE10ELNS1_11target_archE1201ELNS1_3gpuE5ELNS1_3repE0EEENS1_30default_config_static_selectorELNS0_4arch9wavefront6targetE1EEEvS17_,"axG",@progbits,_ZN7rocprim17ROCPRIM_400000_NS6detail17trampoline_kernelINS0_14default_configENS1_22reduce_config_selectorIN6thrust23THRUST_200600_302600_NS5tupleIblNS6_9null_typeES8_S8_S8_S8_S8_S8_S8_EEEEZNS1_11reduce_implILb1ES3_NS6_12zip_iteratorINS7_INS6_11hip_rocprim26transform_input_iterator_tIbPdNS6_6detail10functional5actorINSH_9compositeIJNSH_27transparent_binary_operatorINS6_8equal_toIvEEEENSI_INSH_8argumentILj0EEEEENSH_5valueIdEEEEEEEEENSD_19counting_iterator_tIlEES8_S8_S8_S8_S8_S8_S8_S8_EEEEPS9_S9_NSD_9__find_if7functorIS9_EEEE10hipError_tPvRmT1_T2_T3_mT4_P12ihipStream_tbEUlT_E0_NS1_11comp_targetILNS1_3genE10ELNS1_11target_archE1201ELNS1_3gpuE5ELNS1_3repE0EEENS1_30default_config_static_selectorELNS0_4arch9wavefront6targetE1EEEvS17_,comdat
	.protected	_ZN7rocprim17ROCPRIM_400000_NS6detail17trampoline_kernelINS0_14default_configENS1_22reduce_config_selectorIN6thrust23THRUST_200600_302600_NS5tupleIblNS6_9null_typeES8_S8_S8_S8_S8_S8_S8_EEEEZNS1_11reduce_implILb1ES3_NS6_12zip_iteratorINS7_INS6_11hip_rocprim26transform_input_iterator_tIbPdNS6_6detail10functional5actorINSH_9compositeIJNSH_27transparent_binary_operatorINS6_8equal_toIvEEEENSI_INSH_8argumentILj0EEEEENSH_5valueIdEEEEEEEEENSD_19counting_iterator_tIlEES8_S8_S8_S8_S8_S8_S8_S8_EEEEPS9_S9_NSD_9__find_if7functorIS9_EEEE10hipError_tPvRmT1_T2_T3_mT4_P12ihipStream_tbEUlT_E0_NS1_11comp_targetILNS1_3genE10ELNS1_11target_archE1201ELNS1_3gpuE5ELNS1_3repE0EEENS1_30default_config_static_selectorELNS0_4arch9wavefront6targetE1EEEvS17_ ; -- Begin function _ZN7rocprim17ROCPRIM_400000_NS6detail17trampoline_kernelINS0_14default_configENS1_22reduce_config_selectorIN6thrust23THRUST_200600_302600_NS5tupleIblNS6_9null_typeES8_S8_S8_S8_S8_S8_S8_EEEEZNS1_11reduce_implILb1ES3_NS6_12zip_iteratorINS7_INS6_11hip_rocprim26transform_input_iterator_tIbPdNS6_6detail10functional5actorINSH_9compositeIJNSH_27transparent_binary_operatorINS6_8equal_toIvEEEENSI_INSH_8argumentILj0EEEEENSH_5valueIdEEEEEEEEENSD_19counting_iterator_tIlEES8_S8_S8_S8_S8_S8_S8_S8_EEEEPS9_S9_NSD_9__find_if7functorIS9_EEEE10hipError_tPvRmT1_T2_T3_mT4_P12ihipStream_tbEUlT_E0_NS1_11comp_targetILNS1_3genE10ELNS1_11target_archE1201ELNS1_3gpuE5ELNS1_3repE0EEENS1_30default_config_static_selectorELNS0_4arch9wavefront6targetE1EEEvS17_
	.globl	_ZN7rocprim17ROCPRIM_400000_NS6detail17trampoline_kernelINS0_14default_configENS1_22reduce_config_selectorIN6thrust23THRUST_200600_302600_NS5tupleIblNS6_9null_typeES8_S8_S8_S8_S8_S8_S8_EEEEZNS1_11reduce_implILb1ES3_NS6_12zip_iteratorINS7_INS6_11hip_rocprim26transform_input_iterator_tIbPdNS6_6detail10functional5actorINSH_9compositeIJNSH_27transparent_binary_operatorINS6_8equal_toIvEEEENSI_INSH_8argumentILj0EEEEENSH_5valueIdEEEEEEEEENSD_19counting_iterator_tIlEES8_S8_S8_S8_S8_S8_S8_S8_EEEEPS9_S9_NSD_9__find_if7functorIS9_EEEE10hipError_tPvRmT1_T2_T3_mT4_P12ihipStream_tbEUlT_E0_NS1_11comp_targetILNS1_3genE10ELNS1_11target_archE1201ELNS1_3gpuE5ELNS1_3repE0EEENS1_30default_config_static_selectorELNS0_4arch9wavefront6targetE1EEEvS17_
	.p2align	8
	.type	_ZN7rocprim17ROCPRIM_400000_NS6detail17trampoline_kernelINS0_14default_configENS1_22reduce_config_selectorIN6thrust23THRUST_200600_302600_NS5tupleIblNS6_9null_typeES8_S8_S8_S8_S8_S8_S8_EEEEZNS1_11reduce_implILb1ES3_NS6_12zip_iteratorINS7_INS6_11hip_rocprim26transform_input_iterator_tIbPdNS6_6detail10functional5actorINSH_9compositeIJNSH_27transparent_binary_operatorINS6_8equal_toIvEEEENSI_INSH_8argumentILj0EEEEENSH_5valueIdEEEEEEEEENSD_19counting_iterator_tIlEES8_S8_S8_S8_S8_S8_S8_S8_EEEEPS9_S9_NSD_9__find_if7functorIS9_EEEE10hipError_tPvRmT1_T2_T3_mT4_P12ihipStream_tbEUlT_E0_NS1_11comp_targetILNS1_3genE10ELNS1_11target_archE1201ELNS1_3gpuE5ELNS1_3repE0EEENS1_30default_config_static_selectorELNS0_4arch9wavefront6targetE1EEEvS17_,@function
_ZN7rocprim17ROCPRIM_400000_NS6detail17trampoline_kernelINS0_14default_configENS1_22reduce_config_selectorIN6thrust23THRUST_200600_302600_NS5tupleIblNS6_9null_typeES8_S8_S8_S8_S8_S8_S8_EEEEZNS1_11reduce_implILb1ES3_NS6_12zip_iteratorINS7_INS6_11hip_rocprim26transform_input_iterator_tIbPdNS6_6detail10functional5actorINSH_9compositeIJNSH_27transparent_binary_operatorINS6_8equal_toIvEEEENSI_INSH_8argumentILj0EEEEENSH_5valueIdEEEEEEEEENSD_19counting_iterator_tIlEES8_S8_S8_S8_S8_S8_S8_S8_EEEEPS9_S9_NSD_9__find_if7functorIS9_EEEE10hipError_tPvRmT1_T2_T3_mT4_P12ihipStream_tbEUlT_E0_NS1_11comp_targetILNS1_3genE10ELNS1_11target_archE1201ELNS1_3gpuE5ELNS1_3repE0EEENS1_30default_config_static_selectorELNS0_4arch9wavefront6targetE1EEEvS17_: ; @_ZN7rocprim17ROCPRIM_400000_NS6detail17trampoline_kernelINS0_14default_configENS1_22reduce_config_selectorIN6thrust23THRUST_200600_302600_NS5tupleIblNS6_9null_typeES8_S8_S8_S8_S8_S8_S8_EEEEZNS1_11reduce_implILb1ES3_NS6_12zip_iteratorINS7_INS6_11hip_rocprim26transform_input_iterator_tIbPdNS6_6detail10functional5actorINSH_9compositeIJNSH_27transparent_binary_operatorINS6_8equal_toIvEEEENSI_INSH_8argumentILj0EEEEENSH_5valueIdEEEEEEEEENSD_19counting_iterator_tIlEES8_S8_S8_S8_S8_S8_S8_S8_EEEEPS9_S9_NSD_9__find_if7functorIS9_EEEE10hipError_tPvRmT1_T2_T3_mT4_P12ihipStream_tbEUlT_E0_NS1_11comp_targetILNS1_3genE10ELNS1_11target_archE1201ELNS1_3gpuE5ELNS1_3repE0EEENS1_30default_config_static_selectorELNS0_4arch9wavefront6targetE1EEEvS17_
; %bb.0:
	.section	.rodata,"a",@progbits
	.p2align	6, 0x0
	.amdhsa_kernel _ZN7rocprim17ROCPRIM_400000_NS6detail17trampoline_kernelINS0_14default_configENS1_22reduce_config_selectorIN6thrust23THRUST_200600_302600_NS5tupleIblNS6_9null_typeES8_S8_S8_S8_S8_S8_S8_EEEEZNS1_11reduce_implILb1ES3_NS6_12zip_iteratorINS7_INS6_11hip_rocprim26transform_input_iterator_tIbPdNS6_6detail10functional5actorINSH_9compositeIJNSH_27transparent_binary_operatorINS6_8equal_toIvEEEENSI_INSH_8argumentILj0EEEEENSH_5valueIdEEEEEEEEENSD_19counting_iterator_tIlEES8_S8_S8_S8_S8_S8_S8_S8_EEEEPS9_S9_NSD_9__find_if7functorIS9_EEEE10hipError_tPvRmT1_T2_T3_mT4_P12ihipStream_tbEUlT_E0_NS1_11comp_targetILNS1_3genE10ELNS1_11target_archE1201ELNS1_3gpuE5ELNS1_3repE0EEENS1_30default_config_static_selectorELNS0_4arch9wavefront6targetE1EEEvS17_
		.amdhsa_group_segment_fixed_size 0
		.amdhsa_private_segment_fixed_size 0
		.amdhsa_kernarg_size 96
		.amdhsa_user_sgpr_count 6
		.amdhsa_user_sgpr_private_segment_buffer 1
		.amdhsa_user_sgpr_dispatch_ptr 0
		.amdhsa_user_sgpr_queue_ptr 0
		.amdhsa_user_sgpr_kernarg_segment_ptr 1
		.amdhsa_user_sgpr_dispatch_id 0
		.amdhsa_user_sgpr_flat_scratch_init 0
		.amdhsa_user_sgpr_kernarg_preload_length 0
		.amdhsa_user_sgpr_kernarg_preload_offset 0
		.amdhsa_user_sgpr_private_segment_size 0
		.amdhsa_uses_dynamic_stack 0
		.amdhsa_system_sgpr_private_segment_wavefront_offset 0
		.amdhsa_system_sgpr_workgroup_id_x 1
		.amdhsa_system_sgpr_workgroup_id_y 0
		.amdhsa_system_sgpr_workgroup_id_z 0
		.amdhsa_system_sgpr_workgroup_info 0
		.amdhsa_system_vgpr_workitem_id 0
		.amdhsa_next_free_vgpr 1
		.amdhsa_next_free_sgpr 0
		.amdhsa_accum_offset 4
		.amdhsa_reserve_vcc 0
		.amdhsa_reserve_flat_scratch 0
		.amdhsa_float_round_mode_32 0
		.amdhsa_float_round_mode_16_64 0
		.amdhsa_float_denorm_mode_32 3
		.amdhsa_float_denorm_mode_16_64 3
		.amdhsa_dx10_clamp 1
		.amdhsa_ieee_mode 1
		.amdhsa_fp16_overflow 0
		.amdhsa_tg_split 0
		.amdhsa_exception_fp_ieee_invalid_op 0
		.amdhsa_exception_fp_denorm_src 0
		.amdhsa_exception_fp_ieee_div_zero 0
		.amdhsa_exception_fp_ieee_overflow 0
		.amdhsa_exception_fp_ieee_underflow 0
		.amdhsa_exception_fp_ieee_inexact 0
		.amdhsa_exception_int_div_zero 0
	.end_amdhsa_kernel
	.section	.text._ZN7rocprim17ROCPRIM_400000_NS6detail17trampoline_kernelINS0_14default_configENS1_22reduce_config_selectorIN6thrust23THRUST_200600_302600_NS5tupleIblNS6_9null_typeES8_S8_S8_S8_S8_S8_S8_EEEEZNS1_11reduce_implILb1ES3_NS6_12zip_iteratorINS7_INS6_11hip_rocprim26transform_input_iterator_tIbPdNS6_6detail10functional5actorINSH_9compositeIJNSH_27transparent_binary_operatorINS6_8equal_toIvEEEENSI_INSH_8argumentILj0EEEEENSH_5valueIdEEEEEEEEENSD_19counting_iterator_tIlEES8_S8_S8_S8_S8_S8_S8_S8_EEEEPS9_S9_NSD_9__find_if7functorIS9_EEEE10hipError_tPvRmT1_T2_T3_mT4_P12ihipStream_tbEUlT_E0_NS1_11comp_targetILNS1_3genE10ELNS1_11target_archE1201ELNS1_3gpuE5ELNS1_3repE0EEENS1_30default_config_static_selectorELNS0_4arch9wavefront6targetE1EEEvS17_,"axG",@progbits,_ZN7rocprim17ROCPRIM_400000_NS6detail17trampoline_kernelINS0_14default_configENS1_22reduce_config_selectorIN6thrust23THRUST_200600_302600_NS5tupleIblNS6_9null_typeES8_S8_S8_S8_S8_S8_S8_EEEEZNS1_11reduce_implILb1ES3_NS6_12zip_iteratorINS7_INS6_11hip_rocprim26transform_input_iterator_tIbPdNS6_6detail10functional5actorINSH_9compositeIJNSH_27transparent_binary_operatorINS6_8equal_toIvEEEENSI_INSH_8argumentILj0EEEEENSH_5valueIdEEEEEEEEENSD_19counting_iterator_tIlEES8_S8_S8_S8_S8_S8_S8_S8_EEEEPS9_S9_NSD_9__find_if7functorIS9_EEEE10hipError_tPvRmT1_T2_T3_mT4_P12ihipStream_tbEUlT_E0_NS1_11comp_targetILNS1_3genE10ELNS1_11target_archE1201ELNS1_3gpuE5ELNS1_3repE0EEENS1_30default_config_static_selectorELNS0_4arch9wavefront6targetE1EEEvS17_,comdat
.Lfunc_end1729:
	.size	_ZN7rocprim17ROCPRIM_400000_NS6detail17trampoline_kernelINS0_14default_configENS1_22reduce_config_selectorIN6thrust23THRUST_200600_302600_NS5tupleIblNS6_9null_typeES8_S8_S8_S8_S8_S8_S8_EEEEZNS1_11reduce_implILb1ES3_NS6_12zip_iteratorINS7_INS6_11hip_rocprim26transform_input_iterator_tIbPdNS6_6detail10functional5actorINSH_9compositeIJNSH_27transparent_binary_operatorINS6_8equal_toIvEEEENSI_INSH_8argumentILj0EEEEENSH_5valueIdEEEEEEEEENSD_19counting_iterator_tIlEES8_S8_S8_S8_S8_S8_S8_S8_EEEEPS9_S9_NSD_9__find_if7functorIS9_EEEE10hipError_tPvRmT1_T2_T3_mT4_P12ihipStream_tbEUlT_E0_NS1_11comp_targetILNS1_3genE10ELNS1_11target_archE1201ELNS1_3gpuE5ELNS1_3repE0EEENS1_30default_config_static_selectorELNS0_4arch9wavefront6targetE1EEEvS17_, .Lfunc_end1729-_ZN7rocprim17ROCPRIM_400000_NS6detail17trampoline_kernelINS0_14default_configENS1_22reduce_config_selectorIN6thrust23THRUST_200600_302600_NS5tupleIblNS6_9null_typeES8_S8_S8_S8_S8_S8_S8_EEEEZNS1_11reduce_implILb1ES3_NS6_12zip_iteratorINS7_INS6_11hip_rocprim26transform_input_iterator_tIbPdNS6_6detail10functional5actorINSH_9compositeIJNSH_27transparent_binary_operatorINS6_8equal_toIvEEEENSI_INSH_8argumentILj0EEEEENSH_5valueIdEEEEEEEEENSD_19counting_iterator_tIlEES8_S8_S8_S8_S8_S8_S8_S8_EEEEPS9_S9_NSD_9__find_if7functorIS9_EEEE10hipError_tPvRmT1_T2_T3_mT4_P12ihipStream_tbEUlT_E0_NS1_11comp_targetILNS1_3genE10ELNS1_11target_archE1201ELNS1_3gpuE5ELNS1_3repE0EEENS1_30default_config_static_selectorELNS0_4arch9wavefront6targetE1EEEvS17_
                                        ; -- End function
	.section	.AMDGPU.csdata,"",@progbits
; Kernel info:
; codeLenInByte = 0
; NumSgprs: 4
; NumVgprs: 0
; NumAgprs: 0
; TotalNumVgprs: 0
; ScratchSize: 0
; MemoryBound: 0
; FloatMode: 240
; IeeeMode: 1
; LDSByteSize: 0 bytes/workgroup (compile time only)
; SGPRBlocks: 0
; VGPRBlocks: 0
; NumSGPRsForWavesPerEU: 4
; NumVGPRsForWavesPerEU: 1
; AccumOffset: 4
; Occupancy: 8
; WaveLimiterHint : 0
; COMPUTE_PGM_RSRC2:SCRATCH_EN: 0
; COMPUTE_PGM_RSRC2:USER_SGPR: 6
; COMPUTE_PGM_RSRC2:TRAP_HANDLER: 0
; COMPUTE_PGM_RSRC2:TGID_X_EN: 1
; COMPUTE_PGM_RSRC2:TGID_Y_EN: 0
; COMPUTE_PGM_RSRC2:TGID_Z_EN: 0
; COMPUTE_PGM_RSRC2:TIDIG_COMP_CNT: 0
; COMPUTE_PGM_RSRC3_GFX90A:ACCUM_OFFSET: 0
; COMPUTE_PGM_RSRC3_GFX90A:TG_SPLIT: 0
	.section	.text._ZN7rocprim17ROCPRIM_400000_NS6detail17trampoline_kernelINS0_14default_configENS1_22reduce_config_selectorIN6thrust23THRUST_200600_302600_NS5tupleIblNS6_9null_typeES8_S8_S8_S8_S8_S8_S8_EEEEZNS1_11reduce_implILb1ES3_NS6_12zip_iteratorINS7_INS6_11hip_rocprim26transform_input_iterator_tIbPdNS6_6detail10functional5actorINSH_9compositeIJNSH_27transparent_binary_operatorINS6_8equal_toIvEEEENSI_INSH_8argumentILj0EEEEENSH_5valueIdEEEEEEEEENSD_19counting_iterator_tIlEES8_S8_S8_S8_S8_S8_S8_S8_EEEEPS9_S9_NSD_9__find_if7functorIS9_EEEE10hipError_tPvRmT1_T2_T3_mT4_P12ihipStream_tbEUlT_E0_NS1_11comp_targetILNS1_3genE10ELNS1_11target_archE1200ELNS1_3gpuE4ELNS1_3repE0EEENS1_30default_config_static_selectorELNS0_4arch9wavefront6targetE1EEEvS17_,"axG",@progbits,_ZN7rocprim17ROCPRIM_400000_NS6detail17trampoline_kernelINS0_14default_configENS1_22reduce_config_selectorIN6thrust23THRUST_200600_302600_NS5tupleIblNS6_9null_typeES8_S8_S8_S8_S8_S8_S8_EEEEZNS1_11reduce_implILb1ES3_NS6_12zip_iteratorINS7_INS6_11hip_rocprim26transform_input_iterator_tIbPdNS6_6detail10functional5actorINSH_9compositeIJNSH_27transparent_binary_operatorINS6_8equal_toIvEEEENSI_INSH_8argumentILj0EEEEENSH_5valueIdEEEEEEEEENSD_19counting_iterator_tIlEES8_S8_S8_S8_S8_S8_S8_S8_EEEEPS9_S9_NSD_9__find_if7functorIS9_EEEE10hipError_tPvRmT1_T2_T3_mT4_P12ihipStream_tbEUlT_E0_NS1_11comp_targetILNS1_3genE10ELNS1_11target_archE1200ELNS1_3gpuE4ELNS1_3repE0EEENS1_30default_config_static_selectorELNS0_4arch9wavefront6targetE1EEEvS17_,comdat
	.protected	_ZN7rocprim17ROCPRIM_400000_NS6detail17trampoline_kernelINS0_14default_configENS1_22reduce_config_selectorIN6thrust23THRUST_200600_302600_NS5tupleIblNS6_9null_typeES8_S8_S8_S8_S8_S8_S8_EEEEZNS1_11reduce_implILb1ES3_NS6_12zip_iteratorINS7_INS6_11hip_rocprim26transform_input_iterator_tIbPdNS6_6detail10functional5actorINSH_9compositeIJNSH_27transparent_binary_operatorINS6_8equal_toIvEEEENSI_INSH_8argumentILj0EEEEENSH_5valueIdEEEEEEEEENSD_19counting_iterator_tIlEES8_S8_S8_S8_S8_S8_S8_S8_EEEEPS9_S9_NSD_9__find_if7functorIS9_EEEE10hipError_tPvRmT1_T2_T3_mT4_P12ihipStream_tbEUlT_E0_NS1_11comp_targetILNS1_3genE10ELNS1_11target_archE1200ELNS1_3gpuE4ELNS1_3repE0EEENS1_30default_config_static_selectorELNS0_4arch9wavefront6targetE1EEEvS17_ ; -- Begin function _ZN7rocprim17ROCPRIM_400000_NS6detail17trampoline_kernelINS0_14default_configENS1_22reduce_config_selectorIN6thrust23THRUST_200600_302600_NS5tupleIblNS6_9null_typeES8_S8_S8_S8_S8_S8_S8_EEEEZNS1_11reduce_implILb1ES3_NS6_12zip_iteratorINS7_INS6_11hip_rocprim26transform_input_iterator_tIbPdNS6_6detail10functional5actorINSH_9compositeIJNSH_27transparent_binary_operatorINS6_8equal_toIvEEEENSI_INSH_8argumentILj0EEEEENSH_5valueIdEEEEEEEEENSD_19counting_iterator_tIlEES8_S8_S8_S8_S8_S8_S8_S8_EEEEPS9_S9_NSD_9__find_if7functorIS9_EEEE10hipError_tPvRmT1_T2_T3_mT4_P12ihipStream_tbEUlT_E0_NS1_11comp_targetILNS1_3genE10ELNS1_11target_archE1200ELNS1_3gpuE4ELNS1_3repE0EEENS1_30default_config_static_selectorELNS0_4arch9wavefront6targetE1EEEvS17_
	.globl	_ZN7rocprim17ROCPRIM_400000_NS6detail17trampoline_kernelINS0_14default_configENS1_22reduce_config_selectorIN6thrust23THRUST_200600_302600_NS5tupleIblNS6_9null_typeES8_S8_S8_S8_S8_S8_S8_EEEEZNS1_11reduce_implILb1ES3_NS6_12zip_iteratorINS7_INS6_11hip_rocprim26transform_input_iterator_tIbPdNS6_6detail10functional5actorINSH_9compositeIJNSH_27transparent_binary_operatorINS6_8equal_toIvEEEENSI_INSH_8argumentILj0EEEEENSH_5valueIdEEEEEEEEENSD_19counting_iterator_tIlEES8_S8_S8_S8_S8_S8_S8_S8_EEEEPS9_S9_NSD_9__find_if7functorIS9_EEEE10hipError_tPvRmT1_T2_T3_mT4_P12ihipStream_tbEUlT_E0_NS1_11comp_targetILNS1_3genE10ELNS1_11target_archE1200ELNS1_3gpuE4ELNS1_3repE0EEENS1_30default_config_static_selectorELNS0_4arch9wavefront6targetE1EEEvS17_
	.p2align	8
	.type	_ZN7rocprim17ROCPRIM_400000_NS6detail17trampoline_kernelINS0_14default_configENS1_22reduce_config_selectorIN6thrust23THRUST_200600_302600_NS5tupleIblNS6_9null_typeES8_S8_S8_S8_S8_S8_S8_EEEEZNS1_11reduce_implILb1ES3_NS6_12zip_iteratorINS7_INS6_11hip_rocprim26transform_input_iterator_tIbPdNS6_6detail10functional5actorINSH_9compositeIJNSH_27transparent_binary_operatorINS6_8equal_toIvEEEENSI_INSH_8argumentILj0EEEEENSH_5valueIdEEEEEEEEENSD_19counting_iterator_tIlEES8_S8_S8_S8_S8_S8_S8_S8_EEEEPS9_S9_NSD_9__find_if7functorIS9_EEEE10hipError_tPvRmT1_T2_T3_mT4_P12ihipStream_tbEUlT_E0_NS1_11comp_targetILNS1_3genE10ELNS1_11target_archE1200ELNS1_3gpuE4ELNS1_3repE0EEENS1_30default_config_static_selectorELNS0_4arch9wavefront6targetE1EEEvS17_,@function
_ZN7rocprim17ROCPRIM_400000_NS6detail17trampoline_kernelINS0_14default_configENS1_22reduce_config_selectorIN6thrust23THRUST_200600_302600_NS5tupleIblNS6_9null_typeES8_S8_S8_S8_S8_S8_S8_EEEEZNS1_11reduce_implILb1ES3_NS6_12zip_iteratorINS7_INS6_11hip_rocprim26transform_input_iterator_tIbPdNS6_6detail10functional5actorINSH_9compositeIJNSH_27transparent_binary_operatorINS6_8equal_toIvEEEENSI_INSH_8argumentILj0EEEEENSH_5valueIdEEEEEEEEENSD_19counting_iterator_tIlEES8_S8_S8_S8_S8_S8_S8_S8_EEEEPS9_S9_NSD_9__find_if7functorIS9_EEEE10hipError_tPvRmT1_T2_T3_mT4_P12ihipStream_tbEUlT_E0_NS1_11comp_targetILNS1_3genE10ELNS1_11target_archE1200ELNS1_3gpuE4ELNS1_3repE0EEENS1_30default_config_static_selectorELNS0_4arch9wavefront6targetE1EEEvS17_: ; @_ZN7rocprim17ROCPRIM_400000_NS6detail17trampoline_kernelINS0_14default_configENS1_22reduce_config_selectorIN6thrust23THRUST_200600_302600_NS5tupleIblNS6_9null_typeES8_S8_S8_S8_S8_S8_S8_EEEEZNS1_11reduce_implILb1ES3_NS6_12zip_iteratorINS7_INS6_11hip_rocprim26transform_input_iterator_tIbPdNS6_6detail10functional5actorINSH_9compositeIJNSH_27transparent_binary_operatorINS6_8equal_toIvEEEENSI_INSH_8argumentILj0EEEEENSH_5valueIdEEEEEEEEENSD_19counting_iterator_tIlEES8_S8_S8_S8_S8_S8_S8_S8_EEEEPS9_S9_NSD_9__find_if7functorIS9_EEEE10hipError_tPvRmT1_T2_T3_mT4_P12ihipStream_tbEUlT_E0_NS1_11comp_targetILNS1_3genE10ELNS1_11target_archE1200ELNS1_3gpuE4ELNS1_3repE0EEENS1_30default_config_static_selectorELNS0_4arch9wavefront6targetE1EEEvS17_
; %bb.0:
	.section	.rodata,"a",@progbits
	.p2align	6, 0x0
	.amdhsa_kernel _ZN7rocprim17ROCPRIM_400000_NS6detail17trampoline_kernelINS0_14default_configENS1_22reduce_config_selectorIN6thrust23THRUST_200600_302600_NS5tupleIblNS6_9null_typeES8_S8_S8_S8_S8_S8_S8_EEEEZNS1_11reduce_implILb1ES3_NS6_12zip_iteratorINS7_INS6_11hip_rocprim26transform_input_iterator_tIbPdNS6_6detail10functional5actorINSH_9compositeIJNSH_27transparent_binary_operatorINS6_8equal_toIvEEEENSI_INSH_8argumentILj0EEEEENSH_5valueIdEEEEEEEEENSD_19counting_iterator_tIlEES8_S8_S8_S8_S8_S8_S8_S8_EEEEPS9_S9_NSD_9__find_if7functorIS9_EEEE10hipError_tPvRmT1_T2_T3_mT4_P12ihipStream_tbEUlT_E0_NS1_11comp_targetILNS1_3genE10ELNS1_11target_archE1200ELNS1_3gpuE4ELNS1_3repE0EEENS1_30default_config_static_selectorELNS0_4arch9wavefront6targetE1EEEvS17_
		.amdhsa_group_segment_fixed_size 0
		.amdhsa_private_segment_fixed_size 0
		.amdhsa_kernarg_size 96
		.amdhsa_user_sgpr_count 6
		.amdhsa_user_sgpr_private_segment_buffer 1
		.amdhsa_user_sgpr_dispatch_ptr 0
		.amdhsa_user_sgpr_queue_ptr 0
		.amdhsa_user_sgpr_kernarg_segment_ptr 1
		.amdhsa_user_sgpr_dispatch_id 0
		.amdhsa_user_sgpr_flat_scratch_init 0
		.amdhsa_user_sgpr_kernarg_preload_length 0
		.amdhsa_user_sgpr_kernarg_preload_offset 0
		.amdhsa_user_sgpr_private_segment_size 0
		.amdhsa_uses_dynamic_stack 0
		.amdhsa_system_sgpr_private_segment_wavefront_offset 0
		.amdhsa_system_sgpr_workgroup_id_x 1
		.amdhsa_system_sgpr_workgroup_id_y 0
		.amdhsa_system_sgpr_workgroup_id_z 0
		.amdhsa_system_sgpr_workgroup_info 0
		.amdhsa_system_vgpr_workitem_id 0
		.amdhsa_next_free_vgpr 1
		.amdhsa_next_free_sgpr 0
		.amdhsa_accum_offset 4
		.amdhsa_reserve_vcc 0
		.amdhsa_reserve_flat_scratch 0
		.amdhsa_float_round_mode_32 0
		.amdhsa_float_round_mode_16_64 0
		.amdhsa_float_denorm_mode_32 3
		.amdhsa_float_denorm_mode_16_64 3
		.amdhsa_dx10_clamp 1
		.amdhsa_ieee_mode 1
		.amdhsa_fp16_overflow 0
		.amdhsa_tg_split 0
		.amdhsa_exception_fp_ieee_invalid_op 0
		.amdhsa_exception_fp_denorm_src 0
		.amdhsa_exception_fp_ieee_div_zero 0
		.amdhsa_exception_fp_ieee_overflow 0
		.amdhsa_exception_fp_ieee_underflow 0
		.amdhsa_exception_fp_ieee_inexact 0
		.amdhsa_exception_int_div_zero 0
	.end_amdhsa_kernel
	.section	.text._ZN7rocprim17ROCPRIM_400000_NS6detail17trampoline_kernelINS0_14default_configENS1_22reduce_config_selectorIN6thrust23THRUST_200600_302600_NS5tupleIblNS6_9null_typeES8_S8_S8_S8_S8_S8_S8_EEEEZNS1_11reduce_implILb1ES3_NS6_12zip_iteratorINS7_INS6_11hip_rocprim26transform_input_iterator_tIbPdNS6_6detail10functional5actorINSH_9compositeIJNSH_27transparent_binary_operatorINS6_8equal_toIvEEEENSI_INSH_8argumentILj0EEEEENSH_5valueIdEEEEEEEEENSD_19counting_iterator_tIlEES8_S8_S8_S8_S8_S8_S8_S8_EEEEPS9_S9_NSD_9__find_if7functorIS9_EEEE10hipError_tPvRmT1_T2_T3_mT4_P12ihipStream_tbEUlT_E0_NS1_11comp_targetILNS1_3genE10ELNS1_11target_archE1200ELNS1_3gpuE4ELNS1_3repE0EEENS1_30default_config_static_selectorELNS0_4arch9wavefront6targetE1EEEvS17_,"axG",@progbits,_ZN7rocprim17ROCPRIM_400000_NS6detail17trampoline_kernelINS0_14default_configENS1_22reduce_config_selectorIN6thrust23THRUST_200600_302600_NS5tupleIblNS6_9null_typeES8_S8_S8_S8_S8_S8_S8_EEEEZNS1_11reduce_implILb1ES3_NS6_12zip_iteratorINS7_INS6_11hip_rocprim26transform_input_iterator_tIbPdNS6_6detail10functional5actorINSH_9compositeIJNSH_27transparent_binary_operatorINS6_8equal_toIvEEEENSI_INSH_8argumentILj0EEEEENSH_5valueIdEEEEEEEEENSD_19counting_iterator_tIlEES8_S8_S8_S8_S8_S8_S8_S8_EEEEPS9_S9_NSD_9__find_if7functorIS9_EEEE10hipError_tPvRmT1_T2_T3_mT4_P12ihipStream_tbEUlT_E0_NS1_11comp_targetILNS1_3genE10ELNS1_11target_archE1200ELNS1_3gpuE4ELNS1_3repE0EEENS1_30default_config_static_selectorELNS0_4arch9wavefront6targetE1EEEvS17_,comdat
.Lfunc_end1730:
	.size	_ZN7rocprim17ROCPRIM_400000_NS6detail17trampoline_kernelINS0_14default_configENS1_22reduce_config_selectorIN6thrust23THRUST_200600_302600_NS5tupleIblNS6_9null_typeES8_S8_S8_S8_S8_S8_S8_EEEEZNS1_11reduce_implILb1ES3_NS6_12zip_iteratorINS7_INS6_11hip_rocprim26transform_input_iterator_tIbPdNS6_6detail10functional5actorINSH_9compositeIJNSH_27transparent_binary_operatorINS6_8equal_toIvEEEENSI_INSH_8argumentILj0EEEEENSH_5valueIdEEEEEEEEENSD_19counting_iterator_tIlEES8_S8_S8_S8_S8_S8_S8_S8_EEEEPS9_S9_NSD_9__find_if7functorIS9_EEEE10hipError_tPvRmT1_T2_T3_mT4_P12ihipStream_tbEUlT_E0_NS1_11comp_targetILNS1_3genE10ELNS1_11target_archE1200ELNS1_3gpuE4ELNS1_3repE0EEENS1_30default_config_static_selectorELNS0_4arch9wavefront6targetE1EEEvS17_, .Lfunc_end1730-_ZN7rocprim17ROCPRIM_400000_NS6detail17trampoline_kernelINS0_14default_configENS1_22reduce_config_selectorIN6thrust23THRUST_200600_302600_NS5tupleIblNS6_9null_typeES8_S8_S8_S8_S8_S8_S8_EEEEZNS1_11reduce_implILb1ES3_NS6_12zip_iteratorINS7_INS6_11hip_rocprim26transform_input_iterator_tIbPdNS6_6detail10functional5actorINSH_9compositeIJNSH_27transparent_binary_operatorINS6_8equal_toIvEEEENSI_INSH_8argumentILj0EEEEENSH_5valueIdEEEEEEEEENSD_19counting_iterator_tIlEES8_S8_S8_S8_S8_S8_S8_S8_EEEEPS9_S9_NSD_9__find_if7functorIS9_EEEE10hipError_tPvRmT1_T2_T3_mT4_P12ihipStream_tbEUlT_E0_NS1_11comp_targetILNS1_3genE10ELNS1_11target_archE1200ELNS1_3gpuE4ELNS1_3repE0EEENS1_30default_config_static_selectorELNS0_4arch9wavefront6targetE1EEEvS17_
                                        ; -- End function
	.section	.AMDGPU.csdata,"",@progbits
; Kernel info:
; codeLenInByte = 0
; NumSgprs: 4
; NumVgprs: 0
; NumAgprs: 0
; TotalNumVgprs: 0
; ScratchSize: 0
; MemoryBound: 0
; FloatMode: 240
; IeeeMode: 1
; LDSByteSize: 0 bytes/workgroup (compile time only)
; SGPRBlocks: 0
; VGPRBlocks: 0
; NumSGPRsForWavesPerEU: 4
; NumVGPRsForWavesPerEU: 1
; AccumOffset: 4
; Occupancy: 8
; WaveLimiterHint : 0
; COMPUTE_PGM_RSRC2:SCRATCH_EN: 0
; COMPUTE_PGM_RSRC2:USER_SGPR: 6
; COMPUTE_PGM_RSRC2:TRAP_HANDLER: 0
; COMPUTE_PGM_RSRC2:TGID_X_EN: 1
; COMPUTE_PGM_RSRC2:TGID_Y_EN: 0
; COMPUTE_PGM_RSRC2:TGID_Z_EN: 0
; COMPUTE_PGM_RSRC2:TIDIG_COMP_CNT: 0
; COMPUTE_PGM_RSRC3_GFX90A:ACCUM_OFFSET: 0
; COMPUTE_PGM_RSRC3_GFX90A:TG_SPLIT: 0
	.section	.text._ZN7rocprim17ROCPRIM_400000_NS6detail17trampoline_kernelINS0_14default_configENS1_22reduce_config_selectorIN6thrust23THRUST_200600_302600_NS5tupleIblNS6_9null_typeES8_S8_S8_S8_S8_S8_S8_EEEEZNS1_11reduce_implILb1ES3_NS6_12zip_iteratorINS7_INS6_11hip_rocprim26transform_input_iterator_tIbPdNS6_6detail10functional5actorINSH_9compositeIJNSH_27transparent_binary_operatorINS6_8equal_toIvEEEENSI_INSH_8argumentILj0EEEEENSH_5valueIdEEEEEEEEENSD_19counting_iterator_tIlEES8_S8_S8_S8_S8_S8_S8_S8_EEEEPS9_S9_NSD_9__find_if7functorIS9_EEEE10hipError_tPvRmT1_T2_T3_mT4_P12ihipStream_tbEUlT_E0_NS1_11comp_targetILNS1_3genE9ELNS1_11target_archE1100ELNS1_3gpuE3ELNS1_3repE0EEENS1_30default_config_static_selectorELNS0_4arch9wavefront6targetE1EEEvS17_,"axG",@progbits,_ZN7rocprim17ROCPRIM_400000_NS6detail17trampoline_kernelINS0_14default_configENS1_22reduce_config_selectorIN6thrust23THRUST_200600_302600_NS5tupleIblNS6_9null_typeES8_S8_S8_S8_S8_S8_S8_EEEEZNS1_11reduce_implILb1ES3_NS6_12zip_iteratorINS7_INS6_11hip_rocprim26transform_input_iterator_tIbPdNS6_6detail10functional5actorINSH_9compositeIJNSH_27transparent_binary_operatorINS6_8equal_toIvEEEENSI_INSH_8argumentILj0EEEEENSH_5valueIdEEEEEEEEENSD_19counting_iterator_tIlEES8_S8_S8_S8_S8_S8_S8_S8_EEEEPS9_S9_NSD_9__find_if7functorIS9_EEEE10hipError_tPvRmT1_T2_T3_mT4_P12ihipStream_tbEUlT_E0_NS1_11comp_targetILNS1_3genE9ELNS1_11target_archE1100ELNS1_3gpuE3ELNS1_3repE0EEENS1_30default_config_static_selectorELNS0_4arch9wavefront6targetE1EEEvS17_,comdat
	.protected	_ZN7rocprim17ROCPRIM_400000_NS6detail17trampoline_kernelINS0_14default_configENS1_22reduce_config_selectorIN6thrust23THRUST_200600_302600_NS5tupleIblNS6_9null_typeES8_S8_S8_S8_S8_S8_S8_EEEEZNS1_11reduce_implILb1ES3_NS6_12zip_iteratorINS7_INS6_11hip_rocprim26transform_input_iterator_tIbPdNS6_6detail10functional5actorINSH_9compositeIJNSH_27transparent_binary_operatorINS6_8equal_toIvEEEENSI_INSH_8argumentILj0EEEEENSH_5valueIdEEEEEEEEENSD_19counting_iterator_tIlEES8_S8_S8_S8_S8_S8_S8_S8_EEEEPS9_S9_NSD_9__find_if7functorIS9_EEEE10hipError_tPvRmT1_T2_T3_mT4_P12ihipStream_tbEUlT_E0_NS1_11comp_targetILNS1_3genE9ELNS1_11target_archE1100ELNS1_3gpuE3ELNS1_3repE0EEENS1_30default_config_static_selectorELNS0_4arch9wavefront6targetE1EEEvS17_ ; -- Begin function _ZN7rocprim17ROCPRIM_400000_NS6detail17trampoline_kernelINS0_14default_configENS1_22reduce_config_selectorIN6thrust23THRUST_200600_302600_NS5tupleIblNS6_9null_typeES8_S8_S8_S8_S8_S8_S8_EEEEZNS1_11reduce_implILb1ES3_NS6_12zip_iteratorINS7_INS6_11hip_rocprim26transform_input_iterator_tIbPdNS6_6detail10functional5actorINSH_9compositeIJNSH_27transparent_binary_operatorINS6_8equal_toIvEEEENSI_INSH_8argumentILj0EEEEENSH_5valueIdEEEEEEEEENSD_19counting_iterator_tIlEES8_S8_S8_S8_S8_S8_S8_S8_EEEEPS9_S9_NSD_9__find_if7functorIS9_EEEE10hipError_tPvRmT1_T2_T3_mT4_P12ihipStream_tbEUlT_E0_NS1_11comp_targetILNS1_3genE9ELNS1_11target_archE1100ELNS1_3gpuE3ELNS1_3repE0EEENS1_30default_config_static_selectorELNS0_4arch9wavefront6targetE1EEEvS17_
	.globl	_ZN7rocprim17ROCPRIM_400000_NS6detail17trampoline_kernelINS0_14default_configENS1_22reduce_config_selectorIN6thrust23THRUST_200600_302600_NS5tupleIblNS6_9null_typeES8_S8_S8_S8_S8_S8_S8_EEEEZNS1_11reduce_implILb1ES3_NS6_12zip_iteratorINS7_INS6_11hip_rocprim26transform_input_iterator_tIbPdNS6_6detail10functional5actorINSH_9compositeIJNSH_27transparent_binary_operatorINS6_8equal_toIvEEEENSI_INSH_8argumentILj0EEEEENSH_5valueIdEEEEEEEEENSD_19counting_iterator_tIlEES8_S8_S8_S8_S8_S8_S8_S8_EEEEPS9_S9_NSD_9__find_if7functorIS9_EEEE10hipError_tPvRmT1_T2_T3_mT4_P12ihipStream_tbEUlT_E0_NS1_11comp_targetILNS1_3genE9ELNS1_11target_archE1100ELNS1_3gpuE3ELNS1_3repE0EEENS1_30default_config_static_selectorELNS0_4arch9wavefront6targetE1EEEvS17_
	.p2align	8
	.type	_ZN7rocprim17ROCPRIM_400000_NS6detail17trampoline_kernelINS0_14default_configENS1_22reduce_config_selectorIN6thrust23THRUST_200600_302600_NS5tupleIblNS6_9null_typeES8_S8_S8_S8_S8_S8_S8_EEEEZNS1_11reduce_implILb1ES3_NS6_12zip_iteratorINS7_INS6_11hip_rocprim26transform_input_iterator_tIbPdNS6_6detail10functional5actorINSH_9compositeIJNSH_27transparent_binary_operatorINS6_8equal_toIvEEEENSI_INSH_8argumentILj0EEEEENSH_5valueIdEEEEEEEEENSD_19counting_iterator_tIlEES8_S8_S8_S8_S8_S8_S8_S8_EEEEPS9_S9_NSD_9__find_if7functorIS9_EEEE10hipError_tPvRmT1_T2_T3_mT4_P12ihipStream_tbEUlT_E0_NS1_11comp_targetILNS1_3genE9ELNS1_11target_archE1100ELNS1_3gpuE3ELNS1_3repE0EEENS1_30default_config_static_selectorELNS0_4arch9wavefront6targetE1EEEvS17_,@function
_ZN7rocprim17ROCPRIM_400000_NS6detail17trampoline_kernelINS0_14default_configENS1_22reduce_config_selectorIN6thrust23THRUST_200600_302600_NS5tupleIblNS6_9null_typeES8_S8_S8_S8_S8_S8_S8_EEEEZNS1_11reduce_implILb1ES3_NS6_12zip_iteratorINS7_INS6_11hip_rocprim26transform_input_iterator_tIbPdNS6_6detail10functional5actorINSH_9compositeIJNSH_27transparent_binary_operatorINS6_8equal_toIvEEEENSI_INSH_8argumentILj0EEEEENSH_5valueIdEEEEEEEEENSD_19counting_iterator_tIlEES8_S8_S8_S8_S8_S8_S8_S8_EEEEPS9_S9_NSD_9__find_if7functorIS9_EEEE10hipError_tPvRmT1_T2_T3_mT4_P12ihipStream_tbEUlT_E0_NS1_11comp_targetILNS1_3genE9ELNS1_11target_archE1100ELNS1_3gpuE3ELNS1_3repE0EEENS1_30default_config_static_selectorELNS0_4arch9wavefront6targetE1EEEvS17_: ; @_ZN7rocprim17ROCPRIM_400000_NS6detail17trampoline_kernelINS0_14default_configENS1_22reduce_config_selectorIN6thrust23THRUST_200600_302600_NS5tupleIblNS6_9null_typeES8_S8_S8_S8_S8_S8_S8_EEEEZNS1_11reduce_implILb1ES3_NS6_12zip_iteratorINS7_INS6_11hip_rocprim26transform_input_iterator_tIbPdNS6_6detail10functional5actorINSH_9compositeIJNSH_27transparent_binary_operatorINS6_8equal_toIvEEEENSI_INSH_8argumentILj0EEEEENSH_5valueIdEEEEEEEEENSD_19counting_iterator_tIlEES8_S8_S8_S8_S8_S8_S8_S8_EEEEPS9_S9_NSD_9__find_if7functorIS9_EEEE10hipError_tPvRmT1_T2_T3_mT4_P12ihipStream_tbEUlT_E0_NS1_11comp_targetILNS1_3genE9ELNS1_11target_archE1100ELNS1_3gpuE3ELNS1_3repE0EEENS1_30default_config_static_selectorELNS0_4arch9wavefront6targetE1EEEvS17_
; %bb.0:
	.section	.rodata,"a",@progbits
	.p2align	6, 0x0
	.amdhsa_kernel _ZN7rocprim17ROCPRIM_400000_NS6detail17trampoline_kernelINS0_14default_configENS1_22reduce_config_selectorIN6thrust23THRUST_200600_302600_NS5tupleIblNS6_9null_typeES8_S8_S8_S8_S8_S8_S8_EEEEZNS1_11reduce_implILb1ES3_NS6_12zip_iteratorINS7_INS6_11hip_rocprim26transform_input_iterator_tIbPdNS6_6detail10functional5actorINSH_9compositeIJNSH_27transparent_binary_operatorINS6_8equal_toIvEEEENSI_INSH_8argumentILj0EEEEENSH_5valueIdEEEEEEEEENSD_19counting_iterator_tIlEES8_S8_S8_S8_S8_S8_S8_S8_EEEEPS9_S9_NSD_9__find_if7functorIS9_EEEE10hipError_tPvRmT1_T2_T3_mT4_P12ihipStream_tbEUlT_E0_NS1_11comp_targetILNS1_3genE9ELNS1_11target_archE1100ELNS1_3gpuE3ELNS1_3repE0EEENS1_30default_config_static_selectorELNS0_4arch9wavefront6targetE1EEEvS17_
		.amdhsa_group_segment_fixed_size 0
		.amdhsa_private_segment_fixed_size 0
		.amdhsa_kernarg_size 96
		.amdhsa_user_sgpr_count 6
		.amdhsa_user_sgpr_private_segment_buffer 1
		.amdhsa_user_sgpr_dispatch_ptr 0
		.amdhsa_user_sgpr_queue_ptr 0
		.amdhsa_user_sgpr_kernarg_segment_ptr 1
		.amdhsa_user_sgpr_dispatch_id 0
		.amdhsa_user_sgpr_flat_scratch_init 0
		.amdhsa_user_sgpr_kernarg_preload_length 0
		.amdhsa_user_sgpr_kernarg_preload_offset 0
		.amdhsa_user_sgpr_private_segment_size 0
		.amdhsa_uses_dynamic_stack 0
		.amdhsa_system_sgpr_private_segment_wavefront_offset 0
		.amdhsa_system_sgpr_workgroup_id_x 1
		.amdhsa_system_sgpr_workgroup_id_y 0
		.amdhsa_system_sgpr_workgroup_id_z 0
		.amdhsa_system_sgpr_workgroup_info 0
		.amdhsa_system_vgpr_workitem_id 0
		.amdhsa_next_free_vgpr 1
		.amdhsa_next_free_sgpr 0
		.amdhsa_accum_offset 4
		.amdhsa_reserve_vcc 0
		.amdhsa_reserve_flat_scratch 0
		.amdhsa_float_round_mode_32 0
		.amdhsa_float_round_mode_16_64 0
		.amdhsa_float_denorm_mode_32 3
		.amdhsa_float_denorm_mode_16_64 3
		.amdhsa_dx10_clamp 1
		.amdhsa_ieee_mode 1
		.amdhsa_fp16_overflow 0
		.amdhsa_tg_split 0
		.amdhsa_exception_fp_ieee_invalid_op 0
		.amdhsa_exception_fp_denorm_src 0
		.amdhsa_exception_fp_ieee_div_zero 0
		.amdhsa_exception_fp_ieee_overflow 0
		.amdhsa_exception_fp_ieee_underflow 0
		.amdhsa_exception_fp_ieee_inexact 0
		.amdhsa_exception_int_div_zero 0
	.end_amdhsa_kernel
	.section	.text._ZN7rocprim17ROCPRIM_400000_NS6detail17trampoline_kernelINS0_14default_configENS1_22reduce_config_selectorIN6thrust23THRUST_200600_302600_NS5tupleIblNS6_9null_typeES8_S8_S8_S8_S8_S8_S8_EEEEZNS1_11reduce_implILb1ES3_NS6_12zip_iteratorINS7_INS6_11hip_rocprim26transform_input_iterator_tIbPdNS6_6detail10functional5actorINSH_9compositeIJNSH_27transparent_binary_operatorINS6_8equal_toIvEEEENSI_INSH_8argumentILj0EEEEENSH_5valueIdEEEEEEEEENSD_19counting_iterator_tIlEES8_S8_S8_S8_S8_S8_S8_S8_EEEEPS9_S9_NSD_9__find_if7functorIS9_EEEE10hipError_tPvRmT1_T2_T3_mT4_P12ihipStream_tbEUlT_E0_NS1_11comp_targetILNS1_3genE9ELNS1_11target_archE1100ELNS1_3gpuE3ELNS1_3repE0EEENS1_30default_config_static_selectorELNS0_4arch9wavefront6targetE1EEEvS17_,"axG",@progbits,_ZN7rocprim17ROCPRIM_400000_NS6detail17trampoline_kernelINS0_14default_configENS1_22reduce_config_selectorIN6thrust23THRUST_200600_302600_NS5tupleIblNS6_9null_typeES8_S8_S8_S8_S8_S8_S8_EEEEZNS1_11reduce_implILb1ES3_NS6_12zip_iteratorINS7_INS6_11hip_rocprim26transform_input_iterator_tIbPdNS6_6detail10functional5actorINSH_9compositeIJNSH_27transparent_binary_operatorINS6_8equal_toIvEEEENSI_INSH_8argumentILj0EEEEENSH_5valueIdEEEEEEEEENSD_19counting_iterator_tIlEES8_S8_S8_S8_S8_S8_S8_S8_EEEEPS9_S9_NSD_9__find_if7functorIS9_EEEE10hipError_tPvRmT1_T2_T3_mT4_P12ihipStream_tbEUlT_E0_NS1_11comp_targetILNS1_3genE9ELNS1_11target_archE1100ELNS1_3gpuE3ELNS1_3repE0EEENS1_30default_config_static_selectorELNS0_4arch9wavefront6targetE1EEEvS17_,comdat
.Lfunc_end1731:
	.size	_ZN7rocprim17ROCPRIM_400000_NS6detail17trampoline_kernelINS0_14default_configENS1_22reduce_config_selectorIN6thrust23THRUST_200600_302600_NS5tupleIblNS6_9null_typeES8_S8_S8_S8_S8_S8_S8_EEEEZNS1_11reduce_implILb1ES3_NS6_12zip_iteratorINS7_INS6_11hip_rocprim26transform_input_iterator_tIbPdNS6_6detail10functional5actorINSH_9compositeIJNSH_27transparent_binary_operatorINS6_8equal_toIvEEEENSI_INSH_8argumentILj0EEEEENSH_5valueIdEEEEEEEEENSD_19counting_iterator_tIlEES8_S8_S8_S8_S8_S8_S8_S8_EEEEPS9_S9_NSD_9__find_if7functorIS9_EEEE10hipError_tPvRmT1_T2_T3_mT4_P12ihipStream_tbEUlT_E0_NS1_11comp_targetILNS1_3genE9ELNS1_11target_archE1100ELNS1_3gpuE3ELNS1_3repE0EEENS1_30default_config_static_selectorELNS0_4arch9wavefront6targetE1EEEvS17_, .Lfunc_end1731-_ZN7rocprim17ROCPRIM_400000_NS6detail17trampoline_kernelINS0_14default_configENS1_22reduce_config_selectorIN6thrust23THRUST_200600_302600_NS5tupleIblNS6_9null_typeES8_S8_S8_S8_S8_S8_S8_EEEEZNS1_11reduce_implILb1ES3_NS6_12zip_iteratorINS7_INS6_11hip_rocprim26transform_input_iterator_tIbPdNS6_6detail10functional5actorINSH_9compositeIJNSH_27transparent_binary_operatorINS6_8equal_toIvEEEENSI_INSH_8argumentILj0EEEEENSH_5valueIdEEEEEEEEENSD_19counting_iterator_tIlEES8_S8_S8_S8_S8_S8_S8_S8_EEEEPS9_S9_NSD_9__find_if7functorIS9_EEEE10hipError_tPvRmT1_T2_T3_mT4_P12ihipStream_tbEUlT_E0_NS1_11comp_targetILNS1_3genE9ELNS1_11target_archE1100ELNS1_3gpuE3ELNS1_3repE0EEENS1_30default_config_static_selectorELNS0_4arch9wavefront6targetE1EEEvS17_
                                        ; -- End function
	.section	.AMDGPU.csdata,"",@progbits
; Kernel info:
; codeLenInByte = 0
; NumSgprs: 4
; NumVgprs: 0
; NumAgprs: 0
; TotalNumVgprs: 0
; ScratchSize: 0
; MemoryBound: 0
; FloatMode: 240
; IeeeMode: 1
; LDSByteSize: 0 bytes/workgroup (compile time only)
; SGPRBlocks: 0
; VGPRBlocks: 0
; NumSGPRsForWavesPerEU: 4
; NumVGPRsForWavesPerEU: 1
; AccumOffset: 4
; Occupancy: 8
; WaveLimiterHint : 0
; COMPUTE_PGM_RSRC2:SCRATCH_EN: 0
; COMPUTE_PGM_RSRC2:USER_SGPR: 6
; COMPUTE_PGM_RSRC2:TRAP_HANDLER: 0
; COMPUTE_PGM_RSRC2:TGID_X_EN: 1
; COMPUTE_PGM_RSRC2:TGID_Y_EN: 0
; COMPUTE_PGM_RSRC2:TGID_Z_EN: 0
; COMPUTE_PGM_RSRC2:TIDIG_COMP_CNT: 0
; COMPUTE_PGM_RSRC3_GFX90A:ACCUM_OFFSET: 0
; COMPUTE_PGM_RSRC3_GFX90A:TG_SPLIT: 0
	.section	.text._ZN7rocprim17ROCPRIM_400000_NS6detail17trampoline_kernelINS0_14default_configENS1_22reduce_config_selectorIN6thrust23THRUST_200600_302600_NS5tupleIblNS6_9null_typeES8_S8_S8_S8_S8_S8_S8_EEEEZNS1_11reduce_implILb1ES3_NS6_12zip_iteratorINS7_INS6_11hip_rocprim26transform_input_iterator_tIbPdNS6_6detail10functional5actorINSH_9compositeIJNSH_27transparent_binary_operatorINS6_8equal_toIvEEEENSI_INSH_8argumentILj0EEEEENSH_5valueIdEEEEEEEEENSD_19counting_iterator_tIlEES8_S8_S8_S8_S8_S8_S8_S8_EEEEPS9_S9_NSD_9__find_if7functorIS9_EEEE10hipError_tPvRmT1_T2_T3_mT4_P12ihipStream_tbEUlT_E0_NS1_11comp_targetILNS1_3genE8ELNS1_11target_archE1030ELNS1_3gpuE2ELNS1_3repE0EEENS1_30default_config_static_selectorELNS0_4arch9wavefront6targetE1EEEvS17_,"axG",@progbits,_ZN7rocprim17ROCPRIM_400000_NS6detail17trampoline_kernelINS0_14default_configENS1_22reduce_config_selectorIN6thrust23THRUST_200600_302600_NS5tupleIblNS6_9null_typeES8_S8_S8_S8_S8_S8_S8_EEEEZNS1_11reduce_implILb1ES3_NS6_12zip_iteratorINS7_INS6_11hip_rocprim26transform_input_iterator_tIbPdNS6_6detail10functional5actorINSH_9compositeIJNSH_27transparent_binary_operatorINS6_8equal_toIvEEEENSI_INSH_8argumentILj0EEEEENSH_5valueIdEEEEEEEEENSD_19counting_iterator_tIlEES8_S8_S8_S8_S8_S8_S8_S8_EEEEPS9_S9_NSD_9__find_if7functorIS9_EEEE10hipError_tPvRmT1_T2_T3_mT4_P12ihipStream_tbEUlT_E0_NS1_11comp_targetILNS1_3genE8ELNS1_11target_archE1030ELNS1_3gpuE2ELNS1_3repE0EEENS1_30default_config_static_selectorELNS0_4arch9wavefront6targetE1EEEvS17_,comdat
	.protected	_ZN7rocprim17ROCPRIM_400000_NS6detail17trampoline_kernelINS0_14default_configENS1_22reduce_config_selectorIN6thrust23THRUST_200600_302600_NS5tupleIblNS6_9null_typeES8_S8_S8_S8_S8_S8_S8_EEEEZNS1_11reduce_implILb1ES3_NS6_12zip_iteratorINS7_INS6_11hip_rocprim26transform_input_iterator_tIbPdNS6_6detail10functional5actorINSH_9compositeIJNSH_27transparent_binary_operatorINS6_8equal_toIvEEEENSI_INSH_8argumentILj0EEEEENSH_5valueIdEEEEEEEEENSD_19counting_iterator_tIlEES8_S8_S8_S8_S8_S8_S8_S8_EEEEPS9_S9_NSD_9__find_if7functorIS9_EEEE10hipError_tPvRmT1_T2_T3_mT4_P12ihipStream_tbEUlT_E0_NS1_11comp_targetILNS1_3genE8ELNS1_11target_archE1030ELNS1_3gpuE2ELNS1_3repE0EEENS1_30default_config_static_selectorELNS0_4arch9wavefront6targetE1EEEvS17_ ; -- Begin function _ZN7rocprim17ROCPRIM_400000_NS6detail17trampoline_kernelINS0_14default_configENS1_22reduce_config_selectorIN6thrust23THRUST_200600_302600_NS5tupleIblNS6_9null_typeES8_S8_S8_S8_S8_S8_S8_EEEEZNS1_11reduce_implILb1ES3_NS6_12zip_iteratorINS7_INS6_11hip_rocprim26transform_input_iterator_tIbPdNS6_6detail10functional5actorINSH_9compositeIJNSH_27transparent_binary_operatorINS6_8equal_toIvEEEENSI_INSH_8argumentILj0EEEEENSH_5valueIdEEEEEEEEENSD_19counting_iterator_tIlEES8_S8_S8_S8_S8_S8_S8_S8_EEEEPS9_S9_NSD_9__find_if7functorIS9_EEEE10hipError_tPvRmT1_T2_T3_mT4_P12ihipStream_tbEUlT_E0_NS1_11comp_targetILNS1_3genE8ELNS1_11target_archE1030ELNS1_3gpuE2ELNS1_3repE0EEENS1_30default_config_static_selectorELNS0_4arch9wavefront6targetE1EEEvS17_
	.globl	_ZN7rocprim17ROCPRIM_400000_NS6detail17trampoline_kernelINS0_14default_configENS1_22reduce_config_selectorIN6thrust23THRUST_200600_302600_NS5tupleIblNS6_9null_typeES8_S8_S8_S8_S8_S8_S8_EEEEZNS1_11reduce_implILb1ES3_NS6_12zip_iteratorINS7_INS6_11hip_rocprim26transform_input_iterator_tIbPdNS6_6detail10functional5actorINSH_9compositeIJNSH_27transparent_binary_operatorINS6_8equal_toIvEEEENSI_INSH_8argumentILj0EEEEENSH_5valueIdEEEEEEEEENSD_19counting_iterator_tIlEES8_S8_S8_S8_S8_S8_S8_S8_EEEEPS9_S9_NSD_9__find_if7functorIS9_EEEE10hipError_tPvRmT1_T2_T3_mT4_P12ihipStream_tbEUlT_E0_NS1_11comp_targetILNS1_3genE8ELNS1_11target_archE1030ELNS1_3gpuE2ELNS1_3repE0EEENS1_30default_config_static_selectorELNS0_4arch9wavefront6targetE1EEEvS17_
	.p2align	8
	.type	_ZN7rocprim17ROCPRIM_400000_NS6detail17trampoline_kernelINS0_14default_configENS1_22reduce_config_selectorIN6thrust23THRUST_200600_302600_NS5tupleIblNS6_9null_typeES8_S8_S8_S8_S8_S8_S8_EEEEZNS1_11reduce_implILb1ES3_NS6_12zip_iteratorINS7_INS6_11hip_rocprim26transform_input_iterator_tIbPdNS6_6detail10functional5actorINSH_9compositeIJNSH_27transparent_binary_operatorINS6_8equal_toIvEEEENSI_INSH_8argumentILj0EEEEENSH_5valueIdEEEEEEEEENSD_19counting_iterator_tIlEES8_S8_S8_S8_S8_S8_S8_S8_EEEEPS9_S9_NSD_9__find_if7functorIS9_EEEE10hipError_tPvRmT1_T2_T3_mT4_P12ihipStream_tbEUlT_E0_NS1_11comp_targetILNS1_3genE8ELNS1_11target_archE1030ELNS1_3gpuE2ELNS1_3repE0EEENS1_30default_config_static_selectorELNS0_4arch9wavefront6targetE1EEEvS17_,@function
_ZN7rocprim17ROCPRIM_400000_NS6detail17trampoline_kernelINS0_14default_configENS1_22reduce_config_selectorIN6thrust23THRUST_200600_302600_NS5tupleIblNS6_9null_typeES8_S8_S8_S8_S8_S8_S8_EEEEZNS1_11reduce_implILb1ES3_NS6_12zip_iteratorINS7_INS6_11hip_rocprim26transform_input_iterator_tIbPdNS6_6detail10functional5actorINSH_9compositeIJNSH_27transparent_binary_operatorINS6_8equal_toIvEEEENSI_INSH_8argumentILj0EEEEENSH_5valueIdEEEEEEEEENSD_19counting_iterator_tIlEES8_S8_S8_S8_S8_S8_S8_S8_EEEEPS9_S9_NSD_9__find_if7functorIS9_EEEE10hipError_tPvRmT1_T2_T3_mT4_P12ihipStream_tbEUlT_E0_NS1_11comp_targetILNS1_3genE8ELNS1_11target_archE1030ELNS1_3gpuE2ELNS1_3repE0EEENS1_30default_config_static_selectorELNS0_4arch9wavefront6targetE1EEEvS17_: ; @_ZN7rocprim17ROCPRIM_400000_NS6detail17trampoline_kernelINS0_14default_configENS1_22reduce_config_selectorIN6thrust23THRUST_200600_302600_NS5tupleIblNS6_9null_typeES8_S8_S8_S8_S8_S8_S8_EEEEZNS1_11reduce_implILb1ES3_NS6_12zip_iteratorINS7_INS6_11hip_rocprim26transform_input_iterator_tIbPdNS6_6detail10functional5actorINSH_9compositeIJNSH_27transparent_binary_operatorINS6_8equal_toIvEEEENSI_INSH_8argumentILj0EEEEENSH_5valueIdEEEEEEEEENSD_19counting_iterator_tIlEES8_S8_S8_S8_S8_S8_S8_S8_EEEEPS9_S9_NSD_9__find_if7functorIS9_EEEE10hipError_tPvRmT1_T2_T3_mT4_P12ihipStream_tbEUlT_E0_NS1_11comp_targetILNS1_3genE8ELNS1_11target_archE1030ELNS1_3gpuE2ELNS1_3repE0EEENS1_30default_config_static_selectorELNS0_4arch9wavefront6targetE1EEEvS17_
; %bb.0:
	.section	.rodata,"a",@progbits
	.p2align	6, 0x0
	.amdhsa_kernel _ZN7rocprim17ROCPRIM_400000_NS6detail17trampoline_kernelINS0_14default_configENS1_22reduce_config_selectorIN6thrust23THRUST_200600_302600_NS5tupleIblNS6_9null_typeES8_S8_S8_S8_S8_S8_S8_EEEEZNS1_11reduce_implILb1ES3_NS6_12zip_iteratorINS7_INS6_11hip_rocprim26transform_input_iterator_tIbPdNS6_6detail10functional5actorINSH_9compositeIJNSH_27transparent_binary_operatorINS6_8equal_toIvEEEENSI_INSH_8argumentILj0EEEEENSH_5valueIdEEEEEEEEENSD_19counting_iterator_tIlEES8_S8_S8_S8_S8_S8_S8_S8_EEEEPS9_S9_NSD_9__find_if7functorIS9_EEEE10hipError_tPvRmT1_T2_T3_mT4_P12ihipStream_tbEUlT_E0_NS1_11comp_targetILNS1_3genE8ELNS1_11target_archE1030ELNS1_3gpuE2ELNS1_3repE0EEENS1_30default_config_static_selectorELNS0_4arch9wavefront6targetE1EEEvS17_
		.amdhsa_group_segment_fixed_size 0
		.amdhsa_private_segment_fixed_size 0
		.amdhsa_kernarg_size 96
		.amdhsa_user_sgpr_count 6
		.amdhsa_user_sgpr_private_segment_buffer 1
		.amdhsa_user_sgpr_dispatch_ptr 0
		.amdhsa_user_sgpr_queue_ptr 0
		.amdhsa_user_sgpr_kernarg_segment_ptr 1
		.amdhsa_user_sgpr_dispatch_id 0
		.amdhsa_user_sgpr_flat_scratch_init 0
		.amdhsa_user_sgpr_kernarg_preload_length 0
		.amdhsa_user_sgpr_kernarg_preload_offset 0
		.amdhsa_user_sgpr_private_segment_size 0
		.amdhsa_uses_dynamic_stack 0
		.amdhsa_system_sgpr_private_segment_wavefront_offset 0
		.amdhsa_system_sgpr_workgroup_id_x 1
		.amdhsa_system_sgpr_workgroup_id_y 0
		.amdhsa_system_sgpr_workgroup_id_z 0
		.amdhsa_system_sgpr_workgroup_info 0
		.amdhsa_system_vgpr_workitem_id 0
		.amdhsa_next_free_vgpr 1
		.amdhsa_next_free_sgpr 0
		.amdhsa_accum_offset 4
		.amdhsa_reserve_vcc 0
		.amdhsa_reserve_flat_scratch 0
		.amdhsa_float_round_mode_32 0
		.amdhsa_float_round_mode_16_64 0
		.amdhsa_float_denorm_mode_32 3
		.amdhsa_float_denorm_mode_16_64 3
		.amdhsa_dx10_clamp 1
		.amdhsa_ieee_mode 1
		.amdhsa_fp16_overflow 0
		.amdhsa_tg_split 0
		.amdhsa_exception_fp_ieee_invalid_op 0
		.amdhsa_exception_fp_denorm_src 0
		.amdhsa_exception_fp_ieee_div_zero 0
		.amdhsa_exception_fp_ieee_overflow 0
		.amdhsa_exception_fp_ieee_underflow 0
		.amdhsa_exception_fp_ieee_inexact 0
		.amdhsa_exception_int_div_zero 0
	.end_amdhsa_kernel
	.section	.text._ZN7rocprim17ROCPRIM_400000_NS6detail17trampoline_kernelINS0_14default_configENS1_22reduce_config_selectorIN6thrust23THRUST_200600_302600_NS5tupleIblNS6_9null_typeES8_S8_S8_S8_S8_S8_S8_EEEEZNS1_11reduce_implILb1ES3_NS6_12zip_iteratorINS7_INS6_11hip_rocprim26transform_input_iterator_tIbPdNS6_6detail10functional5actorINSH_9compositeIJNSH_27transparent_binary_operatorINS6_8equal_toIvEEEENSI_INSH_8argumentILj0EEEEENSH_5valueIdEEEEEEEEENSD_19counting_iterator_tIlEES8_S8_S8_S8_S8_S8_S8_S8_EEEEPS9_S9_NSD_9__find_if7functorIS9_EEEE10hipError_tPvRmT1_T2_T3_mT4_P12ihipStream_tbEUlT_E0_NS1_11comp_targetILNS1_3genE8ELNS1_11target_archE1030ELNS1_3gpuE2ELNS1_3repE0EEENS1_30default_config_static_selectorELNS0_4arch9wavefront6targetE1EEEvS17_,"axG",@progbits,_ZN7rocprim17ROCPRIM_400000_NS6detail17trampoline_kernelINS0_14default_configENS1_22reduce_config_selectorIN6thrust23THRUST_200600_302600_NS5tupleIblNS6_9null_typeES8_S8_S8_S8_S8_S8_S8_EEEEZNS1_11reduce_implILb1ES3_NS6_12zip_iteratorINS7_INS6_11hip_rocprim26transform_input_iterator_tIbPdNS6_6detail10functional5actorINSH_9compositeIJNSH_27transparent_binary_operatorINS6_8equal_toIvEEEENSI_INSH_8argumentILj0EEEEENSH_5valueIdEEEEEEEEENSD_19counting_iterator_tIlEES8_S8_S8_S8_S8_S8_S8_S8_EEEEPS9_S9_NSD_9__find_if7functorIS9_EEEE10hipError_tPvRmT1_T2_T3_mT4_P12ihipStream_tbEUlT_E0_NS1_11comp_targetILNS1_3genE8ELNS1_11target_archE1030ELNS1_3gpuE2ELNS1_3repE0EEENS1_30default_config_static_selectorELNS0_4arch9wavefront6targetE1EEEvS17_,comdat
.Lfunc_end1732:
	.size	_ZN7rocprim17ROCPRIM_400000_NS6detail17trampoline_kernelINS0_14default_configENS1_22reduce_config_selectorIN6thrust23THRUST_200600_302600_NS5tupleIblNS6_9null_typeES8_S8_S8_S8_S8_S8_S8_EEEEZNS1_11reduce_implILb1ES3_NS6_12zip_iteratorINS7_INS6_11hip_rocprim26transform_input_iterator_tIbPdNS6_6detail10functional5actorINSH_9compositeIJNSH_27transparent_binary_operatorINS6_8equal_toIvEEEENSI_INSH_8argumentILj0EEEEENSH_5valueIdEEEEEEEEENSD_19counting_iterator_tIlEES8_S8_S8_S8_S8_S8_S8_S8_EEEEPS9_S9_NSD_9__find_if7functorIS9_EEEE10hipError_tPvRmT1_T2_T3_mT4_P12ihipStream_tbEUlT_E0_NS1_11comp_targetILNS1_3genE8ELNS1_11target_archE1030ELNS1_3gpuE2ELNS1_3repE0EEENS1_30default_config_static_selectorELNS0_4arch9wavefront6targetE1EEEvS17_, .Lfunc_end1732-_ZN7rocprim17ROCPRIM_400000_NS6detail17trampoline_kernelINS0_14default_configENS1_22reduce_config_selectorIN6thrust23THRUST_200600_302600_NS5tupleIblNS6_9null_typeES8_S8_S8_S8_S8_S8_S8_EEEEZNS1_11reduce_implILb1ES3_NS6_12zip_iteratorINS7_INS6_11hip_rocprim26transform_input_iterator_tIbPdNS6_6detail10functional5actorINSH_9compositeIJNSH_27transparent_binary_operatorINS6_8equal_toIvEEEENSI_INSH_8argumentILj0EEEEENSH_5valueIdEEEEEEEEENSD_19counting_iterator_tIlEES8_S8_S8_S8_S8_S8_S8_S8_EEEEPS9_S9_NSD_9__find_if7functorIS9_EEEE10hipError_tPvRmT1_T2_T3_mT4_P12ihipStream_tbEUlT_E0_NS1_11comp_targetILNS1_3genE8ELNS1_11target_archE1030ELNS1_3gpuE2ELNS1_3repE0EEENS1_30default_config_static_selectorELNS0_4arch9wavefront6targetE1EEEvS17_
                                        ; -- End function
	.section	.AMDGPU.csdata,"",@progbits
; Kernel info:
; codeLenInByte = 0
; NumSgprs: 4
; NumVgprs: 0
; NumAgprs: 0
; TotalNumVgprs: 0
; ScratchSize: 0
; MemoryBound: 0
; FloatMode: 240
; IeeeMode: 1
; LDSByteSize: 0 bytes/workgroup (compile time only)
; SGPRBlocks: 0
; VGPRBlocks: 0
; NumSGPRsForWavesPerEU: 4
; NumVGPRsForWavesPerEU: 1
; AccumOffset: 4
; Occupancy: 8
; WaveLimiterHint : 0
; COMPUTE_PGM_RSRC2:SCRATCH_EN: 0
; COMPUTE_PGM_RSRC2:USER_SGPR: 6
; COMPUTE_PGM_RSRC2:TRAP_HANDLER: 0
; COMPUTE_PGM_RSRC2:TGID_X_EN: 1
; COMPUTE_PGM_RSRC2:TGID_Y_EN: 0
; COMPUTE_PGM_RSRC2:TGID_Z_EN: 0
; COMPUTE_PGM_RSRC2:TIDIG_COMP_CNT: 0
; COMPUTE_PGM_RSRC3_GFX90A:ACCUM_OFFSET: 0
; COMPUTE_PGM_RSRC3_GFX90A:TG_SPLIT: 0
	.section	.text._ZN7rocprim17ROCPRIM_400000_NS6detail17trampoline_kernelINS0_14default_configENS1_22reduce_config_selectorIN6thrust23THRUST_200600_302600_NS5tupleIblNS6_9null_typeES8_S8_S8_S8_S8_S8_S8_EEEEZNS1_11reduce_implILb1ES3_NS6_12zip_iteratorINS7_INS6_11hip_rocprim26transform_input_iterator_tIbPdNS6_6detail10functional5actorINSH_9compositeIJNSH_27transparent_binary_operatorINS6_8equal_toIvEEEENSI_INSH_8argumentILj0EEEEENSH_5valueIdEEEEEEEEENSD_19counting_iterator_tIlEES8_S8_S8_S8_S8_S8_S8_S8_EEEEPS9_S9_NSD_9__find_if7functorIS9_EEEE10hipError_tPvRmT1_T2_T3_mT4_P12ihipStream_tbEUlT_E1_NS1_11comp_targetILNS1_3genE0ELNS1_11target_archE4294967295ELNS1_3gpuE0ELNS1_3repE0EEENS1_30default_config_static_selectorELNS0_4arch9wavefront6targetE1EEEvS17_,"axG",@progbits,_ZN7rocprim17ROCPRIM_400000_NS6detail17trampoline_kernelINS0_14default_configENS1_22reduce_config_selectorIN6thrust23THRUST_200600_302600_NS5tupleIblNS6_9null_typeES8_S8_S8_S8_S8_S8_S8_EEEEZNS1_11reduce_implILb1ES3_NS6_12zip_iteratorINS7_INS6_11hip_rocprim26transform_input_iterator_tIbPdNS6_6detail10functional5actorINSH_9compositeIJNSH_27transparent_binary_operatorINS6_8equal_toIvEEEENSI_INSH_8argumentILj0EEEEENSH_5valueIdEEEEEEEEENSD_19counting_iterator_tIlEES8_S8_S8_S8_S8_S8_S8_S8_EEEEPS9_S9_NSD_9__find_if7functorIS9_EEEE10hipError_tPvRmT1_T2_T3_mT4_P12ihipStream_tbEUlT_E1_NS1_11comp_targetILNS1_3genE0ELNS1_11target_archE4294967295ELNS1_3gpuE0ELNS1_3repE0EEENS1_30default_config_static_selectorELNS0_4arch9wavefront6targetE1EEEvS17_,comdat
	.protected	_ZN7rocprim17ROCPRIM_400000_NS6detail17trampoline_kernelINS0_14default_configENS1_22reduce_config_selectorIN6thrust23THRUST_200600_302600_NS5tupleIblNS6_9null_typeES8_S8_S8_S8_S8_S8_S8_EEEEZNS1_11reduce_implILb1ES3_NS6_12zip_iteratorINS7_INS6_11hip_rocprim26transform_input_iterator_tIbPdNS6_6detail10functional5actorINSH_9compositeIJNSH_27transparent_binary_operatorINS6_8equal_toIvEEEENSI_INSH_8argumentILj0EEEEENSH_5valueIdEEEEEEEEENSD_19counting_iterator_tIlEES8_S8_S8_S8_S8_S8_S8_S8_EEEEPS9_S9_NSD_9__find_if7functorIS9_EEEE10hipError_tPvRmT1_T2_T3_mT4_P12ihipStream_tbEUlT_E1_NS1_11comp_targetILNS1_3genE0ELNS1_11target_archE4294967295ELNS1_3gpuE0ELNS1_3repE0EEENS1_30default_config_static_selectorELNS0_4arch9wavefront6targetE1EEEvS17_ ; -- Begin function _ZN7rocprim17ROCPRIM_400000_NS6detail17trampoline_kernelINS0_14default_configENS1_22reduce_config_selectorIN6thrust23THRUST_200600_302600_NS5tupleIblNS6_9null_typeES8_S8_S8_S8_S8_S8_S8_EEEEZNS1_11reduce_implILb1ES3_NS6_12zip_iteratorINS7_INS6_11hip_rocprim26transform_input_iterator_tIbPdNS6_6detail10functional5actorINSH_9compositeIJNSH_27transparent_binary_operatorINS6_8equal_toIvEEEENSI_INSH_8argumentILj0EEEEENSH_5valueIdEEEEEEEEENSD_19counting_iterator_tIlEES8_S8_S8_S8_S8_S8_S8_S8_EEEEPS9_S9_NSD_9__find_if7functorIS9_EEEE10hipError_tPvRmT1_T2_T3_mT4_P12ihipStream_tbEUlT_E1_NS1_11comp_targetILNS1_3genE0ELNS1_11target_archE4294967295ELNS1_3gpuE0ELNS1_3repE0EEENS1_30default_config_static_selectorELNS0_4arch9wavefront6targetE1EEEvS17_
	.globl	_ZN7rocprim17ROCPRIM_400000_NS6detail17trampoline_kernelINS0_14default_configENS1_22reduce_config_selectorIN6thrust23THRUST_200600_302600_NS5tupleIblNS6_9null_typeES8_S8_S8_S8_S8_S8_S8_EEEEZNS1_11reduce_implILb1ES3_NS6_12zip_iteratorINS7_INS6_11hip_rocprim26transform_input_iterator_tIbPdNS6_6detail10functional5actorINSH_9compositeIJNSH_27transparent_binary_operatorINS6_8equal_toIvEEEENSI_INSH_8argumentILj0EEEEENSH_5valueIdEEEEEEEEENSD_19counting_iterator_tIlEES8_S8_S8_S8_S8_S8_S8_S8_EEEEPS9_S9_NSD_9__find_if7functorIS9_EEEE10hipError_tPvRmT1_T2_T3_mT4_P12ihipStream_tbEUlT_E1_NS1_11comp_targetILNS1_3genE0ELNS1_11target_archE4294967295ELNS1_3gpuE0ELNS1_3repE0EEENS1_30default_config_static_selectorELNS0_4arch9wavefront6targetE1EEEvS17_
	.p2align	8
	.type	_ZN7rocprim17ROCPRIM_400000_NS6detail17trampoline_kernelINS0_14default_configENS1_22reduce_config_selectorIN6thrust23THRUST_200600_302600_NS5tupleIblNS6_9null_typeES8_S8_S8_S8_S8_S8_S8_EEEEZNS1_11reduce_implILb1ES3_NS6_12zip_iteratorINS7_INS6_11hip_rocprim26transform_input_iterator_tIbPdNS6_6detail10functional5actorINSH_9compositeIJNSH_27transparent_binary_operatorINS6_8equal_toIvEEEENSI_INSH_8argumentILj0EEEEENSH_5valueIdEEEEEEEEENSD_19counting_iterator_tIlEES8_S8_S8_S8_S8_S8_S8_S8_EEEEPS9_S9_NSD_9__find_if7functorIS9_EEEE10hipError_tPvRmT1_T2_T3_mT4_P12ihipStream_tbEUlT_E1_NS1_11comp_targetILNS1_3genE0ELNS1_11target_archE4294967295ELNS1_3gpuE0ELNS1_3repE0EEENS1_30default_config_static_selectorELNS0_4arch9wavefront6targetE1EEEvS17_,@function
_ZN7rocprim17ROCPRIM_400000_NS6detail17trampoline_kernelINS0_14default_configENS1_22reduce_config_selectorIN6thrust23THRUST_200600_302600_NS5tupleIblNS6_9null_typeES8_S8_S8_S8_S8_S8_S8_EEEEZNS1_11reduce_implILb1ES3_NS6_12zip_iteratorINS7_INS6_11hip_rocprim26transform_input_iterator_tIbPdNS6_6detail10functional5actorINSH_9compositeIJNSH_27transparent_binary_operatorINS6_8equal_toIvEEEENSI_INSH_8argumentILj0EEEEENSH_5valueIdEEEEEEEEENSD_19counting_iterator_tIlEES8_S8_S8_S8_S8_S8_S8_S8_EEEEPS9_S9_NSD_9__find_if7functorIS9_EEEE10hipError_tPvRmT1_T2_T3_mT4_P12ihipStream_tbEUlT_E1_NS1_11comp_targetILNS1_3genE0ELNS1_11target_archE4294967295ELNS1_3gpuE0ELNS1_3repE0EEENS1_30default_config_static_selectorELNS0_4arch9wavefront6targetE1EEEvS17_: ; @_ZN7rocprim17ROCPRIM_400000_NS6detail17trampoline_kernelINS0_14default_configENS1_22reduce_config_selectorIN6thrust23THRUST_200600_302600_NS5tupleIblNS6_9null_typeES8_S8_S8_S8_S8_S8_S8_EEEEZNS1_11reduce_implILb1ES3_NS6_12zip_iteratorINS7_INS6_11hip_rocprim26transform_input_iterator_tIbPdNS6_6detail10functional5actorINSH_9compositeIJNSH_27transparent_binary_operatorINS6_8equal_toIvEEEENSI_INSH_8argumentILj0EEEEENSH_5valueIdEEEEEEEEENSD_19counting_iterator_tIlEES8_S8_S8_S8_S8_S8_S8_S8_EEEEPS9_S9_NSD_9__find_if7functorIS9_EEEE10hipError_tPvRmT1_T2_T3_mT4_P12ihipStream_tbEUlT_E1_NS1_11comp_targetILNS1_3genE0ELNS1_11target_archE4294967295ELNS1_3gpuE0ELNS1_3repE0EEENS1_30default_config_static_selectorELNS0_4arch9wavefront6targetE1EEEvS17_
; %bb.0:
	.section	.rodata,"a",@progbits
	.p2align	6, 0x0
	.amdhsa_kernel _ZN7rocprim17ROCPRIM_400000_NS6detail17trampoline_kernelINS0_14default_configENS1_22reduce_config_selectorIN6thrust23THRUST_200600_302600_NS5tupleIblNS6_9null_typeES8_S8_S8_S8_S8_S8_S8_EEEEZNS1_11reduce_implILb1ES3_NS6_12zip_iteratorINS7_INS6_11hip_rocprim26transform_input_iterator_tIbPdNS6_6detail10functional5actorINSH_9compositeIJNSH_27transparent_binary_operatorINS6_8equal_toIvEEEENSI_INSH_8argumentILj0EEEEENSH_5valueIdEEEEEEEEENSD_19counting_iterator_tIlEES8_S8_S8_S8_S8_S8_S8_S8_EEEEPS9_S9_NSD_9__find_if7functorIS9_EEEE10hipError_tPvRmT1_T2_T3_mT4_P12ihipStream_tbEUlT_E1_NS1_11comp_targetILNS1_3genE0ELNS1_11target_archE4294967295ELNS1_3gpuE0ELNS1_3repE0EEENS1_30default_config_static_selectorELNS0_4arch9wavefront6targetE1EEEvS17_
		.amdhsa_group_segment_fixed_size 0
		.amdhsa_private_segment_fixed_size 0
		.amdhsa_kernarg_size 80
		.amdhsa_user_sgpr_count 6
		.amdhsa_user_sgpr_private_segment_buffer 1
		.amdhsa_user_sgpr_dispatch_ptr 0
		.amdhsa_user_sgpr_queue_ptr 0
		.amdhsa_user_sgpr_kernarg_segment_ptr 1
		.amdhsa_user_sgpr_dispatch_id 0
		.amdhsa_user_sgpr_flat_scratch_init 0
		.amdhsa_user_sgpr_kernarg_preload_length 0
		.amdhsa_user_sgpr_kernarg_preload_offset 0
		.amdhsa_user_sgpr_private_segment_size 0
		.amdhsa_uses_dynamic_stack 0
		.amdhsa_system_sgpr_private_segment_wavefront_offset 0
		.amdhsa_system_sgpr_workgroup_id_x 1
		.amdhsa_system_sgpr_workgroup_id_y 0
		.amdhsa_system_sgpr_workgroup_id_z 0
		.amdhsa_system_sgpr_workgroup_info 0
		.amdhsa_system_vgpr_workitem_id 0
		.amdhsa_next_free_vgpr 1
		.amdhsa_next_free_sgpr 0
		.amdhsa_accum_offset 4
		.amdhsa_reserve_vcc 0
		.amdhsa_reserve_flat_scratch 0
		.amdhsa_float_round_mode_32 0
		.amdhsa_float_round_mode_16_64 0
		.amdhsa_float_denorm_mode_32 3
		.amdhsa_float_denorm_mode_16_64 3
		.amdhsa_dx10_clamp 1
		.amdhsa_ieee_mode 1
		.amdhsa_fp16_overflow 0
		.amdhsa_tg_split 0
		.amdhsa_exception_fp_ieee_invalid_op 0
		.amdhsa_exception_fp_denorm_src 0
		.amdhsa_exception_fp_ieee_div_zero 0
		.amdhsa_exception_fp_ieee_overflow 0
		.amdhsa_exception_fp_ieee_underflow 0
		.amdhsa_exception_fp_ieee_inexact 0
		.amdhsa_exception_int_div_zero 0
	.end_amdhsa_kernel
	.section	.text._ZN7rocprim17ROCPRIM_400000_NS6detail17trampoline_kernelINS0_14default_configENS1_22reduce_config_selectorIN6thrust23THRUST_200600_302600_NS5tupleIblNS6_9null_typeES8_S8_S8_S8_S8_S8_S8_EEEEZNS1_11reduce_implILb1ES3_NS6_12zip_iteratorINS7_INS6_11hip_rocprim26transform_input_iterator_tIbPdNS6_6detail10functional5actorINSH_9compositeIJNSH_27transparent_binary_operatorINS6_8equal_toIvEEEENSI_INSH_8argumentILj0EEEEENSH_5valueIdEEEEEEEEENSD_19counting_iterator_tIlEES8_S8_S8_S8_S8_S8_S8_S8_EEEEPS9_S9_NSD_9__find_if7functorIS9_EEEE10hipError_tPvRmT1_T2_T3_mT4_P12ihipStream_tbEUlT_E1_NS1_11comp_targetILNS1_3genE0ELNS1_11target_archE4294967295ELNS1_3gpuE0ELNS1_3repE0EEENS1_30default_config_static_selectorELNS0_4arch9wavefront6targetE1EEEvS17_,"axG",@progbits,_ZN7rocprim17ROCPRIM_400000_NS6detail17trampoline_kernelINS0_14default_configENS1_22reduce_config_selectorIN6thrust23THRUST_200600_302600_NS5tupleIblNS6_9null_typeES8_S8_S8_S8_S8_S8_S8_EEEEZNS1_11reduce_implILb1ES3_NS6_12zip_iteratorINS7_INS6_11hip_rocprim26transform_input_iterator_tIbPdNS6_6detail10functional5actorINSH_9compositeIJNSH_27transparent_binary_operatorINS6_8equal_toIvEEEENSI_INSH_8argumentILj0EEEEENSH_5valueIdEEEEEEEEENSD_19counting_iterator_tIlEES8_S8_S8_S8_S8_S8_S8_S8_EEEEPS9_S9_NSD_9__find_if7functorIS9_EEEE10hipError_tPvRmT1_T2_T3_mT4_P12ihipStream_tbEUlT_E1_NS1_11comp_targetILNS1_3genE0ELNS1_11target_archE4294967295ELNS1_3gpuE0ELNS1_3repE0EEENS1_30default_config_static_selectorELNS0_4arch9wavefront6targetE1EEEvS17_,comdat
.Lfunc_end1733:
	.size	_ZN7rocprim17ROCPRIM_400000_NS6detail17trampoline_kernelINS0_14default_configENS1_22reduce_config_selectorIN6thrust23THRUST_200600_302600_NS5tupleIblNS6_9null_typeES8_S8_S8_S8_S8_S8_S8_EEEEZNS1_11reduce_implILb1ES3_NS6_12zip_iteratorINS7_INS6_11hip_rocprim26transform_input_iterator_tIbPdNS6_6detail10functional5actorINSH_9compositeIJNSH_27transparent_binary_operatorINS6_8equal_toIvEEEENSI_INSH_8argumentILj0EEEEENSH_5valueIdEEEEEEEEENSD_19counting_iterator_tIlEES8_S8_S8_S8_S8_S8_S8_S8_EEEEPS9_S9_NSD_9__find_if7functorIS9_EEEE10hipError_tPvRmT1_T2_T3_mT4_P12ihipStream_tbEUlT_E1_NS1_11comp_targetILNS1_3genE0ELNS1_11target_archE4294967295ELNS1_3gpuE0ELNS1_3repE0EEENS1_30default_config_static_selectorELNS0_4arch9wavefront6targetE1EEEvS17_, .Lfunc_end1733-_ZN7rocprim17ROCPRIM_400000_NS6detail17trampoline_kernelINS0_14default_configENS1_22reduce_config_selectorIN6thrust23THRUST_200600_302600_NS5tupleIblNS6_9null_typeES8_S8_S8_S8_S8_S8_S8_EEEEZNS1_11reduce_implILb1ES3_NS6_12zip_iteratorINS7_INS6_11hip_rocprim26transform_input_iterator_tIbPdNS6_6detail10functional5actorINSH_9compositeIJNSH_27transparent_binary_operatorINS6_8equal_toIvEEEENSI_INSH_8argumentILj0EEEEENSH_5valueIdEEEEEEEEENSD_19counting_iterator_tIlEES8_S8_S8_S8_S8_S8_S8_S8_EEEEPS9_S9_NSD_9__find_if7functorIS9_EEEE10hipError_tPvRmT1_T2_T3_mT4_P12ihipStream_tbEUlT_E1_NS1_11comp_targetILNS1_3genE0ELNS1_11target_archE4294967295ELNS1_3gpuE0ELNS1_3repE0EEENS1_30default_config_static_selectorELNS0_4arch9wavefront6targetE1EEEvS17_
                                        ; -- End function
	.section	.AMDGPU.csdata,"",@progbits
; Kernel info:
; codeLenInByte = 0
; NumSgprs: 4
; NumVgprs: 0
; NumAgprs: 0
; TotalNumVgprs: 0
; ScratchSize: 0
; MemoryBound: 0
; FloatMode: 240
; IeeeMode: 1
; LDSByteSize: 0 bytes/workgroup (compile time only)
; SGPRBlocks: 0
; VGPRBlocks: 0
; NumSGPRsForWavesPerEU: 4
; NumVGPRsForWavesPerEU: 1
; AccumOffset: 4
; Occupancy: 8
; WaveLimiterHint : 0
; COMPUTE_PGM_RSRC2:SCRATCH_EN: 0
; COMPUTE_PGM_RSRC2:USER_SGPR: 6
; COMPUTE_PGM_RSRC2:TRAP_HANDLER: 0
; COMPUTE_PGM_RSRC2:TGID_X_EN: 1
; COMPUTE_PGM_RSRC2:TGID_Y_EN: 0
; COMPUTE_PGM_RSRC2:TGID_Z_EN: 0
; COMPUTE_PGM_RSRC2:TIDIG_COMP_CNT: 0
; COMPUTE_PGM_RSRC3_GFX90A:ACCUM_OFFSET: 0
; COMPUTE_PGM_RSRC3_GFX90A:TG_SPLIT: 0
	.section	.text._ZN7rocprim17ROCPRIM_400000_NS6detail17trampoline_kernelINS0_14default_configENS1_22reduce_config_selectorIN6thrust23THRUST_200600_302600_NS5tupleIblNS6_9null_typeES8_S8_S8_S8_S8_S8_S8_EEEEZNS1_11reduce_implILb1ES3_NS6_12zip_iteratorINS7_INS6_11hip_rocprim26transform_input_iterator_tIbPdNS6_6detail10functional5actorINSH_9compositeIJNSH_27transparent_binary_operatorINS6_8equal_toIvEEEENSI_INSH_8argumentILj0EEEEENSH_5valueIdEEEEEEEEENSD_19counting_iterator_tIlEES8_S8_S8_S8_S8_S8_S8_S8_EEEEPS9_S9_NSD_9__find_if7functorIS9_EEEE10hipError_tPvRmT1_T2_T3_mT4_P12ihipStream_tbEUlT_E1_NS1_11comp_targetILNS1_3genE5ELNS1_11target_archE942ELNS1_3gpuE9ELNS1_3repE0EEENS1_30default_config_static_selectorELNS0_4arch9wavefront6targetE1EEEvS17_,"axG",@progbits,_ZN7rocprim17ROCPRIM_400000_NS6detail17trampoline_kernelINS0_14default_configENS1_22reduce_config_selectorIN6thrust23THRUST_200600_302600_NS5tupleIblNS6_9null_typeES8_S8_S8_S8_S8_S8_S8_EEEEZNS1_11reduce_implILb1ES3_NS6_12zip_iteratorINS7_INS6_11hip_rocprim26transform_input_iterator_tIbPdNS6_6detail10functional5actorINSH_9compositeIJNSH_27transparent_binary_operatorINS6_8equal_toIvEEEENSI_INSH_8argumentILj0EEEEENSH_5valueIdEEEEEEEEENSD_19counting_iterator_tIlEES8_S8_S8_S8_S8_S8_S8_S8_EEEEPS9_S9_NSD_9__find_if7functorIS9_EEEE10hipError_tPvRmT1_T2_T3_mT4_P12ihipStream_tbEUlT_E1_NS1_11comp_targetILNS1_3genE5ELNS1_11target_archE942ELNS1_3gpuE9ELNS1_3repE0EEENS1_30default_config_static_selectorELNS0_4arch9wavefront6targetE1EEEvS17_,comdat
	.protected	_ZN7rocprim17ROCPRIM_400000_NS6detail17trampoline_kernelINS0_14default_configENS1_22reduce_config_selectorIN6thrust23THRUST_200600_302600_NS5tupleIblNS6_9null_typeES8_S8_S8_S8_S8_S8_S8_EEEEZNS1_11reduce_implILb1ES3_NS6_12zip_iteratorINS7_INS6_11hip_rocprim26transform_input_iterator_tIbPdNS6_6detail10functional5actorINSH_9compositeIJNSH_27transparent_binary_operatorINS6_8equal_toIvEEEENSI_INSH_8argumentILj0EEEEENSH_5valueIdEEEEEEEEENSD_19counting_iterator_tIlEES8_S8_S8_S8_S8_S8_S8_S8_EEEEPS9_S9_NSD_9__find_if7functorIS9_EEEE10hipError_tPvRmT1_T2_T3_mT4_P12ihipStream_tbEUlT_E1_NS1_11comp_targetILNS1_3genE5ELNS1_11target_archE942ELNS1_3gpuE9ELNS1_3repE0EEENS1_30default_config_static_selectorELNS0_4arch9wavefront6targetE1EEEvS17_ ; -- Begin function _ZN7rocprim17ROCPRIM_400000_NS6detail17trampoline_kernelINS0_14default_configENS1_22reduce_config_selectorIN6thrust23THRUST_200600_302600_NS5tupleIblNS6_9null_typeES8_S8_S8_S8_S8_S8_S8_EEEEZNS1_11reduce_implILb1ES3_NS6_12zip_iteratorINS7_INS6_11hip_rocprim26transform_input_iterator_tIbPdNS6_6detail10functional5actorINSH_9compositeIJNSH_27transparent_binary_operatorINS6_8equal_toIvEEEENSI_INSH_8argumentILj0EEEEENSH_5valueIdEEEEEEEEENSD_19counting_iterator_tIlEES8_S8_S8_S8_S8_S8_S8_S8_EEEEPS9_S9_NSD_9__find_if7functorIS9_EEEE10hipError_tPvRmT1_T2_T3_mT4_P12ihipStream_tbEUlT_E1_NS1_11comp_targetILNS1_3genE5ELNS1_11target_archE942ELNS1_3gpuE9ELNS1_3repE0EEENS1_30default_config_static_selectorELNS0_4arch9wavefront6targetE1EEEvS17_
	.globl	_ZN7rocprim17ROCPRIM_400000_NS6detail17trampoline_kernelINS0_14default_configENS1_22reduce_config_selectorIN6thrust23THRUST_200600_302600_NS5tupleIblNS6_9null_typeES8_S8_S8_S8_S8_S8_S8_EEEEZNS1_11reduce_implILb1ES3_NS6_12zip_iteratorINS7_INS6_11hip_rocprim26transform_input_iterator_tIbPdNS6_6detail10functional5actorINSH_9compositeIJNSH_27transparent_binary_operatorINS6_8equal_toIvEEEENSI_INSH_8argumentILj0EEEEENSH_5valueIdEEEEEEEEENSD_19counting_iterator_tIlEES8_S8_S8_S8_S8_S8_S8_S8_EEEEPS9_S9_NSD_9__find_if7functorIS9_EEEE10hipError_tPvRmT1_T2_T3_mT4_P12ihipStream_tbEUlT_E1_NS1_11comp_targetILNS1_3genE5ELNS1_11target_archE942ELNS1_3gpuE9ELNS1_3repE0EEENS1_30default_config_static_selectorELNS0_4arch9wavefront6targetE1EEEvS17_
	.p2align	8
	.type	_ZN7rocprim17ROCPRIM_400000_NS6detail17trampoline_kernelINS0_14default_configENS1_22reduce_config_selectorIN6thrust23THRUST_200600_302600_NS5tupleIblNS6_9null_typeES8_S8_S8_S8_S8_S8_S8_EEEEZNS1_11reduce_implILb1ES3_NS6_12zip_iteratorINS7_INS6_11hip_rocprim26transform_input_iterator_tIbPdNS6_6detail10functional5actorINSH_9compositeIJNSH_27transparent_binary_operatorINS6_8equal_toIvEEEENSI_INSH_8argumentILj0EEEEENSH_5valueIdEEEEEEEEENSD_19counting_iterator_tIlEES8_S8_S8_S8_S8_S8_S8_S8_EEEEPS9_S9_NSD_9__find_if7functorIS9_EEEE10hipError_tPvRmT1_T2_T3_mT4_P12ihipStream_tbEUlT_E1_NS1_11comp_targetILNS1_3genE5ELNS1_11target_archE942ELNS1_3gpuE9ELNS1_3repE0EEENS1_30default_config_static_selectorELNS0_4arch9wavefront6targetE1EEEvS17_,@function
_ZN7rocprim17ROCPRIM_400000_NS6detail17trampoline_kernelINS0_14default_configENS1_22reduce_config_selectorIN6thrust23THRUST_200600_302600_NS5tupleIblNS6_9null_typeES8_S8_S8_S8_S8_S8_S8_EEEEZNS1_11reduce_implILb1ES3_NS6_12zip_iteratorINS7_INS6_11hip_rocprim26transform_input_iterator_tIbPdNS6_6detail10functional5actorINSH_9compositeIJNSH_27transparent_binary_operatorINS6_8equal_toIvEEEENSI_INSH_8argumentILj0EEEEENSH_5valueIdEEEEEEEEENSD_19counting_iterator_tIlEES8_S8_S8_S8_S8_S8_S8_S8_EEEEPS9_S9_NSD_9__find_if7functorIS9_EEEE10hipError_tPvRmT1_T2_T3_mT4_P12ihipStream_tbEUlT_E1_NS1_11comp_targetILNS1_3genE5ELNS1_11target_archE942ELNS1_3gpuE9ELNS1_3repE0EEENS1_30default_config_static_selectorELNS0_4arch9wavefront6targetE1EEEvS17_: ; @_ZN7rocprim17ROCPRIM_400000_NS6detail17trampoline_kernelINS0_14default_configENS1_22reduce_config_selectorIN6thrust23THRUST_200600_302600_NS5tupleIblNS6_9null_typeES8_S8_S8_S8_S8_S8_S8_EEEEZNS1_11reduce_implILb1ES3_NS6_12zip_iteratorINS7_INS6_11hip_rocprim26transform_input_iterator_tIbPdNS6_6detail10functional5actorINSH_9compositeIJNSH_27transparent_binary_operatorINS6_8equal_toIvEEEENSI_INSH_8argumentILj0EEEEENSH_5valueIdEEEEEEEEENSD_19counting_iterator_tIlEES8_S8_S8_S8_S8_S8_S8_S8_EEEEPS9_S9_NSD_9__find_if7functorIS9_EEEE10hipError_tPvRmT1_T2_T3_mT4_P12ihipStream_tbEUlT_E1_NS1_11comp_targetILNS1_3genE5ELNS1_11target_archE942ELNS1_3gpuE9ELNS1_3repE0EEENS1_30default_config_static_selectorELNS0_4arch9wavefront6targetE1EEEvS17_
; %bb.0:
	.section	.rodata,"a",@progbits
	.p2align	6, 0x0
	.amdhsa_kernel _ZN7rocprim17ROCPRIM_400000_NS6detail17trampoline_kernelINS0_14default_configENS1_22reduce_config_selectorIN6thrust23THRUST_200600_302600_NS5tupleIblNS6_9null_typeES8_S8_S8_S8_S8_S8_S8_EEEEZNS1_11reduce_implILb1ES3_NS6_12zip_iteratorINS7_INS6_11hip_rocprim26transform_input_iterator_tIbPdNS6_6detail10functional5actorINSH_9compositeIJNSH_27transparent_binary_operatorINS6_8equal_toIvEEEENSI_INSH_8argumentILj0EEEEENSH_5valueIdEEEEEEEEENSD_19counting_iterator_tIlEES8_S8_S8_S8_S8_S8_S8_S8_EEEEPS9_S9_NSD_9__find_if7functorIS9_EEEE10hipError_tPvRmT1_T2_T3_mT4_P12ihipStream_tbEUlT_E1_NS1_11comp_targetILNS1_3genE5ELNS1_11target_archE942ELNS1_3gpuE9ELNS1_3repE0EEENS1_30default_config_static_selectorELNS0_4arch9wavefront6targetE1EEEvS17_
		.amdhsa_group_segment_fixed_size 0
		.amdhsa_private_segment_fixed_size 0
		.amdhsa_kernarg_size 80
		.amdhsa_user_sgpr_count 6
		.amdhsa_user_sgpr_private_segment_buffer 1
		.amdhsa_user_sgpr_dispatch_ptr 0
		.amdhsa_user_sgpr_queue_ptr 0
		.amdhsa_user_sgpr_kernarg_segment_ptr 1
		.amdhsa_user_sgpr_dispatch_id 0
		.amdhsa_user_sgpr_flat_scratch_init 0
		.amdhsa_user_sgpr_kernarg_preload_length 0
		.amdhsa_user_sgpr_kernarg_preload_offset 0
		.amdhsa_user_sgpr_private_segment_size 0
		.amdhsa_uses_dynamic_stack 0
		.amdhsa_system_sgpr_private_segment_wavefront_offset 0
		.amdhsa_system_sgpr_workgroup_id_x 1
		.amdhsa_system_sgpr_workgroup_id_y 0
		.amdhsa_system_sgpr_workgroup_id_z 0
		.amdhsa_system_sgpr_workgroup_info 0
		.amdhsa_system_vgpr_workitem_id 0
		.amdhsa_next_free_vgpr 1
		.amdhsa_next_free_sgpr 0
		.amdhsa_accum_offset 4
		.amdhsa_reserve_vcc 0
		.amdhsa_reserve_flat_scratch 0
		.amdhsa_float_round_mode_32 0
		.amdhsa_float_round_mode_16_64 0
		.amdhsa_float_denorm_mode_32 3
		.amdhsa_float_denorm_mode_16_64 3
		.amdhsa_dx10_clamp 1
		.amdhsa_ieee_mode 1
		.amdhsa_fp16_overflow 0
		.amdhsa_tg_split 0
		.amdhsa_exception_fp_ieee_invalid_op 0
		.amdhsa_exception_fp_denorm_src 0
		.amdhsa_exception_fp_ieee_div_zero 0
		.amdhsa_exception_fp_ieee_overflow 0
		.amdhsa_exception_fp_ieee_underflow 0
		.amdhsa_exception_fp_ieee_inexact 0
		.amdhsa_exception_int_div_zero 0
	.end_amdhsa_kernel
	.section	.text._ZN7rocprim17ROCPRIM_400000_NS6detail17trampoline_kernelINS0_14default_configENS1_22reduce_config_selectorIN6thrust23THRUST_200600_302600_NS5tupleIblNS6_9null_typeES8_S8_S8_S8_S8_S8_S8_EEEEZNS1_11reduce_implILb1ES3_NS6_12zip_iteratorINS7_INS6_11hip_rocprim26transform_input_iterator_tIbPdNS6_6detail10functional5actorINSH_9compositeIJNSH_27transparent_binary_operatorINS6_8equal_toIvEEEENSI_INSH_8argumentILj0EEEEENSH_5valueIdEEEEEEEEENSD_19counting_iterator_tIlEES8_S8_S8_S8_S8_S8_S8_S8_EEEEPS9_S9_NSD_9__find_if7functorIS9_EEEE10hipError_tPvRmT1_T2_T3_mT4_P12ihipStream_tbEUlT_E1_NS1_11comp_targetILNS1_3genE5ELNS1_11target_archE942ELNS1_3gpuE9ELNS1_3repE0EEENS1_30default_config_static_selectorELNS0_4arch9wavefront6targetE1EEEvS17_,"axG",@progbits,_ZN7rocprim17ROCPRIM_400000_NS6detail17trampoline_kernelINS0_14default_configENS1_22reduce_config_selectorIN6thrust23THRUST_200600_302600_NS5tupleIblNS6_9null_typeES8_S8_S8_S8_S8_S8_S8_EEEEZNS1_11reduce_implILb1ES3_NS6_12zip_iteratorINS7_INS6_11hip_rocprim26transform_input_iterator_tIbPdNS6_6detail10functional5actorINSH_9compositeIJNSH_27transparent_binary_operatorINS6_8equal_toIvEEEENSI_INSH_8argumentILj0EEEEENSH_5valueIdEEEEEEEEENSD_19counting_iterator_tIlEES8_S8_S8_S8_S8_S8_S8_S8_EEEEPS9_S9_NSD_9__find_if7functorIS9_EEEE10hipError_tPvRmT1_T2_T3_mT4_P12ihipStream_tbEUlT_E1_NS1_11comp_targetILNS1_3genE5ELNS1_11target_archE942ELNS1_3gpuE9ELNS1_3repE0EEENS1_30default_config_static_selectorELNS0_4arch9wavefront6targetE1EEEvS17_,comdat
.Lfunc_end1734:
	.size	_ZN7rocprim17ROCPRIM_400000_NS6detail17trampoline_kernelINS0_14default_configENS1_22reduce_config_selectorIN6thrust23THRUST_200600_302600_NS5tupleIblNS6_9null_typeES8_S8_S8_S8_S8_S8_S8_EEEEZNS1_11reduce_implILb1ES3_NS6_12zip_iteratorINS7_INS6_11hip_rocprim26transform_input_iterator_tIbPdNS6_6detail10functional5actorINSH_9compositeIJNSH_27transparent_binary_operatorINS6_8equal_toIvEEEENSI_INSH_8argumentILj0EEEEENSH_5valueIdEEEEEEEEENSD_19counting_iterator_tIlEES8_S8_S8_S8_S8_S8_S8_S8_EEEEPS9_S9_NSD_9__find_if7functorIS9_EEEE10hipError_tPvRmT1_T2_T3_mT4_P12ihipStream_tbEUlT_E1_NS1_11comp_targetILNS1_3genE5ELNS1_11target_archE942ELNS1_3gpuE9ELNS1_3repE0EEENS1_30default_config_static_selectorELNS0_4arch9wavefront6targetE1EEEvS17_, .Lfunc_end1734-_ZN7rocprim17ROCPRIM_400000_NS6detail17trampoline_kernelINS0_14default_configENS1_22reduce_config_selectorIN6thrust23THRUST_200600_302600_NS5tupleIblNS6_9null_typeES8_S8_S8_S8_S8_S8_S8_EEEEZNS1_11reduce_implILb1ES3_NS6_12zip_iteratorINS7_INS6_11hip_rocprim26transform_input_iterator_tIbPdNS6_6detail10functional5actorINSH_9compositeIJNSH_27transparent_binary_operatorINS6_8equal_toIvEEEENSI_INSH_8argumentILj0EEEEENSH_5valueIdEEEEEEEEENSD_19counting_iterator_tIlEES8_S8_S8_S8_S8_S8_S8_S8_EEEEPS9_S9_NSD_9__find_if7functorIS9_EEEE10hipError_tPvRmT1_T2_T3_mT4_P12ihipStream_tbEUlT_E1_NS1_11comp_targetILNS1_3genE5ELNS1_11target_archE942ELNS1_3gpuE9ELNS1_3repE0EEENS1_30default_config_static_selectorELNS0_4arch9wavefront6targetE1EEEvS17_
                                        ; -- End function
	.section	.AMDGPU.csdata,"",@progbits
; Kernel info:
; codeLenInByte = 0
; NumSgprs: 4
; NumVgprs: 0
; NumAgprs: 0
; TotalNumVgprs: 0
; ScratchSize: 0
; MemoryBound: 0
; FloatMode: 240
; IeeeMode: 1
; LDSByteSize: 0 bytes/workgroup (compile time only)
; SGPRBlocks: 0
; VGPRBlocks: 0
; NumSGPRsForWavesPerEU: 4
; NumVGPRsForWavesPerEU: 1
; AccumOffset: 4
; Occupancy: 8
; WaveLimiterHint : 0
; COMPUTE_PGM_RSRC2:SCRATCH_EN: 0
; COMPUTE_PGM_RSRC2:USER_SGPR: 6
; COMPUTE_PGM_RSRC2:TRAP_HANDLER: 0
; COMPUTE_PGM_RSRC2:TGID_X_EN: 1
; COMPUTE_PGM_RSRC2:TGID_Y_EN: 0
; COMPUTE_PGM_RSRC2:TGID_Z_EN: 0
; COMPUTE_PGM_RSRC2:TIDIG_COMP_CNT: 0
; COMPUTE_PGM_RSRC3_GFX90A:ACCUM_OFFSET: 0
; COMPUTE_PGM_RSRC3_GFX90A:TG_SPLIT: 0
	.section	.text._ZN7rocprim17ROCPRIM_400000_NS6detail17trampoline_kernelINS0_14default_configENS1_22reduce_config_selectorIN6thrust23THRUST_200600_302600_NS5tupleIblNS6_9null_typeES8_S8_S8_S8_S8_S8_S8_EEEEZNS1_11reduce_implILb1ES3_NS6_12zip_iteratorINS7_INS6_11hip_rocprim26transform_input_iterator_tIbPdNS6_6detail10functional5actorINSH_9compositeIJNSH_27transparent_binary_operatorINS6_8equal_toIvEEEENSI_INSH_8argumentILj0EEEEENSH_5valueIdEEEEEEEEENSD_19counting_iterator_tIlEES8_S8_S8_S8_S8_S8_S8_S8_EEEEPS9_S9_NSD_9__find_if7functorIS9_EEEE10hipError_tPvRmT1_T2_T3_mT4_P12ihipStream_tbEUlT_E1_NS1_11comp_targetILNS1_3genE4ELNS1_11target_archE910ELNS1_3gpuE8ELNS1_3repE0EEENS1_30default_config_static_selectorELNS0_4arch9wavefront6targetE1EEEvS17_,"axG",@progbits,_ZN7rocprim17ROCPRIM_400000_NS6detail17trampoline_kernelINS0_14default_configENS1_22reduce_config_selectorIN6thrust23THRUST_200600_302600_NS5tupleIblNS6_9null_typeES8_S8_S8_S8_S8_S8_S8_EEEEZNS1_11reduce_implILb1ES3_NS6_12zip_iteratorINS7_INS6_11hip_rocprim26transform_input_iterator_tIbPdNS6_6detail10functional5actorINSH_9compositeIJNSH_27transparent_binary_operatorINS6_8equal_toIvEEEENSI_INSH_8argumentILj0EEEEENSH_5valueIdEEEEEEEEENSD_19counting_iterator_tIlEES8_S8_S8_S8_S8_S8_S8_S8_EEEEPS9_S9_NSD_9__find_if7functorIS9_EEEE10hipError_tPvRmT1_T2_T3_mT4_P12ihipStream_tbEUlT_E1_NS1_11comp_targetILNS1_3genE4ELNS1_11target_archE910ELNS1_3gpuE8ELNS1_3repE0EEENS1_30default_config_static_selectorELNS0_4arch9wavefront6targetE1EEEvS17_,comdat
	.protected	_ZN7rocprim17ROCPRIM_400000_NS6detail17trampoline_kernelINS0_14default_configENS1_22reduce_config_selectorIN6thrust23THRUST_200600_302600_NS5tupleIblNS6_9null_typeES8_S8_S8_S8_S8_S8_S8_EEEEZNS1_11reduce_implILb1ES3_NS6_12zip_iteratorINS7_INS6_11hip_rocprim26transform_input_iterator_tIbPdNS6_6detail10functional5actorINSH_9compositeIJNSH_27transparent_binary_operatorINS6_8equal_toIvEEEENSI_INSH_8argumentILj0EEEEENSH_5valueIdEEEEEEEEENSD_19counting_iterator_tIlEES8_S8_S8_S8_S8_S8_S8_S8_EEEEPS9_S9_NSD_9__find_if7functorIS9_EEEE10hipError_tPvRmT1_T2_T3_mT4_P12ihipStream_tbEUlT_E1_NS1_11comp_targetILNS1_3genE4ELNS1_11target_archE910ELNS1_3gpuE8ELNS1_3repE0EEENS1_30default_config_static_selectorELNS0_4arch9wavefront6targetE1EEEvS17_ ; -- Begin function _ZN7rocprim17ROCPRIM_400000_NS6detail17trampoline_kernelINS0_14default_configENS1_22reduce_config_selectorIN6thrust23THRUST_200600_302600_NS5tupleIblNS6_9null_typeES8_S8_S8_S8_S8_S8_S8_EEEEZNS1_11reduce_implILb1ES3_NS6_12zip_iteratorINS7_INS6_11hip_rocprim26transform_input_iterator_tIbPdNS6_6detail10functional5actorINSH_9compositeIJNSH_27transparent_binary_operatorINS6_8equal_toIvEEEENSI_INSH_8argumentILj0EEEEENSH_5valueIdEEEEEEEEENSD_19counting_iterator_tIlEES8_S8_S8_S8_S8_S8_S8_S8_EEEEPS9_S9_NSD_9__find_if7functorIS9_EEEE10hipError_tPvRmT1_T2_T3_mT4_P12ihipStream_tbEUlT_E1_NS1_11comp_targetILNS1_3genE4ELNS1_11target_archE910ELNS1_3gpuE8ELNS1_3repE0EEENS1_30default_config_static_selectorELNS0_4arch9wavefront6targetE1EEEvS17_
	.globl	_ZN7rocprim17ROCPRIM_400000_NS6detail17trampoline_kernelINS0_14default_configENS1_22reduce_config_selectorIN6thrust23THRUST_200600_302600_NS5tupleIblNS6_9null_typeES8_S8_S8_S8_S8_S8_S8_EEEEZNS1_11reduce_implILb1ES3_NS6_12zip_iteratorINS7_INS6_11hip_rocprim26transform_input_iterator_tIbPdNS6_6detail10functional5actorINSH_9compositeIJNSH_27transparent_binary_operatorINS6_8equal_toIvEEEENSI_INSH_8argumentILj0EEEEENSH_5valueIdEEEEEEEEENSD_19counting_iterator_tIlEES8_S8_S8_S8_S8_S8_S8_S8_EEEEPS9_S9_NSD_9__find_if7functorIS9_EEEE10hipError_tPvRmT1_T2_T3_mT4_P12ihipStream_tbEUlT_E1_NS1_11comp_targetILNS1_3genE4ELNS1_11target_archE910ELNS1_3gpuE8ELNS1_3repE0EEENS1_30default_config_static_selectorELNS0_4arch9wavefront6targetE1EEEvS17_
	.p2align	8
	.type	_ZN7rocprim17ROCPRIM_400000_NS6detail17trampoline_kernelINS0_14default_configENS1_22reduce_config_selectorIN6thrust23THRUST_200600_302600_NS5tupleIblNS6_9null_typeES8_S8_S8_S8_S8_S8_S8_EEEEZNS1_11reduce_implILb1ES3_NS6_12zip_iteratorINS7_INS6_11hip_rocprim26transform_input_iterator_tIbPdNS6_6detail10functional5actorINSH_9compositeIJNSH_27transparent_binary_operatorINS6_8equal_toIvEEEENSI_INSH_8argumentILj0EEEEENSH_5valueIdEEEEEEEEENSD_19counting_iterator_tIlEES8_S8_S8_S8_S8_S8_S8_S8_EEEEPS9_S9_NSD_9__find_if7functorIS9_EEEE10hipError_tPvRmT1_T2_T3_mT4_P12ihipStream_tbEUlT_E1_NS1_11comp_targetILNS1_3genE4ELNS1_11target_archE910ELNS1_3gpuE8ELNS1_3repE0EEENS1_30default_config_static_selectorELNS0_4arch9wavefront6targetE1EEEvS17_,@function
_ZN7rocprim17ROCPRIM_400000_NS6detail17trampoline_kernelINS0_14default_configENS1_22reduce_config_selectorIN6thrust23THRUST_200600_302600_NS5tupleIblNS6_9null_typeES8_S8_S8_S8_S8_S8_S8_EEEEZNS1_11reduce_implILb1ES3_NS6_12zip_iteratorINS7_INS6_11hip_rocprim26transform_input_iterator_tIbPdNS6_6detail10functional5actorINSH_9compositeIJNSH_27transparent_binary_operatorINS6_8equal_toIvEEEENSI_INSH_8argumentILj0EEEEENSH_5valueIdEEEEEEEEENSD_19counting_iterator_tIlEES8_S8_S8_S8_S8_S8_S8_S8_EEEEPS9_S9_NSD_9__find_if7functorIS9_EEEE10hipError_tPvRmT1_T2_T3_mT4_P12ihipStream_tbEUlT_E1_NS1_11comp_targetILNS1_3genE4ELNS1_11target_archE910ELNS1_3gpuE8ELNS1_3repE0EEENS1_30default_config_static_selectorELNS0_4arch9wavefront6targetE1EEEvS17_: ; @_ZN7rocprim17ROCPRIM_400000_NS6detail17trampoline_kernelINS0_14default_configENS1_22reduce_config_selectorIN6thrust23THRUST_200600_302600_NS5tupleIblNS6_9null_typeES8_S8_S8_S8_S8_S8_S8_EEEEZNS1_11reduce_implILb1ES3_NS6_12zip_iteratorINS7_INS6_11hip_rocprim26transform_input_iterator_tIbPdNS6_6detail10functional5actorINSH_9compositeIJNSH_27transparent_binary_operatorINS6_8equal_toIvEEEENSI_INSH_8argumentILj0EEEEENSH_5valueIdEEEEEEEEENSD_19counting_iterator_tIlEES8_S8_S8_S8_S8_S8_S8_S8_EEEEPS9_S9_NSD_9__find_if7functorIS9_EEEE10hipError_tPvRmT1_T2_T3_mT4_P12ihipStream_tbEUlT_E1_NS1_11comp_targetILNS1_3genE4ELNS1_11target_archE910ELNS1_3gpuE8ELNS1_3repE0EEENS1_30default_config_static_selectorELNS0_4arch9wavefront6targetE1EEEvS17_
; %bb.0:
	s_load_dword s34, s[4:5], 0x4
	s_load_dwordx2 s[26:27], s[4:5], 0x8
	s_load_dwordx8 s[16:23], s[4:5], 0x18
	s_load_dword s33, s[4:5], 0x38
	s_load_dwordx2 s[24:25], s[4:5], 0x40
	s_waitcnt lgkmcnt(0)
	s_cmp_lt_i32 s34, 4
	s_cbranch_scc1 .LBB1735_21
; %bb.1:
	s_cmp_gt_i32 s34, 7
	s_cbranch_scc0 .LBB1735_22
; %bb.2:
	s_cmp_eq_u32 s34, 8
	s_mov_b64 s[28:29], 0
	s_cbranch_scc0 .LBB1735_23
; %bb.3:
	s_mov_b32 s7, 0
	s_lshl_b32 s12, s6, 11
	s_mov_b32 s13, s7
	s_lshr_b64 s[0:1], s[20:21], 11
	s_lshl_b64 s[2:3], s[12:13], 3
	s_add_u32 s14, s26, s2
	s_addc_u32 s15, s27, s3
	s_add_u32 s35, s18, s12
	s_addc_u32 s36, s19, 0
	s_cmp_lg_u64 s[0:1], s[6:7]
	s_cbranch_scc0 .LBB1735_44
; %bb.4:
	v_lshlrev_b32_e32 v1, 3, v0
	v_mov_b32_e32 v2, s15
	v_add_co_u32_e32 v16, vcc, s14, v1
	v_addc_co_u32_e32 v17, vcc, 0, v2, vcc
	v_add_co_u32_e32 v2, vcc, 0x1000, v16
	v_addc_co_u32_e32 v3, vcc, 0, v17, vcc
	global_load_dwordx2 v[4:5], v1, s[14:15]
	global_load_dwordx2 v[6:7], v1, s[14:15] offset:2048
	global_load_dwordx2 v[8:9], v[2:3], off
	global_load_dwordx2 v[10:11], v[2:3], off offset:2048
	v_add_co_u32_e32 v2, vcc, 0x2000, v16
	v_addc_co_u32_e32 v3, vcc, 0, v17, vcc
	global_load_dwordx2 v[12:13], v[2:3], off
	global_load_dwordx2 v[14:15], v[2:3], off offset:2048
	v_add_co_u32_e32 v2, vcc, 0x3000, v16
	v_addc_co_u32_e32 v3, vcc, 0, v17, vcc
	global_load_dwordx2 v[16:17], v[2:3], off
	global_load_dwordx2 v[18:19], v[2:3], off offset:2048
	v_mov_b32_e32 v1, s36
	v_add_co_u32_e32 v25, vcc, s35, v0
	v_addc_co_u32_e32 v1, vcc, 0, v1, vcc
	v_mov_b32_e32 v2, 0x200
	v_mov_b32_e32 v3, 0x100
	;; [unrolled: 1-line block ×7, first 2 shown]
	s_waitcnt vmcnt(7)
	v_cmp_eq_f64_e64 s[0:1], s[16:17], v[4:5]
	s_waitcnt vmcnt(6)
	v_cmp_eq_f64_e32 vcc, s[16:17], v[6:7]
	v_cndmask_b32_e32 v2, v2, v3, vcc
	s_or_b64 s[4:5], s[0:1], vcc
	s_waitcnt vmcnt(5)
	v_cmp_eq_f64_e32 vcc, s[16:17], v[8:9]
	v_cndmask_b32_e64 v2, v2, 0, s[0:1]
	s_waitcnt vmcnt(4)
	v_cmp_eq_f64_e64 s[0:1], s[16:17], v[10:11]
	s_or_b64 vcc, s[4:5], vcc
	v_cndmask_b32_e64 v3, v20, v21, s[0:1]
	s_waitcnt vmcnt(3)
	v_cmp_eq_f64_e64 s[2:3], s[16:17], v[12:13]
	s_or_b64 s[0:1], vcc, s[0:1]
	v_cndmask_b32_e32 v2, v3, v2, vcc
	s_waitcnt vmcnt(2)
	v_cmp_eq_f64_e64 s[4:5], s[16:17], v[14:15]
	s_or_b64 vcc, s[0:1], s[2:3]
	v_cndmask_b32_e64 v3, v22, v23, s[4:5]
	s_waitcnt vmcnt(1)
	v_cmp_eq_f64_e64 s[8:9], s[16:17], v[16:17]
	s_or_b64 s[0:1], vcc, s[4:5]
	v_cndmask_b32_e32 v2, v3, v2, vcc
	s_or_b64 vcc, s[0:1], s[8:9]
	v_cndmask_b32_e32 v2, v24, v2, vcc
	v_add_co_u32_e64 v2, s[0:1], v25, v2
	s_waitcnt vmcnt(0)
	v_cmp_eq_f64_e64 s[10:11], s[16:17], v[18:19]
	v_addc_co_u32_e64 v3, s[0:1], 0, v1, s[0:1]
	s_or_b64 s[0:1], vcc, s[10:11]
	v_cndmask_b32_e64 v1, 0, 1, s[0:1]
	v_mov_b32_dpp v4, v2 quad_perm:[1,0,3,2] row_mask:0xf bank_mask:0xf bound_ctrl:1
	v_mov_b32_dpp v5, v3 quad_perm:[1,0,3,2] row_mask:0xf bank_mask:0xf bound_ctrl:1
	;; [unrolled: 1-line block ×3, first 2 shown]
	v_and_b32_e32 v7, 1, v6
	v_cmp_eq_u32_e32 vcc, 1, v7
	s_and_saveexec_b64 s[2:3], vcc
; %bb.5:
	v_cmp_lt_i64_e32 vcc, v[2:3], v[4:5]
	v_cndmask_b32_e64 v6, v6, 1, s[0:1]
	s_and_b64 vcc, s[0:1], vcc
	v_cndmask_b32_e32 v2, v4, v2, vcc
	v_and_b32_e32 v4, 1, v6
	v_cndmask_b32_e32 v3, v5, v3, vcc
	v_cmp_eq_u32_e32 vcc, 1, v4
	s_andn2_b64 s[0:1], s[0:1], exec
	s_and_b64 s[4:5], vcc, exec
	v_and_b32_e32 v1, 0xff, v6
	s_or_b64 s[0:1], s[0:1], s[4:5]
; %bb.6:
	s_or_b64 exec, exec, s[2:3]
	v_mov_b32_dpp v6, v1 quad_perm:[2,3,0,1] row_mask:0xf bank_mask:0xf bound_ctrl:1
	v_and_b32_e32 v7, 1, v6
	v_mov_b32_dpp v4, v2 quad_perm:[2,3,0,1] row_mask:0xf bank_mask:0xf bound_ctrl:1
	v_mov_b32_dpp v5, v3 quad_perm:[2,3,0,1] row_mask:0xf bank_mask:0xf bound_ctrl:1
	v_cmp_eq_u32_e32 vcc, 1, v7
	s_and_saveexec_b64 s[2:3], vcc
; %bb.7:
	v_cmp_lt_i64_e32 vcc, v[2:3], v[4:5]
	v_cndmask_b32_e64 v6, v6, 1, s[0:1]
	s_and_b64 vcc, s[0:1], vcc
	v_cndmask_b32_e32 v2, v4, v2, vcc
	v_and_b32_e32 v4, 1, v6
	v_cndmask_b32_e32 v3, v5, v3, vcc
	v_cmp_eq_u32_e32 vcc, 1, v4
	s_andn2_b64 s[0:1], s[0:1], exec
	s_and_b64 s[4:5], vcc, exec
	v_and_b32_e32 v1, 0xff, v6
	s_or_b64 s[0:1], s[0:1], s[4:5]
; %bb.8:
	s_or_b64 exec, exec, s[2:3]
	v_mov_b32_dpp v6, v1 row_ror:4 row_mask:0xf bank_mask:0xf bound_ctrl:1
	v_and_b32_e32 v7, 1, v6
	v_mov_b32_dpp v4, v2 row_ror:4 row_mask:0xf bank_mask:0xf bound_ctrl:1
	v_mov_b32_dpp v5, v3 row_ror:4 row_mask:0xf bank_mask:0xf bound_ctrl:1
	v_cmp_eq_u32_e32 vcc, 1, v7
	s_and_saveexec_b64 s[2:3], vcc
; %bb.9:
	v_cmp_lt_i64_e32 vcc, v[2:3], v[4:5]
	v_cndmask_b32_e64 v6, v6, 1, s[0:1]
	s_and_b64 vcc, s[0:1], vcc
	v_cndmask_b32_e32 v2, v4, v2, vcc
	v_and_b32_e32 v4, 1, v6
	v_cndmask_b32_e32 v3, v5, v3, vcc
	v_cmp_eq_u32_e32 vcc, 1, v4
	s_andn2_b64 s[0:1], s[0:1], exec
	s_and_b64 s[4:5], vcc, exec
	v_and_b32_e32 v1, 0xff, v6
	s_or_b64 s[0:1], s[0:1], s[4:5]
; %bb.10:
	s_or_b64 exec, exec, s[2:3]
	v_mov_b32_dpp v6, v1 row_ror:8 row_mask:0xf bank_mask:0xf bound_ctrl:1
	v_and_b32_e32 v7, 1, v6
	v_mov_b32_dpp v4, v2 row_ror:8 row_mask:0xf bank_mask:0xf bound_ctrl:1
	v_mov_b32_dpp v5, v3 row_ror:8 row_mask:0xf bank_mask:0xf bound_ctrl:1
	v_cmp_eq_u32_e32 vcc, 1, v7
	s_and_saveexec_b64 s[2:3], vcc
; %bb.11:
	v_cmp_lt_i64_e32 vcc, v[2:3], v[4:5]
	v_cndmask_b32_e64 v6, v6, 1, s[0:1]
	s_and_b64 vcc, s[0:1], vcc
	v_cndmask_b32_e32 v2, v4, v2, vcc
	v_and_b32_e32 v4, 1, v6
	v_cndmask_b32_e32 v3, v5, v3, vcc
	v_cmp_eq_u32_e32 vcc, 1, v4
	s_andn2_b64 s[0:1], s[0:1], exec
	s_and_b64 s[4:5], vcc, exec
	v_and_b32_e32 v1, 0xff, v6
	s_or_b64 s[0:1], s[0:1], s[4:5]
; %bb.12:
	s_or_b64 exec, exec, s[2:3]
	v_mov_b32_dpp v6, v1 row_bcast:15 row_mask:0xf bank_mask:0xf bound_ctrl:1
	v_and_b32_e32 v7, 1, v6
	v_mov_b32_dpp v4, v2 row_bcast:15 row_mask:0xf bank_mask:0xf bound_ctrl:1
	v_mov_b32_dpp v5, v3 row_bcast:15 row_mask:0xf bank_mask:0xf bound_ctrl:1
	v_cmp_eq_u32_e32 vcc, 1, v7
	s_and_saveexec_b64 s[2:3], vcc
; %bb.13:
	v_cmp_lt_i64_e32 vcc, v[2:3], v[4:5]
	v_cndmask_b32_e64 v6, v6, 1, s[0:1]
	s_and_b64 vcc, s[0:1], vcc
	v_cndmask_b32_e32 v2, v4, v2, vcc
	v_and_b32_e32 v4, 1, v6
	v_cndmask_b32_e32 v3, v5, v3, vcc
	v_cmp_eq_u32_e32 vcc, 1, v4
	s_andn2_b64 s[0:1], s[0:1], exec
	s_and_b64 s[4:5], vcc, exec
	v_and_b32_e32 v1, 0xff, v6
	s_or_b64 s[0:1], s[0:1], s[4:5]
; %bb.14:
	s_or_b64 exec, exec, s[2:3]
	v_mov_b32_dpp v6, v1 row_bcast:31 row_mask:0xf bank_mask:0xf bound_ctrl:1
	v_and_b32_e32 v7, 1, v6
	v_mov_b32_dpp v4, v2 row_bcast:31 row_mask:0xf bank_mask:0xf bound_ctrl:1
	v_mov_b32_dpp v5, v3 row_bcast:31 row_mask:0xf bank_mask:0xf bound_ctrl:1
	v_cmp_eq_u32_e32 vcc, 1, v7
	s_and_saveexec_b64 s[2:3], vcc
; %bb.15:
	v_cmp_lt_i64_e32 vcc, v[2:3], v[4:5]
	v_and_b32_e32 v1, 0xff, v6
	s_and_b64 vcc, s[0:1], vcc
	v_cndmask_b32_e32 v2, v4, v2, vcc
	v_cndmask_b32_e32 v3, v5, v3, vcc
	v_cndmask_b32_e64 v1, v1, 1, s[0:1]
; %bb.16:
	s_or_b64 exec, exec, s[2:3]
	v_mbcnt_lo_u32_b32 v4, -1, 0
	v_mbcnt_hi_u32_b32 v4, -1, v4
	v_bfrev_b32_e32 v5, 0.5
	v_lshl_or_b32 v5, v4, 2, v5
	ds_bpermute_b32 v7, v5, v1
	ds_bpermute_b32 v2, v5, v2
	;; [unrolled: 1-line block ×3, first 2 shown]
	v_cmp_eq_u32_e32 vcc, 0, v4
	s_and_saveexec_b64 s[0:1], vcc
	s_cbranch_execz .LBB1735_18
; %bb.17:
	v_lshrrev_b32_e32 v1, 2, v0
	v_and_b32_e32 v1, 48, v1
	s_waitcnt lgkmcnt(2)
	ds_write_b8 v1, v7 offset:192
	s_waitcnt lgkmcnt(1)
	ds_write_b64 v1, v[2:3] offset:200
.LBB1735_18:
	s_or_b64 exec, exec, s[0:1]
	v_cmp_gt_u32_e32 vcc, 64, v0
	s_waitcnt lgkmcnt(0)
	s_barrier
	s_and_saveexec_b64 s[2:3], vcc
	s_cbranch_execz .LBB1735_20
; %bb.19:
	v_and_b32_e32 v1, 3, v4
	v_lshlrev_b32_e32 v2, 4, v1
	ds_read_u8 v5, v2 offset:192
	ds_read_b64 v[2:3], v2 offset:200
	v_cmp_ne_u32_e32 vcc, 3, v1
	v_addc_co_u32_e32 v6, vcc, 0, v4, vcc
	s_waitcnt lgkmcnt(1)
	v_and_b32_e32 v7, 0xff, v5
	v_lshlrev_b32_e32 v8, 2, v6
	ds_bpermute_b32 v9, v8, v7
	s_waitcnt lgkmcnt(1)
	ds_bpermute_b32 v6, v8, v2
	ds_bpermute_b32 v7, v8, v3
	v_and_b32_e32 v8, 1, v5
	s_waitcnt lgkmcnt(2)
	v_and_b32_e32 v10, 1, v9
	v_cmp_eq_u32_e64 s[0:1], 1, v10
	s_waitcnt lgkmcnt(0)
	v_cmp_lt_i64_e32 vcc, v[6:7], v[2:3]
	s_and_b64 vcc, s[0:1], vcc
	v_cndmask_b32_e64 v5, v5, 1, s[0:1]
	v_cndmask_b32_e32 v2, v2, v6, vcc
	v_cndmask_b32_e32 v3, v3, v7, vcc
	v_cmp_eq_u32_e32 vcc, 1, v8
	v_cndmask_b32_e32 v8, v9, v5, vcc
	v_cndmask_b32_e32 v3, v7, v3, vcc
	;; [unrolled: 1-line block ×3, first 2 shown]
	v_cmp_gt_u32_e32 vcc, 2, v1
	v_cndmask_b32_e64 v1, 0, 1, vcc
	v_lshlrev_b32_e32 v1, 1, v1
	v_and_b32_e32 v5, 0xff, v8
	v_add_lshl_u32 v1, v1, v4, 2
	ds_bpermute_b32 v6, v1, v5
	ds_bpermute_b32 v4, v1, v2
	ds_bpermute_b32 v5, v1, v3
	v_and_b32_e32 v1, 1, v8
	s_waitcnt lgkmcnt(2)
	v_and_b32_e32 v7, 1, v6
	v_cmp_eq_u32_e64 s[0:1], 1, v7
	s_waitcnt lgkmcnt(0)
	v_cmp_lt_i64_e32 vcc, v[4:5], v[2:3]
	s_and_b64 vcc, s[0:1], vcc
	v_cndmask_b32_e64 v7, v8, 1, s[0:1]
	v_cndmask_b32_e32 v2, v2, v4, vcc
	v_cndmask_b32_e32 v3, v3, v5, vcc
	v_cmp_eq_u32_e32 vcc, 1, v1
	v_cndmask_b32_e32 v1, v6, v7, vcc
	v_cndmask_b32_e32 v3, v5, v3, vcc
	;; [unrolled: 1-line block ×3, first 2 shown]
	v_and_b32_e32 v7, 0xff, v1
.LBB1735_20:
	s_or_b64 exec, exec, s[2:3]
	s_branch .LBB1735_89
.LBB1735_21:
	s_mov_b64 s[8:9], 0
                                        ; implicit-def: $vgpr4_vgpr5
                                        ; implicit-def: $vgpr1
	s_cbranch_execnz .LBB1735_133
	s_branch .LBB1735_208
.LBB1735_22:
	s_mov_b64 s[28:29], -1
.LBB1735_23:
	s_mov_b64 s[8:9], 0
                                        ; implicit-def: $vgpr4_vgpr5
                                        ; implicit-def: $vgpr1
	s_and_b64 vcc, exec, s[28:29]
	s_cbranch_vccz .LBB1735_94
.LBB1735_24:
	s_cmp_eq_u32 s34, 4
	s_cbranch_scc0 .LBB1735_43
; %bb.25:
	s_mov_b32 s7, 0
	s_lshl_b32 s10, s6, 10
	s_mov_b32 s11, s7
	s_lshr_b64 s[0:1], s[20:21], 10
	s_lshl_b64 s[2:3], s[10:11], 3
	s_add_u32 s4, s26, s2
	s_addc_u32 s5, s27, s3
	s_add_u32 s12, s18, s10
	s_addc_u32 s13, s19, 0
	s_cmp_lg_u64 s[0:1], s[6:7]
	s_cbranch_scc0 .LBB1735_95
; %bb.26:
	v_lshlrev_b32_e32 v1, 3, v0
	v_mov_b32_e32 v2, s5
	s_waitcnt lgkmcnt(2)
	v_add_co_u32_e32 v6, vcc, s4, v1
	v_addc_co_u32_e32 v7, vcc, 0, v2, vcc
	global_load_dwordx2 v[2:3], v1, s[4:5]
	s_waitcnt lgkmcnt(0)
	global_load_dwordx2 v[4:5], v1, s[4:5] offset:2048
	v_add_co_u32_e32 v6, vcc, 0x1000, v6
	v_addc_co_u32_e32 v7, vcc, 0, v7, vcc
	global_load_dwordx2 v[8:9], v[6:7], off
	global_load_dwordx2 v[10:11], v[6:7], off offset:2048
	v_mov_b32_e32 v1, s13
	v_add_co_u32_e32 v13, vcc, s12, v0
	v_addc_co_u32_e32 v1, vcc, 0, v1, vcc
	v_mov_b32_e32 v6, 0x200
	v_mov_b32_e32 v7, 0x100
	;; [unrolled: 1-line block ×3, first 2 shown]
	s_waitcnt vmcnt(3)
	v_cmp_eq_f64_e64 s[0:1], s[16:17], v[2:3]
	s_waitcnt vmcnt(2)
	v_cmp_eq_f64_e32 vcc, s[16:17], v[4:5]
	v_cndmask_b32_e32 v4, v6, v7, vcc
	s_or_b64 s[2:3], s[0:1], vcc
	v_cndmask_b32_e64 v2, v4, 0, s[0:1]
	s_waitcnt vmcnt(1)
	v_cmp_eq_f64_e32 vcc, s[16:17], v[8:9]
	s_or_b64 vcc, s[2:3], vcc
	s_waitcnt vmcnt(0)
	v_cmp_eq_f64_e64 s[0:1], s[16:17], v[10:11]
	v_cndmask_b32_e32 v2, v12, v2, vcc
	v_add_co_u32_e64 v2, s[2:3], v13, v2
	s_or_b64 s[0:1], vcc, s[0:1]
	v_addc_co_u32_e64 v3, s[2:3], 0, v1, s[2:3]
	v_cndmask_b32_e64 v1, 0, 1, s[0:1]
	v_mov_b32_dpp v4, v2 quad_perm:[1,0,3,2] row_mask:0xf bank_mask:0xf bound_ctrl:1
	v_mov_b32_dpp v5, v3 quad_perm:[1,0,3,2] row_mask:0xf bank_mask:0xf bound_ctrl:1
	;; [unrolled: 1-line block ×3, first 2 shown]
	v_and_b32_e32 v7, 1, v6
	v_cmp_eq_u32_e32 vcc, 1, v7
	s_and_saveexec_b64 s[2:3], vcc
; %bb.27:
	v_cmp_lt_i64_e32 vcc, v[2:3], v[4:5]
	v_cndmask_b32_e64 v6, v6, 1, s[0:1]
	s_and_b64 vcc, s[0:1], vcc
	v_cndmask_b32_e32 v2, v4, v2, vcc
	v_and_b32_e32 v4, 1, v6
	v_cndmask_b32_e32 v3, v5, v3, vcc
	v_cmp_eq_u32_e32 vcc, 1, v4
	s_andn2_b64 s[0:1], s[0:1], exec
	s_and_b64 s[14:15], vcc, exec
	v_and_b32_e32 v1, 0xff, v6
	s_or_b64 s[0:1], s[0:1], s[14:15]
; %bb.28:
	s_or_b64 exec, exec, s[2:3]
	v_mov_b32_dpp v6, v1 quad_perm:[2,3,0,1] row_mask:0xf bank_mask:0xf bound_ctrl:1
	v_and_b32_e32 v7, 1, v6
	v_mov_b32_dpp v4, v2 quad_perm:[2,3,0,1] row_mask:0xf bank_mask:0xf bound_ctrl:1
	v_mov_b32_dpp v5, v3 quad_perm:[2,3,0,1] row_mask:0xf bank_mask:0xf bound_ctrl:1
	v_cmp_eq_u32_e32 vcc, 1, v7
	s_and_saveexec_b64 s[2:3], vcc
; %bb.29:
	v_cmp_lt_i64_e32 vcc, v[2:3], v[4:5]
	v_cndmask_b32_e64 v6, v6, 1, s[0:1]
	s_and_b64 vcc, s[0:1], vcc
	v_cndmask_b32_e32 v2, v4, v2, vcc
	v_and_b32_e32 v4, 1, v6
	v_cndmask_b32_e32 v3, v5, v3, vcc
	v_cmp_eq_u32_e32 vcc, 1, v4
	s_andn2_b64 s[0:1], s[0:1], exec
	s_and_b64 s[14:15], vcc, exec
	v_and_b32_e32 v1, 0xff, v6
	s_or_b64 s[0:1], s[0:1], s[14:15]
; %bb.30:
	s_or_b64 exec, exec, s[2:3]
	v_mov_b32_dpp v6, v1 row_ror:4 row_mask:0xf bank_mask:0xf bound_ctrl:1
	v_and_b32_e32 v7, 1, v6
	v_mov_b32_dpp v4, v2 row_ror:4 row_mask:0xf bank_mask:0xf bound_ctrl:1
	v_mov_b32_dpp v5, v3 row_ror:4 row_mask:0xf bank_mask:0xf bound_ctrl:1
	v_cmp_eq_u32_e32 vcc, 1, v7
	s_and_saveexec_b64 s[2:3], vcc
; %bb.31:
	v_cmp_lt_i64_e32 vcc, v[2:3], v[4:5]
	v_cndmask_b32_e64 v6, v6, 1, s[0:1]
	s_and_b64 vcc, s[0:1], vcc
	v_cndmask_b32_e32 v2, v4, v2, vcc
	v_and_b32_e32 v4, 1, v6
	v_cndmask_b32_e32 v3, v5, v3, vcc
	v_cmp_eq_u32_e32 vcc, 1, v4
	s_andn2_b64 s[0:1], s[0:1], exec
	s_and_b64 s[14:15], vcc, exec
	v_and_b32_e32 v1, 0xff, v6
	s_or_b64 s[0:1], s[0:1], s[14:15]
; %bb.32:
	s_or_b64 exec, exec, s[2:3]
	v_mov_b32_dpp v6, v1 row_ror:8 row_mask:0xf bank_mask:0xf bound_ctrl:1
	v_and_b32_e32 v7, 1, v6
	v_mov_b32_dpp v4, v2 row_ror:8 row_mask:0xf bank_mask:0xf bound_ctrl:1
	v_mov_b32_dpp v5, v3 row_ror:8 row_mask:0xf bank_mask:0xf bound_ctrl:1
	v_cmp_eq_u32_e32 vcc, 1, v7
	s_and_saveexec_b64 s[2:3], vcc
; %bb.33:
	v_cmp_lt_i64_e32 vcc, v[2:3], v[4:5]
	v_cndmask_b32_e64 v6, v6, 1, s[0:1]
	s_and_b64 vcc, s[0:1], vcc
	v_cndmask_b32_e32 v2, v4, v2, vcc
	v_and_b32_e32 v4, 1, v6
	v_cndmask_b32_e32 v3, v5, v3, vcc
	v_cmp_eq_u32_e32 vcc, 1, v4
	s_andn2_b64 s[0:1], s[0:1], exec
	s_and_b64 s[14:15], vcc, exec
	v_and_b32_e32 v1, 0xff, v6
	s_or_b64 s[0:1], s[0:1], s[14:15]
; %bb.34:
	s_or_b64 exec, exec, s[2:3]
	v_mov_b32_dpp v6, v1 row_bcast:15 row_mask:0xf bank_mask:0xf bound_ctrl:1
	v_and_b32_e32 v7, 1, v6
	v_mov_b32_dpp v4, v2 row_bcast:15 row_mask:0xf bank_mask:0xf bound_ctrl:1
	v_mov_b32_dpp v5, v3 row_bcast:15 row_mask:0xf bank_mask:0xf bound_ctrl:1
	v_cmp_eq_u32_e32 vcc, 1, v7
	s_and_saveexec_b64 s[2:3], vcc
; %bb.35:
	v_cmp_lt_i64_e32 vcc, v[2:3], v[4:5]
	v_cndmask_b32_e64 v6, v6, 1, s[0:1]
	s_and_b64 vcc, s[0:1], vcc
	v_cndmask_b32_e32 v2, v4, v2, vcc
	v_and_b32_e32 v4, 1, v6
	v_cndmask_b32_e32 v3, v5, v3, vcc
	v_cmp_eq_u32_e32 vcc, 1, v4
	s_andn2_b64 s[0:1], s[0:1], exec
	s_and_b64 s[14:15], vcc, exec
	v_and_b32_e32 v1, 0xff, v6
	s_or_b64 s[0:1], s[0:1], s[14:15]
; %bb.36:
	s_or_b64 exec, exec, s[2:3]
	v_mov_b32_dpp v6, v1 row_bcast:31 row_mask:0xf bank_mask:0xf bound_ctrl:1
	v_and_b32_e32 v7, 1, v6
	v_mov_b32_dpp v4, v2 row_bcast:31 row_mask:0xf bank_mask:0xf bound_ctrl:1
	v_mov_b32_dpp v5, v3 row_bcast:31 row_mask:0xf bank_mask:0xf bound_ctrl:1
	v_cmp_eq_u32_e32 vcc, 1, v7
	s_and_saveexec_b64 s[2:3], vcc
; %bb.37:
	v_cmp_lt_i64_e32 vcc, v[2:3], v[4:5]
	v_and_b32_e32 v1, 0xff, v6
	s_and_b64 vcc, s[0:1], vcc
	v_cndmask_b32_e32 v2, v4, v2, vcc
	v_cndmask_b32_e32 v3, v5, v3, vcc
	v_cndmask_b32_e64 v1, v1, 1, s[0:1]
; %bb.38:
	s_or_b64 exec, exec, s[2:3]
	v_mbcnt_lo_u32_b32 v4, -1, 0
	v_mbcnt_hi_u32_b32 v4, -1, v4
	v_bfrev_b32_e32 v5, 0.5
	v_lshl_or_b32 v5, v4, 2, v5
	ds_bpermute_b32 v6, v5, v1
	ds_bpermute_b32 v2, v5, v2
	;; [unrolled: 1-line block ×3, first 2 shown]
	v_cmp_eq_u32_e32 vcc, 0, v4
	s_and_saveexec_b64 s[0:1], vcc
	s_cbranch_execz .LBB1735_40
; %bb.39:
	v_lshrrev_b32_e32 v1, 2, v0
	v_and_b32_e32 v1, 48, v1
	s_waitcnt lgkmcnt(2)
	ds_write_b8 v1, v6 offset:128
	s_waitcnt lgkmcnt(1)
	ds_write_b64 v1, v[2:3] offset:136
.LBB1735_40:
	s_or_b64 exec, exec, s[0:1]
	v_cmp_gt_u32_e32 vcc, 64, v0
	s_waitcnt lgkmcnt(0)
	s_barrier
	s_and_saveexec_b64 s[2:3], vcc
	s_cbranch_execz .LBB1735_42
; %bb.41:
	v_and_b32_e32 v1, 3, v4
	v_lshlrev_b32_e32 v2, 4, v1
	ds_read_u8 v5, v2 offset:128
	ds_read_b64 v[2:3], v2 offset:136
	v_cmp_ne_u32_e32 vcc, 3, v1
	v_addc_co_u32_e32 v6, vcc, 0, v4, vcc
	s_waitcnt lgkmcnt(1)
	v_and_b32_e32 v7, 0xff, v5
	v_lshlrev_b32_e32 v8, 2, v6
	ds_bpermute_b32 v9, v8, v7
	s_waitcnt lgkmcnt(1)
	ds_bpermute_b32 v6, v8, v2
	ds_bpermute_b32 v7, v8, v3
	v_and_b32_e32 v8, 1, v5
	s_waitcnt lgkmcnt(2)
	v_and_b32_e32 v10, 1, v9
	v_cmp_eq_u32_e64 s[0:1], 1, v10
	s_waitcnt lgkmcnt(0)
	v_cmp_lt_i64_e32 vcc, v[6:7], v[2:3]
	s_and_b64 vcc, s[0:1], vcc
	v_cndmask_b32_e64 v5, v5, 1, s[0:1]
	v_cndmask_b32_e32 v2, v2, v6, vcc
	v_cndmask_b32_e32 v3, v3, v7, vcc
	v_cmp_eq_u32_e32 vcc, 1, v8
	v_cndmask_b32_e32 v8, v9, v5, vcc
	v_cndmask_b32_e32 v3, v7, v3, vcc
	;; [unrolled: 1-line block ×3, first 2 shown]
	v_cmp_gt_u32_e32 vcc, 2, v1
	v_cndmask_b32_e64 v1, 0, 1, vcc
	v_lshlrev_b32_e32 v1, 1, v1
	v_and_b32_e32 v5, 0xff, v8
	v_add_lshl_u32 v1, v1, v4, 2
	ds_bpermute_b32 v6, v1, v5
	ds_bpermute_b32 v4, v1, v2
	;; [unrolled: 1-line block ×3, first 2 shown]
	v_and_b32_e32 v1, 1, v8
	s_waitcnt lgkmcnt(2)
	v_and_b32_e32 v7, 1, v6
	v_cmp_eq_u32_e64 s[0:1], 1, v7
	s_waitcnt lgkmcnt(0)
	v_cmp_lt_i64_e32 vcc, v[4:5], v[2:3]
	s_and_b64 vcc, s[0:1], vcc
	v_cndmask_b32_e64 v7, v8, 1, s[0:1]
	v_cndmask_b32_e32 v2, v2, v4, vcc
	v_cndmask_b32_e32 v3, v3, v5, vcc
	v_cmp_eq_u32_e32 vcc, 1, v1
	v_cndmask_b32_e32 v1, v6, v7, vcc
	v_cndmask_b32_e32 v3, v5, v3, vcc
	;; [unrolled: 1-line block ×3, first 2 shown]
	v_and_b32_e32 v6, 0xff, v1
.LBB1735_42:
	s_or_b64 exec, exec, s[2:3]
	s_branch .LBB1735_128
.LBB1735_43:
                                        ; implicit-def: $vgpr4_vgpr5
                                        ; implicit-def: $vgpr1
	s_branch .LBB1735_208
.LBB1735_44:
                                        ; implicit-def: $vgpr2_vgpr3
                                        ; implicit-def: $vgpr7
	s_cbranch_execz .LBB1735_89
; %bb.45:
	s_sub_i32 s37, s20, s12
	v_pk_mov_b32 v[10:11], 0, 0
	v_cmp_gt_u32_e32 vcc, s37, v0
	v_mov_b32_e32 v21, 0
	v_pk_mov_b32 v[2:3], v[10:11], v[10:11] op_sel:[0,1]
	v_mov_b32_e32 v1, 0
	s_and_saveexec_b64 s[0:1], vcc
	s_cbranch_execz .LBB1735_47
; %bb.46:
	v_lshlrev_b32_e32 v1, 3, v0
	global_load_dwordx2 v[4:5], v1, s[14:15]
	v_mov_b32_e32 v1, s36
	v_add_co_u32_e32 v2, vcc, s35, v0
	v_addc_co_u32_e32 v3, vcc, 0, v1, vcc
	s_waitcnt vmcnt(0)
	v_cmp_eq_f64_e32 vcc, s[16:17], v[4:5]
	v_cndmask_b32_e64 v1, 0, 1, vcc
.LBB1735_47:
	s_or_b64 exec, exec, s[0:1]
	v_or_b32_e32 v4, 0x100, v0
	v_cmp_gt_u32_e64 s[12:13], s37, v4
	s_and_saveexec_b64 s[0:1], s[12:13]
	s_cbranch_execz .LBB1735_49
; %bb.48:
	v_lshlrev_b32_e32 v5, 3, v0
	global_load_dwordx2 v[6:7], v5, s[14:15] offset:2048
	v_mov_b32_e32 v5, s36
	v_add_co_u32_e32 v10, vcc, s35, v4
	v_addc_co_u32_e32 v11, vcc, 0, v5, vcc
	s_waitcnt vmcnt(0)
	v_cmp_eq_f64_e32 vcc, s[16:17], v[6:7]
	v_cndmask_b32_e64 v21, 0, 1, vcc
.LBB1735_49:
	s_or_b64 exec, exec, s[0:1]
	v_or_b32_e32 v4, 0x200, v0
	v_pk_mov_b32 v[8:9], 0, 0
	v_cmp_gt_u32_e64 s[10:11], s37, v4
	v_mov_b32_e32 v20, 0
	v_pk_mov_b32 v[16:17], v[8:9], v[8:9] op_sel:[0,1]
	v_mov_b32_e32 v24, 0
	s_and_saveexec_b64 s[0:1], s[10:11]
	s_cbranch_execz .LBB1735_51
; %bb.50:
	v_lshlrev_b32_e32 v5, 3, v4
	global_load_dwordx2 v[6:7], v5, s[14:15]
	v_mov_b32_e32 v5, s36
	v_add_co_u32_e32 v16, vcc, s35, v4
	v_addc_co_u32_e32 v17, vcc, 0, v5, vcc
	s_waitcnt vmcnt(0)
	v_cmp_eq_f64_e32 vcc, s[16:17], v[6:7]
	v_cndmask_b32_e64 v24, 0, 1, vcc
.LBB1735_51:
	s_or_b64 exec, exec, s[0:1]
	v_or_b32_e32 v4, 0x300, v0
	v_cmp_gt_u32_e64 s[8:9], s37, v4
	s_and_saveexec_b64 s[0:1], s[8:9]
	s_cbranch_execz .LBB1735_53
; %bb.52:
	v_lshlrev_b32_e32 v5, 3, v4
	global_load_dwordx2 v[6:7], v5, s[14:15]
	v_mov_b32_e32 v5, s36
	v_add_co_u32_e32 v8, vcc, s35, v4
	v_addc_co_u32_e32 v9, vcc, 0, v5, vcc
	s_waitcnt vmcnt(0)
	v_cmp_eq_f64_e32 vcc, s[16:17], v[6:7]
	v_cndmask_b32_e64 v20, 0, 1, vcc
.LBB1735_53:
	s_or_b64 exec, exec, s[0:1]
	v_or_b32_e32 v4, 0x400, v0
	v_pk_mov_b32 v[6:7], 0, 0
	v_cmp_gt_u32_e64 s[4:5], s37, v4
	v_mov_b32_e32 v19, 0
	v_pk_mov_b32 v[14:15], v[6:7], v[6:7] op_sel:[0,1]
	v_mov_b32_e32 v23, 0
	s_and_saveexec_b64 s[0:1], s[4:5]
	s_cbranch_execz .LBB1735_55
; %bb.54:
	v_lshlrev_b32_e32 v5, 3, v4
	global_load_dwordx2 v[12:13], v5, s[14:15]
	v_mov_b32_e32 v5, s36
	v_add_co_u32_e32 v14, vcc, s35, v4
	v_addc_co_u32_e32 v15, vcc, 0, v5, vcc
	s_waitcnt vmcnt(0)
	v_cmp_eq_f64_e32 vcc, s[16:17], v[12:13]
	v_cndmask_b32_e64 v23, 0, 1, vcc
.LBB1735_55:
	s_or_b64 exec, exec, s[0:1]
	v_or_b32_e32 v4, 0x500, v0
	v_cmp_gt_u32_e64 s[2:3], s37, v4
	s_and_saveexec_b64 s[0:1], s[2:3]
	s_cbranch_execz .LBB1735_57
; %bb.56:
	v_lshlrev_b32_e32 v5, 3, v4
	global_load_dwordx2 v[12:13], v5, s[14:15]
	v_mov_b32_e32 v5, s36
	v_add_co_u32_e32 v6, vcc, s35, v4
	v_addc_co_u32_e32 v7, vcc, 0, v5, vcc
	s_waitcnt vmcnt(0)
	v_cmp_eq_f64_e32 vcc, s[16:17], v[12:13]
	v_cndmask_b32_e64 v19, 0, 1, vcc
.LBB1735_57:
	s_or_b64 exec, exec, s[0:1]
	v_or_b32_e32 v25, 0x600, v0
	v_pk_mov_b32 v[4:5], 0, 0
	v_cmp_gt_u32_e64 s[0:1], s37, v25
	v_mov_b32_e32 v18, 0
	v_mov_b32_e32 v22, 0
	v_pk_mov_b32 v[12:13], v[4:5], v[4:5] op_sel:[0,1]
	s_and_saveexec_b64 s[30:31], s[0:1]
	s_cbranch_execz .LBB1735_59
; %bb.58:
	v_lshlrev_b32_e32 v12, 3, v25
	global_load_dwordx2 v[26:27], v12, s[14:15]
	v_mov_b32_e32 v13, s36
	v_add_co_u32_e32 v12, vcc, s35, v25
	v_addc_co_u32_e32 v13, vcc, 0, v13, vcc
	s_waitcnt vmcnt(0)
	v_cmp_eq_f64_e32 vcc, s[16:17], v[26:27]
	v_cndmask_b32_e64 v22, 0, 1, vcc
.LBB1735_59:
	s_or_b64 exec, exec, s[30:31]
	v_or_b32_e32 v25, 0x700, v0
	v_cmp_gt_u32_e32 vcc, s37, v25
	s_and_saveexec_b64 s[30:31], vcc
	s_cbranch_execnz .LBB1735_240
; %bb.60:
	s_or_b64 exec, exec, s[30:31]
	s_and_saveexec_b64 s[30:31], s[12:13]
	s_cbranch_execnz .LBB1735_241
.LBB1735_61:
	s_or_b64 exec, exec, s[30:31]
	s_and_saveexec_b64 s[14:15], s[10:11]
	s_cbranch_execnz .LBB1735_242
.LBB1735_62:
	s_or_b64 exec, exec, s[14:15]
	s_and_saveexec_b64 s[12:13], s[8:9]
	s_cbranch_execnz .LBB1735_243
.LBB1735_63:
	s_or_b64 exec, exec, s[12:13]
	s_and_saveexec_b64 s[10:11], s[4:5]
	s_cbranch_execnz .LBB1735_244
.LBB1735_64:
	s_or_b64 exec, exec, s[10:11]
	s_and_saveexec_b64 s[8:9], s[2:3]
	s_cbranch_execnz .LBB1735_245
.LBB1735_65:
	s_or_b64 exec, exec, s[8:9]
	s_and_saveexec_b64 s[4:5], s[0:1]
	s_cbranch_execnz .LBB1735_246
.LBB1735_66:
	s_or_b64 exec, exec, s[4:5]
	s_and_saveexec_b64 s[2:3], vcc
	s_cbranch_execz .LBB1735_68
.LBB1735_67:
	v_and_b32_e32 v7, 1, v18
	v_cmp_lt_i64_e32 vcc, v[4:5], v[2:3]
	v_cmp_eq_u32_e64 s[0:1], 1, v7
	v_and_b32_e32 v6, 1, v1
	s_and_b64 vcc, s[0:1], vcc
	v_cndmask_b32_e64 v1, v1, 1, s[0:1]
	v_cndmask_b32_e32 v2, v2, v4, vcc
	v_cndmask_b32_e32 v3, v3, v5, vcc
	v_cmp_eq_u32_e32 vcc, 1, v6
	v_cndmask_b32_e32 v1, v18, v1, vcc
	v_cndmask_b32_e32 v3, v5, v3, vcc
	v_cndmask_b32_e32 v2, v4, v2, vcc
.LBB1735_68:
	s_or_b64 exec, exec, s[2:3]
	v_mbcnt_lo_u32_b32 v4, -1, 0
	v_mbcnt_hi_u32_b32 v6, -1, v4
	v_and_b32_e32 v8, 63, v6
	v_cmp_ne_u32_e32 vcc, 63, v8
	v_addc_co_u32_e32 v4, vcc, 0, v6, vcc
	v_and_b32_e32 v7, 0xffff, v1
	v_lshlrev_b32_e32 v5, 2, v4
	ds_bpermute_b32 v11, v5, v7
	ds_bpermute_b32 v4, v5, v2
	;; [unrolled: 1-line block ×3, first 2 shown]
	s_min_u32 s4, s37, 0x100
	v_and_b32_e32 v9, 0xc0, v0
	v_sub_u32_e64 v10, s4, v9 clamp
	v_add_u32_e32 v9, 1, v8
	v_cmp_lt_u32_e32 vcc, v9, v10
	v_mov_b32_e32 v9, v7
	s_and_saveexec_b64 s[0:1], vcc
	s_xor_b64 s[2:3], exec, s[0:1]
	s_cbranch_execz .LBB1735_70
; %bb.69:
	s_waitcnt lgkmcnt(2)
	v_and_b32_e32 v9, 1, v11
	s_waitcnt lgkmcnt(0)
	v_cmp_lt_i64_e32 vcc, v[4:5], v[2:3]
	v_cmp_eq_u32_e64 s[0:1], 1, v9
	v_and_b32_e32 v1, 1, v1
	s_and_b64 vcc, s[0:1], vcc
	v_cndmask_b32_e64 v7, v7, 1, s[0:1]
	v_cndmask_b32_e32 v2, v2, v4, vcc
	v_cndmask_b32_e32 v3, v3, v5, vcc
	v_cmp_eq_u32_e32 vcc, 1, v1
	v_cndmask_b32_e32 v9, v11, v7, vcc
	v_cndmask_b32_e32 v3, v5, v3, vcc
	;; [unrolled: 1-line block ×3, first 2 shown]
	v_and_b32_e32 v7, 0xff, v9
.LBB1735_70:
	s_or_b64 exec, exec, s[2:3]
	v_cmp_gt_u32_e32 vcc, 62, v8
	v_cndmask_b32_e64 v1, 0, 1, vcc
	v_lshlrev_b32_e32 v1, 1, v1
	s_waitcnt lgkmcnt(0)
	v_add_lshl_u32 v5, v1, v6, 2
	ds_bpermute_b32 v1, v5, v7
	ds_bpermute_b32 v4, v5, v2
	ds_bpermute_b32 v5, v5, v3
	v_add_u32_e32 v11, 2, v8
	v_cmp_lt_u32_e32 vcc, v11, v10
	s_and_saveexec_b64 s[2:3], vcc
	s_cbranch_execz .LBB1735_72
; %bb.71:
	s_waitcnt lgkmcnt(2)
	v_and_b32_e32 v11, 1, v1
	s_waitcnt lgkmcnt(0)
	v_cmp_lt_i64_e32 vcc, v[4:5], v[2:3]
	v_cmp_eq_u32_e64 s[0:1], 1, v11
	v_and_b32_e32 v7, 1, v9
	s_and_b64 vcc, s[0:1], vcc
	v_cndmask_b32_e64 v9, v9, 1, s[0:1]
	v_cndmask_b32_e32 v2, v2, v4, vcc
	v_cndmask_b32_e32 v3, v3, v5, vcc
	v_cmp_eq_u32_e32 vcc, 1, v7
	v_cndmask_b32_e32 v9, v1, v9, vcc
	v_cndmask_b32_e32 v3, v5, v3, vcc
	v_cndmask_b32_e32 v2, v4, v2, vcc
	v_and_b32_e32 v7, 0xff, v9
.LBB1735_72:
	s_or_b64 exec, exec, s[2:3]
	v_cmp_gt_u32_e32 vcc, 60, v8
	s_waitcnt lgkmcnt(2)
	v_cndmask_b32_e64 v1, 0, 1, vcc
	v_lshlrev_b32_e32 v1, 2, v1
	s_waitcnt lgkmcnt(0)
	v_add_lshl_u32 v5, v1, v6, 2
	ds_bpermute_b32 v1, v5, v7
	ds_bpermute_b32 v4, v5, v2
	ds_bpermute_b32 v5, v5, v3
	v_add_u32_e32 v11, 4, v8
	v_cmp_lt_u32_e32 vcc, v11, v10
	s_and_saveexec_b64 s[2:3], vcc
	s_cbranch_execz .LBB1735_74
; %bb.73:
	s_waitcnt lgkmcnt(2)
	v_and_b32_e32 v11, 1, v1
	s_waitcnt lgkmcnt(0)
	v_cmp_lt_i64_e32 vcc, v[4:5], v[2:3]
	v_cmp_eq_u32_e64 s[0:1], 1, v11
	v_and_b32_e32 v7, 1, v9
	s_and_b64 vcc, s[0:1], vcc
	v_cndmask_b32_e64 v9, v9, 1, s[0:1]
	v_cndmask_b32_e32 v2, v2, v4, vcc
	v_cndmask_b32_e32 v3, v3, v5, vcc
	v_cmp_eq_u32_e32 vcc, 1, v7
	v_cndmask_b32_e32 v9, v1, v9, vcc
	v_cndmask_b32_e32 v3, v5, v3, vcc
	v_cndmask_b32_e32 v2, v4, v2, vcc
	v_and_b32_e32 v7, 0xff, v9
.LBB1735_74:
	s_or_b64 exec, exec, s[2:3]
	v_cmp_gt_u32_e32 vcc, 56, v8
	s_waitcnt lgkmcnt(2)
	;; [unrolled: 31-line block ×4, first 2 shown]
	v_cndmask_b32_e64 v1, 0, 1, vcc
	v_lshlrev_b32_e32 v1, 5, v1
	s_waitcnt lgkmcnt(0)
	v_add_lshl_u32 v5, v1, v6, 2
	ds_bpermute_b32 v1, v5, v7
	ds_bpermute_b32 v4, v5, v2
	;; [unrolled: 1-line block ×3, first 2 shown]
	v_add_u32_e32 v8, 32, v8
	v_cmp_lt_u32_e32 vcc, v8, v10
	s_and_saveexec_b64 s[2:3], vcc
	s_cbranch_execz .LBB1735_80
; %bb.79:
	s_waitcnt lgkmcnt(2)
	v_and_b32_e32 v8, 1, v1
	s_waitcnt lgkmcnt(0)
	v_cmp_lt_i64_e32 vcc, v[4:5], v[2:3]
	v_cmp_eq_u32_e64 s[0:1], 1, v8
	v_and_b32_e32 v7, 1, v9
	s_and_b64 vcc, s[0:1], vcc
	v_cndmask_b32_e64 v8, v9, 1, s[0:1]
	v_cndmask_b32_e32 v2, v2, v4, vcc
	v_cndmask_b32_e32 v3, v3, v5, vcc
	v_cmp_eq_u32_e32 vcc, 1, v7
	v_cndmask_b32_e32 v9, v1, v8, vcc
	v_cndmask_b32_e32 v3, v5, v3, vcc
	;; [unrolled: 1-line block ×3, first 2 shown]
	v_and_b32_e32 v7, 0xff, v9
.LBB1735_80:
	s_or_b64 exec, exec, s[2:3]
	v_cmp_eq_u32_e32 vcc, 0, v6
	s_and_saveexec_b64 s[0:1], vcc
	s_cbranch_execz .LBB1735_82
; %bb.81:
	s_waitcnt lgkmcnt(2)
	v_lshrrev_b32_e32 v1, 2, v0
	v_and_b32_e32 v1, 48, v1
	ds_write_b8 v1, v9 offset:256
	ds_write_b64 v1, v[2:3] offset:264
.LBB1735_82:
	s_or_b64 exec, exec, s[0:1]
	v_cmp_gt_u32_e32 vcc, 4, v0
	s_waitcnt lgkmcnt(0)
	s_barrier
	s_and_saveexec_b64 s[2:3], vcc
	s_cbranch_execz .LBB1735_88
; %bb.83:
	v_lshlrev_b32_e32 v2, 4, v6
	ds_read_u8 v1, v2 offset:256
	ds_read_b64 v[2:3], v2 offset:264
	v_and_b32_e32 v8, 3, v6
	v_cmp_ne_u32_e32 vcc, 3, v8
	v_addc_co_u32_e32 v4, vcc, 0, v6, vcc
	s_waitcnt lgkmcnt(1)
	v_and_b32_e32 v7, 0xff, v1
	v_lshlrev_b32_e32 v5, 2, v4
	ds_bpermute_b32 v9, v5, v7
	s_waitcnt lgkmcnt(1)
	ds_bpermute_b32 v4, v5, v2
	ds_bpermute_b32 v5, v5, v3
	s_add_i32 s4, s4, 63
	s_lshr_b32 s8, s4, 6
	v_add_u32_e32 v10, 1, v8
	v_cmp_gt_u32_e32 vcc, s8, v10
	s_and_saveexec_b64 s[4:5], vcc
	s_cbranch_execz .LBB1735_85
; %bb.84:
	s_waitcnt lgkmcnt(2)
	v_and_b32_e32 v10, 1, v9
	s_waitcnt lgkmcnt(0)
	v_cmp_lt_i64_e32 vcc, v[4:5], v[2:3]
	v_cmp_eq_u32_e64 s[0:1], 1, v10
	v_and_b32_e32 v7, 1, v1
	s_and_b64 vcc, s[0:1], vcc
	v_cndmask_b32_e64 v1, v1, 1, s[0:1]
	v_cndmask_b32_e32 v2, v2, v4, vcc
	v_cndmask_b32_e32 v3, v3, v5, vcc
	v_cmp_eq_u32_e32 vcc, 1, v7
	v_cndmask_b32_e32 v1, v9, v1, vcc
	v_cndmask_b32_e32 v3, v5, v3, vcc
	;; [unrolled: 1-line block ×3, first 2 shown]
	v_and_b32_e32 v7, 0xff, v1
.LBB1735_85:
	s_or_b64 exec, exec, s[4:5]
	v_cmp_gt_u32_e32 vcc, 2, v8
	s_waitcnt lgkmcnt(1)
	v_cndmask_b32_e64 v4, 0, 1, vcc
	v_lshlrev_b32_e32 v4, 1, v4
	s_waitcnt lgkmcnt(0)
	v_add_lshl_u32 v5, v4, v6, 2
	ds_bpermute_b32 v6, v5, v7
	ds_bpermute_b32 v4, v5, v2
	;; [unrolled: 1-line block ×3, first 2 shown]
	v_add_u32_e32 v8, 2, v8
	v_cmp_gt_u32_e32 vcc, s8, v8
	s_and_saveexec_b64 s[4:5], vcc
	s_cbranch_execz .LBB1735_87
; %bb.86:
	s_waitcnt lgkmcnt(2)
	v_and_b32_e32 v8, 1, v6
	s_waitcnt lgkmcnt(0)
	v_cmp_lt_i64_e32 vcc, v[4:5], v[2:3]
	v_cmp_eq_u32_e64 s[0:1], 1, v8
	v_and_b32_e32 v7, 1, v1
	s_and_b64 vcc, s[0:1], vcc
	v_cndmask_b32_e64 v1, v1, 1, s[0:1]
	v_cndmask_b32_e32 v2, v2, v4, vcc
	v_cndmask_b32_e32 v3, v3, v5, vcc
	v_cmp_eq_u32_e32 vcc, 1, v7
	v_cndmask_b32_e32 v1, v6, v1, vcc
	v_cndmask_b32_e32 v3, v5, v3, vcc
	;; [unrolled: 1-line block ×3, first 2 shown]
	v_and_b32_e32 v7, 0xff, v1
.LBB1735_87:
	s_or_b64 exec, exec, s[4:5]
.LBB1735_88:
	s_or_b64 exec, exec, s[2:3]
.LBB1735_89:
	v_cmp_eq_u32_e32 vcc, 0, v0
	s_mov_b64 s[8:9], 0
                                        ; implicit-def: $vgpr4_vgpr5
                                        ; implicit-def: $vgpr1
	s_and_saveexec_b64 s[0:1], vcc
	s_xor_b64 s[4:5], exec, s[0:1]
	s_cbranch_execz .LBB1735_93
; %bb.90:
	s_cmp_eq_u64 s[20:21], 0
	s_waitcnt lgkmcnt(0)
	v_pk_mov_b32 v[4:5], s[24:25], s[24:25] op_sel:[0,1]
	v_mov_b32_e32 v1, s33
	s_cbranch_scc1 .LBB1735_92
; %bb.91:
	v_and_b32_e32 v1, 1, v7
	s_bitcmp1_b32 s33, 0
	v_mov_b32_e32 v4, s33
	v_cmp_eq_u32_e32 vcc, 1, v1
	v_cmp_gt_i64_e64 s[2:3], s[24:25], v[2:3]
	v_cndmask_b32_e64 v1, v4, 1, vcc
	s_cselect_b64 s[0:1], -1, 0
	v_mov_b32_e32 v4, s24
	s_and_b64 vcc, vcc, s[2:3]
	v_mov_b32_e32 v5, s25
	v_cndmask_b32_e32 v4, v4, v2, vcc
	v_cndmask_b32_e32 v5, v5, v3, vcc
	v_cndmask_b32_e64 v1, v7, v1, s[0:1]
	v_cndmask_b32_e64 v5, v3, v5, s[0:1]
	;; [unrolled: 1-line block ×3, first 2 shown]
.LBB1735_92:
	s_mov_b64 s[8:9], exec
.LBB1735_93:
	s_or_b64 exec, exec, s[4:5]
	s_and_b64 vcc, exec, s[28:29]
	s_cbranch_vccnz .LBB1735_24
.LBB1735_94:
	s_branch .LBB1735_208
.LBB1735_95:
                                        ; implicit-def: $vgpr2_vgpr3
                                        ; implicit-def: $vgpr6
	s_cbranch_execz .LBB1735_128
; %bb.96:
	s_sub_i32 s14, s20, s10
	s_waitcnt lgkmcnt(2)
	v_pk_mov_b32 v[6:7], 0, 0
	v_cmp_gt_u32_e32 vcc, s14, v0
	v_mov_b32_e32 v11, 0
	v_pk_mov_b32 v[2:3], v[6:7], v[6:7] op_sel:[0,1]
	v_mov_b32_e32 v10, 0
	s_and_saveexec_b64 s[0:1], vcc
	s_cbranch_execz .LBB1735_98
; %bb.97:
	v_lshlrev_b32_e32 v1, 3, v0
	s_waitcnt lgkmcnt(0)
	global_load_dwordx2 v[4:5], v1, s[4:5]
	v_mov_b32_e32 v1, s13
	v_add_co_u32_e32 v2, vcc, s12, v0
	v_addc_co_u32_e32 v3, vcc, 0, v1, vcc
	s_waitcnt vmcnt(0)
	v_cmp_eq_f64_e32 vcc, s[16:17], v[4:5]
	v_cndmask_b32_e64 v10, 0, 1, vcc
.LBB1735_98:
	s_or_b64 exec, exec, s[0:1]
	v_or_b32_e32 v1, 0x100, v0
	v_cmp_gt_u32_e64 s[2:3], s14, v1
	s_and_saveexec_b64 s[0:1], s[2:3]
	s_cbranch_execz .LBB1735_100
; %bb.99:
	s_waitcnt lgkmcnt(1)
	v_lshlrev_b32_e32 v4, 3, v0
	s_waitcnt lgkmcnt(0)
	global_load_dwordx2 v[4:5], v4, s[4:5] offset:2048
	v_mov_b32_e32 v7, s13
	v_add_co_u32_e32 v6, vcc, s12, v1
	v_addc_co_u32_e32 v7, vcc, 0, v7, vcc
	s_waitcnt vmcnt(0)
	v_cmp_eq_f64_e32 vcc, s[16:17], v[4:5]
	v_cndmask_b32_e64 v11, 0, 1, vcc
.LBB1735_100:
	s_or_b64 exec, exec, s[0:1]
	v_or_b32_e32 v13, 0x200, v0
	s_waitcnt lgkmcnt(0)
	v_pk_mov_b32 v[4:5], 0, 0
	v_cmp_gt_u32_e64 s[0:1], s14, v13
	v_mov_b32_e32 v1, 0
	v_pk_mov_b32 v[8:9], v[4:5], v[4:5] op_sel:[0,1]
	v_mov_b32_e32 v12, 0
	s_and_saveexec_b64 s[10:11], s[0:1]
	s_cbranch_execz .LBB1735_102
; %bb.101:
	v_lshlrev_b32_e32 v8, 3, v13
	global_load_dwordx2 v[14:15], v8, s[4:5]
	v_mov_b32_e32 v9, s13
	v_add_co_u32_e32 v8, vcc, s12, v13
	v_addc_co_u32_e32 v9, vcc, 0, v9, vcc
	s_waitcnt vmcnt(0)
	v_cmp_eq_f64_e32 vcc, s[16:17], v[14:15]
	v_cndmask_b32_e64 v12, 0, 1, vcc
.LBB1735_102:
	s_or_b64 exec, exec, s[10:11]
	v_or_b32_e32 v13, 0x300, v0
	v_cmp_gt_u32_e32 vcc, s14, v13
	s_and_saveexec_b64 s[10:11], vcc
	s_cbranch_execnz .LBB1735_247
; %bb.103:
	s_or_b64 exec, exec, s[10:11]
	s_and_saveexec_b64 s[10:11], s[2:3]
	s_cbranch_execnz .LBB1735_248
.LBB1735_104:
	s_or_b64 exec, exec, s[10:11]
	s_and_saveexec_b64 s[4:5], s[0:1]
	s_cbranch_execnz .LBB1735_249
.LBB1735_105:
	s_or_b64 exec, exec, s[4:5]
	s_and_saveexec_b64 s[2:3], vcc
	s_cbranch_execz .LBB1735_107
.LBB1735_106:
	v_and_b32_e32 v7, 1, v1
	v_cmp_lt_i64_e32 vcc, v[4:5], v[2:3]
	v_cmp_eq_u32_e64 s[0:1], 1, v7
	v_and_b32_e32 v6, 1, v10
	s_and_b64 vcc, s[0:1], vcc
	v_cndmask_b32_e64 v7, v10, 1, s[0:1]
	v_cndmask_b32_e32 v2, v2, v4, vcc
	v_cndmask_b32_e32 v3, v3, v5, vcc
	v_cmp_eq_u32_e32 vcc, 1, v6
	v_cndmask_b32_e32 v10, v1, v7, vcc
	v_cndmask_b32_e32 v3, v5, v3, vcc
	;; [unrolled: 1-line block ×3, first 2 shown]
.LBB1735_107:
	s_or_b64 exec, exec, s[2:3]
	v_mbcnt_lo_u32_b32 v1, -1, 0
	v_mbcnt_hi_u32_b32 v1, -1, v1
	v_and_b32_e32 v7, 63, v1
	v_cmp_ne_u32_e32 vcc, 63, v7
	v_addc_co_u32_e32 v4, vcc, 0, v1, vcc
	v_and_b32_e32 v6, 0xffff, v10
	v_lshlrev_b32_e32 v5, 2, v4
	ds_bpermute_b32 v11, v5, v6
	ds_bpermute_b32 v4, v5, v2
	;; [unrolled: 1-line block ×3, first 2 shown]
	s_min_u32 s4, s14, 0x100
	v_and_b32_e32 v8, 0xc0, v0
	v_sub_u32_e64 v9, s4, v8 clamp
	v_add_u32_e32 v8, 1, v7
	v_cmp_lt_u32_e32 vcc, v8, v9
	v_mov_b32_e32 v8, v6
	s_and_saveexec_b64 s[0:1], vcc
	s_xor_b64 s[2:3], exec, s[0:1]
	s_cbranch_execz .LBB1735_109
; %bb.108:
	v_and_b32_e32 v8, 1, v10
	s_waitcnt lgkmcnt(2)
	v_and_b32_e32 v10, 1, v11
	s_waitcnt lgkmcnt(0)
	v_cmp_lt_i64_e32 vcc, v[4:5], v[2:3]
	v_cmp_eq_u32_e64 s[0:1], 1, v10
	s_and_b64 vcc, s[0:1], vcc
	v_cndmask_b32_e64 v6, v6, 1, s[0:1]
	v_cndmask_b32_e32 v2, v2, v4, vcc
	v_cndmask_b32_e32 v3, v3, v5, vcc
	v_cmp_eq_u32_e32 vcc, 1, v8
	v_cndmask_b32_e32 v8, v11, v6, vcc
	v_cndmask_b32_e32 v3, v5, v3, vcc
	;; [unrolled: 1-line block ×3, first 2 shown]
	v_and_b32_e32 v6, 0xff, v8
.LBB1735_109:
	s_or_b64 exec, exec, s[2:3]
	v_cmp_gt_u32_e32 vcc, 62, v7
	s_waitcnt lgkmcnt(1)
	v_cndmask_b32_e64 v4, 0, 1, vcc
	v_lshlrev_b32_e32 v4, 1, v4
	s_waitcnt lgkmcnt(0)
	v_add_lshl_u32 v5, v4, v1, 2
	ds_bpermute_b32 v10, v5, v6
	ds_bpermute_b32 v4, v5, v2
	ds_bpermute_b32 v5, v5, v3
	v_add_u32_e32 v11, 2, v7
	v_cmp_lt_u32_e32 vcc, v11, v9
	s_and_saveexec_b64 s[2:3], vcc
	s_cbranch_execz .LBB1735_111
; %bb.110:
	s_waitcnt lgkmcnt(2)
	v_and_b32_e32 v11, 1, v10
	s_waitcnt lgkmcnt(0)
	v_cmp_lt_i64_e32 vcc, v[4:5], v[2:3]
	v_cmp_eq_u32_e64 s[0:1], 1, v11
	v_and_b32_e32 v6, 1, v8
	s_and_b64 vcc, s[0:1], vcc
	v_cndmask_b32_e64 v8, v8, 1, s[0:1]
	v_cndmask_b32_e32 v2, v2, v4, vcc
	v_cndmask_b32_e32 v3, v3, v5, vcc
	v_cmp_eq_u32_e32 vcc, 1, v6
	v_cndmask_b32_e32 v8, v10, v8, vcc
	v_cndmask_b32_e32 v3, v5, v3, vcc
	v_cndmask_b32_e32 v2, v4, v2, vcc
	v_and_b32_e32 v6, 0xff, v8
.LBB1735_111:
	s_or_b64 exec, exec, s[2:3]
	v_cmp_gt_u32_e32 vcc, 60, v7
	s_waitcnt lgkmcnt(1)
	v_cndmask_b32_e64 v4, 0, 1, vcc
	v_lshlrev_b32_e32 v4, 2, v4
	s_waitcnt lgkmcnt(0)
	v_add_lshl_u32 v5, v4, v1, 2
	ds_bpermute_b32 v10, v5, v6
	ds_bpermute_b32 v4, v5, v2
	ds_bpermute_b32 v5, v5, v3
	v_add_u32_e32 v11, 4, v7
	v_cmp_lt_u32_e32 vcc, v11, v9
	s_and_saveexec_b64 s[2:3], vcc
	s_cbranch_execz .LBB1735_113
; %bb.112:
	s_waitcnt lgkmcnt(2)
	v_and_b32_e32 v11, 1, v10
	s_waitcnt lgkmcnt(0)
	v_cmp_lt_i64_e32 vcc, v[4:5], v[2:3]
	v_cmp_eq_u32_e64 s[0:1], 1, v11
	v_and_b32_e32 v6, 1, v8
	s_and_b64 vcc, s[0:1], vcc
	v_cndmask_b32_e64 v8, v8, 1, s[0:1]
	v_cndmask_b32_e32 v2, v2, v4, vcc
	v_cndmask_b32_e32 v3, v3, v5, vcc
	v_cmp_eq_u32_e32 vcc, 1, v6
	v_cndmask_b32_e32 v8, v10, v8, vcc
	v_cndmask_b32_e32 v3, v5, v3, vcc
	v_cndmask_b32_e32 v2, v4, v2, vcc
	v_and_b32_e32 v6, 0xff, v8
.LBB1735_113:
	;; [unrolled: 31-line block ×5, first 2 shown]
	s_or_b64 exec, exec, s[2:3]
	v_cmp_eq_u32_e32 vcc, 0, v1
	s_and_saveexec_b64 s[0:1], vcc
	s_cbranch_execz .LBB1735_121
; %bb.120:
	s_waitcnt lgkmcnt(1)
	v_lshrrev_b32_e32 v4, 2, v0
	v_and_b32_e32 v4, 48, v4
	ds_write_b8 v4, v8 offset:256
	ds_write_b64 v4, v[2:3] offset:264
.LBB1735_121:
	s_or_b64 exec, exec, s[0:1]
	v_cmp_gt_u32_e32 vcc, 4, v0
	s_waitcnt lgkmcnt(0)
	s_barrier
	s_and_saveexec_b64 s[2:3], vcc
	s_cbranch_execz .LBB1735_127
; %bb.122:
	v_lshlrev_b32_e32 v2, 4, v1
	ds_read_u8 v7, v2 offset:256
	ds_read_b64 v[2:3], v2 offset:264
	v_and_b32_e32 v8, 3, v1
	v_cmp_ne_u32_e32 vcc, 3, v8
	v_addc_co_u32_e32 v4, vcc, 0, v1, vcc
	s_waitcnt lgkmcnt(1)
	v_and_b32_e32 v6, 0xff, v7
	v_lshlrev_b32_e32 v5, 2, v4
	ds_bpermute_b32 v9, v5, v6
	s_waitcnt lgkmcnt(1)
	ds_bpermute_b32 v4, v5, v2
	ds_bpermute_b32 v5, v5, v3
	s_add_i32 s4, s4, 63
	s_lshr_b32 s10, s4, 6
	v_add_u32_e32 v10, 1, v8
	v_cmp_gt_u32_e32 vcc, s10, v10
	s_and_saveexec_b64 s[4:5], vcc
	s_cbranch_execz .LBB1735_124
; %bb.123:
	s_waitcnt lgkmcnt(2)
	v_and_b32_e32 v10, 1, v9
	s_waitcnt lgkmcnt(0)
	v_cmp_lt_i64_e32 vcc, v[4:5], v[2:3]
	v_cmp_eq_u32_e64 s[0:1], 1, v10
	v_and_b32_e32 v6, 1, v7
	s_and_b64 vcc, s[0:1], vcc
	v_cndmask_b32_e64 v7, v7, 1, s[0:1]
	v_cndmask_b32_e32 v2, v2, v4, vcc
	v_cndmask_b32_e32 v3, v3, v5, vcc
	v_cmp_eq_u32_e32 vcc, 1, v6
	v_cndmask_b32_e32 v7, v9, v7, vcc
	v_cndmask_b32_e32 v3, v5, v3, vcc
	;; [unrolled: 1-line block ×3, first 2 shown]
	v_and_b32_e32 v6, 0xff, v7
.LBB1735_124:
	s_or_b64 exec, exec, s[4:5]
	v_cmp_gt_u32_e32 vcc, 2, v8
	s_waitcnt lgkmcnt(1)
	v_cndmask_b32_e64 v4, 0, 1, vcc
	v_lshlrev_b32_e32 v4, 1, v4
	s_waitcnt lgkmcnt(0)
	v_add_lshl_u32 v5, v4, v1, 2
	ds_bpermute_b32 v1, v5, v6
	ds_bpermute_b32 v4, v5, v2
	;; [unrolled: 1-line block ×3, first 2 shown]
	v_add_u32_e32 v8, 2, v8
	v_cmp_gt_u32_e32 vcc, s10, v8
	s_and_saveexec_b64 s[4:5], vcc
	s_cbranch_execz .LBB1735_126
; %bb.125:
	s_waitcnt lgkmcnt(2)
	v_and_b32_e32 v8, 1, v1
	s_waitcnt lgkmcnt(0)
	v_cmp_lt_i64_e32 vcc, v[4:5], v[2:3]
	v_cmp_eq_u32_e64 s[0:1], 1, v8
	v_and_b32_e32 v6, 1, v7
	s_and_b64 vcc, s[0:1], vcc
	v_cndmask_b32_e64 v7, v7, 1, s[0:1]
	v_cndmask_b32_e32 v2, v2, v4, vcc
	v_cndmask_b32_e32 v3, v3, v5, vcc
	v_cmp_eq_u32_e32 vcc, 1, v6
	v_cndmask_b32_e32 v1, v1, v7, vcc
	v_cndmask_b32_e32 v3, v5, v3, vcc
	;; [unrolled: 1-line block ×3, first 2 shown]
	v_and_b32_e32 v6, 0xff, v1
.LBB1735_126:
	s_or_b64 exec, exec, s[4:5]
.LBB1735_127:
	s_or_b64 exec, exec, s[2:3]
.LBB1735_128:
	v_cmp_eq_u32_e32 vcc, 0, v0
                                        ; implicit-def: $vgpr4_vgpr5
                                        ; implicit-def: $vgpr1
	s_and_saveexec_b64 s[0:1], vcc
	s_xor_b64 s[4:5], exec, s[0:1]
	s_cbranch_execz .LBB1735_132
; %bb.129:
	s_cmp_eq_u64 s[20:21], 0
	s_waitcnt lgkmcnt(0)
	v_pk_mov_b32 v[4:5], s[24:25], s[24:25] op_sel:[0,1]
	v_mov_b32_e32 v1, s33
	s_cbranch_scc1 .LBB1735_131
; %bb.130:
	v_and_b32_e32 v1, 1, v6
	s_bitcmp1_b32 s33, 0
	v_mov_b32_e32 v4, s33
	v_cmp_eq_u32_e32 vcc, 1, v1
	v_cmp_gt_i64_e64 s[2:3], s[24:25], v[2:3]
	v_cndmask_b32_e64 v1, v4, 1, vcc
	s_cselect_b64 s[0:1], -1, 0
	v_mov_b32_e32 v4, s24
	s_and_b64 vcc, vcc, s[2:3]
	v_mov_b32_e32 v5, s25
	v_cndmask_b32_e32 v4, v4, v2, vcc
	v_cndmask_b32_e32 v5, v5, v3, vcc
	v_cndmask_b32_e64 v1, v6, v1, s[0:1]
	v_cndmask_b32_e64 v5, v3, v5, s[0:1]
	;; [unrolled: 1-line block ×3, first 2 shown]
.LBB1735_131:
	s_or_b64 s[8:9], s[8:9], exec
.LBB1735_132:
	s_or_b64 exec, exec, s[4:5]
	s_branch .LBB1735_208
.LBB1735_133:
	s_cmp_gt_i32 s34, 1
	s_cbranch_scc0 .LBB1735_153
; %bb.134:
	s_cmp_eq_u32 s34, 2
	s_cbranch_scc0 .LBB1735_154
; %bb.135:
	s_mov_b32 s7, 0
	s_lshl_b32 s4, s6, 9
	s_mov_b32 s5, s7
	s_lshr_b64 s[0:1], s[20:21], 9
	s_lshl_b64 s[2:3], s[4:5], 3
	s_add_u32 s2, s26, s2
	s_addc_u32 s3, s27, s3
	s_add_u32 s12, s18, s4
	s_addc_u32 s13, s19, 0
	s_cmp_lg_u64 s[0:1], s[6:7]
	s_cbranch_scc0 .LBB1735_155
; %bb.136:
	s_waitcnt lgkmcnt(2)
	v_lshlrev_b32_e32 v1, 3, v0
	global_load_dwordx2 v[2:3], v1, s[2:3] offset:2048
	s_waitcnt lgkmcnt(0)
	global_load_dwordx2 v[4:5], v1, s[2:3]
	v_mov_b32_e32 v1, s13
	v_add_co_u32_e32 v6, vcc, s12, v0
	v_addc_co_u32_e32 v1, vcc, 0, v1, vcc
	v_add_co_u32_e32 v7, vcc, 0x100, v6
	v_addc_co_u32_e32 v8, vcc, 0, v1, vcc
	s_waitcnt vmcnt(1)
	v_cmp_eq_f64_e32 vcc, s[16:17], v[2:3]
	s_waitcnt vmcnt(0)
	v_cmp_eq_f64_e64 s[0:1], s[16:17], v[4:5]
	v_cndmask_b32_e64 v3, v8, v1, s[0:1]
	v_cndmask_b32_e64 v2, v7, v6, s[0:1]
	s_or_b64 s[0:1], s[0:1], vcc
	v_cndmask_b32_e64 v1, 0, 1, s[0:1]
	v_mov_b32_dpp v4, v2 quad_perm:[1,0,3,2] row_mask:0xf bank_mask:0xf bound_ctrl:1
	v_mov_b32_dpp v5, v3 quad_perm:[1,0,3,2] row_mask:0xf bank_mask:0xf bound_ctrl:1
	;; [unrolled: 1-line block ×3, first 2 shown]
	v_and_b32_e32 v7, 1, v6
	v_cmp_eq_u32_e32 vcc, 1, v7
	s_and_saveexec_b64 s[10:11], vcc
; %bb.137:
	v_cmp_lt_i64_e32 vcc, v[2:3], v[4:5]
	v_cndmask_b32_e64 v6, v6, 1, s[0:1]
	s_and_b64 vcc, s[0:1], vcc
	v_cndmask_b32_e32 v2, v4, v2, vcc
	v_and_b32_e32 v4, 1, v6
	v_cndmask_b32_e32 v3, v5, v3, vcc
	v_cmp_eq_u32_e32 vcc, 1, v4
	s_andn2_b64 s[0:1], s[0:1], exec
	s_and_b64 s[14:15], vcc, exec
	v_and_b32_e32 v1, 0xff, v6
	s_or_b64 s[0:1], s[0:1], s[14:15]
; %bb.138:
	s_or_b64 exec, exec, s[10:11]
	v_mov_b32_dpp v6, v1 quad_perm:[2,3,0,1] row_mask:0xf bank_mask:0xf bound_ctrl:1
	v_and_b32_e32 v7, 1, v6
	v_mov_b32_dpp v4, v2 quad_perm:[2,3,0,1] row_mask:0xf bank_mask:0xf bound_ctrl:1
	v_mov_b32_dpp v5, v3 quad_perm:[2,3,0,1] row_mask:0xf bank_mask:0xf bound_ctrl:1
	v_cmp_eq_u32_e32 vcc, 1, v7
	s_and_saveexec_b64 s[10:11], vcc
; %bb.139:
	v_cmp_lt_i64_e32 vcc, v[2:3], v[4:5]
	v_cndmask_b32_e64 v6, v6, 1, s[0:1]
	s_and_b64 vcc, s[0:1], vcc
	v_cndmask_b32_e32 v2, v4, v2, vcc
	v_and_b32_e32 v4, 1, v6
	v_cndmask_b32_e32 v3, v5, v3, vcc
	v_cmp_eq_u32_e32 vcc, 1, v4
	s_andn2_b64 s[0:1], s[0:1], exec
	s_and_b64 s[14:15], vcc, exec
	v_and_b32_e32 v1, 0xff, v6
	s_or_b64 s[0:1], s[0:1], s[14:15]
; %bb.140:
	s_or_b64 exec, exec, s[10:11]
	v_mov_b32_dpp v6, v1 row_ror:4 row_mask:0xf bank_mask:0xf bound_ctrl:1
	v_and_b32_e32 v7, 1, v6
	v_mov_b32_dpp v4, v2 row_ror:4 row_mask:0xf bank_mask:0xf bound_ctrl:1
	v_mov_b32_dpp v5, v3 row_ror:4 row_mask:0xf bank_mask:0xf bound_ctrl:1
	v_cmp_eq_u32_e32 vcc, 1, v7
	s_and_saveexec_b64 s[10:11], vcc
; %bb.141:
	v_cmp_lt_i64_e32 vcc, v[2:3], v[4:5]
	v_cndmask_b32_e64 v6, v6, 1, s[0:1]
	s_and_b64 vcc, s[0:1], vcc
	v_cndmask_b32_e32 v2, v4, v2, vcc
	v_and_b32_e32 v4, 1, v6
	v_cndmask_b32_e32 v3, v5, v3, vcc
	v_cmp_eq_u32_e32 vcc, 1, v4
	s_andn2_b64 s[0:1], s[0:1], exec
	s_and_b64 s[14:15], vcc, exec
	v_and_b32_e32 v1, 0xff, v6
	s_or_b64 s[0:1], s[0:1], s[14:15]
; %bb.142:
	s_or_b64 exec, exec, s[10:11]
	v_mov_b32_dpp v6, v1 row_ror:8 row_mask:0xf bank_mask:0xf bound_ctrl:1
	v_and_b32_e32 v7, 1, v6
	v_mov_b32_dpp v4, v2 row_ror:8 row_mask:0xf bank_mask:0xf bound_ctrl:1
	v_mov_b32_dpp v5, v3 row_ror:8 row_mask:0xf bank_mask:0xf bound_ctrl:1
	v_cmp_eq_u32_e32 vcc, 1, v7
	s_and_saveexec_b64 s[10:11], vcc
; %bb.143:
	v_cmp_lt_i64_e32 vcc, v[2:3], v[4:5]
	v_cndmask_b32_e64 v6, v6, 1, s[0:1]
	s_and_b64 vcc, s[0:1], vcc
	v_cndmask_b32_e32 v2, v4, v2, vcc
	v_and_b32_e32 v4, 1, v6
	v_cndmask_b32_e32 v3, v5, v3, vcc
	v_cmp_eq_u32_e32 vcc, 1, v4
	s_andn2_b64 s[0:1], s[0:1], exec
	s_and_b64 s[14:15], vcc, exec
	v_and_b32_e32 v1, 0xff, v6
	s_or_b64 s[0:1], s[0:1], s[14:15]
; %bb.144:
	s_or_b64 exec, exec, s[10:11]
	v_mov_b32_dpp v6, v1 row_bcast:15 row_mask:0xf bank_mask:0xf bound_ctrl:1
	v_and_b32_e32 v7, 1, v6
	v_mov_b32_dpp v4, v2 row_bcast:15 row_mask:0xf bank_mask:0xf bound_ctrl:1
	v_mov_b32_dpp v5, v3 row_bcast:15 row_mask:0xf bank_mask:0xf bound_ctrl:1
	v_cmp_eq_u32_e32 vcc, 1, v7
	s_and_saveexec_b64 s[10:11], vcc
; %bb.145:
	v_cmp_lt_i64_e32 vcc, v[2:3], v[4:5]
	v_cndmask_b32_e64 v6, v6, 1, s[0:1]
	s_and_b64 vcc, s[0:1], vcc
	v_cndmask_b32_e32 v2, v4, v2, vcc
	v_and_b32_e32 v4, 1, v6
	v_cndmask_b32_e32 v3, v5, v3, vcc
	v_cmp_eq_u32_e32 vcc, 1, v4
	s_andn2_b64 s[0:1], s[0:1], exec
	s_and_b64 s[14:15], vcc, exec
	v_and_b32_e32 v1, 0xff, v6
	s_or_b64 s[0:1], s[0:1], s[14:15]
; %bb.146:
	s_or_b64 exec, exec, s[10:11]
	v_mov_b32_dpp v6, v1 row_bcast:31 row_mask:0xf bank_mask:0xf bound_ctrl:1
	v_and_b32_e32 v7, 1, v6
	v_mov_b32_dpp v4, v2 row_bcast:31 row_mask:0xf bank_mask:0xf bound_ctrl:1
	v_mov_b32_dpp v5, v3 row_bcast:31 row_mask:0xf bank_mask:0xf bound_ctrl:1
	v_cmp_eq_u32_e32 vcc, 1, v7
	s_and_saveexec_b64 s[10:11], vcc
; %bb.147:
	v_cmp_lt_i64_e32 vcc, v[2:3], v[4:5]
	v_and_b32_e32 v1, 0xff, v6
	s_and_b64 vcc, s[0:1], vcc
	v_cndmask_b32_e32 v2, v4, v2, vcc
	v_cndmask_b32_e32 v3, v5, v3, vcc
	v_cndmask_b32_e64 v1, v1, 1, s[0:1]
; %bb.148:
	s_or_b64 exec, exec, s[10:11]
	v_mbcnt_lo_u32_b32 v4, -1, 0
	v_mbcnt_hi_u32_b32 v4, -1, v4
	v_bfrev_b32_e32 v5, 0.5
	v_lshl_or_b32 v5, v4, 2, v5
	ds_bpermute_b32 v6, v5, v1
	ds_bpermute_b32 v2, v5, v2
	;; [unrolled: 1-line block ×3, first 2 shown]
	v_cmp_eq_u32_e32 vcc, 0, v4
	s_and_saveexec_b64 s[0:1], vcc
	s_cbranch_execz .LBB1735_150
; %bb.149:
	v_lshrrev_b32_e32 v1, 2, v0
	v_and_b32_e32 v1, 48, v1
	s_waitcnt lgkmcnt(2)
	ds_write_b8 v1, v6 offset:64
	s_waitcnt lgkmcnt(1)
	ds_write_b64 v1, v[2:3] offset:72
.LBB1735_150:
	s_or_b64 exec, exec, s[0:1]
	v_cmp_gt_u32_e32 vcc, 64, v0
	s_waitcnt lgkmcnt(0)
	s_barrier
	s_and_saveexec_b64 s[10:11], vcc
	s_cbranch_execz .LBB1735_152
; %bb.151:
	v_and_b32_e32 v1, 3, v4
	v_lshlrev_b32_e32 v2, 4, v1
	ds_read_u8 v5, v2 offset:64
	ds_read_b64 v[2:3], v2 offset:72
	v_cmp_ne_u32_e32 vcc, 3, v1
	v_addc_co_u32_e32 v6, vcc, 0, v4, vcc
	s_waitcnt lgkmcnt(1)
	v_and_b32_e32 v7, 0xff, v5
	v_lshlrev_b32_e32 v8, 2, v6
	ds_bpermute_b32 v9, v8, v7
	s_waitcnt lgkmcnt(1)
	ds_bpermute_b32 v6, v8, v2
	ds_bpermute_b32 v7, v8, v3
	v_and_b32_e32 v8, 1, v5
	s_waitcnt lgkmcnt(2)
	v_and_b32_e32 v10, 1, v9
	v_cmp_eq_u32_e64 s[0:1], 1, v10
	s_waitcnt lgkmcnt(0)
	v_cmp_lt_i64_e32 vcc, v[6:7], v[2:3]
	s_and_b64 vcc, s[0:1], vcc
	v_cndmask_b32_e64 v5, v5, 1, s[0:1]
	v_cndmask_b32_e32 v2, v2, v6, vcc
	v_cndmask_b32_e32 v3, v3, v7, vcc
	v_cmp_eq_u32_e32 vcc, 1, v8
	v_cndmask_b32_e32 v8, v9, v5, vcc
	v_cndmask_b32_e32 v3, v7, v3, vcc
	;; [unrolled: 1-line block ×3, first 2 shown]
	v_cmp_gt_u32_e32 vcc, 2, v1
	v_cndmask_b32_e64 v1, 0, 1, vcc
	v_lshlrev_b32_e32 v1, 1, v1
	v_and_b32_e32 v5, 0xff, v8
	v_add_lshl_u32 v1, v1, v4, 2
	ds_bpermute_b32 v6, v1, v5
	ds_bpermute_b32 v4, v1, v2
	;; [unrolled: 1-line block ×3, first 2 shown]
	v_and_b32_e32 v1, 1, v8
	s_waitcnt lgkmcnt(2)
	v_and_b32_e32 v7, 1, v6
	v_cmp_eq_u32_e64 s[0:1], 1, v7
	s_waitcnt lgkmcnt(0)
	v_cmp_lt_i64_e32 vcc, v[4:5], v[2:3]
	s_and_b64 vcc, s[0:1], vcc
	v_cndmask_b32_e64 v7, v8, 1, s[0:1]
	v_cndmask_b32_e32 v2, v2, v4, vcc
	v_cndmask_b32_e32 v3, v3, v5, vcc
	v_cmp_eq_u32_e32 vcc, 1, v1
	v_cndmask_b32_e32 v1, v6, v7, vcc
	v_cndmask_b32_e32 v3, v5, v3, vcc
	;; [unrolled: 1-line block ×3, first 2 shown]
	v_and_b32_e32 v6, 0xff, v1
.LBB1735_152:
	s_or_b64 exec, exec, s[10:11]
	s_branch .LBB1735_183
.LBB1735_153:
                                        ; implicit-def: $vgpr4_vgpr5
                                        ; implicit-def: $vgpr1
	s_cbranch_execnz .LBB1735_188
	s_branch .LBB1735_208
.LBB1735_154:
                                        ; implicit-def: $vgpr4_vgpr5
                                        ; implicit-def: $vgpr1
	s_branch .LBB1735_208
.LBB1735_155:
                                        ; implicit-def: $vgpr2_vgpr3
                                        ; implicit-def: $vgpr6
	s_cbranch_execz .LBB1735_183
; %bb.156:
	s_sub_i32 s10, s20, s4
	s_waitcnt lgkmcnt(0)
	v_pk_mov_b32 v[4:5], 0, 0
	v_cmp_gt_u32_e32 vcc, s10, v0
	v_mov_b32_e32 v1, 0
	v_pk_mov_b32 v[2:3], v[4:5], v[4:5] op_sel:[0,1]
	v_mov_b32_e32 v7, 0
	s_and_saveexec_b64 s[0:1], vcc
	s_cbranch_execz .LBB1735_158
; %bb.157:
	v_lshlrev_b32_e32 v2, 3, v0
	global_load_dwordx2 v[6:7], v2, s[2:3]
	v_mov_b32_e32 v3, s13
	v_add_co_u32_e32 v2, vcc, s12, v0
	v_addc_co_u32_e32 v3, vcc, 0, v3, vcc
	s_waitcnt vmcnt(0)
	v_cmp_eq_f64_e32 vcc, s[16:17], v[6:7]
	v_cndmask_b32_e64 v7, 0, 1, vcc
.LBB1735_158:
	s_or_b64 exec, exec, s[0:1]
	v_or_b32_e32 v6, 0x100, v0
	v_cmp_gt_u32_e32 vcc, s10, v6
	s_and_saveexec_b64 s[4:5], vcc
	s_cbranch_execz .LBB1735_160
; %bb.159:
	v_lshlrev_b32_e32 v1, 3, v0
	global_load_dwordx2 v[8:9], v1, s[2:3] offset:2048
	v_mov_b32_e32 v1, s13
	v_add_co_u32_e64 v4, s[0:1], s12, v6
	v_addc_co_u32_e64 v5, s[0:1], 0, v1, s[0:1]
	s_waitcnt vmcnt(0)
	v_cmp_eq_f64_e64 s[0:1], s[16:17], v[8:9]
	v_cndmask_b32_e64 v1, 0, 1, s[0:1]
.LBB1735_160:
	s_or_b64 exec, exec, s[4:5]
	s_and_saveexec_b64 s[2:3], vcc
	s_cbranch_execz .LBB1735_162
; %bb.161:
	v_and_b32_e32 v8, 1, v1
	v_cmp_lt_i64_e32 vcc, v[4:5], v[2:3]
	v_cmp_eq_u32_e64 s[0:1], 1, v8
	v_and_b32_e32 v6, 1, v7
	s_and_b64 vcc, s[0:1], vcc
	v_cndmask_b32_e64 v7, v7, 1, s[0:1]
	v_cndmask_b32_e32 v2, v2, v4, vcc
	v_cndmask_b32_e32 v3, v3, v5, vcc
	v_cmp_eq_u32_e32 vcc, 1, v6
	v_cndmask_b32_e32 v7, v1, v7, vcc
	v_cndmask_b32_e32 v3, v5, v3, vcc
	;; [unrolled: 1-line block ×3, first 2 shown]
.LBB1735_162:
	s_or_b64 exec, exec, s[2:3]
	v_mbcnt_lo_u32_b32 v1, -1, 0
	v_mbcnt_hi_u32_b32 v1, -1, v1
	v_and_b32_e32 v8, 63, v1
	v_cmp_ne_u32_e32 vcc, 63, v8
	v_addc_co_u32_e32 v4, vcc, 0, v1, vcc
	v_and_b32_e32 v6, 0xffff, v7
	v_lshlrev_b32_e32 v5, 2, v4
	ds_bpermute_b32 v10, v5, v6
	ds_bpermute_b32 v4, v5, v2
	;; [unrolled: 1-line block ×3, first 2 shown]
	s_min_u32 s4, s10, 0x100
	v_and_b32_e32 v9, 0xc0, v0
	v_sub_u32_e64 v9, s4, v9 clamp
	v_add_u32_e32 v11, 1, v8
	v_cmp_lt_u32_e32 vcc, v11, v9
	s_and_saveexec_b64 s[2:3], vcc
	s_cbranch_execz .LBB1735_164
; %bb.163:
	s_waitcnt lgkmcnt(2)
	v_and_b32_e32 v11, 1, v10
	s_waitcnt lgkmcnt(0)
	v_cmp_lt_i64_e32 vcc, v[4:5], v[2:3]
	v_cmp_eq_u32_e64 s[0:1], 1, v11
	v_and_b32_e32 v6, 1, v7
	s_and_b64 vcc, s[0:1], vcc
	v_cndmask_b32_e64 v7, v7, 1, s[0:1]
	v_cndmask_b32_e32 v2, v2, v4, vcc
	v_cndmask_b32_e32 v3, v3, v5, vcc
	v_cmp_eq_u32_e32 vcc, 1, v6
	v_cndmask_b32_e32 v7, v10, v7, vcc
	v_cndmask_b32_e32 v3, v5, v3, vcc
	v_cndmask_b32_e32 v2, v4, v2, vcc
	v_and_b32_e32 v6, 0xff, v7
.LBB1735_164:
	s_or_b64 exec, exec, s[2:3]
	v_cmp_gt_u32_e32 vcc, 62, v8
	s_waitcnt lgkmcnt(1)
	v_cndmask_b32_e64 v4, 0, 1, vcc
	v_lshlrev_b32_e32 v4, 1, v4
	s_waitcnt lgkmcnt(0)
	v_add_lshl_u32 v5, v4, v1, 2
	ds_bpermute_b32 v10, v5, v6
	ds_bpermute_b32 v4, v5, v2
	ds_bpermute_b32 v5, v5, v3
	v_add_u32_e32 v11, 2, v8
	v_cmp_lt_u32_e32 vcc, v11, v9
	s_and_saveexec_b64 s[2:3], vcc
	s_cbranch_execz .LBB1735_166
; %bb.165:
	s_waitcnt lgkmcnt(2)
	v_and_b32_e32 v11, 1, v10
	s_waitcnt lgkmcnt(0)
	v_cmp_lt_i64_e32 vcc, v[4:5], v[2:3]
	v_cmp_eq_u32_e64 s[0:1], 1, v11
	v_and_b32_e32 v6, 1, v7
	s_and_b64 vcc, s[0:1], vcc
	v_cndmask_b32_e64 v7, v7, 1, s[0:1]
	v_cndmask_b32_e32 v2, v2, v4, vcc
	v_cndmask_b32_e32 v3, v3, v5, vcc
	v_cmp_eq_u32_e32 vcc, 1, v6
	v_cndmask_b32_e32 v7, v10, v7, vcc
	v_cndmask_b32_e32 v3, v5, v3, vcc
	v_cndmask_b32_e32 v2, v4, v2, vcc
	v_and_b32_e32 v6, 0xff, v7
.LBB1735_166:
	s_or_b64 exec, exec, s[2:3]
	v_cmp_gt_u32_e32 vcc, 60, v8
	s_waitcnt lgkmcnt(1)
	v_cndmask_b32_e64 v4, 0, 1, vcc
	v_lshlrev_b32_e32 v4, 2, v4
	s_waitcnt lgkmcnt(0)
	v_add_lshl_u32 v5, v4, v1, 2
	ds_bpermute_b32 v10, v5, v6
	ds_bpermute_b32 v4, v5, v2
	ds_bpermute_b32 v5, v5, v3
	;; [unrolled: 31-line block ×5, first 2 shown]
	v_add_u32_e32 v8, 32, v8
	v_cmp_lt_u32_e32 vcc, v8, v9
	s_and_saveexec_b64 s[2:3], vcc
	s_cbranch_execz .LBB1735_174
; %bb.173:
	s_waitcnt lgkmcnt(2)
	v_and_b32_e32 v8, 1, v10
	s_waitcnt lgkmcnt(0)
	v_cmp_lt_i64_e32 vcc, v[4:5], v[2:3]
	v_cmp_eq_u32_e64 s[0:1], 1, v8
	v_and_b32_e32 v6, 1, v7
	s_and_b64 vcc, s[0:1], vcc
	v_cndmask_b32_e64 v7, v7, 1, s[0:1]
	v_cndmask_b32_e32 v2, v2, v4, vcc
	v_cndmask_b32_e32 v3, v3, v5, vcc
	v_cmp_eq_u32_e32 vcc, 1, v6
	v_cndmask_b32_e32 v7, v10, v7, vcc
	v_cndmask_b32_e32 v3, v5, v3, vcc
	;; [unrolled: 1-line block ×3, first 2 shown]
	v_and_b32_e32 v6, 0xff, v7
.LBB1735_174:
	s_or_b64 exec, exec, s[2:3]
	v_cmp_eq_u32_e32 vcc, 0, v1
	s_and_saveexec_b64 s[0:1], vcc
	s_cbranch_execz .LBB1735_176
; %bb.175:
	s_waitcnt lgkmcnt(1)
	v_lshrrev_b32_e32 v4, 2, v0
	v_and_b32_e32 v4, 48, v4
	ds_write_b8 v4, v7 offset:256
	ds_write_b64 v4, v[2:3] offset:264
.LBB1735_176:
	s_or_b64 exec, exec, s[0:1]
	v_cmp_gt_u32_e32 vcc, 4, v0
	s_waitcnt lgkmcnt(0)
	s_barrier
	s_and_saveexec_b64 s[2:3], vcc
	s_cbranch_execz .LBB1735_182
; %bb.177:
	v_lshlrev_b32_e32 v2, 4, v1
	ds_read_u8 v7, v2 offset:256
	ds_read_b64 v[2:3], v2 offset:264
	v_and_b32_e32 v8, 3, v1
	v_cmp_ne_u32_e32 vcc, 3, v8
	v_addc_co_u32_e32 v4, vcc, 0, v1, vcc
	s_waitcnt lgkmcnt(1)
	v_and_b32_e32 v6, 0xff, v7
	v_lshlrev_b32_e32 v5, 2, v4
	ds_bpermute_b32 v9, v5, v6
	s_waitcnt lgkmcnt(1)
	ds_bpermute_b32 v4, v5, v2
	ds_bpermute_b32 v5, v5, v3
	s_add_i32 s4, s4, 63
	s_lshr_b32 s10, s4, 6
	v_add_u32_e32 v10, 1, v8
	v_cmp_gt_u32_e32 vcc, s10, v10
	s_and_saveexec_b64 s[4:5], vcc
	s_cbranch_execz .LBB1735_179
; %bb.178:
	s_waitcnt lgkmcnt(2)
	v_and_b32_e32 v10, 1, v9
	s_waitcnt lgkmcnt(0)
	v_cmp_lt_i64_e32 vcc, v[4:5], v[2:3]
	v_cmp_eq_u32_e64 s[0:1], 1, v10
	v_and_b32_e32 v6, 1, v7
	s_and_b64 vcc, s[0:1], vcc
	v_cndmask_b32_e64 v7, v7, 1, s[0:1]
	v_cndmask_b32_e32 v2, v2, v4, vcc
	v_cndmask_b32_e32 v3, v3, v5, vcc
	v_cmp_eq_u32_e32 vcc, 1, v6
	v_cndmask_b32_e32 v7, v9, v7, vcc
	v_cndmask_b32_e32 v3, v5, v3, vcc
	;; [unrolled: 1-line block ×3, first 2 shown]
	v_and_b32_e32 v6, 0xff, v7
.LBB1735_179:
	s_or_b64 exec, exec, s[4:5]
	v_cmp_gt_u32_e32 vcc, 2, v8
	s_waitcnt lgkmcnt(1)
	v_cndmask_b32_e64 v4, 0, 1, vcc
	v_lshlrev_b32_e32 v4, 1, v4
	s_waitcnt lgkmcnt(0)
	v_add_lshl_u32 v5, v4, v1, 2
	ds_bpermute_b32 v1, v5, v6
	ds_bpermute_b32 v4, v5, v2
	;; [unrolled: 1-line block ×3, first 2 shown]
	v_add_u32_e32 v8, 2, v8
	v_cmp_gt_u32_e32 vcc, s10, v8
	s_and_saveexec_b64 s[4:5], vcc
	s_cbranch_execz .LBB1735_181
; %bb.180:
	s_waitcnt lgkmcnt(2)
	v_and_b32_e32 v8, 1, v1
	s_waitcnt lgkmcnt(0)
	v_cmp_lt_i64_e32 vcc, v[4:5], v[2:3]
	v_cmp_eq_u32_e64 s[0:1], 1, v8
	v_and_b32_e32 v6, 1, v7
	s_and_b64 vcc, s[0:1], vcc
	v_cndmask_b32_e64 v7, v7, 1, s[0:1]
	v_cndmask_b32_e32 v2, v2, v4, vcc
	v_cndmask_b32_e32 v3, v3, v5, vcc
	v_cmp_eq_u32_e32 vcc, 1, v6
	v_cndmask_b32_e32 v1, v1, v7, vcc
	v_cndmask_b32_e32 v3, v5, v3, vcc
	;; [unrolled: 1-line block ×3, first 2 shown]
	v_and_b32_e32 v6, 0xff, v1
.LBB1735_181:
	s_or_b64 exec, exec, s[4:5]
.LBB1735_182:
	s_or_b64 exec, exec, s[2:3]
.LBB1735_183:
	v_cmp_eq_u32_e32 vcc, 0, v0
                                        ; implicit-def: $vgpr4_vgpr5
                                        ; implicit-def: $vgpr1
	s_and_saveexec_b64 s[0:1], vcc
	s_xor_b64 s[4:5], exec, s[0:1]
	s_cbranch_execz .LBB1735_187
; %bb.184:
	s_cmp_eq_u64 s[20:21], 0
	s_waitcnt lgkmcnt(0)
	v_pk_mov_b32 v[4:5], s[24:25], s[24:25] op_sel:[0,1]
	v_mov_b32_e32 v1, s33
	s_cbranch_scc1 .LBB1735_186
; %bb.185:
	v_and_b32_e32 v1, 1, v6
	s_bitcmp1_b32 s33, 0
	v_mov_b32_e32 v4, s33
	v_cmp_eq_u32_e32 vcc, 1, v1
	v_cmp_gt_i64_e64 s[2:3], s[24:25], v[2:3]
	v_cndmask_b32_e64 v1, v4, 1, vcc
	s_cselect_b64 s[0:1], -1, 0
	v_mov_b32_e32 v4, s24
	s_and_b64 vcc, vcc, s[2:3]
	v_mov_b32_e32 v5, s25
	v_cndmask_b32_e32 v4, v4, v2, vcc
	v_cndmask_b32_e32 v5, v5, v3, vcc
	v_cndmask_b32_e64 v1, v6, v1, s[0:1]
	v_cndmask_b32_e64 v5, v3, v5, s[0:1]
	;; [unrolled: 1-line block ×3, first 2 shown]
.LBB1735_186:
	s_or_b64 s[8:9], s[8:9], exec
.LBB1735_187:
	s_or_b64 exec, exec, s[4:5]
	s_branch .LBB1735_208
.LBB1735_188:
	s_cmp_eq_u32 s34, 1
	s_cbranch_scc0 .LBB1735_207
; %bb.189:
	s_mov_b32 s3, 0
	s_lshl_b32 s2, s6, 8
	s_mov_b32 s7, s3
	s_lshr_b64 s[0:1], s[20:21], 8
	s_cmp_lg_u64 s[0:1], s[6:7]
	s_cbranch_scc0 .LBB1735_211
; %bb.190:
	s_lshl_b64 s[0:1], s[2:3], 3
	s_add_u32 s0, s26, s0
	s_addc_u32 s1, s27, s1
	s_waitcnt lgkmcnt(2)
	v_lshlrev_b32_e32 v1, 3, v0
	global_load_dwordx2 v[6:7], v1, s[0:1]
	s_add_u32 s0, s18, s2
	s_addc_u32 s1, s19, 0
	v_mov_b32_e32 v1, s1
	v_add_co_u32_e32 v2, vcc, s0, v0
	v_addc_co_u32_e32 v3, vcc, 0, v1, vcc
	s_waitcnt lgkmcnt(1)
	v_mov_b32_dpp v4, v2 quad_perm:[1,0,3,2] row_mask:0xf bank_mask:0xf bound_ctrl:1
	s_waitcnt lgkmcnt(0)
	v_mov_b32_dpp v5, v3 quad_perm:[1,0,3,2] row_mask:0xf bank_mask:0xf bound_ctrl:1
	s_waitcnt vmcnt(0)
	v_cmp_eq_f64_e32 vcc, s[16:17], v[6:7]
	v_cndmask_b32_e64 v1, 0, 1, vcc
	v_cndmask_b32_e64 v6, 0, 1, vcc
	s_nop 0
	v_mov_b32_dpp v1, v1 quad_perm:[1,0,3,2] row_mask:0xf bank_mask:0xf bound_ctrl:1
	v_and_b32_e32 v7, 1, v1
	v_cmp_eq_u32_e64 s[0:1], 1, v7
	s_and_saveexec_b64 s[4:5], s[0:1]
; %bb.191:
	v_cmp_lt_i64_e64 s[0:1], v[2:3], v[4:5]
	v_cndmask_b32_e64 v6, v1, 1, vcc
	s_and_b64 vcc, vcc, s[0:1]
	v_cndmask_b32_e32 v3, v5, v3, vcc
	v_cndmask_b32_e32 v2, v4, v2, vcc
; %bb.192:
	s_or_b64 exec, exec, s[4:5]
	v_and_b32_e32 v1, 0xff, v6
	v_and_b32_e32 v6, 1, v6
	v_mov_b32_dpp v4, v2 quad_perm:[2,3,0,1] row_mask:0xf bank_mask:0xf bound_ctrl:1
	v_mov_b32_dpp v7, v1 quad_perm:[2,3,0,1] row_mask:0xf bank_mask:0xf bound_ctrl:1
	v_and_b32_e32 v8, 1, v7
	v_mov_b32_dpp v5, v3 quad_perm:[2,3,0,1] row_mask:0xf bank_mask:0xf bound_ctrl:1
	v_cmp_eq_u32_e32 vcc, 1, v8
	v_cmp_eq_u32_e64 s[0:1], 1, v6
	s_and_saveexec_b64 s[4:5], vcc
; %bb.193:
	v_cmp_lt_i64_e32 vcc, v[2:3], v[4:5]
	v_cndmask_b32_e64 v6, v7, 1, s[0:1]
	s_and_b64 vcc, s[0:1], vcc
	v_cndmask_b32_e32 v2, v4, v2, vcc
	v_and_b32_e32 v4, 1, v6
	v_cndmask_b32_e32 v3, v5, v3, vcc
	v_cmp_eq_u32_e32 vcc, 1, v4
	s_andn2_b64 s[0:1], s[0:1], exec
	s_and_b64 s[10:11], vcc, exec
	v_and_b32_e32 v1, 0xff, v6
	s_or_b64 s[0:1], s[0:1], s[10:11]
; %bb.194:
	s_or_b64 exec, exec, s[4:5]
	v_mov_b32_dpp v6, v1 row_ror:4 row_mask:0xf bank_mask:0xf bound_ctrl:1
	v_and_b32_e32 v7, 1, v6
	v_mov_b32_dpp v4, v2 row_ror:4 row_mask:0xf bank_mask:0xf bound_ctrl:1
	v_mov_b32_dpp v5, v3 row_ror:4 row_mask:0xf bank_mask:0xf bound_ctrl:1
	v_cmp_eq_u32_e32 vcc, 1, v7
	s_and_saveexec_b64 s[4:5], vcc
; %bb.195:
	v_cmp_lt_i64_e32 vcc, v[2:3], v[4:5]
	v_cndmask_b32_e64 v6, v6, 1, s[0:1]
	s_and_b64 vcc, s[0:1], vcc
	v_cndmask_b32_e32 v2, v4, v2, vcc
	v_and_b32_e32 v4, 1, v6
	v_cndmask_b32_e32 v3, v5, v3, vcc
	v_cmp_eq_u32_e32 vcc, 1, v4
	s_andn2_b64 s[0:1], s[0:1], exec
	s_and_b64 s[10:11], vcc, exec
	v_and_b32_e32 v1, 0xff, v6
	s_or_b64 s[0:1], s[0:1], s[10:11]
; %bb.196:
	s_or_b64 exec, exec, s[4:5]
	v_mov_b32_dpp v6, v1 row_ror:8 row_mask:0xf bank_mask:0xf bound_ctrl:1
	v_and_b32_e32 v7, 1, v6
	v_mov_b32_dpp v4, v2 row_ror:8 row_mask:0xf bank_mask:0xf bound_ctrl:1
	v_mov_b32_dpp v5, v3 row_ror:8 row_mask:0xf bank_mask:0xf bound_ctrl:1
	v_cmp_eq_u32_e32 vcc, 1, v7
	s_and_saveexec_b64 s[4:5], vcc
; %bb.197:
	v_cmp_lt_i64_e32 vcc, v[2:3], v[4:5]
	v_cndmask_b32_e64 v6, v6, 1, s[0:1]
	s_and_b64 vcc, s[0:1], vcc
	v_cndmask_b32_e32 v2, v4, v2, vcc
	v_and_b32_e32 v4, 1, v6
	v_cndmask_b32_e32 v3, v5, v3, vcc
	v_cmp_eq_u32_e32 vcc, 1, v4
	s_andn2_b64 s[0:1], s[0:1], exec
	s_and_b64 s[10:11], vcc, exec
	v_and_b32_e32 v1, 0xff, v6
	s_or_b64 s[0:1], s[0:1], s[10:11]
; %bb.198:
	s_or_b64 exec, exec, s[4:5]
	v_mov_b32_dpp v6, v1 row_bcast:15 row_mask:0xf bank_mask:0xf bound_ctrl:1
	v_and_b32_e32 v7, 1, v6
	v_mov_b32_dpp v4, v2 row_bcast:15 row_mask:0xf bank_mask:0xf bound_ctrl:1
	v_mov_b32_dpp v5, v3 row_bcast:15 row_mask:0xf bank_mask:0xf bound_ctrl:1
	v_cmp_eq_u32_e32 vcc, 1, v7
	s_and_saveexec_b64 s[4:5], vcc
; %bb.199:
	v_cmp_lt_i64_e32 vcc, v[2:3], v[4:5]
	v_cndmask_b32_e64 v6, v6, 1, s[0:1]
	s_and_b64 vcc, s[0:1], vcc
	v_cndmask_b32_e32 v2, v4, v2, vcc
	v_and_b32_e32 v4, 1, v6
	v_cndmask_b32_e32 v3, v5, v3, vcc
	v_cmp_eq_u32_e32 vcc, 1, v4
	s_andn2_b64 s[0:1], s[0:1], exec
	s_and_b64 s[10:11], vcc, exec
	v_and_b32_e32 v1, 0xff, v6
	s_or_b64 s[0:1], s[0:1], s[10:11]
; %bb.200:
	s_or_b64 exec, exec, s[4:5]
	v_mov_b32_dpp v6, v1 row_bcast:31 row_mask:0xf bank_mask:0xf bound_ctrl:1
	v_and_b32_e32 v7, 1, v6
	v_mov_b32_dpp v4, v2 row_bcast:31 row_mask:0xf bank_mask:0xf bound_ctrl:1
	v_mov_b32_dpp v5, v3 row_bcast:31 row_mask:0xf bank_mask:0xf bound_ctrl:1
	v_cmp_eq_u32_e32 vcc, 1, v7
	s_and_saveexec_b64 s[4:5], vcc
; %bb.201:
	v_cmp_lt_i64_e32 vcc, v[2:3], v[4:5]
	v_and_b32_e32 v1, 0xff, v6
	s_and_b64 vcc, s[0:1], vcc
	v_cndmask_b32_e32 v2, v4, v2, vcc
	v_cndmask_b32_e32 v3, v5, v3, vcc
	v_cndmask_b32_e64 v1, v1, 1, s[0:1]
; %bb.202:
	s_or_b64 exec, exec, s[4:5]
	v_mbcnt_lo_u32_b32 v4, -1, 0
	v_mbcnt_hi_u32_b32 v4, -1, v4
	v_bfrev_b32_e32 v5, 0.5
	v_lshl_or_b32 v5, v4, 2, v5
	ds_bpermute_b32 v6, v5, v1
	ds_bpermute_b32 v2, v5, v2
	;; [unrolled: 1-line block ×3, first 2 shown]
	v_cmp_eq_u32_e32 vcc, 0, v4
	s_and_saveexec_b64 s[0:1], vcc
	s_cbranch_execz .LBB1735_204
; %bb.203:
	v_lshrrev_b32_e32 v1, 2, v0
	v_and_b32_e32 v1, 48, v1
	s_waitcnt lgkmcnt(2)
	ds_write_b8 v1, v6
	s_waitcnt lgkmcnt(1)
	ds_write_b64 v1, v[2:3] offset:8
.LBB1735_204:
	s_or_b64 exec, exec, s[0:1]
	v_cmp_gt_u32_e32 vcc, 64, v0
	s_waitcnt lgkmcnt(0)
	s_barrier
	s_and_saveexec_b64 s[4:5], vcc
	s_cbranch_execz .LBB1735_206
; %bb.205:
	v_and_b32_e32 v1, 3, v4
	v_lshlrev_b32_e32 v2, 4, v1
	ds_read_u8 v5, v2
	ds_read_b64 v[2:3], v2 offset:8
	v_cmp_ne_u32_e32 vcc, 3, v1
	v_addc_co_u32_e32 v6, vcc, 0, v4, vcc
	s_waitcnt lgkmcnt(1)
	v_and_b32_e32 v7, 0xff, v5
	v_lshlrev_b32_e32 v8, 2, v6
	ds_bpermute_b32 v9, v8, v7
	s_waitcnt lgkmcnt(1)
	ds_bpermute_b32 v6, v8, v2
	ds_bpermute_b32 v7, v8, v3
	v_and_b32_e32 v8, 1, v5
	s_waitcnt lgkmcnt(2)
	v_and_b32_e32 v10, 1, v9
	v_cmp_eq_u32_e64 s[0:1], 1, v10
	s_waitcnt lgkmcnt(0)
	v_cmp_lt_i64_e32 vcc, v[6:7], v[2:3]
	s_and_b64 vcc, s[0:1], vcc
	v_cndmask_b32_e64 v5, v5, 1, s[0:1]
	v_cndmask_b32_e32 v2, v2, v6, vcc
	v_cndmask_b32_e32 v3, v3, v7, vcc
	v_cmp_eq_u32_e32 vcc, 1, v8
	v_cndmask_b32_e32 v8, v9, v5, vcc
	v_cndmask_b32_e32 v3, v7, v3, vcc
	;; [unrolled: 1-line block ×3, first 2 shown]
	v_cmp_gt_u32_e32 vcc, 2, v1
	v_cndmask_b32_e64 v1, 0, 1, vcc
	v_lshlrev_b32_e32 v1, 1, v1
	v_and_b32_e32 v5, 0xff, v8
	v_add_lshl_u32 v1, v1, v4, 2
	ds_bpermute_b32 v6, v1, v5
	ds_bpermute_b32 v4, v1, v2
	;; [unrolled: 1-line block ×3, first 2 shown]
	v_and_b32_e32 v1, 1, v8
	s_waitcnt lgkmcnt(2)
	v_and_b32_e32 v7, 1, v6
	v_cmp_eq_u32_e64 s[0:1], 1, v7
	s_waitcnt lgkmcnt(0)
	v_cmp_lt_i64_e32 vcc, v[4:5], v[2:3]
	s_and_b64 vcc, s[0:1], vcc
	v_cndmask_b32_e64 v7, v8, 1, s[0:1]
	v_cndmask_b32_e32 v2, v2, v4, vcc
	v_cndmask_b32_e32 v3, v3, v5, vcc
	v_cmp_eq_u32_e32 vcc, 1, v1
	v_cndmask_b32_e32 v1, v6, v7, vcc
	v_cndmask_b32_e32 v3, v5, v3, vcc
	;; [unrolled: 1-line block ×3, first 2 shown]
	v_and_b32_e32 v6, 0xff, v1
.LBB1735_206:
	s_or_b64 exec, exec, s[4:5]
	s_branch .LBB1735_235
.LBB1735_207:
                                        ; implicit-def: $vgpr4_vgpr5
                                        ; implicit-def: $vgpr1
                                        ; implicit-def: $sgpr6_sgpr7
.LBB1735_208:
	s_and_saveexec_b64 s[0:1], s[8:9]
	s_cbranch_execz .LBB1735_210
.LBB1735_209:
	s_lshl_b64 s[0:1], s[6:7], 4
	s_add_u32 s0, s22, s0
	s_addc_u32 s1, s23, s1
	v_mov_b32_e32 v0, 0
	s_waitcnt lgkmcnt(2)
	global_store_byte v0, v1, s[0:1]
	s_waitcnt lgkmcnt(0)
	global_store_dwordx2 v0, v[4:5], s[0:1] offset:8
.LBB1735_210:
	s_endpgm
.LBB1735_211:
                                        ; implicit-def: $vgpr2_vgpr3
                                        ; implicit-def: $vgpr6
	s_cbranch_execz .LBB1735_235
; %bb.212:
	s_sub_i32 s4, s20, s2
	v_cmp_gt_u32_e32 vcc, s4, v0
	v_pk_mov_b32 v[2:3], 0, 0
	v_mov_b32_e32 v7, 0
	s_and_saveexec_b64 s[0:1], vcc
	s_cbranch_execz .LBB1735_214
; %bb.213:
	s_add_u32 s5, s18, s2
	s_addc_u32 s10, s19, 0
	s_lshl_b64 s[2:3], s[2:3], 3
	s_add_u32 s2, s26, s2
	s_addc_u32 s3, s27, s3
	s_waitcnt lgkmcnt(2)
	v_lshlrev_b32_e32 v1, 3, v0
	s_waitcnt lgkmcnt(0)
	global_load_dwordx2 v[4:5], v1, s[2:3]
	v_mov_b32_e32 v1, s10
	v_add_co_u32_e32 v2, vcc, s5, v0
	v_addc_co_u32_e32 v3, vcc, 0, v1, vcc
	s_waitcnt vmcnt(0)
	v_cmp_eq_f64_e32 vcc, s[16:17], v[4:5]
	v_cndmask_b32_e64 v7, 0, 1, vcc
.LBB1735_214:
	s_or_b64 exec, exec, s[0:1]
	s_waitcnt lgkmcnt(2)
	v_mbcnt_lo_u32_b32 v1, -1, 0
	v_mbcnt_hi_u32_b32 v1, -1, v1
	v_and_b32_e32 v8, 63, v1
	v_cmp_ne_u32_e32 vcc, 63, v8
	s_waitcnt lgkmcnt(1)
	v_addc_co_u32_e32 v4, vcc, 0, v1, vcc
	v_and_b32_e32 v6, 0xffff, v7
	s_waitcnt lgkmcnt(0)
	v_lshlrev_b32_e32 v5, 2, v4
	ds_bpermute_b32 v10, v5, v6
	ds_bpermute_b32 v4, v5, v2
	;; [unrolled: 1-line block ×3, first 2 shown]
	s_min_u32 s4, s4, 0x100
	v_and_b32_e32 v9, 0xc0, v0
	v_sub_u32_e64 v9, s4, v9 clamp
	v_add_u32_e32 v11, 1, v8
	v_cmp_lt_u32_e32 vcc, v11, v9
	s_and_saveexec_b64 s[2:3], vcc
	s_cbranch_execz .LBB1735_216
; %bb.215:
	s_waitcnt lgkmcnt(2)
	v_and_b32_e32 v11, 1, v10
	s_waitcnt lgkmcnt(0)
	v_cmp_lt_i64_e32 vcc, v[4:5], v[2:3]
	v_cmp_eq_u32_e64 s[0:1], 1, v11
	v_and_b32_e32 v6, 1, v7
	s_and_b64 vcc, s[0:1], vcc
	v_cndmask_b32_e64 v7, v7, 1, s[0:1]
	v_cndmask_b32_e32 v2, v2, v4, vcc
	v_cndmask_b32_e32 v3, v3, v5, vcc
	v_cmp_eq_u32_e32 vcc, 1, v6
	v_cndmask_b32_e32 v7, v10, v7, vcc
	v_cndmask_b32_e32 v3, v5, v3, vcc
	v_cndmask_b32_e32 v2, v4, v2, vcc
	v_and_b32_e32 v6, 0xff, v7
.LBB1735_216:
	s_or_b64 exec, exec, s[2:3]
	v_cmp_gt_u32_e32 vcc, 62, v8
	s_waitcnt lgkmcnt(1)
	v_cndmask_b32_e64 v4, 0, 1, vcc
	v_lshlrev_b32_e32 v4, 1, v4
	s_waitcnt lgkmcnt(0)
	v_add_lshl_u32 v5, v4, v1, 2
	ds_bpermute_b32 v10, v5, v6
	ds_bpermute_b32 v4, v5, v2
	ds_bpermute_b32 v5, v5, v3
	v_add_u32_e32 v11, 2, v8
	v_cmp_lt_u32_e32 vcc, v11, v9
	s_and_saveexec_b64 s[2:3], vcc
	s_cbranch_execz .LBB1735_218
; %bb.217:
	s_waitcnt lgkmcnt(2)
	v_and_b32_e32 v11, 1, v10
	s_waitcnt lgkmcnt(0)
	v_cmp_lt_i64_e32 vcc, v[4:5], v[2:3]
	v_cmp_eq_u32_e64 s[0:1], 1, v11
	v_and_b32_e32 v6, 1, v7
	s_and_b64 vcc, s[0:1], vcc
	v_cndmask_b32_e64 v7, v7, 1, s[0:1]
	v_cndmask_b32_e32 v2, v2, v4, vcc
	v_cndmask_b32_e32 v3, v3, v5, vcc
	v_cmp_eq_u32_e32 vcc, 1, v6
	v_cndmask_b32_e32 v7, v10, v7, vcc
	v_cndmask_b32_e32 v3, v5, v3, vcc
	v_cndmask_b32_e32 v2, v4, v2, vcc
	v_and_b32_e32 v6, 0xff, v7
.LBB1735_218:
	s_or_b64 exec, exec, s[2:3]
	v_cmp_gt_u32_e32 vcc, 60, v8
	s_waitcnt lgkmcnt(1)
	v_cndmask_b32_e64 v4, 0, 1, vcc
	v_lshlrev_b32_e32 v4, 2, v4
	s_waitcnt lgkmcnt(0)
	v_add_lshl_u32 v5, v4, v1, 2
	ds_bpermute_b32 v10, v5, v6
	ds_bpermute_b32 v4, v5, v2
	ds_bpermute_b32 v5, v5, v3
	;; [unrolled: 31-line block ×5, first 2 shown]
	v_add_u32_e32 v8, 32, v8
	v_cmp_lt_u32_e32 vcc, v8, v9
	s_and_saveexec_b64 s[2:3], vcc
	s_cbranch_execz .LBB1735_226
; %bb.225:
	s_waitcnt lgkmcnt(2)
	v_and_b32_e32 v8, 1, v10
	s_waitcnt lgkmcnt(0)
	v_cmp_lt_i64_e32 vcc, v[4:5], v[2:3]
	v_cmp_eq_u32_e64 s[0:1], 1, v8
	v_and_b32_e32 v6, 1, v7
	s_and_b64 vcc, s[0:1], vcc
	v_cndmask_b32_e64 v7, v7, 1, s[0:1]
	v_cndmask_b32_e32 v2, v2, v4, vcc
	v_cndmask_b32_e32 v3, v3, v5, vcc
	v_cmp_eq_u32_e32 vcc, 1, v6
	v_cndmask_b32_e32 v7, v10, v7, vcc
	v_cndmask_b32_e32 v3, v5, v3, vcc
	;; [unrolled: 1-line block ×3, first 2 shown]
	v_and_b32_e32 v6, 0xff, v7
.LBB1735_226:
	s_or_b64 exec, exec, s[2:3]
	v_cmp_eq_u32_e32 vcc, 0, v1
	s_and_saveexec_b64 s[0:1], vcc
	s_cbranch_execz .LBB1735_228
; %bb.227:
	s_waitcnt lgkmcnt(1)
	v_lshrrev_b32_e32 v4, 2, v0
	v_and_b32_e32 v4, 48, v4
	ds_write_b8 v4, v7 offset:256
	ds_write_b64 v4, v[2:3] offset:264
.LBB1735_228:
	s_or_b64 exec, exec, s[0:1]
	v_cmp_gt_u32_e32 vcc, 4, v0
	s_waitcnt lgkmcnt(0)
	s_barrier
	s_and_saveexec_b64 s[2:3], vcc
	s_cbranch_execz .LBB1735_234
; %bb.229:
	v_lshlrev_b32_e32 v2, 4, v1
	ds_read_u8 v7, v2 offset:256
	ds_read_b64 v[2:3], v2 offset:264
	v_and_b32_e32 v8, 3, v1
	v_cmp_ne_u32_e32 vcc, 3, v8
	v_addc_co_u32_e32 v4, vcc, 0, v1, vcc
	s_waitcnt lgkmcnt(1)
	v_and_b32_e32 v6, 0xff, v7
	v_lshlrev_b32_e32 v5, 2, v4
	ds_bpermute_b32 v9, v5, v6
	s_waitcnt lgkmcnt(1)
	ds_bpermute_b32 v4, v5, v2
	ds_bpermute_b32 v5, v5, v3
	s_add_i32 s4, s4, 63
	s_lshr_b32 s10, s4, 6
	v_add_u32_e32 v10, 1, v8
	v_cmp_gt_u32_e32 vcc, s10, v10
	s_and_saveexec_b64 s[4:5], vcc
	s_cbranch_execz .LBB1735_231
; %bb.230:
	s_waitcnt lgkmcnt(2)
	v_and_b32_e32 v10, 1, v9
	s_waitcnt lgkmcnt(0)
	v_cmp_lt_i64_e32 vcc, v[4:5], v[2:3]
	v_cmp_eq_u32_e64 s[0:1], 1, v10
	v_and_b32_e32 v6, 1, v7
	s_and_b64 vcc, s[0:1], vcc
	v_cndmask_b32_e64 v7, v7, 1, s[0:1]
	v_cndmask_b32_e32 v2, v2, v4, vcc
	v_cndmask_b32_e32 v3, v3, v5, vcc
	v_cmp_eq_u32_e32 vcc, 1, v6
	v_cndmask_b32_e32 v7, v9, v7, vcc
	v_cndmask_b32_e32 v3, v5, v3, vcc
	;; [unrolled: 1-line block ×3, first 2 shown]
	v_and_b32_e32 v6, 0xff, v7
.LBB1735_231:
	s_or_b64 exec, exec, s[4:5]
	v_cmp_gt_u32_e32 vcc, 2, v8
	s_waitcnt lgkmcnt(1)
	v_cndmask_b32_e64 v4, 0, 1, vcc
	v_lshlrev_b32_e32 v4, 1, v4
	s_waitcnt lgkmcnt(0)
	v_add_lshl_u32 v5, v4, v1, 2
	ds_bpermute_b32 v1, v5, v6
	ds_bpermute_b32 v4, v5, v2
	;; [unrolled: 1-line block ×3, first 2 shown]
	v_add_u32_e32 v8, 2, v8
	v_cmp_gt_u32_e32 vcc, s10, v8
	s_and_saveexec_b64 s[4:5], vcc
	s_cbranch_execz .LBB1735_233
; %bb.232:
	s_waitcnt lgkmcnt(2)
	v_and_b32_e32 v8, 1, v1
	s_waitcnt lgkmcnt(0)
	v_cmp_lt_i64_e32 vcc, v[4:5], v[2:3]
	v_cmp_eq_u32_e64 s[0:1], 1, v8
	v_and_b32_e32 v6, 1, v7
	s_and_b64 vcc, s[0:1], vcc
	v_cndmask_b32_e64 v7, v7, 1, s[0:1]
	v_cndmask_b32_e32 v2, v2, v4, vcc
	v_cndmask_b32_e32 v3, v3, v5, vcc
	v_cmp_eq_u32_e32 vcc, 1, v6
	v_cndmask_b32_e32 v1, v1, v7, vcc
	v_cndmask_b32_e32 v3, v5, v3, vcc
	;; [unrolled: 1-line block ×3, first 2 shown]
	v_and_b32_e32 v6, 0xff, v1
.LBB1735_233:
	s_or_b64 exec, exec, s[4:5]
.LBB1735_234:
	s_or_b64 exec, exec, s[2:3]
.LBB1735_235:
	v_cmp_eq_u32_e32 vcc, 0, v0
                                        ; implicit-def: $vgpr4_vgpr5
                                        ; implicit-def: $vgpr1
	s_and_saveexec_b64 s[4:5], vcc
	s_cbranch_execz .LBB1735_239
; %bb.236:
	s_cmp_eq_u64 s[20:21], 0
	s_waitcnt lgkmcnt(0)
	v_pk_mov_b32 v[4:5], s[24:25], s[24:25] op_sel:[0,1]
	v_mov_b32_e32 v1, s33
	s_cbranch_scc1 .LBB1735_238
; %bb.237:
	v_and_b32_e32 v0, 1, v6
	s_bitcmp1_b32 s33, 0
	v_mov_b32_e32 v1, s33
	v_cmp_eq_u32_e32 vcc, 1, v0
	v_cmp_gt_i64_e64 s[2:3], s[24:25], v[2:3]
	v_cndmask_b32_e64 v0, v1, 1, vcc
	s_cselect_b64 s[0:1], -1, 0
	v_mov_b32_e32 v1, s24
	s_and_b64 vcc, vcc, s[2:3]
	v_cndmask_b32_e32 v4, v1, v2, vcc
	v_mov_b32_e32 v1, s25
	v_cndmask_b32_e32 v5, v1, v3, vcc
	v_cndmask_b32_e64 v1, v6, v0, s[0:1]
	v_cndmask_b32_e64 v5, v3, v5, s[0:1]
	;; [unrolled: 1-line block ×3, first 2 shown]
.LBB1735_238:
	s_or_b64 s[8:9], s[8:9], exec
.LBB1735_239:
	s_or_b64 exec, exec, s[4:5]
	s_and_saveexec_b64 s[0:1], s[8:9]
	s_cbranch_execnz .LBB1735_209
	s_branch .LBB1735_210
.LBB1735_240:
	v_lshlrev_b32_e32 v4, 3, v25
	global_load_dwordx2 v[26:27], v4, s[14:15]
	v_mov_b32_e32 v5, s36
	v_add_co_u32_e64 v4, s[14:15], s35, v25
	v_addc_co_u32_e64 v5, s[14:15], 0, v5, s[14:15]
	s_waitcnt vmcnt(0)
	v_cmp_eq_f64_e64 s[14:15], s[16:17], v[26:27]
	v_cndmask_b32_e64 v18, 0, 1, s[14:15]
	s_or_b64 exec, exec, s[30:31]
	s_and_saveexec_b64 s[30:31], s[12:13]
	s_cbranch_execz .LBB1735_61
.LBB1735_241:
	v_and_b32_e32 v26, 1, v21
	v_cmp_lt_i64_e64 s[12:13], v[10:11], v[2:3]
	v_cmp_eq_u32_e64 s[14:15], 1, v26
	v_and_b32_e32 v25, 1, v1
	s_and_b64 s[12:13], s[14:15], s[12:13]
	v_cndmask_b32_e64 v1, v1, 1, s[14:15]
	v_cndmask_b32_e64 v2, v2, v10, s[12:13]
	;; [unrolled: 1-line block ×3, first 2 shown]
	v_cmp_eq_u32_e64 s[12:13], 1, v25
	v_cndmask_b32_e64 v1, v21, v1, s[12:13]
	v_cndmask_b32_e64 v3, v11, v3, s[12:13]
	;; [unrolled: 1-line block ×3, first 2 shown]
	s_or_b64 exec, exec, s[30:31]
	s_and_saveexec_b64 s[14:15], s[10:11]
	s_cbranch_execz .LBB1735_62
.LBB1735_242:
	v_and_b32_e32 v11, 1, v24
	v_cmp_lt_i64_e64 s[10:11], v[16:17], v[2:3]
	v_cmp_eq_u32_e64 s[12:13], 1, v11
	v_and_b32_e32 v10, 1, v1
	s_and_b64 s[10:11], s[12:13], s[10:11]
	v_cndmask_b32_e64 v1, v1, 1, s[12:13]
	v_cndmask_b32_e64 v2, v2, v16, s[10:11]
	;; [unrolled: 1-line block ×3, first 2 shown]
	v_cmp_eq_u32_e64 s[10:11], 1, v10
	v_cndmask_b32_e64 v1, v24, v1, s[10:11]
	v_cndmask_b32_e64 v3, v17, v3, s[10:11]
	;; [unrolled: 1-line block ×3, first 2 shown]
	s_or_b64 exec, exec, s[14:15]
	s_and_saveexec_b64 s[12:13], s[8:9]
	s_cbranch_execz .LBB1735_63
.LBB1735_243:
	v_and_b32_e32 v11, 1, v20
	v_cmp_lt_i64_e64 s[8:9], v[8:9], v[2:3]
	v_cmp_eq_u32_e64 s[10:11], 1, v11
	v_and_b32_e32 v10, 1, v1
	s_and_b64 s[8:9], s[10:11], s[8:9]
	v_cndmask_b32_e64 v1, v1, 1, s[10:11]
	v_cndmask_b32_e64 v2, v2, v8, s[8:9]
	;; [unrolled: 1-line block ×3, first 2 shown]
	v_cmp_eq_u32_e64 s[8:9], 1, v10
	v_cndmask_b32_e64 v1, v20, v1, s[8:9]
	v_cndmask_b32_e64 v3, v9, v3, s[8:9]
	;; [unrolled: 1-line block ×3, first 2 shown]
	s_or_b64 exec, exec, s[12:13]
	s_and_saveexec_b64 s[10:11], s[4:5]
	s_cbranch_execz .LBB1735_64
.LBB1735_244:
	v_and_b32_e32 v9, 1, v23
	v_cmp_lt_i64_e64 s[4:5], v[14:15], v[2:3]
	v_cmp_eq_u32_e64 s[8:9], 1, v9
	v_and_b32_e32 v8, 1, v1
	s_and_b64 s[4:5], s[8:9], s[4:5]
	v_cndmask_b32_e64 v1, v1, 1, s[8:9]
	v_cndmask_b32_e64 v2, v2, v14, s[4:5]
	;; [unrolled: 1-line block ×3, first 2 shown]
	v_cmp_eq_u32_e64 s[4:5], 1, v8
	v_cndmask_b32_e64 v1, v23, v1, s[4:5]
	v_cndmask_b32_e64 v3, v15, v3, s[4:5]
	;; [unrolled: 1-line block ×3, first 2 shown]
	s_or_b64 exec, exec, s[10:11]
	s_and_saveexec_b64 s[8:9], s[2:3]
	s_cbranch_execz .LBB1735_65
.LBB1735_245:
	v_and_b32_e32 v9, 1, v19
	v_cmp_lt_i64_e64 s[2:3], v[6:7], v[2:3]
	v_cmp_eq_u32_e64 s[4:5], 1, v9
	v_and_b32_e32 v8, 1, v1
	s_and_b64 s[2:3], s[4:5], s[2:3]
	v_cndmask_b32_e64 v1, v1, 1, s[4:5]
	v_cndmask_b32_e64 v2, v2, v6, s[2:3]
	;; [unrolled: 1-line block ×3, first 2 shown]
	v_cmp_eq_u32_e64 s[2:3], 1, v8
	v_cndmask_b32_e64 v1, v19, v1, s[2:3]
	v_cndmask_b32_e64 v3, v7, v3, s[2:3]
	v_cndmask_b32_e64 v2, v6, v2, s[2:3]
	s_or_b64 exec, exec, s[8:9]
	s_and_saveexec_b64 s[4:5], s[0:1]
	s_cbranch_execz .LBB1735_66
.LBB1735_246:
	v_and_b32_e32 v7, 1, v22
	v_cmp_lt_i64_e64 s[0:1], v[12:13], v[2:3]
	v_cmp_eq_u32_e64 s[2:3], 1, v7
	v_and_b32_e32 v6, 1, v1
	s_and_b64 s[0:1], s[2:3], s[0:1]
	v_cndmask_b32_e64 v1, v1, 1, s[2:3]
	v_cndmask_b32_e64 v2, v2, v12, s[0:1]
	;; [unrolled: 1-line block ×3, first 2 shown]
	v_cmp_eq_u32_e64 s[0:1], 1, v6
	v_cndmask_b32_e64 v1, v22, v1, s[0:1]
	v_cndmask_b32_e64 v3, v13, v3, s[0:1]
	;; [unrolled: 1-line block ×3, first 2 shown]
	s_or_b64 exec, exec, s[4:5]
	s_and_saveexec_b64 s[2:3], vcc
	s_cbranch_execnz .LBB1735_67
	s_branch .LBB1735_68
.LBB1735_247:
	v_lshlrev_b32_e32 v1, 3, v13
	global_load_dwordx2 v[14:15], v1, s[4:5]
	v_mov_b32_e32 v1, s13
	v_add_co_u32_e64 v4, s[4:5], s12, v13
	v_addc_co_u32_e64 v5, s[4:5], 0, v1, s[4:5]
	s_waitcnt vmcnt(0)
	v_cmp_eq_f64_e64 s[4:5], s[16:17], v[14:15]
	v_cndmask_b32_e64 v1, 0, 1, s[4:5]
	s_or_b64 exec, exec, s[10:11]
	s_and_saveexec_b64 s[10:11], s[2:3]
	s_cbranch_execz .LBB1735_104
.LBB1735_248:
	v_and_b32_e32 v14, 1, v11
	v_cmp_lt_i64_e64 s[2:3], v[6:7], v[2:3]
	v_cmp_eq_u32_e64 s[4:5], 1, v14
	v_and_b32_e32 v13, 1, v10
	s_and_b64 s[2:3], s[4:5], s[2:3]
	v_cndmask_b32_e64 v10, v10, 1, s[4:5]
	v_cndmask_b32_e64 v2, v2, v6, s[2:3]
	;; [unrolled: 1-line block ×3, first 2 shown]
	v_cmp_eq_u32_e64 s[2:3], 1, v13
	v_cndmask_b32_e64 v10, v11, v10, s[2:3]
	v_cndmask_b32_e64 v3, v7, v3, s[2:3]
	;; [unrolled: 1-line block ×3, first 2 shown]
	s_or_b64 exec, exec, s[10:11]
	s_and_saveexec_b64 s[4:5], s[0:1]
	s_cbranch_execz .LBB1735_105
.LBB1735_249:
	v_and_b32_e32 v7, 1, v12
	v_cmp_lt_i64_e64 s[0:1], v[8:9], v[2:3]
	v_cmp_eq_u32_e64 s[2:3], 1, v7
	v_and_b32_e32 v6, 1, v10
	s_and_b64 s[0:1], s[2:3], s[0:1]
	v_cndmask_b32_e64 v7, v10, 1, s[2:3]
	v_cndmask_b32_e64 v2, v2, v8, s[0:1]
	;; [unrolled: 1-line block ×3, first 2 shown]
	v_cmp_eq_u32_e64 s[0:1], 1, v6
	v_cndmask_b32_e64 v10, v12, v7, s[0:1]
	v_cndmask_b32_e64 v3, v9, v3, s[0:1]
	v_cndmask_b32_e64 v2, v8, v2, s[0:1]
	s_or_b64 exec, exec, s[4:5]
	s_and_saveexec_b64 s[2:3], vcc
	s_cbranch_execnz .LBB1735_106
	s_branch .LBB1735_107
	.section	.rodata,"a",@progbits
	.p2align	6, 0x0
	.amdhsa_kernel _ZN7rocprim17ROCPRIM_400000_NS6detail17trampoline_kernelINS0_14default_configENS1_22reduce_config_selectorIN6thrust23THRUST_200600_302600_NS5tupleIblNS6_9null_typeES8_S8_S8_S8_S8_S8_S8_EEEEZNS1_11reduce_implILb1ES3_NS6_12zip_iteratorINS7_INS6_11hip_rocprim26transform_input_iterator_tIbPdNS6_6detail10functional5actorINSH_9compositeIJNSH_27transparent_binary_operatorINS6_8equal_toIvEEEENSI_INSH_8argumentILj0EEEEENSH_5valueIdEEEEEEEEENSD_19counting_iterator_tIlEES8_S8_S8_S8_S8_S8_S8_S8_EEEEPS9_S9_NSD_9__find_if7functorIS9_EEEE10hipError_tPvRmT1_T2_T3_mT4_P12ihipStream_tbEUlT_E1_NS1_11comp_targetILNS1_3genE4ELNS1_11target_archE910ELNS1_3gpuE8ELNS1_3repE0EEENS1_30default_config_static_selectorELNS0_4arch9wavefront6targetE1EEEvS17_
		.amdhsa_group_segment_fixed_size 320
		.amdhsa_private_segment_fixed_size 0
		.amdhsa_kernarg_size 80
		.amdhsa_user_sgpr_count 6
		.amdhsa_user_sgpr_private_segment_buffer 1
		.amdhsa_user_sgpr_dispatch_ptr 0
		.amdhsa_user_sgpr_queue_ptr 0
		.amdhsa_user_sgpr_kernarg_segment_ptr 1
		.amdhsa_user_sgpr_dispatch_id 0
		.amdhsa_user_sgpr_flat_scratch_init 0
		.amdhsa_user_sgpr_kernarg_preload_length 0
		.amdhsa_user_sgpr_kernarg_preload_offset 0
		.amdhsa_user_sgpr_private_segment_size 0
		.amdhsa_uses_dynamic_stack 0
		.amdhsa_system_sgpr_private_segment_wavefront_offset 0
		.amdhsa_system_sgpr_workgroup_id_x 1
		.amdhsa_system_sgpr_workgroup_id_y 0
		.amdhsa_system_sgpr_workgroup_id_z 0
		.amdhsa_system_sgpr_workgroup_info 0
		.amdhsa_system_vgpr_workitem_id 0
		.amdhsa_next_free_vgpr 28
		.amdhsa_next_free_sgpr 38
		.amdhsa_accum_offset 28
		.amdhsa_reserve_vcc 1
		.amdhsa_reserve_flat_scratch 0
		.amdhsa_float_round_mode_32 0
		.amdhsa_float_round_mode_16_64 0
		.amdhsa_float_denorm_mode_32 3
		.amdhsa_float_denorm_mode_16_64 3
		.amdhsa_dx10_clamp 1
		.amdhsa_ieee_mode 1
		.amdhsa_fp16_overflow 0
		.amdhsa_tg_split 0
		.amdhsa_exception_fp_ieee_invalid_op 0
		.amdhsa_exception_fp_denorm_src 0
		.amdhsa_exception_fp_ieee_div_zero 0
		.amdhsa_exception_fp_ieee_overflow 0
		.amdhsa_exception_fp_ieee_underflow 0
		.amdhsa_exception_fp_ieee_inexact 0
		.amdhsa_exception_int_div_zero 0
	.end_amdhsa_kernel
	.section	.text._ZN7rocprim17ROCPRIM_400000_NS6detail17trampoline_kernelINS0_14default_configENS1_22reduce_config_selectorIN6thrust23THRUST_200600_302600_NS5tupleIblNS6_9null_typeES8_S8_S8_S8_S8_S8_S8_EEEEZNS1_11reduce_implILb1ES3_NS6_12zip_iteratorINS7_INS6_11hip_rocprim26transform_input_iterator_tIbPdNS6_6detail10functional5actorINSH_9compositeIJNSH_27transparent_binary_operatorINS6_8equal_toIvEEEENSI_INSH_8argumentILj0EEEEENSH_5valueIdEEEEEEEEENSD_19counting_iterator_tIlEES8_S8_S8_S8_S8_S8_S8_S8_EEEEPS9_S9_NSD_9__find_if7functorIS9_EEEE10hipError_tPvRmT1_T2_T3_mT4_P12ihipStream_tbEUlT_E1_NS1_11comp_targetILNS1_3genE4ELNS1_11target_archE910ELNS1_3gpuE8ELNS1_3repE0EEENS1_30default_config_static_selectorELNS0_4arch9wavefront6targetE1EEEvS17_,"axG",@progbits,_ZN7rocprim17ROCPRIM_400000_NS6detail17trampoline_kernelINS0_14default_configENS1_22reduce_config_selectorIN6thrust23THRUST_200600_302600_NS5tupleIblNS6_9null_typeES8_S8_S8_S8_S8_S8_S8_EEEEZNS1_11reduce_implILb1ES3_NS6_12zip_iteratorINS7_INS6_11hip_rocprim26transform_input_iterator_tIbPdNS6_6detail10functional5actorINSH_9compositeIJNSH_27transparent_binary_operatorINS6_8equal_toIvEEEENSI_INSH_8argumentILj0EEEEENSH_5valueIdEEEEEEEEENSD_19counting_iterator_tIlEES8_S8_S8_S8_S8_S8_S8_S8_EEEEPS9_S9_NSD_9__find_if7functorIS9_EEEE10hipError_tPvRmT1_T2_T3_mT4_P12ihipStream_tbEUlT_E1_NS1_11comp_targetILNS1_3genE4ELNS1_11target_archE910ELNS1_3gpuE8ELNS1_3repE0EEENS1_30default_config_static_selectorELNS0_4arch9wavefront6targetE1EEEvS17_,comdat
.Lfunc_end1735:
	.size	_ZN7rocprim17ROCPRIM_400000_NS6detail17trampoline_kernelINS0_14default_configENS1_22reduce_config_selectorIN6thrust23THRUST_200600_302600_NS5tupleIblNS6_9null_typeES8_S8_S8_S8_S8_S8_S8_EEEEZNS1_11reduce_implILb1ES3_NS6_12zip_iteratorINS7_INS6_11hip_rocprim26transform_input_iterator_tIbPdNS6_6detail10functional5actorINSH_9compositeIJNSH_27transparent_binary_operatorINS6_8equal_toIvEEEENSI_INSH_8argumentILj0EEEEENSH_5valueIdEEEEEEEEENSD_19counting_iterator_tIlEES8_S8_S8_S8_S8_S8_S8_S8_EEEEPS9_S9_NSD_9__find_if7functorIS9_EEEE10hipError_tPvRmT1_T2_T3_mT4_P12ihipStream_tbEUlT_E1_NS1_11comp_targetILNS1_3genE4ELNS1_11target_archE910ELNS1_3gpuE8ELNS1_3repE0EEENS1_30default_config_static_selectorELNS0_4arch9wavefront6targetE1EEEvS17_, .Lfunc_end1735-_ZN7rocprim17ROCPRIM_400000_NS6detail17trampoline_kernelINS0_14default_configENS1_22reduce_config_selectorIN6thrust23THRUST_200600_302600_NS5tupleIblNS6_9null_typeES8_S8_S8_S8_S8_S8_S8_EEEEZNS1_11reduce_implILb1ES3_NS6_12zip_iteratorINS7_INS6_11hip_rocprim26transform_input_iterator_tIbPdNS6_6detail10functional5actorINSH_9compositeIJNSH_27transparent_binary_operatorINS6_8equal_toIvEEEENSI_INSH_8argumentILj0EEEEENSH_5valueIdEEEEEEEEENSD_19counting_iterator_tIlEES8_S8_S8_S8_S8_S8_S8_S8_EEEEPS9_S9_NSD_9__find_if7functorIS9_EEEE10hipError_tPvRmT1_T2_T3_mT4_P12ihipStream_tbEUlT_E1_NS1_11comp_targetILNS1_3genE4ELNS1_11target_archE910ELNS1_3gpuE8ELNS1_3repE0EEENS1_30default_config_static_selectorELNS0_4arch9wavefront6targetE1EEEvS17_
                                        ; -- End function
	.section	.AMDGPU.csdata,"",@progbits
; Kernel info:
; codeLenInByte = 12988
; NumSgprs: 42
; NumVgprs: 28
; NumAgprs: 0
; TotalNumVgprs: 28
; ScratchSize: 0
; MemoryBound: 0
; FloatMode: 240
; IeeeMode: 1
; LDSByteSize: 320 bytes/workgroup (compile time only)
; SGPRBlocks: 5
; VGPRBlocks: 3
; NumSGPRsForWavesPerEU: 42
; NumVGPRsForWavesPerEU: 28
; AccumOffset: 28
; Occupancy: 8
; WaveLimiterHint : 1
; COMPUTE_PGM_RSRC2:SCRATCH_EN: 0
; COMPUTE_PGM_RSRC2:USER_SGPR: 6
; COMPUTE_PGM_RSRC2:TRAP_HANDLER: 0
; COMPUTE_PGM_RSRC2:TGID_X_EN: 1
; COMPUTE_PGM_RSRC2:TGID_Y_EN: 0
; COMPUTE_PGM_RSRC2:TGID_Z_EN: 0
; COMPUTE_PGM_RSRC2:TIDIG_COMP_CNT: 0
; COMPUTE_PGM_RSRC3_GFX90A:ACCUM_OFFSET: 6
; COMPUTE_PGM_RSRC3_GFX90A:TG_SPLIT: 0
	.section	.text._ZN7rocprim17ROCPRIM_400000_NS6detail17trampoline_kernelINS0_14default_configENS1_22reduce_config_selectorIN6thrust23THRUST_200600_302600_NS5tupleIblNS6_9null_typeES8_S8_S8_S8_S8_S8_S8_EEEEZNS1_11reduce_implILb1ES3_NS6_12zip_iteratorINS7_INS6_11hip_rocprim26transform_input_iterator_tIbPdNS6_6detail10functional5actorINSH_9compositeIJNSH_27transparent_binary_operatorINS6_8equal_toIvEEEENSI_INSH_8argumentILj0EEEEENSH_5valueIdEEEEEEEEENSD_19counting_iterator_tIlEES8_S8_S8_S8_S8_S8_S8_S8_EEEEPS9_S9_NSD_9__find_if7functorIS9_EEEE10hipError_tPvRmT1_T2_T3_mT4_P12ihipStream_tbEUlT_E1_NS1_11comp_targetILNS1_3genE3ELNS1_11target_archE908ELNS1_3gpuE7ELNS1_3repE0EEENS1_30default_config_static_selectorELNS0_4arch9wavefront6targetE1EEEvS17_,"axG",@progbits,_ZN7rocprim17ROCPRIM_400000_NS6detail17trampoline_kernelINS0_14default_configENS1_22reduce_config_selectorIN6thrust23THRUST_200600_302600_NS5tupleIblNS6_9null_typeES8_S8_S8_S8_S8_S8_S8_EEEEZNS1_11reduce_implILb1ES3_NS6_12zip_iteratorINS7_INS6_11hip_rocprim26transform_input_iterator_tIbPdNS6_6detail10functional5actorINSH_9compositeIJNSH_27transparent_binary_operatorINS6_8equal_toIvEEEENSI_INSH_8argumentILj0EEEEENSH_5valueIdEEEEEEEEENSD_19counting_iterator_tIlEES8_S8_S8_S8_S8_S8_S8_S8_EEEEPS9_S9_NSD_9__find_if7functorIS9_EEEE10hipError_tPvRmT1_T2_T3_mT4_P12ihipStream_tbEUlT_E1_NS1_11comp_targetILNS1_3genE3ELNS1_11target_archE908ELNS1_3gpuE7ELNS1_3repE0EEENS1_30default_config_static_selectorELNS0_4arch9wavefront6targetE1EEEvS17_,comdat
	.protected	_ZN7rocprim17ROCPRIM_400000_NS6detail17trampoline_kernelINS0_14default_configENS1_22reduce_config_selectorIN6thrust23THRUST_200600_302600_NS5tupleIblNS6_9null_typeES8_S8_S8_S8_S8_S8_S8_EEEEZNS1_11reduce_implILb1ES3_NS6_12zip_iteratorINS7_INS6_11hip_rocprim26transform_input_iterator_tIbPdNS6_6detail10functional5actorINSH_9compositeIJNSH_27transparent_binary_operatorINS6_8equal_toIvEEEENSI_INSH_8argumentILj0EEEEENSH_5valueIdEEEEEEEEENSD_19counting_iterator_tIlEES8_S8_S8_S8_S8_S8_S8_S8_EEEEPS9_S9_NSD_9__find_if7functorIS9_EEEE10hipError_tPvRmT1_T2_T3_mT4_P12ihipStream_tbEUlT_E1_NS1_11comp_targetILNS1_3genE3ELNS1_11target_archE908ELNS1_3gpuE7ELNS1_3repE0EEENS1_30default_config_static_selectorELNS0_4arch9wavefront6targetE1EEEvS17_ ; -- Begin function _ZN7rocprim17ROCPRIM_400000_NS6detail17trampoline_kernelINS0_14default_configENS1_22reduce_config_selectorIN6thrust23THRUST_200600_302600_NS5tupleIblNS6_9null_typeES8_S8_S8_S8_S8_S8_S8_EEEEZNS1_11reduce_implILb1ES3_NS6_12zip_iteratorINS7_INS6_11hip_rocprim26transform_input_iterator_tIbPdNS6_6detail10functional5actorINSH_9compositeIJNSH_27transparent_binary_operatorINS6_8equal_toIvEEEENSI_INSH_8argumentILj0EEEEENSH_5valueIdEEEEEEEEENSD_19counting_iterator_tIlEES8_S8_S8_S8_S8_S8_S8_S8_EEEEPS9_S9_NSD_9__find_if7functorIS9_EEEE10hipError_tPvRmT1_T2_T3_mT4_P12ihipStream_tbEUlT_E1_NS1_11comp_targetILNS1_3genE3ELNS1_11target_archE908ELNS1_3gpuE7ELNS1_3repE0EEENS1_30default_config_static_selectorELNS0_4arch9wavefront6targetE1EEEvS17_
	.globl	_ZN7rocprim17ROCPRIM_400000_NS6detail17trampoline_kernelINS0_14default_configENS1_22reduce_config_selectorIN6thrust23THRUST_200600_302600_NS5tupleIblNS6_9null_typeES8_S8_S8_S8_S8_S8_S8_EEEEZNS1_11reduce_implILb1ES3_NS6_12zip_iteratorINS7_INS6_11hip_rocprim26transform_input_iterator_tIbPdNS6_6detail10functional5actorINSH_9compositeIJNSH_27transparent_binary_operatorINS6_8equal_toIvEEEENSI_INSH_8argumentILj0EEEEENSH_5valueIdEEEEEEEEENSD_19counting_iterator_tIlEES8_S8_S8_S8_S8_S8_S8_S8_EEEEPS9_S9_NSD_9__find_if7functorIS9_EEEE10hipError_tPvRmT1_T2_T3_mT4_P12ihipStream_tbEUlT_E1_NS1_11comp_targetILNS1_3genE3ELNS1_11target_archE908ELNS1_3gpuE7ELNS1_3repE0EEENS1_30default_config_static_selectorELNS0_4arch9wavefront6targetE1EEEvS17_
	.p2align	8
	.type	_ZN7rocprim17ROCPRIM_400000_NS6detail17trampoline_kernelINS0_14default_configENS1_22reduce_config_selectorIN6thrust23THRUST_200600_302600_NS5tupleIblNS6_9null_typeES8_S8_S8_S8_S8_S8_S8_EEEEZNS1_11reduce_implILb1ES3_NS6_12zip_iteratorINS7_INS6_11hip_rocprim26transform_input_iterator_tIbPdNS6_6detail10functional5actorINSH_9compositeIJNSH_27transparent_binary_operatorINS6_8equal_toIvEEEENSI_INSH_8argumentILj0EEEEENSH_5valueIdEEEEEEEEENSD_19counting_iterator_tIlEES8_S8_S8_S8_S8_S8_S8_S8_EEEEPS9_S9_NSD_9__find_if7functorIS9_EEEE10hipError_tPvRmT1_T2_T3_mT4_P12ihipStream_tbEUlT_E1_NS1_11comp_targetILNS1_3genE3ELNS1_11target_archE908ELNS1_3gpuE7ELNS1_3repE0EEENS1_30default_config_static_selectorELNS0_4arch9wavefront6targetE1EEEvS17_,@function
_ZN7rocprim17ROCPRIM_400000_NS6detail17trampoline_kernelINS0_14default_configENS1_22reduce_config_selectorIN6thrust23THRUST_200600_302600_NS5tupleIblNS6_9null_typeES8_S8_S8_S8_S8_S8_S8_EEEEZNS1_11reduce_implILb1ES3_NS6_12zip_iteratorINS7_INS6_11hip_rocprim26transform_input_iterator_tIbPdNS6_6detail10functional5actorINSH_9compositeIJNSH_27transparent_binary_operatorINS6_8equal_toIvEEEENSI_INSH_8argumentILj0EEEEENSH_5valueIdEEEEEEEEENSD_19counting_iterator_tIlEES8_S8_S8_S8_S8_S8_S8_S8_EEEEPS9_S9_NSD_9__find_if7functorIS9_EEEE10hipError_tPvRmT1_T2_T3_mT4_P12ihipStream_tbEUlT_E1_NS1_11comp_targetILNS1_3genE3ELNS1_11target_archE908ELNS1_3gpuE7ELNS1_3repE0EEENS1_30default_config_static_selectorELNS0_4arch9wavefront6targetE1EEEvS17_: ; @_ZN7rocprim17ROCPRIM_400000_NS6detail17trampoline_kernelINS0_14default_configENS1_22reduce_config_selectorIN6thrust23THRUST_200600_302600_NS5tupleIblNS6_9null_typeES8_S8_S8_S8_S8_S8_S8_EEEEZNS1_11reduce_implILb1ES3_NS6_12zip_iteratorINS7_INS6_11hip_rocprim26transform_input_iterator_tIbPdNS6_6detail10functional5actorINSH_9compositeIJNSH_27transparent_binary_operatorINS6_8equal_toIvEEEENSI_INSH_8argumentILj0EEEEENSH_5valueIdEEEEEEEEENSD_19counting_iterator_tIlEES8_S8_S8_S8_S8_S8_S8_S8_EEEEPS9_S9_NSD_9__find_if7functorIS9_EEEE10hipError_tPvRmT1_T2_T3_mT4_P12ihipStream_tbEUlT_E1_NS1_11comp_targetILNS1_3genE3ELNS1_11target_archE908ELNS1_3gpuE7ELNS1_3repE0EEENS1_30default_config_static_selectorELNS0_4arch9wavefront6targetE1EEEvS17_
; %bb.0:
	.section	.rodata,"a",@progbits
	.p2align	6, 0x0
	.amdhsa_kernel _ZN7rocprim17ROCPRIM_400000_NS6detail17trampoline_kernelINS0_14default_configENS1_22reduce_config_selectorIN6thrust23THRUST_200600_302600_NS5tupleIblNS6_9null_typeES8_S8_S8_S8_S8_S8_S8_EEEEZNS1_11reduce_implILb1ES3_NS6_12zip_iteratorINS7_INS6_11hip_rocprim26transform_input_iterator_tIbPdNS6_6detail10functional5actorINSH_9compositeIJNSH_27transparent_binary_operatorINS6_8equal_toIvEEEENSI_INSH_8argumentILj0EEEEENSH_5valueIdEEEEEEEEENSD_19counting_iterator_tIlEES8_S8_S8_S8_S8_S8_S8_S8_EEEEPS9_S9_NSD_9__find_if7functorIS9_EEEE10hipError_tPvRmT1_T2_T3_mT4_P12ihipStream_tbEUlT_E1_NS1_11comp_targetILNS1_3genE3ELNS1_11target_archE908ELNS1_3gpuE7ELNS1_3repE0EEENS1_30default_config_static_selectorELNS0_4arch9wavefront6targetE1EEEvS17_
		.amdhsa_group_segment_fixed_size 0
		.amdhsa_private_segment_fixed_size 0
		.amdhsa_kernarg_size 80
		.amdhsa_user_sgpr_count 6
		.amdhsa_user_sgpr_private_segment_buffer 1
		.amdhsa_user_sgpr_dispatch_ptr 0
		.amdhsa_user_sgpr_queue_ptr 0
		.amdhsa_user_sgpr_kernarg_segment_ptr 1
		.amdhsa_user_sgpr_dispatch_id 0
		.amdhsa_user_sgpr_flat_scratch_init 0
		.amdhsa_user_sgpr_kernarg_preload_length 0
		.amdhsa_user_sgpr_kernarg_preload_offset 0
		.amdhsa_user_sgpr_private_segment_size 0
		.amdhsa_uses_dynamic_stack 0
		.amdhsa_system_sgpr_private_segment_wavefront_offset 0
		.amdhsa_system_sgpr_workgroup_id_x 1
		.amdhsa_system_sgpr_workgroup_id_y 0
		.amdhsa_system_sgpr_workgroup_id_z 0
		.amdhsa_system_sgpr_workgroup_info 0
		.amdhsa_system_vgpr_workitem_id 0
		.amdhsa_next_free_vgpr 1
		.amdhsa_next_free_sgpr 0
		.amdhsa_accum_offset 4
		.amdhsa_reserve_vcc 0
		.amdhsa_reserve_flat_scratch 0
		.amdhsa_float_round_mode_32 0
		.amdhsa_float_round_mode_16_64 0
		.amdhsa_float_denorm_mode_32 3
		.amdhsa_float_denorm_mode_16_64 3
		.amdhsa_dx10_clamp 1
		.amdhsa_ieee_mode 1
		.amdhsa_fp16_overflow 0
		.amdhsa_tg_split 0
		.amdhsa_exception_fp_ieee_invalid_op 0
		.amdhsa_exception_fp_denorm_src 0
		.amdhsa_exception_fp_ieee_div_zero 0
		.amdhsa_exception_fp_ieee_overflow 0
		.amdhsa_exception_fp_ieee_underflow 0
		.amdhsa_exception_fp_ieee_inexact 0
		.amdhsa_exception_int_div_zero 0
	.end_amdhsa_kernel
	.section	.text._ZN7rocprim17ROCPRIM_400000_NS6detail17trampoline_kernelINS0_14default_configENS1_22reduce_config_selectorIN6thrust23THRUST_200600_302600_NS5tupleIblNS6_9null_typeES8_S8_S8_S8_S8_S8_S8_EEEEZNS1_11reduce_implILb1ES3_NS6_12zip_iteratorINS7_INS6_11hip_rocprim26transform_input_iterator_tIbPdNS6_6detail10functional5actorINSH_9compositeIJNSH_27transparent_binary_operatorINS6_8equal_toIvEEEENSI_INSH_8argumentILj0EEEEENSH_5valueIdEEEEEEEEENSD_19counting_iterator_tIlEES8_S8_S8_S8_S8_S8_S8_S8_EEEEPS9_S9_NSD_9__find_if7functorIS9_EEEE10hipError_tPvRmT1_T2_T3_mT4_P12ihipStream_tbEUlT_E1_NS1_11comp_targetILNS1_3genE3ELNS1_11target_archE908ELNS1_3gpuE7ELNS1_3repE0EEENS1_30default_config_static_selectorELNS0_4arch9wavefront6targetE1EEEvS17_,"axG",@progbits,_ZN7rocprim17ROCPRIM_400000_NS6detail17trampoline_kernelINS0_14default_configENS1_22reduce_config_selectorIN6thrust23THRUST_200600_302600_NS5tupleIblNS6_9null_typeES8_S8_S8_S8_S8_S8_S8_EEEEZNS1_11reduce_implILb1ES3_NS6_12zip_iteratorINS7_INS6_11hip_rocprim26transform_input_iterator_tIbPdNS6_6detail10functional5actorINSH_9compositeIJNSH_27transparent_binary_operatorINS6_8equal_toIvEEEENSI_INSH_8argumentILj0EEEEENSH_5valueIdEEEEEEEEENSD_19counting_iterator_tIlEES8_S8_S8_S8_S8_S8_S8_S8_EEEEPS9_S9_NSD_9__find_if7functorIS9_EEEE10hipError_tPvRmT1_T2_T3_mT4_P12ihipStream_tbEUlT_E1_NS1_11comp_targetILNS1_3genE3ELNS1_11target_archE908ELNS1_3gpuE7ELNS1_3repE0EEENS1_30default_config_static_selectorELNS0_4arch9wavefront6targetE1EEEvS17_,comdat
.Lfunc_end1736:
	.size	_ZN7rocprim17ROCPRIM_400000_NS6detail17trampoline_kernelINS0_14default_configENS1_22reduce_config_selectorIN6thrust23THRUST_200600_302600_NS5tupleIblNS6_9null_typeES8_S8_S8_S8_S8_S8_S8_EEEEZNS1_11reduce_implILb1ES3_NS6_12zip_iteratorINS7_INS6_11hip_rocprim26transform_input_iterator_tIbPdNS6_6detail10functional5actorINSH_9compositeIJNSH_27transparent_binary_operatorINS6_8equal_toIvEEEENSI_INSH_8argumentILj0EEEEENSH_5valueIdEEEEEEEEENSD_19counting_iterator_tIlEES8_S8_S8_S8_S8_S8_S8_S8_EEEEPS9_S9_NSD_9__find_if7functorIS9_EEEE10hipError_tPvRmT1_T2_T3_mT4_P12ihipStream_tbEUlT_E1_NS1_11comp_targetILNS1_3genE3ELNS1_11target_archE908ELNS1_3gpuE7ELNS1_3repE0EEENS1_30default_config_static_selectorELNS0_4arch9wavefront6targetE1EEEvS17_, .Lfunc_end1736-_ZN7rocprim17ROCPRIM_400000_NS6detail17trampoline_kernelINS0_14default_configENS1_22reduce_config_selectorIN6thrust23THRUST_200600_302600_NS5tupleIblNS6_9null_typeES8_S8_S8_S8_S8_S8_S8_EEEEZNS1_11reduce_implILb1ES3_NS6_12zip_iteratorINS7_INS6_11hip_rocprim26transform_input_iterator_tIbPdNS6_6detail10functional5actorINSH_9compositeIJNSH_27transparent_binary_operatorINS6_8equal_toIvEEEENSI_INSH_8argumentILj0EEEEENSH_5valueIdEEEEEEEEENSD_19counting_iterator_tIlEES8_S8_S8_S8_S8_S8_S8_S8_EEEEPS9_S9_NSD_9__find_if7functorIS9_EEEE10hipError_tPvRmT1_T2_T3_mT4_P12ihipStream_tbEUlT_E1_NS1_11comp_targetILNS1_3genE3ELNS1_11target_archE908ELNS1_3gpuE7ELNS1_3repE0EEENS1_30default_config_static_selectorELNS0_4arch9wavefront6targetE1EEEvS17_
                                        ; -- End function
	.section	.AMDGPU.csdata,"",@progbits
; Kernel info:
; codeLenInByte = 0
; NumSgprs: 4
; NumVgprs: 0
; NumAgprs: 0
; TotalNumVgprs: 0
; ScratchSize: 0
; MemoryBound: 0
; FloatMode: 240
; IeeeMode: 1
; LDSByteSize: 0 bytes/workgroup (compile time only)
; SGPRBlocks: 0
; VGPRBlocks: 0
; NumSGPRsForWavesPerEU: 4
; NumVGPRsForWavesPerEU: 1
; AccumOffset: 4
; Occupancy: 8
; WaveLimiterHint : 0
; COMPUTE_PGM_RSRC2:SCRATCH_EN: 0
; COMPUTE_PGM_RSRC2:USER_SGPR: 6
; COMPUTE_PGM_RSRC2:TRAP_HANDLER: 0
; COMPUTE_PGM_RSRC2:TGID_X_EN: 1
; COMPUTE_PGM_RSRC2:TGID_Y_EN: 0
; COMPUTE_PGM_RSRC2:TGID_Z_EN: 0
; COMPUTE_PGM_RSRC2:TIDIG_COMP_CNT: 0
; COMPUTE_PGM_RSRC3_GFX90A:ACCUM_OFFSET: 0
; COMPUTE_PGM_RSRC3_GFX90A:TG_SPLIT: 0
	.section	.text._ZN7rocprim17ROCPRIM_400000_NS6detail17trampoline_kernelINS0_14default_configENS1_22reduce_config_selectorIN6thrust23THRUST_200600_302600_NS5tupleIblNS6_9null_typeES8_S8_S8_S8_S8_S8_S8_EEEEZNS1_11reduce_implILb1ES3_NS6_12zip_iteratorINS7_INS6_11hip_rocprim26transform_input_iterator_tIbPdNS6_6detail10functional5actorINSH_9compositeIJNSH_27transparent_binary_operatorINS6_8equal_toIvEEEENSI_INSH_8argumentILj0EEEEENSH_5valueIdEEEEEEEEENSD_19counting_iterator_tIlEES8_S8_S8_S8_S8_S8_S8_S8_EEEEPS9_S9_NSD_9__find_if7functorIS9_EEEE10hipError_tPvRmT1_T2_T3_mT4_P12ihipStream_tbEUlT_E1_NS1_11comp_targetILNS1_3genE2ELNS1_11target_archE906ELNS1_3gpuE6ELNS1_3repE0EEENS1_30default_config_static_selectorELNS0_4arch9wavefront6targetE1EEEvS17_,"axG",@progbits,_ZN7rocprim17ROCPRIM_400000_NS6detail17trampoline_kernelINS0_14default_configENS1_22reduce_config_selectorIN6thrust23THRUST_200600_302600_NS5tupleIblNS6_9null_typeES8_S8_S8_S8_S8_S8_S8_EEEEZNS1_11reduce_implILb1ES3_NS6_12zip_iteratorINS7_INS6_11hip_rocprim26transform_input_iterator_tIbPdNS6_6detail10functional5actorINSH_9compositeIJNSH_27transparent_binary_operatorINS6_8equal_toIvEEEENSI_INSH_8argumentILj0EEEEENSH_5valueIdEEEEEEEEENSD_19counting_iterator_tIlEES8_S8_S8_S8_S8_S8_S8_S8_EEEEPS9_S9_NSD_9__find_if7functorIS9_EEEE10hipError_tPvRmT1_T2_T3_mT4_P12ihipStream_tbEUlT_E1_NS1_11comp_targetILNS1_3genE2ELNS1_11target_archE906ELNS1_3gpuE6ELNS1_3repE0EEENS1_30default_config_static_selectorELNS0_4arch9wavefront6targetE1EEEvS17_,comdat
	.protected	_ZN7rocprim17ROCPRIM_400000_NS6detail17trampoline_kernelINS0_14default_configENS1_22reduce_config_selectorIN6thrust23THRUST_200600_302600_NS5tupleIblNS6_9null_typeES8_S8_S8_S8_S8_S8_S8_EEEEZNS1_11reduce_implILb1ES3_NS6_12zip_iteratorINS7_INS6_11hip_rocprim26transform_input_iterator_tIbPdNS6_6detail10functional5actorINSH_9compositeIJNSH_27transparent_binary_operatorINS6_8equal_toIvEEEENSI_INSH_8argumentILj0EEEEENSH_5valueIdEEEEEEEEENSD_19counting_iterator_tIlEES8_S8_S8_S8_S8_S8_S8_S8_EEEEPS9_S9_NSD_9__find_if7functorIS9_EEEE10hipError_tPvRmT1_T2_T3_mT4_P12ihipStream_tbEUlT_E1_NS1_11comp_targetILNS1_3genE2ELNS1_11target_archE906ELNS1_3gpuE6ELNS1_3repE0EEENS1_30default_config_static_selectorELNS0_4arch9wavefront6targetE1EEEvS17_ ; -- Begin function _ZN7rocprim17ROCPRIM_400000_NS6detail17trampoline_kernelINS0_14default_configENS1_22reduce_config_selectorIN6thrust23THRUST_200600_302600_NS5tupleIblNS6_9null_typeES8_S8_S8_S8_S8_S8_S8_EEEEZNS1_11reduce_implILb1ES3_NS6_12zip_iteratorINS7_INS6_11hip_rocprim26transform_input_iterator_tIbPdNS6_6detail10functional5actorINSH_9compositeIJNSH_27transparent_binary_operatorINS6_8equal_toIvEEEENSI_INSH_8argumentILj0EEEEENSH_5valueIdEEEEEEEEENSD_19counting_iterator_tIlEES8_S8_S8_S8_S8_S8_S8_S8_EEEEPS9_S9_NSD_9__find_if7functorIS9_EEEE10hipError_tPvRmT1_T2_T3_mT4_P12ihipStream_tbEUlT_E1_NS1_11comp_targetILNS1_3genE2ELNS1_11target_archE906ELNS1_3gpuE6ELNS1_3repE0EEENS1_30default_config_static_selectorELNS0_4arch9wavefront6targetE1EEEvS17_
	.globl	_ZN7rocprim17ROCPRIM_400000_NS6detail17trampoline_kernelINS0_14default_configENS1_22reduce_config_selectorIN6thrust23THRUST_200600_302600_NS5tupleIblNS6_9null_typeES8_S8_S8_S8_S8_S8_S8_EEEEZNS1_11reduce_implILb1ES3_NS6_12zip_iteratorINS7_INS6_11hip_rocprim26transform_input_iterator_tIbPdNS6_6detail10functional5actorINSH_9compositeIJNSH_27transparent_binary_operatorINS6_8equal_toIvEEEENSI_INSH_8argumentILj0EEEEENSH_5valueIdEEEEEEEEENSD_19counting_iterator_tIlEES8_S8_S8_S8_S8_S8_S8_S8_EEEEPS9_S9_NSD_9__find_if7functorIS9_EEEE10hipError_tPvRmT1_T2_T3_mT4_P12ihipStream_tbEUlT_E1_NS1_11comp_targetILNS1_3genE2ELNS1_11target_archE906ELNS1_3gpuE6ELNS1_3repE0EEENS1_30default_config_static_selectorELNS0_4arch9wavefront6targetE1EEEvS17_
	.p2align	8
	.type	_ZN7rocprim17ROCPRIM_400000_NS6detail17trampoline_kernelINS0_14default_configENS1_22reduce_config_selectorIN6thrust23THRUST_200600_302600_NS5tupleIblNS6_9null_typeES8_S8_S8_S8_S8_S8_S8_EEEEZNS1_11reduce_implILb1ES3_NS6_12zip_iteratorINS7_INS6_11hip_rocprim26transform_input_iterator_tIbPdNS6_6detail10functional5actorINSH_9compositeIJNSH_27transparent_binary_operatorINS6_8equal_toIvEEEENSI_INSH_8argumentILj0EEEEENSH_5valueIdEEEEEEEEENSD_19counting_iterator_tIlEES8_S8_S8_S8_S8_S8_S8_S8_EEEEPS9_S9_NSD_9__find_if7functorIS9_EEEE10hipError_tPvRmT1_T2_T3_mT4_P12ihipStream_tbEUlT_E1_NS1_11comp_targetILNS1_3genE2ELNS1_11target_archE906ELNS1_3gpuE6ELNS1_3repE0EEENS1_30default_config_static_selectorELNS0_4arch9wavefront6targetE1EEEvS17_,@function
_ZN7rocprim17ROCPRIM_400000_NS6detail17trampoline_kernelINS0_14default_configENS1_22reduce_config_selectorIN6thrust23THRUST_200600_302600_NS5tupleIblNS6_9null_typeES8_S8_S8_S8_S8_S8_S8_EEEEZNS1_11reduce_implILb1ES3_NS6_12zip_iteratorINS7_INS6_11hip_rocprim26transform_input_iterator_tIbPdNS6_6detail10functional5actorINSH_9compositeIJNSH_27transparent_binary_operatorINS6_8equal_toIvEEEENSI_INSH_8argumentILj0EEEEENSH_5valueIdEEEEEEEEENSD_19counting_iterator_tIlEES8_S8_S8_S8_S8_S8_S8_S8_EEEEPS9_S9_NSD_9__find_if7functorIS9_EEEE10hipError_tPvRmT1_T2_T3_mT4_P12ihipStream_tbEUlT_E1_NS1_11comp_targetILNS1_3genE2ELNS1_11target_archE906ELNS1_3gpuE6ELNS1_3repE0EEENS1_30default_config_static_selectorELNS0_4arch9wavefront6targetE1EEEvS17_: ; @_ZN7rocprim17ROCPRIM_400000_NS6detail17trampoline_kernelINS0_14default_configENS1_22reduce_config_selectorIN6thrust23THRUST_200600_302600_NS5tupleIblNS6_9null_typeES8_S8_S8_S8_S8_S8_S8_EEEEZNS1_11reduce_implILb1ES3_NS6_12zip_iteratorINS7_INS6_11hip_rocprim26transform_input_iterator_tIbPdNS6_6detail10functional5actorINSH_9compositeIJNSH_27transparent_binary_operatorINS6_8equal_toIvEEEENSI_INSH_8argumentILj0EEEEENSH_5valueIdEEEEEEEEENSD_19counting_iterator_tIlEES8_S8_S8_S8_S8_S8_S8_S8_EEEEPS9_S9_NSD_9__find_if7functorIS9_EEEE10hipError_tPvRmT1_T2_T3_mT4_P12ihipStream_tbEUlT_E1_NS1_11comp_targetILNS1_3genE2ELNS1_11target_archE906ELNS1_3gpuE6ELNS1_3repE0EEENS1_30default_config_static_selectorELNS0_4arch9wavefront6targetE1EEEvS17_
; %bb.0:
	.section	.rodata,"a",@progbits
	.p2align	6, 0x0
	.amdhsa_kernel _ZN7rocprim17ROCPRIM_400000_NS6detail17trampoline_kernelINS0_14default_configENS1_22reduce_config_selectorIN6thrust23THRUST_200600_302600_NS5tupleIblNS6_9null_typeES8_S8_S8_S8_S8_S8_S8_EEEEZNS1_11reduce_implILb1ES3_NS6_12zip_iteratorINS7_INS6_11hip_rocprim26transform_input_iterator_tIbPdNS6_6detail10functional5actorINSH_9compositeIJNSH_27transparent_binary_operatorINS6_8equal_toIvEEEENSI_INSH_8argumentILj0EEEEENSH_5valueIdEEEEEEEEENSD_19counting_iterator_tIlEES8_S8_S8_S8_S8_S8_S8_S8_EEEEPS9_S9_NSD_9__find_if7functorIS9_EEEE10hipError_tPvRmT1_T2_T3_mT4_P12ihipStream_tbEUlT_E1_NS1_11comp_targetILNS1_3genE2ELNS1_11target_archE906ELNS1_3gpuE6ELNS1_3repE0EEENS1_30default_config_static_selectorELNS0_4arch9wavefront6targetE1EEEvS17_
		.amdhsa_group_segment_fixed_size 0
		.amdhsa_private_segment_fixed_size 0
		.amdhsa_kernarg_size 80
		.amdhsa_user_sgpr_count 6
		.amdhsa_user_sgpr_private_segment_buffer 1
		.amdhsa_user_sgpr_dispatch_ptr 0
		.amdhsa_user_sgpr_queue_ptr 0
		.amdhsa_user_sgpr_kernarg_segment_ptr 1
		.amdhsa_user_sgpr_dispatch_id 0
		.amdhsa_user_sgpr_flat_scratch_init 0
		.amdhsa_user_sgpr_kernarg_preload_length 0
		.amdhsa_user_sgpr_kernarg_preload_offset 0
		.amdhsa_user_sgpr_private_segment_size 0
		.amdhsa_uses_dynamic_stack 0
		.amdhsa_system_sgpr_private_segment_wavefront_offset 0
		.amdhsa_system_sgpr_workgroup_id_x 1
		.amdhsa_system_sgpr_workgroup_id_y 0
		.amdhsa_system_sgpr_workgroup_id_z 0
		.amdhsa_system_sgpr_workgroup_info 0
		.amdhsa_system_vgpr_workitem_id 0
		.amdhsa_next_free_vgpr 1
		.amdhsa_next_free_sgpr 0
		.amdhsa_accum_offset 4
		.amdhsa_reserve_vcc 0
		.amdhsa_reserve_flat_scratch 0
		.amdhsa_float_round_mode_32 0
		.amdhsa_float_round_mode_16_64 0
		.amdhsa_float_denorm_mode_32 3
		.amdhsa_float_denorm_mode_16_64 3
		.amdhsa_dx10_clamp 1
		.amdhsa_ieee_mode 1
		.amdhsa_fp16_overflow 0
		.amdhsa_tg_split 0
		.amdhsa_exception_fp_ieee_invalid_op 0
		.amdhsa_exception_fp_denorm_src 0
		.amdhsa_exception_fp_ieee_div_zero 0
		.amdhsa_exception_fp_ieee_overflow 0
		.amdhsa_exception_fp_ieee_underflow 0
		.amdhsa_exception_fp_ieee_inexact 0
		.amdhsa_exception_int_div_zero 0
	.end_amdhsa_kernel
	.section	.text._ZN7rocprim17ROCPRIM_400000_NS6detail17trampoline_kernelINS0_14default_configENS1_22reduce_config_selectorIN6thrust23THRUST_200600_302600_NS5tupleIblNS6_9null_typeES8_S8_S8_S8_S8_S8_S8_EEEEZNS1_11reduce_implILb1ES3_NS6_12zip_iteratorINS7_INS6_11hip_rocprim26transform_input_iterator_tIbPdNS6_6detail10functional5actorINSH_9compositeIJNSH_27transparent_binary_operatorINS6_8equal_toIvEEEENSI_INSH_8argumentILj0EEEEENSH_5valueIdEEEEEEEEENSD_19counting_iterator_tIlEES8_S8_S8_S8_S8_S8_S8_S8_EEEEPS9_S9_NSD_9__find_if7functorIS9_EEEE10hipError_tPvRmT1_T2_T3_mT4_P12ihipStream_tbEUlT_E1_NS1_11comp_targetILNS1_3genE2ELNS1_11target_archE906ELNS1_3gpuE6ELNS1_3repE0EEENS1_30default_config_static_selectorELNS0_4arch9wavefront6targetE1EEEvS17_,"axG",@progbits,_ZN7rocprim17ROCPRIM_400000_NS6detail17trampoline_kernelINS0_14default_configENS1_22reduce_config_selectorIN6thrust23THRUST_200600_302600_NS5tupleIblNS6_9null_typeES8_S8_S8_S8_S8_S8_S8_EEEEZNS1_11reduce_implILb1ES3_NS6_12zip_iteratorINS7_INS6_11hip_rocprim26transform_input_iterator_tIbPdNS6_6detail10functional5actorINSH_9compositeIJNSH_27transparent_binary_operatorINS6_8equal_toIvEEEENSI_INSH_8argumentILj0EEEEENSH_5valueIdEEEEEEEEENSD_19counting_iterator_tIlEES8_S8_S8_S8_S8_S8_S8_S8_EEEEPS9_S9_NSD_9__find_if7functorIS9_EEEE10hipError_tPvRmT1_T2_T3_mT4_P12ihipStream_tbEUlT_E1_NS1_11comp_targetILNS1_3genE2ELNS1_11target_archE906ELNS1_3gpuE6ELNS1_3repE0EEENS1_30default_config_static_selectorELNS0_4arch9wavefront6targetE1EEEvS17_,comdat
.Lfunc_end1737:
	.size	_ZN7rocprim17ROCPRIM_400000_NS6detail17trampoline_kernelINS0_14default_configENS1_22reduce_config_selectorIN6thrust23THRUST_200600_302600_NS5tupleIblNS6_9null_typeES8_S8_S8_S8_S8_S8_S8_EEEEZNS1_11reduce_implILb1ES3_NS6_12zip_iteratorINS7_INS6_11hip_rocprim26transform_input_iterator_tIbPdNS6_6detail10functional5actorINSH_9compositeIJNSH_27transparent_binary_operatorINS6_8equal_toIvEEEENSI_INSH_8argumentILj0EEEEENSH_5valueIdEEEEEEEEENSD_19counting_iterator_tIlEES8_S8_S8_S8_S8_S8_S8_S8_EEEEPS9_S9_NSD_9__find_if7functorIS9_EEEE10hipError_tPvRmT1_T2_T3_mT4_P12ihipStream_tbEUlT_E1_NS1_11comp_targetILNS1_3genE2ELNS1_11target_archE906ELNS1_3gpuE6ELNS1_3repE0EEENS1_30default_config_static_selectorELNS0_4arch9wavefront6targetE1EEEvS17_, .Lfunc_end1737-_ZN7rocprim17ROCPRIM_400000_NS6detail17trampoline_kernelINS0_14default_configENS1_22reduce_config_selectorIN6thrust23THRUST_200600_302600_NS5tupleIblNS6_9null_typeES8_S8_S8_S8_S8_S8_S8_EEEEZNS1_11reduce_implILb1ES3_NS6_12zip_iteratorINS7_INS6_11hip_rocprim26transform_input_iterator_tIbPdNS6_6detail10functional5actorINSH_9compositeIJNSH_27transparent_binary_operatorINS6_8equal_toIvEEEENSI_INSH_8argumentILj0EEEEENSH_5valueIdEEEEEEEEENSD_19counting_iterator_tIlEES8_S8_S8_S8_S8_S8_S8_S8_EEEEPS9_S9_NSD_9__find_if7functorIS9_EEEE10hipError_tPvRmT1_T2_T3_mT4_P12ihipStream_tbEUlT_E1_NS1_11comp_targetILNS1_3genE2ELNS1_11target_archE906ELNS1_3gpuE6ELNS1_3repE0EEENS1_30default_config_static_selectorELNS0_4arch9wavefront6targetE1EEEvS17_
                                        ; -- End function
	.section	.AMDGPU.csdata,"",@progbits
; Kernel info:
; codeLenInByte = 0
; NumSgprs: 4
; NumVgprs: 0
; NumAgprs: 0
; TotalNumVgprs: 0
; ScratchSize: 0
; MemoryBound: 0
; FloatMode: 240
; IeeeMode: 1
; LDSByteSize: 0 bytes/workgroup (compile time only)
; SGPRBlocks: 0
; VGPRBlocks: 0
; NumSGPRsForWavesPerEU: 4
; NumVGPRsForWavesPerEU: 1
; AccumOffset: 4
; Occupancy: 8
; WaveLimiterHint : 0
; COMPUTE_PGM_RSRC2:SCRATCH_EN: 0
; COMPUTE_PGM_RSRC2:USER_SGPR: 6
; COMPUTE_PGM_RSRC2:TRAP_HANDLER: 0
; COMPUTE_PGM_RSRC2:TGID_X_EN: 1
; COMPUTE_PGM_RSRC2:TGID_Y_EN: 0
; COMPUTE_PGM_RSRC2:TGID_Z_EN: 0
; COMPUTE_PGM_RSRC2:TIDIG_COMP_CNT: 0
; COMPUTE_PGM_RSRC3_GFX90A:ACCUM_OFFSET: 0
; COMPUTE_PGM_RSRC3_GFX90A:TG_SPLIT: 0
	.section	.text._ZN7rocprim17ROCPRIM_400000_NS6detail17trampoline_kernelINS0_14default_configENS1_22reduce_config_selectorIN6thrust23THRUST_200600_302600_NS5tupleIblNS6_9null_typeES8_S8_S8_S8_S8_S8_S8_EEEEZNS1_11reduce_implILb1ES3_NS6_12zip_iteratorINS7_INS6_11hip_rocprim26transform_input_iterator_tIbPdNS6_6detail10functional5actorINSH_9compositeIJNSH_27transparent_binary_operatorINS6_8equal_toIvEEEENSI_INSH_8argumentILj0EEEEENSH_5valueIdEEEEEEEEENSD_19counting_iterator_tIlEES8_S8_S8_S8_S8_S8_S8_S8_EEEEPS9_S9_NSD_9__find_if7functorIS9_EEEE10hipError_tPvRmT1_T2_T3_mT4_P12ihipStream_tbEUlT_E1_NS1_11comp_targetILNS1_3genE10ELNS1_11target_archE1201ELNS1_3gpuE5ELNS1_3repE0EEENS1_30default_config_static_selectorELNS0_4arch9wavefront6targetE1EEEvS17_,"axG",@progbits,_ZN7rocprim17ROCPRIM_400000_NS6detail17trampoline_kernelINS0_14default_configENS1_22reduce_config_selectorIN6thrust23THRUST_200600_302600_NS5tupleIblNS6_9null_typeES8_S8_S8_S8_S8_S8_S8_EEEEZNS1_11reduce_implILb1ES3_NS6_12zip_iteratorINS7_INS6_11hip_rocprim26transform_input_iterator_tIbPdNS6_6detail10functional5actorINSH_9compositeIJNSH_27transparent_binary_operatorINS6_8equal_toIvEEEENSI_INSH_8argumentILj0EEEEENSH_5valueIdEEEEEEEEENSD_19counting_iterator_tIlEES8_S8_S8_S8_S8_S8_S8_S8_EEEEPS9_S9_NSD_9__find_if7functorIS9_EEEE10hipError_tPvRmT1_T2_T3_mT4_P12ihipStream_tbEUlT_E1_NS1_11comp_targetILNS1_3genE10ELNS1_11target_archE1201ELNS1_3gpuE5ELNS1_3repE0EEENS1_30default_config_static_selectorELNS0_4arch9wavefront6targetE1EEEvS17_,comdat
	.protected	_ZN7rocprim17ROCPRIM_400000_NS6detail17trampoline_kernelINS0_14default_configENS1_22reduce_config_selectorIN6thrust23THRUST_200600_302600_NS5tupleIblNS6_9null_typeES8_S8_S8_S8_S8_S8_S8_EEEEZNS1_11reduce_implILb1ES3_NS6_12zip_iteratorINS7_INS6_11hip_rocprim26transform_input_iterator_tIbPdNS6_6detail10functional5actorINSH_9compositeIJNSH_27transparent_binary_operatorINS6_8equal_toIvEEEENSI_INSH_8argumentILj0EEEEENSH_5valueIdEEEEEEEEENSD_19counting_iterator_tIlEES8_S8_S8_S8_S8_S8_S8_S8_EEEEPS9_S9_NSD_9__find_if7functorIS9_EEEE10hipError_tPvRmT1_T2_T3_mT4_P12ihipStream_tbEUlT_E1_NS1_11comp_targetILNS1_3genE10ELNS1_11target_archE1201ELNS1_3gpuE5ELNS1_3repE0EEENS1_30default_config_static_selectorELNS0_4arch9wavefront6targetE1EEEvS17_ ; -- Begin function _ZN7rocprim17ROCPRIM_400000_NS6detail17trampoline_kernelINS0_14default_configENS1_22reduce_config_selectorIN6thrust23THRUST_200600_302600_NS5tupleIblNS6_9null_typeES8_S8_S8_S8_S8_S8_S8_EEEEZNS1_11reduce_implILb1ES3_NS6_12zip_iteratorINS7_INS6_11hip_rocprim26transform_input_iterator_tIbPdNS6_6detail10functional5actorINSH_9compositeIJNSH_27transparent_binary_operatorINS6_8equal_toIvEEEENSI_INSH_8argumentILj0EEEEENSH_5valueIdEEEEEEEEENSD_19counting_iterator_tIlEES8_S8_S8_S8_S8_S8_S8_S8_EEEEPS9_S9_NSD_9__find_if7functorIS9_EEEE10hipError_tPvRmT1_T2_T3_mT4_P12ihipStream_tbEUlT_E1_NS1_11comp_targetILNS1_3genE10ELNS1_11target_archE1201ELNS1_3gpuE5ELNS1_3repE0EEENS1_30default_config_static_selectorELNS0_4arch9wavefront6targetE1EEEvS17_
	.globl	_ZN7rocprim17ROCPRIM_400000_NS6detail17trampoline_kernelINS0_14default_configENS1_22reduce_config_selectorIN6thrust23THRUST_200600_302600_NS5tupleIblNS6_9null_typeES8_S8_S8_S8_S8_S8_S8_EEEEZNS1_11reduce_implILb1ES3_NS6_12zip_iteratorINS7_INS6_11hip_rocprim26transform_input_iterator_tIbPdNS6_6detail10functional5actorINSH_9compositeIJNSH_27transparent_binary_operatorINS6_8equal_toIvEEEENSI_INSH_8argumentILj0EEEEENSH_5valueIdEEEEEEEEENSD_19counting_iterator_tIlEES8_S8_S8_S8_S8_S8_S8_S8_EEEEPS9_S9_NSD_9__find_if7functorIS9_EEEE10hipError_tPvRmT1_T2_T3_mT4_P12ihipStream_tbEUlT_E1_NS1_11comp_targetILNS1_3genE10ELNS1_11target_archE1201ELNS1_3gpuE5ELNS1_3repE0EEENS1_30default_config_static_selectorELNS0_4arch9wavefront6targetE1EEEvS17_
	.p2align	8
	.type	_ZN7rocprim17ROCPRIM_400000_NS6detail17trampoline_kernelINS0_14default_configENS1_22reduce_config_selectorIN6thrust23THRUST_200600_302600_NS5tupleIblNS6_9null_typeES8_S8_S8_S8_S8_S8_S8_EEEEZNS1_11reduce_implILb1ES3_NS6_12zip_iteratorINS7_INS6_11hip_rocprim26transform_input_iterator_tIbPdNS6_6detail10functional5actorINSH_9compositeIJNSH_27transparent_binary_operatorINS6_8equal_toIvEEEENSI_INSH_8argumentILj0EEEEENSH_5valueIdEEEEEEEEENSD_19counting_iterator_tIlEES8_S8_S8_S8_S8_S8_S8_S8_EEEEPS9_S9_NSD_9__find_if7functorIS9_EEEE10hipError_tPvRmT1_T2_T3_mT4_P12ihipStream_tbEUlT_E1_NS1_11comp_targetILNS1_3genE10ELNS1_11target_archE1201ELNS1_3gpuE5ELNS1_3repE0EEENS1_30default_config_static_selectorELNS0_4arch9wavefront6targetE1EEEvS17_,@function
_ZN7rocprim17ROCPRIM_400000_NS6detail17trampoline_kernelINS0_14default_configENS1_22reduce_config_selectorIN6thrust23THRUST_200600_302600_NS5tupleIblNS6_9null_typeES8_S8_S8_S8_S8_S8_S8_EEEEZNS1_11reduce_implILb1ES3_NS6_12zip_iteratorINS7_INS6_11hip_rocprim26transform_input_iterator_tIbPdNS6_6detail10functional5actorINSH_9compositeIJNSH_27transparent_binary_operatorINS6_8equal_toIvEEEENSI_INSH_8argumentILj0EEEEENSH_5valueIdEEEEEEEEENSD_19counting_iterator_tIlEES8_S8_S8_S8_S8_S8_S8_S8_EEEEPS9_S9_NSD_9__find_if7functorIS9_EEEE10hipError_tPvRmT1_T2_T3_mT4_P12ihipStream_tbEUlT_E1_NS1_11comp_targetILNS1_3genE10ELNS1_11target_archE1201ELNS1_3gpuE5ELNS1_3repE0EEENS1_30default_config_static_selectorELNS0_4arch9wavefront6targetE1EEEvS17_: ; @_ZN7rocprim17ROCPRIM_400000_NS6detail17trampoline_kernelINS0_14default_configENS1_22reduce_config_selectorIN6thrust23THRUST_200600_302600_NS5tupleIblNS6_9null_typeES8_S8_S8_S8_S8_S8_S8_EEEEZNS1_11reduce_implILb1ES3_NS6_12zip_iteratorINS7_INS6_11hip_rocprim26transform_input_iterator_tIbPdNS6_6detail10functional5actorINSH_9compositeIJNSH_27transparent_binary_operatorINS6_8equal_toIvEEEENSI_INSH_8argumentILj0EEEEENSH_5valueIdEEEEEEEEENSD_19counting_iterator_tIlEES8_S8_S8_S8_S8_S8_S8_S8_EEEEPS9_S9_NSD_9__find_if7functorIS9_EEEE10hipError_tPvRmT1_T2_T3_mT4_P12ihipStream_tbEUlT_E1_NS1_11comp_targetILNS1_3genE10ELNS1_11target_archE1201ELNS1_3gpuE5ELNS1_3repE0EEENS1_30default_config_static_selectorELNS0_4arch9wavefront6targetE1EEEvS17_
; %bb.0:
	.section	.rodata,"a",@progbits
	.p2align	6, 0x0
	.amdhsa_kernel _ZN7rocprim17ROCPRIM_400000_NS6detail17trampoline_kernelINS0_14default_configENS1_22reduce_config_selectorIN6thrust23THRUST_200600_302600_NS5tupleIblNS6_9null_typeES8_S8_S8_S8_S8_S8_S8_EEEEZNS1_11reduce_implILb1ES3_NS6_12zip_iteratorINS7_INS6_11hip_rocprim26transform_input_iterator_tIbPdNS6_6detail10functional5actorINSH_9compositeIJNSH_27transparent_binary_operatorINS6_8equal_toIvEEEENSI_INSH_8argumentILj0EEEEENSH_5valueIdEEEEEEEEENSD_19counting_iterator_tIlEES8_S8_S8_S8_S8_S8_S8_S8_EEEEPS9_S9_NSD_9__find_if7functorIS9_EEEE10hipError_tPvRmT1_T2_T3_mT4_P12ihipStream_tbEUlT_E1_NS1_11comp_targetILNS1_3genE10ELNS1_11target_archE1201ELNS1_3gpuE5ELNS1_3repE0EEENS1_30default_config_static_selectorELNS0_4arch9wavefront6targetE1EEEvS17_
		.amdhsa_group_segment_fixed_size 0
		.amdhsa_private_segment_fixed_size 0
		.amdhsa_kernarg_size 80
		.amdhsa_user_sgpr_count 6
		.amdhsa_user_sgpr_private_segment_buffer 1
		.amdhsa_user_sgpr_dispatch_ptr 0
		.amdhsa_user_sgpr_queue_ptr 0
		.amdhsa_user_sgpr_kernarg_segment_ptr 1
		.amdhsa_user_sgpr_dispatch_id 0
		.amdhsa_user_sgpr_flat_scratch_init 0
		.amdhsa_user_sgpr_kernarg_preload_length 0
		.amdhsa_user_sgpr_kernarg_preload_offset 0
		.amdhsa_user_sgpr_private_segment_size 0
		.amdhsa_uses_dynamic_stack 0
		.amdhsa_system_sgpr_private_segment_wavefront_offset 0
		.amdhsa_system_sgpr_workgroup_id_x 1
		.amdhsa_system_sgpr_workgroup_id_y 0
		.amdhsa_system_sgpr_workgroup_id_z 0
		.amdhsa_system_sgpr_workgroup_info 0
		.amdhsa_system_vgpr_workitem_id 0
		.amdhsa_next_free_vgpr 1
		.amdhsa_next_free_sgpr 0
		.amdhsa_accum_offset 4
		.amdhsa_reserve_vcc 0
		.amdhsa_reserve_flat_scratch 0
		.amdhsa_float_round_mode_32 0
		.amdhsa_float_round_mode_16_64 0
		.amdhsa_float_denorm_mode_32 3
		.amdhsa_float_denorm_mode_16_64 3
		.amdhsa_dx10_clamp 1
		.amdhsa_ieee_mode 1
		.amdhsa_fp16_overflow 0
		.amdhsa_tg_split 0
		.amdhsa_exception_fp_ieee_invalid_op 0
		.amdhsa_exception_fp_denorm_src 0
		.amdhsa_exception_fp_ieee_div_zero 0
		.amdhsa_exception_fp_ieee_overflow 0
		.amdhsa_exception_fp_ieee_underflow 0
		.amdhsa_exception_fp_ieee_inexact 0
		.amdhsa_exception_int_div_zero 0
	.end_amdhsa_kernel
	.section	.text._ZN7rocprim17ROCPRIM_400000_NS6detail17trampoline_kernelINS0_14default_configENS1_22reduce_config_selectorIN6thrust23THRUST_200600_302600_NS5tupleIblNS6_9null_typeES8_S8_S8_S8_S8_S8_S8_EEEEZNS1_11reduce_implILb1ES3_NS6_12zip_iteratorINS7_INS6_11hip_rocprim26transform_input_iterator_tIbPdNS6_6detail10functional5actorINSH_9compositeIJNSH_27transparent_binary_operatorINS6_8equal_toIvEEEENSI_INSH_8argumentILj0EEEEENSH_5valueIdEEEEEEEEENSD_19counting_iterator_tIlEES8_S8_S8_S8_S8_S8_S8_S8_EEEEPS9_S9_NSD_9__find_if7functorIS9_EEEE10hipError_tPvRmT1_T2_T3_mT4_P12ihipStream_tbEUlT_E1_NS1_11comp_targetILNS1_3genE10ELNS1_11target_archE1201ELNS1_3gpuE5ELNS1_3repE0EEENS1_30default_config_static_selectorELNS0_4arch9wavefront6targetE1EEEvS17_,"axG",@progbits,_ZN7rocprim17ROCPRIM_400000_NS6detail17trampoline_kernelINS0_14default_configENS1_22reduce_config_selectorIN6thrust23THRUST_200600_302600_NS5tupleIblNS6_9null_typeES8_S8_S8_S8_S8_S8_S8_EEEEZNS1_11reduce_implILb1ES3_NS6_12zip_iteratorINS7_INS6_11hip_rocprim26transform_input_iterator_tIbPdNS6_6detail10functional5actorINSH_9compositeIJNSH_27transparent_binary_operatorINS6_8equal_toIvEEEENSI_INSH_8argumentILj0EEEEENSH_5valueIdEEEEEEEEENSD_19counting_iterator_tIlEES8_S8_S8_S8_S8_S8_S8_S8_EEEEPS9_S9_NSD_9__find_if7functorIS9_EEEE10hipError_tPvRmT1_T2_T3_mT4_P12ihipStream_tbEUlT_E1_NS1_11comp_targetILNS1_3genE10ELNS1_11target_archE1201ELNS1_3gpuE5ELNS1_3repE0EEENS1_30default_config_static_selectorELNS0_4arch9wavefront6targetE1EEEvS17_,comdat
.Lfunc_end1738:
	.size	_ZN7rocprim17ROCPRIM_400000_NS6detail17trampoline_kernelINS0_14default_configENS1_22reduce_config_selectorIN6thrust23THRUST_200600_302600_NS5tupleIblNS6_9null_typeES8_S8_S8_S8_S8_S8_S8_EEEEZNS1_11reduce_implILb1ES3_NS6_12zip_iteratorINS7_INS6_11hip_rocprim26transform_input_iterator_tIbPdNS6_6detail10functional5actorINSH_9compositeIJNSH_27transparent_binary_operatorINS6_8equal_toIvEEEENSI_INSH_8argumentILj0EEEEENSH_5valueIdEEEEEEEEENSD_19counting_iterator_tIlEES8_S8_S8_S8_S8_S8_S8_S8_EEEEPS9_S9_NSD_9__find_if7functorIS9_EEEE10hipError_tPvRmT1_T2_T3_mT4_P12ihipStream_tbEUlT_E1_NS1_11comp_targetILNS1_3genE10ELNS1_11target_archE1201ELNS1_3gpuE5ELNS1_3repE0EEENS1_30default_config_static_selectorELNS0_4arch9wavefront6targetE1EEEvS17_, .Lfunc_end1738-_ZN7rocprim17ROCPRIM_400000_NS6detail17trampoline_kernelINS0_14default_configENS1_22reduce_config_selectorIN6thrust23THRUST_200600_302600_NS5tupleIblNS6_9null_typeES8_S8_S8_S8_S8_S8_S8_EEEEZNS1_11reduce_implILb1ES3_NS6_12zip_iteratorINS7_INS6_11hip_rocprim26transform_input_iterator_tIbPdNS6_6detail10functional5actorINSH_9compositeIJNSH_27transparent_binary_operatorINS6_8equal_toIvEEEENSI_INSH_8argumentILj0EEEEENSH_5valueIdEEEEEEEEENSD_19counting_iterator_tIlEES8_S8_S8_S8_S8_S8_S8_S8_EEEEPS9_S9_NSD_9__find_if7functorIS9_EEEE10hipError_tPvRmT1_T2_T3_mT4_P12ihipStream_tbEUlT_E1_NS1_11comp_targetILNS1_3genE10ELNS1_11target_archE1201ELNS1_3gpuE5ELNS1_3repE0EEENS1_30default_config_static_selectorELNS0_4arch9wavefront6targetE1EEEvS17_
                                        ; -- End function
	.section	.AMDGPU.csdata,"",@progbits
; Kernel info:
; codeLenInByte = 0
; NumSgprs: 4
; NumVgprs: 0
; NumAgprs: 0
; TotalNumVgprs: 0
; ScratchSize: 0
; MemoryBound: 0
; FloatMode: 240
; IeeeMode: 1
; LDSByteSize: 0 bytes/workgroup (compile time only)
; SGPRBlocks: 0
; VGPRBlocks: 0
; NumSGPRsForWavesPerEU: 4
; NumVGPRsForWavesPerEU: 1
; AccumOffset: 4
; Occupancy: 8
; WaveLimiterHint : 0
; COMPUTE_PGM_RSRC2:SCRATCH_EN: 0
; COMPUTE_PGM_RSRC2:USER_SGPR: 6
; COMPUTE_PGM_RSRC2:TRAP_HANDLER: 0
; COMPUTE_PGM_RSRC2:TGID_X_EN: 1
; COMPUTE_PGM_RSRC2:TGID_Y_EN: 0
; COMPUTE_PGM_RSRC2:TGID_Z_EN: 0
; COMPUTE_PGM_RSRC2:TIDIG_COMP_CNT: 0
; COMPUTE_PGM_RSRC3_GFX90A:ACCUM_OFFSET: 0
; COMPUTE_PGM_RSRC3_GFX90A:TG_SPLIT: 0
	.section	.text._ZN7rocprim17ROCPRIM_400000_NS6detail17trampoline_kernelINS0_14default_configENS1_22reduce_config_selectorIN6thrust23THRUST_200600_302600_NS5tupleIblNS6_9null_typeES8_S8_S8_S8_S8_S8_S8_EEEEZNS1_11reduce_implILb1ES3_NS6_12zip_iteratorINS7_INS6_11hip_rocprim26transform_input_iterator_tIbPdNS6_6detail10functional5actorINSH_9compositeIJNSH_27transparent_binary_operatorINS6_8equal_toIvEEEENSI_INSH_8argumentILj0EEEEENSH_5valueIdEEEEEEEEENSD_19counting_iterator_tIlEES8_S8_S8_S8_S8_S8_S8_S8_EEEEPS9_S9_NSD_9__find_if7functorIS9_EEEE10hipError_tPvRmT1_T2_T3_mT4_P12ihipStream_tbEUlT_E1_NS1_11comp_targetILNS1_3genE10ELNS1_11target_archE1200ELNS1_3gpuE4ELNS1_3repE0EEENS1_30default_config_static_selectorELNS0_4arch9wavefront6targetE1EEEvS17_,"axG",@progbits,_ZN7rocprim17ROCPRIM_400000_NS6detail17trampoline_kernelINS0_14default_configENS1_22reduce_config_selectorIN6thrust23THRUST_200600_302600_NS5tupleIblNS6_9null_typeES8_S8_S8_S8_S8_S8_S8_EEEEZNS1_11reduce_implILb1ES3_NS6_12zip_iteratorINS7_INS6_11hip_rocprim26transform_input_iterator_tIbPdNS6_6detail10functional5actorINSH_9compositeIJNSH_27transparent_binary_operatorINS6_8equal_toIvEEEENSI_INSH_8argumentILj0EEEEENSH_5valueIdEEEEEEEEENSD_19counting_iterator_tIlEES8_S8_S8_S8_S8_S8_S8_S8_EEEEPS9_S9_NSD_9__find_if7functorIS9_EEEE10hipError_tPvRmT1_T2_T3_mT4_P12ihipStream_tbEUlT_E1_NS1_11comp_targetILNS1_3genE10ELNS1_11target_archE1200ELNS1_3gpuE4ELNS1_3repE0EEENS1_30default_config_static_selectorELNS0_4arch9wavefront6targetE1EEEvS17_,comdat
	.protected	_ZN7rocprim17ROCPRIM_400000_NS6detail17trampoline_kernelINS0_14default_configENS1_22reduce_config_selectorIN6thrust23THRUST_200600_302600_NS5tupleIblNS6_9null_typeES8_S8_S8_S8_S8_S8_S8_EEEEZNS1_11reduce_implILb1ES3_NS6_12zip_iteratorINS7_INS6_11hip_rocprim26transform_input_iterator_tIbPdNS6_6detail10functional5actorINSH_9compositeIJNSH_27transparent_binary_operatorINS6_8equal_toIvEEEENSI_INSH_8argumentILj0EEEEENSH_5valueIdEEEEEEEEENSD_19counting_iterator_tIlEES8_S8_S8_S8_S8_S8_S8_S8_EEEEPS9_S9_NSD_9__find_if7functorIS9_EEEE10hipError_tPvRmT1_T2_T3_mT4_P12ihipStream_tbEUlT_E1_NS1_11comp_targetILNS1_3genE10ELNS1_11target_archE1200ELNS1_3gpuE4ELNS1_3repE0EEENS1_30default_config_static_selectorELNS0_4arch9wavefront6targetE1EEEvS17_ ; -- Begin function _ZN7rocprim17ROCPRIM_400000_NS6detail17trampoline_kernelINS0_14default_configENS1_22reduce_config_selectorIN6thrust23THRUST_200600_302600_NS5tupleIblNS6_9null_typeES8_S8_S8_S8_S8_S8_S8_EEEEZNS1_11reduce_implILb1ES3_NS6_12zip_iteratorINS7_INS6_11hip_rocprim26transform_input_iterator_tIbPdNS6_6detail10functional5actorINSH_9compositeIJNSH_27transparent_binary_operatorINS6_8equal_toIvEEEENSI_INSH_8argumentILj0EEEEENSH_5valueIdEEEEEEEEENSD_19counting_iterator_tIlEES8_S8_S8_S8_S8_S8_S8_S8_EEEEPS9_S9_NSD_9__find_if7functorIS9_EEEE10hipError_tPvRmT1_T2_T3_mT4_P12ihipStream_tbEUlT_E1_NS1_11comp_targetILNS1_3genE10ELNS1_11target_archE1200ELNS1_3gpuE4ELNS1_3repE0EEENS1_30default_config_static_selectorELNS0_4arch9wavefront6targetE1EEEvS17_
	.globl	_ZN7rocprim17ROCPRIM_400000_NS6detail17trampoline_kernelINS0_14default_configENS1_22reduce_config_selectorIN6thrust23THRUST_200600_302600_NS5tupleIblNS6_9null_typeES8_S8_S8_S8_S8_S8_S8_EEEEZNS1_11reduce_implILb1ES3_NS6_12zip_iteratorINS7_INS6_11hip_rocprim26transform_input_iterator_tIbPdNS6_6detail10functional5actorINSH_9compositeIJNSH_27transparent_binary_operatorINS6_8equal_toIvEEEENSI_INSH_8argumentILj0EEEEENSH_5valueIdEEEEEEEEENSD_19counting_iterator_tIlEES8_S8_S8_S8_S8_S8_S8_S8_EEEEPS9_S9_NSD_9__find_if7functorIS9_EEEE10hipError_tPvRmT1_T2_T3_mT4_P12ihipStream_tbEUlT_E1_NS1_11comp_targetILNS1_3genE10ELNS1_11target_archE1200ELNS1_3gpuE4ELNS1_3repE0EEENS1_30default_config_static_selectorELNS0_4arch9wavefront6targetE1EEEvS17_
	.p2align	8
	.type	_ZN7rocprim17ROCPRIM_400000_NS6detail17trampoline_kernelINS0_14default_configENS1_22reduce_config_selectorIN6thrust23THRUST_200600_302600_NS5tupleIblNS6_9null_typeES8_S8_S8_S8_S8_S8_S8_EEEEZNS1_11reduce_implILb1ES3_NS6_12zip_iteratorINS7_INS6_11hip_rocprim26transform_input_iterator_tIbPdNS6_6detail10functional5actorINSH_9compositeIJNSH_27transparent_binary_operatorINS6_8equal_toIvEEEENSI_INSH_8argumentILj0EEEEENSH_5valueIdEEEEEEEEENSD_19counting_iterator_tIlEES8_S8_S8_S8_S8_S8_S8_S8_EEEEPS9_S9_NSD_9__find_if7functorIS9_EEEE10hipError_tPvRmT1_T2_T3_mT4_P12ihipStream_tbEUlT_E1_NS1_11comp_targetILNS1_3genE10ELNS1_11target_archE1200ELNS1_3gpuE4ELNS1_3repE0EEENS1_30default_config_static_selectorELNS0_4arch9wavefront6targetE1EEEvS17_,@function
_ZN7rocprim17ROCPRIM_400000_NS6detail17trampoline_kernelINS0_14default_configENS1_22reduce_config_selectorIN6thrust23THRUST_200600_302600_NS5tupleIblNS6_9null_typeES8_S8_S8_S8_S8_S8_S8_EEEEZNS1_11reduce_implILb1ES3_NS6_12zip_iteratorINS7_INS6_11hip_rocprim26transform_input_iterator_tIbPdNS6_6detail10functional5actorINSH_9compositeIJNSH_27transparent_binary_operatorINS6_8equal_toIvEEEENSI_INSH_8argumentILj0EEEEENSH_5valueIdEEEEEEEEENSD_19counting_iterator_tIlEES8_S8_S8_S8_S8_S8_S8_S8_EEEEPS9_S9_NSD_9__find_if7functorIS9_EEEE10hipError_tPvRmT1_T2_T3_mT4_P12ihipStream_tbEUlT_E1_NS1_11comp_targetILNS1_3genE10ELNS1_11target_archE1200ELNS1_3gpuE4ELNS1_3repE0EEENS1_30default_config_static_selectorELNS0_4arch9wavefront6targetE1EEEvS17_: ; @_ZN7rocprim17ROCPRIM_400000_NS6detail17trampoline_kernelINS0_14default_configENS1_22reduce_config_selectorIN6thrust23THRUST_200600_302600_NS5tupleIblNS6_9null_typeES8_S8_S8_S8_S8_S8_S8_EEEEZNS1_11reduce_implILb1ES3_NS6_12zip_iteratorINS7_INS6_11hip_rocprim26transform_input_iterator_tIbPdNS6_6detail10functional5actorINSH_9compositeIJNSH_27transparent_binary_operatorINS6_8equal_toIvEEEENSI_INSH_8argumentILj0EEEEENSH_5valueIdEEEEEEEEENSD_19counting_iterator_tIlEES8_S8_S8_S8_S8_S8_S8_S8_EEEEPS9_S9_NSD_9__find_if7functorIS9_EEEE10hipError_tPvRmT1_T2_T3_mT4_P12ihipStream_tbEUlT_E1_NS1_11comp_targetILNS1_3genE10ELNS1_11target_archE1200ELNS1_3gpuE4ELNS1_3repE0EEENS1_30default_config_static_selectorELNS0_4arch9wavefront6targetE1EEEvS17_
; %bb.0:
	.section	.rodata,"a",@progbits
	.p2align	6, 0x0
	.amdhsa_kernel _ZN7rocprim17ROCPRIM_400000_NS6detail17trampoline_kernelINS0_14default_configENS1_22reduce_config_selectorIN6thrust23THRUST_200600_302600_NS5tupleIblNS6_9null_typeES8_S8_S8_S8_S8_S8_S8_EEEEZNS1_11reduce_implILb1ES3_NS6_12zip_iteratorINS7_INS6_11hip_rocprim26transform_input_iterator_tIbPdNS6_6detail10functional5actorINSH_9compositeIJNSH_27transparent_binary_operatorINS6_8equal_toIvEEEENSI_INSH_8argumentILj0EEEEENSH_5valueIdEEEEEEEEENSD_19counting_iterator_tIlEES8_S8_S8_S8_S8_S8_S8_S8_EEEEPS9_S9_NSD_9__find_if7functorIS9_EEEE10hipError_tPvRmT1_T2_T3_mT4_P12ihipStream_tbEUlT_E1_NS1_11comp_targetILNS1_3genE10ELNS1_11target_archE1200ELNS1_3gpuE4ELNS1_3repE0EEENS1_30default_config_static_selectorELNS0_4arch9wavefront6targetE1EEEvS17_
		.amdhsa_group_segment_fixed_size 0
		.amdhsa_private_segment_fixed_size 0
		.amdhsa_kernarg_size 80
		.amdhsa_user_sgpr_count 6
		.amdhsa_user_sgpr_private_segment_buffer 1
		.amdhsa_user_sgpr_dispatch_ptr 0
		.amdhsa_user_sgpr_queue_ptr 0
		.amdhsa_user_sgpr_kernarg_segment_ptr 1
		.amdhsa_user_sgpr_dispatch_id 0
		.amdhsa_user_sgpr_flat_scratch_init 0
		.amdhsa_user_sgpr_kernarg_preload_length 0
		.amdhsa_user_sgpr_kernarg_preload_offset 0
		.amdhsa_user_sgpr_private_segment_size 0
		.amdhsa_uses_dynamic_stack 0
		.amdhsa_system_sgpr_private_segment_wavefront_offset 0
		.amdhsa_system_sgpr_workgroup_id_x 1
		.amdhsa_system_sgpr_workgroup_id_y 0
		.amdhsa_system_sgpr_workgroup_id_z 0
		.amdhsa_system_sgpr_workgroup_info 0
		.amdhsa_system_vgpr_workitem_id 0
		.amdhsa_next_free_vgpr 1
		.amdhsa_next_free_sgpr 0
		.amdhsa_accum_offset 4
		.amdhsa_reserve_vcc 0
		.amdhsa_reserve_flat_scratch 0
		.amdhsa_float_round_mode_32 0
		.amdhsa_float_round_mode_16_64 0
		.amdhsa_float_denorm_mode_32 3
		.amdhsa_float_denorm_mode_16_64 3
		.amdhsa_dx10_clamp 1
		.amdhsa_ieee_mode 1
		.amdhsa_fp16_overflow 0
		.amdhsa_tg_split 0
		.amdhsa_exception_fp_ieee_invalid_op 0
		.amdhsa_exception_fp_denorm_src 0
		.amdhsa_exception_fp_ieee_div_zero 0
		.amdhsa_exception_fp_ieee_overflow 0
		.amdhsa_exception_fp_ieee_underflow 0
		.amdhsa_exception_fp_ieee_inexact 0
		.amdhsa_exception_int_div_zero 0
	.end_amdhsa_kernel
	.section	.text._ZN7rocprim17ROCPRIM_400000_NS6detail17trampoline_kernelINS0_14default_configENS1_22reduce_config_selectorIN6thrust23THRUST_200600_302600_NS5tupleIblNS6_9null_typeES8_S8_S8_S8_S8_S8_S8_EEEEZNS1_11reduce_implILb1ES3_NS6_12zip_iteratorINS7_INS6_11hip_rocprim26transform_input_iterator_tIbPdNS6_6detail10functional5actorINSH_9compositeIJNSH_27transparent_binary_operatorINS6_8equal_toIvEEEENSI_INSH_8argumentILj0EEEEENSH_5valueIdEEEEEEEEENSD_19counting_iterator_tIlEES8_S8_S8_S8_S8_S8_S8_S8_EEEEPS9_S9_NSD_9__find_if7functorIS9_EEEE10hipError_tPvRmT1_T2_T3_mT4_P12ihipStream_tbEUlT_E1_NS1_11comp_targetILNS1_3genE10ELNS1_11target_archE1200ELNS1_3gpuE4ELNS1_3repE0EEENS1_30default_config_static_selectorELNS0_4arch9wavefront6targetE1EEEvS17_,"axG",@progbits,_ZN7rocprim17ROCPRIM_400000_NS6detail17trampoline_kernelINS0_14default_configENS1_22reduce_config_selectorIN6thrust23THRUST_200600_302600_NS5tupleIblNS6_9null_typeES8_S8_S8_S8_S8_S8_S8_EEEEZNS1_11reduce_implILb1ES3_NS6_12zip_iteratorINS7_INS6_11hip_rocprim26transform_input_iterator_tIbPdNS6_6detail10functional5actorINSH_9compositeIJNSH_27transparent_binary_operatorINS6_8equal_toIvEEEENSI_INSH_8argumentILj0EEEEENSH_5valueIdEEEEEEEEENSD_19counting_iterator_tIlEES8_S8_S8_S8_S8_S8_S8_S8_EEEEPS9_S9_NSD_9__find_if7functorIS9_EEEE10hipError_tPvRmT1_T2_T3_mT4_P12ihipStream_tbEUlT_E1_NS1_11comp_targetILNS1_3genE10ELNS1_11target_archE1200ELNS1_3gpuE4ELNS1_3repE0EEENS1_30default_config_static_selectorELNS0_4arch9wavefront6targetE1EEEvS17_,comdat
.Lfunc_end1739:
	.size	_ZN7rocprim17ROCPRIM_400000_NS6detail17trampoline_kernelINS0_14default_configENS1_22reduce_config_selectorIN6thrust23THRUST_200600_302600_NS5tupleIblNS6_9null_typeES8_S8_S8_S8_S8_S8_S8_EEEEZNS1_11reduce_implILb1ES3_NS6_12zip_iteratorINS7_INS6_11hip_rocprim26transform_input_iterator_tIbPdNS6_6detail10functional5actorINSH_9compositeIJNSH_27transparent_binary_operatorINS6_8equal_toIvEEEENSI_INSH_8argumentILj0EEEEENSH_5valueIdEEEEEEEEENSD_19counting_iterator_tIlEES8_S8_S8_S8_S8_S8_S8_S8_EEEEPS9_S9_NSD_9__find_if7functorIS9_EEEE10hipError_tPvRmT1_T2_T3_mT4_P12ihipStream_tbEUlT_E1_NS1_11comp_targetILNS1_3genE10ELNS1_11target_archE1200ELNS1_3gpuE4ELNS1_3repE0EEENS1_30default_config_static_selectorELNS0_4arch9wavefront6targetE1EEEvS17_, .Lfunc_end1739-_ZN7rocprim17ROCPRIM_400000_NS6detail17trampoline_kernelINS0_14default_configENS1_22reduce_config_selectorIN6thrust23THRUST_200600_302600_NS5tupleIblNS6_9null_typeES8_S8_S8_S8_S8_S8_S8_EEEEZNS1_11reduce_implILb1ES3_NS6_12zip_iteratorINS7_INS6_11hip_rocprim26transform_input_iterator_tIbPdNS6_6detail10functional5actorINSH_9compositeIJNSH_27transparent_binary_operatorINS6_8equal_toIvEEEENSI_INSH_8argumentILj0EEEEENSH_5valueIdEEEEEEEEENSD_19counting_iterator_tIlEES8_S8_S8_S8_S8_S8_S8_S8_EEEEPS9_S9_NSD_9__find_if7functorIS9_EEEE10hipError_tPvRmT1_T2_T3_mT4_P12ihipStream_tbEUlT_E1_NS1_11comp_targetILNS1_3genE10ELNS1_11target_archE1200ELNS1_3gpuE4ELNS1_3repE0EEENS1_30default_config_static_selectorELNS0_4arch9wavefront6targetE1EEEvS17_
                                        ; -- End function
	.section	.AMDGPU.csdata,"",@progbits
; Kernel info:
; codeLenInByte = 0
; NumSgprs: 4
; NumVgprs: 0
; NumAgprs: 0
; TotalNumVgprs: 0
; ScratchSize: 0
; MemoryBound: 0
; FloatMode: 240
; IeeeMode: 1
; LDSByteSize: 0 bytes/workgroup (compile time only)
; SGPRBlocks: 0
; VGPRBlocks: 0
; NumSGPRsForWavesPerEU: 4
; NumVGPRsForWavesPerEU: 1
; AccumOffset: 4
; Occupancy: 8
; WaveLimiterHint : 0
; COMPUTE_PGM_RSRC2:SCRATCH_EN: 0
; COMPUTE_PGM_RSRC2:USER_SGPR: 6
; COMPUTE_PGM_RSRC2:TRAP_HANDLER: 0
; COMPUTE_PGM_RSRC2:TGID_X_EN: 1
; COMPUTE_PGM_RSRC2:TGID_Y_EN: 0
; COMPUTE_PGM_RSRC2:TGID_Z_EN: 0
; COMPUTE_PGM_RSRC2:TIDIG_COMP_CNT: 0
; COMPUTE_PGM_RSRC3_GFX90A:ACCUM_OFFSET: 0
; COMPUTE_PGM_RSRC3_GFX90A:TG_SPLIT: 0
	.section	.text._ZN7rocprim17ROCPRIM_400000_NS6detail17trampoline_kernelINS0_14default_configENS1_22reduce_config_selectorIN6thrust23THRUST_200600_302600_NS5tupleIblNS6_9null_typeES8_S8_S8_S8_S8_S8_S8_EEEEZNS1_11reduce_implILb1ES3_NS6_12zip_iteratorINS7_INS6_11hip_rocprim26transform_input_iterator_tIbPdNS6_6detail10functional5actorINSH_9compositeIJNSH_27transparent_binary_operatorINS6_8equal_toIvEEEENSI_INSH_8argumentILj0EEEEENSH_5valueIdEEEEEEEEENSD_19counting_iterator_tIlEES8_S8_S8_S8_S8_S8_S8_S8_EEEEPS9_S9_NSD_9__find_if7functorIS9_EEEE10hipError_tPvRmT1_T2_T3_mT4_P12ihipStream_tbEUlT_E1_NS1_11comp_targetILNS1_3genE9ELNS1_11target_archE1100ELNS1_3gpuE3ELNS1_3repE0EEENS1_30default_config_static_selectorELNS0_4arch9wavefront6targetE1EEEvS17_,"axG",@progbits,_ZN7rocprim17ROCPRIM_400000_NS6detail17trampoline_kernelINS0_14default_configENS1_22reduce_config_selectorIN6thrust23THRUST_200600_302600_NS5tupleIblNS6_9null_typeES8_S8_S8_S8_S8_S8_S8_EEEEZNS1_11reduce_implILb1ES3_NS6_12zip_iteratorINS7_INS6_11hip_rocprim26transform_input_iterator_tIbPdNS6_6detail10functional5actorINSH_9compositeIJNSH_27transparent_binary_operatorINS6_8equal_toIvEEEENSI_INSH_8argumentILj0EEEEENSH_5valueIdEEEEEEEEENSD_19counting_iterator_tIlEES8_S8_S8_S8_S8_S8_S8_S8_EEEEPS9_S9_NSD_9__find_if7functorIS9_EEEE10hipError_tPvRmT1_T2_T3_mT4_P12ihipStream_tbEUlT_E1_NS1_11comp_targetILNS1_3genE9ELNS1_11target_archE1100ELNS1_3gpuE3ELNS1_3repE0EEENS1_30default_config_static_selectorELNS0_4arch9wavefront6targetE1EEEvS17_,comdat
	.protected	_ZN7rocprim17ROCPRIM_400000_NS6detail17trampoline_kernelINS0_14default_configENS1_22reduce_config_selectorIN6thrust23THRUST_200600_302600_NS5tupleIblNS6_9null_typeES8_S8_S8_S8_S8_S8_S8_EEEEZNS1_11reduce_implILb1ES3_NS6_12zip_iteratorINS7_INS6_11hip_rocprim26transform_input_iterator_tIbPdNS6_6detail10functional5actorINSH_9compositeIJNSH_27transparent_binary_operatorINS6_8equal_toIvEEEENSI_INSH_8argumentILj0EEEEENSH_5valueIdEEEEEEEEENSD_19counting_iterator_tIlEES8_S8_S8_S8_S8_S8_S8_S8_EEEEPS9_S9_NSD_9__find_if7functorIS9_EEEE10hipError_tPvRmT1_T2_T3_mT4_P12ihipStream_tbEUlT_E1_NS1_11comp_targetILNS1_3genE9ELNS1_11target_archE1100ELNS1_3gpuE3ELNS1_3repE0EEENS1_30default_config_static_selectorELNS0_4arch9wavefront6targetE1EEEvS17_ ; -- Begin function _ZN7rocprim17ROCPRIM_400000_NS6detail17trampoline_kernelINS0_14default_configENS1_22reduce_config_selectorIN6thrust23THRUST_200600_302600_NS5tupleIblNS6_9null_typeES8_S8_S8_S8_S8_S8_S8_EEEEZNS1_11reduce_implILb1ES3_NS6_12zip_iteratorINS7_INS6_11hip_rocprim26transform_input_iterator_tIbPdNS6_6detail10functional5actorINSH_9compositeIJNSH_27transparent_binary_operatorINS6_8equal_toIvEEEENSI_INSH_8argumentILj0EEEEENSH_5valueIdEEEEEEEEENSD_19counting_iterator_tIlEES8_S8_S8_S8_S8_S8_S8_S8_EEEEPS9_S9_NSD_9__find_if7functorIS9_EEEE10hipError_tPvRmT1_T2_T3_mT4_P12ihipStream_tbEUlT_E1_NS1_11comp_targetILNS1_3genE9ELNS1_11target_archE1100ELNS1_3gpuE3ELNS1_3repE0EEENS1_30default_config_static_selectorELNS0_4arch9wavefront6targetE1EEEvS17_
	.globl	_ZN7rocprim17ROCPRIM_400000_NS6detail17trampoline_kernelINS0_14default_configENS1_22reduce_config_selectorIN6thrust23THRUST_200600_302600_NS5tupleIblNS6_9null_typeES8_S8_S8_S8_S8_S8_S8_EEEEZNS1_11reduce_implILb1ES3_NS6_12zip_iteratorINS7_INS6_11hip_rocprim26transform_input_iterator_tIbPdNS6_6detail10functional5actorINSH_9compositeIJNSH_27transparent_binary_operatorINS6_8equal_toIvEEEENSI_INSH_8argumentILj0EEEEENSH_5valueIdEEEEEEEEENSD_19counting_iterator_tIlEES8_S8_S8_S8_S8_S8_S8_S8_EEEEPS9_S9_NSD_9__find_if7functorIS9_EEEE10hipError_tPvRmT1_T2_T3_mT4_P12ihipStream_tbEUlT_E1_NS1_11comp_targetILNS1_3genE9ELNS1_11target_archE1100ELNS1_3gpuE3ELNS1_3repE0EEENS1_30default_config_static_selectorELNS0_4arch9wavefront6targetE1EEEvS17_
	.p2align	8
	.type	_ZN7rocprim17ROCPRIM_400000_NS6detail17trampoline_kernelINS0_14default_configENS1_22reduce_config_selectorIN6thrust23THRUST_200600_302600_NS5tupleIblNS6_9null_typeES8_S8_S8_S8_S8_S8_S8_EEEEZNS1_11reduce_implILb1ES3_NS6_12zip_iteratorINS7_INS6_11hip_rocprim26transform_input_iterator_tIbPdNS6_6detail10functional5actorINSH_9compositeIJNSH_27transparent_binary_operatorINS6_8equal_toIvEEEENSI_INSH_8argumentILj0EEEEENSH_5valueIdEEEEEEEEENSD_19counting_iterator_tIlEES8_S8_S8_S8_S8_S8_S8_S8_EEEEPS9_S9_NSD_9__find_if7functorIS9_EEEE10hipError_tPvRmT1_T2_T3_mT4_P12ihipStream_tbEUlT_E1_NS1_11comp_targetILNS1_3genE9ELNS1_11target_archE1100ELNS1_3gpuE3ELNS1_3repE0EEENS1_30default_config_static_selectorELNS0_4arch9wavefront6targetE1EEEvS17_,@function
_ZN7rocprim17ROCPRIM_400000_NS6detail17trampoline_kernelINS0_14default_configENS1_22reduce_config_selectorIN6thrust23THRUST_200600_302600_NS5tupleIblNS6_9null_typeES8_S8_S8_S8_S8_S8_S8_EEEEZNS1_11reduce_implILb1ES3_NS6_12zip_iteratorINS7_INS6_11hip_rocprim26transform_input_iterator_tIbPdNS6_6detail10functional5actorINSH_9compositeIJNSH_27transparent_binary_operatorINS6_8equal_toIvEEEENSI_INSH_8argumentILj0EEEEENSH_5valueIdEEEEEEEEENSD_19counting_iterator_tIlEES8_S8_S8_S8_S8_S8_S8_S8_EEEEPS9_S9_NSD_9__find_if7functorIS9_EEEE10hipError_tPvRmT1_T2_T3_mT4_P12ihipStream_tbEUlT_E1_NS1_11comp_targetILNS1_3genE9ELNS1_11target_archE1100ELNS1_3gpuE3ELNS1_3repE0EEENS1_30default_config_static_selectorELNS0_4arch9wavefront6targetE1EEEvS17_: ; @_ZN7rocprim17ROCPRIM_400000_NS6detail17trampoline_kernelINS0_14default_configENS1_22reduce_config_selectorIN6thrust23THRUST_200600_302600_NS5tupleIblNS6_9null_typeES8_S8_S8_S8_S8_S8_S8_EEEEZNS1_11reduce_implILb1ES3_NS6_12zip_iteratorINS7_INS6_11hip_rocprim26transform_input_iterator_tIbPdNS6_6detail10functional5actorINSH_9compositeIJNSH_27transparent_binary_operatorINS6_8equal_toIvEEEENSI_INSH_8argumentILj0EEEEENSH_5valueIdEEEEEEEEENSD_19counting_iterator_tIlEES8_S8_S8_S8_S8_S8_S8_S8_EEEEPS9_S9_NSD_9__find_if7functorIS9_EEEE10hipError_tPvRmT1_T2_T3_mT4_P12ihipStream_tbEUlT_E1_NS1_11comp_targetILNS1_3genE9ELNS1_11target_archE1100ELNS1_3gpuE3ELNS1_3repE0EEENS1_30default_config_static_selectorELNS0_4arch9wavefront6targetE1EEEvS17_
; %bb.0:
	.section	.rodata,"a",@progbits
	.p2align	6, 0x0
	.amdhsa_kernel _ZN7rocprim17ROCPRIM_400000_NS6detail17trampoline_kernelINS0_14default_configENS1_22reduce_config_selectorIN6thrust23THRUST_200600_302600_NS5tupleIblNS6_9null_typeES8_S8_S8_S8_S8_S8_S8_EEEEZNS1_11reduce_implILb1ES3_NS6_12zip_iteratorINS7_INS6_11hip_rocprim26transform_input_iterator_tIbPdNS6_6detail10functional5actorINSH_9compositeIJNSH_27transparent_binary_operatorINS6_8equal_toIvEEEENSI_INSH_8argumentILj0EEEEENSH_5valueIdEEEEEEEEENSD_19counting_iterator_tIlEES8_S8_S8_S8_S8_S8_S8_S8_EEEEPS9_S9_NSD_9__find_if7functorIS9_EEEE10hipError_tPvRmT1_T2_T3_mT4_P12ihipStream_tbEUlT_E1_NS1_11comp_targetILNS1_3genE9ELNS1_11target_archE1100ELNS1_3gpuE3ELNS1_3repE0EEENS1_30default_config_static_selectorELNS0_4arch9wavefront6targetE1EEEvS17_
		.amdhsa_group_segment_fixed_size 0
		.amdhsa_private_segment_fixed_size 0
		.amdhsa_kernarg_size 80
		.amdhsa_user_sgpr_count 6
		.amdhsa_user_sgpr_private_segment_buffer 1
		.amdhsa_user_sgpr_dispatch_ptr 0
		.amdhsa_user_sgpr_queue_ptr 0
		.amdhsa_user_sgpr_kernarg_segment_ptr 1
		.amdhsa_user_sgpr_dispatch_id 0
		.amdhsa_user_sgpr_flat_scratch_init 0
		.amdhsa_user_sgpr_kernarg_preload_length 0
		.amdhsa_user_sgpr_kernarg_preload_offset 0
		.amdhsa_user_sgpr_private_segment_size 0
		.amdhsa_uses_dynamic_stack 0
		.amdhsa_system_sgpr_private_segment_wavefront_offset 0
		.amdhsa_system_sgpr_workgroup_id_x 1
		.amdhsa_system_sgpr_workgroup_id_y 0
		.amdhsa_system_sgpr_workgroup_id_z 0
		.amdhsa_system_sgpr_workgroup_info 0
		.amdhsa_system_vgpr_workitem_id 0
		.amdhsa_next_free_vgpr 1
		.amdhsa_next_free_sgpr 0
		.amdhsa_accum_offset 4
		.amdhsa_reserve_vcc 0
		.amdhsa_reserve_flat_scratch 0
		.amdhsa_float_round_mode_32 0
		.amdhsa_float_round_mode_16_64 0
		.amdhsa_float_denorm_mode_32 3
		.amdhsa_float_denorm_mode_16_64 3
		.amdhsa_dx10_clamp 1
		.amdhsa_ieee_mode 1
		.amdhsa_fp16_overflow 0
		.amdhsa_tg_split 0
		.amdhsa_exception_fp_ieee_invalid_op 0
		.amdhsa_exception_fp_denorm_src 0
		.amdhsa_exception_fp_ieee_div_zero 0
		.amdhsa_exception_fp_ieee_overflow 0
		.amdhsa_exception_fp_ieee_underflow 0
		.amdhsa_exception_fp_ieee_inexact 0
		.amdhsa_exception_int_div_zero 0
	.end_amdhsa_kernel
	.section	.text._ZN7rocprim17ROCPRIM_400000_NS6detail17trampoline_kernelINS0_14default_configENS1_22reduce_config_selectorIN6thrust23THRUST_200600_302600_NS5tupleIblNS6_9null_typeES8_S8_S8_S8_S8_S8_S8_EEEEZNS1_11reduce_implILb1ES3_NS6_12zip_iteratorINS7_INS6_11hip_rocprim26transform_input_iterator_tIbPdNS6_6detail10functional5actorINSH_9compositeIJNSH_27transparent_binary_operatorINS6_8equal_toIvEEEENSI_INSH_8argumentILj0EEEEENSH_5valueIdEEEEEEEEENSD_19counting_iterator_tIlEES8_S8_S8_S8_S8_S8_S8_S8_EEEEPS9_S9_NSD_9__find_if7functorIS9_EEEE10hipError_tPvRmT1_T2_T3_mT4_P12ihipStream_tbEUlT_E1_NS1_11comp_targetILNS1_3genE9ELNS1_11target_archE1100ELNS1_3gpuE3ELNS1_3repE0EEENS1_30default_config_static_selectorELNS0_4arch9wavefront6targetE1EEEvS17_,"axG",@progbits,_ZN7rocprim17ROCPRIM_400000_NS6detail17trampoline_kernelINS0_14default_configENS1_22reduce_config_selectorIN6thrust23THRUST_200600_302600_NS5tupleIblNS6_9null_typeES8_S8_S8_S8_S8_S8_S8_EEEEZNS1_11reduce_implILb1ES3_NS6_12zip_iteratorINS7_INS6_11hip_rocprim26transform_input_iterator_tIbPdNS6_6detail10functional5actorINSH_9compositeIJNSH_27transparent_binary_operatorINS6_8equal_toIvEEEENSI_INSH_8argumentILj0EEEEENSH_5valueIdEEEEEEEEENSD_19counting_iterator_tIlEES8_S8_S8_S8_S8_S8_S8_S8_EEEEPS9_S9_NSD_9__find_if7functorIS9_EEEE10hipError_tPvRmT1_T2_T3_mT4_P12ihipStream_tbEUlT_E1_NS1_11comp_targetILNS1_3genE9ELNS1_11target_archE1100ELNS1_3gpuE3ELNS1_3repE0EEENS1_30default_config_static_selectorELNS0_4arch9wavefront6targetE1EEEvS17_,comdat
.Lfunc_end1740:
	.size	_ZN7rocprim17ROCPRIM_400000_NS6detail17trampoline_kernelINS0_14default_configENS1_22reduce_config_selectorIN6thrust23THRUST_200600_302600_NS5tupleIblNS6_9null_typeES8_S8_S8_S8_S8_S8_S8_EEEEZNS1_11reduce_implILb1ES3_NS6_12zip_iteratorINS7_INS6_11hip_rocprim26transform_input_iterator_tIbPdNS6_6detail10functional5actorINSH_9compositeIJNSH_27transparent_binary_operatorINS6_8equal_toIvEEEENSI_INSH_8argumentILj0EEEEENSH_5valueIdEEEEEEEEENSD_19counting_iterator_tIlEES8_S8_S8_S8_S8_S8_S8_S8_EEEEPS9_S9_NSD_9__find_if7functorIS9_EEEE10hipError_tPvRmT1_T2_T3_mT4_P12ihipStream_tbEUlT_E1_NS1_11comp_targetILNS1_3genE9ELNS1_11target_archE1100ELNS1_3gpuE3ELNS1_3repE0EEENS1_30default_config_static_selectorELNS0_4arch9wavefront6targetE1EEEvS17_, .Lfunc_end1740-_ZN7rocprim17ROCPRIM_400000_NS6detail17trampoline_kernelINS0_14default_configENS1_22reduce_config_selectorIN6thrust23THRUST_200600_302600_NS5tupleIblNS6_9null_typeES8_S8_S8_S8_S8_S8_S8_EEEEZNS1_11reduce_implILb1ES3_NS6_12zip_iteratorINS7_INS6_11hip_rocprim26transform_input_iterator_tIbPdNS6_6detail10functional5actorINSH_9compositeIJNSH_27transparent_binary_operatorINS6_8equal_toIvEEEENSI_INSH_8argumentILj0EEEEENSH_5valueIdEEEEEEEEENSD_19counting_iterator_tIlEES8_S8_S8_S8_S8_S8_S8_S8_EEEEPS9_S9_NSD_9__find_if7functorIS9_EEEE10hipError_tPvRmT1_T2_T3_mT4_P12ihipStream_tbEUlT_E1_NS1_11comp_targetILNS1_3genE9ELNS1_11target_archE1100ELNS1_3gpuE3ELNS1_3repE0EEENS1_30default_config_static_selectorELNS0_4arch9wavefront6targetE1EEEvS17_
                                        ; -- End function
	.section	.AMDGPU.csdata,"",@progbits
; Kernel info:
; codeLenInByte = 0
; NumSgprs: 4
; NumVgprs: 0
; NumAgprs: 0
; TotalNumVgprs: 0
; ScratchSize: 0
; MemoryBound: 0
; FloatMode: 240
; IeeeMode: 1
; LDSByteSize: 0 bytes/workgroup (compile time only)
; SGPRBlocks: 0
; VGPRBlocks: 0
; NumSGPRsForWavesPerEU: 4
; NumVGPRsForWavesPerEU: 1
; AccumOffset: 4
; Occupancy: 8
; WaveLimiterHint : 0
; COMPUTE_PGM_RSRC2:SCRATCH_EN: 0
; COMPUTE_PGM_RSRC2:USER_SGPR: 6
; COMPUTE_PGM_RSRC2:TRAP_HANDLER: 0
; COMPUTE_PGM_RSRC2:TGID_X_EN: 1
; COMPUTE_PGM_RSRC2:TGID_Y_EN: 0
; COMPUTE_PGM_RSRC2:TGID_Z_EN: 0
; COMPUTE_PGM_RSRC2:TIDIG_COMP_CNT: 0
; COMPUTE_PGM_RSRC3_GFX90A:ACCUM_OFFSET: 0
; COMPUTE_PGM_RSRC3_GFX90A:TG_SPLIT: 0
	.section	.text._ZN7rocprim17ROCPRIM_400000_NS6detail17trampoline_kernelINS0_14default_configENS1_22reduce_config_selectorIN6thrust23THRUST_200600_302600_NS5tupleIblNS6_9null_typeES8_S8_S8_S8_S8_S8_S8_EEEEZNS1_11reduce_implILb1ES3_NS6_12zip_iteratorINS7_INS6_11hip_rocprim26transform_input_iterator_tIbPdNS6_6detail10functional5actorINSH_9compositeIJNSH_27transparent_binary_operatorINS6_8equal_toIvEEEENSI_INSH_8argumentILj0EEEEENSH_5valueIdEEEEEEEEENSD_19counting_iterator_tIlEES8_S8_S8_S8_S8_S8_S8_S8_EEEEPS9_S9_NSD_9__find_if7functorIS9_EEEE10hipError_tPvRmT1_T2_T3_mT4_P12ihipStream_tbEUlT_E1_NS1_11comp_targetILNS1_3genE8ELNS1_11target_archE1030ELNS1_3gpuE2ELNS1_3repE0EEENS1_30default_config_static_selectorELNS0_4arch9wavefront6targetE1EEEvS17_,"axG",@progbits,_ZN7rocprim17ROCPRIM_400000_NS6detail17trampoline_kernelINS0_14default_configENS1_22reduce_config_selectorIN6thrust23THRUST_200600_302600_NS5tupleIblNS6_9null_typeES8_S8_S8_S8_S8_S8_S8_EEEEZNS1_11reduce_implILb1ES3_NS6_12zip_iteratorINS7_INS6_11hip_rocprim26transform_input_iterator_tIbPdNS6_6detail10functional5actorINSH_9compositeIJNSH_27transparent_binary_operatorINS6_8equal_toIvEEEENSI_INSH_8argumentILj0EEEEENSH_5valueIdEEEEEEEEENSD_19counting_iterator_tIlEES8_S8_S8_S8_S8_S8_S8_S8_EEEEPS9_S9_NSD_9__find_if7functorIS9_EEEE10hipError_tPvRmT1_T2_T3_mT4_P12ihipStream_tbEUlT_E1_NS1_11comp_targetILNS1_3genE8ELNS1_11target_archE1030ELNS1_3gpuE2ELNS1_3repE0EEENS1_30default_config_static_selectorELNS0_4arch9wavefront6targetE1EEEvS17_,comdat
	.protected	_ZN7rocprim17ROCPRIM_400000_NS6detail17trampoline_kernelINS0_14default_configENS1_22reduce_config_selectorIN6thrust23THRUST_200600_302600_NS5tupleIblNS6_9null_typeES8_S8_S8_S8_S8_S8_S8_EEEEZNS1_11reduce_implILb1ES3_NS6_12zip_iteratorINS7_INS6_11hip_rocprim26transform_input_iterator_tIbPdNS6_6detail10functional5actorINSH_9compositeIJNSH_27transparent_binary_operatorINS6_8equal_toIvEEEENSI_INSH_8argumentILj0EEEEENSH_5valueIdEEEEEEEEENSD_19counting_iterator_tIlEES8_S8_S8_S8_S8_S8_S8_S8_EEEEPS9_S9_NSD_9__find_if7functorIS9_EEEE10hipError_tPvRmT1_T2_T3_mT4_P12ihipStream_tbEUlT_E1_NS1_11comp_targetILNS1_3genE8ELNS1_11target_archE1030ELNS1_3gpuE2ELNS1_3repE0EEENS1_30default_config_static_selectorELNS0_4arch9wavefront6targetE1EEEvS17_ ; -- Begin function _ZN7rocprim17ROCPRIM_400000_NS6detail17trampoline_kernelINS0_14default_configENS1_22reduce_config_selectorIN6thrust23THRUST_200600_302600_NS5tupleIblNS6_9null_typeES8_S8_S8_S8_S8_S8_S8_EEEEZNS1_11reduce_implILb1ES3_NS6_12zip_iteratorINS7_INS6_11hip_rocprim26transform_input_iterator_tIbPdNS6_6detail10functional5actorINSH_9compositeIJNSH_27transparent_binary_operatorINS6_8equal_toIvEEEENSI_INSH_8argumentILj0EEEEENSH_5valueIdEEEEEEEEENSD_19counting_iterator_tIlEES8_S8_S8_S8_S8_S8_S8_S8_EEEEPS9_S9_NSD_9__find_if7functorIS9_EEEE10hipError_tPvRmT1_T2_T3_mT4_P12ihipStream_tbEUlT_E1_NS1_11comp_targetILNS1_3genE8ELNS1_11target_archE1030ELNS1_3gpuE2ELNS1_3repE0EEENS1_30default_config_static_selectorELNS0_4arch9wavefront6targetE1EEEvS17_
	.globl	_ZN7rocprim17ROCPRIM_400000_NS6detail17trampoline_kernelINS0_14default_configENS1_22reduce_config_selectorIN6thrust23THRUST_200600_302600_NS5tupleIblNS6_9null_typeES8_S8_S8_S8_S8_S8_S8_EEEEZNS1_11reduce_implILb1ES3_NS6_12zip_iteratorINS7_INS6_11hip_rocprim26transform_input_iterator_tIbPdNS6_6detail10functional5actorINSH_9compositeIJNSH_27transparent_binary_operatorINS6_8equal_toIvEEEENSI_INSH_8argumentILj0EEEEENSH_5valueIdEEEEEEEEENSD_19counting_iterator_tIlEES8_S8_S8_S8_S8_S8_S8_S8_EEEEPS9_S9_NSD_9__find_if7functorIS9_EEEE10hipError_tPvRmT1_T2_T3_mT4_P12ihipStream_tbEUlT_E1_NS1_11comp_targetILNS1_3genE8ELNS1_11target_archE1030ELNS1_3gpuE2ELNS1_3repE0EEENS1_30default_config_static_selectorELNS0_4arch9wavefront6targetE1EEEvS17_
	.p2align	8
	.type	_ZN7rocprim17ROCPRIM_400000_NS6detail17trampoline_kernelINS0_14default_configENS1_22reduce_config_selectorIN6thrust23THRUST_200600_302600_NS5tupleIblNS6_9null_typeES8_S8_S8_S8_S8_S8_S8_EEEEZNS1_11reduce_implILb1ES3_NS6_12zip_iteratorINS7_INS6_11hip_rocprim26transform_input_iterator_tIbPdNS6_6detail10functional5actorINSH_9compositeIJNSH_27transparent_binary_operatorINS6_8equal_toIvEEEENSI_INSH_8argumentILj0EEEEENSH_5valueIdEEEEEEEEENSD_19counting_iterator_tIlEES8_S8_S8_S8_S8_S8_S8_S8_EEEEPS9_S9_NSD_9__find_if7functorIS9_EEEE10hipError_tPvRmT1_T2_T3_mT4_P12ihipStream_tbEUlT_E1_NS1_11comp_targetILNS1_3genE8ELNS1_11target_archE1030ELNS1_3gpuE2ELNS1_3repE0EEENS1_30default_config_static_selectorELNS0_4arch9wavefront6targetE1EEEvS17_,@function
_ZN7rocprim17ROCPRIM_400000_NS6detail17trampoline_kernelINS0_14default_configENS1_22reduce_config_selectorIN6thrust23THRUST_200600_302600_NS5tupleIblNS6_9null_typeES8_S8_S8_S8_S8_S8_S8_EEEEZNS1_11reduce_implILb1ES3_NS6_12zip_iteratorINS7_INS6_11hip_rocprim26transform_input_iterator_tIbPdNS6_6detail10functional5actorINSH_9compositeIJNSH_27transparent_binary_operatorINS6_8equal_toIvEEEENSI_INSH_8argumentILj0EEEEENSH_5valueIdEEEEEEEEENSD_19counting_iterator_tIlEES8_S8_S8_S8_S8_S8_S8_S8_EEEEPS9_S9_NSD_9__find_if7functorIS9_EEEE10hipError_tPvRmT1_T2_T3_mT4_P12ihipStream_tbEUlT_E1_NS1_11comp_targetILNS1_3genE8ELNS1_11target_archE1030ELNS1_3gpuE2ELNS1_3repE0EEENS1_30default_config_static_selectorELNS0_4arch9wavefront6targetE1EEEvS17_: ; @_ZN7rocprim17ROCPRIM_400000_NS6detail17trampoline_kernelINS0_14default_configENS1_22reduce_config_selectorIN6thrust23THRUST_200600_302600_NS5tupleIblNS6_9null_typeES8_S8_S8_S8_S8_S8_S8_EEEEZNS1_11reduce_implILb1ES3_NS6_12zip_iteratorINS7_INS6_11hip_rocprim26transform_input_iterator_tIbPdNS6_6detail10functional5actorINSH_9compositeIJNSH_27transparent_binary_operatorINS6_8equal_toIvEEEENSI_INSH_8argumentILj0EEEEENSH_5valueIdEEEEEEEEENSD_19counting_iterator_tIlEES8_S8_S8_S8_S8_S8_S8_S8_EEEEPS9_S9_NSD_9__find_if7functorIS9_EEEE10hipError_tPvRmT1_T2_T3_mT4_P12ihipStream_tbEUlT_E1_NS1_11comp_targetILNS1_3genE8ELNS1_11target_archE1030ELNS1_3gpuE2ELNS1_3repE0EEENS1_30default_config_static_selectorELNS0_4arch9wavefront6targetE1EEEvS17_
; %bb.0:
	.section	.rodata,"a",@progbits
	.p2align	6, 0x0
	.amdhsa_kernel _ZN7rocprim17ROCPRIM_400000_NS6detail17trampoline_kernelINS0_14default_configENS1_22reduce_config_selectorIN6thrust23THRUST_200600_302600_NS5tupleIblNS6_9null_typeES8_S8_S8_S8_S8_S8_S8_EEEEZNS1_11reduce_implILb1ES3_NS6_12zip_iteratorINS7_INS6_11hip_rocprim26transform_input_iterator_tIbPdNS6_6detail10functional5actorINSH_9compositeIJNSH_27transparent_binary_operatorINS6_8equal_toIvEEEENSI_INSH_8argumentILj0EEEEENSH_5valueIdEEEEEEEEENSD_19counting_iterator_tIlEES8_S8_S8_S8_S8_S8_S8_S8_EEEEPS9_S9_NSD_9__find_if7functorIS9_EEEE10hipError_tPvRmT1_T2_T3_mT4_P12ihipStream_tbEUlT_E1_NS1_11comp_targetILNS1_3genE8ELNS1_11target_archE1030ELNS1_3gpuE2ELNS1_3repE0EEENS1_30default_config_static_selectorELNS0_4arch9wavefront6targetE1EEEvS17_
		.amdhsa_group_segment_fixed_size 0
		.amdhsa_private_segment_fixed_size 0
		.amdhsa_kernarg_size 80
		.amdhsa_user_sgpr_count 6
		.amdhsa_user_sgpr_private_segment_buffer 1
		.amdhsa_user_sgpr_dispatch_ptr 0
		.amdhsa_user_sgpr_queue_ptr 0
		.amdhsa_user_sgpr_kernarg_segment_ptr 1
		.amdhsa_user_sgpr_dispatch_id 0
		.amdhsa_user_sgpr_flat_scratch_init 0
		.amdhsa_user_sgpr_kernarg_preload_length 0
		.amdhsa_user_sgpr_kernarg_preload_offset 0
		.amdhsa_user_sgpr_private_segment_size 0
		.amdhsa_uses_dynamic_stack 0
		.amdhsa_system_sgpr_private_segment_wavefront_offset 0
		.amdhsa_system_sgpr_workgroup_id_x 1
		.amdhsa_system_sgpr_workgroup_id_y 0
		.amdhsa_system_sgpr_workgroup_id_z 0
		.amdhsa_system_sgpr_workgroup_info 0
		.amdhsa_system_vgpr_workitem_id 0
		.amdhsa_next_free_vgpr 1
		.amdhsa_next_free_sgpr 0
		.amdhsa_accum_offset 4
		.amdhsa_reserve_vcc 0
		.amdhsa_reserve_flat_scratch 0
		.amdhsa_float_round_mode_32 0
		.amdhsa_float_round_mode_16_64 0
		.amdhsa_float_denorm_mode_32 3
		.amdhsa_float_denorm_mode_16_64 3
		.amdhsa_dx10_clamp 1
		.amdhsa_ieee_mode 1
		.amdhsa_fp16_overflow 0
		.amdhsa_tg_split 0
		.amdhsa_exception_fp_ieee_invalid_op 0
		.amdhsa_exception_fp_denorm_src 0
		.amdhsa_exception_fp_ieee_div_zero 0
		.amdhsa_exception_fp_ieee_overflow 0
		.amdhsa_exception_fp_ieee_underflow 0
		.amdhsa_exception_fp_ieee_inexact 0
		.amdhsa_exception_int_div_zero 0
	.end_amdhsa_kernel
	.section	.text._ZN7rocprim17ROCPRIM_400000_NS6detail17trampoline_kernelINS0_14default_configENS1_22reduce_config_selectorIN6thrust23THRUST_200600_302600_NS5tupleIblNS6_9null_typeES8_S8_S8_S8_S8_S8_S8_EEEEZNS1_11reduce_implILb1ES3_NS6_12zip_iteratorINS7_INS6_11hip_rocprim26transform_input_iterator_tIbPdNS6_6detail10functional5actorINSH_9compositeIJNSH_27transparent_binary_operatorINS6_8equal_toIvEEEENSI_INSH_8argumentILj0EEEEENSH_5valueIdEEEEEEEEENSD_19counting_iterator_tIlEES8_S8_S8_S8_S8_S8_S8_S8_EEEEPS9_S9_NSD_9__find_if7functorIS9_EEEE10hipError_tPvRmT1_T2_T3_mT4_P12ihipStream_tbEUlT_E1_NS1_11comp_targetILNS1_3genE8ELNS1_11target_archE1030ELNS1_3gpuE2ELNS1_3repE0EEENS1_30default_config_static_selectorELNS0_4arch9wavefront6targetE1EEEvS17_,"axG",@progbits,_ZN7rocprim17ROCPRIM_400000_NS6detail17trampoline_kernelINS0_14default_configENS1_22reduce_config_selectorIN6thrust23THRUST_200600_302600_NS5tupleIblNS6_9null_typeES8_S8_S8_S8_S8_S8_S8_EEEEZNS1_11reduce_implILb1ES3_NS6_12zip_iteratorINS7_INS6_11hip_rocprim26transform_input_iterator_tIbPdNS6_6detail10functional5actorINSH_9compositeIJNSH_27transparent_binary_operatorINS6_8equal_toIvEEEENSI_INSH_8argumentILj0EEEEENSH_5valueIdEEEEEEEEENSD_19counting_iterator_tIlEES8_S8_S8_S8_S8_S8_S8_S8_EEEEPS9_S9_NSD_9__find_if7functorIS9_EEEE10hipError_tPvRmT1_T2_T3_mT4_P12ihipStream_tbEUlT_E1_NS1_11comp_targetILNS1_3genE8ELNS1_11target_archE1030ELNS1_3gpuE2ELNS1_3repE0EEENS1_30default_config_static_selectorELNS0_4arch9wavefront6targetE1EEEvS17_,comdat
.Lfunc_end1741:
	.size	_ZN7rocprim17ROCPRIM_400000_NS6detail17trampoline_kernelINS0_14default_configENS1_22reduce_config_selectorIN6thrust23THRUST_200600_302600_NS5tupleIblNS6_9null_typeES8_S8_S8_S8_S8_S8_S8_EEEEZNS1_11reduce_implILb1ES3_NS6_12zip_iteratorINS7_INS6_11hip_rocprim26transform_input_iterator_tIbPdNS6_6detail10functional5actorINSH_9compositeIJNSH_27transparent_binary_operatorINS6_8equal_toIvEEEENSI_INSH_8argumentILj0EEEEENSH_5valueIdEEEEEEEEENSD_19counting_iterator_tIlEES8_S8_S8_S8_S8_S8_S8_S8_EEEEPS9_S9_NSD_9__find_if7functorIS9_EEEE10hipError_tPvRmT1_T2_T3_mT4_P12ihipStream_tbEUlT_E1_NS1_11comp_targetILNS1_3genE8ELNS1_11target_archE1030ELNS1_3gpuE2ELNS1_3repE0EEENS1_30default_config_static_selectorELNS0_4arch9wavefront6targetE1EEEvS17_, .Lfunc_end1741-_ZN7rocprim17ROCPRIM_400000_NS6detail17trampoline_kernelINS0_14default_configENS1_22reduce_config_selectorIN6thrust23THRUST_200600_302600_NS5tupleIblNS6_9null_typeES8_S8_S8_S8_S8_S8_S8_EEEEZNS1_11reduce_implILb1ES3_NS6_12zip_iteratorINS7_INS6_11hip_rocprim26transform_input_iterator_tIbPdNS6_6detail10functional5actorINSH_9compositeIJNSH_27transparent_binary_operatorINS6_8equal_toIvEEEENSI_INSH_8argumentILj0EEEEENSH_5valueIdEEEEEEEEENSD_19counting_iterator_tIlEES8_S8_S8_S8_S8_S8_S8_S8_EEEEPS9_S9_NSD_9__find_if7functorIS9_EEEE10hipError_tPvRmT1_T2_T3_mT4_P12ihipStream_tbEUlT_E1_NS1_11comp_targetILNS1_3genE8ELNS1_11target_archE1030ELNS1_3gpuE2ELNS1_3repE0EEENS1_30default_config_static_selectorELNS0_4arch9wavefront6targetE1EEEvS17_
                                        ; -- End function
	.section	.AMDGPU.csdata,"",@progbits
; Kernel info:
; codeLenInByte = 0
; NumSgprs: 4
; NumVgprs: 0
; NumAgprs: 0
; TotalNumVgprs: 0
; ScratchSize: 0
; MemoryBound: 0
; FloatMode: 240
; IeeeMode: 1
; LDSByteSize: 0 bytes/workgroup (compile time only)
; SGPRBlocks: 0
; VGPRBlocks: 0
; NumSGPRsForWavesPerEU: 4
; NumVGPRsForWavesPerEU: 1
; AccumOffset: 4
; Occupancy: 8
; WaveLimiterHint : 0
; COMPUTE_PGM_RSRC2:SCRATCH_EN: 0
; COMPUTE_PGM_RSRC2:USER_SGPR: 6
; COMPUTE_PGM_RSRC2:TRAP_HANDLER: 0
; COMPUTE_PGM_RSRC2:TGID_X_EN: 1
; COMPUTE_PGM_RSRC2:TGID_Y_EN: 0
; COMPUTE_PGM_RSRC2:TGID_Z_EN: 0
; COMPUTE_PGM_RSRC2:TIDIG_COMP_CNT: 0
; COMPUTE_PGM_RSRC3_GFX90A:ACCUM_OFFSET: 0
; COMPUTE_PGM_RSRC3_GFX90A:TG_SPLIT: 0
	.section	.text._ZN7rocprim17ROCPRIM_400000_NS6detail17trampoline_kernelINS0_13kernel_configILj256ELj4ELj4294967295EEENS1_37radix_sort_block_sort_config_selectorIflEEZNS1_21radix_sort_block_sortIS4_Lb0EPfS8_N6thrust23THRUST_200600_302600_NS10device_ptrIlEESC_NS0_19identity_decomposerEEE10hipError_tT1_T2_T3_T4_jRjT5_jjP12ihipStream_tbEUlT_E_NS1_11comp_targetILNS1_3genE0ELNS1_11target_archE4294967295ELNS1_3gpuE0ELNS1_3repE0EEENS1_44radix_sort_block_sort_config_static_selectorELNS0_4arch9wavefront6targetE1EEEvSF_,"axG",@progbits,_ZN7rocprim17ROCPRIM_400000_NS6detail17trampoline_kernelINS0_13kernel_configILj256ELj4ELj4294967295EEENS1_37radix_sort_block_sort_config_selectorIflEEZNS1_21radix_sort_block_sortIS4_Lb0EPfS8_N6thrust23THRUST_200600_302600_NS10device_ptrIlEESC_NS0_19identity_decomposerEEE10hipError_tT1_T2_T3_T4_jRjT5_jjP12ihipStream_tbEUlT_E_NS1_11comp_targetILNS1_3genE0ELNS1_11target_archE4294967295ELNS1_3gpuE0ELNS1_3repE0EEENS1_44radix_sort_block_sort_config_static_selectorELNS0_4arch9wavefront6targetE1EEEvSF_,comdat
	.protected	_ZN7rocprim17ROCPRIM_400000_NS6detail17trampoline_kernelINS0_13kernel_configILj256ELj4ELj4294967295EEENS1_37radix_sort_block_sort_config_selectorIflEEZNS1_21radix_sort_block_sortIS4_Lb0EPfS8_N6thrust23THRUST_200600_302600_NS10device_ptrIlEESC_NS0_19identity_decomposerEEE10hipError_tT1_T2_T3_T4_jRjT5_jjP12ihipStream_tbEUlT_E_NS1_11comp_targetILNS1_3genE0ELNS1_11target_archE4294967295ELNS1_3gpuE0ELNS1_3repE0EEENS1_44radix_sort_block_sort_config_static_selectorELNS0_4arch9wavefront6targetE1EEEvSF_ ; -- Begin function _ZN7rocprim17ROCPRIM_400000_NS6detail17trampoline_kernelINS0_13kernel_configILj256ELj4ELj4294967295EEENS1_37radix_sort_block_sort_config_selectorIflEEZNS1_21radix_sort_block_sortIS4_Lb0EPfS8_N6thrust23THRUST_200600_302600_NS10device_ptrIlEESC_NS0_19identity_decomposerEEE10hipError_tT1_T2_T3_T4_jRjT5_jjP12ihipStream_tbEUlT_E_NS1_11comp_targetILNS1_3genE0ELNS1_11target_archE4294967295ELNS1_3gpuE0ELNS1_3repE0EEENS1_44radix_sort_block_sort_config_static_selectorELNS0_4arch9wavefront6targetE1EEEvSF_
	.globl	_ZN7rocprim17ROCPRIM_400000_NS6detail17trampoline_kernelINS0_13kernel_configILj256ELj4ELj4294967295EEENS1_37radix_sort_block_sort_config_selectorIflEEZNS1_21radix_sort_block_sortIS4_Lb0EPfS8_N6thrust23THRUST_200600_302600_NS10device_ptrIlEESC_NS0_19identity_decomposerEEE10hipError_tT1_T2_T3_T4_jRjT5_jjP12ihipStream_tbEUlT_E_NS1_11comp_targetILNS1_3genE0ELNS1_11target_archE4294967295ELNS1_3gpuE0ELNS1_3repE0EEENS1_44radix_sort_block_sort_config_static_selectorELNS0_4arch9wavefront6targetE1EEEvSF_
	.p2align	8
	.type	_ZN7rocprim17ROCPRIM_400000_NS6detail17trampoline_kernelINS0_13kernel_configILj256ELj4ELj4294967295EEENS1_37radix_sort_block_sort_config_selectorIflEEZNS1_21radix_sort_block_sortIS4_Lb0EPfS8_N6thrust23THRUST_200600_302600_NS10device_ptrIlEESC_NS0_19identity_decomposerEEE10hipError_tT1_T2_T3_T4_jRjT5_jjP12ihipStream_tbEUlT_E_NS1_11comp_targetILNS1_3genE0ELNS1_11target_archE4294967295ELNS1_3gpuE0ELNS1_3repE0EEENS1_44radix_sort_block_sort_config_static_selectorELNS0_4arch9wavefront6targetE1EEEvSF_,@function
_ZN7rocprim17ROCPRIM_400000_NS6detail17trampoline_kernelINS0_13kernel_configILj256ELj4ELj4294967295EEENS1_37radix_sort_block_sort_config_selectorIflEEZNS1_21radix_sort_block_sortIS4_Lb0EPfS8_N6thrust23THRUST_200600_302600_NS10device_ptrIlEESC_NS0_19identity_decomposerEEE10hipError_tT1_T2_T3_T4_jRjT5_jjP12ihipStream_tbEUlT_E_NS1_11comp_targetILNS1_3genE0ELNS1_11target_archE4294967295ELNS1_3gpuE0ELNS1_3repE0EEENS1_44radix_sort_block_sort_config_static_selectorELNS0_4arch9wavefront6targetE1EEEvSF_: ; @_ZN7rocprim17ROCPRIM_400000_NS6detail17trampoline_kernelINS0_13kernel_configILj256ELj4ELj4294967295EEENS1_37radix_sort_block_sort_config_selectorIflEEZNS1_21radix_sort_block_sortIS4_Lb0EPfS8_N6thrust23THRUST_200600_302600_NS10device_ptrIlEESC_NS0_19identity_decomposerEEE10hipError_tT1_T2_T3_T4_jRjT5_jjP12ihipStream_tbEUlT_E_NS1_11comp_targetILNS1_3genE0ELNS1_11target_archE4294967295ELNS1_3gpuE0ELNS1_3repE0EEENS1_44radix_sort_block_sort_config_static_selectorELNS0_4arch9wavefront6targetE1EEEvSF_
; %bb.0:
	.section	.rodata,"a",@progbits
	.p2align	6, 0x0
	.amdhsa_kernel _ZN7rocprim17ROCPRIM_400000_NS6detail17trampoline_kernelINS0_13kernel_configILj256ELj4ELj4294967295EEENS1_37radix_sort_block_sort_config_selectorIflEEZNS1_21radix_sort_block_sortIS4_Lb0EPfS8_N6thrust23THRUST_200600_302600_NS10device_ptrIlEESC_NS0_19identity_decomposerEEE10hipError_tT1_T2_T3_T4_jRjT5_jjP12ihipStream_tbEUlT_E_NS1_11comp_targetILNS1_3genE0ELNS1_11target_archE4294967295ELNS1_3gpuE0ELNS1_3repE0EEENS1_44radix_sort_block_sort_config_static_selectorELNS0_4arch9wavefront6targetE1EEEvSF_
		.amdhsa_group_segment_fixed_size 0
		.amdhsa_private_segment_fixed_size 0
		.amdhsa_kernarg_size 48
		.amdhsa_user_sgpr_count 6
		.amdhsa_user_sgpr_private_segment_buffer 1
		.amdhsa_user_sgpr_dispatch_ptr 0
		.amdhsa_user_sgpr_queue_ptr 0
		.amdhsa_user_sgpr_kernarg_segment_ptr 1
		.amdhsa_user_sgpr_dispatch_id 0
		.amdhsa_user_sgpr_flat_scratch_init 0
		.amdhsa_user_sgpr_kernarg_preload_length 0
		.amdhsa_user_sgpr_kernarg_preload_offset 0
		.amdhsa_user_sgpr_private_segment_size 0
		.amdhsa_uses_dynamic_stack 0
		.amdhsa_system_sgpr_private_segment_wavefront_offset 0
		.amdhsa_system_sgpr_workgroup_id_x 1
		.amdhsa_system_sgpr_workgroup_id_y 0
		.amdhsa_system_sgpr_workgroup_id_z 0
		.amdhsa_system_sgpr_workgroup_info 0
		.amdhsa_system_vgpr_workitem_id 0
		.amdhsa_next_free_vgpr 1
		.amdhsa_next_free_sgpr 0
		.amdhsa_accum_offset 4
		.amdhsa_reserve_vcc 0
		.amdhsa_reserve_flat_scratch 0
		.amdhsa_float_round_mode_32 0
		.amdhsa_float_round_mode_16_64 0
		.amdhsa_float_denorm_mode_32 3
		.amdhsa_float_denorm_mode_16_64 3
		.amdhsa_dx10_clamp 1
		.amdhsa_ieee_mode 1
		.amdhsa_fp16_overflow 0
		.amdhsa_tg_split 0
		.amdhsa_exception_fp_ieee_invalid_op 0
		.amdhsa_exception_fp_denorm_src 0
		.amdhsa_exception_fp_ieee_div_zero 0
		.amdhsa_exception_fp_ieee_overflow 0
		.amdhsa_exception_fp_ieee_underflow 0
		.amdhsa_exception_fp_ieee_inexact 0
		.amdhsa_exception_int_div_zero 0
	.end_amdhsa_kernel
	.section	.text._ZN7rocprim17ROCPRIM_400000_NS6detail17trampoline_kernelINS0_13kernel_configILj256ELj4ELj4294967295EEENS1_37radix_sort_block_sort_config_selectorIflEEZNS1_21radix_sort_block_sortIS4_Lb0EPfS8_N6thrust23THRUST_200600_302600_NS10device_ptrIlEESC_NS0_19identity_decomposerEEE10hipError_tT1_T2_T3_T4_jRjT5_jjP12ihipStream_tbEUlT_E_NS1_11comp_targetILNS1_3genE0ELNS1_11target_archE4294967295ELNS1_3gpuE0ELNS1_3repE0EEENS1_44radix_sort_block_sort_config_static_selectorELNS0_4arch9wavefront6targetE1EEEvSF_,"axG",@progbits,_ZN7rocprim17ROCPRIM_400000_NS6detail17trampoline_kernelINS0_13kernel_configILj256ELj4ELj4294967295EEENS1_37radix_sort_block_sort_config_selectorIflEEZNS1_21radix_sort_block_sortIS4_Lb0EPfS8_N6thrust23THRUST_200600_302600_NS10device_ptrIlEESC_NS0_19identity_decomposerEEE10hipError_tT1_T2_T3_T4_jRjT5_jjP12ihipStream_tbEUlT_E_NS1_11comp_targetILNS1_3genE0ELNS1_11target_archE4294967295ELNS1_3gpuE0ELNS1_3repE0EEENS1_44radix_sort_block_sort_config_static_selectorELNS0_4arch9wavefront6targetE1EEEvSF_,comdat
.Lfunc_end1742:
	.size	_ZN7rocprim17ROCPRIM_400000_NS6detail17trampoline_kernelINS0_13kernel_configILj256ELj4ELj4294967295EEENS1_37radix_sort_block_sort_config_selectorIflEEZNS1_21radix_sort_block_sortIS4_Lb0EPfS8_N6thrust23THRUST_200600_302600_NS10device_ptrIlEESC_NS0_19identity_decomposerEEE10hipError_tT1_T2_T3_T4_jRjT5_jjP12ihipStream_tbEUlT_E_NS1_11comp_targetILNS1_3genE0ELNS1_11target_archE4294967295ELNS1_3gpuE0ELNS1_3repE0EEENS1_44radix_sort_block_sort_config_static_selectorELNS0_4arch9wavefront6targetE1EEEvSF_, .Lfunc_end1742-_ZN7rocprim17ROCPRIM_400000_NS6detail17trampoline_kernelINS0_13kernel_configILj256ELj4ELj4294967295EEENS1_37radix_sort_block_sort_config_selectorIflEEZNS1_21radix_sort_block_sortIS4_Lb0EPfS8_N6thrust23THRUST_200600_302600_NS10device_ptrIlEESC_NS0_19identity_decomposerEEE10hipError_tT1_T2_T3_T4_jRjT5_jjP12ihipStream_tbEUlT_E_NS1_11comp_targetILNS1_3genE0ELNS1_11target_archE4294967295ELNS1_3gpuE0ELNS1_3repE0EEENS1_44radix_sort_block_sort_config_static_selectorELNS0_4arch9wavefront6targetE1EEEvSF_
                                        ; -- End function
	.section	.AMDGPU.csdata,"",@progbits
; Kernel info:
; codeLenInByte = 0
; NumSgprs: 4
; NumVgprs: 0
; NumAgprs: 0
; TotalNumVgprs: 0
; ScratchSize: 0
; MemoryBound: 0
; FloatMode: 240
; IeeeMode: 1
; LDSByteSize: 0 bytes/workgroup (compile time only)
; SGPRBlocks: 0
; VGPRBlocks: 0
; NumSGPRsForWavesPerEU: 4
; NumVGPRsForWavesPerEU: 1
; AccumOffset: 4
; Occupancy: 8
; WaveLimiterHint : 0
; COMPUTE_PGM_RSRC2:SCRATCH_EN: 0
; COMPUTE_PGM_RSRC2:USER_SGPR: 6
; COMPUTE_PGM_RSRC2:TRAP_HANDLER: 0
; COMPUTE_PGM_RSRC2:TGID_X_EN: 1
; COMPUTE_PGM_RSRC2:TGID_Y_EN: 0
; COMPUTE_PGM_RSRC2:TGID_Z_EN: 0
; COMPUTE_PGM_RSRC2:TIDIG_COMP_CNT: 0
; COMPUTE_PGM_RSRC3_GFX90A:ACCUM_OFFSET: 0
; COMPUTE_PGM_RSRC3_GFX90A:TG_SPLIT: 0
	.section	.text._ZN7rocprim17ROCPRIM_400000_NS6detail17trampoline_kernelINS0_13kernel_configILj256ELj4ELj4294967295EEENS1_37radix_sort_block_sort_config_selectorIflEEZNS1_21radix_sort_block_sortIS4_Lb0EPfS8_N6thrust23THRUST_200600_302600_NS10device_ptrIlEESC_NS0_19identity_decomposerEEE10hipError_tT1_T2_T3_T4_jRjT5_jjP12ihipStream_tbEUlT_E_NS1_11comp_targetILNS1_3genE5ELNS1_11target_archE942ELNS1_3gpuE9ELNS1_3repE0EEENS1_44radix_sort_block_sort_config_static_selectorELNS0_4arch9wavefront6targetE1EEEvSF_,"axG",@progbits,_ZN7rocprim17ROCPRIM_400000_NS6detail17trampoline_kernelINS0_13kernel_configILj256ELj4ELj4294967295EEENS1_37radix_sort_block_sort_config_selectorIflEEZNS1_21radix_sort_block_sortIS4_Lb0EPfS8_N6thrust23THRUST_200600_302600_NS10device_ptrIlEESC_NS0_19identity_decomposerEEE10hipError_tT1_T2_T3_T4_jRjT5_jjP12ihipStream_tbEUlT_E_NS1_11comp_targetILNS1_3genE5ELNS1_11target_archE942ELNS1_3gpuE9ELNS1_3repE0EEENS1_44radix_sort_block_sort_config_static_selectorELNS0_4arch9wavefront6targetE1EEEvSF_,comdat
	.protected	_ZN7rocprim17ROCPRIM_400000_NS6detail17trampoline_kernelINS0_13kernel_configILj256ELj4ELj4294967295EEENS1_37radix_sort_block_sort_config_selectorIflEEZNS1_21radix_sort_block_sortIS4_Lb0EPfS8_N6thrust23THRUST_200600_302600_NS10device_ptrIlEESC_NS0_19identity_decomposerEEE10hipError_tT1_T2_T3_T4_jRjT5_jjP12ihipStream_tbEUlT_E_NS1_11comp_targetILNS1_3genE5ELNS1_11target_archE942ELNS1_3gpuE9ELNS1_3repE0EEENS1_44radix_sort_block_sort_config_static_selectorELNS0_4arch9wavefront6targetE1EEEvSF_ ; -- Begin function _ZN7rocprim17ROCPRIM_400000_NS6detail17trampoline_kernelINS0_13kernel_configILj256ELj4ELj4294967295EEENS1_37radix_sort_block_sort_config_selectorIflEEZNS1_21radix_sort_block_sortIS4_Lb0EPfS8_N6thrust23THRUST_200600_302600_NS10device_ptrIlEESC_NS0_19identity_decomposerEEE10hipError_tT1_T2_T3_T4_jRjT5_jjP12ihipStream_tbEUlT_E_NS1_11comp_targetILNS1_3genE5ELNS1_11target_archE942ELNS1_3gpuE9ELNS1_3repE0EEENS1_44radix_sort_block_sort_config_static_selectorELNS0_4arch9wavefront6targetE1EEEvSF_
	.globl	_ZN7rocprim17ROCPRIM_400000_NS6detail17trampoline_kernelINS0_13kernel_configILj256ELj4ELj4294967295EEENS1_37radix_sort_block_sort_config_selectorIflEEZNS1_21radix_sort_block_sortIS4_Lb0EPfS8_N6thrust23THRUST_200600_302600_NS10device_ptrIlEESC_NS0_19identity_decomposerEEE10hipError_tT1_T2_T3_T4_jRjT5_jjP12ihipStream_tbEUlT_E_NS1_11comp_targetILNS1_3genE5ELNS1_11target_archE942ELNS1_3gpuE9ELNS1_3repE0EEENS1_44radix_sort_block_sort_config_static_selectorELNS0_4arch9wavefront6targetE1EEEvSF_
	.p2align	8
	.type	_ZN7rocprim17ROCPRIM_400000_NS6detail17trampoline_kernelINS0_13kernel_configILj256ELj4ELj4294967295EEENS1_37radix_sort_block_sort_config_selectorIflEEZNS1_21radix_sort_block_sortIS4_Lb0EPfS8_N6thrust23THRUST_200600_302600_NS10device_ptrIlEESC_NS0_19identity_decomposerEEE10hipError_tT1_T2_T3_T4_jRjT5_jjP12ihipStream_tbEUlT_E_NS1_11comp_targetILNS1_3genE5ELNS1_11target_archE942ELNS1_3gpuE9ELNS1_3repE0EEENS1_44radix_sort_block_sort_config_static_selectorELNS0_4arch9wavefront6targetE1EEEvSF_,@function
_ZN7rocprim17ROCPRIM_400000_NS6detail17trampoline_kernelINS0_13kernel_configILj256ELj4ELj4294967295EEENS1_37radix_sort_block_sort_config_selectorIflEEZNS1_21radix_sort_block_sortIS4_Lb0EPfS8_N6thrust23THRUST_200600_302600_NS10device_ptrIlEESC_NS0_19identity_decomposerEEE10hipError_tT1_T2_T3_T4_jRjT5_jjP12ihipStream_tbEUlT_E_NS1_11comp_targetILNS1_3genE5ELNS1_11target_archE942ELNS1_3gpuE9ELNS1_3repE0EEENS1_44radix_sort_block_sort_config_static_selectorELNS0_4arch9wavefront6targetE1EEEvSF_: ; @_ZN7rocprim17ROCPRIM_400000_NS6detail17trampoline_kernelINS0_13kernel_configILj256ELj4ELj4294967295EEENS1_37radix_sort_block_sort_config_selectorIflEEZNS1_21radix_sort_block_sortIS4_Lb0EPfS8_N6thrust23THRUST_200600_302600_NS10device_ptrIlEESC_NS0_19identity_decomposerEEE10hipError_tT1_T2_T3_T4_jRjT5_jjP12ihipStream_tbEUlT_E_NS1_11comp_targetILNS1_3genE5ELNS1_11target_archE942ELNS1_3gpuE9ELNS1_3repE0EEENS1_44radix_sort_block_sort_config_static_selectorELNS0_4arch9wavefront6targetE1EEEvSF_
; %bb.0:
	.section	.rodata,"a",@progbits
	.p2align	6, 0x0
	.amdhsa_kernel _ZN7rocprim17ROCPRIM_400000_NS6detail17trampoline_kernelINS0_13kernel_configILj256ELj4ELj4294967295EEENS1_37radix_sort_block_sort_config_selectorIflEEZNS1_21radix_sort_block_sortIS4_Lb0EPfS8_N6thrust23THRUST_200600_302600_NS10device_ptrIlEESC_NS0_19identity_decomposerEEE10hipError_tT1_T2_T3_T4_jRjT5_jjP12ihipStream_tbEUlT_E_NS1_11comp_targetILNS1_3genE5ELNS1_11target_archE942ELNS1_3gpuE9ELNS1_3repE0EEENS1_44radix_sort_block_sort_config_static_selectorELNS0_4arch9wavefront6targetE1EEEvSF_
		.amdhsa_group_segment_fixed_size 0
		.amdhsa_private_segment_fixed_size 0
		.amdhsa_kernarg_size 48
		.amdhsa_user_sgpr_count 6
		.amdhsa_user_sgpr_private_segment_buffer 1
		.amdhsa_user_sgpr_dispatch_ptr 0
		.amdhsa_user_sgpr_queue_ptr 0
		.amdhsa_user_sgpr_kernarg_segment_ptr 1
		.amdhsa_user_sgpr_dispatch_id 0
		.amdhsa_user_sgpr_flat_scratch_init 0
		.amdhsa_user_sgpr_kernarg_preload_length 0
		.amdhsa_user_sgpr_kernarg_preload_offset 0
		.amdhsa_user_sgpr_private_segment_size 0
		.amdhsa_uses_dynamic_stack 0
		.amdhsa_system_sgpr_private_segment_wavefront_offset 0
		.amdhsa_system_sgpr_workgroup_id_x 1
		.amdhsa_system_sgpr_workgroup_id_y 0
		.amdhsa_system_sgpr_workgroup_id_z 0
		.amdhsa_system_sgpr_workgroup_info 0
		.amdhsa_system_vgpr_workitem_id 0
		.amdhsa_next_free_vgpr 1
		.amdhsa_next_free_sgpr 0
		.amdhsa_accum_offset 4
		.amdhsa_reserve_vcc 0
		.amdhsa_reserve_flat_scratch 0
		.amdhsa_float_round_mode_32 0
		.amdhsa_float_round_mode_16_64 0
		.amdhsa_float_denorm_mode_32 3
		.amdhsa_float_denorm_mode_16_64 3
		.amdhsa_dx10_clamp 1
		.amdhsa_ieee_mode 1
		.amdhsa_fp16_overflow 0
		.amdhsa_tg_split 0
		.amdhsa_exception_fp_ieee_invalid_op 0
		.amdhsa_exception_fp_denorm_src 0
		.amdhsa_exception_fp_ieee_div_zero 0
		.amdhsa_exception_fp_ieee_overflow 0
		.amdhsa_exception_fp_ieee_underflow 0
		.amdhsa_exception_fp_ieee_inexact 0
		.amdhsa_exception_int_div_zero 0
	.end_amdhsa_kernel
	.section	.text._ZN7rocprim17ROCPRIM_400000_NS6detail17trampoline_kernelINS0_13kernel_configILj256ELj4ELj4294967295EEENS1_37radix_sort_block_sort_config_selectorIflEEZNS1_21radix_sort_block_sortIS4_Lb0EPfS8_N6thrust23THRUST_200600_302600_NS10device_ptrIlEESC_NS0_19identity_decomposerEEE10hipError_tT1_T2_T3_T4_jRjT5_jjP12ihipStream_tbEUlT_E_NS1_11comp_targetILNS1_3genE5ELNS1_11target_archE942ELNS1_3gpuE9ELNS1_3repE0EEENS1_44radix_sort_block_sort_config_static_selectorELNS0_4arch9wavefront6targetE1EEEvSF_,"axG",@progbits,_ZN7rocprim17ROCPRIM_400000_NS6detail17trampoline_kernelINS0_13kernel_configILj256ELj4ELj4294967295EEENS1_37radix_sort_block_sort_config_selectorIflEEZNS1_21radix_sort_block_sortIS4_Lb0EPfS8_N6thrust23THRUST_200600_302600_NS10device_ptrIlEESC_NS0_19identity_decomposerEEE10hipError_tT1_T2_T3_T4_jRjT5_jjP12ihipStream_tbEUlT_E_NS1_11comp_targetILNS1_3genE5ELNS1_11target_archE942ELNS1_3gpuE9ELNS1_3repE0EEENS1_44radix_sort_block_sort_config_static_selectorELNS0_4arch9wavefront6targetE1EEEvSF_,comdat
.Lfunc_end1743:
	.size	_ZN7rocprim17ROCPRIM_400000_NS6detail17trampoline_kernelINS0_13kernel_configILj256ELj4ELj4294967295EEENS1_37radix_sort_block_sort_config_selectorIflEEZNS1_21radix_sort_block_sortIS4_Lb0EPfS8_N6thrust23THRUST_200600_302600_NS10device_ptrIlEESC_NS0_19identity_decomposerEEE10hipError_tT1_T2_T3_T4_jRjT5_jjP12ihipStream_tbEUlT_E_NS1_11comp_targetILNS1_3genE5ELNS1_11target_archE942ELNS1_3gpuE9ELNS1_3repE0EEENS1_44radix_sort_block_sort_config_static_selectorELNS0_4arch9wavefront6targetE1EEEvSF_, .Lfunc_end1743-_ZN7rocprim17ROCPRIM_400000_NS6detail17trampoline_kernelINS0_13kernel_configILj256ELj4ELj4294967295EEENS1_37radix_sort_block_sort_config_selectorIflEEZNS1_21radix_sort_block_sortIS4_Lb0EPfS8_N6thrust23THRUST_200600_302600_NS10device_ptrIlEESC_NS0_19identity_decomposerEEE10hipError_tT1_T2_T3_T4_jRjT5_jjP12ihipStream_tbEUlT_E_NS1_11comp_targetILNS1_3genE5ELNS1_11target_archE942ELNS1_3gpuE9ELNS1_3repE0EEENS1_44radix_sort_block_sort_config_static_selectorELNS0_4arch9wavefront6targetE1EEEvSF_
                                        ; -- End function
	.section	.AMDGPU.csdata,"",@progbits
; Kernel info:
; codeLenInByte = 0
; NumSgprs: 4
; NumVgprs: 0
; NumAgprs: 0
; TotalNumVgprs: 0
; ScratchSize: 0
; MemoryBound: 0
; FloatMode: 240
; IeeeMode: 1
; LDSByteSize: 0 bytes/workgroup (compile time only)
; SGPRBlocks: 0
; VGPRBlocks: 0
; NumSGPRsForWavesPerEU: 4
; NumVGPRsForWavesPerEU: 1
; AccumOffset: 4
; Occupancy: 8
; WaveLimiterHint : 0
; COMPUTE_PGM_RSRC2:SCRATCH_EN: 0
; COMPUTE_PGM_RSRC2:USER_SGPR: 6
; COMPUTE_PGM_RSRC2:TRAP_HANDLER: 0
; COMPUTE_PGM_RSRC2:TGID_X_EN: 1
; COMPUTE_PGM_RSRC2:TGID_Y_EN: 0
; COMPUTE_PGM_RSRC2:TGID_Z_EN: 0
; COMPUTE_PGM_RSRC2:TIDIG_COMP_CNT: 0
; COMPUTE_PGM_RSRC3_GFX90A:ACCUM_OFFSET: 0
; COMPUTE_PGM_RSRC3_GFX90A:TG_SPLIT: 0
	.section	.text._ZN7rocprim17ROCPRIM_400000_NS6detail17trampoline_kernelINS0_13kernel_configILj256ELj4ELj4294967295EEENS1_37radix_sort_block_sort_config_selectorIflEEZNS1_21radix_sort_block_sortIS4_Lb0EPfS8_N6thrust23THRUST_200600_302600_NS10device_ptrIlEESC_NS0_19identity_decomposerEEE10hipError_tT1_T2_T3_T4_jRjT5_jjP12ihipStream_tbEUlT_E_NS1_11comp_targetILNS1_3genE4ELNS1_11target_archE910ELNS1_3gpuE8ELNS1_3repE0EEENS1_44radix_sort_block_sort_config_static_selectorELNS0_4arch9wavefront6targetE1EEEvSF_,"axG",@progbits,_ZN7rocprim17ROCPRIM_400000_NS6detail17trampoline_kernelINS0_13kernel_configILj256ELj4ELj4294967295EEENS1_37radix_sort_block_sort_config_selectorIflEEZNS1_21radix_sort_block_sortIS4_Lb0EPfS8_N6thrust23THRUST_200600_302600_NS10device_ptrIlEESC_NS0_19identity_decomposerEEE10hipError_tT1_T2_T3_T4_jRjT5_jjP12ihipStream_tbEUlT_E_NS1_11comp_targetILNS1_3genE4ELNS1_11target_archE910ELNS1_3gpuE8ELNS1_3repE0EEENS1_44radix_sort_block_sort_config_static_selectorELNS0_4arch9wavefront6targetE1EEEvSF_,comdat
	.protected	_ZN7rocprim17ROCPRIM_400000_NS6detail17trampoline_kernelINS0_13kernel_configILj256ELj4ELj4294967295EEENS1_37radix_sort_block_sort_config_selectorIflEEZNS1_21radix_sort_block_sortIS4_Lb0EPfS8_N6thrust23THRUST_200600_302600_NS10device_ptrIlEESC_NS0_19identity_decomposerEEE10hipError_tT1_T2_T3_T4_jRjT5_jjP12ihipStream_tbEUlT_E_NS1_11comp_targetILNS1_3genE4ELNS1_11target_archE910ELNS1_3gpuE8ELNS1_3repE0EEENS1_44radix_sort_block_sort_config_static_selectorELNS0_4arch9wavefront6targetE1EEEvSF_ ; -- Begin function _ZN7rocprim17ROCPRIM_400000_NS6detail17trampoline_kernelINS0_13kernel_configILj256ELj4ELj4294967295EEENS1_37radix_sort_block_sort_config_selectorIflEEZNS1_21radix_sort_block_sortIS4_Lb0EPfS8_N6thrust23THRUST_200600_302600_NS10device_ptrIlEESC_NS0_19identity_decomposerEEE10hipError_tT1_T2_T3_T4_jRjT5_jjP12ihipStream_tbEUlT_E_NS1_11comp_targetILNS1_3genE4ELNS1_11target_archE910ELNS1_3gpuE8ELNS1_3repE0EEENS1_44radix_sort_block_sort_config_static_selectorELNS0_4arch9wavefront6targetE1EEEvSF_
	.globl	_ZN7rocprim17ROCPRIM_400000_NS6detail17trampoline_kernelINS0_13kernel_configILj256ELj4ELj4294967295EEENS1_37radix_sort_block_sort_config_selectorIflEEZNS1_21radix_sort_block_sortIS4_Lb0EPfS8_N6thrust23THRUST_200600_302600_NS10device_ptrIlEESC_NS0_19identity_decomposerEEE10hipError_tT1_T2_T3_T4_jRjT5_jjP12ihipStream_tbEUlT_E_NS1_11comp_targetILNS1_3genE4ELNS1_11target_archE910ELNS1_3gpuE8ELNS1_3repE0EEENS1_44radix_sort_block_sort_config_static_selectorELNS0_4arch9wavefront6targetE1EEEvSF_
	.p2align	8
	.type	_ZN7rocprim17ROCPRIM_400000_NS6detail17trampoline_kernelINS0_13kernel_configILj256ELj4ELj4294967295EEENS1_37radix_sort_block_sort_config_selectorIflEEZNS1_21radix_sort_block_sortIS4_Lb0EPfS8_N6thrust23THRUST_200600_302600_NS10device_ptrIlEESC_NS0_19identity_decomposerEEE10hipError_tT1_T2_T3_T4_jRjT5_jjP12ihipStream_tbEUlT_E_NS1_11comp_targetILNS1_3genE4ELNS1_11target_archE910ELNS1_3gpuE8ELNS1_3repE0EEENS1_44radix_sort_block_sort_config_static_selectorELNS0_4arch9wavefront6targetE1EEEvSF_,@function
_ZN7rocprim17ROCPRIM_400000_NS6detail17trampoline_kernelINS0_13kernel_configILj256ELj4ELj4294967295EEENS1_37radix_sort_block_sort_config_selectorIflEEZNS1_21radix_sort_block_sortIS4_Lb0EPfS8_N6thrust23THRUST_200600_302600_NS10device_ptrIlEESC_NS0_19identity_decomposerEEE10hipError_tT1_T2_T3_T4_jRjT5_jjP12ihipStream_tbEUlT_E_NS1_11comp_targetILNS1_3genE4ELNS1_11target_archE910ELNS1_3gpuE8ELNS1_3repE0EEENS1_44radix_sort_block_sort_config_static_selectorELNS0_4arch9wavefront6targetE1EEEvSF_: ; @_ZN7rocprim17ROCPRIM_400000_NS6detail17trampoline_kernelINS0_13kernel_configILj256ELj4ELj4294967295EEENS1_37radix_sort_block_sort_config_selectorIflEEZNS1_21radix_sort_block_sortIS4_Lb0EPfS8_N6thrust23THRUST_200600_302600_NS10device_ptrIlEESC_NS0_19identity_decomposerEEE10hipError_tT1_T2_T3_T4_jRjT5_jjP12ihipStream_tbEUlT_E_NS1_11comp_targetILNS1_3genE4ELNS1_11target_archE910ELNS1_3gpuE8ELNS1_3repE0EEENS1_44radix_sort_block_sort_config_static_selectorELNS0_4arch9wavefront6targetE1EEEvSF_
; %bb.0:
	s_load_dword s2, s[4:5], 0x20
	s_load_dwordx8 s[36:43], s[4:5], 0x0
	s_lshl_b32 s28, s6, 10
	s_mov_b32 s29, 0
	v_mbcnt_lo_u32_b32 v1, -1, 0
	s_waitcnt lgkmcnt(0)
	s_lshr_b32 s0, s2, 10
	s_cmp_lg_u32 s6, s0
	s_cselect_b64 s[30:31], -1, 0
	s_lshl_b64 s[34:35], s[28:29], 2
	v_mbcnt_hi_u32_b32 v1, -1, v1
	v_and_b32_e32 v8, 0x3ff, v0
	s_add_u32 s1, s36, s34
	v_and_b32_e32 v10, 63, v1
	s_addc_u32 s3, s37, s35
	v_lshlrev_b32_e32 v9, 2, v8
	v_lshlrev_b32_e32 v2, 2, v10
	v_and_b32_e32 v11, 0x300, v9
	v_mov_b32_e32 v3, s3
	v_add_co_u32_e32 v2, vcc, s1, v2
	v_addc_co_u32_e32 v3, vcc, 0, v3, vcc
	v_lshlrev_b32_e32 v4, 2, v11
	v_add_co_u32_e32 v6, vcc, v2, v4
	s_cmp_eq_u32 s6, s0
	v_addc_co_u32_e32 v7, vcc, 0, v3, vcc
	v_lshlrev_b32_e32 v15, 3, v10
	v_lshlrev_b32_e32 v14, 3, v11
	v_or_b32_e32 v12, v10, v11
	s_cbranch_scc1 .LBB1744_2
; %bb.1:
	s_lshl_b64 s[0:1], s[28:29], 3
	s_add_u32 s0, s40, s0
	s_addc_u32 s1, s41, s1
	v_mov_b32_e32 v13, s1
	v_add_co_u32_e32 v16, vcc, s0, v15
	v_addc_co_u32_e32 v13, vcc, 0, v13, vcc
	v_add_co_u32_e32 v16, vcc, v16, v14
	v_addc_co_u32_e32 v17, vcc, 0, v13, vcc
	global_load_dword v2, v[6:7], off
	global_load_dword v3, v[6:7], off offset:256
	global_load_dword v4, v[6:7], off offset:512
	global_load_dword v5, v[6:7], off offset:768
	global_load_dwordx2 v[20:21], v[16:17], off
	global_load_dwordx2 v[22:23], v[16:17], off offset:512
	global_load_dwordx2 v[24:25], v[16:17], off offset:1024
	;; [unrolled: 1-line block ×3, first 2 shown]
	v_or_b32_e32 v16, v10, v11
	v_or_b32_e32 v10, 64, v16
	;; [unrolled: 1-line block ×4, first 2 shown]
	s_load_dwordx2 s[36:37], s[4:5], 0x28
	s_sub_i32 s33, s2, s28
	s_cbranch_execz .LBB1744_3
	s_branch .LBB1744_17
.LBB1744_2:
                                        ; implicit-def: $vgpr2_vgpr3_vgpr4_vgpr5
                                        ; implicit-def: $vgpr20_vgpr21
                                        ; implicit-def: $vgpr22_vgpr23
                                        ; implicit-def: $vgpr24_vgpr25
                                        ; implicit-def: $vgpr26_vgpr27
                                        ; implicit-def: $vgpr16
                                        ; implicit-def: $vgpr10
                                        ; implicit-def: $vgpr11
                                        ; implicit-def: $vgpr13
	s_load_dwordx2 s[36:37], s[4:5], 0x28
	s_sub_i32 s33, s2, s28
.LBB1744_3:
	s_brev_b32 s0, -2
	s_mov_b32 s2, s0
	s_mov_b32 s3, s0
	;; [unrolled: 1-line block ×3, first 2 shown]
	s_waitcnt vmcnt(4)
	v_pk_mov_b32 v[4:5], s[2:3], s[2:3] op_sel:[0,1]
	v_cmp_gt_u32_e32 vcc, s33, v12
	v_pk_mov_b32 v[2:3], s[0:1], s[0:1] op_sel:[0,1]
	s_and_saveexec_b64 s[0:1], vcc
	s_cbranch_execz .LBB1744_5
; %bb.4:
	global_load_dword v2, v[6:7], off
	v_bfrev_b32_e32 v3, -2
	v_mov_b32_e32 v4, v3
	v_mov_b32_e32 v5, v3
.LBB1744_5:
	s_or_b64 exec, exec, s[0:1]
	v_or_b32_e32 v10, 64, v12
	v_cmp_gt_u32_e64 s[0:1], s33, v10
	s_and_saveexec_b64 s[2:3], s[0:1]
	s_cbranch_execz .LBB1744_7
; %bb.6:
	global_load_dword v3, v[6:7], off offset:256
.LBB1744_7:
	s_or_b64 exec, exec, s[2:3]
	v_or_b32_e32 v11, 0x80, v12
	v_cmp_gt_u32_e64 s[2:3], s33, v11
	s_and_saveexec_b64 s[6:7], s[2:3]
	s_cbranch_execz .LBB1744_9
; %bb.8:
	global_load_dword v4, v[6:7], off offset:512
.LBB1744_9:
	;; [unrolled: 8-line block ×3, first 2 shown]
	s_or_b64 exec, exec, s[8:9]
	s_lshl_b64 s[8:9], s[28:29], 3
	s_add_u32 s8, s40, s8
	s_addc_u32 s9, s41, s9
	v_mov_b32_e32 v6, s9
	v_add_co_u32_e64 v7, s[8:9], s8, v15
	v_addc_co_u32_e64 v15, s[8:9], 0, v6, s[8:9]
	v_add_co_u32_e64 v6, s[8:9], v7, v14
	v_addc_co_u32_e64 v7, s[8:9], 0, v15, s[8:9]
                                        ; implicit-def: $vgpr20_vgpr21
	s_and_saveexec_b64 s[8:9], vcc
	s_cbranch_execnz .LBB1744_54
; %bb.12:
	s_or_b64 exec, exec, s[8:9]
                                        ; implicit-def: $vgpr22_vgpr23
	s_and_saveexec_b64 s[8:9], s[0:1]
	s_cbranch_execnz .LBB1744_55
.LBB1744_13:
	s_or_b64 exec, exec, s[8:9]
                                        ; implicit-def: $vgpr24_vgpr25
	s_and_saveexec_b64 s[0:1], s[2:3]
	s_cbranch_execnz .LBB1744_56
.LBB1744_14:
	s_or_b64 exec, exec, s[0:1]
                                        ; implicit-def: $vgpr26_vgpr27
	s_and_saveexec_b64 s[0:1], s[6:7]
	s_cbranch_execz .LBB1744_16
.LBB1744_15:
	global_load_dwordx2 v[26:27], v[6:7], off offset:1536
.LBB1744_16:
	s_or_b64 exec, exec, s[0:1]
	v_mov_b32_e32 v16, v12
.LBB1744_17:
	v_bfrev_b32_e32 v28, 1
	s_waitcnt vmcnt(0)
	v_cmp_lt_i32_e32 vcc, -1, v2
	s_load_dword s2, s[4:5], 0x3c
	v_cndmask_b32_e32 v6, -1, v28, vcc
	v_cmp_lt_i32_e32 vcc, -1, v3
	v_xor_b32_e32 v2, v6, v2
	v_cndmask_b32_e32 v6, -1, v28, vcc
	v_cmp_lt_i32_e32 vcc, -1, v4
	s_waitcnt lgkmcnt(0)
	s_add_i32 s40, s37, s36
	v_xor_b32_e32 v3, v6, v3
	v_cndmask_b32_e32 v6, -1, v28, vcc
	v_cmp_lt_i32_e32 vcc, -1, v5
	v_xor_b32_e32 v19, v6, v4
	v_cndmask_b32_e32 v4, -1, v28, vcc
	s_getpc_b64 s[0:1]
	s_add_u32 s0, s0, _ZN7rocprim17ROCPRIM_400000_NS16block_radix_sortIfLj256ELj4ElLj1ELj1ELj0ELNS0_26block_radix_rank_algorithmE1ELNS0_18block_padding_hintE2ELNS0_4arch9wavefront6targetE1EE19radix_bits_per_passE@rel32@lo+4
	s_addc_u32 s1, s1, _ZN7rocprim17ROCPRIM_400000_NS16block_radix_sortIfLj256ELj4ElLj1ELj1ELj0ELNS0_26block_radix_rank_algorithmE1ELNS0_18block_padding_hintE2ELNS0_4arch9wavefront6targetE1EE19radix_bits_per_passE@rel32@hi+12
	v_xor_b32_e32 v47, v4, v5
	s_load_dword s41, s[0:1], 0x0
	s_lshr_b32 s0, s2, 16
	v_bfe_u32 v4, v0, 10, 10
	v_bfe_u32 v0, v0, 20, 10
	s_and_b32 s1, s2, 0xffff
	v_mad_u32_u24 v0, v0, s0, v4
	v_mad_u64_u32 v[4:5], s[0:1], v0, s1, v[8:9]
	v_and_b32_e32 v0, 15, v1
	v_cmp_eq_u32_e64 s[0:1], 0, v0
	v_cmp_lt_u32_e64 s[2:3], 1, v0
	v_cmp_lt_u32_e64 s[4:5], 3, v0
	;; [unrolled: 1-line block ×3, first 2 shown]
	v_and_b32_e32 v0, 16, v1
	v_cmp_eq_u32_e64 s[8:9], 0, v0
	v_and_b32_e32 v0, 0x3c0, v8
	v_min_u32_e32 v0, 0xc0, v0
	v_or_b32_e32 v0, 63, v0
	v_lshrrev_b32_e32 v30, 6, v4
	v_cmp_eq_u32_e64 s[12:13], v0, v8
	v_add_u32_e32 v0, -1, v1
	v_and_b32_e32 v4, 64, v1
	v_cmp_lt_i32_e32 vcc, v0, v4
	v_cndmask_b32_e32 v0, v0, v1, vcc
	s_mov_b32 s26, 0
	v_lshlrev_b32_e32 v32, 2, v0
	v_lshrrev_b32_e32 v0, 4, v8
	v_and_b32_e32 v33, 60, v0
	v_and_b32_e32 v0, 3, v1
	v_lshlrev_b32_e32 v35, 2, v16
	v_lshlrev_b32_e32 v36, 2, v10
	;; [unrolled: 1-line block ×4, first 2 shown]
	s_mov_b32 s27, s26
	s_mov_b32 s44, s26
	;; [unrolled: 1-line block ×3, first 2 shown]
	v_lshlrev_b32_e32 v29, 2, v9
	v_cmp_lt_u32_e64 s[10:11], 31, v1
	v_cmp_gt_u32_e64 s[14:15], 4, v8
	v_cmp_lt_u32_e64 s[16:17], 63, v8
	v_cmp_eq_u32_e64 s[18:19], 0, v1
	v_cmp_eq_u32_e64 s[20:21], 0, v8
	v_mul_i32_i24_e32 v31, -12, v8
	v_cmp_eq_u32_e64 s[22:23], 0, v0
	v_cmp_lt_u32_e64 s[24:25], 1, v0
	v_add_u32_e32 v34, -4, v33
	v_pk_mov_b32 v[4:5], s[26:27], s[26:27] op_sel:[0,1]
	v_pk_mov_b32 v[6:7], s[44:45], s[44:45] op_sel:[0,1]
	s_brev_b32 s44, -2
	v_add_u32_e32 v39, v35, v35
	v_add_u32_e32 v40, v36, v36
	;; [unrolled: 1-line block ×4, first 2 shown]
	v_mov_b32_e32 v18, 0
	s_branch .LBB1744_19
.LBB1744_18:                            ;   in Loop: Header=BB1744_19 Depth=1
	v_lshl_add_u32 v20, v49, 2, v53
	s_barrier
	ds_write_b32 v53, v46
	ds_write_b32 v52, v45
	;; [unrolled: 1-line block ×4, first 2 shown]
	s_waitcnt lgkmcnt(0)
	s_barrier
	ds_read_b32 v2, v35
	ds_read_b32 v3, v36
	;; [unrolled: 1-line block ×4, first 2 shown]
	s_waitcnt lgkmcnt(0)
	s_barrier
	ds_write_b64 v20, v[16:17]
	v_lshl_add_u32 v20, v48, 2, v52
	ds_write_b64 v20, v[14:15]
	v_lshl_add_u32 v20, v1, 2, v51
	;; [unrolled: 2-line block ×3, first 2 shown]
	ds_write_b64 v20, v[10:11]
	s_waitcnt lgkmcnt(0)
	s_barrier
	ds_read_b64 v[20:21], v39
	ds_read_b64 v[22:23], v40
	;; [unrolled: 1-line block ×4, first 2 shown]
	s_add_i32 s37, s37, -8
	s_waitcnt lgkmcnt(0)
	s_barrier
	s_cbranch_execz .LBB1744_35
.LBB1744_19:                            ; =>This Inner Loop Header: Depth=1
	v_mov_b32_e32 v46, v2
	s_waitcnt lgkmcnt(0)
	s_min_u32 s26, s41, s37
	v_cmp_ne_u32_e32 vcc, s44, v46
	s_lshl_b32 s26, -1, s26
	v_cndmask_b32_e32 v0, v28, v46, vcc
	s_not_b32 s45, s26
	v_lshrrev_b32_e32 v0, s36, v0
	v_and_b32_e32 v0, s45, v0
	v_lshl_add_u32 v1, v0, 2, v30
	v_pk_mov_b32 v[16:17], v[20:21], v[20:21] op_sel:[0,1]
	v_lshl_add_u32 v20, v1, 2, 16
	v_and_b32_e32 v1, 1, v0
	v_add_co_u32_e32 v2, vcc, -1, v1
	v_mov_b32_e32 v44, v19
	v_mov_b32_e32 v45, v3
	v_addc_co_u32_e64 v3, s[26:27], 0, -1, vcc
	v_cmp_ne_u32_e32 vcc, 0, v1
	v_lshlrev_b32_e32 v19, 30, v0
	v_xor_b32_e32 v1, vcc_hi, v3
	v_not_b32_e32 v3, v19
	v_xor_b32_e32 v2, vcc_lo, v2
	v_cmp_gt_i64_e32 vcc, 0, v[18:19]
	v_ashrrev_i32_e32 v3, 31, v3
	v_and_b32_e32 v1, exec_hi, v1
	v_xor_b32_e32 v19, vcc_hi, v3
	v_and_b32_e32 v2, exec_lo, v2
	v_xor_b32_e32 v3, vcc_lo, v3
	v_and_b32_e32 v1, v1, v19
	v_lshlrev_b32_e32 v19, 29, v0
	v_and_b32_e32 v2, v2, v3
	v_not_b32_e32 v3, v19
	v_cmp_gt_i64_e32 vcc, 0, v[18:19]
	v_ashrrev_i32_e32 v3, 31, v3
	v_xor_b32_e32 v19, vcc_hi, v3
	v_xor_b32_e32 v3, vcc_lo, v3
	v_and_b32_e32 v1, v1, v19
	v_lshlrev_b32_e32 v19, 28, v0
	v_and_b32_e32 v2, v2, v3
	v_not_b32_e32 v3, v19
	v_cmp_gt_i64_e32 vcc, 0, v[18:19]
	v_ashrrev_i32_e32 v3, 31, v3
	v_xor_b32_e32 v19, vcc_hi, v3
	;; [unrolled: 8-line block ×5, first 2 shown]
	v_and_b32_e32 v1, v1, v19
	v_lshlrev_b32_e32 v19, 24, v0
	v_not_b32_e32 v0, v19
	v_xor_b32_e32 v3, vcc_lo, v3
	v_cmp_gt_i64_e32 vcc, 0, v[18:19]
	v_ashrrev_i32_e32 v0, 31, v0
	v_and_b32_e32 v2, v2, v3
	v_xor_b32_e32 v3, vcc_hi, v0
	v_xor_b32_e32 v0, vcc_lo, v0
	v_and_b32_e32 v0, v2, v0
	v_and_b32_e32 v1, v1, v3
	v_mbcnt_lo_u32_b32 v2, v0, 0
	v_mbcnt_hi_u32_b32 v21, v1, v2
	v_cmp_eq_u32_e32 vcc, 0, v21
	v_cmp_ne_u64_e64 s[26:27], 0, v[0:1]
	v_mov_b32_e32 v43, v47
	v_pk_mov_b32 v[14:15], v[22:23], v[22:23] op_sel:[0,1]
	v_pk_mov_b32 v[12:13], v[24:25], v[24:25] op_sel:[0,1]
	;; [unrolled: 1-line block ×3, first 2 shown]
	s_and_b64 s[46:47], s[26:27], vcc
	ds_write2_b64 v29, v[4:5], v[6:7] offset0:2 offset1:3
	s_waitcnt lgkmcnt(0)
	s_barrier
	s_waitcnt lgkmcnt(0)
	; wave barrier
	s_and_saveexec_b64 s[26:27], s[46:47]
	s_cbranch_execz .LBB1744_21
; %bb.20:                               ;   in Loop: Header=BB1744_19 Depth=1
	v_bcnt_u32_b32 v0, v0, 0
	v_bcnt_u32_b32 v0, v1, v0
	ds_write_b32 v20, v0
.LBB1744_21:                            ;   in Loop: Header=BB1744_19 Depth=1
	s_or_b64 exec, exec, s[26:27]
	v_cmp_ne_u32_e32 vcc, s44, v45
	v_cndmask_b32_e32 v0, v28, v45, vcc
	v_lshrrev_b32_e32 v0, s36, v0
	v_and_b32_e32 v0, s45, v0
	v_lshlrev_b32_e32 v1, 2, v0
	v_add_lshl_u32 v1, v1, v30, 2
	; wave barrier
	v_add_u32_e32 v23, 16, v1
	ds_read_b32 v22, v1 offset:16
	v_and_b32_e32 v1, 1, v0
	v_add_co_u32_e32 v2, vcc, -1, v1
	v_addc_co_u32_e64 v3, s[26:27], 0, -1, vcc
	v_cmp_ne_u32_e32 vcc, 0, v1
	v_lshlrev_b32_e32 v19, 30, v0
	v_xor_b32_e32 v1, vcc_hi, v3
	v_not_b32_e32 v3, v19
	v_xor_b32_e32 v2, vcc_lo, v2
	v_cmp_gt_i64_e32 vcc, 0, v[18:19]
	v_ashrrev_i32_e32 v3, 31, v3
	v_and_b32_e32 v1, exec_hi, v1
	v_xor_b32_e32 v19, vcc_hi, v3
	v_and_b32_e32 v2, exec_lo, v2
	v_xor_b32_e32 v3, vcc_lo, v3
	v_and_b32_e32 v1, v1, v19
	v_lshlrev_b32_e32 v19, 29, v0
	v_and_b32_e32 v2, v2, v3
	v_not_b32_e32 v3, v19
	v_cmp_gt_i64_e32 vcc, 0, v[18:19]
	v_ashrrev_i32_e32 v3, 31, v3
	v_xor_b32_e32 v19, vcc_hi, v3
	v_xor_b32_e32 v3, vcc_lo, v3
	v_and_b32_e32 v1, v1, v19
	v_lshlrev_b32_e32 v19, 28, v0
	v_and_b32_e32 v2, v2, v3
	v_not_b32_e32 v3, v19
	v_cmp_gt_i64_e32 vcc, 0, v[18:19]
	v_ashrrev_i32_e32 v3, 31, v3
	v_xor_b32_e32 v19, vcc_hi, v3
	v_xor_b32_e32 v3, vcc_lo, v3
	v_and_b32_e32 v1, v1, v19
	v_lshlrev_b32_e32 v19, 27, v0
	v_and_b32_e32 v2, v2, v3
	v_not_b32_e32 v3, v19
	v_cmp_gt_i64_e32 vcc, 0, v[18:19]
	v_ashrrev_i32_e32 v3, 31, v3
	v_xor_b32_e32 v19, vcc_hi, v3
	v_xor_b32_e32 v3, vcc_lo, v3
	v_and_b32_e32 v1, v1, v19
	v_lshlrev_b32_e32 v19, 26, v0
	v_and_b32_e32 v2, v2, v3
	v_not_b32_e32 v3, v19
	v_cmp_gt_i64_e32 vcc, 0, v[18:19]
	v_ashrrev_i32_e32 v3, 31, v3
	v_xor_b32_e32 v19, vcc_hi, v3
	v_xor_b32_e32 v3, vcc_lo, v3
	v_and_b32_e32 v1, v1, v19
	v_lshlrev_b32_e32 v19, 25, v0
	v_and_b32_e32 v2, v2, v3
	v_not_b32_e32 v3, v19
	v_cmp_gt_i64_e32 vcc, 0, v[18:19]
	v_ashrrev_i32_e32 v3, 31, v3
	v_xor_b32_e32 v19, vcc_hi, v3
	v_and_b32_e32 v1, v1, v19
	v_lshlrev_b32_e32 v19, 24, v0
	v_not_b32_e32 v0, v19
	v_xor_b32_e32 v3, vcc_lo, v3
	v_cmp_gt_i64_e32 vcc, 0, v[18:19]
	v_ashrrev_i32_e32 v0, 31, v0
	v_and_b32_e32 v2, v2, v3
	v_xor_b32_e32 v3, vcc_hi, v0
	v_xor_b32_e32 v0, vcc_lo, v0
	v_and_b32_e32 v0, v2, v0
	v_and_b32_e32 v1, v1, v3
	v_mbcnt_lo_u32_b32 v2, v0, 0
	v_mbcnt_hi_u32_b32 v24, v1, v2
	v_cmp_eq_u32_e32 vcc, 0, v24
	v_cmp_ne_u64_e64 s[26:27], 0, v[0:1]
	s_and_b64 s[46:47], s[26:27], vcc
	; wave barrier
	s_and_saveexec_b64 s[26:27], s[46:47]
	s_cbranch_execz .LBB1744_23
; %bb.22:                               ;   in Loop: Header=BB1744_19 Depth=1
	v_bcnt_u32_b32 v0, v0, 0
	v_bcnt_u32_b32 v0, v1, v0
	s_waitcnt lgkmcnt(0)
	v_add_u32_e32 v0, v22, v0
	ds_write_b32 v23, v0
.LBB1744_23:                            ;   in Loop: Header=BB1744_19 Depth=1
	s_or_b64 exec, exec, s[26:27]
	v_cmp_ne_u32_e32 vcc, s44, v44
	v_cndmask_b32_e32 v0, v28, v44, vcc
	v_lshrrev_b32_e32 v0, s36, v0
	v_and_b32_e32 v0, s45, v0
	v_lshlrev_b32_e32 v1, 2, v0
	v_add_lshl_u32 v1, v1, v30, 2
	; wave barrier
	v_add_u32_e32 v26, 16, v1
	ds_read_b32 v25, v1 offset:16
	v_and_b32_e32 v1, 1, v0
	v_add_co_u32_e32 v2, vcc, -1, v1
	v_addc_co_u32_e64 v3, s[26:27], 0, -1, vcc
	v_cmp_ne_u32_e32 vcc, 0, v1
	v_lshlrev_b32_e32 v19, 30, v0
	v_xor_b32_e32 v1, vcc_hi, v3
	v_not_b32_e32 v3, v19
	v_xor_b32_e32 v2, vcc_lo, v2
	v_cmp_gt_i64_e32 vcc, 0, v[18:19]
	v_ashrrev_i32_e32 v3, 31, v3
	v_and_b32_e32 v1, exec_hi, v1
	v_xor_b32_e32 v19, vcc_hi, v3
	v_and_b32_e32 v2, exec_lo, v2
	v_xor_b32_e32 v3, vcc_lo, v3
	v_and_b32_e32 v1, v1, v19
	v_lshlrev_b32_e32 v19, 29, v0
	v_and_b32_e32 v2, v2, v3
	v_not_b32_e32 v3, v19
	v_cmp_gt_i64_e32 vcc, 0, v[18:19]
	v_ashrrev_i32_e32 v3, 31, v3
	v_xor_b32_e32 v19, vcc_hi, v3
	v_xor_b32_e32 v3, vcc_lo, v3
	v_and_b32_e32 v1, v1, v19
	v_lshlrev_b32_e32 v19, 28, v0
	v_and_b32_e32 v2, v2, v3
	v_not_b32_e32 v3, v19
	v_cmp_gt_i64_e32 vcc, 0, v[18:19]
	v_ashrrev_i32_e32 v3, 31, v3
	v_xor_b32_e32 v19, vcc_hi, v3
	;; [unrolled: 8-line block ×5, first 2 shown]
	v_and_b32_e32 v1, v1, v19
	v_lshlrev_b32_e32 v19, 24, v0
	v_not_b32_e32 v0, v19
	v_xor_b32_e32 v3, vcc_lo, v3
	v_cmp_gt_i64_e32 vcc, 0, v[18:19]
	v_ashrrev_i32_e32 v0, 31, v0
	v_and_b32_e32 v2, v2, v3
	v_xor_b32_e32 v3, vcc_hi, v0
	v_xor_b32_e32 v0, vcc_lo, v0
	v_and_b32_e32 v0, v2, v0
	v_and_b32_e32 v1, v1, v3
	v_mbcnt_lo_u32_b32 v2, v0, 0
	v_mbcnt_hi_u32_b32 v27, v1, v2
	v_cmp_eq_u32_e32 vcc, 0, v27
	v_cmp_ne_u64_e64 s[26:27], 0, v[0:1]
	s_and_b64 s[46:47], s[26:27], vcc
	; wave barrier
	s_and_saveexec_b64 s[26:27], s[46:47]
	s_cbranch_execz .LBB1744_25
; %bb.24:                               ;   in Loop: Header=BB1744_19 Depth=1
	v_bcnt_u32_b32 v0, v0, 0
	v_bcnt_u32_b32 v0, v1, v0
	s_waitcnt lgkmcnt(0)
	v_add_u32_e32 v0, v25, v0
	ds_write_b32 v26, v0
.LBB1744_25:                            ;   in Loop: Header=BB1744_19 Depth=1
	s_or_b64 exec, exec, s[26:27]
	v_cmp_ne_u32_e32 vcc, s44, v43
	v_cndmask_b32_e32 v0, v28, v43, vcc
	v_lshrrev_b32_e32 v0, s36, v0
	v_and_b32_e32 v0, s45, v0
	v_lshlrev_b32_e32 v1, 2, v0
	v_add_lshl_u32 v1, v1, v30, 2
	; wave barrier
	v_add_u32_e32 v48, 16, v1
	ds_read_b32 v47, v1 offset:16
	v_and_b32_e32 v1, 1, v0
	v_add_co_u32_e32 v2, vcc, -1, v1
	v_addc_co_u32_e64 v3, s[26:27], 0, -1, vcc
	v_cmp_ne_u32_e32 vcc, 0, v1
	v_lshlrev_b32_e32 v19, 30, v0
	v_xor_b32_e32 v1, vcc_hi, v3
	v_not_b32_e32 v3, v19
	v_xor_b32_e32 v2, vcc_lo, v2
	v_cmp_gt_i64_e32 vcc, 0, v[18:19]
	v_ashrrev_i32_e32 v3, 31, v3
	v_and_b32_e32 v1, exec_hi, v1
	v_xor_b32_e32 v19, vcc_hi, v3
	v_and_b32_e32 v2, exec_lo, v2
	v_xor_b32_e32 v3, vcc_lo, v3
	v_and_b32_e32 v1, v1, v19
	v_lshlrev_b32_e32 v19, 29, v0
	v_and_b32_e32 v2, v2, v3
	v_not_b32_e32 v3, v19
	v_cmp_gt_i64_e32 vcc, 0, v[18:19]
	v_ashrrev_i32_e32 v3, 31, v3
	v_xor_b32_e32 v19, vcc_hi, v3
	v_xor_b32_e32 v3, vcc_lo, v3
	v_and_b32_e32 v1, v1, v19
	v_lshlrev_b32_e32 v19, 28, v0
	v_and_b32_e32 v2, v2, v3
	v_not_b32_e32 v3, v19
	v_cmp_gt_i64_e32 vcc, 0, v[18:19]
	v_ashrrev_i32_e32 v3, 31, v3
	v_xor_b32_e32 v19, vcc_hi, v3
	;; [unrolled: 8-line block ×5, first 2 shown]
	v_and_b32_e32 v1, v1, v19
	v_lshlrev_b32_e32 v19, 24, v0
	v_not_b32_e32 v0, v19
	v_xor_b32_e32 v3, vcc_lo, v3
	v_cmp_gt_i64_e32 vcc, 0, v[18:19]
	v_ashrrev_i32_e32 v0, 31, v0
	v_and_b32_e32 v2, v2, v3
	v_xor_b32_e32 v3, vcc_hi, v0
	v_xor_b32_e32 v0, vcc_lo, v0
	v_and_b32_e32 v0, v2, v0
	v_and_b32_e32 v1, v1, v3
	v_mbcnt_lo_u32_b32 v2, v0, 0
	v_mbcnt_hi_u32_b32 v19, v1, v2
	v_cmp_eq_u32_e32 vcc, 0, v19
	v_cmp_ne_u64_e64 s[26:27], 0, v[0:1]
	s_and_b64 s[46:47], s[26:27], vcc
	; wave barrier
	s_and_saveexec_b64 s[26:27], s[46:47]
	s_cbranch_execz .LBB1744_27
; %bb.26:                               ;   in Loop: Header=BB1744_19 Depth=1
	v_bcnt_u32_b32 v0, v0, 0
	v_bcnt_u32_b32 v0, v1, v0
	s_waitcnt lgkmcnt(0)
	v_add_u32_e32 v0, v47, v0
	ds_write_b32 v48, v0
.LBB1744_27:                            ;   in Loop: Header=BB1744_19 Depth=1
	s_or_b64 exec, exec, s[26:27]
	; wave barrier
	s_waitcnt lgkmcnt(0)
	s_barrier
	ds_read2_b64 v[0:3], v29 offset0:2 offset1:3
	s_waitcnt lgkmcnt(0)
	v_add_u32_e32 v49, v1, v0
	v_add3_u32 v3, v49, v2, v3
	s_nop 1
	v_mov_b32_dpp v49, v3 row_shr:1 row_mask:0xf bank_mask:0xf
	v_cndmask_b32_e64 v49, v49, 0, s[0:1]
	v_add_u32_e32 v3, v49, v3
	s_nop 1
	v_mov_b32_dpp v49, v3 row_shr:2 row_mask:0xf bank_mask:0xf
	v_cndmask_b32_e64 v49, 0, v49, s[2:3]
	v_add_u32_e32 v3, v3, v49
	;; [unrolled: 4-line block ×4, first 2 shown]
	s_nop 1
	v_mov_b32_dpp v49, v3 row_bcast:15 row_mask:0xf bank_mask:0xf
	v_cndmask_b32_e64 v49, v49, 0, s[8:9]
	v_add_u32_e32 v3, v3, v49
	s_nop 1
	v_mov_b32_dpp v49, v3 row_bcast:31 row_mask:0xf bank_mask:0xf
	v_cndmask_b32_e64 v49, 0, v49, s[10:11]
	v_add_u32_e32 v3, v3, v49
	s_and_saveexec_b64 s[26:27], s[12:13]
	s_cbranch_execz .LBB1744_29
; %bb.28:                               ;   in Loop: Header=BB1744_19 Depth=1
	ds_write_b32 v33, v3
.LBB1744_29:                            ;   in Loop: Header=BB1744_19 Depth=1
	s_or_b64 exec, exec, s[26:27]
	s_waitcnt lgkmcnt(0)
	s_barrier
	s_and_saveexec_b64 s[26:27], s[14:15]
	s_cbranch_execz .LBB1744_31
; %bb.30:                               ;   in Loop: Header=BB1744_19 Depth=1
	v_add_u32_e32 v49, v29, v31
	ds_read_b32 v50, v49
	s_waitcnt lgkmcnt(0)
	s_nop 0
	v_mov_b32_dpp v51, v50 row_shr:1 row_mask:0xf bank_mask:0xf
	v_cndmask_b32_e64 v51, v51, 0, s[22:23]
	v_add_u32_e32 v50, v51, v50
	s_nop 1
	v_mov_b32_dpp v51, v50 row_shr:2 row_mask:0xf bank_mask:0xf
	v_cndmask_b32_e64 v51, 0, v51, s[24:25]
	v_add_u32_e32 v50, v50, v51
	ds_write_b32 v49, v50
.LBB1744_31:                            ;   in Loop: Header=BB1744_19 Depth=1
	s_or_b64 exec, exec, s[26:27]
	v_mov_b32_e32 v49, 0
	s_waitcnt lgkmcnt(0)
	s_barrier
	s_and_saveexec_b64 s[26:27], s[16:17]
	s_cbranch_execz .LBB1744_33
; %bb.32:                               ;   in Loop: Header=BB1744_19 Depth=1
	ds_read_b32 v49, v34
.LBB1744_33:                            ;   in Loop: Header=BB1744_19 Depth=1
	s_or_b64 exec, exec, s[26:27]
	s_waitcnt lgkmcnt(0)
	v_add_u32_e32 v3, v49, v3
	ds_bpermute_b32 v3, v32, v3
	s_add_i32 s36, s36, 8
	s_cmp_ge_u32 s36, s40
	s_waitcnt lgkmcnt(0)
	v_cndmask_b32_e64 v3, v3, v49, s[18:19]
	v_cndmask_b32_e64 v50, v3, 0, s[20:21]
	v_add_u32_e32 v51, v50, v0
	v_add_u32_e32 v0, v51, v1
	;; [unrolled: 1-line block ×3, first 2 shown]
	ds_write2_b64 v29, v[50:51], v[0:1] offset0:2 offset1:3
	s_waitcnt lgkmcnt(0)
	s_barrier
	ds_read_b32 v0, v20
	ds_read_b32 v1, v23
	;; [unrolled: 1-line block ×4, first 2 shown]
	s_waitcnt lgkmcnt(0)
	v_add_u32_e32 v49, v0, v21
	v_add3_u32 v48, v24, v22, v1
	v_add3_u32 v1, v27, v25, v2
	;; [unrolled: 1-line block ×3, first 2 shown]
	v_lshlrev_b32_e32 v53, 2, v49
	v_lshlrev_b32_e32 v52, 2, v48
	;; [unrolled: 1-line block ×4, first 2 shown]
	s_cbranch_scc0 .LBB1744_18
; %bb.34:
                                        ; implicit-def: $vgpr47
                                        ; implicit-def: $vgpr19
                                        ; implicit-def: $vgpr3
                                        ; implicit-def: $vgpr2
                                        ; implicit-def: $sgpr36
                                        ; implicit-def: $vgpr20_vgpr21
                                        ; implicit-def: $vgpr22_vgpr23
                                        ; implicit-def: $vgpr24_vgpr25
                                        ; implicit-def: $vgpr26_vgpr27
.LBB1744_35:
	s_barrier
	ds_write_b32 v53, v46
	ds_write_b32 v52, v45
	;; [unrolled: 1-line block ×4, first 2 shown]
	s_waitcnt lgkmcnt(0)
	s_barrier
	v_add_u32_e32 v2, v29, v31
	ds_read2st64_b32 v[18:19], v9 offset0:4 offset1:8
	ds_read_b32 v20, v2
	ds_read_b32 v21, v9 offset:3072
	v_lshl_add_u32 v2, v49, 2, v53
	s_waitcnt lgkmcnt(0)
	s_barrier
	ds_write_b64 v2, v[16:17]
	v_lshl_add_u32 v2, v48, 2, v52
	v_lshl_add_u32 v1, v1, 2, v51
	;; [unrolled: 1-line block ×3, first 2 shown]
	ds_write_b64 v2, v[14:15]
	ds_write_b64 v1, v[12:13]
	;; [unrolled: 1-line block ×3, first 2 shown]
	v_bfrev_b32_e32 v10, 1
	v_cmp_lt_i32_e32 vcc, -1, v20
	v_cndmask_b32_e64 v11, v10, -1, vcc
	v_cmp_lt_i32_e32 vcc, -1, v18
	v_add_u32_e32 v0, v9, v9
	v_xor_b32_e32 v16, v11, v20
	v_cndmask_b32_e64 v11, v10, -1, vcc
	v_cmp_lt_i32_e32 vcc, -1, v19
	s_waitcnt lgkmcnt(0)
	s_barrier
	ds_read2st64_b64 v[4:7], v0 offset1:4
	ds_read2st64_b64 v[0:3], v0 offset0:8 offset1:12
	v_xor_b32_e32 v15, v11, v18
	v_cndmask_b32_e64 v11, v10, -1, vcc
	v_cmp_lt_i32_e32 vcc, -1, v21
	s_add_u32 s0, s38, s34
	v_cndmask_b32_e64 v10, v10, -1, vcc
	s_addc_u32 s1, s39, s35
	v_xor_b32_e32 v14, v11, v19
	v_xor_b32_e32 v13, v10, v21
	v_mov_b32_e32 v11, s1
	v_add_co_u32_e32 v10, vcc, s0, v9
	v_addc_co_u32_e32 v11, vcc, 0, v11, vcc
	s_andn2_b64 vcc, exec, s[30:31]
	v_lshlrev_b32_e32 v12, 3, v8
	s_cbranch_vccnz .LBB1744_37
; %bb.36:
	s_lshl_b64 s[0:1], s[28:29], 3
	s_add_u32 s0, s42, s0
	s_addc_u32 s1, s43, s1
	v_mov_b32_e32 v9, s1
	v_add_co_u32_e32 v17, vcc, s0, v12
	v_addc_co_u32_e32 v9, vcc, 0, v9, vcc
	v_add_co_u32_e32 v18, vcc, 0x1000, v17
	global_store_dword v[10:11], v16, off
	global_store_dword v[10:11], v15, off offset:1024
	global_store_dword v[10:11], v14, off offset:2048
	;; [unrolled: 1-line block ×3, first 2 shown]
	s_waitcnt lgkmcnt(1)
	global_store_dwordx2 v12, v[4:5], s[0:1]
	global_store_dwordx2 v12, v[6:7], s[0:1] offset:2048
	v_addc_co_u32_e32 v19, vcc, 0, v9, vcc
	s_mov_b64 s[6:7], -1
	s_waitcnt lgkmcnt(0)
	global_store_dwordx2 v[18:19], v[0:1], off
	s_cbranch_execz .LBB1744_38
	s_branch .LBB1744_51
.LBB1744_37:
	s_mov_b64 s[6:7], 0
.LBB1744_38:
	v_cmp_gt_u32_e32 vcc, s33, v8
	s_and_saveexec_b64 s[0:1], vcc
	s_cbranch_execz .LBB1744_40
; %bb.39:
	global_store_dword v[10:11], v16, off
.LBB1744_40:
	s_or_b64 exec, exec, s[0:1]
	v_add_u32_e32 v9, 0x100, v8
	v_cmp_gt_u32_e64 s[0:1], s33, v9
	s_and_saveexec_b64 s[2:3], s[0:1]
	s_cbranch_execz .LBB1744_42
; %bb.41:
	global_store_dword v[10:11], v15, off offset:1024
.LBB1744_42:
	s_or_b64 exec, exec, s[2:3]
	v_add_u32_e32 v9, 0x200, v8
	v_cmp_gt_u32_e64 s[2:3], s33, v9
	s_and_saveexec_b64 s[4:5], s[2:3]
	s_cbranch_execz .LBB1744_44
; %bb.43:
	global_store_dword v[10:11], v14, off offset:2048
.LBB1744_44:
	;; [unrolled: 8-line block ×3, first 2 shown]
	s_or_b64 exec, exec, s[4:5]
	s_lshl_b64 s[4:5], s[28:29], 3
	s_add_u32 s4, s42, s4
	s_addc_u32 s5, s43, s5
	v_mov_b32_e32 v9, s5
	v_add_co_u32_e64 v8, s[4:5], s4, v12
	v_addc_co_u32_e64 v9, s[4:5], 0, v9, s[4:5]
	s_and_saveexec_b64 s[4:5], vcc
	s_cbranch_execnz .LBB1744_57
; %bb.47:
	s_or_b64 exec, exec, s[4:5]
	s_and_saveexec_b64 s[4:5], s[0:1]
	s_cbranch_execnz .LBB1744_58
.LBB1744_48:
	s_or_b64 exec, exec, s[4:5]
	s_and_saveexec_b64 s[0:1], s[2:3]
	s_cbranch_execz .LBB1744_50
.LBB1744_49:
	s_waitcnt lgkmcnt(1)
	v_add_co_u32_e32 v4, vcc, 0x1000, v8
	v_addc_co_u32_e32 v5, vcc, 0, v9, vcc
	s_waitcnt lgkmcnt(0)
	global_store_dwordx2 v[4:5], v[0:1], off
.LBB1744_50:
	s_or_b64 exec, exec, s[0:1]
.LBB1744_51:
	s_and_saveexec_b64 s[0:1], s[6:7]
	s_cbranch_execnz .LBB1744_53
; %bb.52:
	s_endpgm
.LBB1744_53:
	s_lshl_b64 s[0:1], s[28:29], 3
	s_add_u32 s0, s42, s0
	s_addc_u32 s1, s43, s1
	s_waitcnt lgkmcnt(0)
	v_mov_b32_e32 v0, s1
	v_add_co_u32_e32 v1, vcc, s0, v12
	v_addc_co_u32_e32 v4, vcc, 0, v0, vcc
	v_add_co_u32_e32 v0, vcc, 0x1000, v1
	v_addc_co_u32_e32 v1, vcc, 0, v4, vcc
	global_store_dwordx2 v[0:1], v[2:3], off offset:2048
	s_endpgm
.LBB1744_54:
	global_load_dwordx2 v[20:21], v[6:7], off
	s_or_b64 exec, exec, s[8:9]
                                        ; implicit-def: $vgpr22_vgpr23
	s_and_saveexec_b64 s[8:9], s[0:1]
	s_cbranch_execz .LBB1744_13
.LBB1744_55:
	global_load_dwordx2 v[22:23], v[6:7], off offset:512
	s_or_b64 exec, exec, s[8:9]
                                        ; implicit-def: $vgpr24_vgpr25
	s_and_saveexec_b64 s[0:1], s[2:3]
	s_cbranch_execz .LBB1744_14
.LBB1744_56:
	global_load_dwordx2 v[24:25], v[6:7], off offset:1024
	s_or_b64 exec, exec, s[0:1]
                                        ; implicit-def: $vgpr26_vgpr27
	s_and_saveexec_b64 s[0:1], s[6:7]
	s_cbranch_execnz .LBB1744_15
	s_branch .LBB1744_16
.LBB1744_57:
	s_waitcnt lgkmcnt(1)
	global_store_dwordx2 v[8:9], v[4:5], off
	s_or_b64 exec, exec, s[4:5]
	s_and_saveexec_b64 s[4:5], s[0:1]
	s_cbranch_execz .LBB1744_48
.LBB1744_58:
	s_waitcnt lgkmcnt(1)
	global_store_dwordx2 v[8:9], v[6:7], off offset:2048
	s_or_b64 exec, exec, s[4:5]
	s_and_saveexec_b64 s[0:1], s[2:3]
	s_cbranch_execnz .LBB1744_49
	s_branch .LBB1744_50
	.section	.rodata,"a",@progbits
	.p2align	6, 0x0
	.amdhsa_kernel _ZN7rocprim17ROCPRIM_400000_NS6detail17trampoline_kernelINS0_13kernel_configILj256ELj4ELj4294967295EEENS1_37radix_sort_block_sort_config_selectorIflEEZNS1_21radix_sort_block_sortIS4_Lb0EPfS8_N6thrust23THRUST_200600_302600_NS10device_ptrIlEESC_NS0_19identity_decomposerEEE10hipError_tT1_T2_T3_T4_jRjT5_jjP12ihipStream_tbEUlT_E_NS1_11comp_targetILNS1_3genE4ELNS1_11target_archE910ELNS1_3gpuE8ELNS1_3repE0EEENS1_44radix_sort_block_sort_config_static_selectorELNS0_4arch9wavefront6targetE1EEEvSF_
		.amdhsa_group_segment_fixed_size 8192
		.amdhsa_private_segment_fixed_size 0
		.amdhsa_kernarg_size 304
		.amdhsa_user_sgpr_count 6
		.amdhsa_user_sgpr_private_segment_buffer 1
		.amdhsa_user_sgpr_dispatch_ptr 0
		.amdhsa_user_sgpr_queue_ptr 0
		.amdhsa_user_sgpr_kernarg_segment_ptr 1
		.amdhsa_user_sgpr_dispatch_id 0
		.amdhsa_user_sgpr_flat_scratch_init 0
		.amdhsa_user_sgpr_kernarg_preload_length 0
		.amdhsa_user_sgpr_kernarg_preload_offset 0
		.amdhsa_user_sgpr_private_segment_size 0
		.amdhsa_uses_dynamic_stack 0
		.amdhsa_system_sgpr_private_segment_wavefront_offset 0
		.amdhsa_system_sgpr_workgroup_id_x 1
		.amdhsa_system_sgpr_workgroup_id_y 0
		.amdhsa_system_sgpr_workgroup_id_z 0
		.amdhsa_system_sgpr_workgroup_info 0
		.amdhsa_system_vgpr_workitem_id 2
		.amdhsa_next_free_vgpr 54
		.amdhsa_next_free_sgpr 48
		.amdhsa_accum_offset 56
		.amdhsa_reserve_vcc 1
		.amdhsa_reserve_flat_scratch 0
		.amdhsa_float_round_mode_32 0
		.amdhsa_float_round_mode_16_64 0
		.amdhsa_float_denorm_mode_32 3
		.amdhsa_float_denorm_mode_16_64 3
		.amdhsa_dx10_clamp 1
		.amdhsa_ieee_mode 1
		.amdhsa_fp16_overflow 0
		.amdhsa_tg_split 0
		.amdhsa_exception_fp_ieee_invalid_op 0
		.amdhsa_exception_fp_denorm_src 0
		.amdhsa_exception_fp_ieee_div_zero 0
		.amdhsa_exception_fp_ieee_overflow 0
		.amdhsa_exception_fp_ieee_underflow 0
		.amdhsa_exception_fp_ieee_inexact 0
		.amdhsa_exception_int_div_zero 0
	.end_amdhsa_kernel
	.section	.text._ZN7rocprim17ROCPRIM_400000_NS6detail17trampoline_kernelINS0_13kernel_configILj256ELj4ELj4294967295EEENS1_37radix_sort_block_sort_config_selectorIflEEZNS1_21radix_sort_block_sortIS4_Lb0EPfS8_N6thrust23THRUST_200600_302600_NS10device_ptrIlEESC_NS0_19identity_decomposerEEE10hipError_tT1_T2_T3_T4_jRjT5_jjP12ihipStream_tbEUlT_E_NS1_11comp_targetILNS1_3genE4ELNS1_11target_archE910ELNS1_3gpuE8ELNS1_3repE0EEENS1_44radix_sort_block_sort_config_static_selectorELNS0_4arch9wavefront6targetE1EEEvSF_,"axG",@progbits,_ZN7rocprim17ROCPRIM_400000_NS6detail17trampoline_kernelINS0_13kernel_configILj256ELj4ELj4294967295EEENS1_37radix_sort_block_sort_config_selectorIflEEZNS1_21radix_sort_block_sortIS4_Lb0EPfS8_N6thrust23THRUST_200600_302600_NS10device_ptrIlEESC_NS0_19identity_decomposerEEE10hipError_tT1_T2_T3_T4_jRjT5_jjP12ihipStream_tbEUlT_E_NS1_11comp_targetILNS1_3genE4ELNS1_11target_archE910ELNS1_3gpuE8ELNS1_3repE0EEENS1_44radix_sort_block_sort_config_static_selectorELNS0_4arch9wavefront6targetE1EEEvSF_,comdat
.Lfunc_end1744:
	.size	_ZN7rocprim17ROCPRIM_400000_NS6detail17trampoline_kernelINS0_13kernel_configILj256ELj4ELj4294967295EEENS1_37radix_sort_block_sort_config_selectorIflEEZNS1_21radix_sort_block_sortIS4_Lb0EPfS8_N6thrust23THRUST_200600_302600_NS10device_ptrIlEESC_NS0_19identity_decomposerEEE10hipError_tT1_T2_T3_T4_jRjT5_jjP12ihipStream_tbEUlT_E_NS1_11comp_targetILNS1_3genE4ELNS1_11target_archE910ELNS1_3gpuE8ELNS1_3repE0EEENS1_44radix_sort_block_sort_config_static_selectorELNS0_4arch9wavefront6targetE1EEEvSF_, .Lfunc_end1744-_ZN7rocprim17ROCPRIM_400000_NS6detail17trampoline_kernelINS0_13kernel_configILj256ELj4ELj4294967295EEENS1_37radix_sort_block_sort_config_selectorIflEEZNS1_21radix_sort_block_sortIS4_Lb0EPfS8_N6thrust23THRUST_200600_302600_NS10device_ptrIlEESC_NS0_19identity_decomposerEEE10hipError_tT1_T2_T3_T4_jRjT5_jjP12ihipStream_tbEUlT_E_NS1_11comp_targetILNS1_3genE4ELNS1_11target_archE910ELNS1_3gpuE8ELNS1_3repE0EEENS1_44radix_sort_block_sort_config_static_selectorELNS0_4arch9wavefront6targetE1EEEvSF_
                                        ; -- End function
	.section	.AMDGPU.csdata,"",@progbits
; Kernel info:
; codeLenInByte = 4024
; NumSgprs: 52
; NumVgprs: 54
; NumAgprs: 0
; TotalNumVgprs: 54
; ScratchSize: 0
; MemoryBound: 0
; FloatMode: 240
; IeeeMode: 1
; LDSByteSize: 8192 bytes/workgroup (compile time only)
; SGPRBlocks: 6
; VGPRBlocks: 6
; NumSGPRsForWavesPerEU: 52
; NumVGPRsForWavesPerEU: 54
; AccumOffset: 56
; Occupancy: 8
; WaveLimiterHint : 1
; COMPUTE_PGM_RSRC2:SCRATCH_EN: 0
; COMPUTE_PGM_RSRC2:USER_SGPR: 6
; COMPUTE_PGM_RSRC2:TRAP_HANDLER: 0
; COMPUTE_PGM_RSRC2:TGID_X_EN: 1
; COMPUTE_PGM_RSRC2:TGID_Y_EN: 0
; COMPUTE_PGM_RSRC2:TGID_Z_EN: 0
; COMPUTE_PGM_RSRC2:TIDIG_COMP_CNT: 2
; COMPUTE_PGM_RSRC3_GFX90A:ACCUM_OFFSET: 13
; COMPUTE_PGM_RSRC3_GFX90A:TG_SPLIT: 0
	.section	.text._ZN7rocprim17ROCPRIM_400000_NS6detail17trampoline_kernelINS0_13kernel_configILj256ELj4ELj4294967295EEENS1_37radix_sort_block_sort_config_selectorIflEEZNS1_21radix_sort_block_sortIS4_Lb0EPfS8_N6thrust23THRUST_200600_302600_NS10device_ptrIlEESC_NS0_19identity_decomposerEEE10hipError_tT1_T2_T3_T4_jRjT5_jjP12ihipStream_tbEUlT_E_NS1_11comp_targetILNS1_3genE3ELNS1_11target_archE908ELNS1_3gpuE7ELNS1_3repE0EEENS1_44radix_sort_block_sort_config_static_selectorELNS0_4arch9wavefront6targetE1EEEvSF_,"axG",@progbits,_ZN7rocprim17ROCPRIM_400000_NS6detail17trampoline_kernelINS0_13kernel_configILj256ELj4ELj4294967295EEENS1_37radix_sort_block_sort_config_selectorIflEEZNS1_21radix_sort_block_sortIS4_Lb0EPfS8_N6thrust23THRUST_200600_302600_NS10device_ptrIlEESC_NS0_19identity_decomposerEEE10hipError_tT1_T2_T3_T4_jRjT5_jjP12ihipStream_tbEUlT_E_NS1_11comp_targetILNS1_3genE3ELNS1_11target_archE908ELNS1_3gpuE7ELNS1_3repE0EEENS1_44radix_sort_block_sort_config_static_selectorELNS0_4arch9wavefront6targetE1EEEvSF_,comdat
	.protected	_ZN7rocprim17ROCPRIM_400000_NS6detail17trampoline_kernelINS0_13kernel_configILj256ELj4ELj4294967295EEENS1_37radix_sort_block_sort_config_selectorIflEEZNS1_21radix_sort_block_sortIS4_Lb0EPfS8_N6thrust23THRUST_200600_302600_NS10device_ptrIlEESC_NS0_19identity_decomposerEEE10hipError_tT1_T2_T3_T4_jRjT5_jjP12ihipStream_tbEUlT_E_NS1_11comp_targetILNS1_3genE3ELNS1_11target_archE908ELNS1_3gpuE7ELNS1_3repE0EEENS1_44radix_sort_block_sort_config_static_selectorELNS0_4arch9wavefront6targetE1EEEvSF_ ; -- Begin function _ZN7rocprim17ROCPRIM_400000_NS6detail17trampoline_kernelINS0_13kernel_configILj256ELj4ELj4294967295EEENS1_37radix_sort_block_sort_config_selectorIflEEZNS1_21radix_sort_block_sortIS4_Lb0EPfS8_N6thrust23THRUST_200600_302600_NS10device_ptrIlEESC_NS0_19identity_decomposerEEE10hipError_tT1_T2_T3_T4_jRjT5_jjP12ihipStream_tbEUlT_E_NS1_11comp_targetILNS1_3genE3ELNS1_11target_archE908ELNS1_3gpuE7ELNS1_3repE0EEENS1_44radix_sort_block_sort_config_static_selectorELNS0_4arch9wavefront6targetE1EEEvSF_
	.globl	_ZN7rocprim17ROCPRIM_400000_NS6detail17trampoline_kernelINS0_13kernel_configILj256ELj4ELj4294967295EEENS1_37radix_sort_block_sort_config_selectorIflEEZNS1_21radix_sort_block_sortIS4_Lb0EPfS8_N6thrust23THRUST_200600_302600_NS10device_ptrIlEESC_NS0_19identity_decomposerEEE10hipError_tT1_T2_T3_T4_jRjT5_jjP12ihipStream_tbEUlT_E_NS1_11comp_targetILNS1_3genE3ELNS1_11target_archE908ELNS1_3gpuE7ELNS1_3repE0EEENS1_44radix_sort_block_sort_config_static_selectorELNS0_4arch9wavefront6targetE1EEEvSF_
	.p2align	8
	.type	_ZN7rocprim17ROCPRIM_400000_NS6detail17trampoline_kernelINS0_13kernel_configILj256ELj4ELj4294967295EEENS1_37radix_sort_block_sort_config_selectorIflEEZNS1_21radix_sort_block_sortIS4_Lb0EPfS8_N6thrust23THRUST_200600_302600_NS10device_ptrIlEESC_NS0_19identity_decomposerEEE10hipError_tT1_T2_T3_T4_jRjT5_jjP12ihipStream_tbEUlT_E_NS1_11comp_targetILNS1_3genE3ELNS1_11target_archE908ELNS1_3gpuE7ELNS1_3repE0EEENS1_44radix_sort_block_sort_config_static_selectorELNS0_4arch9wavefront6targetE1EEEvSF_,@function
_ZN7rocprim17ROCPRIM_400000_NS6detail17trampoline_kernelINS0_13kernel_configILj256ELj4ELj4294967295EEENS1_37radix_sort_block_sort_config_selectorIflEEZNS1_21radix_sort_block_sortIS4_Lb0EPfS8_N6thrust23THRUST_200600_302600_NS10device_ptrIlEESC_NS0_19identity_decomposerEEE10hipError_tT1_T2_T3_T4_jRjT5_jjP12ihipStream_tbEUlT_E_NS1_11comp_targetILNS1_3genE3ELNS1_11target_archE908ELNS1_3gpuE7ELNS1_3repE0EEENS1_44radix_sort_block_sort_config_static_selectorELNS0_4arch9wavefront6targetE1EEEvSF_: ; @_ZN7rocprim17ROCPRIM_400000_NS6detail17trampoline_kernelINS0_13kernel_configILj256ELj4ELj4294967295EEENS1_37radix_sort_block_sort_config_selectorIflEEZNS1_21radix_sort_block_sortIS4_Lb0EPfS8_N6thrust23THRUST_200600_302600_NS10device_ptrIlEESC_NS0_19identity_decomposerEEE10hipError_tT1_T2_T3_T4_jRjT5_jjP12ihipStream_tbEUlT_E_NS1_11comp_targetILNS1_3genE3ELNS1_11target_archE908ELNS1_3gpuE7ELNS1_3repE0EEENS1_44radix_sort_block_sort_config_static_selectorELNS0_4arch9wavefront6targetE1EEEvSF_
; %bb.0:
	.section	.rodata,"a",@progbits
	.p2align	6, 0x0
	.amdhsa_kernel _ZN7rocprim17ROCPRIM_400000_NS6detail17trampoline_kernelINS0_13kernel_configILj256ELj4ELj4294967295EEENS1_37radix_sort_block_sort_config_selectorIflEEZNS1_21radix_sort_block_sortIS4_Lb0EPfS8_N6thrust23THRUST_200600_302600_NS10device_ptrIlEESC_NS0_19identity_decomposerEEE10hipError_tT1_T2_T3_T4_jRjT5_jjP12ihipStream_tbEUlT_E_NS1_11comp_targetILNS1_3genE3ELNS1_11target_archE908ELNS1_3gpuE7ELNS1_3repE0EEENS1_44radix_sort_block_sort_config_static_selectorELNS0_4arch9wavefront6targetE1EEEvSF_
		.amdhsa_group_segment_fixed_size 0
		.amdhsa_private_segment_fixed_size 0
		.amdhsa_kernarg_size 48
		.amdhsa_user_sgpr_count 6
		.amdhsa_user_sgpr_private_segment_buffer 1
		.amdhsa_user_sgpr_dispatch_ptr 0
		.amdhsa_user_sgpr_queue_ptr 0
		.amdhsa_user_sgpr_kernarg_segment_ptr 1
		.amdhsa_user_sgpr_dispatch_id 0
		.amdhsa_user_sgpr_flat_scratch_init 0
		.amdhsa_user_sgpr_kernarg_preload_length 0
		.amdhsa_user_sgpr_kernarg_preload_offset 0
		.amdhsa_user_sgpr_private_segment_size 0
		.amdhsa_uses_dynamic_stack 0
		.amdhsa_system_sgpr_private_segment_wavefront_offset 0
		.amdhsa_system_sgpr_workgroup_id_x 1
		.amdhsa_system_sgpr_workgroup_id_y 0
		.amdhsa_system_sgpr_workgroup_id_z 0
		.amdhsa_system_sgpr_workgroup_info 0
		.amdhsa_system_vgpr_workitem_id 0
		.amdhsa_next_free_vgpr 1
		.amdhsa_next_free_sgpr 0
		.amdhsa_accum_offset 4
		.amdhsa_reserve_vcc 0
		.amdhsa_reserve_flat_scratch 0
		.amdhsa_float_round_mode_32 0
		.amdhsa_float_round_mode_16_64 0
		.amdhsa_float_denorm_mode_32 3
		.amdhsa_float_denorm_mode_16_64 3
		.amdhsa_dx10_clamp 1
		.amdhsa_ieee_mode 1
		.amdhsa_fp16_overflow 0
		.amdhsa_tg_split 0
		.amdhsa_exception_fp_ieee_invalid_op 0
		.amdhsa_exception_fp_denorm_src 0
		.amdhsa_exception_fp_ieee_div_zero 0
		.amdhsa_exception_fp_ieee_overflow 0
		.amdhsa_exception_fp_ieee_underflow 0
		.amdhsa_exception_fp_ieee_inexact 0
		.amdhsa_exception_int_div_zero 0
	.end_amdhsa_kernel
	.section	.text._ZN7rocprim17ROCPRIM_400000_NS6detail17trampoline_kernelINS0_13kernel_configILj256ELj4ELj4294967295EEENS1_37radix_sort_block_sort_config_selectorIflEEZNS1_21radix_sort_block_sortIS4_Lb0EPfS8_N6thrust23THRUST_200600_302600_NS10device_ptrIlEESC_NS0_19identity_decomposerEEE10hipError_tT1_T2_T3_T4_jRjT5_jjP12ihipStream_tbEUlT_E_NS1_11comp_targetILNS1_3genE3ELNS1_11target_archE908ELNS1_3gpuE7ELNS1_3repE0EEENS1_44radix_sort_block_sort_config_static_selectorELNS0_4arch9wavefront6targetE1EEEvSF_,"axG",@progbits,_ZN7rocprim17ROCPRIM_400000_NS6detail17trampoline_kernelINS0_13kernel_configILj256ELj4ELj4294967295EEENS1_37radix_sort_block_sort_config_selectorIflEEZNS1_21radix_sort_block_sortIS4_Lb0EPfS8_N6thrust23THRUST_200600_302600_NS10device_ptrIlEESC_NS0_19identity_decomposerEEE10hipError_tT1_T2_T3_T4_jRjT5_jjP12ihipStream_tbEUlT_E_NS1_11comp_targetILNS1_3genE3ELNS1_11target_archE908ELNS1_3gpuE7ELNS1_3repE0EEENS1_44radix_sort_block_sort_config_static_selectorELNS0_4arch9wavefront6targetE1EEEvSF_,comdat
.Lfunc_end1745:
	.size	_ZN7rocprim17ROCPRIM_400000_NS6detail17trampoline_kernelINS0_13kernel_configILj256ELj4ELj4294967295EEENS1_37radix_sort_block_sort_config_selectorIflEEZNS1_21radix_sort_block_sortIS4_Lb0EPfS8_N6thrust23THRUST_200600_302600_NS10device_ptrIlEESC_NS0_19identity_decomposerEEE10hipError_tT1_T2_T3_T4_jRjT5_jjP12ihipStream_tbEUlT_E_NS1_11comp_targetILNS1_3genE3ELNS1_11target_archE908ELNS1_3gpuE7ELNS1_3repE0EEENS1_44radix_sort_block_sort_config_static_selectorELNS0_4arch9wavefront6targetE1EEEvSF_, .Lfunc_end1745-_ZN7rocprim17ROCPRIM_400000_NS6detail17trampoline_kernelINS0_13kernel_configILj256ELj4ELj4294967295EEENS1_37radix_sort_block_sort_config_selectorIflEEZNS1_21radix_sort_block_sortIS4_Lb0EPfS8_N6thrust23THRUST_200600_302600_NS10device_ptrIlEESC_NS0_19identity_decomposerEEE10hipError_tT1_T2_T3_T4_jRjT5_jjP12ihipStream_tbEUlT_E_NS1_11comp_targetILNS1_3genE3ELNS1_11target_archE908ELNS1_3gpuE7ELNS1_3repE0EEENS1_44radix_sort_block_sort_config_static_selectorELNS0_4arch9wavefront6targetE1EEEvSF_
                                        ; -- End function
	.section	.AMDGPU.csdata,"",@progbits
; Kernel info:
; codeLenInByte = 0
; NumSgprs: 4
; NumVgprs: 0
; NumAgprs: 0
; TotalNumVgprs: 0
; ScratchSize: 0
; MemoryBound: 0
; FloatMode: 240
; IeeeMode: 1
; LDSByteSize: 0 bytes/workgroup (compile time only)
; SGPRBlocks: 0
; VGPRBlocks: 0
; NumSGPRsForWavesPerEU: 4
; NumVGPRsForWavesPerEU: 1
; AccumOffset: 4
; Occupancy: 8
; WaveLimiterHint : 0
; COMPUTE_PGM_RSRC2:SCRATCH_EN: 0
; COMPUTE_PGM_RSRC2:USER_SGPR: 6
; COMPUTE_PGM_RSRC2:TRAP_HANDLER: 0
; COMPUTE_PGM_RSRC2:TGID_X_EN: 1
; COMPUTE_PGM_RSRC2:TGID_Y_EN: 0
; COMPUTE_PGM_RSRC2:TGID_Z_EN: 0
; COMPUTE_PGM_RSRC2:TIDIG_COMP_CNT: 0
; COMPUTE_PGM_RSRC3_GFX90A:ACCUM_OFFSET: 0
; COMPUTE_PGM_RSRC3_GFX90A:TG_SPLIT: 0
	.section	.text._ZN7rocprim17ROCPRIM_400000_NS6detail17trampoline_kernelINS0_13kernel_configILj256ELj4ELj4294967295EEENS1_37radix_sort_block_sort_config_selectorIflEEZNS1_21radix_sort_block_sortIS4_Lb0EPfS8_N6thrust23THRUST_200600_302600_NS10device_ptrIlEESC_NS0_19identity_decomposerEEE10hipError_tT1_T2_T3_T4_jRjT5_jjP12ihipStream_tbEUlT_E_NS1_11comp_targetILNS1_3genE2ELNS1_11target_archE906ELNS1_3gpuE6ELNS1_3repE0EEENS1_44radix_sort_block_sort_config_static_selectorELNS0_4arch9wavefront6targetE1EEEvSF_,"axG",@progbits,_ZN7rocprim17ROCPRIM_400000_NS6detail17trampoline_kernelINS0_13kernel_configILj256ELj4ELj4294967295EEENS1_37radix_sort_block_sort_config_selectorIflEEZNS1_21radix_sort_block_sortIS4_Lb0EPfS8_N6thrust23THRUST_200600_302600_NS10device_ptrIlEESC_NS0_19identity_decomposerEEE10hipError_tT1_T2_T3_T4_jRjT5_jjP12ihipStream_tbEUlT_E_NS1_11comp_targetILNS1_3genE2ELNS1_11target_archE906ELNS1_3gpuE6ELNS1_3repE0EEENS1_44radix_sort_block_sort_config_static_selectorELNS0_4arch9wavefront6targetE1EEEvSF_,comdat
	.protected	_ZN7rocprim17ROCPRIM_400000_NS6detail17trampoline_kernelINS0_13kernel_configILj256ELj4ELj4294967295EEENS1_37radix_sort_block_sort_config_selectorIflEEZNS1_21radix_sort_block_sortIS4_Lb0EPfS8_N6thrust23THRUST_200600_302600_NS10device_ptrIlEESC_NS0_19identity_decomposerEEE10hipError_tT1_T2_T3_T4_jRjT5_jjP12ihipStream_tbEUlT_E_NS1_11comp_targetILNS1_3genE2ELNS1_11target_archE906ELNS1_3gpuE6ELNS1_3repE0EEENS1_44radix_sort_block_sort_config_static_selectorELNS0_4arch9wavefront6targetE1EEEvSF_ ; -- Begin function _ZN7rocprim17ROCPRIM_400000_NS6detail17trampoline_kernelINS0_13kernel_configILj256ELj4ELj4294967295EEENS1_37radix_sort_block_sort_config_selectorIflEEZNS1_21radix_sort_block_sortIS4_Lb0EPfS8_N6thrust23THRUST_200600_302600_NS10device_ptrIlEESC_NS0_19identity_decomposerEEE10hipError_tT1_T2_T3_T4_jRjT5_jjP12ihipStream_tbEUlT_E_NS1_11comp_targetILNS1_3genE2ELNS1_11target_archE906ELNS1_3gpuE6ELNS1_3repE0EEENS1_44radix_sort_block_sort_config_static_selectorELNS0_4arch9wavefront6targetE1EEEvSF_
	.globl	_ZN7rocprim17ROCPRIM_400000_NS6detail17trampoline_kernelINS0_13kernel_configILj256ELj4ELj4294967295EEENS1_37radix_sort_block_sort_config_selectorIflEEZNS1_21radix_sort_block_sortIS4_Lb0EPfS8_N6thrust23THRUST_200600_302600_NS10device_ptrIlEESC_NS0_19identity_decomposerEEE10hipError_tT1_T2_T3_T4_jRjT5_jjP12ihipStream_tbEUlT_E_NS1_11comp_targetILNS1_3genE2ELNS1_11target_archE906ELNS1_3gpuE6ELNS1_3repE0EEENS1_44radix_sort_block_sort_config_static_selectorELNS0_4arch9wavefront6targetE1EEEvSF_
	.p2align	8
	.type	_ZN7rocprim17ROCPRIM_400000_NS6detail17trampoline_kernelINS0_13kernel_configILj256ELj4ELj4294967295EEENS1_37radix_sort_block_sort_config_selectorIflEEZNS1_21radix_sort_block_sortIS4_Lb0EPfS8_N6thrust23THRUST_200600_302600_NS10device_ptrIlEESC_NS0_19identity_decomposerEEE10hipError_tT1_T2_T3_T4_jRjT5_jjP12ihipStream_tbEUlT_E_NS1_11comp_targetILNS1_3genE2ELNS1_11target_archE906ELNS1_3gpuE6ELNS1_3repE0EEENS1_44radix_sort_block_sort_config_static_selectorELNS0_4arch9wavefront6targetE1EEEvSF_,@function
_ZN7rocprim17ROCPRIM_400000_NS6detail17trampoline_kernelINS0_13kernel_configILj256ELj4ELj4294967295EEENS1_37radix_sort_block_sort_config_selectorIflEEZNS1_21radix_sort_block_sortIS4_Lb0EPfS8_N6thrust23THRUST_200600_302600_NS10device_ptrIlEESC_NS0_19identity_decomposerEEE10hipError_tT1_T2_T3_T4_jRjT5_jjP12ihipStream_tbEUlT_E_NS1_11comp_targetILNS1_3genE2ELNS1_11target_archE906ELNS1_3gpuE6ELNS1_3repE0EEENS1_44radix_sort_block_sort_config_static_selectorELNS0_4arch9wavefront6targetE1EEEvSF_: ; @_ZN7rocprim17ROCPRIM_400000_NS6detail17trampoline_kernelINS0_13kernel_configILj256ELj4ELj4294967295EEENS1_37radix_sort_block_sort_config_selectorIflEEZNS1_21radix_sort_block_sortIS4_Lb0EPfS8_N6thrust23THRUST_200600_302600_NS10device_ptrIlEESC_NS0_19identity_decomposerEEE10hipError_tT1_T2_T3_T4_jRjT5_jjP12ihipStream_tbEUlT_E_NS1_11comp_targetILNS1_3genE2ELNS1_11target_archE906ELNS1_3gpuE6ELNS1_3repE0EEENS1_44radix_sort_block_sort_config_static_selectorELNS0_4arch9wavefront6targetE1EEEvSF_
; %bb.0:
	.section	.rodata,"a",@progbits
	.p2align	6, 0x0
	.amdhsa_kernel _ZN7rocprim17ROCPRIM_400000_NS6detail17trampoline_kernelINS0_13kernel_configILj256ELj4ELj4294967295EEENS1_37radix_sort_block_sort_config_selectorIflEEZNS1_21radix_sort_block_sortIS4_Lb0EPfS8_N6thrust23THRUST_200600_302600_NS10device_ptrIlEESC_NS0_19identity_decomposerEEE10hipError_tT1_T2_T3_T4_jRjT5_jjP12ihipStream_tbEUlT_E_NS1_11comp_targetILNS1_3genE2ELNS1_11target_archE906ELNS1_3gpuE6ELNS1_3repE0EEENS1_44radix_sort_block_sort_config_static_selectorELNS0_4arch9wavefront6targetE1EEEvSF_
		.amdhsa_group_segment_fixed_size 0
		.amdhsa_private_segment_fixed_size 0
		.amdhsa_kernarg_size 48
		.amdhsa_user_sgpr_count 6
		.amdhsa_user_sgpr_private_segment_buffer 1
		.amdhsa_user_sgpr_dispatch_ptr 0
		.amdhsa_user_sgpr_queue_ptr 0
		.amdhsa_user_sgpr_kernarg_segment_ptr 1
		.amdhsa_user_sgpr_dispatch_id 0
		.amdhsa_user_sgpr_flat_scratch_init 0
		.amdhsa_user_sgpr_kernarg_preload_length 0
		.amdhsa_user_sgpr_kernarg_preload_offset 0
		.amdhsa_user_sgpr_private_segment_size 0
		.amdhsa_uses_dynamic_stack 0
		.amdhsa_system_sgpr_private_segment_wavefront_offset 0
		.amdhsa_system_sgpr_workgroup_id_x 1
		.amdhsa_system_sgpr_workgroup_id_y 0
		.amdhsa_system_sgpr_workgroup_id_z 0
		.amdhsa_system_sgpr_workgroup_info 0
		.amdhsa_system_vgpr_workitem_id 0
		.amdhsa_next_free_vgpr 1
		.amdhsa_next_free_sgpr 0
		.amdhsa_accum_offset 4
		.amdhsa_reserve_vcc 0
		.amdhsa_reserve_flat_scratch 0
		.amdhsa_float_round_mode_32 0
		.amdhsa_float_round_mode_16_64 0
		.amdhsa_float_denorm_mode_32 3
		.amdhsa_float_denorm_mode_16_64 3
		.amdhsa_dx10_clamp 1
		.amdhsa_ieee_mode 1
		.amdhsa_fp16_overflow 0
		.amdhsa_tg_split 0
		.amdhsa_exception_fp_ieee_invalid_op 0
		.amdhsa_exception_fp_denorm_src 0
		.amdhsa_exception_fp_ieee_div_zero 0
		.amdhsa_exception_fp_ieee_overflow 0
		.amdhsa_exception_fp_ieee_underflow 0
		.amdhsa_exception_fp_ieee_inexact 0
		.amdhsa_exception_int_div_zero 0
	.end_amdhsa_kernel
	.section	.text._ZN7rocprim17ROCPRIM_400000_NS6detail17trampoline_kernelINS0_13kernel_configILj256ELj4ELj4294967295EEENS1_37radix_sort_block_sort_config_selectorIflEEZNS1_21radix_sort_block_sortIS4_Lb0EPfS8_N6thrust23THRUST_200600_302600_NS10device_ptrIlEESC_NS0_19identity_decomposerEEE10hipError_tT1_T2_T3_T4_jRjT5_jjP12ihipStream_tbEUlT_E_NS1_11comp_targetILNS1_3genE2ELNS1_11target_archE906ELNS1_3gpuE6ELNS1_3repE0EEENS1_44radix_sort_block_sort_config_static_selectorELNS0_4arch9wavefront6targetE1EEEvSF_,"axG",@progbits,_ZN7rocprim17ROCPRIM_400000_NS6detail17trampoline_kernelINS0_13kernel_configILj256ELj4ELj4294967295EEENS1_37radix_sort_block_sort_config_selectorIflEEZNS1_21radix_sort_block_sortIS4_Lb0EPfS8_N6thrust23THRUST_200600_302600_NS10device_ptrIlEESC_NS0_19identity_decomposerEEE10hipError_tT1_T2_T3_T4_jRjT5_jjP12ihipStream_tbEUlT_E_NS1_11comp_targetILNS1_3genE2ELNS1_11target_archE906ELNS1_3gpuE6ELNS1_3repE0EEENS1_44radix_sort_block_sort_config_static_selectorELNS0_4arch9wavefront6targetE1EEEvSF_,comdat
.Lfunc_end1746:
	.size	_ZN7rocprim17ROCPRIM_400000_NS6detail17trampoline_kernelINS0_13kernel_configILj256ELj4ELj4294967295EEENS1_37radix_sort_block_sort_config_selectorIflEEZNS1_21radix_sort_block_sortIS4_Lb0EPfS8_N6thrust23THRUST_200600_302600_NS10device_ptrIlEESC_NS0_19identity_decomposerEEE10hipError_tT1_T2_T3_T4_jRjT5_jjP12ihipStream_tbEUlT_E_NS1_11comp_targetILNS1_3genE2ELNS1_11target_archE906ELNS1_3gpuE6ELNS1_3repE0EEENS1_44radix_sort_block_sort_config_static_selectorELNS0_4arch9wavefront6targetE1EEEvSF_, .Lfunc_end1746-_ZN7rocprim17ROCPRIM_400000_NS6detail17trampoline_kernelINS0_13kernel_configILj256ELj4ELj4294967295EEENS1_37radix_sort_block_sort_config_selectorIflEEZNS1_21radix_sort_block_sortIS4_Lb0EPfS8_N6thrust23THRUST_200600_302600_NS10device_ptrIlEESC_NS0_19identity_decomposerEEE10hipError_tT1_T2_T3_T4_jRjT5_jjP12ihipStream_tbEUlT_E_NS1_11comp_targetILNS1_3genE2ELNS1_11target_archE906ELNS1_3gpuE6ELNS1_3repE0EEENS1_44radix_sort_block_sort_config_static_selectorELNS0_4arch9wavefront6targetE1EEEvSF_
                                        ; -- End function
	.section	.AMDGPU.csdata,"",@progbits
; Kernel info:
; codeLenInByte = 0
; NumSgprs: 4
; NumVgprs: 0
; NumAgprs: 0
; TotalNumVgprs: 0
; ScratchSize: 0
; MemoryBound: 0
; FloatMode: 240
; IeeeMode: 1
; LDSByteSize: 0 bytes/workgroup (compile time only)
; SGPRBlocks: 0
; VGPRBlocks: 0
; NumSGPRsForWavesPerEU: 4
; NumVGPRsForWavesPerEU: 1
; AccumOffset: 4
; Occupancy: 8
; WaveLimiterHint : 0
; COMPUTE_PGM_RSRC2:SCRATCH_EN: 0
; COMPUTE_PGM_RSRC2:USER_SGPR: 6
; COMPUTE_PGM_RSRC2:TRAP_HANDLER: 0
; COMPUTE_PGM_RSRC2:TGID_X_EN: 1
; COMPUTE_PGM_RSRC2:TGID_Y_EN: 0
; COMPUTE_PGM_RSRC2:TGID_Z_EN: 0
; COMPUTE_PGM_RSRC2:TIDIG_COMP_CNT: 0
; COMPUTE_PGM_RSRC3_GFX90A:ACCUM_OFFSET: 0
; COMPUTE_PGM_RSRC3_GFX90A:TG_SPLIT: 0
	.section	.text._ZN7rocprim17ROCPRIM_400000_NS6detail17trampoline_kernelINS0_13kernel_configILj256ELj4ELj4294967295EEENS1_37radix_sort_block_sort_config_selectorIflEEZNS1_21radix_sort_block_sortIS4_Lb0EPfS8_N6thrust23THRUST_200600_302600_NS10device_ptrIlEESC_NS0_19identity_decomposerEEE10hipError_tT1_T2_T3_T4_jRjT5_jjP12ihipStream_tbEUlT_E_NS1_11comp_targetILNS1_3genE10ELNS1_11target_archE1201ELNS1_3gpuE5ELNS1_3repE0EEENS1_44radix_sort_block_sort_config_static_selectorELNS0_4arch9wavefront6targetE1EEEvSF_,"axG",@progbits,_ZN7rocprim17ROCPRIM_400000_NS6detail17trampoline_kernelINS0_13kernel_configILj256ELj4ELj4294967295EEENS1_37radix_sort_block_sort_config_selectorIflEEZNS1_21radix_sort_block_sortIS4_Lb0EPfS8_N6thrust23THRUST_200600_302600_NS10device_ptrIlEESC_NS0_19identity_decomposerEEE10hipError_tT1_T2_T3_T4_jRjT5_jjP12ihipStream_tbEUlT_E_NS1_11comp_targetILNS1_3genE10ELNS1_11target_archE1201ELNS1_3gpuE5ELNS1_3repE0EEENS1_44radix_sort_block_sort_config_static_selectorELNS0_4arch9wavefront6targetE1EEEvSF_,comdat
	.protected	_ZN7rocprim17ROCPRIM_400000_NS6detail17trampoline_kernelINS0_13kernel_configILj256ELj4ELj4294967295EEENS1_37radix_sort_block_sort_config_selectorIflEEZNS1_21radix_sort_block_sortIS4_Lb0EPfS8_N6thrust23THRUST_200600_302600_NS10device_ptrIlEESC_NS0_19identity_decomposerEEE10hipError_tT1_T2_T3_T4_jRjT5_jjP12ihipStream_tbEUlT_E_NS1_11comp_targetILNS1_3genE10ELNS1_11target_archE1201ELNS1_3gpuE5ELNS1_3repE0EEENS1_44radix_sort_block_sort_config_static_selectorELNS0_4arch9wavefront6targetE1EEEvSF_ ; -- Begin function _ZN7rocprim17ROCPRIM_400000_NS6detail17trampoline_kernelINS0_13kernel_configILj256ELj4ELj4294967295EEENS1_37radix_sort_block_sort_config_selectorIflEEZNS1_21radix_sort_block_sortIS4_Lb0EPfS8_N6thrust23THRUST_200600_302600_NS10device_ptrIlEESC_NS0_19identity_decomposerEEE10hipError_tT1_T2_T3_T4_jRjT5_jjP12ihipStream_tbEUlT_E_NS1_11comp_targetILNS1_3genE10ELNS1_11target_archE1201ELNS1_3gpuE5ELNS1_3repE0EEENS1_44radix_sort_block_sort_config_static_selectorELNS0_4arch9wavefront6targetE1EEEvSF_
	.globl	_ZN7rocprim17ROCPRIM_400000_NS6detail17trampoline_kernelINS0_13kernel_configILj256ELj4ELj4294967295EEENS1_37radix_sort_block_sort_config_selectorIflEEZNS1_21radix_sort_block_sortIS4_Lb0EPfS8_N6thrust23THRUST_200600_302600_NS10device_ptrIlEESC_NS0_19identity_decomposerEEE10hipError_tT1_T2_T3_T4_jRjT5_jjP12ihipStream_tbEUlT_E_NS1_11comp_targetILNS1_3genE10ELNS1_11target_archE1201ELNS1_3gpuE5ELNS1_3repE0EEENS1_44radix_sort_block_sort_config_static_selectorELNS0_4arch9wavefront6targetE1EEEvSF_
	.p2align	8
	.type	_ZN7rocprim17ROCPRIM_400000_NS6detail17trampoline_kernelINS0_13kernel_configILj256ELj4ELj4294967295EEENS1_37radix_sort_block_sort_config_selectorIflEEZNS1_21radix_sort_block_sortIS4_Lb0EPfS8_N6thrust23THRUST_200600_302600_NS10device_ptrIlEESC_NS0_19identity_decomposerEEE10hipError_tT1_T2_T3_T4_jRjT5_jjP12ihipStream_tbEUlT_E_NS1_11comp_targetILNS1_3genE10ELNS1_11target_archE1201ELNS1_3gpuE5ELNS1_3repE0EEENS1_44radix_sort_block_sort_config_static_selectorELNS0_4arch9wavefront6targetE1EEEvSF_,@function
_ZN7rocprim17ROCPRIM_400000_NS6detail17trampoline_kernelINS0_13kernel_configILj256ELj4ELj4294967295EEENS1_37radix_sort_block_sort_config_selectorIflEEZNS1_21radix_sort_block_sortIS4_Lb0EPfS8_N6thrust23THRUST_200600_302600_NS10device_ptrIlEESC_NS0_19identity_decomposerEEE10hipError_tT1_T2_T3_T4_jRjT5_jjP12ihipStream_tbEUlT_E_NS1_11comp_targetILNS1_3genE10ELNS1_11target_archE1201ELNS1_3gpuE5ELNS1_3repE0EEENS1_44radix_sort_block_sort_config_static_selectorELNS0_4arch9wavefront6targetE1EEEvSF_: ; @_ZN7rocprim17ROCPRIM_400000_NS6detail17trampoline_kernelINS0_13kernel_configILj256ELj4ELj4294967295EEENS1_37radix_sort_block_sort_config_selectorIflEEZNS1_21radix_sort_block_sortIS4_Lb0EPfS8_N6thrust23THRUST_200600_302600_NS10device_ptrIlEESC_NS0_19identity_decomposerEEE10hipError_tT1_T2_T3_T4_jRjT5_jjP12ihipStream_tbEUlT_E_NS1_11comp_targetILNS1_3genE10ELNS1_11target_archE1201ELNS1_3gpuE5ELNS1_3repE0EEENS1_44radix_sort_block_sort_config_static_selectorELNS0_4arch9wavefront6targetE1EEEvSF_
; %bb.0:
	.section	.rodata,"a",@progbits
	.p2align	6, 0x0
	.amdhsa_kernel _ZN7rocprim17ROCPRIM_400000_NS6detail17trampoline_kernelINS0_13kernel_configILj256ELj4ELj4294967295EEENS1_37radix_sort_block_sort_config_selectorIflEEZNS1_21radix_sort_block_sortIS4_Lb0EPfS8_N6thrust23THRUST_200600_302600_NS10device_ptrIlEESC_NS0_19identity_decomposerEEE10hipError_tT1_T2_T3_T4_jRjT5_jjP12ihipStream_tbEUlT_E_NS1_11comp_targetILNS1_3genE10ELNS1_11target_archE1201ELNS1_3gpuE5ELNS1_3repE0EEENS1_44radix_sort_block_sort_config_static_selectorELNS0_4arch9wavefront6targetE1EEEvSF_
		.amdhsa_group_segment_fixed_size 0
		.amdhsa_private_segment_fixed_size 0
		.amdhsa_kernarg_size 48
		.amdhsa_user_sgpr_count 6
		.amdhsa_user_sgpr_private_segment_buffer 1
		.amdhsa_user_sgpr_dispatch_ptr 0
		.amdhsa_user_sgpr_queue_ptr 0
		.amdhsa_user_sgpr_kernarg_segment_ptr 1
		.amdhsa_user_sgpr_dispatch_id 0
		.amdhsa_user_sgpr_flat_scratch_init 0
		.amdhsa_user_sgpr_kernarg_preload_length 0
		.amdhsa_user_sgpr_kernarg_preload_offset 0
		.amdhsa_user_sgpr_private_segment_size 0
		.amdhsa_uses_dynamic_stack 0
		.amdhsa_system_sgpr_private_segment_wavefront_offset 0
		.amdhsa_system_sgpr_workgroup_id_x 1
		.amdhsa_system_sgpr_workgroup_id_y 0
		.amdhsa_system_sgpr_workgroup_id_z 0
		.amdhsa_system_sgpr_workgroup_info 0
		.amdhsa_system_vgpr_workitem_id 0
		.amdhsa_next_free_vgpr 1
		.amdhsa_next_free_sgpr 0
		.amdhsa_accum_offset 4
		.amdhsa_reserve_vcc 0
		.amdhsa_reserve_flat_scratch 0
		.amdhsa_float_round_mode_32 0
		.amdhsa_float_round_mode_16_64 0
		.amdhsa_float_denorm_mode_32 3
		.amdhsa_float_denorm_mode_16_64 3
		.amdhsa_dx10_clamp 1
		.amdhsa_ieee_mode 1
		.amdhsa_fp16_overflow 0
		.amdhsa_tg_split 0
		.amdhsa_exception_fp_ieee_invalid_op 0
		.amdhsa_exception_fp_denorm_src 0
		.amdhsa_exception_fp_ieee_div_zero 0
		.amdhsa_exception_fp_ieee_overflow 0
		.amdhsa_exception_fp_ieee_underflow 0
		.amdhsa_exception_fp_ieee_inexact 0
		.amdhsa_exception_int_div_zero 0
	.end_amdhsa_kernel
	.section	.text._ZN7rocprim17ROCPRIM_400000_NS6detail17trampoline_kernelINS0_13kernel_configILj256ELj4ELj4294967295EEENS1_37radix_sort_block_sort_config_selectorIflEEZNS1_21radix_sort_block_sortIS4_Lb0EPfS8_N6thrust23THRUST_200600_302600_NS10device_ptrIlEESC_NS0_19identity_decomposerEEE10hipError_tT1_T2_T3_T4_jRjT5_jjP12ihipStream_tbEUlT_E_NS1_11comp_targetILNS1_3genE10ELNS1_11target_archE1201ELNS1_3gpuE5ELNS1_3repE0EEENS1_44radix_sort_block_sort_config_static_selectorELNS0_4arch9wavefront6targetE1EEEvSF_,"axG",@progbits,_ZN7rocprim17ROCPRIM_400000_NS6detail17trampoline_kernelINS0_13kernel_configILj256ELj4ELj4294967295EEENS1_37radix_sort_block_sort_config_selectorIflEEZNS1_21radix_sort_block_sortIS4_Lb0EPfS8_N6thrust23THRUST_200600_302600_NS10device_ptrIlEESC_NS0_19identity_decomposerEEE10hipError_tT1_T2_T3_T4_jRjT5_jjP12ihipStream_tbEUlT_E_NS1_11comp_targetILNS1_3genE10ELNS1_11target_archE1201ELNS1_3gpuE5ELNS1_3repE0EEENS1_44radix_sort_block_sort_config_static_selectorELNS0_4arch9wavefront6targetE1EEEvSF_,comdat
.Lfunc_end1747:
	.size	_ZN7rocprim17ROCPRIM_400000_NS6detail17trampoline_kernelINS0_13kernel_configILj256ELj4ELj4294967295EEENS1_37radix_sort_block_sort_config_selectorIflEEZNS1_21radix_sort_block_sortIS4_Lb0EPfS8_N6thrust23THRUST_200600_302600_NS10device_ptrIlEESC_NS0_19identity_decomposerEEE10hipError_tT1_T2_T3_T4_jRjT5_jjP12ihipStream_tbEUlT_E_NS1_11comp_targetILNS1_3genE10ELNS1_11target_archE1201ELNS1_3gpuE5ELNS1_3repE0EEENS1_44radix_sort_block_sort_config_static_selectorELNS0_4arch9wavefront6targetE1EEEvSF_, .Lfunc_end1747-_ZN7rocprim17ROCPRIM_400000_NS6detail17trampoline_kernelINS0_13kernel_configILj256ELj4ELj4294967295EEENS1_37radix_sort_block_sort_config_selectorIflEEZNS1_21radix_sort_block_sortIS4_Lb0EPfS8_N6thrust23THRUST_200600_302600_NS10device_ptrIlEESC_NS0_19identity_decomposerEEE10hipError_tT1_T2_T3_T4_jRjT5_jjP12ihipStream_tbEUlT_E_NS1_11comp_targetILNS1_3genE10ELNS1_11target_archE1201ELNS1_3gpuE5ELNS1_3repE0EEENS1_44radix_sort_block_sort_config_static_selectorELNS0_4arch9wavefront6targetE1EEEvSF_
                                        ; -- End function
	.section	.AMDGPU.csdata,"",@progbits
; Kernel info:
; codeLenInByte = 0
; NumSgprs: 4
; NumVgprs: 0
; NumAgprs: 0
; TotalNumVgprs: 0
; ScratchSize: 0
; MemoryBound: 0
; FloatMode: 240
; IeeeMode: 1
; LDSByteSize: 0 bytes/workgroup (compile time only)
; SGPRBlocks: 0
; VGPRBlocks: 0
; NumSGPRsForWavesPerEU: 4
; NumVGPRsForWavesPerEU: 1
; AccumOffset: 4
; Occupancy: 8
; WaveLimiterHint : 0
; COMPUTE_PGM_RSRC2:SCRATCH_EN: 0
; COMPUTE_PGM_RSRC2:USER_SGPR: 6
; COMPUTE_PGM_RSRC2:TRAP_HANDLER: 0
; COMPUTE_PGM_RSRC2:TGID_X_EN: 1
; COMPUTE_PGM_RSRC2:TGID_Y_EN: 0
; COMPUTE_PGM_RSRC2:TGID_Z_EN: 0
; COMPUTE_PGM_RSRC2:TIDIG_COMP_CNT: 0
; COMPUTE_PGM_RSRC3_GFX90A:ACCUM_OFFSET: 0
; COMPUTE_PGM_RSRC3_GFX90A:TG_SPLIT: 0
	.section	.text._ZN7rocprim17ROCPRIM_400000_NS6detail17trampoline_kernelINS0_13kernel_configILj256ELj4ELj4294967295EEENS1_37radix_sort_block_sort_config_selectorIflEEZNS1_21radix_sort_block_sortIS4_Lb0EPfS8_N6thrust23THRUST_200600_302600_NS10device_ptrIlEESC_NS0_19identity_decomposerEEE10hipError_tT1_T2_T3_T4_jRjT5_jjP12ihipStream_tbEUlT_E_NS1_11comp_targetILNS1_3genE10ELNS1_11target_archE1200ELNS1_3gpuE4ELNS1_3repE0EEENS1_44radix_sort_block_sort_config_static_selectorELNS0_4arch9wavefront6targetE1EEEvSF_,"axG",@progbits,_ZN7rocprim17ROCPRIM_400000_NS6detail17trampoline_kernelINS0_13kernel_configILj256ELj4ELj4294967295EEENS1_37radix_sort_block_sort_config_selectorIflEEZNS1_21radix_sort_block_sortIS4_Lb0EPfS8_N6thrust23THRUST_200600_302600_NS10device_ptrIlEESC_NS0_19identity_decomposerEEE10hipError_tT1_T2_T3_T4_jRjT5_jjP12ihipStream_tbEUlT_E_NS1_11comp_targetILNS1_3genE10ELNS1_11target_archE1200ELNS1_3gpuE4ELNS1_3repE0EEENS1_44radix_sort_block_sort_config_static_selectorELNS0_4arch9wavefront6targetE1EEEvSF_,comdat
	.protected	_ZN7rocprim17ROCPRIM_400000_NS6detail17trampoline_kernelINS0_13kernel_configILj256ELj4ELj4294967295EEENS1_37radix_sort_block_sort_config_selectorIflEEZNS1_21radix_sort_block_sortIS4_Lb0EPfS8_N6thrust23THRUST_200600_302600_NS10device_ptrIlEESC_NS0_19identity_decomposerEEE10hipError_tT1_T2_T3_T4_jRjT5_jjP12ihipStream_tbEUlT_E_NS1_11comp_targetILNS1_3genE10ELNS1_11target_archE1200ELNS1_3gpuE4ELNS1_3repE0EEENS1_44radix_sort_block_sort_config_static_selectorELNS0_4arch9wavefront6targetE1EEEvSF_ ; -- Begin function _ZN7rocprim17ROCPRIM_400000_NS6detail17trampoline_kernelINS0_13kernel_configILj256ELj4ELj4294967295EEENS1_37radix_sort_block_sort_config_selectorIflEEZNS1_21radix_sort_block_sortIS4_Lb0EPfS8_N6thrust23THRUST_200600_302600_NS10device_ptrIlEESC_NS0_19identity_decomposerEEE10hipError_tT1_T2_T3_T4_jRjT5_jjP12ihipStream_tbEUlT_E_NS1_11comp_targetILNS1_3genE10ELNS1_11target_archE1200ELNS1_3gpuE4ELNS1_3repE0EEENS1_44radix_sort_block_sort_config_static_selectorELNS0_4arch9wavefront6targetE1EEEvSF_
	.globl	_ZN7rocprim17ROCPRIM_400000_NS6detail17trampoline_kernelINS0_13kernel_configILj256ELj4ELj4294967295EEENS1_37radix_sort_block_sort_config_selectorIflEEZNS1_21radix_sort_block_sortIS4_Lb0EPfS8_N6thrust23THRUST_200600_302600_NS10device_ptrIlEESC_NS0_19identity_decomposerEEE10hipError_tT1_T2_T3_T4_jRjT5_jjP12ihipStream_tbEUlT_E_NS1_11comp_targetILNS1_3genE10ELNS1_11target_archE1200ELNS1_3gpuE4ELNS1_3repE0EEENS1_44radix_sort_block_sort_config_static_selectorELNS0_4arch9wavefront6targetE1EEEvSF_
	.p2align	8
	.type	_ZN7rocprim17ROCPRIM_400000_NS6detail17trampoline_kernelINS0_13kernel_configILj256ELj4ELj4294967295EEENS1_37radix_sort_block_sort_config_selectorIflEEZNS1_21radix_sort_block_sortIS4_Lb0EPfS8_N6thrust23THRUST_200600_302600_NS10device_ptrIlEESC_NS0_19identity_decomposerEEE10hipError_tT1_T2_T3_T4_jRjT5_jjP12ihipStream_tbEUlT_E_NS1_11comp_targetILNS1_3genE10ELNS1_11target_archE1200ELNS1_3gpuE4ELNS1_3repE0EEENS1_44radix_sort_block_sort_config_static_selectorELNS0_4arch9wavefront6targetE1EEEvSF_,@function
_ZN7rocprim17ROCPRIM_400000_NS6detail17trampoline_kernelINS0_13kernel_configILj256ELj4ELj4294967295EEENS1_37radix_sort_block_sort_config_selectorIflEEZNS1_21radix_sort_block_sortIS4_Lb0EPfS8_N6thrust23THRUST_200600_302600_NS10device_ptrIlEESC_NS0_19identity_decomposerEEE10hipError_tT1_T2_T3_T4_jRjT5_jjP12ihipStream_tbEUlT_E_NS1_11comp_targetILNS1_3genE10ELNS1_11target_archE1200ELNS1_3gpuE4ELNS1_3repE0EEENS1_44radix_sort_block_sort_config_static_selectorELNS0_4arch9wavefront6targetE1EEEvSF_: ; @_ZN7rocprim17ROCPRIM_400000_NS6detail17trampoline_kernelINS0_13kernel_configILj256ELj4ELj4294967295EEENS1_37radix_sort_block_sort_config_selectorIflEEZNS1_21radix_sort_block_sortIS4_Lb0EPfS8_N6thrust23THRUST_200600_302600_NS10device_ptrIlEESC_NS0_19identity_decomposerEEE10hipError_tT1_T2_T3_T4_jRjT5_jjP12ihipStream_tbEUlT_E_NS1_11comp_targetILNS1_3genE10ELNS1_11target_archE1200ELNS1_3gpuE4ELNS1_3repE0EEENS1_44radix_sort_block_sort_config_static_selectorELNS0_4arch9wavefront6targetE1EEEvSF_
; %bb.0:
	.section	.rodata,"a",@progbits
	.p2align	6, 0x0
	.amdhsa_kernel _ZN7rocprim17ROCPRIM_400000_NS6detail17trampoline_kernelINS0_13kernel_configILj256ELj4ELj4294967295EEENS1_37radix_sort_block_sort_config_selectorIflEEZNS1_21radix_sort_block_sortIS4_Lb0EPfS8_N6thrust23THRUST_200600_302600_NS10device_ptrIlEESC_NS0_19identity_decomposerEEE10hipError_tT1_T2_T3_T4_jRjT5_jjP12ihipStream_tbEUlT_E_NS1_11comp_targetILNS1_3genE10ELNS1_11target_archE1200ELNS1_3gpuE4ELNS1_3repE0EEENS1_44radix_sort_block_sort_config_static_selectorELNS0_4arch9wavefront6targetE1EEEvSF_
		.amdhsa_group_segment_fixed_size 0
		.amdhsa_private_segment_fixed_size 0
		.amdhsa_kernarg_size 48
		.amdhsa_user_sgpr_count 6
		.amdhsa_user_sgpr_private_segment_buffer 1
		.amdhsa_user_sgpr_dispatch_ptr 0
		.amdhsa_user_sgpr_queue_ptr 0
		.amdhsa_user_sgpr_kernarg_segment_ptr 1
		.amdhsa_user_sgpr_dispatch_id 0
		.amdhsa_user_sgpr_flat_scratch_init 0
		.amdhsa_user_sgpr_kernarg_preload_length 0
		.amdhsa_user_sgpr_kernarg_preload_offset 0
		.amdhsa_user_sgpr_private_segment_size 0
		.amdhsa_uses_dynamic_stack 0
		.amdhsa_system_sgpr_private_segment_wavefront_offset 0
		.amdhsa_system_sgpr_workgroup_id_x 1
		.amdhsa_system_sgpr_workgroup_id_y 0
		.amdhsa_system_sgpr_workgroup_id_z 0
		.amdhsa_system_sgpr_workgroup_info 0
		.amdhsa_system_vgpr_workitem_id 0
		.amdhsa_next_free_vgpr 1
		.amdhsa_next_free_sgpr 0
		.amdhsa_accum_offset 4
		.amdhsa_reserve_vcc 0
		.amdhsa_reserve_flat_scratch 0
		.amdhsa_float_round_mode_32 0
		.amdhsa_float_round_mode_16_64 0
		.amdhsa_float_denorm_mode_32 3
		.amdhsa_float_denorm_mode_16_64 3
		.amdhsa_dx10_clamp 1
		.amdhsa_ieee_mode 1
		.amdhsa_fp16_overflow 0
		.amdhsa_tg_split 0
		.amdhsa_exception_fp_ieee_invalid_op 0
		.amdhsa_exception_fp_denorm_src 0
		.amdhsa_exception_fp_ieee_div_zero 0
		.amdhsa_exception_fp_ieee_overflow 0
		.amdhsa_exception_fp_ieee_underflow 0
		.amdhsa_exception_fp_ieee_inexact 0
		.amdhsa_exception_int_div_zero 0
	.end_amdhsa_kernel
	.section	.text._ZN7rocprim17ROCPRIM_400000_NS6detail17trampoline_kernelINS0_13kernel_configILj256ELj4ELj4294967295EEENS1_37radix_sort_block_sort_config_selectorIflEEZNS1_21radix_sort_block_sortIS4_Lb0EPfS8_N6thrust23THRUST_200600_302600_NS10device_ptrIlEESC_NS0_19identity_decomposerEEE10hipError_tT1_T2_T3_T4_jRjT5_jjP12ihipStream_tbEUlT_E_NS1_11comp_targetILNS1_3genE10ELNS1_11target_archE1200ELNS1_3gpuE4ELNS1_3repE0EEENS1_44radix_sort_block_sort_config_static_selectorELNS0_4arch9wavefront6targetE1EEEvSF_,"axG",@progbits,_ZN7rocprim17ROCPRIM_400000_NS6detail17trampoline_kernelINS0_13kernel_configILj256ELj4ELj4294967295EEENS1_37radix_sort_block_sort_config_selectorIflEEZNS1_21radix_sort_block_sortIS4_Lb0EPfS8_N6thrust23THRUST_200600_302600_NS10device_ptrIlEESC_NS0_19identity_decomposerEEE10hipError_tT1_T2_T3_T4_jRjT5_jjP12ihipStream_tbEUlT_E_NS1_11comp_targetILNS1_3genE10ELNS1_11target_archE1200ELNS1_3gpuE4ELNS1_3repE0EEENS1_44radix_sort_block_sort_config_static_selectorELNS0_4arch9wavefront6targetE1EEEvSF_,comdat
.Lfunc_end1748:
	.size	_ZN7rocprim17ROCPRIM_400000_NS6detail17trampoline_kernelINS0_13kernel_configILj256ELj4ELj4294967295EEENS1_37radix_sort_block_sort_config_selectorIflEEZNS1_21radix_sort_block_sortIS4_Lb0EPfS8_N6thrust23THRUST_200600_302600_NS10device_ptrIlEESC_NS0_19identity_decomposerEEE10hipError_tT1_T2_T3_T4_jRjT5_jjP12ihipStream_tbEUlT_E_NS1_11comp_targetILNS1_3genE10ELNS1_11target_archE1200ELNS1_3gpuE4ELNS1_3repE0EEENS1_44radix_sort_block_sort_config_static_selectorELNS0_4arch9wavefront6targetE1EEEvSF_, .Lfunc_end1748-_ZN7rocprim17ROCPRIM_400000_NS6detail17trampoline_kernelINS0_13kernel_configILj256ELj4ELj4294967295EEENS1_37radix_sort_block_sort_config_selectorIflEEZNS1_21radix_sort_block_sortIS4_Lb0EPfS8_N6thrust23THRUST_200600_302600_NS10device_ptrIlEESC_NS0_19identity_decomposerEEE10hipError_tT1_T2_T3_T4_jRjT5_jjP12ihipStream_tbEUlT_E_NS1_11comp_targetILNS1_3genE10ELNS1_11target_archE1200ELNS1_3gpuE4ELNS1_3repE0EEENS1_44radix_sort_block_sort_config_static_selectorELNS0_4arch9wavefront6targetE1EEEvSF_
                                        ; -- End function
	.section	.AMDGPU.csdata,"",@progbits
; Kernel info:
; codeLenInByte = 0
; NumSgprs: 4
; NumVgprs: 0
; NumAgprs: 0
; TotalNumVgprs: 0
; ScratchSize: 0
; MemoryBound: 0
; FloatMode: 240
; IeeeMode: 1
; LDSByteSize: 0 bytes/workgroup (compile time only)
; SGPRBlocks: 0
; VGPRBlocks: 0
; NumSGPRsForWavesPerEU: 4
; NumVGPRsForWavesPerEU: 1
; AccumOffset: 4
; Occupancy: 8
; WaveLimiterHint : 0
; COMPUTE_PGM_RSRC2:SCRATCH_EN: 0
; COMPUTE_PGM_RSRC2:USER_SGPR: 6
; COMPUTE_PGM_RSRC2:TRAP_HANDLER: 0
; COMPUTE_PGM_RSRC2:TGID_X_EN: 1
; COMPUTE_PGM_RSRC2:TGID_Y_EN: 0
; COMPUTE_PGM_RSRC2:TGID_Z_EN: 0
; COMPUTE_PGM_RSRC2:TIDIG_COMP_CNT: 0
; COMPUTE_PGM_RSRC3_GFX90A:ACCUM_OFFSET: 0
; COMPUTE_PGM_RSRC3_GFX90A:TG_SPLIT: 0
	.section	.text._ZN7rocprim17ROCPRIM_400000_NS6detail17trampoline_kernelINS0_13kernel_configILj256ELj4ELj4294967295EEENS1_37radix_sort_block_sort_config_selectorIflEEZNS1_21radix_sort_block_sortIS4_Lb0EPfS8_N6thrust23THRUST_200600_302600_NS10device_ptrIlEESC_NS0_19identity_decomposerEEE10hipError_tT1_T2_T3_T4_jRjT5_jjP12ihipStream_tbEUlT_E_NS1_11comp_targetILNS1_3genE9ELNS1_11target_archE1100ELNS1_3gpuE3ELNS1_3repE0EEENS1_44radix_sort_block_sort_config_static_selectorELNS0_4arch9wavefront6targetE1EEEvSF_,"axG",@progbits,_ZN7rocprim17ROCPRIM_400000_NS6detail17trampoline_kernelINS0_13kernel_configILj256ELj4ELj4294967295EEENS1_37radix_sort_block_sort_config_selectorIflEEZNS1_21radix_sort_block_sortIS4_Lb0EPfS8_N6thrust23THRUST_200600_302600_NS10device_ptrIlEESC_NS0_19identity_decomposerEEE10hipError_tT1_T2_T3_T4_jRjT5_jjP12ihipStream_tbEUlT_E_NS1_11comp_targetILNS1_3genE9ELNS1_11target_archE1100ELNS1_3gpuE3ELNS1_3repE0EEENS1_44radix_sort_block_sort_config_static_selectorELNS0_4arch9wavefront6targetE1EEEvSF_,comdat
	.protected	_ZN7rocprim17ROCPRIM_400000_NS6detail17trampoline_kernelINS0_13kernel_configILj256ELj4ELj4294967295EEENS1_37radix_sort_block_sort_config_selectorIflEEZNS1_21radix_sort_block_sortIS4_Lb0EPfS8_N6thrust23THRUST_200600_302600_NS10device_ptrIlEESC_NS0_19identity_decomposerEEE10hipError_tT1_T2_T3_T4_jRjT5_jjP12ihipStream_tbEUlT_E_NS1_11comp_targetILNS1_3genE9ELNS1_11target_archE1100ELNS1_3gpuE3ELNS1_3repE0EEENS1_44radix_sort_block_sort_config_static_selectorELNS0_4arch9wavefront6targetE1EEEvSF_ ; -- Begin function _ZN7rocprim17ROCPRIM_400000_NS6detail17trampoline_kernelINS0_13kernel_configILj256ELj4ELj4294967295EEENS1_37radix_sort_block_sort_config_selectorIflEEZNS1_21radix_sort_block_sortIS4_Lb0EPfS8_N6thrust23THRUST_200600_302600_NS10device_ptrIlEESC_NS0_19identity_decomposerEEE10hipError_tT1_T2_T3_T4_jRjT5_jjP12ihipStream_tbEUlT_E_NS1_11comp_targetILNS1_3genE9ELNS1_11target_archE1100ELNS1_3gpuE3ELNS1_3repE0EEENS1_44radix_sort_block_sort_config_static_selectorELNS0_4arch9wavefront6targetE1EEEvSF_
	.globl	_ZN7rocprim17ROCPRIM_400000_NS6detail17trampoline_kernelINS0_13kernel_configILj256ELj4ELj4294967295EEENS1_37radix_sort_block_sort_config_selectorIflEEZNS1_21radix_sort_block_sortIS4_Lb0EPfS8_N6thrust23THRUST_200600_302600_NS10device_ptrIlEESC_NS0_19identity_decomposerEEE10hipError_tT1_T2_T3_T4_jRjT5_jjP12ihipStream_tbEUlT_E_NS1_11comp_targetILNS1_3genE9ELNS1_11target_archE1100ELNS1_3gpuE3ELNS1_3repE0EEENS1_44radix_sort_block_sort_config_static_selectorELNS0_4arch9wavefront6targetE1EEEvSF_
	.p2align	8
	.type	_ZN7rocprim17ROCPRIM_400000_NS6detail17trampoline_kernelINS0_13kernel_configILj256ELj4ELj4294967295EEENS1_37radix_sort_block_sort_config_selectorIflEEZNS1_21radix_sort_block_sortIS4_Lb0EPfS8_N6thrust23THRUST_200600_302600_NS10device_ptrIlEESC_NS0_19identity_decomposerEEE10hipError_tT1_T2_T3_T4_jRjT5_jjP12ihipStream_tbEUlT_E_NS1_11comp_targetILNS1_3genE9ELNS1_11target_archE1100ELNS1_3gpuE3ELNS1_3repE0EEENS1_44radix_sort_block_sort_config_static_selectorELNS0_4arch9wavefront6targetE1EEEvSF_,@function
_ZN7rocprim17ROCPRIM_400000_NS6detail17trampoline_kernelINS0_13kernel_configILj256ELj4ELj4294967295EEENS1_37radix_sort_block_sort_config_selectorIflEEZNS1_21radix_sort_block_sortIS4_Lb0EPfS8_N6thrust23THRUST_200600_302600_NS10device_ptrIlEESC_NS0_19identity_decomposerEEE10hipError_tT1_T2_T3_T4_jRjT5_jjP12ihipStream_tbEUlT_E_NS1_11comp_targetILNS1_3genE9ELNS1_11target_archE1100ELNS1_3gpuE3ELNS1_3repE0EEENS1_44radix_sort_block_sort_config_static_selectorELNS0_4arch9wavefront6targetE1EEEvSF_: ; @_ZN7rocprim17ROCPRIM_400000_NS6detail17trampoline_kernelINS0_13kernel_configILj256ELj4ELj4294967295EEENS1_37radix_sort_block_sort_config_selectorIflEEZNS1_21radix_sort_block_sortIS4_Lb0EPfS8_N6thrust23THRUST_200600_302600_NS10device_ptrIlEESC_NS0_19identity_decomposerEEE10hipError_tT1_T2_T3_T4_jRjT5_jjP12ihipStream_tbEUlT_E_NS1_11comp_targetILNS1_3genE9ELNS1_11target_archE1100ELNS1_3gpuE3ELNS1_3repE0EEENS1_44radix_sort_block_sort_config_static_selectorELNS0_4arch9wavefront6targetE1EEEvSF_
; %bb.0:
	.section	.rodata,"a",@progbits
	.p2align	6, 0x0
	.amdhsa_kernel _ZN7rocprim17ROCPRIM_400000_NS6detail17trampoline_kernelINS0_13kernel_configILj256ELj4ELj4294967295EEENS1_37radix_sort_block_sort_config_selectorIflEEZNS1_21radix_sort_block_sortIS4_Lb0EPfS8_N6thrust23THRUST_200600_302600_NS10device_ptrIlEESC_NS0_19identity_decomposerEEE10hipError_tT1_T2_T3_T4_jRjT5_jjP12ihipStream_tbEUlT_E_NS1_11comp_targetILNS1_3genE9ELNS1_11target_archE1100ELNS1_3gpuE3ELNS1_3repE0EEENS1_44radix_sort_block_sort_config_static_selectorELNS0_4arch9wavefront6targetE1EEEvSF_
		.amdhsa_group_segment_fixed_size 0
		.amdhsa_private_segment_fixed_size 0
		.amdhsa_kernarg_size 48
		.amdhsa_user_sgpr_count 6
		.amdhsa_user_sgpr_private_segment_buffer 1
		.amdhsa_user_sgpr_dispatch_ptr 0
		.amdhsa_user_sgpr_queue_ptr 0
		.amdhsa_user_sgpr_kernarg_segment_ptr 1
		.amdhsa_user_sgpr_dispatch_id 0
		.amdhsa_user_sgpr_flat_scratch_init 0
		.amdhsa_user_sgpr_kernarg_preload_length 0
		.amdhsa_user_sgpr_kernarg_preload_offset 0
		.amdhsa_user_sgpr_private_segment_size 0
		.amdhsa_uses_dynamic_stack 0
		.amdhsa_system_sgpr_private_segment_wavefront_offset 0
		.amdhsa_system_sgpr_workgroup_id_x 1
		.amdhsa_system_sgpr_workgroup_id_y 0
		.amdhsa_system_sgpr_workgroup_id_z 0
		.amdhsa_system_sgpr_workgroup_info 0
		.amdhsa_system_vgpr_workitem_id 0
		.amdhsa_next_free_vgpr 1
		.amdhsa_next_free_sgpr 0
		.amdhsa_accum_offset 4
		.amdhsa_reserve_vcc 0
		.amdhsa_reserve_flat_scratch 0
		.amdhsa_float_round_mode_32 0
		.amdhsa_float_round_mode_16_64 0
		.amdhsa_float_denorm_mode_32 3
		.amdhsa_float_denorm_mode_16_64 3
		.amdhsa_dx10_clamp 1
		.amdhsa_ieee_mode 1
		.amdhsa_fp16_overflow 0
		.amdhsa_tg_split 0
		.amdhsa_exception_fp_ieee_invalid_op 0
		.amdhsa_exception_fp_denorm_src 0
		.amdhsa_exception_fp_ieee_div_zero 0
		.amdhsa_exception_fp_ieee_overflow 0
		.amdhsa_exception_fp_ieee_underflow 0
		.amdhsa_exception_fp_ieee_inexact 0
		.amdhsa_exception_int_div_zero 0
	.end_amdhsa_kernel
	.section	.text._ZN7rocprim17ROCPRIM_400000_NS6detail17trampoline_kernelINS0_13kernel_configILj256ELj4ELj4294967295EEENS1_37radix_sort_block_sort_config_selectorIflEEZNS1_21radix_sort_block_sortIS4_Lb0EPfS8_N6thrust23THRUST_200600_302600_NS10device_ptrIlEESC_NS0_19identity_decomposerEEE10hipError_tT1_T2_T3_T4_jRjT5_jjP12ihipStream_tbEUlT_E_NS1_11comp_targetILNS1_3genE9ELNS1_11target_archE1100ELNS1_3gpuE3ELNS1_3repE0EEENS1_44radix_sort_block_sort_config_static_selectorELNS0_4arch9wavefront6targetE1EEEvSF_,"axG",@progbits,_ZN7rocprim17ROCPRIM_400000_NS6detail17trampoline_kernelINS0_13kernel_configILj256ELj4ELj4294967295EEENS1_37radix_sort_block_sort_config_selectorIflEEZNS1_21radix_sort_block_sortIS4_Lb0EPfS8_N6thrust23THRUST_200600_302600_NS10device_ptrIlEESC_NS0_19identity_decomposerEEE10hipError_tT1_T2_T3_T4_jRjT5_jjP12ihipStream_tbEUlT_E_NS1_11comp_targetILNS1_3genE9ELNS1_11target_archE1100ELNS1_3gpuE3ELNS1_3repE0EEENS1_44radix_sort_block_sort_config_static_selectorELNS0_4arch9wavefront6targetE1EEEvSF_,comdat
.Lfunc_end1749:
	.size	_ZN7rocprim17ROCPRIM_400000_NS6detail17trampoline_kernelINS0_13kernel_configILj256ELj4ELj4294967295EEENS1_37radix_sort_block_sort_config_selectorIflEEZNS1_21radix_sort_block_sortIS4_Lb0EPfS8_N6thrust23THRUST_200600_302600_NS10device_ptrIlEESC_NS0_19identity_decomposerEEE10hipError_tT1_T2_T3_T4_jRjT5_jjP12ihipStream_tbEUlT_E_NS1_11comp_targetILNS1_3genE9ELNS1_11target_archE1100ELNS1_3gpuE3ELNS1_3repE0EEENS1_44radix_sort_block_sort_config_static_selectorELNS0_4arch9wavefront6targetE1EEEvSF_, .Lfunc_end1749-_ZN7rocprim17ROCPRIM_400000_NS6detail17trampoline_kernelINS0_13kernel_configILj256ELj4ELj4294967295EEENS1_37radix_sort_block_sort_config_selectorIflEEZNS1_21radix_sort_block_sortIS4_Lb0EPfS8_N6thrust23THRUST_200600_302600_NS10device_ptrIlEESC_NS0_19identity_decomposerEEE10hipError_tT1_T2_T3_T4_jRjT5_jjP12ihipStream_tbEUlT_E_NS1_11comp_targetILNS1_3genE9ELNS1_11target_archE1100ELNS1_3gpuE3ELNS1_3repE0EEENS1_44radix_sort_block_sort_config_static_selectorELNS0_4arch9wavefront6targetE1EEEvSF_
                                        ; -- End function
	.section	.AMDGPU.csdata,"",@progbits
; Kernel info:
; codeLenInByte = 0
; NumSgprs: 4
; NumVgprs: 0
; NumAgprs: 0
; TotalNumVgprs: 0
; ScratchSize: 0
; MemoryBound: 0
; FloatMode: 240
; IeeeMode: 1
; LDSByteSize: 0 bytes/workgroup (compile time only)
; SGPRBlocks: 0
; VGPRBlocks: 0
; NumSGPRsForWavesPerEU: 4
; NumVGPRsForWavesPerEU: 1
; AccumOffset: 4
; Occupancy: 8
; WaveLimiterHint : 0
; COMPUTE_PGM_RSRC2:SCRATCH_EN: 0
; COMPUTE_PGM_RSRC2:USER_SGPR: 6
; COMPUTE_PGM_RSRC2:TRAP_HANDLER: 0
; COMPUTE_PGM_RSRC2:TGID_X_EN: 1
; COMPUTE_PGM_RSRC2:TGID_Y_EN: 0
; COMPUTE_PGM_RSRC2:TGID_Z_EN: 0
; COMPUTE_PGM_RSRC2:TIDIG_COMP_CNT: 0
; COMPUTE_PGM_RSRC3_GFX90A:ACCUM_OFFSET: 0
; COMPUTE_PGM_RSRC3_GFX90A:TG_SPLIT: 0
	.section	.text._ZN7rocprim17ROCPRIM_400000_NS6detail17trampoline_kernelINS0_13kernel_configILj256ELj4ELj4294967295EEENS1_37radix_sort_block_sort_config_selectorIflEEZNS1_21radix_sort_block_sortIS4_Lb0EPfS8_N6thrust23THRUST_200600_302600_NS10device_ptrIlEESC_NS0_19identity_decomposerEEE10hipError_tT1_T2_T3_T4_jRjT5_jjP12ihipStream_tbEUlT_E_NS1_11comp_targetILNS1_3genE8ELNS1_11target_archE1030ELNS1_3gpuE2ELNS1_3repE0EEENS1_44radix_sort_block_sort_config_static_selectorELNS0_4arch9wavefront6targetE1EEEvSF_,"axG",@progbits,_ZN7rocprim17ROCPRIM_400000_NS6detail17trampoline_kernelINS0_13kernel_configILj256ELj4ELj4294967295EEENS1_37radix_sort_block_sort_config_selectorIflEEZNS1_21radix_sort_block_sortIS4_Lb0EPfS8_N6thrust23THRUST_200600_302600_NS10device_ptrIlEESC_NS0_19identity_decomposerEEE10hipError_tT1_T2_T3_T4_jRjT5_jjP12ihipStream_tbEUlT_E_NS1_11comp_targetILNS1_3genE8ELNS1_11target_archE1030ELNS1_3gpuE2ELNS1_3repE0EEENS1_44radix_sort_block_sort_config_static_selectorELNS0_4arch9wavefront6targetE1EEEvSF_,comdat
	.protected	_ZN7rocprim17ROCPRIM_400000_NS6detail17trampoline_kernelINS0_13kernel_configILj256ELj4ELj4294967295EEENS1_37radix_sort_block_sort_config_selectorIflEEZNS1_21radix_sort_block_sortIS4_Lb0EPfS8_N6thrust23THRUST_200600_302600_NS10device_ptrIlEESC_NS0_19identity_decomposerEEE10hipError_tT1_T2_T3_T4_jRjT5_jjP12ihipStream_tbEUlT_E_NS1_11comp_targetILNS1_3genE8ELNS1_11target_archE1030ELNS1_3gpuE2ELNS1_3repE0EEENS1_44radix_sort_block_sort_config_static_selectorELNS0_4arch9wavefront6targetE1EEEvSF_ ; -- Begin function _ZN7rocprim17ROCPRIM_400000_NS6detail17trampoline_kernelINS0_13kernel_configILj256ELj4ELj4294967295EEENS1_37radix_sort_block_sort_config_selectorIflEEZNS1_21radix_sort_block_sortIS4_Lb0EPfS8_N6thrust23THRUST_200600_302600_NS10device_ptrIlEESC_NS0_19identity_decomposerEEE10hipError_tT1_T2_T3_T4_jRjT5_jjP12ihipStream_tbEUlT_E_NS1_11comp_targetILNS1_3genE8ELNS1_11target_archE1030ELNS1_3gpuE2ELNS1_3repE0EEENS1_44radix_sort_block_sort_config_static_selectorELNS0_4arch9wavefront6targetE1EEEvSF_
	.globl	_ZN7rocprim17ROCPRIM_400000_NS6detail17trampoline_kernelINS0_13kernel_configILj256ELj4ELj4294967295EEENS1_37radix_sort_block_sort_config_selectorIflEEZNS1_21radix_sort_block_sortIS4_Lb0EPfS8_N6thrust23THRUST_200600_302600_NS10device_ptrIlEESC_NS0_19identity_decomposerEEE10hipError_tT1_T2_T3_T4_jRjT5_jjP12ihipStream_tbEUlT_E_NS1_11comp_targetILNS1_3genE8ELNS1_11target_archE1030ELNS1_3gpuE2ELNS1_3repE0EEENS1_44radix_sort_block_sort_config_static_selectorELNS0_4arch9wavefront6targetE1EEEvSF_
	.p2align	8
	.type	_ZN7rocprim17ROCPRIM_400000_NS6detail17trampoline_kernelINS0_13kernel_configILj256ELj4ELj4294967295EEENS1_37radix_sort_block_sort_config_selectorIflEEZNS1_21radix_sort_block_sortIS4_Lb0EPfS8_N6thrust23THRUST_200600_302600_NS10device_ptrIlEESC_NS0_19identity_decomposerEEE10hipError_tT1_T2_T3_T4_jRjT5_jjP12ihipStream_tbEUlT_E_NS1_11comp_targetILNS1_3genE8ELNS1_11target_archE1030ELNS1_3gpuE2ELNS1_3repE0EEENS1_44radix_sort_block_sort_config_static_selectorELNS0_4arch9wavefront6targetE1EEEvSF_,@function
_ZN7rocprim17ROCPRIM_400000_NS6detail17trampoline_kernelINS0_13kernel_configILj256ELj4ELj4294967295EEENS1_37radix_sort_block_sort_config_selectorIflEEZNS1_21radix_sort_block_sortIS4_Lb0EPfS8_N6thrust23THRUST_200600_302600_NS10device_ptrIlEESC_NS0_19identity_decomposerEEE10hipError_tT1_T2_T3_T4_jRjT5_jjP12ihipStream_tbEUlT_E_NS1_11comp_targetILNS1_3genE8ELNS1_11target_archE1030ELNS1_3gpuE2ELNS1_3repE0EEENS1_44radix_sort_block_sort_config_static_selectorELNS0_4arch9wavefront6targetE1EEEvSF_: ; @_ZN7rocprim17ROCPRIM_400000_NS6detail17trampoline_kernelINS0_13kernel_configILj256ELj4ELj4294967295EEENS1_37radix_sort_block_sort_config_selectorIflEEZNS1_21radix_sort_block_sortIS4_Lb0EPfS8_N6thrust23THRUST_200600_302600_NS10device_ptrIlEESC_NS0_19identity_decomposerEEE10hipError_tT1_T2_T3_T4_jRjT5_jjP12ihipStream_tbEUlT_E_NS1_11comp_targetILNS1_3genE8ELNS1_11target_archE1030ELNS1_3gpuE2ELNS1_3repE0EEENS1_44radix_sort_block_sort_config_static_selectorELNS0_4arch9wavefront6targetE1EEEvSF_
; %bb.0:
	.section	.rodata,"a",@progbits
	.p2align	6, 0x0
	.amdhsa_kernel _ZN7rocprim17ROCPRIM_400000_NS6detail17trampoline_kernelINS0_13kernel_configILj256ELj4ELj4294967295EEENS1_37radix_sort_block_sort_config_selectorIflEEZNS1_21radix_sort_block_sortIS4_Lb0EPfS8_N6thrust23THRUST_200600_302600_NS10device_ptrIlEESC_NS0_19identity_decomposerEEE10hipError_tT1_T2_T3_T4_jRjT5_jjP12ihipStream_tbEUlT_E_NS1_11comp_targetILNS1_3genE8ELNS1_11target_archE1030ELNS1_3gpuE2ELNS1_3repE0EEENS1_44radix_sort_block_sort_config_static_selectorELNS0_4arch9wavefront6targetE1EEEvSF_
		.amdhsa_group_segment_fixed_size 0
		.amdhsa_private_segment_fixed_size 0
		.amdhsa_kernarg_size 48
		.amdhsa_user_sgpr_count 6
		.amdhsa_user_sgpr_private_segment_buffer 1
		.amdhsa_user_sgpr_dispatch_ptr 0
		.amdhsa_user_sgpr_queue_ptr 0
		.amdhsa_user_sgpr_kernarg_segment_ptr 1
		.amdhsa_user_sgpr_dispatch_id 0
		.amdhsa_user_sgpr_flat_scratch_init 0
		.amdhsa_user_sgpr_kernarg_preload_length 0
		.amdhsa_user_sgpr_kernarg_preload_offset 0
		.amdhsa_user_sgpr_private_segment_size 0
		.amdhsa_uses_dynamic_stack 0
		.amdhsa_system_sgpr_private_segment_wavefront_offset 0
		.amdhsa_system_sgpr_workgroup_id_x 1
		.amdhsa_system_sgpr_workgroup_id_y 0
		.amdhsa_system_sgpr_workgroup_id_z 0
		.amdhsa_system_sgpr_workgroup_info 0
		.amdhsa_system_vgpr_workitem_id 0
		.amdhsa_next_free_vgpr 1
		.amdhsa_next_free_sgpr 0
		.amdhsa_accum_offset 4
		.amdhsa_reserve_vcc 0
		.amdhsa_reserve_flat_scratch 0
		.amdhsa_float_round_mode_32 0
		.amdhsa_float_round_mode_16_64 0
		.amdhsa_float_denorm_mode_32 3
		.amdhsa_float_denorm_mode_16_64 3
		.amdhsa_dx10_clamp 1
		.amdhsa_ieee_mode 1
		.amdhsa_fp16_overflow 0
		.amdhsa_tg_split 0
		.amdhsa_exception_fp_ieee_invalid_op 0
		.amdhsa_exception_fp_denorm_src 0
		.amdhsa_exception_fp_ieee_div_zero 0
		.amdhsa_exception_fp_ieee_overflow 0
		.amdhsa_exception_fp_ieee_underflow 0
		.amdhsa_exception_fp_ieee_inexact 0
		.amdhsa_exception_int_div_zero 0
	.end_amdhsa_kernel
	.section	.text._ZN7rocprim17ROCPRIM_400000_NS6detail17trampoline_kernelINS0_13kernel_configILj256ELj4ELj4294967295EEENS1_37radix_sort_block_sort_config_selectorIflEEZNS1_21radix_sort_block_sortIS4_Lb0EPfS8_N6thrust23THRUST_200600_302600_NS10device_ptrIlEESC_NS0_19identity_decomposerEEE10hipError_tT1_T2_T3_T4_jRjT5_jjP12ihipStream_tbEUlT_E_NS1_11comp_targetILNS1_3genE8ELNS1_11target_archE1030ELNS1_3gpuE2ELNS1_3repE0EEENS1_44radix_sort_block_sort_config_static_selectorELNS0_4arch9wavefront6targetE1EEEvSF_,"axG",@progbits,_ZN7rocprim17ROCPRIM_400000_NS6detail17trampoline_kernelINS0_13kernel_configILj256ELj4ELj4294967295EEENS1_37radix_sort_block_sort_config_selectorIflEEZNS1_21radix_sort_block_sortIS4_Lb0EPfS8_N6thrust23THRUST_200600_302600_NS10device_ptrIlEESC_NS0_19identity_decomposerEEE10hipError_tT1_T2_T3_T4_jRjT5_jjP12ihipStream_tbEUlT_E_NS1_11comp_targetILNS1_3genE8ELNS1_11target_archE1030ELNS1_3gpuE2ELNS1_3repE0EEENS1_44radix_sort_block_sort_config_static_selectorELNS0_4arch9wavefront6targetE1EEEvSF_,comdat
.Lfunc_end1750:
	.size	_ZN7rocprim17ROCPRIM_400000_NS6detail17trampoline_kernelINS0_13kernel_configILj256ELj4ELj4294967295EEENS1_37radix_sort_block_sort_config_selectorIflEEZNS1_21radix_sort_block_sortIS4_Lb0EPfS8_N6thrust23THRUST_200600_302600_NS10device_ptrIlEESC_NS0_19identity_decomposerEEE10hipError_tT1_T2_T3_T4_jRjT5_jjP12ihipStream_tbEUlT_E_NS1_11comp_targetILNS1_3genE8ELNS1_11target_archE1030ELNS1_3gpuE2ELNS1_3repE0EEENS1_44radix_sort_block_sort_config_static_selectorELNS0_4arch9wavefront6targetE1EEEvSF_, .Lfunc_end1750-_ZN7rocprim17ROCPRIM_400000_NS6detail17trampoline_kernelINS0_13kernel_configILj256ELj4ELj4294967295EEENS1_37radix_sort_block_sort_config_selectorIflEEZNS1_21radix_sort_block_sortIS4_Lb0EPfS8_N6thrust23THRUST_200600_302600_NS10device_ptrIlEESC_NS0_19identity_decomposerEEE10hipError_tT1_T2_T3_T4_jRjT5_jjP12ihipStream_tbEUlT_E_NS1_11comp_targetILNS1_3genE8ELNS1_11target_archE1030ELNS1_3gpuE2ELNS1_3repE0EEENS1_44radix_sort_block_sort_config_static_selectorELNS0_4arch9wavefront6targetE1EEEvSF_
                                        ; -- End function
	.section	.AMDGPU.csdata,"",@progbits
; Kernel info:
; codeLenInByte = 0
; NumSgprs: 4
; NumVgprs: 0
; NumAgprs: 0
; TotalNumVgprs: 0
; ScratchSize: 0
; MemoryBound: 0
; FloatMode: 240
; IeeeMode: 1
; LDSByteSize: 0 bytes/workgroup (compile time only)
; SGPRBlocks: 0
; VGPRBlocks: 0
; NumSGPRsForWavesPerEU: 4
; NumVGPRsForWavesPerEU: 1
; AccumOffset: 4
; Occupancy: 8
; WaveLimiterHint : 0
; COMPUTE_PGM_RSRC2:SCRATCH_EN: 0
; COMPUTE_PGM_RSRC2:USER_SGPR: 6
; COMPUTE_PGM_RSRC2:TRAP_HANDLER: 0
; COMPUTE_PGM_RSRC2:TGID_X_EN: 1
; COMPUTE_PGM_RSRC2:TGID_Y_EN: 0
; COMPUTE_PGM_RSRC2:TGID_Z_EN: 0
; COMPUTE_PGM_RSRC2:TIDIG_COMP_CNT: 0
; COMPUTE_PGM_RSRC3_GFX90A:ACCUM_OFFSET: 0
; COMPUTE_PGM_RSRC3_GFX90A:TG_SPLIT: 0
	.section	.text._ZN7rocprim17ROCPRIM_400000_NS6detail44device_merge_sort_compile_time_verifier_archINS1_11comp_targetILNS1_3genE0ELNS1_11target_archE4294967295ELNS1_3gpuE0ELNS1_3repE0EEES8_NS1_28merge_sort_block_sort_configILj256ELj4ELNS0_20block_sort_algorithmE0EEENS0_14default_configENS1_37merge_sort_block_sort_config_selectorIflEENS1_38merge_sort_block_merge_config_selectorIflEEEEvv,"axG",@progbits,_ZN7rocprim17ROCPRIM_400000_NS6detail44device_merge_sort_compile_time_verifier_archINS1_11comp_targetILNS1_3genE0ELNS1_11target_archE4294967295ELNS1_3gpuE0ELNS1_3repE0EEES8_NS1_28merge_sort_block_sort_configILj256ELj4ELNS0_20block_sort_algorithmE0EEENS0_14default_configENS1_37merge_sort_block_sort_config_selectorIflEENS1_38merge_sort_block_merge_config_selectorIflEEEEvv,comdat
	.protected	_ZN7rocprim17ROCPRIM_400000_NS6detail44device_merge_sort_compile_time_verifier_archINS1_11comp_targetILNS1_3genE0ELNS1_11target_archE4294967295ELNS1_3gpuE0ELNS1_3repE0EEES8_NS1_28merge_sort_block_sort_configILj256ELj4ELNS0_20block_sort_algorithmE0EEENS0_14default_configENS1_37merge_sort_block_sort_config_selectorIflEENS1_38merge_sort_block_merge_config_selectorIflEEEEvv ; -- Begin function _ZN7rocprim17ROCPRIM_400000_NS6detail44device_merge_sort_compile_time_verifier_archINS1_11comp_targetILNS1_3genE0ELNS1_11target_archE4294967295ELNS1_3gpuE0ELNS1_3repE0EEES8_NS1_28merge_sort_block_sort_configILj256ELj4ELNS0_20block_sort_algorithmE0EEENS0_14default_configENS1_37merge_sort_block_sort_config_selectorIflEENS1_38merge_sort_block_merge_config_selectorIflEEEEvv
	.globl	_ZN7rocprim17ROCPRIM_400000_NS6detail44device_merge_sort_compile_time_verifier_archINS1_11comp_targetILNS1_3genE0ELNS1_11target_archE4294967295ELNS1_3gpuE0ELNS1_3repE0EEES8_NS1_28merge_sort_block_sort_configILj256ELj4ELNS0_20block_sort_algorithmE0EEENS0_14default_configENS1_37merge_sort_block_sort_config_selectorIflEENS1_38merge_sort_block_merge_config_selectorIflEEEEvv
	.p2align	8
	.type	_ZN7rocprim17ROCPRIM_400000_NS6detail44device_merge_sort_compile_time_verifier_archINS1_11comp_targetILNS1_3genE0ELNS1_11target_archE4294967295ELNS1_3gpuE0ELNS1_3repE0EEES8_NS1_28merge_sort_block_sort_configILj256ELj4ELNS0_20block_sort_algorithmE0EEENS0_14default_configENS1_37merge_sort_block_sort_config_selectorIflEENS1_38merge_sort_block_merge_config_selectorIflEEEEvv,@function
_ZN7rocprim17ROCPRIM_400000_NS6detail44device_merge_sort_compile_time_verifier_archINS1_11comp_targetILNS1_3genE0ELNS1_11target_archE4294967295ELNS1_3gpuE0ELNS1_3repE0EEES8_NS1_28merge_sort_block_sort_configILj256ELj4ELNS0_20block_sort_algorithmE0EEENS0_14default_configENS1_37merge_sort_block_sort_config_selectorIflEENS1_38merge_sort_block_merge_config_selectorIflEEEEvv: ; @_ZN7rocprim17ROCPRIM_400000_NS6detail44device_merge_sort_compile_time_verifier_archINS1_11comp_targetILNS1_3genE0ELNS1_11target_archE4294967295ELNS1_3gpuE0ELNS1_3repE0EEES8_NS1_28merge_sort_block_sort_configILj256ELj4ELNS0_20block_sort_algorithmE0EEENS0_14default_configENS1_37merge_sort_block_sort_config_selectorIflEENS1_38merge_sort_block_merge_config_selectorIflEEEEvv
; %bb.0:
	s_endpgm
	.section	.rodata,"a",@progbits
	.p2align	6, 0x0
	.amdhsa_kernel _ZN7rocprim17ROCPRIM_400000_NS6detail44device_merge_sort_compile_time_verifier_archINS1_11comp_targetILNS1_3genE0ELNS1_11target_archE4294967295ELNS1_3gpuE0ELNS1_3repE0EEES8_NS1_28merge_sort_block_sort_configILj256ELj4ELNS0_20block_sort_algorithmE0EEENS0_14default_configENS1_37merge_sort_block_sort_config_selectorIflEENS1_38merge_sort_block_merge_config_selectorIflEEEEvv
		.amdhsa_group_segment_fixed_size 0
		.amdhsa_private_segment_fixed_size 0
		.amdhsa_kernarg_size 0
		.amdhsa_user_sgpr_count 4
		.amdhsa_user_sgpr_private_segment_buffer 1
		.amdhsa_user_sgpr_dispatch_ptr 0
		.amdhsa_user_sgpr_queue_ptr 0
		.amdhsa_user_sgpr_kernarg_segment_ptr 0
		.amdhsa_user_sgpr_dispatch_id 0
		.amdhsa_user_sgpr_flat_scratch_init 0
		.amdhsa_user_sgpr_kernarg_preload_length 0
		.amdhsa_user_sgpr_kernarg_preload_offset 0
		.amdhsa_user_sgpr_private_segment_size 0
		.amdhsa_uses_dynamic_stack 0
		.amdhsa_system_sgpr_private_segment_wavefront_offset 0
		.amdhsa_system_sgpr_workgroup_id_x 1
		.amdhsa_system_sgpr_workgroup_id_y 0
		.amdhsa_system_sgpr_workgroup_id_z 0
		.amdhsa_system_sgpr_workgroup_info 0
		.amdhsa_system_vgpr_workitem_id 0
		.amdhsa_next_free_vgpr 1
		.amdhsa_next_free_sgpr 0
		.amdhsa_accum_offset 4
		.amdhsa_reserve_vcc 0
		.amdhsa_reserve_flat_scratch 0
		.amdhsa_float_round_mode_32 0
		.amdhsa_float_round_mode_16_64 0
		.amdhsa_float_denorm_mode_32 3
		.amdhsa_float_denorm_mode_16_64 3
		.amdhsa_dx10_clamp 1
		.amdhsa_ieee_mode 1
		.amdhsa_fp16_overflow 0
		.amdhsa_tg_split 0
		.amdhsa_exception_fp_ieee_invalid_op 0
		.amdhsa_exception_fp_denorm_src 0
		.amdhsa_exception_fp_ieee_div_zero 0
		.amdhsa_exception_fp_ieee_overflow 0
		.amdhsa_exception_fp_ieee_underflow 0
		.amdhsa_exception_fp_ieee_inexact 0
		.amdhsa_exception_int_div_zero 0
	.end_amdhsa_kernel
	.section	.text._ZN7rocprim17ROCPRIM_400000_NS6detail44device_merge_sort_compile_time_verifier_archINS1_11comp_targetILNS1_3genE0ELNS1_11target_archE4294967295ELNS1_3gpuE0ELNS1_3repE0EEES8_NS1_28merge_sort_block_sort_configILj256ELj4ELNS0_20block_sort_algorithmE0EEENS0_14default_configENS1_37merge_sort_block_sort_config_selectorIflEENS1_38merge_sort_block_merge_config_selectorIflEEEEvv,"axG",@progbits,_ZN7rocprim17ROCPRIM_400000_NS6detail44device_merge_sort_compile_time_verifier_archINS1_11comp_targetILNS1_3genE0ELNS1_11target_archE4294967295ELNS1_3gpuE0ELNS1_3repE0EEES8_NS1_28merge_sort_block_sort_configILj256ELj4ELNS0_20block_sort_algorithmE0EEENS0_14default_configENS1_37merge_sort_block_sort_config_selectorIflEENS1_38merge_sort_block_merge_config_selectorIflEEEEvv,comdat
.Lfunc_end1751:
	.size	_ZN7rocprim17ROCPRIM_400000_NS6detail44device_merge_sort_compile_time_verifier_archINS1_11comp_targetILNS1_3genE0ELNS1_11target_archE4294967295ELNS1_3gpuE0ELNS1_3repE0EEES8_NS1_28merge_sort_block_sort_configILj256ELj4ELNS0_20block_sort_algorithmE0EEENS0_14default_configENS1_37merge_sort_block_sort_config_selectorIflEENS1_38merge_sort_block_merge_config_selectorIflEEEEvv, .Lfunc_end1751-_ZN7rocprim17ROCPRIM_400000_NS6detail44device_merge_sort_compile_time_verifier_archINS1_11comp_targetILNS1_3genE0ELNS1_11target_archE4294967295ELNS1_3gpuE0ELNS1_3repE0EEES8_NS1_28merge_sort_block_sort_configILj256ELj4ELNS0_20block_sort_algorithmE0EEENS0_14default_configENS1_37merge_sort_block_sort_config_selectorIflEENS1_38merge_sort_block_merge_config_selectorIflEEEEvv
                                        ; -- End function
	.section	.AMDGPU.csdata,"",@progbits
; Kernel info:
; codeLenInByte = 4
; NumSgprs: 4
; NumVgprs: 0
; NumAgprs: 0
; TotalNumVgprs: 0
; ScratchSize: 0
; MemoryBound: 0
; FloatMode: 240
; IeeeMode: 1
; LDSByteSize: 0 bytes/workgroup (compile time only)
; SGPRBlocks: 0
; VGPRBlocks: 0
; NumSGPRsForWavesPerEU: 4
; NumVGPRsForWavesPerEU: 1
; AccumOffset: 4
; Occupancy: 8
; WaveLimiterHint : 0
; COMPUTE_PGM_RSRC2:SCRATCH_EN: 0
; COMPUTE_PGM_RSRC2:USER_SGPR: 4
; COMPUTE_PGM_RSRC2:TRAP_HANDLER: 0
; COMPUTE_PGM_RSRC2:TGID_X_EN: 1
; COMPUTE_PGM_RSRC2:TGID_Y_EN: 0
; COMPUTE_PGM_RSRC2:TGID_Z_EN: 0
; COMPUTE_PGM_RSRC2:TIDIG_COMP_CNT: 0
; COMPUTE_PGM_RSRC3_GFX90A:ACCUM_OFFSET: 0
; COMPUTE_PGM_RSRC3_GFX90A:TG_SPLIT: 0
	.section	.text._ZN7rocprim17ROCPRIM_400000_NS6detail44device_merge_sort_compile_time_verifier_archINS1_11comp_targetILNS1_3genE5ELNS1_11target_archE942ELNS1_3gpuE9ELNS1_3repE0EEES8_NS1_28merge_sort_block_sort_configILj256ELj4ELNS0_20block_sort_algorithmE0EEENS0_14default_configENS1_37merge_sort_block_sort_config_selectorIflEENS1_38merge_sort_block_merge_config_selectorIflEEEEvv,"axG",@progbits,_ZN7rocprim17ROCPRIM_400000_NS6detail44device_merge_sort_compile_time_verifier_archINS1_11comp_targetILNS1_3genE5ELNS1_11target_archE942ELNS1_3gpuE9ELNS1_3repE0EEES8_NS1_28merge_sort_block_sort_configILj256ELj4ELNS0_20block_sort_algorithmE0EEENS0_14default_configENS1_37merge_sort_block_sort_config_selectorIflEENS1_38merge_sort_block_merge_config_selectorIflEEEEvv,comdat
	.protected	_ZN7rocprim17ROCPRIM_400000_NS6detail44device_merge_sort_compile_time_verifier_archINS1_11comp_targetILNS1_3genE5ELNS1_11target_archE942ELNS1_3gpuE9ELNS1_3repE0EEES8_NS1_28merge_sort_block_sort_configILj256ELj4ELNS0_20block_sort_algorithmE0EEENS0_14default_configENS1_37merge_sort_block_sort_config_selectorIflEENS1_38merge_sort_block_merge_config_selectorIflEEEEvv ; -- Begin function _ZN7rocprim17ROCPRIM_400000_NS6detail44device_merge_sort_compile_time_verifier_archINS1_11comp_targetILNS1_3genE5ELNS1_11target_archE942ELNS1_3gpuE9ELNS1_3repE0EEES8_NS1_28merge_sort_block_sort_configILj256ELj4ELNS0_20block_sort_algorithmE0EEENS0_14default_configENS1_37merge_sort_block_sort_config_selectorIflEENS1_38merge_sort_block_merge_config_selectorIflEEEEvv
	.globl	_ZN7rocprim17ROCPRIM_400000_NS6detail44device_merge_sort_compile_time_verifier_archINS1_11comp_targetILNS1_3genE5ELNS1_11target_archE942ELNS1_3gpuE9ELNS1_3repE0EEES8_NS1_28merge_sort_block_sort_configILj256ELj4ELNS0_20block_sort_algorithmE0EEENS0_14default_configENS1_37merge_sort_block_sort_config_selectorIflEENS1_38merge_sort_block_merge_config_selectorIflEEEEvv
	.p2align	8
	.type	_ZN7rocprim17ROCPRIM_400000_NS6detail44device_merge_sort_compile_time_verifier_archINS1_11comp_targetILNS1_3genE5ELNS1_11target_archE942ELNS1_3gpuE9ELNS1_3repE0EEES8_NS1_28merge_sort_block_sort_configILj256ELj4ELNS0_20block_sort_algorithmE0EEENS0_14default_configENS1_37merge_sort_block_sort_config_selectorIflEENS1_38merge_sort_block_merge_config_selectorIflEEEEvv,@function
_ZN7rocprim17ROCPRIM_400000_NS6detail44device_merge_sort_compile_time_verifier_archINS1_11comp_targetILNS1_3genE5ELNS1_11target_archE942ELNS1_3gpuE9ELNS1_3repE0EEES8_NS1_28merge_sort_block_sort_configILj256ELj4ELNS0_20block_sort_algorithmE0EEENS0_14default_configENS1_37merge_sort_block_sort_config_selectorIflEENS1_38merge_sort_block_merge_config_selectorIflEEEEvv: ; @_ZN7rocprim17ROCPRIM_400000_NS6detail44device_merge_sort_compile_time_verifier_archINS1_11comp_targetILNS1_3genE5ELNS1_11target_archE942ELNS1_3gpuE9ELNS1_3repE0EEES8_NS1_28merge_sort_block_sort_configILj256ELj4ELNS0_20block_sort_algorithmE0EEENS0_14default_configENS1_37merge_sort_block_sort_config_selectorIflEENS1_38merge_sort_block_merge_config_selectorIflEEEEvv
; %bb.0:
	s_endpgm
	.section	.rodata,"a",@progbits
	.p2align	6, 0x0
	.amdhsa_kernel _ZN7rocprim17ROCPRIM_400000_NS6detail44device_merge_sort_compile_time_verifier_archINS1_11comp_targetILNS1_3genE5ELNS1_11target_archE942ELNS1_3gpuE9ELNS1_3repE0EEES8_NS1_28merge_sort_block_sort_configILj256ELj4ELNS0_20block_sort_algorithmE0EEENS0_14default_configENS1_37merge_sort_block_sort_config_selectorIflEENS1_38merge_sort_block_merge_config_selectorIflEEEEvv
		.amdhsa_group_segment_fixed_size 0
		.amdhsa_private_segment_fixed_size 0
		.amdhsa_kernarg_size 0
		.amdhsa_user_sgpr_count 4
		.amdhsa_user_sgpr_private_segment_buffer 1
		.amdhsa_user_sgpr_dispatch_ptr 0
		.amdhsa_user_sgpr_queue_ptr 0
		.amdhsa_user_sgpr_kernarg_segment_ptr 0
		.amdhsa_user_sgpr_dispatch_id 0
		.amdhsa_user_sgpr_flat_scratch_init 0
		.amdhsa_user_sgpr_kernarg_preload_length 0
		.amdhsa_user_sgpr_kernarg_preload_offset 0
		.amdhsa_user_sgpr_private_segment_size 0
		.amdhsa_uses_dynamic_stack 0
		.amdhsa_system_sgpr_private_segment_wavefront_offset 0
		.amdhsa_system_sgpr_workgroup_id_x 1
		.amdhsa_system_sgpr_workgroup_id_y 0
		.amdhsa_system_sgpr_workgroup_id_z 0
		.amdhsa_system_sgpr_workgroup_info 0
		.amdhsa_system_vgpr_workitem_id 0
		.amdhsa_next_free_vgpr 1
		.amdhsa_next_free_sgpr 0
		.amdhsa_accum_offset 4
		.amdhsa_reserve_vcc 0
		.amdhsa_reserve_flat_scratch 0
		.amdhsa_float_round_mode_32 0
		.amdhsa_float_round_mode_16_64 0
		.amdhsa_float_denorm_mode_32 3
		.amdhsa_float_denorm_mode_16_64 3
		.amdhsa_dx10_clamp 1
		.amdhsa_ieee_mode 1
		.amdhsa_fp16_overflow 0
		.amdhsa_tg_split 0
		.amdhsa_exception_fp_ieee_invalid_op 0
		.amdhsa_exception_fp_denorm_src 0
		.amdhsa_exception_fp_ieee_div_zero 0
		.amdhsa_exception_fp_ieee_overflow 0
		.amdhsa_exception_fp_ieee_underflow 0
		.amdhsa_exception_fp_ieee_inexact 0
		.amdhsa_exception_int_div_zero 0
	.end_amdhsa_kernel
	.section	.text._ZN7rocprim17ROCPRIM_400000_NS6detail44device_merge_sort_compile_time_verifier_archINS1_11comp_targetILNS1_3genE5ELNS1_11target_archE942ELNS1_3gpuE9ELNS1_3repE0EEES8_NS1_28merge_sort_block_sort_configILj256ELj4ELNS0_20block_sort_algorithmE0EEENS0_14default_configENS1_37merge_sort_block_sort_config_selectorIflEENS1_38merge_sort_block_merge_config_selectorIflEEEEvv,"axG",@progbits,_ZN7rocprim17ROCPRIM_400000_NS6detail44device_merge_sort_compile_time_verifier_archINS1_11comp_targetILNS1_3genE5ELNS1_11target_archE942ELNS1_3gpuE9ELNS1_3repE0EEES8_NS1_28merge_sort_block_sort_configILj256ELj4ELNS0_20block_sort_algorithmE0EEENS0_14default_configENS1_37merge_sort_block_sort_config_selectorIflEENS1_38merge_sort_block_merge_config_selectorIflEEEEvv,comdat
.Lfunc_end1752:
	.size	_ZN7rocprim17ROCPRIM_400000_NS6detail44device_merge_sort_compile_time_verifier_archINS1_11comp_targetILNS1_3genE5ELNS1_11target_archE942ELNS1_3gpuE9ELNS1_3repE0EEES8_NS1_28merge_sort_block_sort_configILj256ELj4ELNS0_20block_sort_algorithmE0EEENS0_14default_configENS1_37merge_sort_block_sort_config_selectorIflEENS1_38merge_sort_block_merge_config_selectorIflEEEEvv, .Lfunc_end1752-_ZN7rocprim17ROCPRIM_400000_NS6detail44device_merge_sort_compile_time_verifier_archINS1_11comp_targetILNS1_3genE5ELNS1_11target_archE942ELNS1_3gpuE9ELNS1_3repE0EEES8_NS1_28merge_sort_block_sort_configILj256ELj4ELNS0_20block_sort_algorithmE0EEENS0_14default_configENS1_37merge_sort_block_sort_config_selectorIflEENS1_38merge_sort_block_merge_config_selectorIflEEEEvv
                                        ; -- End function
	.section	.AMDGPU.csdata,"",@progbits
; Kernel info:
; codeLenInByte = 4
; NumSgprs: 4
; NumVgprs: 0
; NumAgprs: 0
; TotalNumVgprs: 0
; ScratchSize: 0
; MemoryBound: 0
; FloatMode: 240
; IeeeMode: 1
; LDSByteSize: 0 bytes/workgroup (compile time only)
; SGPRBlocks: 0
; VGPRBlocks: 0
; NumSGPRsForWavesPerEU: 4
; NumVGPRsForWavesPerEU: 1
; AccumOffset: 4
; Occupancy: 8
; WaveLimiterHint : 0
; COMPUTE_PGM_RSRC2:SCRATCH_EN: 0
; COMPUTE_PGM_RSRC2:USER_SGPR: 4
; COMPUTE_PGM_RSRC2:TRAP_HANDLER: 0
; COMPUTE_PGM_RSRC2:TGID_X_EN: 1
; COMPUTE_PGM_RSRC2:TGID_Y_EN: 0
; COMPUTE_PGM_RSRC2:TGID_Z_EN: 0
; COMPUTE_PGM_RSRC2:TIDIG_COMP_CNT: 0
; COMPUTE_PGM_RSRC3_GFX90A:ACCUM_OFFSET: 0
; COMPUTE_PGM_RSRC3_GFX90A:TG_SPLIT: 0
	.section	.text._ZN7rocprim17ROCPRIM_400000_NS6detail44device_merge_sort_compile_time_verifier_archINS1_11comp_targetILNS1_3genE4ELNS1_11target_archE910ELNS1_3gpuE8ELNS1_3repE0EEES8_NS1_28merge_sort_block_sort_configILj256ELj4ELNS0_20block_sort_algorithmE0EEENS0_14default_configENS1_37merge_sort_block_sort_config_selectorIflEENS1_38merge_sort_block_merge_config_selectorIflEEEEvv,"axG",@progbits,_ZN7rocprim17ROCPRIM_400000_NS6detail44device_merge_sort_compile_time_verifier_archINS1_11comp_targetILNS1_3genE4ELNS1_11target_archE910ELNS1_3gpuE8ELNS1_3repE0EEES8_NS1_28merge_sort_block_sort_configILj256ELj4ELNS0_20block_sort_algorithmE0EEENS0_14default_configENS1_37merge_sort_block_sort_config_selectorIflEENS1_38merge_sort_block_merge_config_selectorIflEEEEvv,comdat
	.protected	_ZN7rocprim17ROCPRIM_400000_NS6detail44device_merge_sort_compile_time_verifier_archINS1_11comp_targetILNS1_3genE4ELNS1_11target_archE910ELNS1_3gpuE8ELNS1_3repE0EEES8_NS1_28merge_sort_block_sort_configILj256ELj4ELNS0_20block_sort_algorithmE0EEENS0_14default_configENS1_37merge_sort_block_sort_config_selectorIflEENS1_38merge_sort_block_merge_config_selectorIflEEEEvv ; -- Begin function _ZN7rocprim17ROCPRIM_400000_NS6detail44device_merge_sort_compile_time_verifier_archINS1_11comp_targetILNS1_3genE4ELNS1_11target_archE910ELNS1_3gpuE8ELNS1_3repE0EEES8_NS1_28merge_sort_block_sort_configILj256ELj4ELNS0_20block_sort_algorithmE0EEENS0_14default_configENS1_37merge_sort_block_sort_config_selectorIflEENS1_38merge_sort_block_merge_config_selectorIflEEEEvv
	.globl	_ZN7rocprim17ROCPRIM_400000_NS6detail44device_merge_sort_compile_time_verifier_archINS1_11comp_targetILNS1_3genE4ELNS1_11target_archE910ELNS1_3gpuE8ELNS1_3repE0EEES8_NS1_28merge_sort_block_sort_configILj256ELj4ELNS0_20block_sort_algorithmE0EEENS0_14default_configENS1_37merge_sort_block_sort_config_selectorIflEENS1_38merge_sort_block_merge_config_selectorIflEEEEvv
	.p2align	8
	.type	_ZN7rocprim17ROCPRIM_400000_NS6detail44device_merge_sort_compile_time_verifier_archINS1_11comp_targetILNS1_3genE4ELNS1_11target_archE910ELNS1_3gpuE8ELNS1_3repE0EEES8_NS1_28merge_sort_block_sort_configILj256ELj4ELNS0_20block_sort_algorithmE0EEENS0_14default_configENS1_37merge_sort_block_sort_config_selectorIflEENS1_38merge_sort_block_merge_config_selectorIflEEEEvv,@function
_ZN7rocprim17ROCPRIM_400000_NS6detail44device_merge_sort_compile_time_verifier_archINS1_11comp_targetILNS1_3genE4ELNS1_11target_archE910ELNS1_3gpuE8ELNS1_3repE0EEES8_NS1_28merge_sort_block_sort_configILj256ELj4ELNS0_20block_sort_algorithmE0EEENS0_14default_configENS1_37merge_sort_block_sort_config_selectorIflEENS1_38merge_sort_block_merge_config_selectorIflEEEEvv: ; @_ZN7rocprim17ROCPRIM_400000_NS6detail44device_merge_sort_compile_time_verifier_archINS1_11comp_targetILNS1_3genE4ELNS1_11target_archE910ELNS1_3gpuE8ELNS1_3repE0EEES8_NS1_28merge_sort_block_sort_configILj256ELj4ELNS0_20block_sort_algorithmE0EEENS0_14default_configENS1_37merge_sort_block_sort_config_selectorIflEENS1_38merge_sort_block_merge_config_selectorIflEEEEvv
; %bb.0:
	s_endpgm
	.section	.rodata,"a",@progbits
	.p2align	6, 0x0
	.amdhsa_kernel _ZN7rocprim17ROCPRIM_400000_NS6detail44device_merge_sort_compile_time_verifier_archINS1_11comp_targetILNS1_3genE4ELNS1_11target_archE910ELNS1_3gpuE8ELNS1_3repE0EEES8_NS1_28merge_sort_block_sort_configILj256ELj4ELNS0_20block_sort_algorithmE0EEENS0_14default_configENS1_37merge_sort_block_sort_config_selectorIflEENS1_38merge_sort_block_merge_config_selectorIflEEEEvv
		.amdhsa_group_segment_fixed_size 0
		.amdhsa_private_segment_fixed_size 0
		.amdhsa_kernarg_size 0
		.amdhsa_user_sgpr_count 4
		.amdhsa_user_sgpr_private_segment_buffer 1
		.amdhsa_user_sgpr_dispatch_ptr 0
		.amdhsa_user_sgpr_queue_ptr 0
		.amdhsa_user_sgpr_kernarg_segment_ptr 0
		.amdhsa_user_sgpr_dispatch_id 0
		.amdhsa_user_sgpr_flat_scratch_init 0
		.amdhsa_user_sgpr_kernarg_preload_length 0
		.amdhsa_user_sgpr_kernarg_preload_offset 0
		.amdhsa_user_sgpr_private_segment_size 0
		.amdhsa_uses_dynamic_stack 0
		.amdhsa_system_sgpr_private_segment_wavefront_offset 0
		.amdhsa_system_sgpr_workgroup_id_x 1
		.amdhsa_system_sgpr_workgroup_id_y 0
		.amdhsa_system_sgpr_workgroup_id_z 0
		.amdhsa_system_sgpr_workgroup_info 0
		.amdhsa_system_vgpr_workitem_id 0
		.amdhsa_next_free_vgpr 1
		.amdhsa_next_free_sgpr 0
		.amdhsa_accum_offset 4
		.amdhsa_reserve_vcc 0
		.amdhsa_reserve_flat_scratch 0
		.amdhsa_float_round_mode_32 0
		.amdhsa_float_round_mode_16_64 0
		.amdhsa_float_denorm_mode_32 3
		.amdhsa_float_denorm_mode_16_64 3
		.amdhsa_dx10_clamp 1
		.amdhsa_ieee_mode 1
		.amdhsa_fp16_overflow 0
		.amdhsa_tg_split 0
		.amdhsa_exception_fp_ieee_invalid_op 0
		.amdhsa_exception_fp_denorm_src 0
		.amdhsa_exception_fp_ieee_div_zero 0
		.amdhsa_exception_fp_ieee_overflow 0
		.amdhsa_exception_fp_ieee_underflow 0
		.amdhsa_exception_fp_ieee_inexact 0
		.amdhsa_exception_int_div_zero 0
	.end_amdhsa_kernel
	.section	.text._ZN7rocprim17ROCPRIM_400000_NS6detail44device_merge_sort_compile_time_verifier_archINS1_11comp_targetILNS1_3genE4ELNS1_11target_archE910ELNS1_3gpuE8ELNS1_3repE0EEES8_NS1_28merge_sort_block_sort_configILj256ELj4ELNS0_20block_sort_algorithmE0EEENS0_14default_configENS1_37merge_sort_block_sort_config_selectorIflEENS1_38merge_sort_block_merge_config_selectorIflEEEEvv,"axG",@progbits,_ZN7rocprim17ROCPRIM_400000_NS6detail44device_merge_sort_compile_time_verifier_archINS1_11comp_targetILNS1_3genE4ELNS1_11target_archE910ELNS1_3gpuE8ELNS1_3repE0EEES8_NS1_28merge_sort_block_sort_configILj256ELj4ELNS0_20block_sort_algorithmE0EEENS0_14default_configENS1_37merge_sort_block_sort_config_selectorIflEENS1_38merge_sort_block_merge_config_selectorIflEEEEvv,comdat
.Lfunc_end1753:
	.size	_ZN7rocprim17ROCPRIM_400000_NS6detail44device_merge_sort_compile_time_verifier_archINS1_11comp_targetILNS1_3genE4ELNS1_11target_archE910ELNS1_3gpuE8ELNS1_3repE0EEES8_NS1_28merge_sort_block_sort_configILj256ELj4ELNS0_20block_sort_algorithmE0EEENS0_14default_configENS1_37merge_sort_block_sort_config_selectorIflEENS1_38merge_sort_block_merge_config_selectorIflEEEEvv, .Lfunc_end1753-_ZN7rocprim17ROCPRIM_400000_NS6detail44device_merge_sort_compile_time_verifier_archINS1_11comp_targetILNS1_3genE4ELNS1_11target_archE910ELNS1_3gpuE8ELNS1_3repE0EEES8_NS1_28merge_sort_block_sort_configILj256ELj4ELNS0_20block_sort_algorithmE0EEENS0_14default_configENS1_37merge_sort_block_sort_config_selectorIflEENS1_38merge_sort_block_merge_config_selectorIflEEEEvv
                                        ; -- End function
	.section	.AMDGPU.csdata,"",@progbits
; Kernel info:
; codeLenInByte = 4
; NumSgprs: 4
; NumVgprs: 0
; NumAgprs: 0
; TotalNumVgprs: 0
; ScratchSize: 0
; MemoryBound: 0
; FloatMode: 240
; IeeeMode: 1
; LDSByteSize: 0 bytes/workgroup (compile time only)
; SGPRBlocks: 0
; VGPRBlocks: 0
; NumSGPRsForWavesPerEU: 4
; NumVGPRsForWavesPerEU: 1
; AccumOffset: 4
; Occupancy: 8
; WaveLimiterHint : 0
; COMPUTE_PGM_RSRC2:SCRATCH_EN: 0
; COMPUTE_PGM_RSRC2:USER_SGPR: 4
; COMPUTE_PGM_RSRC2:TRAP_HANDLER: 0
; COMPUTE_PGM_RSRC2:TGID_X_EN: 1
; COMPUTE_PGM_RSRC2:TGID_Y_EN: 0
; COMPUTE_PGM_RSRC2:TGID_Z_EN: 0
; COMPUTE_PGM_RSRC2:TIDIG_COMP_CNT: 0
; COMPUTE_PGM_RSRC3_GFX90A:ACCUM_OFFSET: 0
; COMPUTE_PGM_RSRC3_GFX90A:TG_SPLIT: 0
	.section	.text._ZN7rocprim17ROCPRIM_400000_NS6detail44device_merge_sort_compile_time_verifier_archINS1_11comp_targetILNS1_3genE3ELNS1_11target_archE908ELNS1_3gpuE7ELNS1_3repE0EEES8_NS1_28merge_sort_block_sort_configILj256ELj4ELNS0_20block_sort_algorithmE0EEENS0_14default_configENS1_37merge_sort_block_sort_config_selectorIflEENS1_38merge_sort_block_merge_config_selectorIflEEEEvv,"axG",@progbits,_ZN7rocprim17ROCPRIM_400000_NS6detail44device_merge_sort_compile_time_verifier_archINS1_11comp_targetILNS1_3genE3ELNS1_11target_archE908ELNS1_3gpuE7ELNS1_3repE0EEES8_NS1_28merge_sort_block_sort_configILj256ELj4ELNS0_20block_sort_algorithmE0EEENS0_14default_configENS1_37merge_sort_block_sort_config_selectorIflEENS1_38merge_sort_block_merge_config_selectorIflEEEEvv,comdat
	.protected	_ZN7rocprim17ROCPRIM_400000_NS6detail44device_merge_sort_compile_time_verifier_archINS1_11comp_targetILNS1_3genE3ELNS1_11target_archE908ELNS1_3gpuE7ELNS1_3repE0EEES8_NS1_28merge_sort_block_sort_configILj256ELj4ELNS0_20block_sort_algorithmE0EEENS0_14default_configENS1_37merge_sort_block_sort_config_selectorIflEENS1_38merge_sort_block_merge_config_selectorIflEEEEvv ; -- Begin function _ZN7rocprim17ROCPRIM_400000_NS6detail44device_merge_sort_compile_time_verifier_archINS1_11comp_targetILNS1_3genE3ELNS1_11target_archE908ELNS1_3gpuE7ELNS1_3repE0EEES8_NS1_28merge_sort_block_sort_configILj256ELj4ELNS0_20block_sort_algorithmE0EEENS0_14default_configENS1_37merge_sort_block_sort_config_selectorIflEENS1_38merge_sort_block_merge_config_selectorIflEEEEvv
	.globl	_ZN7rocprim17ROCPRIM_400000_NS6detail44device_merge_sort_compile_time_verifier_archINS1_11comp_targetILNS1_3genE3ELNS1_11target_archE908ELNS1_3gpuE7ELNS1_3repE0EEES8_NS1_28merge_sort_block_sort_configILj256ELj4ELNS0_20block_sort_algorithmE0EEENS0_14default_configENS1_37merge_sort_block_sort_config_selectorIflEENS1_38merge_sort_block_merge_config_selectorIflEEEEvv
	.p2align	8
	.type	_ZN7rocprim17ROCPRIM_400000_NS6detail44device_merge_sort_compile_time_verifier_archINS1_11comp_targetILNS1_3genE3ELNS1_11target_archE908ELNS1_3gpuE7ELNS1_3repE0EEES8_NS1_28merge_sort_block_sort_configILj256ELj4ELNS0_20block_sort_algorithmE0EEENS0_14default_configENS1_37merge_sort_block_sort_config_selectorIflEENS1_38merge_sort_block_merge_config_selectorIflEEEEvv,@function
_ZN7rocprim17ROCPRIM_400000_NS6detail44device_merge_sort_compile_time_verifier_archINS1_11comp_targetILNS1_3genE3ELNS1_11target_archE908ELNS1_3gpuE7ELNS1_3repE0EEES8_NS1_28merge_sort_block_sort_configILj256ELj4ELNS0_20block_sort_algorithmE0EEENS0_14default_configENS1_37merge_sort_block_sort_config_selectorIflEENS1_38merge_sort_block_merge_config_selectorIflEEEEvv: ; @_ZN7rocprim17ROCPRIM_400000_NS6detail44device_merge_sort_compile_time_verifier_archINS1_11comp_targetILNS1_3genE3ELNS1_11target_archE908ELNS1_3gpuE7ELNS1_3repE0EEES8_NS1_28merge_sort_block_sort_configILj256ELj4ELNS0_20block_sort_algorithmE0EEENS0_14default_configENS1_37merge_sort_block_sort_config_selectorIflEENS1_38merge_sort_block_merge_config_selectorIflEEEEvv
; %bb.0:
	s_endpgm
	.section	.rodata,"a",@progbits
	.p2align	6, 0x0
	.amdhsa_kernel _ZN7rocprim17ROCPRIM_400000_NS6detail44device_merge_sort_compile_time_verifier_archINS1_11comp_targetILNS1_3genE3ELNS1_11target_archE908ELNS1_3gpuE7ELNS1_3repE0EEES8_NS1_28merge_sort_block_sort_configILj256ELj4ELNS0_20block_sort_algorithmE0EEENS0_14default_configENS1_37merge_sort_block_sort_config_selectorIflEENS1_38merge_sort_block_merge_config_selectorIflEEEEvv
		.amdhsa_group_segment_fixed_size 0
		.amdhsa_private_segment_fixed_size 0
		.amdhsa_kernarg_size 0
		.amdhsa_user_sgpr_count 4
		.amdhsa_user_sgpr_private_segment_buffer 1
		.amdhsa_user_sgpr_dispatch_ptr 0
		.amdhsa_user_sgpr_queue_ptr 0
		.amdhsa_user_sgpr_kernarg_segment_ptr 0
		.amdhsa_user_sgpr_dispatch_id 0
		.amdhsa_user_sgpr_flat_scratch_init 0
		.amdhsa_user_sgpr_kernarg_preload_length 0
		.amdhsa_user_sgpr_kernarg_preload_offset 0
		.amdhsa_user_sgpr_private_segment_size 0
		.amdhsa_uses_dynamic_stack 0
		.amdhsa_system_sgpr_private_segment_wavefront_offset 0
		.amdhsa_system_sgpr_workgroup_id_x 1
		.amdhsa_system_sgpr_workgroup_id_y 0
		.amdhsa_system_sgpr_workgroup_id_z 0
		.amdhsa_system_sgpr_workgroup_info 0
		.amdhsa_system_vgpr_workitem_id 0
		.amdhsa_next_free_vgpr 1
		.amdhsa_next_free_sgpr 0
		.amdhsa_accum_offset 4
		.amdhsa_reserve_vcc 0
		.amdhsa_reserve_flat_scratch 0
		.amdhsa_float_round_mode_32 0
		.amdhsa_float_round_mode_16_64 0
		.amdhsa_float_denorm_mode_32 3
		.amdhsa_float_denorm_mode_16_64 3
		.amdhsa_dx10_clamp 1
		.amdhsa_ieee_mode 1
		.amdhsa_fp16_overflow 0
		.amdhsa_tg_split 0
		.amdhsa_exception_fp_ieee_invalid_op 0
		.amdhsa_exception_fp_denorm_src 0
		.amdhsa_exception_fp_ieee_div_zero 0
		.amdhsa_exception_fp_ieee_overflow 0
		.amdhsa_exception_fp_ieee_underflow 0
		.amdhsa_exception_fp_ieee_inexact 0
		.amdhsa_exception_int_div_zero 0
	.end_amdhsa_kernel
	.section	.text._ZN7rocprim17ROCPRIM_400000_NS6detail44device_merge_sort_compile_time_verifier_archINS1_11comp_targetILNS1_3genE3ELNS1_11target_archE908ELNS1_3gpuE7ELNS1_3repE0EEES8_NS1_28merge_sort_block_sort_configILj256ELj4ELNS0_20block_sort_algorithmE0EEENS0_14default_configENS1_37merge_sort_block_sort_config_selectorIflEENS1_38merge_sort_block_merge_config_selectorIflEEEEvv,"axG",@progbits,_ZN7rocprim17ROCPRIM_400000_NS6detail44device_merge_sort_compile_time_verifier_archINS1_11comp_targetILNS1_3genE3ELNS1_11target_archE908ELNS1_3gpuE7ELNS1_3repE0EEES8_NS1_28merge_sort_block_sort_configILj256ELj4ELNS0_20block_sort_algorithmE0EEENS0_14default_configENS1_37merge_sort_block_sort_config_selectorIflEENS1_38merge_sort_block_merge_config_selectorIflEEEEvv,comdat
.Lfunc_end1754:
	.size	_ZN7rocprim17ROCPRIM_400000_NS6detail44device_merge_sort_compile_time_verifier_archINS1_11comp_targetILNS1_3genE3ELNS1_11target_archE908ELNS1_3gpuE7ELNS1_3repE0EEES8_NS1_28merge_sort_block_sort_configILj256ELj4ELNS0_20block_sort_algorithmE0EEENS0_14default_configENS1_37merge_sort_block_sort_config_selectorIflEENS1_38merge_sort_block_merge_config_selectorIflEEEEvv, .Lfunc_end1754-_ZN7rocprim17ROCPRIM_400000_NS6detail44device_merge_sort_compile_time_verifier_archINS1_11comp_targetILNS1_3genE3ELNS1_11target_archE908ELNS1_3gpuE7ELNS1_3repE0EEES8_NS1_28merge_sort_block_sort_configILj256ELj4ELNS0_20block_sort_algorithmE0EEENS0_14default_configENS1_37merge_sort_block_sort_config_selectorIflEENS1_38merge_sort_block_merge_config_selectorIflEEEEvv
                                        ; -- End function
	.section	.AMDGPU.csdata,"",@progbits
; Kernel info:
; codeLenInByte = 4
; NumSgprs: 4
; NumVgprs: 0
; NumAgprs: 0
; TotalNumVgprs: 0
; ScratchSize: 0
; MemoryBound: 0
; FloatMode: 240
; IeeeMode: 1
; LDSByteSize: 0 bytes/workgroup (compile time only)
; SGPRBlocks: 0
; VGPRBlocks: 0
; NumSGPRsForWavesPerEU: 4
; NumVGPRsForWavesPerEU: 1
; AccumOffset: 4
; Occupancy: 8
; WaveLimiterHint : 0
; COMPUTE_PGM_RSRC2:SCRATCH_EN: 0
; COMPUTE_PGM_RSRC2:USER_SGPR: 4
; COMPUTE_PGM_RSRC2:TRAP_HANDLER: 0
; COMPUTE_PGM_RSRC2:TGID_X_EN: 1
; COMPUTE_PGM_RSRC2:TGID_Y_EN: 0
; COMPUTE_PGM_RSRC2:TGID_Z_EN: 0
; COMPUTE_PGM_RSRC2:TIDIG_COMP_CNT: 0
; COMPUTE_PGM_RSRC3_GFX90A:ACCUM_OFFSET: 0
; COMPUTE_PGM_RSRC3_GFX90A:TG_SPLIT: 0
	.section	.text._ZN7rocprim17ROCPRIM_400000_NS6detail44device_merge_sort_compile_time_verifier_archINS1_11comp_targetILNS1_3genE2ELNS1_11target_archE906ELNS1_3gpuE6ELNS1_3repE0EEES8_NS1_28merge_sort_block_sort_configILj256ELj4ELNS0_20block_sort_algorithmE0EEENS0_14default_configENS1_37merge_sort_block_sort_config_selectorIflEENS1_38merge_sort_block_merge_config_selectorIflEEEEvv,"axG",@progbits,_ZN7rocprim17ROCPRIM_400000_NS6detail44device_merge_sort_compile_time_verifier_archINS1_11comp_targetILNS1_3genE2ELNS1_11target_archE906ELNS1_3gpuE6ELNS1_3repE0EEES8_NS1_28merge_sort_block_sort_configILj256ELj4ELNS0_20block_sort_algorithmE0EEENS0_14default_configENS1_37merge_sort_block_sort_config_selectorIflEENS1_38merge_sort_block_merge_config_selectorIflEEEEvv,comdat
	.protected	_ZN7rocprim17ROCPRIM_400000_NS6detail44device_merge_sort_compile_time_verifier_archINS1_11comp_targetILNS1_3genE2ELNS1_11target_archE906ELNS1_3gpuE6ELNS1_3repE0EEES8_NS1_28merge_sort_block_sort_configILj256ELj4ELNS0_20block_sort_algorithmE0EEENS0_14default_configENS1_37merge_sort_block_sort_config_selectorIflEENS1_38merge_sort_block_merge_config_selectorIflEEEEvv ; -- Begin function _ZN7rocprim17ROCPRIM_400000_NS6detail44device_merge_sort_compile_time_verifier_archINS1_11comp_targetILNS1_3genE2ELNS1_11target_archE906ELNS1_3gpuE6ELNS1_3repE0EEES8_NS1_28merge_sort_block_sort_configILj256ELj4ELNS0_20block_sort_algorithmE0EEENS0_14default_configENS1_37merge_sort_block_sort_config_selectorIflEENS1_38merge_sort_block_merge_config_selectorIflEEEEvv
	.globl	_ZN7rocprim17ROCPRIM_400000_NS6detail44device_merge_sort_compile_time_verifier_archINS1_11comp_targetILNS1_3genE2ELNS1_11target_archE906ELNS1_3gpuE6ELNS1_3repE0EEES8_NS1_28merge_sort_block_sort_configILj256ELj4ELNS0_20block_sort_algorithmE0EEENS0_14default_configENS1_37merge_sort_block_sort_config_selectorIflEENS1_38merge_sort_block_merge_config_selectorIflEEEEvv
	.p2align	8
	.type	_ZN7rocprim17ROCPRIM_400000_NS6detail44device_merge_sort_compile_time_verifier_archINS1_11comp_targetILNS1_3genE2ELNS1_11target_archE906ELNS1_3gpuE6ELNS1_3repE0EEES8_NS1_28merge_sort_block_sort_configILj256ELj4ELNS0_20block_sort_algorithmE0EEENS0_14default_configENS1_37merge_sort_block_sort_config_selectorIflEENS1_38merge_sort_block_merge_config_selectorIflEEEEvv,@function
_ZN7rocprim17ROCPRIM_400000_NS6detail44device_merge_sort_compile_time_verifier_archINS1_11comp_targetILNS1_3genE2ELNS1_11target_archE906ELNS1_3gpuE6ELNS1_3repE0EEES8_NS1_28merge_sort_block_sort_configILj256ELj4ELNS0_20block_sort_algorithmE0EEENS0_14default_configENS1_37merge_sort_block_sort_config_selectorIflEENS1_38merge_sort_block_merge_config_selectorIflEEEEvv: ; @_ZN7rocprim17ROCPRIM_400000_NS6detail44device_merge_sort_compile_time_verifier_archINS1_11comp_targetILNS1_3genE2ELNS1_11target_archE906ELNS1_3gpuE6ELNS1_3repE0EEES8_NS1_28merge_sort_block_sort_configILj256ELj4ELNS0_20block_sort_algorithmE0EEENS0_14default_configENS1_37merge_sort_block_sort_config_selectorIflEENS1_38merge_sort_block_merge_config_selectorIflEEEEvv
; %bb.0:
	s_endpgm
	.section	.rodata,"a",@progbits
	.p2align	6, 0x0
	.amdhsa_kernel _ZN7rocprim17ROCPRIM_400000_NS6detail44device_merge_sort_compile_time_verifier_archINS1_11comp_targetILNS1_3genE2ELNS1_11target_archE906ELNS1_3gpuE6ELNS1_3repE0EEES8_NS1_28merge_sort_block_sort_configILj256ELj4ELNS0_20block_sort_algorithmE0EEENS0_14default_configENS1_37merge_sort_block_sort_config_selectorIflEENS1_38merge_sort_block_merge_config_selectorIflEEEEvv
		.amdhsa_group_segment_fixed_size 0
		.amdhsa_private_segment_fixed_size 0
		.amdhsa_kernarg_size 0
		.amdhsa_user_sgpr_count 4
		.amdhsa_user_sgpr_private_segment_buffer 1
		.amdhsa_user_sgpr_dispatch_ptr 0
		.amdhsa_user_sgpr_queue_ptr 0
		.amdhsa_user_sgpr_kernarg_segment_ptr 0
		.amdhsa_user_sgpr_dispatch_id 0
		.amdhsa_user_sgpr_flat_scratch_init 0
		.amdhsa_user_sgpr_kernarg_preload_length 0
		.amdhsa_user_sgpr_kernarg_preload_offset 0
		.amdhsa_user_sgpr_private_segment_size 0
		.amdhsa_uses_dynamic_stack 0
		.amdhsa_system_sgpr_private_segment_wavefront_offset 0
		.amdhsa_system_sgpr_workgroup_id_x 1
		.amdhsa_system_sgpr_workgroup_id_y 0
		.amdhsa_system_sgpr_workgroup_id_z 0
		.amdhsa_system_sgpr_workgroup_info 0
		.amdhsa_system_vgpr_workitem_id 0
		.amdhsa_next_free_vgpr 1
		.amdhsa_next_free_sgpr 0
		.amdhsa_accum_offset 4
		.amdhsa_reserve_vcc 0
		.amdhsa_reserve_flat_scratch 0
		.amdhsa_float_round_mode_32 0
		.amdhsa_float_round_mode_16_64 0
		.amdhsa_float_denorm_mode_32 3
		.amdhsa_float_denorm_mode_16_64 3
		.amdhsa_dx10_clamp 1
		.amdhsa_ieee_mode 1
		.amdhsa_fp16_overflow 0
		.amdhsa_tg_split 0
		.amdhsa_exception_fp_ieee_invalid_op 0
		.amdhsa_exception_fp_denorm_src 0
		.amdhsa_exception_fp_ieee_div_zero 0
		.amdhsa_exception_fp_ieee_overflow 0
		.amdhsa_exception_fp_ieee_underflow 0
		.amdhsa_exception_fp_ieee_inexact 0
		.amdhsa_exception_int_div_zero 0
	.end_amdhsa_kernel
	.section	.text._ZN7rocprim17ROCPRIM_400000_NS6detail44device_merge_sort_compile_time_verifier_archINS1_11comp_targetILNS1_3genE2ELNS1_11target_archE906ELNS1_3gpuE6ELNS1_3repE0EEES8_NS1_28merge_sort_block_sort_configILj256ELj4ELNS0_20block_sort_algorithmE0EEENS0_14default_configENS1_37merge_sort_block_sort_config_selectorIflEENS1_38merge_sort_block_merge_config_selectorIflEEEEvv,"axG",@progbits,_ZN7rocprim17ROCPRIM_400000_NS6detail44device_merge_sort_compile_time_verifier_archINS1_11comp_targetILNS1_3genE2ELNS1_11target_archE906ELNS1_3gpuE6ELNS1_3repE0EEES8_NS1_28merge_sort_block_sort_configILj256ELj4ELNS0_20block_sort_algorithmE0EEENS0_14default_configENS1_37merge_sort_block_sort_config_selectorIflEENS1_38merge_sort_block_merge_config_selectorIflEEEEvv,comdat
.Lfunc_end1755:
	.size	_ZN7rocprim17ROCPRIM_400000_NS6detail44device_merge_sort_compile_time_verifier_archINS1_11comp_targetILNS1_3genE2ELNS1_11target_archE906ELNS1_3gpuE6ELNS1_3repE0EEES8_NS1_28merge_sort_block_sort_configILj256ELj4ELNS0_20block_sort_algorithmE0EEENS0_14default_configENS1_37merge_sort_block_sort_config_selectorIflEENS1_38merge_sort_block_merge_config_selectorIflEEEEvv, .Lfunc_end1755-_ZN7rocprim17ROCPRIM_400000_NS6detail44device_merge_sort_compile_time_verifier_archINS1_11comp_targetILNS1_3genE2ELNS1_11target_archE906ELNS1_3gpuE6ELNS1_3repE0EEES8_NS1_28merge_sort_block_sort_configILj256ELj4ELNS0_20block_sort_algorithmE0EEENS0_14default_configENS1_37merge_sort_block_sort_config_selectorIflEENS1_38merge_sort_block_merge_config_selectorIflEEEEvv
                                        ; -- End function
	.section	.AMDGPU.csdata,"",@progbits
; Kernel info:
; codeLenInByte = 4
; NumSgprs: 4
; NumVgprs: 0
; NumAgprs: 0
; TotalNumVgprs: 0
; ScratchSize: 0
; MemoryBound: 0
; FloatMode: 240
; IeeeMode: 1
; LDSByteSize: 0 bytes/workgroup (compile time only)
; SGPRBlocks: 0
; VGPRBlocks: 0
; NumSGPRsForWavesPerEU: 4
; NumVGPRsForWavesPerEU: 1
; AccumOffset: 4
; Occupancy: 8
; WaveLimiterHint : 0
; COMPUTE_PGM_RSRC2:SCRATCH_EN: 0
; COMPUTE_PGM_RSRC2:USER_SGPR: 4
; COMPUTE_PGM_RSRC2:TRAP_HANDLER: 0
; COMPUTE_PGM_RSRC2:TGID_X_EN: 1
; COMPUTE_PGM_RSRC2:TGID_Y_EN: 0
; COMPUTE_PGM_RSRC2:TGID_Z_EN: 0
; COMPUTE_PGM_RSRC2:TIDIG_COMP_CNT: 0
; COMPUTE_PGM_RSRC3_GFX90A:ACCUM_OFFSET: 0
; COMPUTE_PGM_RSRC3_GFX90A:TG_SPLIT: 0
	.section	.text._ZN7rocprim17ROCPRIM_400000_NS6detail44device_merge_sort_compile_time_verifier_archINS1_11comp_targetILNS1_3genE10ELNS1_11target_archE1201ELNS1_3gpuE5ELNS1_3repE0EEES8_NS1_28merge_sort_block_sort_configILj256ELj4ELNS0_20block_sort_algorithmE0EEENS0_14default_configENS1_37merge_sort_block_sort_config_selectorIflEENS1_38merge_sort_block_merge_config_selectorIflEEEEvv,"axG",@progbits,_ZN7rocprim17ROCPRIM_400000_NS6detail44device_merge_sort_compile_time_verifier_archINS1_11comp_targetILNS1_3genE10ELNS1_11target_archE1201ELNS1_3gpuE5ELNS1_3repE0EEES8_NS1_28merge_sort_block_sort_configILj256ELj4ELNS0_20block_sort_algorithmE0EEENS0_14default_configENS1_37merge_sort_block_sort_config_selectorIflEENS1_38merge_sort_block_merge_config_selectorIflEEEEvv,comdat
	.protected	_ZN7rocprim17ROCPRIM_400000_NS6detail44device_merge_sort_compile_time_verifier_archINS1_11comp_targetILNS1_3genE10ELNS1_11target_archE1201ELNS1_3gpuE5ELNS1_3repE0EEES8_NS1_28merge_sort_block_sort_configILj256ELj4ELNS0_20block_sort_algorithmE0EEENS0_14default_configENS1_37merge_sort_block_sort_config_selectorIflEENS1_38merge_sort_block_merge_config_selectorIflEEEEvv ; -- Begin function _ZN7rocprim17ROCPRIM_400000_NS6detail44device_merge_sort_compile_time_verifier_archINS1_11comp_targetILNS1_3genE10ELNS1_11target_archE1201ELNS1_3gpuE5ELNS1_3repE0EEES8_NS1_28merge_sort_block_sort_configILj256ELj4ELNS0_20block_sort_algorithmE0EEENS0_14default_configENS1_37merge_sort_block_sort_config_selectorIflEENS1_38merge_sort_block_merge_config_selectorIflEEEEvv
	.globl	_ZN7rocprim17ROCPRIM_400000_NS6detail44device_merge_sort_compile_time_verifier_archINS1_11comp_targetILNS1_3genE10ELNS1_11target_archE1201ELNS1_3gpuE5ELNS1_3repE0EEES8_NS1_28merge_sort_block_sort_configILj256ELj4ELNS0_20block_sort_algorithmE0EEENS0_14default_configENS1_37merge_sort_block_sort_config_selectorIflEENS1_38merge_sort_block_merge_config_selectorIflEEEEvv
	.p2align	8
	.type	_ZN7rocprim17ROCPRIM_400000_NS6detail44device_merge_sort_compile_time_verifier_archINS1_11comp_targetILNS1_3genE10ELNS1_11target_archE1201ELNS1_3gpuE5ELNS1_3repE0EEES8_NS1_28merge_sort_block_sort_configILj256ELj4ELNS0_20block_sort_algorithmE0EEENS0_14default_configENS1_37merge_sort_block_sort_config_selectorIflEENS1_38merge_sort_block_merge_config_selectorIflEEEEvv,@function
_ZN7rocprim17ROCPRIM_400000_NS6detail44device_merge_sort_compile_time_verifier_archINS1_11comp_targetILNS1_3genE10ELNS1_11target_archE1201ELNS1_3gpuE5ELNS1_3repE0EEES8_NS1_28merge_sort_block_sort_configILj256ELj4ELNS0_20block_sort_algorithmE0EEENS0_14default_configENS1_37merge_sort_block_sort_config_selectorIflEENS1_38merge_sort_block_merge_config_selectorIflEEEEvv: ; @_ZN7rocprim17ROCPRIM_400000_NS6detail44device_merge_sort_compile_time_verifier_archINS1_11comp_targetILNS1_3genE10ELNS1_11target_archE1201ELNS1_3gpuE5ELNS1_3repE0EEES8_NS1_28merge_sort_block_sort_configILj256ELj4ELNS0_20block_sort_algorithmE0EEENS0_14default_configENS1_37merge_sort_block_sort_config_selectorIflEENS1_38merge_sort_block_merge_config_selectorIflEEEEvv
; %bb.0:
	s_endpgm
	.section	.rodata,"a",@progbits
	.p2align	6, 0x0
	.amdhsa_kernel _ZN7rocprim17ROCPRIM_400000_NS6detail44device_merge_sort_compile_time_verifier_archINS1_11comp_targetILNS1_3genE10ELNS1_11target_archE1201ELNS1_3gpuE5ELNS1_3repE0EEES8_NS1_28merge_sort_block_sort_configILj256ELj4ELNS0_20block_sort_algorithmE0EEENS0_14default_configENS1_37merge_sort_block_sort_config_selectorIflEENS1_38merge_sort_block_merge_config_selectorIflEEEEvv
		.amdhsa_group_segment_fixed_size 0
		.amdhsa_private_segment_fixed_size 0
		.amdhsa_kernarg_size 0
		.amdhsa_user_sgpr_count 4
		.amdhsa_user_sgpr_private_segment_buffer 1
		.amdhsa_user_sgpr_dispatch_ptr 0
		.amdhsa_user_sgpr_queue_ptr 0
		.amdhsa_user_sgpr_kernarg_segment_ptr 0
		.amdhsa_user_sgpr_dispatch_id 0
		.amdhsa_user_sgpr_flat_scratch_init 0
		.amdhsa_user_sgpr_kernarg_preload_length 0
		.amdhsa_user_sgpr_kernarg_preload_offset 0
		.amdhsa_user_sgpr_private_segment_size 0
		.amdhsa_uses_dynamic_stack 0
		.amdhsa_system_sgpr_private_segment_wavefront_offset 0
		.amdhsa_system_sgpr_workgroup_id_x 1
		.amdhsa_system_sgpr_workgroup_id_y 0
		.amdhsa_system_sgpr_workgroup_id_z 0
		.amdhsa_system_sgpr_workgroup_info 0
		.amdhsa_system_vgpr_workitem_id 0
		.amdhsa_next_free_vgpr 1
		.amdhsa_next_free_sgpr 0
		.amdhsa_accum_offset 4
		.amdhsa_reserve_vcc 0
		.amdhsa_reserve_flat_scratch 0
		.amdhsa_float_round_mode_32 0
		.amdhsa_float_round_mode_16_64 0
		.amdhsa_float_denorm_mode_32 3
		.amdhsa_float_denorm_mode_16_64 3
		.amdhsa_dx10_clamp 1
		.amdhsa_ieee_mode 1
		.amdhsa_fp16_overflow 0
		.amdhsa_tg_split 0
		.amdhsa_exception_fp_ieee_invalid_op 0
		.amdhsa_exception_fp_denorm_src 0
		.amdhsa_exception_fp_ieee_div_zero 0
		.amdhsa_exception_fp_ieee_overflow 0
		.amdhsa_exception_fp_ieee_underflow 0
		.amdhsa_exception_fp_ieee_inexact 0
		.amdhsa_exception_int_div_zero 0
	.end_amdhsa_kernel
	.section	.text._ZN7rocprim17ROCPRIM_400000_NS6detail44device_merge_sort_compile_time_verifier_archINS1_11comp_targetILNS1_3genE10ELNS1_11target_archE1201ELNS1_3gpuE5ELNS1_3repE0EEES8_NS1_28merge_sort_block_sort_configILj256ELj4ELNS0_20block_sort_algorithmE0EEENS0_14default_configENS1_37merge_sort_block_sort_config_selectorIflEENS1_38merge_sort_block_merge_config_selectorIflEEEEvv,"axG",@progbits,_ZN7rocprim17ROCPRIM_400000_NS6detail44device_merge_sort_compile_time_verifier_archINS1_11comp_targetILNS1_3genE10ELNS1_11target_archE1201ELNS1_3gpuE5ELNS1_3repE0EEES8_NS1_28merge_sort_block_sort_configILj256ELj4ELNS0_20block_sort_algorithmE0EEENS0_14default_configENS1_37merge_sort_block_sort_config_selectorIflEENS1_38merge_sort_block_merge_config_selectorIflEEEEvv,comdat
.Lfunc_end1756:
	.size	_ZN7rocprim17ROCPRIM_400000_NS6detail44device_merge_sort_compile_time_verifier_archINS1_11comp_targetILNS1_3genE10ELNS1_11target_archE1201ELNS1_3gpuE5ELNS1_3repE0EEES8_NS1_28merge_sort_block_sort_configILj256ELj4ELNS0_20block_sort_algorithmE0EEENS0_14default_configENS1_37merge_sort_block_sort_config_selectorIflEENS1_38merge_sort_block_merge_config_selectorIflEEEEvv, .Lfunc_end1756-_ZN7rocprim17ROCPRIM_400000_NS6detail44device_merge_sort_compile_time_verifier_archINS1_11comp_targetILNS1_3genE10ELNS1_11target_archE1201ELNS1_3gpuE5ELNS1_3repE0EEES8_NS1_28merge_sort_block_sort_configILj256ELj4ELNS0_20block_sort_algorithmE0EEENS0_14default_configENS1_37merge_sort_block_sort_config_selectorIflEENS1_38merge_sort_block_merge_config_selectorIflEEEEvv
                                        ; -- End function
	.section	.AMDGPU.csdata,"",@progbits
; Kernel info:
; codeLenInByte = 4
; NumSgprs: 4
; NumVgprs: 0
; NumAgprs: 0
; TotalNumVgprs: 0
; ScratchSize: 0
; MemoryBound: 0
; FloatMode: 240
; IeeeMode: 1
; LDSByteSize: 0 bytes/workgroup (compile time only)
; SGPRBlocks: 0
; VGPRBlocks: 0
; NumSGPRsForWavesPerEU: 4
; NumVGPRsForWavesPerEU: 1
; AccumOffset: 4
; Occupancy: 8
; WaveLimiterHint : 0
; COMPUTE_PGM_RSRC2:SCRATCH_EN: 0
; COMPUTE_PGM_RSRC2:USER_SGPR: 4
; COMPUTE_PGM_RSRC2:TRAP_HANDLER: 0
; COMPUTE_PGM_RSRC2:TGID_X_EN: 1
; COMPUTE_PGM_RSRC2:TGID_Y_EN: 0
; COMPUTE_PGM_RSRC2:TGID_Z_EN: 0
; COMPUTE_PGM_RSRC2:TIDIG_COMP_CNT: 0
; COMPUTE_PGM_RSRC3_GFX90A:ACCUM_OFFSET: 0
; COMPUTE_PGM_RSRC3_GFX90A:TG_SPLIT: 0
	.section	.text._ZN7rocprim17ROCPRIM_400000_NS6detail44device_merge_sort_compile_time_verifier_archINS1_11comp_targetILNS1_3genE10ELNS1_11target_archE1200ELNS1_3gpuE4ELNS1_3repE0EEENS3_ILS4_10ELS5_1201ELS6_5ELS7_0EEENS1_28merge_sort_block_sort_configILj256ELj4ELNS0_20block_sort_algorithmE0EEENS0_14default_configENS1_37merge_sort_block_sort_config_selectorIflEENS1_38merge_sort_block_merge_config_selectorIflEEEEvv,"axG",@progbits,_ZN7rocprim17ROCPRIM_400000_NS6detail44device_merge_sort_compile_time_verifier_archINS1_11comp_targetILNS1_3genE10ELNS1_11target_archE1200ELNS1_3gpuE4ELNS1_3repE0EEENS3_ILS4_10ELS5_1201ELS6_5ELS7_0EEENS1_28merge_sort_block_sort_configILj256ELj4ELNS0_20block_sort_algorithmE0EEENS0_14default_configENS1_37merge_sort_block_sort_config_selectorIflEENS1_38merge_sort_block_merge_config_selectorIflEEEEvv,comdat
	.protected	_ZN7rocprim17ROCPRIM_400000_NS6detail44device_merge_sort_compile_time_verifier_archINS1_11comp_targetILNS1_3genE10ELNS1_11target_archE1200ELNS1_3gpuE4ELNS1_3repE0EEENS3_ILS4_10ELS5_1201ELS6_5ELS7_0EEENS1_28merge_sort_block_sort_configILj256ELj4ELNS0_20block_sort_algorithmE0EEENS0_14default_configENS1_37merge_sort_block_sort_config_selectorIflEENS1_38merge_sort_block_merge_config_selectorIflEEEEvv ; -- Begin function _ZN7rocprim17ROCPRIM_400000_NS6detail44device_merge_sort_compile_time_verifier_archINS1_11comp_targetILNS1_3genE10ELNS1_11target_archE1200ELNS1_3gpuE4ELNS1_3repE0EEENS3_ILS4_10ELS5_1201ELS6_5ELS7_0EEENS1_28merge_sort_block_sort_configILj256ELj4ELNS0_20block_sort_algorithmE0EEENS0_14default_configENS1_37merge_sort_block_sort_config_selectorIflEENS1_38merge_sort_block_merge_config_selectorIflEEEEvv
	.globl	_ZN7rocprim17ROCPRIM_400000_NS6detail44device_merge_sort_compile_time_verifier_archINS1_11comp_targetILNS1_3genE10ELNS1_11target_archE1200ELNS1_3gpuE4ELNS1_3repE0EEENS3_ILS4_10ELS5_1201ELS6_5ELS7_0EEENS1_28merge_sort_block_sort_configILj256ELj4ELNS0_20block_sort_algorithmE0EEENS0_14default_configENS1_37merge_sort_block_sort_config_selectorIflEENS1_38merge_sort_block_merge_config_selectorIflEEEEvv
	.p2align	8
	.type	_ZN7rocprim17ROCPRIM_400000_NS6detail44device_merge_sort_compile_time_verifier_archINS1_11comp_targetILNS1_3genE10ELNS1_11target_archE1200ELNS1_3gpuE4ELNS1_3repE0EEENS3_ILS4_10ELS5_1201ELS6_5ELS7_0EEENS1_28merge_sort_block_sort_configILj256ELj4ELNS0_20block_sort_algorithmE0EEENS0_14default_configENS1_37merge_sort_block_sort_config_selectorIflEENS1_38merge_sort_block_merge_config_selectorIflEEEEvv,@function
_ZN7rocprim17ROCPRIM_400000_NS6detail44device_merge_sort_compile_time_verifier_archINS1_11comp_targetILNS1_3genE10ELNS1_11target_archE1200ELNS1_3gpuE4ELNS1_3repE0EEENS3_ILS4_10ELS5_1201ELS6_5ELS7_0EEENS1_28merge_sort_block_sort_configILj256ELj4ELNS0_20block_sort_algorithmE0EEENS0_14default_configENS1_37merge_sort_block_sort_config_selectorIflEENS1_38merge_sort_block_merge_config_selectorIflEEEEvv: ; @_ZN7rocprim17ROCPRIM_400000_NS6detail44device_merge_sort_compile_time_verifier_archINS1_11comp_targetILNS1_3genE10ELNS1_11target_archE1200ELNS1_3gpuE4ELNS1_3repE0EEENS3_ILS4_10ELS5_1201ELS6_5ELS7_0EEENS1_28merge_sort_block_sort_configILj256ELj4ELNS0_20block_sort_algorithmE0EEENS0_14default_configENS1_37merge_sort_block_sort_config_selectorIflEENS1_38merge_sort_block_merge_config_selectorIflEEEEvv
; %bb.0:
	s_endpgm
	.section	.rodata,"a",@progbits
	.p2align	6, 0x0
	.amdhsa_kernel _ZN7rocprim17ROCPRIM_400000_NS6detail44device_merge_sort_compile_time_verifier_archINS1_11comp_targetILNS1_3genE10ELNS1_11target_archE1200ELNS1_3gpuE4ELNS1_3repE0EEENS3_ILS4_10ELS5_1201ELS6_5ELS7_0EEENS1_28merge_sort_block_sort_configILj256ELj4ELNS0_20block_sort_algorithmE0EEENS0_14default_configENS1_37merge_sort_block_sort_config_selectorIflEENS1_38merge_sort_block_merge_config_selectorIflEEEEvv
		.amdhsa_group_segment_fixed_size 0
		.amdhsa_private_segment_fixed_size 0
		.amdhsa_kernarg_size 0
		.amdhsa_user_sgpr_count 4
		.amdhsa_user_sgpr_private_segment_buffer 1
		.amdhsa_user_sgpr_dispatch_ptr 0
		.amdhsa_user_sgpr_queue_ptr 0
		.amdhsa_user_sgpr_kernarg_segment_ptr 0
		.amdhsa_user_sgpr_dispatch_id 0
		.amdhsa_user_sgpr_flat_scratch_init 0
		.amdhsa_user_sgpr_kernarg_preload_length 0
		.amdhsa_user_sgpr_kernarg_preload_offset 0
		.amdhsa_user_sgpr_private_segment_size 0
		.amdhsa_uses_dynamic_stack 0
		.amdhsa_system_sgpr_private_segment_wavefront_offset 0
		.amdhsa_system_sgpr_workgroup_id_x 1
		.amdhsa_system_sgpr_workgroup_id_y 0
		.amdhsa_system_sgpr_workgroup_id_z 0
		.amdhsa_system_sgpr_workgroup_info 0
		.amdhsa_system_vgpr_workitem_id 0
		.amdhsa_next_free_vgpr 1
		.amdhsa_next_free_sgpr 0
		.amdhsa_accum_offset 4
		.amdhsa_reserve_vcc 0
		.amdhsa_reserve_flat_scratch 0
		.amdhsa_float_round_mode_32 0
		.amdhsa_float_round_mode_16_64 0
		.amdhsa_float_denorm_mode_32 3
		.amdhsa_float_denorm_mode_16_64 3
		.amdhsa_dx10_clamp 1
		.amdhsa_ieee_mode 1
		.amdhsa_fp16_overflow 0
		.amdhsa_tg_split 0
		.amdhsa_exception_fp_ieee_invalid_op 0
		.amdhsa_exception_fp_denorm_src 0
		.amdhsa_exception_fp_ieee_div_zero 0
		.amdhsa_exception_fp_ieee_overflow 0
		.amdhsa_exception_fp_ieee_underflow 0
		.amdhsa_exception_fp_ieee_inexact 0
		.amdhsa_exception_int_div_zero 0
	.end_amdhsa_kernel
	.section	.text._ZN7rocprim17ROCPRIM_400000_NS6detail44device_merge_sort_compile_time_verifier_archINS1_11comp_targetILNS1_3genE10ELNS1_11target_archE1200ELNS1_3gpuE4ELNS1_3repE0EEENS3_ILS4_10ELS5_1201ELS6_5ELS7_0EEENS1_28merge_sort_block_sort_configILj256ELj4ELNS0_20block_sort_algorithmE0EEENS0_14default_configENS1_37merge_sort_block_sort_config_selectorIflEENS1_38merge_sort_block_merge_config_selectorIflEEEEvv,"axG",@progbits,_ZN7rocprim17ROCPRIM_400000_NS6detail44device_merge_sort_compile_time_verifier_archINS1_11comp_targetILNS1_3genE10ELNS1_11target_archE1200ELNS1_3gpuE4ELNS1_3repE0EEENS3_ILS4_10ELS5_1201ELS6_5ELS7_0EEENS1_28merge_sort_block_sort_configILj256ELj4ELNS0_20block_sort_algorithmE0EEENS0_14default_configENS1_37merge_sort_block_sort_config_selectorIflEENS1_38merge_sort_block_merge_config_selectorIflEEEEvv,comdat
.Lfunc_end1757:
	.size	_ZN7rocprim17ROCPRIM_400000_NS6detail44device_merge_sort_compile_time_verifier_archINS1_11comp_targetILNS1_3genE10ELNS1_11target_archE1200ELNS1_3gpuE4ELNS1_3repE0EEENS3_ILS4_10ELS5_1201ELS6_5ELS7_0EEENS1_28merge_sort_block_sort_configILj256ELj4ELNS0_20block_sort_algorithmE0EEENS0_14default_configENS1_37merge_sort_block_sort_config_selectorIflEENS1_38merge_sort_block_merge_config_selectorIflEEEEvv, .Lfunc_end1757-_ZN7rocprim17ROCPRIM_400000_NS6detail44device_merge_sort_compile_time_verifier_archINS1_11comp_targetILNS1_3genE10ELNS1_11target_archE1200ELNS1_3gpuE4ELNS1_3repE0EEENS3_ILS4_10ELS5_1201ELS6_5ELS7_0EEENS1_28merge_sort_block_sort_configILj256ELj4ELNS0_20block_sort_algorithmE0EEENS0_14default_configENS1_37merge_sort_block_sort_config_selectorIflEENS1_38merge_sort_block_merge_config_selectorIflEEEEvv
                                        ; -- End function
	.section	.AMDGPU.csdata,"",@progbits
; Kernel info:
; codeLenInByte = 4
; NumSgprs: 4
; NumVgprs: 0
; NumAgprs: 0
; TotalNumVgprs: 0
; ScratchSize: 0
; MemoryBound: 0
; FloatMode: 240
; IeeeMode: 1
; LDSByteSize: 0 bytes/workgroup (compile time only)
; SGPRBlocks: 0
; VGPRBlocks: 0
; NumSGPRsForWavesPerEU: 4
; NumVGPRsForWavesPerEU: 1
; AccumOffset: 4
; Occupancy: 8
; WaveLimiterHint : 0
; COMPUTE_PGM_RSRC2:SCRATCH_EN: 0
; COMPUTE_PGM_RSRC2:USER_SGPR: 4
; COMPUTE_PGM_RSRC2:TRAP_HANDLER: 0
; COMPUTE_PGM_RSRC2:TGID_X_EN: 1
; COMPUTE_PGM_RSRC2:TGID_Y_EN: 0
; COMPUTE_PGM_RSRC2:TGID_Z_EN: 0
; COMPUTE_PGM_RSRC2:TIDIG_COMP_CNT: 0
; COMPUTE_PGM_RSRC3_GFX90A:ACCUM_OFFSET: 0
; COMPUTE_PGM_RSRC3_GFX90A:TG_SPLIT: 0
	.section	.text._ZN7rocprim17ROCPRIM_400000_NS6detail44device_merge_sort_compile_time_verifier_archINS1_11comp_targetILNS1_3genE9ELNS1_11target_archE1100ELNS1_3gpuE3ELNS1_3repE0EEES8_NS1_28merge_sort_block_sort_configILj256ELj4ELNS0_20block_sort_algorithmE0EEENS0_14default_configENS1_37merge_sort_block_sort_config_selectorIflEENS1_38merge_sort_block_merge_config_selectorIflEEEEvv,"axG",@progbits,_ZN7rocprim17ROCPRIM_400000_NS6detail44device_merge_sort_compile_time_verifier_archINS1_11comp_targetILNS1_3genE9ELNS1_11target_archE1100ELNS1_3gpuE3ELNS1_3repE0EEES8_NS1_28merge_sort_block_sort_configILj256ELj4ELNS0_20block_sort_algorithmE0EEENS0_14default_configENS1_37merge_sort_block_sort_config_selectorIflEENS1_38merge_sort_block_merge_config_selectorIflEEEEvv,comdat
	.protected	_ZN7rocprim17ROCPRIM_400000_NS6detail44device_merge_sort_compile_time_verifier_archINS1_11comp_targetILNS1_3genE9ELNS1_11target_archE1100ELNS1_3gpuE3ELNS1_3repE0EEES8_NS1_28merge_sort_block_sort_configILj256ELj4ELNS0_20block_sort_algorithmE0EEENS0_14default_configENS1_37merge_sort_block_sort_config_selectorIflEENS1_38merge_sort_block_merge_config_selectorIflEEEEvv ; -- Begin function _ZN7rocprim17ROCPRIM_400000_NS6detail44device_merge_sort_compile_time_verifier_archINS1_11comp_targetILNS1_3genE9ELNS1_11target_archE1100ELNS1_3gpuE3ELNS1_3repE0EEES8_NS1_28merge_sort_block_sort_configILj256ELj4ELNS0_20block_sort_algorithmE0EEENS0_14default_configENS1_37merge_sort_block_sort_config_selectorIflEENS1_38merge_sort_block_merge_config_selectorIflEEEEvv
	.globl	_ZN7rocprim17ROCPRIM_400000_NS6detail44device_merge_sort_compile_time_verifier_archINS1_11comp_targetILNS1_3genE9ELNS1_11target_archE1100ELNS1_3gpuE3ELNS1_3repE0EEES8_NS1_28merge_sort_block_sort_configILj256ELj4ELNS0_20block_sort_algorithmE0EEENS0_14default_configENS1_37merge_sort_block_sort_config_selectorIflEENS1_38merge_sort_block_merge_config_selectorIflEEEEvv
	.p2align	8
	.type	_ZN7rocprim17ROCPRIM_400000_NS6detail44device_merge_sort_compile_time_verifier_archINS1_11comp_targetILNS1_3genE9ELNS1_11target_archE1100ELNS1_3gpuE3ELNS1_3repE0EEES8_NS1_28merge_sort_block_sort_configILj256ELj4ELNS0_20block_sort_algorithmE0EEENS0_14default_configENS1_37merge_sort_block_sort_config_selectorIflEENS1_38merge_sort_block_merge_config_selectorIflEEEEvv,@function
_ZN7rocprim17ROCPRIM_400000_NS6detail44device_merge_sort_compile_time_verifier_archINS1_11comp_targetILNS1_3genE9ELNS1_11target_archE1100ELNS1_3gpuE3ELNS1_3repE0EEES8_NS1_28merge_sort_block_sort_configILj256ELj4ELNS0_20block_sort_algorithmE0EEENS0_14default_configENS1_37merge_sort_block_sort_config_selectorIflEENS1_38merge_sort_block_merge_config_selectorIflEEEEvv: ; @_ZN7rocprim17ROCPRIM_400000_NS6detail44device_merge_sort_compile_time_verifier_archINS1_11comp_targetILNS1_3genE9ELNS1_11target_archE1100ELNS1_3gpuE3ELNS1_3repE0EEES8_NS1_28merge_sort_block_sort_configILj256ELj4ELNS0_20block_sort_algorithmE0EEENS0_14default_configENS1_37merge_sort_block_sort_config_selectorIflEENS1_38merge_sort_block_merge_config_selectorIflEEEEvv
; %bb.0:
	s_endpgm
	.section	.rodata,"a",@progbits
	.p2align	6, 0x0
	.amdhsa_kernel _ZN7rocprim17ROCPRIM_400000_NS6detail44device_merge_sort_compile_time_verifier_archINS1_11comp_targetILNS1_3genE9ELNS1_11target_archE1100ELNS1_3gpuE3ELNS1_3repE0EEES8_NS1_28merge_sort_block_sort_configILj256ELj4ELNS0_20block_sort_algorithmE0EEENS0_14default_configENS1_37merge_sort_block_sort_config_selectorIflEENS1_38merge_sort_block_merge_config_selectorIflEEEEvv
		.amdhsa_group_segment_fixed_size 0
		.amdhsa_private_segment_fixed_size 0
		.amdhsa_kernarg_size 0
		.amdhsa_user_sgpr_count 4
		.amdhsa_user_sgpr_private_segment_buffer 1
		.amdhsa_user_sgpr_dispatch_ptr 0
		.amdhsa_user_sgpr_queue_ptr 0
		.amdhsa_user_sgpr_kernarg_segment_ptr 0
		.amdhsa_user_sgpr_dispatch_id 0
		.amdhsa_user_sgpr_flat_scratch_init 0
		.amdhsa_user_sgpr_kernarg_preload_length 0
		.amdhsa_user_sgpr_kernarg_preload_offset 0
		.amdhsa_user_sgpr_private_segment_size 0
		.amdhsa_uses_dynamic_stack 0
		.amdhsa_system_sgpr_private_segment_wavefront_offset 0
		.amdhsa_system_sgpr_workgroup_id_x 1
		.amdhsa_system_sgpr_workgroup_id_y 0
		.amdhsa_system_sgpr_workgroup_id_z 0
		.amdhsa_system_sgpr_workgroup_info 0
		.amdhsa_system_vgpr_workitem_id 0
		.amdhsa_next_free_vgpr 1
		.amdhsa_next_free_sgpr 0
		.amdhsa_accum_offset 4
		.amdhsa_reserve_vcc 0
		.amdhsa_reserve_flat_scratch 0
		.amdhsa_float_round_mode_32 0
		.amdhsa_float_round_mode_16_64 0
		.amdhsa_float_denorm_mode_32 3
		.amdhsa_float_denorm_mode_16_64 3
		.amdhsa_dx10_clamp 1
		.amdhsa_ieee_mode 1
		.amdhsa_fp16_overflow 0
		.amdhsa_tg_split 0
		.amdhsa_exception_fp_ieee_invalid_op 0
		.amdhsa_exception_fp_denorm_src 0
		.amdhsa_exception_fp_ieee_div_zero 0
		.amdhsa_exception_fp_ieee_overflow 0
		.amdhsa_exception_fp_ieee_underflow 0
		.amdhsa_exception_fp_ieee_inexact 0
		.amdhsa_exception_int_div_zero 0
	.end_amdhsa_kernel
	.section	.text._ZN7rocprim17ROCPRIM_400000_NS6detail44device_merge_sort_compile_time_verifier_archINS1_11comp_targetILNS1_3genE9ELNS1_11target_archE1100ELNS1_3gpuE3ELNS1_3repE0EEES8_NS1_28merge_sort_block_sort_configILj256ELj4ELNS0_20block_sort_algorithmE0EEENS0_14default_configENS1_37merge_sort_block_sort_config_selectorIflEENS1_38merge_sort_block_merge_config_selectorIflEEEEvv,"axG",@progbits,_ZN7rocprim17ROCPRIM_400000_NS6detail44device_merge_sort_compile_time_verifier_archINS1_11comp_targetILNS1_3genE9ELNS1_11target_archE1100ELNS1_3gpuE3ELNS1_3repE0EEES8_NS1_28merge_sort_block_sort_configILj256ELj4ELNS0_20block_sort_algorithmE0EEENS0_14default_configENS1_37merge_sort_block_sort_config_selectorIflEENS1_38merge_sort_block_merge_config_selectorIflEEEEvv,comdat
.Lfunc_end1758:
	.size	_ZN7rocprim17ROCPRIM_400000_NS6detail44device_merge_sort_compile_time_verifier_archINS1_11comp_targetILNS1_3genE9ELNS1_11target_archE1100ELNS1_3gpuE3ELNS1_3repE0EEES8_NS1_28merge_sort_block_sort_configILj256ELj4ELNS0_20block_sort_algorithmE0EEENS0_14default_configENS1_37merge_sort_block_sort_config_selectorIflEENS1_38merge_sort_block_merge_config_selectorIflEEEEvv, .Lfunc_end1758-_ZN7rocprim17ROCPRIM_400000_NS6detail44device_merge_sort_compile_time_verifier_archINS1_11comp_targetILNS1_3genE9ELNS1_11target_archE1100ELNS1_3gpuE3ELNS1_3repE0EEES8_NS1_28merge_sort_block_sort_configILj256ELj4ELNS0_20block_sort_algorithmE0EEENS0_14default_configENS1_37merge_sort_block_sort_config_selectorIflEENS1_38merge_sort_block_merge_config_selectorIflEEEEvv
                                        ; -- End function
	.section	.AMDGPU.csdata,"",@progbits
; Kernel info:
; codeLenInByte = 4
; NumSgprs: 4
; NumVgprs: 0
; NumAgprs: 0
; TotalNumVgprs: 0
; ScratchSize: 0
; MemoryBound: 0
; FloatMode: 240
; IeeeMode: 1
; LDSByteSize: 0 bytes/workgroup (compile time only)
; SGPRBlocks: 0
; VGPRBlocks: 0
; NumSGPRsForWavesPerEU: 4
; NumVGPRsForWavesPerEU: 1
; AccumOffset: 4
; Occupancy: 8
; WaveLimiterHint : 0
; COMPUTE_PGM_RSRC2:SCRATCH_EN: 0
; COMPUTE_PGM_RSRC2:USER_SGPR: 4
; COMPUTE_PGM_RSRC2:TRAP_HANDLER: 0
; COMPUTE_PGM_RSRC2:TGID_X_EN: 1
; COMPUTE_PGM_RSRC2:TGID_Y_EN: 0
; COMPUTE_PGM_RSRC2:TGID_Z_EN: 0
; COMPUTE_PGM_RSRC2:TIDIG_COMP_CNT: 0
; COMPUTE_PGM_RSRC3_GFX90A:ACCUM_OFFSET: 0
; COMPUTE_PGM_RSRC3_GFX90A:TG_SPLIT: 0
	.section	.text._ZN7rocprim17ROCPRIM_400000_NS6detail44device_merge_sort_compile_time_verifier_archINS1_11comp_targetILNS1_3genE8ELNS1_11target_archE1030ELNS1_3gpuE2ELNS1_3repE0EEES8_NS1_28merge_sort_block_sort_configILj256ELj4ELNS0_20block_sort_algorithmE0EEENS0_14default_configENS1_37merge_sort_block_sort_config_selectorIflEENS1_38merge_sort_block_merge_config_selectorIflEEEEvv,"axG",@progbits,_ZN7rocprim17ROCPRIM_400000_NS6detail44device_merge_sort_compile_time_verifier_archINS1_11comp_targetILNS1_3genE8ELNS1_11target_archE1030ELNS1_3gpuE2ELNS1_3repE0EEES8_NS1_28merge_sort_block_sort_configILj256ELj4ELNS0_20block_sort_algorithmE0EEENS0_14default_configENS1_37merge_sort_block_sort_config_selectorIflEENS1_38merge_sort_block_merge_config_selectorIflEEEEvv,comdat
	.protected	_ZN7rocprim17ROCPRIM_400000_NS6detail44device_merge_sort_compile_time_verifier_archINS1_11comp_targetILNS1_3genE8ELNS1_11target_archE1030ELNS1_3gpuE2ELNS1_3repE0EEES8_NS1_28merge_sort_block_sort_configILj256ELj4ELNS0_20block_sort_algorithmE0EEENS0_14default_configENS1_37merge_sort_block_sort_config_selectorIflEENS1_38merge_sort_block_merge_config_selectorIflEEEEvv ; -- Begin function _ZN7rocprim17ROCPRIM_400000_NS6detail44device_merge_sort_compile_time_verifier_archINS1_11comp_targetILNS1_3genE8ELNS1_11target_archE1030ELNS1_3gpuE2ELNS1_3repE0EEES8_NS1_28merge_sort_block_sort_configILj256ELj4ELNS0_20block_sort_algorithmE0EEENS0_14default_configENS1_37merge_sort_block_sort_config_selectorIflEENS1_38merge_sort_block_merge_config_selectorIflEEEEvv
	.globl	_ZN7rocprim17ROCPRIM_400000_NS6detail44device_merge_sort_compile_time_verifier_archINS1_11comp_targetILNS1_3genE8ELNS1_11target_archE1030ELNS1_3gpuE2ELNS1_3repE0EEES8_NS1_28merge_sort_block_sort_configILj256ELj4ELNS0_20block_sort_algorithmE0EEENS0_14default_configENS1_37merge_sort_block_sort_config_selectorIflEENS1_38merge_sort_block_merge_config_selectorIflEEEEvv
	.p2align	8
	.type	_ZN7rocprim17ROCPRIM_400000_NS6detail44device_merge_sort_compile_time_verifier_archINS1_11comp_targetILNS1_3genE8ELNS1_11target_archE1030ELNS1_3gpuE2ELNS1_3repE0EEES8_NS1_28merge_sort_block_sort_configILj256ELj4ELNS0_20block_sort_algorithmE0EEENS0_14default_configENS1_37merge_sort_block_sort_config_selectorIflEENS1_38merge_sort_block_merge_config_selectorIflEEEEvv,@function
_ZN7rocprim17ROCPRIM_400000_NS6detail44device_merge_sort_compile_time_verifier_archINS1_11comp_targetILNS1_3genE8ELNS1_11target_archE1030ELNS1_3gpuE2ELNS1_3repE0EEES8_NS1_28merge_sort_block_sort_configILj256ELj4ELNS0_20block_sort_algorithmE0EEENS0_14default_configENS1_37merge_sort_block_sort_config_selectorIflEENS1_38merge_sort_block_merge_config_selectorIflEEEEvv: ; @_ZN7rocprim17ROCPRIM_400000_NS6detail44device_merge_sort_compile_time_verifier_archINS1_11comp_targetILNS1_3genE8ELNS1_11target_archE1030ELNS1_3gpuE2ELNS1_3repE0EEES8_NS1_28merge_sort_block_sort_configILj256ELj4ELNS0_20block_sort_algorithmE0EEENS0_14default_configENS1_37merge_sort_block_sort_config_selectorIflEENS1_38merge_sort_block_merge_config_selectorIflEEEEvv
; %bb.0:
	s_endpgm
	.section	.rodata,"a",@progbits
	.p2align	6, 0x0
	.amdhsa_kernel _ZN7rocprim17ROCPRIM_400000_NS6detail44device_merge_sort_compile_time_verifier_archINS1_11comp_targetILNS1_3genE8ELNS1_11target_archE1030ELNS1_3gpuE2ELNS1_3repE0EEES8_NS1_28merge_sort_block_sort_configILj256ELj4ELNS0_20block_sort_algorithmE0EEENS0_14default_configENS1_37merge_sort_block_sort_config_selectorIflEENS1_38merge_sort_block_merge_config_selectorIflEEEEvv
		.amdhsa_group_segment_fixed_size 0
		.amdhsa_private_segment_fixed_size 0
		.amdhsa_kernarg_size 0
		.amdhsa_user_sgpr_count 4
		.amdhsa_user_sgpr_private_segment_buffer 1
		.amdhsa_user_sgpr_dispatch_ptr 0
		.amdhsa_user_sgpr_queue_ptr 0
		.amdhsa_user_sgpr_kernarg_segment_ptr 0
		.amdhsa_user_sgpr_dispatch_id 0
		.amdhsa_user_sgpr_flat_scratch_init 0
		.amdhsa_user_sgpr_kernarg_preload_length 0
		.amdhsa_user_sgpr_kernarg_preload_offset 0
		.amdhsa_user_sgpr_private_segment_size 0
		.amdhsa_uses_dynamic_stack 0
		.amdhsa_system_sgpr_private_segment_wavefront_offset 0
		.amdhsa_system_sgpr_workgroup_id_x 1
		.amdhsa_system_sgpr_workgroup_id_y 0
		.amdhsa_system_sgpr_workgroup_id_z 0
		.amdhsa_system_sgpr_workgroup_info 0
		.amdhsa_system_vgpr_workitem_id 0
		.amdhsa_next_free_vgpr 1
		.amdhsa_next_free_sgpr 0
		.amdhsa_accum_offset 4
		.amdhsa_reserve_vcc 0
		.amdhsa_reserve_flat_scratch 0
		.amdhsa_float_round_mode_32 0
		.amdhsa_float_round_mode_16_64 0
		.amdhsa_float_denorm_mode_32 3
		.amdhsa_float_denorm_mode_16_64 3
		.amdhsa_dx10_clamp 1
		.amdhsa_ieee_mode 1
		.amdhsa_fp16_overflow 0
		.amdhsa_tg_split 0
		.amdhsa_exception_fp_ieee_invalid_op 0
		.amdhsa_exception_fp_denorm_src 0
		.amdhsa_exception_fp_ieee_div_zero 0
		.amdhsa_exception_fp_ieee_overflow 0
		.amdhsa_exception_fp_ieee_underflow 0
		.amdhsa_exception_fp_ieee_inexact 0
		.amdhsa_exception_int_div_zero 0
	.end_amdhsa_kernel
	.section	.text._ZN7rocprim17ROCPRIM_400000_NS6detail44device_merge_sort_compile_time_verifier_archINS1_11comp_targetILNS1_3genE8ELNS1_11target_archE1030ELNS1_3gpuE2ELNS1_3repE0EEES8_NS1_28merge_sort_block_sort_configILj256ELj4ELNS0_20block_sort_algorithmE0EEENS0_14default_configENS1_37merge_sort_block_sort_config_selectorIflEENS1_38merge_sort_block_merge_config_selectorIflEEEEvv,"axG",@progbits,_ZN7rocprim17ROCPRIM_400000_NS6detail44device_merge_sort_compile_time_verifier_archINS1_11comp_targetILNS1_3genE8ELNS1_11target_archE1030ELNS1_3gpuE2ELNS1_3repE0EEES8_NS1_28merge_sort_block_sort_configILj256ELj4ELNS0_20block_sort_algorithmE0EEENS0_14default_configENS1_37merge_sort_block_sort_config_selectorIflEENS1_38merge_sort_block_merge_config_selectorIflEEEEvv,comdat
.Lfunc_end1759:
	.size	_ZN7rocprim17ROCPRIM_400000_NS6detail44device_merge_sort_compile_time_verifier_archINS1_11comp_targetILNS1_3genE8ELNS1_11target_archE1030ELNS1_3gpuE2ELNS1_3repE0EEES8_NS1_28merge_sort_block_sort_configILj256ELj4ELNS0_20block_sort_algorithmE0EEENS0_14default_configENS1_37merge_sort_block_sort_config_selectorIflEENS1_38merge_sort_block_merge_config_selectorIflEEEEvv, .Lfunc_end1759-_ZN7rocprim17ROCPRIM_400000_NS6detail44device_merge_sort_compile_time_verifier_archINS1_11comp_targetILNS1_3genE8ELNS1_11target_archE1030ELNS1_3gpuE2ELNS1_3repE0EEES8_NS1_28merge_sort_block_sort_configILj256ELj4ELNS0_20block_sort_algorithmE0EEENS0_14default_configENS1_37merge_sort_block_sort_config_selectorIflEENS1_38merge_sort_block_merge_config_selectorIflEEEEvv
                                        ; -- End function
	.section	.AMDGPU.csdata,"",@progbits
; Kernel info:
; codeLenInByte = 4
; NumSgprs: 4
; NumVgprs: 0
; NumAgprs: 0
; TotalNumVgprs: 0
; ScratchSize: 0
; MemoryBound: 0
; FloatMode: 240
; IeeeMode: 1
; LDSByteSize: 0 bytes/workgroup (compile time only)
; SGPRBlocks: 0
; VGPRBlocks: 0
; NumSGPRsForWavesPerEU: 4
; NumVGPRsForWavesPerEU: 1
; AccumOffset: 4
; Occupancy: 8
; WaveLimiterHint : 0
; COMPUTE_PGM_RSRC2:SCRATCH_EN: 0
; COMPUTE_PGM_RSRC2:USER_SGPR: 4
; COMPUTE_PGM_RSRC2:TRAP_HANDLER: 0
; COMPUTE_PGM_RSRC2:TGID_X_EN: 1
; COMPUTE_PGM_RSRC2:TGID_Y_EN: 0
; COMPUTE_PGM_RSRC2:TGID_Z_EN: 0
; COMPUTE_PGM_RSRC2:TIDIG_COMP_CNT: 0
; COMPUTE_PGM_RSRC3_GFX90A:ACCUM_OFFSET: 0
; COMPUTE_PGM_RSRC3_GFX90A:TG_SPLIT: 0
	.section	.text._ZN7rocprim17ROCPRIM_400000_NS6detail17trampoline_kernelINS0_14default_configENS1_38merge_sort_block_merge_config_selectorIflEEZZNS1_27merge_sort_block_merge_implIS3_PfN6thrust23THRUST_200600_302600_NS10device_ptrIlEEjNS1_19radix_merge_compareILb0ELb0EfNS0_19identity_decomposerEEEEE10hipError_tT0_T1_T2_jT3_P12ihipStream_tbPNSt15iterator_traitsISG_E10value_typeEPNSM_ISH_E10value_typeEPSI_NS1_7vsmem_tEENKUlT_SG_SH_SI_E_clIS7_S7_PlSB_EESF_SV_SG_SH_SI_EUlSV_E_NS1_11comp_targetILNS1_3genE0ELNS1_11target_archE4294967295ELNS1_3gpuE0ELNS1_3repE0EEENS1_48merge_mergepath_partition_config_static_selectorELNS0_4arch9wavefront6targetE1EEEvSH_,"axG",@progbits,_ZN7rocprim17ROCPRIM_400000_NS6detail17trampoline_kernelINS0_14default_configENS1_38merge_sort_block_merge_config_selectorIflEEZZNS1_27merge_sort_block_merge_implIS3_PfN6thrust23THRUST_200600_302600_NS10device_ptrIlEEjNS1_19radix_merge_compareILb0ELb0EfNS0_19identity_decomposerEEEEE10hipError_tT0_T1_T2_jT3_P12ihipStream_tbPNSt15iterator_traitsISG_E10value_typeEPNSM_ISH_E10value_typeEPSI_NS1_7vsmem_tEENKUlT_SG_SH_SI_E_clIS7_S7_PlSB_EESF_SV_SG_SH_SI_EUlSV_E_NS1_11comp_targetILNS1_3genE0ELNS1_11target_archE4294967295ELNS1_3gpuE0ELNS1_3repE0EEENS1_48merge_mergepath_partition_config_static_selectorELNS0_4arch9wavefront6targetE1EEEvSH_,comdat
	.protected	_ZN7rocprim17ROCPRIM_400000_NS6detail17trampoline_kernelINS0_14default_configENS1_38merge_sort_block_merge_config_selectorIflEEZZNS1_27merge_sort_block_merge_implIS3_PfN6thrust23THRUST_200600_302600_NS10device_ptrIlEEjNS1_19radix_merge_compareILb0ELb0EfNS0_19identity_decomposerEEEEE10hipError_tT0_T1_T2_jT3_P12ihipStream_tbPNSt15iterator_traitsISG_E10value_typeEPNSM_ISH_E10value_typeEPSI_NS1_7vsmem_tEENKUlT_SG_SH_SI_E_clIS7_S7_PlSB_EESF_SV_SG_SH_SI_EUlSV_E_NS1_11comp_targetILNS1_3genE0ELNS1_11target_archE4294967295ELNS1_3gpuE0ELNS1_3repE0EEENS1_48merge_mergepath_partition_config_static_selectorELNS0_4arch9wavefront6targetE1EEEvSH_ ; -- Begin function _ZN7rocprim17ROCPRIM_400000_NS6detail17trampoline_kernelINS0_14default_configENS1_38merge_sort_block_merge_config_selectorIflEEZZNS1_27merge_sort_block_merge_implIS3_PfN6thrust23THRUST_200600_302600_NS10device_ptrIlEEjNS1_19radix_merge_compareILb0ELb0EfNS0_19identity_decomposerEEEEE10hipError_tT0_T1_T2_jT3_P12ihipStream_tbPNSt15iterator_traitsISG_E10value_typeEPNSM_ISH_E10value_typeEPSI_NS1_7vsmem_tEENKUlT_SG_SH_SI_E_clIS7_S7_PlSB_EESF_SV_SG_SH_SI_EUlSV_E_NS1_11comp_targetILNS1_3genE0ELNS1_11target_archE4294967295ELNS1_3gpuE0ELNS1_3repE0EEENS1_48merge_mergepath_partition_config_static_selectorELNS0_4arch9wavefront6targetE1EEEvSH_
	.globl	_ZN7rocprim17ROCPRIM_400000_NS6detail17trampoline_kernelINS0_14default_configENS1_38merge_sort_block_merge_config_selectorIflEEZZNS1_27merge_sort_block_merge_implIS3_PfN6thrust23THRUST_200600_302600_NS10device_ptrIlEEjNS1_19radix_merge_compareILb0ELb0EfNS0_19identity_decomposerEEEEE10hipError_tT0_T1_T2_jT3_P12ihipStream_tbPNSt15iterator_traitsISG_E10value_typeEPNSM_ISH_E10value_typeEPSI_NS1_7vsmem_tEENKUlT_SG_SH_SI_E_clIS7_S7_PlSB_EESF_SV_SG_SH_SI_EUlSV_E_NS1_11comp_targetILNS1_3genE0ELNS1_11target_archE4294967295ELNS1_3gpuE0ELNS1_3repE0EEENS1_48merge_mergepath_partition_config_static_selectorELNS0_4arch9wavefront6targetE1EEEvSH_
	.p2align	8
	.type	_ZN7rocprim17ROCPRIM_400000_NS6detail17trampoline_kernelINS0_14default_configENS1_38merge_sort_block_merge_config_selectorIflEEZZNS1_27merge_sort_block_merge_implIS3_PfN6thrust23THRUST_200600_302600_NS10device_ptrIlEEjNS1_19radix_merge_compareILb0ELb0EfNS0_19identity_decomposerEEEEE10hipError_tT0_T1_T2_jT3_P12ihipStream_tbPNSt15iterator_traitsISG_E10value_typeEPNSM_ISH_E10value_typeEPSI_NS1_7vsmem_tEENKUlT_SG_SH_SI_E_clIS7_S7_PlSB_EESF_SV_SG_SH_SI_EUlSV_E_NS1_11comp_targetILNS1_3genE0ELNS1_11target_archE4294967295ELNS1_3gpuE0ELNS1_3repE0EEENS1_48merge_mergepath_partition_config_static_selectorELNS0_4arch9wavefront6targetE1EEEvSH_,@function
_ZN7rocprim17ROCPRIM_400000_NS6detail17trampoline_kernelINS0_14default_configENS1_38merge_sort_block_merge_config_selectorIflEEZZNS1_27merge_sort_block_merge_implIS3_PfN6thrust23THRUST_200600_302600_NS10device_ptrIlEEjNS1_19radix_merge_compareILb0ELb0EfNS0_19identity_decomposerEEEEE10hipError_tT0_T1_T2_jT3_P12ihipStream_tbPNSt15iterator_traitsISG_E10value_typeEPNSM_ISH_E10value_typeEPSI_NS1_7vsmem_tEENKUlT_SG_SH_SI_E_clIS7_S7_PlSB_EESF_SV_SG_SH_SI_EUlSV_E_NS1_11comp_targetILNS1_3genE0ELNS1_11target_archE4294967295ELNS1_3gpuE0ELNS1_3repE0EEENS1_48merge_mergepath_partition_config_static_selectorELNS0_4arch9wavefront6targetE1EEEvSH_: ; @_ZN7rocprim17ROCPRIM_400000_NS6detail17trampoline_kernelINS0_14default_configENS1_38merge_sort_block_merge_config_selectorIflEEZZNS1_27merge_sort_block_merge_implIS3_PfN6thrust23THRUST_200600_302600_NS10device_ptrIlEEjNS1_19radix_merge_compareILb0ELb0EfNS0_19identity_decomposerEEEEE10hipError_tT0_T1_T2_jT3_P12ihipStream_tbPNSt15iterator_traitsISG_E10value_typeEPNSM_ISH_E10value_typeEPSI_NS1_7vsmem_tEENKUlT_SG_SH_SI_E_clIS7_S7_PlSB_EESF_SV_SG_SH_SI_EUlSV_E_NS1_11comp_targetILNS1_3genE0ELNS1_11target_archE4294967295ELNS1_3gpuE0ELNS1_3repE0EEENS1_48merge_mergepath_partition_config_static_selectorELNS0_4arch9wavefront6targetE1EEEvSH_
; %bb.0:
	.section	.rodata,"a",@progbits
	.p2align	6, 0x0
	.amdhsa_kernel _ZN7rocprim17ROCPRIM_400000_NS6detail17trampoline_kernelINS0_14default_configENS1_38merge_sort_block_merge_config_selectorIflEEZZNS1_27merge_sort_block_merge_implIS3_PfN6thrust23THRUST_200600_302600_NS10device_ptrIlEEjNS1_19radix_merge_compareILb0ELb0EfNS0_19identity_decomposerEEEEE10hipError_tT0_T1_T2_jT3_P12ihipStream_tbPNSt15iterator_traitsISG_E10value_typeEPNSM_ISH_E10value_typeEPSI_NS1_7vsmem_tEENKUlT_SG_SH_SI_E_clIS7_S7_PlSB_EESF_SV_SG_SH_SI_EUlSV_E_NS1_11comp_targetILNS1_3genE0ELNS1_11target_archE4294967295ELNS1_3gpuE0ELNS1_3repE0EEENS1_48merge_mergepath_partition_config_static_selectorELNS0_4arch9wavefront6targetE1EEEvSH_
		.amdhsa_group_segment_fixed_size 0
		.amdhsa_private_segment_fixed_size 0
		.amdhsa_kernarg_size 40
		.amdhsa_user_sgpr_count 6
		.amdhsa_user_sgpr_private_segment_buffer 1
		.amdhsa_user_sgpr_dispatch_ptr 0
		.amdhsa_user_sgpr_queue_ptr 0
		.amdhsa_user_sgpr_kernarg_segment_ptr 1
		.amdhsa_user_sgpr_dispatch_id 0
		.amdhsa_user_sgpr_flat_scratch_init 0
		.amdhsa_user_sgpr_kernarg_preload_length 0
		.amdhsa_user_sgpr_kernarg_preload_offset 0
		.amdhsa_user_sgpr_private_segment_size 0
		.amdhsa_uses_dynamic_stack 0
		.amdhsa_system_sgpr_private_segment_wavefront_offset 0
		.amdhsa_system_sgpr_workgroup_id_x 1
		.amdhsa_system_sgpr_workgroup_id_y 0
		.amdhsa_system_sgpr_workgroup_id_z 0
		.amdhsa_system_sgpr_workgroup_info 0
		.amdhsa_system_vgpr_workitem_id 0
		.amdhsa_next_free_vgpr 1
		.amdhsa_next_free_sgpr 0
		.amdhsa_accum_offset 4
		.amdhsa_reserve_vcc 0
		.amdhsa_reserve_flat_scratch 0
		.amdhsa_float_round_mode_32 0
		.amdhsa_float_round_mode_16_64 0
		.amdhsa_float_denorm_mode_32 3
		.amdhsa_float_denorm_mode_16_64 3
		.amdhsa_dx10_clamp 1
		.amdhsa_ieee_mode 1
		.amdhsa_fp16_overflow 0
		.amdhsa_tg_split 0
		.amdhsa_exception_fp_ieee_invalid_op 0
		.amdhsa_exception_fp_denorm_src 0
		.amdhsa_exception_fp_ieee_div_zero 0
		.amdhsa_exception_fp_ieee_overflow 0
		.amdhsa_exception_fp_ieee_underflow 0
		.amdhsa_exception_fp_ieee_inexact 0
		.amdhsa_exception_int_div_zero 0
	.end_amdhsa_kernel
	.section	.text._ZN7rocprim17ROCPRIM_400000_NS6detail17trampoline_kernelINS0_14default_configENS1_38merge_sort_block_merge_config_selectorIflEEZZNS1_27merge_sort_block_merge_implIS3_PfN6thrust23THRUST_200600_302600_NS10device_ptrIlEEjNS1_19radix_merge_compareILb0ELb0EfNS0_19identity_decomposerEEEEE10hipError_tT0_T1_T2_jT3_P12ihipStream_tbPNSt15iterator_traitsISG_E10value_typeEPNSM_ISH_E10value_typeEPSI_NS1_7vsmem_tEENKUlT_SG_SH_SI_E_clIS7_S7_PlSB_EESF_SV_SG_SH_SI_EUlSV_E_NS1_11comp_targetILNS1_3genE0ELNS1_11target_archE4294967295ELNS1_3gpuE0ELNS1_3repE0EEENS1_48merge_mergepath_partition_config_static_selectorELNS0_4arch9wavefront6targetE1EEEvSH_,"axG",@progbits,_ZN7rocprim17ROCPRIM_400000_NS6detail17trampoline_kernelINS0_14default_configENS1_38merge_sort_block_merge_config_selectorIflEEZZNS1_27merge_sort_block_merge_implIS3_PfN6thrust23THRUST_200600_302600_NS10device_ptrIlEEjNS1_19radix_merge_compareILb0ELb0EfNS0_19identity_decomposerEEEEE10hipError_tT0_T1_T2_jT3_P12ihipStream_tbPNSt15iterator_traitsISG_E10value_typeEPNSM_ISH_E10value_typeEPSI_NS1_7vsmem_tEENKUlT_SG_SH_SI_E_clIS7_S7_PlSB_EESF_SV_SG_SH_SI_EUlSV_E_NS1_11comp_targetILNS1_3genE0ELNS1_11target_archE4294967295ELNS1_3gpuE0ELNS1_3repE0EEENS1_48merge_mergepath_partition_config_static_selectorELNS0_4arch9wavefront6targetE1EEEvSH_,comdat
.Lfunc_end1760:
	.size	_ZN7rocprim17ROCPRIM_400000_NS6detail17trampoline_kernelINS0_14default_configENS1_38merge_sort_block_merge_config_selectorIflEEZZNS1_27merge_sort_block_merge_implIS3_PfN6thrust23THRUST_200600_302600_NS10device_ptrIlEEjNS1_19radix_merge_compareILb0ELb0EfNS0_19identity_decomposerEEEEE10hipError_tT0_T1_T2_jT3_P12ihipStream_tbPNSt15iterator_traitsISG_E10value_typeEPNSM_ISH_E10value_typeEPSI_NS1_7vsmem_tEENKUlT_SG_SH_SI_E_clIS7_S7_PlSB_EESF_SV_SG_SH_SI_EUlSV_E_NS1_11comp_targetILNS1_3genE0ELNS1_11target_archE4294967295ELNS1_3gpuE0ELNS1_3repE0EEENS1_48merge_mergepath_partition_config_static_selectorELNS0_4arch9wavefront6targetE1EEEvSH_, .Lfunc_end1760-_ZN7rocprim17ROCPRIM_400000_NS6detail17trampoline_kernelINS0_14default_configENS1_38merge_sort_block_merge_config_selectorIflEEZZNS1_27merge_sort_block_merge_implIS3_PfN6thrust23THRUST_200600_302600_NS10device_ptrIlEEjNS1_19radix_merge_compareILb0ELb0EfNS0_19identity_decomposerEEEEE10hipError_tT0_T1_T2_jT3_P12ihipStream_tbPNSt15iterator_traitsISG_E10value_typeEPNSM_ISH_E10value_typeEPSI_NS1_7vsmem_tEENKUlT_SG_SH_SI_E_clIS7_S7_PlSB_EESF_SV_SG_SH_SI_EUlSV_E_NS1_11comp_targetILNS1_3genE0ELNS1_11target_archE4294967295ELNS1_3gpuE0ELNS1_3repE0EEENS1_48merge_mergepath_partition_config_static_selectorELNS0_4arch9wavefront6targetE1EEEvSH_
                                        ; -- End function
	.section	.AMDGPU.csdata,"",@progbits
; Kernel info:
; codeLenInByte = 0
; NumSgprs: 4
; NumVgprs: 0
; NumAgprs: 0
; TotalNumVgprs: 0
; ScratchSize: 0
; MemoryBound: 0
; FloatMode: 240
; IeeeMode: 1
; LDSByteSize: 0 bytes/workgroup (compile time only)
; SGPRBlocks: 0
; VGPRBlocks: 0
; NumSGPRsForWavesPerEU: 4
; NumVGPRsForWavesPerEU: 1
; AccumOffset: 4
; Occupancy: 8
; WaveLimiterHint : 0
; COMPUTE_PGM_RSRC2:SCRATCH_EN: 0
; COMPUTE_PGM_RSRC2:USER_SGPR: 6
; COMPUTE_PGM_RSRC2:TRAP_HANDLER: 0
; COMPUTE_PGM_RSRC2:TGID_X_EN: 1
; COMPUTE_PGM_RSRC2:TGID_Y_EN: 0
; COMPUTE_PGM_RSRC2:TGID_Z_EN: 0
; COMPUTE_PGM_RSRC2:TIDIG_COMP_CNT: 0
; COMPUTE_PGM_RSRC3_GFX90A:ACCUM_OFFSET: 0
; COMPUTE_PGM_RSRC3_GFX90A:TG_SPLIT: 0
	.section	.text._ZN7rocprim17ROCPRIM_400000_NS6detail17trampoline_kernelINS0_14default_configENS1_38merge_sort_block_merge_config_selectorIflEEZZNS1_27merge_sort_block_merge_implIS3_PfN6thrust23THRUST_200600_302600_NS10device_ptrIlEEjNS1_19radix_merge_compareILb0ELb0EfNS0_19identity_decomposerEEEEE10hipError_tT0_T1_T2_jT3_P12ihipStream_tbPNSt15iterator_traitsISG_E10value_typeEPNSM_ISH_E10value_typeEPSI_NS1_7vsmem_tEENKUlT_SG_SH_SI_E_clIS7_S7_PlSB_EESF_SV_SG_SH_SI_EUlSV_E_NS1_11comp_targetILNS1_3genE10ELNS1_11target_archE1201ELNS1_3gpuE5ELNS1_3repE0EEENS1_48merge_mergepath_partition_config_static_selectorELNS0_4arch9wavefront6targetE1EEEvSH_,"axG",@progbits,_ZN7rocprim17ROCPRIM_400000_NS6detail17trampoline_kernelINS0_14default_configENS1_38merge_sort_block_merge_config_selectorIflEEZZNS1_27merge_sort_block_merge_implIS3_PfN6thrust23THRUST_200600_302600_NS10device_ptrIlEEjNS1_19radix_merge_compareILb0ELb0EfNS0_19identity_decomposerEEEEE10hipError_tT0_T1_T2_jT3_P12ihipStream_tbPNSt15iterator_traitsISG_E10value_typeEPNSM_ISH_E10value_typeEPSI_NS1_7vsmem_tEENKUlT_SG_SH_SI_E_clIS7_S7_PlSB_EESF_SV_SG_SH_SI_EUlSV_E_NS1_11comp_targetILNS1_3genE10ELNS1_11target_archE1201ELNS1_3gpuE5ELNS1_3repE0EEENS1_48merge_mergepath_partition_config_static_selectorELNS0_4arch9wavefront6targetE1EEEvSH_,comdat
	.protected	_ZN7rocprim17ROCPRIM_400000_NS6detail17trampoline_kernelINS0_14default_configENS1_38merge_sort_block_merge_config_selectorIflEEZZNS1_27merge_sort_block_merge_implIS3_PfN6thrust23THRUST_200600_302600_NS10device_ptrIlEEjNS1_19radix_merge_compareILb0ELb0EfNS0_19identity_decomposerEEEEE10hipError_tT0_T1_T2_jT3_P12ihipStream_tbPNSt15iterator_traitsISG_E10value_typeEPNSM_ISH_E10value_typeEPSI_NS1_7vsmem_tEENKUlT_SG_SH_SI_E_clIS7_S7_PlSB_EESF_SV_SG_SH_SI_EUlSV_E_NS1_11comp_targetILNS1_3genE10ELNS1_11target_archE1201ELNS1_3gpuE5ELNS1_3repE0EEENS1_48merge_mergepath_partition_config_static_selectorELNS0_4arch9wavefront6targetE1EEEvSH_ ; -- Begin function _ZN7rocprim17ROCPRIM_400000_NS6detail17trampoline_kernelINS0_14default_configENS1_38merge_sort_block_merge_config_selectorIflEEZZNS1_27merge_sort_block_merge_implIS3_PfN6thrust23THRUST_200600_302600_NS10device_ptrIlEEjNS1_19radix_merge_compareILb0ELb0EfNS0_19identity_decomposerEEEEE10hipError_tT0_T1_T2_jT3_P12ihipStream_tbPNSt15iterator_traitsISG_E10value_typeEPNSM_ISH_E10value_typeEPSI_NS1_7vsmem_tEENKUlT_SG_SH_SI_E_clIS7_S7_PlSB_EESF_SV_SG_SH_SI_EUlSV_E_NS1_11comp_targetILNS1_3genE10ELNS1_11target_archE1201ELNS1_3gpuE5ELNS1_3repE0EEENS1_48merge_mergepath_partition_config_static_selectorELNS0_4arch9wavefront6targetE1EEEvSH_
	.globl	_ZN7rocprim17ROCPRIM_400000_NS6detail17trampoline_kernelINS0_14default_configENS1_38merge_sort_block_merge_config_selectorIflEEZZNS1_27merge_sort_block_merge_implIS3_PfN6thrust23THRUST_200600_302600_NS10device_ptrIlEEjNS1_19radix_merge_compareILb0ELb0EfNS0_19identity_decomposerEEEEE10hipError_tT0_T1_T2_jT3_P12ihipStream_tbPNSt15iterator_traitsISG_E10value_typeEPNSM_ISH_E10value_typeEPSI_NS1_7vsmem_tEENKUlT_SG_SH_SI_E_clIS7_S7_PlSB_EESF_SV_SG_SH_SI_EUlSV_E_NS1_11comp_targetILNS1_3genE10ELNS1_11target_archE1201ELNS1_3gpuE5ELNS1_3repE0EEENS1_48merge_mergepath_partition_config_static_selectorELNS0_4arch9wavefront6targetE1EEEvSH_
	.p2align	8
	.type	_ZN7rocprim17ROCPRIM_400000_NS6detail17trampoline_kernelINS0_14default_configENS1_38merge_sort_block_merge_config_selectorIflEEZZNS1_27merge_sort_block_merge_implIS3_PfN6thrust23THRUST_200600_302600_NS10device_ptrIlEEjNS1_19radix_merge_compareILb0ELb0EfNS0_19identity_decomposerEEEEE10hipError_tT0_T1_T2_jT3_P12ihipStream_tbPNSt15iterator_traitsISG_E10value_typeEPNSM_ISH_E10value_typeEPSI_NS1_7vsmem_tEENKUlT_SG_SH_SI_E_clIS7_S7_PlSB_EESF_SV_SG_SH_SI_EUlSV_E_NS1_11comp_targetILNS1_3genE10ELNS1_11target_archE1201ELNS1_3gpuE5ELNS1_3repE0EEENS1_48merge_mergepath_partition_config_static_selectorELNS0_4arch9wavefront6targetE1EEEvSH_,@function
_ZN7rocprim17ROCPRIM_400000_NS6detail17trampoline_kernelINS0_14default_configENS1_38merge_sort_block_merge_config_selectorIflEEZZNS1_27merge_sort_block_merge_implIS3_PfN6thrust23THRUST_200600_302600_NS10device_ptrIlEEjNS1_19radix_merge_compareILb0ELb0EfNS0_19identity_decomposerEEEEE10hipError_tT0_T1_T2_jT3_P12ihipStream_tbPNSt15iterator_traitsISG_E10value_typeEPNSM_ISH_E10value_typeEPSI_NS1_7vsmem_tEENKUlT_SG_SH_SI_E_clIS7_S7_PlSB_EESF_SV_SG_SH_SI_EUlSV_E_NS1_11comp_targetILNS1_3genE10ELNS1_11target_archE1201ELNS1_3gpuE5ELNS1_3repE0EEENS1_48merge_mergepath_partition_config_static_selectorELNS0_4arch9wavefront6targetE1EEEvSH_: ; @_ZN7rocprim17ROCPRIM_400000_NS6detail17trampoline_kernelINS0_14default_configENS1_38merge_sort_block_merge_config_selectorIflEEZZNS1_27merge_sort_block_merge_implIS3_PfN6thrust23THRUST_200600_302600_NS10device_ptrIlEEjNS1_19radix_merge_compareILb0ELb0EfNS0_19identity_decomposerEEEEE10hipError_tT0_T1_T2_jT3_P12ihipStream_tbPNSt15iterator_traitsISG_E10value_typeEPNSM_ISH_E10value_typeEPSI_NS1_7vsmem_tEENKUlT_SG_SH_SI_E_clIS7_S7_PlSB_EESF_SV_SG_SH_SI_EUlSV_E_NS1_11comp_targetILNS1_3genE10ELNS1_11target_archE1201ELNS1_3gpuE5ELNS1_3repE0EEENS1_48merge_mergepath_partition_config_static_selectorELNS0_4arch9wavefront6targetE1EEEvSH_
; %bb.0:
	.section	.rodata,"a",@progbits
	.p2align	6, 0x0
	.amdhsa_kernel _ZN7rocprim17ROCPRIM_400000_NS6detail17trampoline_kernelINS0_14default_configENS1_38merge_sort_block_merge_config_selectorIflEEZZNS1_27merge_sort_block_merge_implIS3_PfN6thrust23THRUST_200600_302600_NS10device_ptrIlEEjNS1_19radix_merge_compareILb0ELb0EfNS0_19identity_decomposerEEEEE10hipError_tT0_T1_T2_jT3_P12ihipStream_tbPNSt15iterator_traitsISG_E10value_typeEPNSM_ISH_E10value_typeEPSI_NS1_7vsmem_tEENKUlT_SG_SH_SI_E_clIS7_S7_PlSB_EESF_SV_SG_SH_SI_EUlSV_E_NS1_11comp_targetILNS1_3genE10ELNS1_11target_archE1201ELNS1_3gpuE5ELNS1_3repE0EEENS1_48merge_mergepath_partition_config_static_selectorELNS0_4arch9wavefront6targetE1EEEvSH_
		.amdhsa_group_segment_fixed_size 0
		.amdhsa_private_segment_fixed_size 0
		.amdhsa_kernarg_size 40
		.amdhsa_user_sgpr_count 6
		.amdhsa_user_sgpr_private_segment_buffer 1
		.amdhsa_user_sgpr_dispatch_ptr 0
		.amdhsa_user_sgpr_queue_ptr 0
		.amdhsa_user_sgpr_kernarg_segment_ptr 1
		.amdhsa_user_sgpr_dispatch_id 0
		.amdhsa_user_sgpr_flat_scratch_init 0
		.amdhsa_user_sgpr_kernarg_preload_length 0
		.amdhsa_user_sgpr_kernarg_preload_offset 0
		.amdhsa_user_sgpr_private_segment_size 0
		.amdhsa_uses_dynamic_stack 0
		.amdhsa_system_sgpr_private_segment_wavefront_offset 0
		.amdhsa_system_sgpr_workgroup_id_x 1
		.amdhsa_system_sgpr_workgroup_id_y 0
		.amdhsa_system_sgpr_workgroup_id_z 0
		.amdhsa_system_sgpr_workgroup_info 0
		.amdhsa_system_vgpr_workitem_id 0
		.amdhsa_next_free_vgpr 1
		.amdhsa_next_free_sgpr 0
		.amdhsa_accum_offset 4
		.amdhsa_reserve_vcc 0
		.amdhsa_reserve_flat_scratch 0
		.amdhsa_float_round_mode_32 0
		.amdhsa_float_round_mode_16_64 0
		.amdhsa_float_denorm_mode_32 3
		.amdhsa_float_denorm_mode_16_64 3
		.amdhsa_dx10_clamp 1
		.amdhsa_ieee_mode 1
		.amdhsa_fp16_overflow 0
		.amdhsa_tg_split 0
		.amdhsa_exception_fp_ieee_invalid_op 0
		.amdhsa_exception_fp_denorm_src 0
		.amdhsa_exception_fp_ieee_div_zero 0
		.amdhsa_exception_fp_ieee_overflow 0
		.amdhsa_exception_fp_ieee_underflow 0
		.amdhsa_exception_fp_ieee_inexact 0
		.amdhsa_exception_int_div_zero 0
	.end_amdhsa_kernel
	.section	.text._ZN7rocprim17ROCPRIM_400000_NS6detail17trampoline_kernelINS0_14default_configENS1_38merge_sort_block_merge_config_selectorIflEEZZNS1_27merge_sort_block_merge_implIS3_PfN6thrust23THRUST_200600_302600_NS10device_ptrIlEEjNS1_19radix_merge_compareILb0ELb0EfNS0_19identity_decomposerEEEEE10hipError_tT0_T1_T2_jT3_P12ihipStream_tbPNSt15iterator_traitsISG_E10value_typeEPNSM_ISH_E10value_typeEPSI_NS1_7vsmem_tEENKUlT_SG_SH_SI_E_clIS7_S7_PlSB_EESF_SV_SG_SH_SI_EUlSV_E_NS1_11comp_targetILNS1_3genE10ELNS1_11target_archE1201ELNS1_3gpuE5ELNS1_3repE0EEENS1_48merge_mergepath_partition_config_static_selectorELNS0_4arch9wavefront6targetE1EEEvSH_,"axG",@progbits,_ZN7rocprim17ROCPRIM_400000_NS6detail17trampoline_kernelINS0_14default_configENS1_38merge_sort_block_merge_config_selectorIflEEZZNS1_27merge_sort_block_merge_implIS3_PfN6thrust23THRUST_200600_302600_NS10device_ptrIlEEjNS1_19radix_merge_compareILb0ELb0EfNS0_19identity_decomposerEEEEE10hipError_tT0_T1_T2_jT3_P12ihipStream_tbPNSt15iterator_traitsISG_E10value_typeEPNSM_ISH_E10value_typeEPSI_NS1_7vsmem_tEENKUlT_SG_SH_SI_E_clIS7_S7_PlSB_EESF_SV_SG_SH_SI_EUlSV_E_NS1_11comp_targetILNS1_3genE10ELNS1_11target_archE1201ELNS1_3gpuE5ELNS1_3repE0EEENS1_48merge_mergepath_partition_config_static_selectorELNS0_4arch9wavefront6targetE1EEEvSH_,comdat
.Lfunc_end1761:
	.size	_ZN7rocprim17ROCPRIM_400000_NS6detail17trampoline_kernelINS0_14default_configENS1_38merge_sort_block_merge_config_selectorIflEEZZNS1_27merge_sort_block_merge_implIS3_PfN6thrust23THRUST_200600_302600_NS10device_ptrIlEEjNS1_19radix_merge_compareILb0ELb0EfNS0_19identity_decomposerEEEEE10hipError_tT0_T1_T2_jT3_P12ihipStream_tbPNSt15iterator_traitsISG_E10value_typeEPNSM_ISH_E10value_typeEPSI_NS1_7vsmem_tEENKUlT_SG_SH_SI_E_clIS7_S7_PlSB_EESF_SV_SG_SH_SI_EUlSV_E_NS1_11comp_targetILNS1_3genE10ELNS1_11target_archE1201ELNS1_3gpuE5ELNS1_3repE0EEENS1_48merge_mergepath_partition_config_static_selectorELNS0_4arch9wavefront6targetE1EEEvSH_, .Lfunc_end1761-_ZN7rocprim17ROCPRIM_400000_NS6detail17trampoline_kernelINS0_14default_configENS1_38merge_sort_block_merge_config_selectorIflEEZZNS1_27merge_sort_block_merge_implIS3_PfN6thrust23THRUST_200600_302600_NS10device_ptrIlEEjNS1_19radix_merge_compareILb0ELb0EfNS0_19identity_decomposerEEEEE10hipError_tT0_T1_T2_jT3_P12ihipStream_tbPNSt15iterator_traitsISG_E10value_typeEPNSM_ISH_E10value_typeEPSI_NS1_7vsmem_tEENKUlT_SG_SH_SI_E_clIS7_S7_PlSB_EESF_SV_SG_SH_SI_EUlSV_E_NS1_11comp_targetILNS1_3genE10ELNS1_11target_archE1201ELNS1_3gpuE5ELNS1_3repE0EEENS1_48merge_mergepath_partition_config_static_selectorELNS0_4arch9wavefront6targetE1EEEvSH_
                                        ; -- End function
	.section	.AMDGPU.csdata,"",@progbits
; Kernel info:
; codeLenInByte = 0
; NumSgprs: 4
; NumVgprs: 0
; NumAgprs: 0
; TotalNumVgprs: 0
; ScratchSize: 0
; MemoryBound: 0
; FloatMode: 240
; IeeeMode: 1
; LDSByteSize: 0 bytes/workgroup (compile time only)
; SGPRBlocks: 0
; VGPRBlocks: 0
; NumSGPRsForWavesPerEU: 4
; NumVGPRsForWavesPerEU: 1
; AccumOffset: 4
; Occupancy: 8
; WaveLimiterHint : 0
; COMPUTE_PGM_RSRC2:SCRATCH_EN: 0
; COMPUTE_PGM_RSRC2:USER_SGPR: 6
; COMPUTE_PGM_RSRC2:TRAP_HANDLER: 0
; COMPUTE_PGM_RSRC2:TGID_X_EN: 1
; COMPUTE_PGM_RSRC2:TGID_Y_EN: 0
; COMPUTE_PGM_RSRC2:TGID_Z_EN: 0
; COMPUTE_PGM_RSRC2:TIDIG_COMP_CNT: 0
; COMPUTE_PGM_RSRC3_GFX90A:ACCUM_OFFSET: 0
; COMPUTE_PGM_RSRC3_GFX90A:TG_SPLIT: 0
	.section	.text._ZN7rocprim17ROCPRIM_400000_NS6detail17trampoline_kernelINS0_14default_configENS1_38merge_sort_block_merge_config_selectorIflEEZZNS1_27merge_sort_block_merge_implIS3_PfN6thrust23THRUST_200600_302600_NS10device_ptrIlEEjNS1_19radix_merge_compareILb0ELb0EfNS0_19identity_decomposerEEEEE10hipError_tT0_T1_T2_jT3_P12ihipStream_tbPNSt15iterator_traitsISG_E10value_typeEPNSM_ISH_E10value_typeEPSI_NS1_7vsmem_tEENKUlT_SG_SH_SI_E_clIS7_S7_PlSB_EESF_SV_SG_SH_SI_EUlSV_E_NS1_11comp_targetILNS1_3genE5ELNS1_11target_archE942ELNS1_3gpuE9ELNS1_3repE0EEENS1_48merge_mergepath_partition_config_static_selectorELNS0_4arch9wavefront6targetE1EEEvSH_,"axG",@progbits,_ZN7rocprim17ROCPRIM_400000_NS6detail17trampoline_kernelINS0_14default_configENS1_38merge_sort_block_merge_config_selectorIflEEZZNS1_27merge_sort_block_merge_implIS3_PfN6thrust23THRUST_200600_302600_NS10device_ptrIlEEjNS1_19radix_merge_compareILb0ELb0EfNS0_19identity_decomposerEEEEE10hipError_tT0_T1_T2_jT3_P12ihipStream_tbPNSt15iterator_traitsISG_E10value_typeEPNSM_ISH_E10value_typeEPSI_NS1_7vsmem_tEENKUlT_SG_SH_SI_E_clIS7_S7_PlSB_EESF_SV_SG_SH_SI_EUlSV_E_NS1_11comp_targetILNS1_3genE5ELNS1_11target_archE942ELNS1_3gpuE9ELNS1_3repE0EEENS1_48merge_mergepath_partition_config_static_selectorELNS0_4arch9wavefront6targetE1EEEvSH_,comdat
	.protected	_ZN7rocprim17ROCPRIM_400000_NS6detail17trampoline_kernelINS0_14default_configENS1_38merge_sort_block_merge_config_selectorIflEEZZNS1_27merge_sort_block_merge_implIS3_PfN6thrust23THRUST_200600_302600_NS10device_ptrIlEEjNS1_19radix_merge_compareILb0ELb0EfNS0_19identity_decomposerEEEEE10hipError_tT0_T1_T2_jT3_P12ihipStream_tbPNSt15iterator_traitsISG_E10value_typeEPNSM_ISH_E10value_typeEPSI_NS1_7vsmem_tEENKUlT_SG_SH_SI_E_clIS7_S7_PlSB_EESF_SV_SG_SH_SI_EUlSV_E_NS1_11comp_targetILNS1_3genE5ELNS1_11target_archE942ELNS1_3gpuE9ELNS1_3repE0EEENS1_48merge_mergepath_partition_config_static_selectorELNS0_4arch9wavefront6targetE1EEEvSH_ ; -- Begin function _ZN7rocprim17ROCPRIM_400000_NS6detail17trampoline_kernelINS0_14default_configENS1_38merge_sort_block_merge_config_selectorIflEEZZNS1_27merge_sort_block_merge_implIS3_PfN6thrust23THRUST_200600_302600_NS10device_ptrIlEEjNS1_19radix_merge_compareILb0ELb0EfNS0_19identity_decomposerEEEEE10hipError_tT0_T1_T2_jT3_P12ihipStream_tbPNSt15iterator_traitsISG_E10value_typeEPNSM_ISH_E10value_typeEPSI_NS1_7vsmem_tEENKUlT_SG_SH_SI_E_clIS7_S7_PlSB_EESF_SV_SG_SH_SI_EUlSV_E_NS1_11comp_targetILNS1_3genE5ELNS1_11target_archE942ELNS1_3gpuE9ELNS1_3repE0EEENS1_48merge_mergepath_partition_config_static_selectorELNS0_4arch9wavefront6targetE1EEEvSH_
	.globl	_ZN7rocprim17ROCPRIM_400000_NS6detail17trampoline_kernelINS0_14default_configENS1_38merge_sort_block_merge_config_selectorIflEEZZNS1_27merge_sort_block_merge_implIS3_PfN6thrust23THRUST_200600_302600_NS10device_ptrIlEEjNS1_19radix_merge_compareILb0ELb0EfNS0_19identity_decomposerEEEEE10hipError_tT0_T1_T2_jT3_P12ihipStream_tbPNSt15iterator_traitsISG_E10value_typeEPNSM_ISH_E10value_typeEPSI_NS1_7vsmem_tEENKUlT_SG_SH_SI_E_clIS7_S7_PlSB_EESF_SV_SG_SH_SI_EUlSV_E_NS1_11comp_targetILNS1_3genE5ELNS1_11target_archE942ELNS1_3gpuE9ELNS1_3repE0EEENS1_48merge_mergepath_partition_config_static_selectorELNS0_4arch9wavefront6targetE1EEEvSH_
	.p2align	8
	.type	_ZN7rocprim17ROCPRIM_400000_NS6detail17trampoline_kernelINS0_14default_configENS1_38merge_sort_block_merge_config_selectorIflEEZZNS1_27merge_sort_block_merge_implIS3_PfN6thrust23THRUST_200600_302600_NS10device_ptrIlEEjNS1_19radix_merge_compareILb0ELb0EfNS0_19identity_decomposerEEEEE10hipError_tT0_T1_T2_jT3_P12ihipStream_tbPNSt15iterator_traitsISG_E10value_typeEPNSM_ISH_E10value_typeEPSI_NS1_7vsmem_tEENKUlT_SG_SH_SI_E_clIS7_S7_PlSB_EESF_SV_SG_SH_SI_EUlSV_E_NS1_11comp_targetILNS1_3genE5ELNS1_11target_archE942ELNS1_3gpuE9ELNS1_3repE0EEENS1_48merge_mergepath_partition_config_static_selectorELNS0_4arch9wavefront6targetE1EEEvSH_,@function
_ZN7rocprim17ROCPRIM_400000_NS6detail17trampoline_kernelINS0_14default_configENS1_38merge_sort_block_merge_config_selectorIflEEZZNS1_27merge_sort_block_merge_implIS3_PfN6thrust23THRUST_200600_302600_NS10device_ptrIlEEjNS1_19radix_merge_compareILb0ELb0EfNS0_19identity_decomposerEEEEE10hipError_tT0_T1_T2_jT3_P12ihipStream_tbPNSt15iterator_traitsISG_E10value_typeEPNSM_ISH_E10value_typeEPSI_NS1_7vsmem_tEENKUlT_SG_SH_SI_E_clIS7_S7_PlSB_EESF_SV_SG_SH_SI_EUlSV_E_NS1_11comp_targetILNS1_3genE5ELNS1_11target_archE942ELNS1_3gpuE9ELNS1_3repE0EEENS1_48merge_mergepath_partition_config_static_selectorELNS0_4arch9wavefront6targetE1EEEvSH_: ; @_ZN7rocprim17ROCPRIM_400000_NS6detail17trampoline_kernelINS0_14default_configENS1_38merge_sort_block_merge_config_selectorIflEEZZNS1_27merge_sort_block_merge_implIS3_PfN6thrust23THRUST_200600_302600_NS10device_ptrIlEEjNS1_19radix_merge_compareILb0ELb0EfNS0_19identity_decomposerEEEEE10hipError_tT0_T1_T2_jT3_P12ihipStream_tbPNSt15iterator_traitsISG_E10value_typeEPNSM_ISH_E10value_typeEPSI_NS1_7vsmem_tEENKUlT_SG_SH_SI_E_clIS7_S7_PlSB_EESF_SV_SG_SH_SI_EUlSV_E_NS1_11comp_targetILNS1_3genE5ELNS1_11target_archE942ELNS1_3gpuE9ELNS1_3repE0EEENS1_48merge_mergepath_partition_config_static_selectorELNS0_4arch9wavefront6targetE1EEEvSH_
; %bb.0:
	.section	.rodata,"a",@progbits
	.p2align	6, 0x0
	.amdhsa_kernel _ZN7rocprim17ROCPRIM_400000_NS6detail17trampoline_kernelINS0_14default_configENS1_38merge_sort_block_merge_config_selectorIflEEZZNS1_27merge_sort_block_merge_implIS3_PfN6thrust23THRUST_200600_302600_NS10device_ptrIlEEjNS1_19radix_merge_compareILb0ELb0EfNS0_19identity_decomposerEEEEE10hipError_tT0_T1_T2_jT3_P12ihipStream_tbPNSt15iterator_traitsISG_E10value_typeEPNSM_ISH_E10value_typeEPSI_NS1_7vsmem_tEENKUlT_SG_SH_SI_E_clIS7_S7_PlSB_EESF_SV_SG_SH_SI_EUlSV_E_NS1_11comp_targetILNS1_3genE5ELNS1_11target_archE942ELNS1_3gpuE9ELNS1_3repE0EEENS1_48merge_mergepath_partition_config_static_selectorELNS0_4arch9wavefront6targetE1EEEvSH_
		.amdhsa_group_segment_fixed_size 0
		.amdhsa_private_segment_fixed_size 0
		.amdhsa_kernarg_size 40
		.amdhsa_user_sgpr_count 6
		.amdhsa_user_sgpr_private_segment_buffer 1
		.amdhsa_user_sgpr_dispatch_ptr 0
		.amdhsa_user_sgpr_queue_ptr 0
		.amdhsa_user_sgpr_kernarg_segment_ptr 1
		.amdhsa_user_sgpr_dispatch_id 0
		.amdhsa_user_sgpr_flat_scratch_init 0
		.amdhsa_user_sgpr_kernarg_preload_length 0
		.amdhsa_user_sgpr_kernarg_preload_offset 0
		.amdhsa_user_sgpr_private_segment_size 0
		.amdhsa_uses_dynamic_stack 0
		.amdhsa_system_sgpr_private_segment_wavefront_offset 0
		.amdhsa_system_sgpr_workgroup_id_x 1
		.amdhsa_system_sgpr_workgroup_id_y 0
		.amdhsa_system_sgpr_workgroup_id_z 0
		.amdhsa_system_sgpr_workgroup_info 0
		.amdhsa_system_vgpr_workitem_id 0
		.amdhsa_next_free_vgpr 1
		.amdhsa_next_free_sgpr 0
		.amdhsa_accum_offset 4
		.amdhsa_reserve_vcc 0
		.amdhsa_reserve_flat_scratch 0
		.amdhsa_float_round_mode_32 0
		.amdhsa_float_round_mode_16_64 0
		.amdhsa_float_denorm_mode_32 3
		.amdhsa_float_denorm_mode_16_64 3
		.amdhsa_dx10_clamp 1
		.amdhsa_ieee_mode 1
		.amdhsa_fp16_overflow 0
		.amdhsa_tg_split 0
		.amdhsa_exception_fp_ieee_invalid_op 0
		.amdhsa_exception_fp_denorm_src 0
		.amdhsa_exception_fp_ieee_div_zero 0
		.amdhsa_exception_fp_ieee_overflow 0
		.amdhsa_exception_fp_ieee_underflow 0
		.amdhsa_exception_fp_ieee_inexact 0
		.amdhsa_exception_int_div_zero 0
	.end_amdhsa_kernel
	.section	.text._ZN7rocprim17ROCPRIM_400000_NS6detail17trampoline_kernelINS0_14default_configENS1_38merge_sort_block_merge_config_selectorIflEEZZNS1_27merge_sort_block_merge_implIS3_PfN6thrust23THRUST_200600_302600_NS10device_ptrIlEEjNS1_19radix_merge_compareILb0ELb0EfNS0_19identity_decomposerEEEEE10hipError_tT0_T1_T2_jT3_P12ihipStream_tbPNSt15iterator_traitsISG_E10value_typeEPNSM_ISH_E10value_typeEPSI_NS1_7vsmem_tEENKUlT_SG_SH_SI_E_clIS7_S7_PlSB_EESF_SV_SG_SH_SI_EUlSV_E_NS1_11comp_targetILNS1_3genE5ELNS1_11target_archE942ELNS1_3gpuE9ELNS1_3repE0EEENS1_48merge_mergepath_partition_config_static_selectorELNS0_4arch9wavefront6targetE1EEEvSH_,"axG",@progbits,_ZN7rocprim17ROCPRIM_400000_NS6detail17trampoline_kernelINS0_14default_configENS1_38merge_sort_block_merge_config_selectorIflEEZZNS1_27merge_sort_block_merge_implIS3_PfN6thrust23THRUST_200600_302600_NS10device_ptrIlEEjNS1_19radix_merge_compareILb0ELb0EfNS0_19identity_decomposerEEEEE10hipError_tT0_T1_T2_jT3_P12ihipStream_tbPNSt15iterator_traitsISG_E10value_typeEPNSM_ISH_E10value_typeEPSI_NS1_7vsmem_tEENKUlT_SG_SH_SI_E_clIS7_S7_PlSB_EESF_SV_SG_SH_SI_EUlSV_E_NS1_11comp_targetILNS1_3genE5ELNS1_11target_archE942ELNS1_3gpuE9ELNS1_3repE0EEENS1_48merge_mergepath_partition_config_static_selectorELNS0_4arch9wavefront6targetE1EEEvSH_,comdat
.Lfunc_end1762:
	.size	_ZN7rocprim17ROCPRIM_400000_NS6detail17trampoline_kernelINS0_14default_configENS1_38merge_sort_block_merge_config_selectorIflEEZZNS1_27merge_sort_block_merge_implIS3_PfN6thrust23THRUST_200600_302600_NS10device_ptrIlEEjNS1_19radix_merge_compareILb0ELb0EfNS0_19identity_decomposerEEEEE10hipError_tT0_T1_T2_jT3_P12ihipStream_tbPNSt15iterator_traitsISG_E10value_typeEPNSM_ISH_E10value_typeEPSI_NS1_7vsmem_tEENKUlT_SG_SH_SI_E_clIS7_S7_PlSB_EESF_SV_SG_SH_SI_EUlSV_E_NS1_11comp_targetILNS1_3genE5ELNS1_11target_archE942ELNS1_3gpuE9ELNS1_3repE0EEENS1_48merge_mergepath_partition_config_static_selectorELNS0_4arch9wavefront6targetE1EEEvSH_, .Lfunc_end1762-_ZN7rocprim17ROCPRIM_400000_NS6detail17trampoline_kernelINS0_14default_configENS1_38merge_sort_block_merge_config_selectorIflEEZZNS1_27merge_sort_block_merge_implIS3_PfN6thrust23THRUST_200600_302600_NS10device_ptrIlEEjNS1_19radix_merge_compareILb0ELb0EfNS0_19identity_decomposerEEEEE10hipError_tT0_T1_T2_jT3_P12ihipStream_tbPNSt15iterator_traitsISG_E10value_typeEPNSM_ISH_E10value_typeEPSI_NS1_7vsmem_tEENKUlT_SG_SH_SI_E_clIS7_S7_PlSB_EESF_SV_SG_SH_SI_EUlSV_E_NS1_11comp_targetILNS1_3genE5ELNS1_11target_archE942ELNS1_3gpuE9ELNS1_3repE0EEENS1_48merge_mergepath_partition_config_static_selectorELNS0_4arch9wavefront6targetE1EEEvSH_
                                        ; -- End function
	.section	.AMDGPU.csdata,"",@progbits
; Kernel info:
; codeLenInByte = 0
; NumSgprs: 4
; NumVgprs: 0
; NumAgprs: 0
; TotalNumVgprs: 0
; ScratchSize: 0
; MemoryBound: 0
; FloatMode: 240
; IeeeMode: 1
; LDSByteSize: 0 bytes/workgroup (compile time only)
; SGPRBlocks: 0
; VGPRBlocks: 0
; NumSGPRsForWavesPerEU: 4
; NumVGPRsForWavesPerEU: 1
; AccumOffset: 4
; Occupancy: 8
; WaveLimiterHint : 0
; COMPUTE_PGM_RSRC2:SCRATCH_EN: 0
; COMPUTE_PGM_RSRC2:USER_SGPR: 6
; COMPUTE_PGM_RSRC2:TRAP_HANDLER: 0
; COMPUTE_PGM_RSRC2:TGID_X_EN: 1
; COMPUTE_PGM_RSRC2:TGID_Y_EN: 0
; COMPUTE_PGM_RSRC2:TGID_Z_EN: 0
; COMPUTE_PGM_RSRC2:TIDIG_COMP_CNT: 0
; COMPUTE_PGM_RSRC3_GFX90A:ACCUM_OFFSET: 0
; COMPUTE_PGM_RSRC3_GFX90A:TG_SPLIT: 0
	.section	.text._ZN7rocprim17ROCPRIM_400000_NS6detail17trampoline_kernelINS0_14default_configENS1_38merge_sort_block_merge_config_selectorIflEEZZNS1_27merge_sort_block_merge_implIS3_PfN6thrust23THRUST_200600_302600_NS10device_ptrIlEEjNS1_19radix_merge_compareILb0ELb0EfNS0_19identity_decomposerEEEEE10hipError_tT0_T1_T2_jT3_P12ihipStream_tbPNSt15iterator_traitsISG_E10value_typeEPNSM_ISH_E10value_typeEPSI_NS1_7vsmem_tEENKUlT_SG_SH_SI_E_clIS7_S7_PlSB_EESF_SV_SG_SH_SI_EUlSV_E_NS1_11comp_targetILNS1_3genE4ELNS1_11target_archE910ELNS1_3gpuE8ELNS1_3repE0EEENS1_48merge_mergepath_partition_config_static_selectorELNS0_4arch9wavefront6targetE1EEEvSH_,"axG",@progbits,_ZN7rocprim17ROCPRIM_400000_NS6detail17trampoline_kernelINS0_14default_configENS1_38merge_sort_block_merge_config_selectorIflEEZZNS1_27merge_sort_block_merge_implIS3_PfN6thrust23THRUST_200600_302600_NS10device_ptrIlEEjNS1_19radix_merge_compareILb0ELb0EfNS0_19identity_decomposerEEEEE10hipError_tT0_T1_T2_jT3_P12ihipStream_tbPNSt15iterator_traitsISG_E10value_typeEPNSM_ISH_E10value_typeEPSI_NS1_7vsmem_tEENKUlT_SG_SH_SI_E_clIS7_S7_PlSB_EESF_SV_SG_SH_SI_EUlSV_E_NS1_11comp_targetILNS1_3genE4ELNS1_11target_archE910ELNS1_3gpuE8ELNS1_3repE0EEENS1_48merge_mergepath_partition_config_static_selectorELNS0_4arch9wavefront6targetE1EEEvSH_,comdat
	.protected	_ZN7rocprim17ROCPRIM_400000_NS6detail17trampoline_kernelINS0_14default_configENS1_38merge_sort_block_merge_config_selectorIflEEZZNS1_27merge_sort_block_merge_implIS3_PfN6thrust23THRUST_200600_302600_NS10device_ptrIlEEjNS1_19radix_merge_compareILb0ELb0EfNS0_19identity_decomposerEEEEE10hipError_tT0_T1_T2_jT3_P12ihipStream_tbPNSt15iterator_traitsISG_E10value_typeEPNSM_ISH_E10value_typeEPSI_NS1_7vsmem_tEENKUlT_SG_SH_SI_E_clIS7_S7_PlSB_EESF_SV_SG_SH_SI_EUlSV_E_NS1_11comp_targetILNS1_3genE4ELNS1_11target_archE910ELNS1_3gpuE8ELNS1_3repE0EEENS1_48merge_mergepath_partition_config_static_selectorELNS0_4arch9wavefront6targetE1EEEvSH_ ; -- Begin function _ZN7rocprim17ROCPRIM_400000_NS6detail17trampoline_kernelINS0_14default_configENS1_38merge_sort_block_merge_config_selectorIflEEZZNS1_27merge_sort_block_merge_implIS3_PfN6thrust23THRUST_200600_302600_NS10device_ptrIlEEjNS1_19radix_merge_compareILb0ELb0EfNS0_19identity_decomposerEEEEE10hipError_tT0_T1_T2_jT3_P12ihipStream_tbPNSt15iterator_traitsISG_E10value_typeEPNSM_ISH_E10value_typeEPSI_NS1_7vsmem_tEENKUlT_SG_SH_SI_E_clIS7_S7_PlSB_EESF_SV_SG_SH_SI_EUlSV_E_NS1_11comp_targetILNS1_3genE4ELNS1_11target_archE910ELNS1_3gpuE8ELNS1_3repE0EEENS1_48merge_mergepath_partition_config_static_selectorELNS0_4arch9wavefront6targetE1EEEvSH_
	.globl	_ZN7rocprim17ROCPRIM_400000_NS6detail17trampoline_kernelINS0_14default_configENS1_38merge_sort_block_merge_config_selectorIflEEZZNS1_27merge_sort_block_merge_implIS3_PfN6thrust23THRUST_200600_302600_NS10device_ptrIlEEjNS1_19radix_merge_compareILb0ELb0EfNS0_19identity_decomposerEEEEE10hipError_tT0_T1_T2_jT3_P12ihipStream_tbPNSt15iterator_traitsISG_E10value_typeEPNSM_ISH_E10value_typeEPSI_NS1_7vsmem_tEENKUlT_SG_SH_SI_E_clIS7_S7_PlSB_EESF_SV_SG_SH_SI_EUlSV_E_NS1_11comp_targetILNS1_3genE4ELNS1_11target_archE910ELNS1_3gpuE8ELNS1_3repE0EEENS1_48merge_mergepath_partition_config_static_selectorELNS0_4arch9wavefront6targetE1EEEvSH_
	.p2align	8
	.type	_ZN7rocprim17ROCPRIM_400000_NS6detail17trampoline_kernelINS0_14default_configENS1_38merge_sort_block_merge_config_selectorIflEEZZNS1_27merge_sort_block_merge_implIS3_PfN6thrust23THRUST_200600_302600_NS10device_ptrIlEEjNS1_19radix_merge_compareILb0ELb0EfNS0_19identity_decomposerEEEEE10hipError_tT0_T1_T2_jT3_P12ihipStream_tbPNSt15iterator_traitsISG_E10value_typeEPNSM_ISH_E10value_typeEPSI_NS1_7vsmem_tEENKUlT_SG_SH_SI_E_clIS7_S7_PlSB_EESF_SV_SG_SH_SI_EUlSV_E_NS1_11comp_targetILNS1_3genE4ELNS1_11target_archE910ELNS1_3gpuE8ELNS1_3repE0EEENS1_48merge_mergepath_partition_config_static_selectorELNS0_4arch9wavefront6targetE1EEEvSH_,@function
_ZN7rocprim17ROCPRIM_400000_NS6detail17trampoline_kernelINS0_14default_configENS1_38merge_sort_block_merge_config_selectorIflEEZZNS1_27merge_sort_block_merge_implIS3_PfN6thrust23THRUST_200600_302600_NS10device_ptrIlEEjNS1_19radix_merge_compareILb0ELb0EfNS0_19identity_decomposerEEEEE10hipError_tT0_T1_T2_jT3_P12ihipStream_tbPNSt15iterator_traitsISG_E10value_typeEPNSM_ISH_E10value_typeEPSI_NS1_7vsmem_tEENKUlT_SG_SH_SI_E_clIS7_S7_PlSB_EESF_SV_SG_SH_SI_EUlSV_E_NS1_11comp_targetILNS1_3genE4ELNS1_11target_archE910ELNS1_3gpuE8ELNS1_3repE0EEENS1_48merge_mergepath_partition_config_static_selectorELNS0_4arch9wavefront6targetE1EEEvSH_: ; @_ZN7rocprim17ROCPRIM_400000_NS6detail17trampoline_kernelINS0_14default_configENS1_38merge_sort_block_merge_config_selectorIflEEZZNS1_27merge_sort_block_merge_implIS3_PfN6thrust23THRUST_200600_302600_NS10device_ptrIlEEjNS1_19radix_merge_compareILb0ELb0EfNS0_19identity_decomposerEEEEE10hipError_tT0_T1_T2_jT3_P12ihipStream_tbPNSt15iterator_traitsISG_E10value_typeEPNSM_ISH_E10value_typeEPSI_NS1_7vsmem_tEENKUlT_SG_SH_SI_E_clIS7_S7_PlSB_EESF_SV_SG_SH_SI_EUlSV_E_NS1_11comp_targetILNS1_3genE4ELNS1_11target_archE910ELNS1_3gpuE8ELNS1_3repE0EEENS1_48merge_mergepath_partition_config_static_selectorELNS0_4arch9wavefront6targetE1EEEvSH_
; %bb.0:
	s_load_dword s0, s[4:5], 0x0
	v_lshl_or_b32 v0, s6, 7, v0
	s_waitcnt lgkmcnt(0)
	v_cmp_gt_u32_e32 vcc, s0, v0
	s_and_saveexec_b64 s[0:1], vcc
	s_cbranch_execz .LBB1763_6
; %bb.1:
	s_load_dwordx2 s[2:3], s[4:5], 0x4
	s_load_dwordx2 s[0:1], s[4:5], 0x20
	s_waitcnt lgkmcnt(0)
	s_lshr_b32 s6, s2, 9
	s_and_b32 s6, s6, 0x7ffffe
	s_add_i32 s7, s6, -1
	s_sub_i32 s6, 0, s6
	v_and_b32_e32 v1, s6, v0
	v_lshlrev_b32_e32 v1, 10, v1
	v_min_u32_e32 v2, s3, v1
	v_add_u32_e32 v1, s2, v1
	v_min_u32_e32 v4, s3, v1
	v_add_u32_e32 v1, s2, v4
	v_and_b32_e32 v3, s7, v0
	v_min_u32_e32 v1, s3, v1
	v_sub_u32_e32 v5, v1, v2
	v_lshlrev_b32_e32 v3, 10, v3
	v_min_u32_e32 v6, v5, v3
	v_sub_u32_e32 v3, v4, v2
	v_sub_u32_e32 v1, v1, v4
	v_sub_u32_e64 v1, v6, v1 clamp
	v_min_u32_e32 v7, v6, v3
	v_cmp_lt_u32_e32 vcc, v1, v7
	s_and_saveexec_b64 s[2:3], vcc
	s_cbranch_execz .LBB1763_5
; %bb.2:
	s_load_dwordx2 s[4:5], s[4:5], 0x10
	v_mov_b32_e32 v5, 0
	v_mov_b32_e32 v3, v5
	v_lshlrev_b64 v[8:9], 2, v[2:3]
	v_lshlrev_b64 v[10:11], 2, v[4:5]
	s_waitcnt lgkmcnt(0)
	v_mov_b32_e32 v12, s5
	v_add_co_u32_e32 v3, vcc, s4, v8
	v_addc_co_u32_e32 v8, vcc, v12, v9, vcc
	v_add_co_u32_e32 v9, vcc, s4, v10
	v_addc_co_u32_e32 v10, vcc, v12, v11, vcc
	s_mov_b64 s[4:5], 0
.LBB1763_3:                             ; =>This Inner Loop Header: Depth=1
	v_add_u32_e32 v4, v7, v1
	v_lshrrev_b32_e32 v4, 1, v4
	v_lshlrev_b64 v[14:15], 2, v[4:5]
	v_mov_b32_e32 v13, v5
	v_xad_u32 v12, v4, -1, v6
	v_add_co_u32_e32 v14, vcc, v3, v14
	v_addc_co_u32_e32 v15, vcc, v8, v15, vcc
	v_lshlrev_b64 v[12:13], 2, v[12:13]
	v_add_co_u32_e32 v12, vcc, v9, v12
	v_addc_co_u32_e32 v13, vcc, v10, v13, vcc
	global_load_dword v16, v[14:15], off
	global_load_dword v17, v[12:13], off
	v_add_u32_e32 v11, 1, v4
	s_waitcnt vmcnt(0)
	v_pk_add_f32 v[12:13], v[16:17], 0 op_sel_hi:[1,0]
	v_ashrrev_i32_e32 v14, 31, v13
	v_ashrrev_i32_e32 v15, 31, v12
	v_or_b32_e32 v15, 0x80000000, v15
	v_or_b32_e32 v14, 0x80000000, v14
	v_xor_b32_e32 v13, v14, v13
	v_xor_b32_e32 v12, v15, v12
	v_cmp_gt_u32_e32 vcc, v12, v13
	v_cndmask_b32_e32 v7, v7, v4, vcc
	v_cndmask_b32_e32 v1, v11, v1, vcc
	v_cmp_ge_u32_e32 vcc, v1, v7
	s_or_b64 s[4:5], vcc, s[4:5]
	s_andn2_b64 exec, exec, s[4:5]
	s_cbranch_execnz .LBB1763_3
; %bb.4:
	s_or_b64 exec, exec, s[4:5]
.LBB1763_5:
	s_or_b64 exec, exec, s[2:3]
	v_add_u32_e32 v2, v1, v2
	v_mov_b32_e32 v1, 0
	v_lshlrev_b64 v[0:1], 2, v[0:1]
	v_mov_b32_e32 v3, s1
	v_add_co_u32_e32 v0, vcc, s0, v0
	v_addc_co_u32_e32 v1, vcc, v3, v1, vcc
	global_store_dword v[0:1], v2, off
.LBB1763_6:
	s_endpgm
	.section	.rodata,"a",@progbits
	.p2align	6, 0x0
	.amdhsa_kernel _ZN7rocprim17ROCPRIM_400000_NS6detail17trampoline_kernelINS0_14default_configENS1_38merge_sort_block_merge_config_selectorIflEEZZNS1_27merge_sort_block_merge_implIS3_PfN6thrust23THRUST_200600_302600_NS10device_ptrIlEEjNS1_19radix_merge_compareILb0ELb0EfNS0_19identity_decomposerEEEEE10hipError_tT0_T1_T2_jT3_P12ihipStream_tbPNSt15iterator_traitsISG_E10value_typeEPNSM_ISH_E10value_typeEPSI_NS1_7vsmem_tEENKUlT_SG_SH_SI_E_clIS7_S7_PlSB_EESF_SV_SG_SH_SI_EUlSV_E_NS1_11comp_targetILNS1_3genE4ELNS1_11target_archE910ELNS1_3gpuE8ELNS1_3repE0EEENS1_48merge_mergepath_partition_config_static_selectorELNS0_4arch9wavefront6targetE1EEEvSH_
		.amdhsa_group_segment_fixed_size 0
		.amdhsa_private_segment_fixed_size 0
		.amdhsa_kernarg_size 40
		.amdhsa_user_sgpr_count 6
		.amdhsa_user_sgpr_private_segment_buffer 1
		.amdhsa_user_sgpr_dispatch_ptr 0
		.amdhsa_user_sgpr_queue_ptr 0
		.amdhsa_user_sgpr_kernarg_segment_ptr 1
		.amdhsa_user_sgpr_dispatch_id 0
		.amdhsa_user_sgpr_flat_scratch_init 0
		.amdhsa_user_sgpr_kernarg_preload_length 0
		.amdhsa_user_sgpr_kernarg_preload_offset 0
		.amdhsa_user_sgpr_private_segment_size 0
		.amdhsa_uses_dynamic_stack 0
		.amdhsa_system_sgpr_private_segment_wavefront_offset 0
		.amdhsa_system_sgpr_workgroup_id_x 1
		.amdhsa_system_sgpr_workgroup_id_y 0
		.amdhsa_system_sgpr_workgroup_id_z 0
		.amdhsa_system_sgpr_workgroup_info 0
		.amdhsa_system_vgpr_workitem_id 0
		.amdhsa_next_free_vgpr 18
		.amdhsa_next_free_sgpr 8
		.amdhsa_accum_offset 20
		.amdhsa_reserve_vcc 1
		.amdhsa_reserve_flat_scratch 0
		.amdhsa_float_round_mode_32 0
		.amdhsa_float_round_mode_16_64 0
		.amdhsa_float_denorm_mode_32 3
		.amdhsa_float_denorm_mode_16_64 3
		.amdhsa_dx10_clamp 1
		.amdhsa_ieee_mode 1
		.amdhsa_fp16_overflow 0
		.amdhsa_tg_split 0
		.amdhsa_exception_fp_ieee_invalid_op 0
		.amdhsa_exception_fp_denorm_src 0
		.amdhsa_exception_fp_ieee_div_zero 0
		.amdhsa_exception_fp_ieee_overflow 0
		.amdhsa_exception_fp_ieee_underflow 0
		.amdhsa_exception_fp_ieee_inexact 0
		.amdhsa_exception_int_div_zero 0
	.end_amdhsa_kernel
	.section	.text._ZN7rocprim17ROCPRIM_400000_NS6detail17trampoline_kernelINS0_14default_configENS1_38merge_sort_block_merge_config_selectorIflEEZZNS1_27merge_sort_block_merge_implIS3_PfN6thrust23THRUST_200600_302600_NS10device_ptrIlEEjNS1_19radix_merge_compareILb0ELb0EfNS0_19identity_decomposerEEEEE10hipError_tT0_T1_T2_jT3_P12ihipStream_tbPNSt15iterator_traitsISG_E10value_typeEPNSM_ISH_E10value_typeEPSI_NS1_7vsmem_tEENKUlT_SG_SH_SI_E_clIS7_S7_PlSB_EESF_SV_SG_SH_SI_EUlSV_E_NS1_11comp_targetILNS1_3genE4ELNS1_11target_archE910ELNS1_3gpuE8ELNS1_3repE0EEENS1_48merge_mergepath_partition_config_static_selectorELNS0_4arch9wavefront6targetE1EEEvSH_,"axG",@progbits,_ZN7rocprim17ROCPRIM_400000_NS6detail17trampoline_kernelINS0_14default_configENS1_38merge_sort_block_merge_config_selectorIflEEZZNS1_27merge_sort_block_merge_implIS3_PfN6thrust23THRUST_200600_302600_NS10device_ptrIlEEjNS1_19radix_merge_compareILb0ELb0EfNS0_19identity_decomposerEEEEE10hipError_tT0_T1_T2_jT3_P12ihipStream_tbPNSt15iterator_traitsISG_E10value_typeEPNSM_ISH_E10value_typeEPSI_NS1_7vsmem_tEENKUlT_SG_SH_SI_E_clIS7_S7_PlSB_EESF_SV_SG_SH_SI_EUlSV_E_NS1_11comp_targetILNS1_3genE4ELNS1_11target_archE910ELNS1_3gpuE8ELNS1_3repE0EEENS1_48merge_mergepath_partition_config_static_selectorELNS0_4arch9wavefront6targetE1EEEvSH_,comdat
.Lfunc_end1763:
	.size	_ZN7rocprim17ROCPRIM_400000_NS6detail17trampoline_kernelINS0_14default_configENS1_38merge_sort_block_merge_config_selectorIflEEZZNS1_27merge_sort_block_merge_implIS3_PfN6thrust23THRUST_200600_302600_NS10device_ptrIlEEjNS1_19radix_merge_compareILb0ELb0EfNS0_19identity_decomposerEEEEE10hipError_tT0_T1_T2_jT3_P12ihipStream_tbPNSt15iterator_traitsISG_E10value_typeEPNSM_ISH_E10value_typeEPSI_NS1_7vsmem_tEENKUlT_SG_SH_SI_E_clIS7_S7_PlSB_EESF_SV_SG_SH_SI_EUlSV_E_NS1_11comp_targetILNS1_3genE4ELNS1_11target_archE910ELNS1_3gpuE8ELNS1_3repE0EEENS1_48merge_mergepath_partition_config_static_selectorELNS0_4arch9wavefront6targetE1EEEvSH_, .Lfunc_end1763-_ZN7rocprim17ROCPRIM_400000_NS6detail17trampoline_kernelINS0_14default_configENS1_38merge_sort_block_merge_config_selectorIflEEZZNS1_27merge_sort_block_merge_implIS3_PfN6thrust23THRUST_200600_302600_NS10device_ptrIlEEjNS1_19radix_merge_compareILb0ELb0EfNS0_19identity_decomposerEEEEE10hipError_tT0_T1_T2_jT3_P12ihipStream_tbPNSt15iterator_traitsISG_E10value_typeEPNSM_ISH_E10value_typeEPSI_NS1_7vsmem_tEENKUlT_SG_SH_SI_E_clIS7_S7_PlSB_EESF_SV_SG_SH_SI_EUlSV_E_NS1_11comp_targetILNS1_3genE4ELNS1_11target_archE910ELNS1_3gpuE8ELNS1_3repE0EEENS1_48merge_mergepath_partition_config_static_selectorELNS0_4arch9wavefront6targetE1EEEvSH_
                                        ; -- End function
	.section	.AMDGPU.csdata,"",@progbits
; Kernel info:
; codeLenInByte = 400
; NumSgprs: 12
; NumVgprs: 18
; NumAgprs: 0
; TotalNumVgprs: 18
; ScratchSize: 0
; MemoryBound: 0
; FloatMode: 240
; IeeeMode: 1
; LDSByteSize: 0 bytes/workgroup (compile time only)
; SGPRBlocks: 1
; VGPRBlocks: 2
; NumSGPRsForWavesPerEU: 12
; NumVGPRsForWavesPerEU: 18
; AccumOffset: 20
; Occupancy: 8
; WaveLimiterHint : 0
; COMPUTE_PGM_RSRC2:SCRATCH_EN: 0
; COMPUTE_PGM_RSRC2:USER_SGPR: 6
; COMPUTE_PGM_RSRC2:TRAP_HANDLER: 0
; COMPUTE_PGM_RSRC2:TGID_X_EN: 1
; COMPUTE_PGM_RSRC2:TGID_Y_EN: 0
; COMPUTE_PGM_RSRC2:TGID_Z_EN: 0
; COMPUTE_PGM_RSRC2:TIDIG_COMP_CNT: 0
; COMPUTE_PGM_RSRC3_GFX90A:ACCUM_OFFSET: 4
; COMPUTE_PGM_RSRC3_GFX90A:TG_SPLIT: 0
	.section	.text._ZN7rocprim17ROCPRIM_400000_NS6detail17trampoline_kernelINS0_14default_configENS1_38merge_sort_block_merge_config_selectorIflEEZZNS1_27merge_sort_block_merge_implIS3_PfN6thrust23THRUST_200600_302600_NS10device_ptrIlEEjNS1_19radix_merge_compareILb0ELb0EfNS0_19identity_decomposerEEEEE10hipError_tT0_T1_T2_jT3_P12ihipStream_tbPNSt15iterator_traitsISG_E10value_typeEPNSM_ISH_E10value_typeEPSI_NS1_7vsmem_tEENKUlT_SG_SH_SI_E_clIS7_S7_PlSB_EESF_SV_SG_SH_SI_EUlSV_E_NS1_11comp_targetILNS1_3genE3ELNS1_11target_archE908ELNS1_3gpuE7ELNS1_3repE0EEENS1_48merge_mergepath_partition_config_static_selectorELNS0_4arch9wavefront6targetE1EEEvSH_,"axG",@progbits,_ZN7rocprim17ROCPRIM_400000_NS6detail17trampoline_kernelINS0_14default_configENS1_38merge_sort_block_merge_config_selectorIflEEZZNS1_27merge_sort_block_merge_implIS3_PfN6thrust23THRUST_200600_302600_NS10device_ptrIlEEjNS1_19radix_merge_compareILb0ELb0EfNS0_19identity_decomposerEEEEE10hipError_tT0_T1_T2_jT3_P12ihipStream_tbPNSt15iterator_traitsISG_E10value_typeEPNSM_ISH_E10value_typeEPSI_NS1_7vsmem_tEENKUlT_SG_SH_SI_E_clIS7_S7_PlSB_EESF_SV_SG_SH_SI_EUlSV_E_NS1_11comp_targetILNS1_3genE3ELNS1_11target_archE908ELNS1_3gpuE7ELNS1_3repE0EEENS1_48merge_mergepath_partition_config_static_selectorELNS0_4arch9wavefront6targetE1EEEvSH_,comdat
	.protected	_ZN7rocprim17ROCPRIM_400000_NS6detail17trampoline_kernelINS0_14default_configENS1_38merge_sort_block_merge_config_selectorIflEEZZNS1_27merge_sort_block_merge_implIS3_PfN6thrust23THRUST_200600_302600_NS10device_ptrIlEEjNS1_19radix_merge_compareILb0ELb0EfNS0_19identity_decomposerEEEEE10hipError_tT0_T1_T2_jT3_P12ihipStream_tbPNSt15iterator_traitsISG_E10value_typeEPNSM_ISH_E10value_typeEPSI_NS1_7vsmem_tEENKUlT_SG_SH_SI_E_clIS7_S7_PlSB_EESF_SV_SG_SH_SI_EUlSV_E_NS1_11comp_targetILNS1_3genE3ELNS1_11target_archE908ELNS1_3gpuE7ELNS1_3repE0EEENS1_48merge_mergepath_partition_config_static_selectorELNS0_4arch9wavefront6targetE1EEEvSH_ ; -- Begin function _ZN7rocprim17ROCPRIM_400000_NS6detail17trampoline_kernelINS0_14default_configENS1_38merge_sort_block_merge_config_selectorIflEEZZNS1_27merge_sort_block_merge_implIS3_PfN6thrust23THRUST_200600_302600_NS10device_ptrIlEEjNS1_19radix_merge_compareILb0ELb0EfNS0_19identity_decomposerEEEEE10hipError_tT0_T1_T2_jT3_P12ihipStream_tbPNSt15iterator_traitsISG_E10value_typeEPNSM_ISH_E10value_typeEPSI_NS1_7vsmem_tEENKUlT_SG_SH_SI_E_clIS7_S7_PlSB_EESF_SV_SG_SH_SI_EUlSV_E_NS1_11comp_targetILNS1_3genE3ELNS1_11target_archE908ELNS1_3gpuE7ELNS1_3repE0EEENS1_48merge_mergepath_partition_config_static_selectorELNS0_4arch9wavefront6targetE1EEEvSH_
	.globl	_ZN7rocprim17ROCPRIM_400000_NS6detail17trampoline_kernelINS0_14default_configENS1_38merge_sort_block_merge_config_selectorIflEEZZNS1_27merge_sort_block_merge_implIS3_PfN6thrust23THRUST_200600_302600_NS10device_ptrIlEEjNS1_19radix_merge_compareILb0ELb0EfNS0_19identity_decomposerEEEEE10hipError_tT0_T1_T2_jT3_P12ihipStream_tbPNSt15iterator_traitsISG_E10value_typeEPNSM_ISH_E10value_typeEPSI_NS1_7vsmem_tEENKUlT_SG_SH_SI_E_clIS7_S7_PlSB_EESF_SV_SG_SH_SI_EUlSV_E_NS1_11comp_targetILNS1_3genE3ELNS1_11target_archE908ELNS1_3gpuE7ELNS1_3repE0EEENS1_48merge_mergepath_partition_config_static_selectorELNS0_4arch9wavefront6targetE1EEEvSH_
	.p2align	8
	.type	_ZN7rocprim17ROCPRIM_400000_NS6detail17trampoline_kernelINS0_14default_configENS1_38merge_sort_block_merge_config_selectorIflEEZZNS1_27merge_sort_block_merge_implIS3_PfN6thrust23THRUST_200600_302600_NS10device_ptrIlEEjNS1_19radix_merge_compareILb0ELb0EfNS0_19identity_decomposerEEEEE10hipError_tT0_T1_T2_jT3_P12ihipStream_tbPNSt15iterator_traitsISG_E10value_typeEPNSM_ISH_E10value_typeEPSI_NS1_7vsmem_tEENKUlT_SG_SH_SI_E_clIS7_S7_PlSB_EESF_SV_SG_SH_SI_EUlSV_E_NS1_11comp_targetILNS1_3genE3ELNS1_11target_archE908ELNS1_3gpuE7ELNS1_3repE0EEENS1_48merge_mergepath_partition_config_static_selectorELNS0_4arch9wavefront6targetE1EEEvSH_,@function
_ZN7rocprim17ROCPRIM_400000_NS6detail17trampoline_kernelINS0_14default_configENS1_38merge_sort_block_merge_config_selectorIflEEZZNS1_27merge_sort_block_merge_implIS3_PfN6thrust23THRUST_200600_302600_NS10device_ptrIlEEjNS1_19radix_merge_compareILb0ELb0EfNS0_19identity_decomposerEEEEE10hipError_tT0_T1_T2_jT3_P12ihipStream_tbPNSt15iterator_traitsISG_E10value_typeEPNSM_ISH_E10value_typeEPSI_NS1_7vsmem_tEENKUlT_SG_SH_SI_E_clIS7_S7_PlSB_EESF_SV_SG_SH_SI_EUlSV_E_NS1_11comp_targetILNS1_3genE3ELNS1_11target_archE908ELNS1_3gpuE7ELNS1_3repE0EEENS1_48merge_mergepath_partition_config_static_selectorELNS0_4arch9wavefront6targetE1EEEvSH_: ; @_ZN7rocprim17ROCPRIM_400000_NS6detail17trampoline_kernelINS0_14default_configENS1_38merge_sort_block_merge_config_selectorIflEEZZNS1_27merge_sort_block_merge_implIS3_PfN6thrust23THRUST_200600_302600_NS10device_ptrIlEEjNS1_19radix_merge_compareILb0ELb0EfNS0_19identity_decomposerEEEEE10hipError_tT0_T1_T2_jT3_P12ihipStream_tbPNSt15iterator_traitsISG_E10value_typeEPNSM_ISH_E10value_typeEPSI_NS1_7vsmem_tEENKUlT_SG_SH_SI_E_clIS7_S7_PlSB_EESF_SV_SG_SH_SI_EUlSV_E_NS1_11comp_targetILNS1_3genE3ELNS1_11target_archE908ELNS1_3gpuE7ELNS1_3repE0EEENS1_48merge_mergepath_partition_config_static_selectorELNS0_4arch9wavefront6targetE1EEEvSH_
; %bb.0:
	.section	.rodata,"a",@progbits
	.p2align	6, 0x0
	.amdhsa_kernel _ZN7rocprim17ROCPRIM_400000_NS6detail17trampoline_kernelINS0_14default_configENS1_38merge_sort_block_merge_config_selectorIflEEZZNS1_27merge_sort_block_merge_implIS3_PfN6thrust23THRUST_200600_302600_NS10device_ptrIlEEjNS1_19radix_merge_compareILb0ELb0EfNS0_19identity_decomposerEEEEE10hipError_tT0_T1_T2_jT3_P12ihipStream_tbPNSt15iterator_traitsISG_E10value_typeEPNSM_ISH_E10value_typeEPSI_NS1_7vsmem_tEENKUlT_SG_SH_SI_E_clIS7_S7_PlSB_EESF_SV_SG_SH_SI_EUlSV_E_NS1_11comp_targetILNS1_3genE3ELNS1_11target_archE908ELNS1_3gpuE7ELNS1_3repE0EEENS1_48merge_mergepath_partition_config_static_selectorELNS0_4arch9wavefront6targetE1EEEvSH_
		.amdhsa_group_segment_fixed_size 0
		.amdhsa_private_segment_fixed_size 0
		.amdhsa_kernarg_size 40
		.amdhsa_user_sgpr_count 6
		.amdhsa_user_sgpr_private_segment_buffer 1
		.amdhsa_user_sgpr_dispatch_ptr 0
		.amdhsa_user_sgpr_queue_ptr 0
		.amdhsa_user_sgpr_kernarg_segment_ptr 1
		.amdhsa_user_sgpr_dispatch_id 0
		.amdhsa_user_sgpr_flat_scratch_init 0
		.amdhsa_user_sgpr_kernarg_preload_length 0
		.amdhsa_user_sgpr_kernarg_preload_offset 0
		.amdhsa_user_sgpr_private_segment_size 0
		.amdhsa_uses_dynamic_stack 0
		.amdhsa_system_sgpr_private_segment_wavefront_offset 0
		.amdhsa_system_sgpr_workgroup_id_x 1
		.amdhsa_system_sgpr_workgroup_id_y 0
		.amdhsa_system_sgpr_workgroup_id_z 0
		.amdhsa_system_sgpr_workgroup_info 0
		.amdhsa_system_vgpr_workitem_id 0
		.amdhsa_next_free_vgpr 1
		.amdhsa_next_free_sgpr 0
		.amdhsa_accum_offset 4
		.amdhsa_reserve_vcc 0
		.amdhsa_reserve_flat_scratch 0
		.amdhsa_float_round_mode_32 0
		.amdhsa_float_round_mode_16_64 0
		.amdhsa_float_denorm_mode_32 3
		.amdhsa_float_denorm_mode_16_64 3
		.amdhsa_dx10_clamp 1
		.amdhsa_ieee_mode 1
		.amdhsa_fp16_overflow 0
		.amdhsa_tg_split 0
		.amdhsa_exception_fp_ieee_invalid_op 0
		.amdhsa_exception_fp_denorm_src 0
		.amdhsa_exception_fp_ieee_div_zero 0
		.amdhsa_exception_fp_ieee_overflow 0
		.amdhsa_exception_fp_ieee_underflow 0
		.amdhsa_exception_fp_ieee_inexact 0
		.amdhsa_exception_int_div_zero 0
	.end_amdhsa_kernel
	.section	.text._ZN7rocprim17ROCPRIM_400000_NS6detail17trampoline_kernelINS0_14default_configENS1_38merge_sort_block_merge_config_selectorIflEEZZNS1_27merge_sort_block_merge_implIS3_PfN6thrust23THRUST_200600_302600_NS10device_ptrIlEEjNS1_19radix_merge_compareILb0ELb0EfNS0_19identity_decomposerEEEEE10hipError_tT0_T1_T2_jT3_P12ihipStream_tbPNSt15iterator_traitsISG_E10value_typeEPNSM_ISH_E10value_typeEPSI_NS1_7vsmem_tEENKUlT_SG_SH_SI_E_clIS7_S7_PlSB_EESF_SV_SG_SH_SI_EUlSV_E_NS1_11comp_targetILNS1_3genE3ELNS1_11target_archE908ELNS1_3gpuE7ELNS1_3repE0EEENS1_48merge_mergepath_partition_config_static_selectorELNS0_4arch9wavefront6targetE1EEEvSH_,"axG",@progbits,_ZN7rocprim17ROCPRIM_400000_NS6detail17trampoline_kernelINS0_14default_configENS1_38merge_sort_block_merge_config_selectorIflEEZZNS1_27merge_sort_block_merge_implIS3_PfN6thrust23THRUST_200600_302600_NS10device_ptrIlEEjNS1_19radix_merge_compareILb0ELb0EfNS0_19identity_decomposerEEEEE10hipError_tT0_T1_T2_jT3_P12ihipStream_tbPNSt15iterator_traitsISG_E10value_typeEPNSM_ISH_E10value_typeEPSI_NS1_7vsmem_tEENKUlT_SG_SH_SI_E_clIS7_S7_PlSB_EESF_SV_SG_SH_SI_EUlSV_E_NS1_11comp_targetILNS1_3genE3ELNS1_11target_archE908ELNS1_3gpuE7ELNS1_3repE0EEENS1_48merge_mergepath_partition_config_static_selectorELNS0_4arch9wavefront6targetE1EEEvSH_,comdat
.Lfunc_end1764:
	.size	_ZN7rocprim17ROCPRIM_400000_NS6detail17trampoline_kernelINS0_14default_configENS1_38merge_sort_block_merge_config_selectorIflEEZZNS1_27merge_sort_block_merge_implIS3_PfN6thrust23THRUST_200600_302600_NS10device_ptrIlEEjNS1_19radix_merge_compareILb0ELb0EfNS0_19identity_decomposerEEEEE10hipError_tT0_T1_T2_jT3_P12ihipStream_tbPNSt15iterator_traitsISG_E10value_typeEPNSM_ISH_E10value_typeEPSI_NS1_7vsmem_tEENKUlT_SG_SH_SI_E_clIS7_S7_PlSB_EESF_SV_SG_SH_SI_EUlSV_E_NS1_11comp_targetILNS1_3genE3ELNS1_11target_archE908ELNS1_3gpuE7ELNS1_3repE0EEENS1_48merge_mergepath_partition_config_static_selectorELNS0_4arch9wavefront6targetE1EEEvSH_, .Lfunc_end1764-_ZN7rocprim17ROCPRIM_400000_NS6detail17trampoline_kernelINS0_14default_configENS1_38merge_sort_block_merge_config_selectorIflEEZZNS1_27merge_sort_block_merge_implIS3_PfN6thrust23THRUST_200600_302600_NS10device_ptrIlEEjNS1_19radix_merge_compareILb0ELb0EfNS0_19identity_decomposerEEEEE10hipError_tT0_T1_T2_jT3_P12ihipStream_tbPNSt15iterator_traitsISG_E10value_typeEPNSM_ISH_E10value_typeEPSI_NS1_7vsmem_tEENKUlT_SG_SH_SI_E_clIS7_S7_PlSB_EESF_SV_SG_SH_SI_EUlSV_E_NS1_11comp_targetILNS1_3genE3ELNS1_11target_archE908ELNS1_3gpuE7ELNS1_3repE0EEENS1_48merge_mergepath_partition_config_static_selectorELNS0_4arch9wavefront6targetE1EEEvSH_
                                        ; -- End function
	.section	.AMDGPU.csdata,"",@progbits
; Kernel info:
; codeLenInByte = 0
; NumSgprs: 4
; NumVgprs: 0
; NumAgprs: 0
; TotalNumVgprs: 0
; ScratchSize: 0
; MemoryBound: 0
; FloatMode: 240
; IeeeMode: 1
; LDSByteSize: 0 bytes/workgroup (compile time only)
; SGPRBlocks: 0
; VGPRBlocks: 0
; NumSGPRsForWavesPerEU: 4
; NumVGPRsForWavesPerEU: 1
; AccumOffset: 4
; Occupancy: 8
; WaveLimiterHint : 0
; COMPUTE_PGM_RSRC2:SCRATCH_EN: 0
; COMPUTE_PGM_RSRC2:USER_SGPR: 6
; COMPUTE_PGM_RSRC2:TRAP_HANDLER: 0
; COMPUTE_PGM_RSRC2:TGID_X_EN: 1
; COMPUTE_PGM_RSRC2:TGID_Y_EN: 0
; COMPUTE_PGM_RSRC2:TGID_Z_EN: 0
; COMPUTE_PGM_RSRC2:TIDIG_COMP_CNT: 0
; COMPUTE_PGM_RSRC3_GFX90A:ACCUM_OFFSET: 0
; COMPUTE_PGM_RSRC3_GFX90A:TG_SPLIT: 0
	.section	.text._ZN7rocprim17ROCPRIM_400000_NS6detail17trampoline_kernelINS0_14default_configENS1_38merge_sort_block_merge_config_selectorIflEEZZNS1_27merge_sort_block_merge_implIS3_PfN6thrust23THRUST_200600_302600_NS10device_ptrIlEEjNS1_19radix_merge_compareILb0ELb0EfNS0_19identity_decomposerEEEEE10hipError_tT0_T1_T2_jT3_P12ihipStream_tbPNSt15iterator_traitsISG_E10value_typeEPNSM_ISH_E10value_typeEPSI_NS1_7vsmem_tEENKUlT_SG_SH_SI_E_clIS7_S7_PlSB_EESF_SV_SG_SH_SI_EUlSV_E_NS1_11comp_targetILNS1_3genE2ELNS1_11target_archE906ELNS1_3gpuE6ELNS1_3repE0EEENS1_48merge_mergepath_partition_config_static_selectorELNS0_4arch9wavefront6targetE1EEEvSH_,"axG",@progbits,_ZN7rocprim17ROCPRIM_400000_NS6detail17trampoline_kernelINS0_14default_configENS1_38merge_sort_block_merge_config_selectorIflEEZZNS1_27merge_sort_block_merge_implIS3_PfN6thrust23THRUST_200600_302600_NS10device_ptrIlEEjNS1_19radix_merge_compareILb0ELb0EfNS0_19identity_decomposerEEEEE10hipError_tT0_T1_T2_jT3_P12ihipStream_tbPNSt15iterator_traitsISG_E10value_typeEPNSM_ISH_E10value_typeEPSI_NS1_7vsmem_tEENKUlT_SG_SH_SI_E_clIS7_S7_PlSB_EESF_SV_SG_SH_SI_EUlSV_E_NS1_11comp_targetILNS1_3genE2ELNS1_11target_archE906ELNS1_3gpuE6ELNS1_3repE0EEENS1_48merge_mergepath_partition_config_static_selectorELNS0_4arch9wavefront6targetE1EEEvSH_,comdat
	.protected	_ZN7rocprim17ROCPRIM_400000_NS6detail17trampoline_kernelINS0_14default_configENS1_38merge_sort_block_merge_config_selectorIflEEZZNS1_27merge_sort_block_merge_implIS3_PfN6thrust23THRUST_200600_302600_NS10device_ptrIlEEjNS1_19radix_merge_compareILb0ELb0EfNS0_19identity_decomposerEEEEE10hipError_tT0_T1_T2_jT3_P12ihipStream_tbPNSt15iterator_traitsISG_E10value_typeEPNSM_ISH_E10value_typeEPSI_NS1_7vsmem_tEENKUlT_SG_SH_SI_E_clIS7_S7_PlSB_EESF_SV_SG_SH_SI_EUlSV_E_NS1_11comp_targetILNS1_3genE2ELNS1_11target_archE906ELNS1_3gpuE6ELNS1_3repE0EEENS1_48merge_mergepath_partition_config_static_selectorELNS0_4arch9wavefront6targetE1EEEvSH_ ; -- Begin function _ZN7rocprim17ROCPRIM_400000_NS6detail17trampoline_kernelINS0_14default_configENS1_38merge_sort_block_merge_config_selectorIflEEZZNS1_27merge_sort_block_merge_implIS3_PfN6thrust23THRUST_200600_302600_NS10device_ptrIlEEjNS1_19radix_merge_compareILb0ELb0EfNS0_19identity_decomposerEEEEE10hipError_tT0_T1_T2_jT3_P12ihipStream_tbPNSt15iterator_traitsISG_E10value_typeEPNSM_ISH_E10value_typeEPSI_NS1_7vsmem_tEENKUlT_SG_SH_SI_E_clIS7_S7_PlSB_EESF_SV_SG_SH_SI_EUlSV_E_NS1_11comp_targetILNS1_3genE2ELNS1_11target_archE906ELNS1_3gpuE6ELNS1_3repE0EEENS1_48merge_mergepath_partition_config_static_selectorELNS0_4arch9wavefront6targetE1EEEvSH_
	.globl	_ZN7rocprim17ROCPRIM_400000_NS6detail17trampoline_kernelINS0_14default_configENS1_38merge_sort_block_merge_config_selectorIflEEZZNS1_27merge_sort_block_merge_implIS3_PfN6thrust23THRUST_200600_302600_NS10device_ptrIlEEjNS1_19radix_merge_compareILb0ELb0EfNS0_19identity_decomposerEEEEE10hipError_tT0_T1_T2_jT3_P12ihipStream_tbPNSt15iterator_traitsISG_E10value_typeEPNSM_ISH_E10value_typeEPSI_NS1_7vsmem_tEENKUlT_SG_SH_SI_E_clIS7_S7_PlSB_EESF_SV_SG_SH_SI_EUlSV_E_NS1_11comp_targetILNS1_3genE2ELNS1_11target_archE906ELNS1_3gpuE6ELNS1_3repE0EEENS1_48merge_mergepath_partition_config_static_selectorELNS0_4arch9wavefront6targetE1EEEvSH_
	.p2align	8
	.type	_ZN7rocprim17ROCPRIM_400000_NS6detail17trampoline_kernelINS0_14default_configENS1_38merge_sort_block_merge_config_selectorIflEEZZNS1_27merge_sort_block_merge_implIS3_PfN6thrust23THRUST_200600_302600_NS10device_ptrIlEEjNS1_19radix_merge_compareILb0ELb0EfNS0_19identity_decomposerEEEEE10hipError_tT0_T1_T2_jT3_P12ihipStream_tbPNSt15iterator_traitsISG_E10value_typeEPNSM_ISH_E10value_typeEPSI_NS1_7vsmem_tEENKUlT_SG_SH_SI_E_clIS7_S7_PlSB_EESF_SV_SG_SH_SI_EUlSV_E_NS1_11comp_targetILNS1_3genE2ELNS1_11target_archE906ELNS1_3gpuE6ELNS1_3repE0EEENS1_48merge_mergepath_partition_config_static_selectorELNS0_4arch9wavefront6targetE1EEEvSH_,@function
_ZN7rocprim17ROCPRIM_400000_NS6detail17trampoline_kernelINS0_14default_configENS1_38merge_sort_block_merge_config_selectorIflEEZZNS1_27merge_sort_block_merge_implIS3_PfN6thrust23THRUST_200600_302600_NS10device_ptrIlEEjNS1_19radix_merge_compareILb0ELb0EfNS0_19identity_decomposerEEEEE10hipError_tT0_T1_T2_jT3_P12ihipStream_tbPNSt15iterator_traitsISG_E10value_typeEPNSM_ISH_E10value_typeEPSI_NS1_7vsmem_tEENKUlT_SG_SH_SI_E_clIS7_S7_PlSB_EESF_SV_SG_SH_SI_EUlSV_E_NS1_11comp_targetILNS1_3genE2ELNS1_11target_archE906ELNS1_3gpuE6ELNS1_3repE0EEENS1_48merge_mergepath_partition_config_static_selectorELNS0_4arch9wavefront6targetE1EEEvSH_: ; @_ZN7rocprim17ROCPRIM_400000_NS6detail17trampoline_kernelINS0_14default_configENS1_38merge_sort_block_merge_config_selectorIflEEZZNS1_27merge_sort_block_merge_implIS3_PfN6thrust23THRUST_200600_302600_NS10device_ptrIlEEjNS1_19radix_merge_compareILb0ELb0EfNS0_19identity_decomposerEEEEE10hipError_tT0_T1_T2_jT3_P12ihipStream_tbPNSt15iterator_traitsISG_E10value_typeEPNSM_ISH_E10value_typeEPSI_NS1_7vsmem_tEENKUlT_SG_SH_SI_E_clIS7_S7_PlSB_EESF_SV_SG_SH_SI_EUlSV_E_NS1_11comp_targetILNS1_3genE2ELNS1_11target_archE906ELNS1_3gpuE6ELNS1_3repE0EEENS1_48merge_mergepath_partition_config_static_selectorELNS0_4arch9wavefront6targetE1EEEvSH_
; %bb.0:
	.section	.rodata,"a",@progbits
	.p2align	6, 0x0
	.amdhsa_kernel _ZN7rocprim17ROCPRIM_400000_NS6detail17trampoline_kernelINS0_14default_configENS1_38merge_sort_block_merge_config_selectorIflEEZZNS1_27merge_sort_block_merge_implIS3_PfN6thrust23THRUST_200600_302600_NS10device_ptrIlEEjNS1_19radix_merge_compareILb0ELb0EfNS0_19identity_decomposerEEEEE10hipError_tT0_T1_T2_jT3_P12ihipStream_tbPNSt15iterator_traitsISG_E10value_typeEPNSM_ISH_E10value_typeEPSI_NS1_7vsmem_tEENKUlT_SG_SH_SI_E_clIS7_S7_PlSB_EESF_SV_SG_SH_SI_EUlSV_E_NS1_11comp_targetILNS1_3genE2ELNS1_11target_archE906ELNS1_3gpuE6ELNS1_3repE0EEENS1_48merge_mergepath_partition_config_static_selectorELNS0_4arch9wavefront6targetE1EEEvSH_
		.amdhsa_group_segment_fixed_size 0
		.amdhsa_private_segment_fixed_size 0
		.amdhsa_kernarg_size 40
		.amdhsa_user_sgpr_count 6
		.amdhsa_user_sgpr_private_segment_buffer 1
		.amdhsa_user_sgpr_dispatch_ptr 0
		.amdhsa_user_sgpr_queue_ptr 0
		.amdhsa_user_sgpr_kernarg_segment_ptr 1
		.amdhsa_user_sgpr_dispatch_id 0
		.amdhsa_user_sgpr_flat_scratch_init 0
		.amdhsa_user_sgpr_kernarg_preload_length 0
		.amdhsa_user_sgpr_kernarg_preload_offset 0
		.amdhsa_user_sgpr_private_segment_size 0
		.amdhsa_uses_dynamic_stack 0
		.amdhsa_system_sgpr_private_segment_wavefront_offset 0
		.amdhsa_system_sgpr_workgroup_id_x 1
		.amdhsa_system_sgpr_workgroup_id_y 0
		.amdhsa_system_sgpr_workgroup_id_z 0
		.amdhsa_system_sgpr_workgroup_info 0
		.amdhsa_system_vgpr_workitem_id 0
		.amdhsa_next_free_vgpr 1
		.amdhsa_next_free_sgpr 0
		.amdhsa_accum_offset 4
		.amdhsa_reserve_vcc 0
		.amdhsa_reserve_flat_scratch 0
		.amdhsa_float_round_mode_32 0
		.amdhsa_float_round_mode_16_64 0
		.amdhsa_float_denorm_mode_32 3
		.amdhsa_float_denorm_mode_16_64 3
		.amdhsa_dx10_clamp 1
		.amdhsa_ieee_mode 1
		.amdhsa_fp16_overflow 0
		.amdhsa_tg_split 0
		.amdhsa_exception_fp_ieee_invalid_op 0
		.amdhsa_exception_fp_denorm_src 0
		.amdhsa_exception_fp_ieee_div_zero 0
		.amdhsa_exception_fp_ieee_overflow 0
		.amdhsa_exception_fp_ieee_underflow 0
		.amdhsa_exception_fp_ieee_inexact 0
		.amdhsa_exception_int_div_zero 0
	.end_amdhsa_kernel
	.section	.text._ZN7rocprim17ROCPRIM_400000_NS6detail17trampoline_kernelINS0_14default_configENS1_38merge_sort_block_merge_config_selectorIflEEZZNS1_27merge_sort_block_merge_implIS3_PfN6thrust23THRUST_200600_302600_NS10device_ptrIlEEjNS1_19radix_merge_compareILb0ELb0EfNS0_19identity_decomposerEEEEE10hipError_tT0_T1_T2_jT3_P12ihipStream_tbPNSt15iterator_traitsISG_E10value_typeEPNSM_ISH_E10value_typeEPSI_NS1_7vsmem_tEENKUlT_SG_SH_SI_E_clIS7_S7_PlSB_EESF_SV_SG_SH_SI_EUlSV_E_NS1_11comp_targetILNS1_3genE2ELNS1_11target_archE906ELNS1_3gpuE6ELNS1_3repE0EEENS1_48merge_mergepath_partition_config_static_selectorELNS0_4arch9wavefront6targetE1EEEvSH_,"axG",@progbits,_ZN7rocprim17ROCPRIM_400000_NS6detail17trampoline_kernelINS0_14default_configENS1_38merge_sort_block_merge_config_selectorIflEEZZNS1_27merge_sort_block_merge_implIS3_PfN6thrust23THRUST_200600_302600_NS10device_ptrIlEEjNS1_19radix_merge_compareILb0ELb0EfNS0_19identity_decomposerEEEEE10hipError_tT0_T1_T2_jT3_P12ihipStream_tbPNSt15iterator_traitsISG_E10value_typeEPNSM_ISH_E10value_typeEPSI_NS1_7vsmem_tEENKUlT_SG_SH_SI_E_clIS7_S7_PlSB_EESF_SV_SG_SH_SI_EUlSV_E_NS1_11comp_targetILNS1_3genE2ELNS1_11target_archE906ELNS1_3gpuE6ELNS1_3repE0EEENS1_48merge_mergepath_partition_config_static_selectorELNS0_4arch9wavefront6targetE1EEEvSH_,comdat
.Lfunc_end1765:
	.size	_ZN7rocprim17ROCPRIM_400000_NS6detail17trampoline_kernelINS0_14default_configENS1_38merge_sort_block_merge_config_selectorIflEEZZNS1_27merge_sort_block_merge_implIS3_PfN6thrust23THRUST_200600_302600_NS10device_ptrIlEEjNS1_19radix_merge_compareILb0ELb0EfNS0_19identity_decomposerEEEEE10hipError_tT0_T1_T2_jT3_P12ihipStream_tbPNSt15iterator_traitsISG_E10value_typeEPNSM_ISH_E10value_typeEPSI_NS1_7vsmem_tEENKUlT_SG_SH_SI_E_clIS7_S7_PlSB_EESF_SV_SG_SH_SI_EUlSV_E_NS1_11comp_targetILNS1_3genE2ELNS1_11target_archE906ELNS1_3gpuE6ELNS1_3repE0EEENS1_48merge_mergepath_partition_config_static_selectorELNS0_4arch9wavefront6targetE1EEEvSH_, .Lfunc_end1765-_ZN7rocprim17ROCPRIM_400000_NS6detail17trampoline_kernelINS0_14default_configENS1_38merge_sort_block_merge_config_selectorIflEEZZNS1_27merge_sort_block_merge_implIS3_PfN6thrust23THRUST_200600_302600_NS10device_ptrIlEEjNS1_19radix_merge_compareILb0ELb0EfNS0_19identity_decomposerEEEEE10hipError_tT0_T1_T2_jT3_P12ihipStream_tbPNSt15iterator_traitsISG_E10value_typeEPNSM_ISH_E10value_typeEPSI_NS1_7vsmem_tEENKUlT_SG_SH_SI_E_clIS7_S7_PlSB_EESF_SV_SG_SH_SI_EUlSV_E_NS1_11comp_targetILNS1_3genE2ELNS1_11target_archE906ELNS1_3gpuE6ELNS1_3repE0EEENS1_48merge_mergepath_partition_config_static_selectorELNS0_4arch9wavefront6targetE1EEEvSH_
                                        ; -- End function
	.section	.AMDGPU.csdata,"",@progbits
; Kernel info:
; codeLenInByte = 0
; NumSgprs: 4
; NumVgprs: 0
; NumAgprs: 0
; TotalNumVgprs: 0
; ScratchSize: 0
; MemoryBound: 0
; FloatMode: 240
; IeeeMode: 1
; LDSByteSize: 0 bytes/workgroup (compile time only)
; SGPRBlocks: 0
; VGPRBlocks: 0
; NumSGPRsForWavesPerEU: 4
; NumVGPRsForWavesPerEU: 1
; AccumOffset: 4
; Occupancy: 8
; WaveLimiterHint : 0
; COMPUTE_PGM_RSRC2:SCRATCH_EN: 0
; COMPUTE_PGM_RSRC2:USER_SGPR: 6
; COMPUTE_PGM_RSRC2:TRAP_HANDLER: 0
; COMPUTE_PGM_RSRC2:TGID_X_EN: 1
; COMPUTE_PGM_RSRC2:TGID_Y_EN: 0
; COMPUTE_PGM_RSRC2:TGID_Z_EN: 0
; COMPUTE_PGM_RSRC2:TIDIG_COMP_CNT: 0
; COMPUTE_PGM_RSRC3_GFX90A:ACCUM_OFFSET: 0
; COMPUTE_PGM_RSRC3_GFX90A:TG_SPLIT: 0
	.section	.text._ZN7rocprim17ROCPRIM_400000_NS6detail17trampoline_kernelINS0_14default_configENS1_38merge_sort_block_merge_config_selectorIflEEZZNS1_27merge_sort_block_merge_implIS3_PfN6thrust23THRUST_200600_302600_NS10device_ptrIlEEjNS1_19radix_merge_compareILb0ELb0EfNS0_19identity_decomposerEEEEE10hipError_tT0_T1_T2_jT3_P12ihipStream_tbPNSt15iterator_traitsISG_E10value_typeEPNSM_ISH_E10value_typeEPSI_NS1_7vsmem_tEENKUlT_SG_SH_SI_E_clIS7_S7_PlSB_EESF_SV_SG_SH_SI_EUlSV_E_NS1_11comp_targetILNS1_3genE9ELNS1_11target_archE1100ELNS1_3gpuE3ELNS1_3repE0EEENS1_48merge_mergepath_partition_config_static_selectorELNS0_4arch9wavefront6targetE1EEEvSH_,"axG",@progbits,_ZN7rocprim17ROCPRIM_400000_NS6detail17trampoline_kernelINS0_14default_configENS1_38merge_sort_block_merge_config_selectorIflEEZZNS1_27merge_sort_block_merge_implIS3_PfN6thrust23THRUST_200600_302600_NS10device_ptrIlEEjNS1_19radix_merge_compareILb0ELb0EfNS0_19identity_decomposerEEEEE10hipError_tT0_T1_T2_jT3_P12ihipStream_tbPNSt15iterator_traitsISG_E10value_typeEPNSM_ISH_E10value_typeEPSI_NS1_7vsmem_tEENKUlT_SG_SH_SI_E_clIS7_S7_PlSB_EESF_SV_SG_SH_SI_EUlSV_E_NS1_11comp_targetILNS1_3genE9ELNS1_11target_archE1100ELNS1_3gpuE3ELNS1_3repE0EEENS1_48merge_mergepath_partition_config_static_selectorELNS0_4arch9wavefront6targetE1EEEvSH_,comdat
	.protected	_ZN7rocprim17ROCPRIM_400000_NS6detail17trampoline_kernelINS0_14default_configENS1_38merge_sort_block_merge_config_selectorIflEEZZNS1_27merge_sort_block_merge_implIS3_PfN6thrust23THRUST_200600_302600_NS10device_ptrIlEEjNS1_19radix_merge_compareILb0ELb0EfNS0_19identity_decomposerEEEEE10hipError_tT0_T1_T2_jT3_P12ihipStream_tbPNSt15iterator_traitsISG_E10value_typeEPNSM_ISH_E10value_typeEPSI_NS1_7vsmem_tEENKUlT_SG_SH_SI_E_clIS7_S7_PlSB_EESF_SV_SG_SH_SI_EUlSV_E_NS1_11comp_targetILNS1_3genE9ELNS1_11target_archE1100ELNS1_3gpuE3ELNS1_3repE0EEENS1_48merge_mergepath_partition_config_static_selectorELNS0_4arch9wavefront6targetE1EEEvSH_ ; -- Begin function _ZN7rocprim17ROCPRIM_400000_NS6detail17trampoline_kernelINS0_14default_configENS1_38merge_sort_block_merge_config_selectorIflEEZZNS1_27merge_sort_block_merge_implIS3_PfN6thrust23THRUST_200600_302600_NS10device_ptrIlEEjNS1_19radix_merge_compareILb0ELb0EfNS0_19identity_decomposerEEEEE10hipError_tT0_T1_T2_jT3_P12ihipStream_tbPNSt15iterator_traitsISG_E10value_typeEPNSM_ISH_E10value_typeEPSI_NS1_7vsmem_tEENKUlT_SG_SH_SI_E_clIS7_S7_PlSB_EESF_SV_SG_SH_SI_EUlSV_E_NS1_11comp_targetILNS1_3genE9ELNS1_11target_archE1100ELNS1_3gpuE3ELNS1_3repE0EEENS1_48merge_mergepath_partition_config_static_selectorELNS0_4arch9wavefront6targetE1EEEvSH_
	.globl	_ZN7rocprim17ROCPRIM_400000_NS6detail17trampoline_kernelINS0_14default_configENS1_38merge_sort_block_merge_config_selectorIflEEZZNS1_27merge_sort_block_merge_implIS3_PfN6thrust23THRUST_200600_302600_NS10device_ptrIlEEjNS1_19radix_merge_compareILb0ELb0EfNS0_19identity_decomposerEEEEE10hipError_tT0_T1_T2_jT3_P12ihipStream_tbPNSt15iterator_traitsISG_E10value_typeEPNSM_ISH_E10value_typeEPSI_NS1_7vsmem_tEENKUlT_SG_SH_SI_E_clIS7_S7_PlSB_EESF_SV_SG_SH_SI_EUlSV_E_NS1_11comp_targetILNS1_3genE9ELNS1_11target_archE1100ELNS1_3gpuE3ELNS1_3repE0EEENS1_48merge_mergepath_partition_config_static_selectorELNS0_4arch9wavefront6targetE1EEEvSH_
	.p2align	8
	.type	_ZN7rocprim17ROCPRIM_400000_NS6detail17trampoline_kernelINS0_14default_configENS1_38merge_sort_block_merge_config_selectorIflEEZZNS1_27merge_sort_block_merge_implIS3_PfN6thrust23THRUST_200600_302600_NS10device_ptrIlEEjNS1_19radix_merge_compareILb0ELb0EfNS0_19identity_decomposerEEEEE10hipError_tT0_T1_T2_jT3_P12ihipStream_tbPNSt15iterator_traitsISG_E10value_typeEPNSM_ISH_E10value_typeEPSI_NS1_7vsmem_tEENKUlT_SG_SH_SI_E_clIS7_S7_PlSB_EESF_SV_SG_SH_SI_EUlSV_E_NS1_11comp_targetILNS1_3genE9ELNS1_11target_archE1100ELNS1_3gpuE3ELNS1_3repE0EEENS1_48merge_mergepath_partition_config_static_selectorELNS0_4arch9wavefront6targetE1EEEvSH_,@function
_ZN7rocprim17ROCPRIM_400000_NS6detail17trampoline_kernelINS0_14default_configENS1_38merge_sort_block_merge_config_selectorIflEEZZNS1_27merge_sort_block_merge_implIS3_PfN6thrust23THRUST_200600_302600_NS10device_ptrIlEEjNS1_19radix_merge_compareILb0ELb0EfNS0_19identity_decomposerEEEEE10hipError_tT0_T1_T2_jT3_P12ihipStream_tbPNSt15iterator_traitsISG_E10value_typeEPNSM_ISH_E10value_typeEPSI_NS1_7vsmem_tEENKUlT_SG_SH_SI_E_clIS7_S7_PlSB_EESF_SV_SG_SH_SI_EUlSV_E_NS1_11comp_targetILNS1_3genE9ELNS1_11target_archE1100ELNS1_3gpuE3ELNS1_3repE0EEENS1_48merge_mergepath_partition_config_static_selectorELNS0_4arch9wavefront6targetE1EEEvSH_: ; @_ZN7rocprim17ROCPRIM_400000_NS6detail17trampoline_kernelINS0_14default_configENS1_38merge_sort_block_merge_config_selectorIflEEZZNS1_27merge_sort_block_merge_implIS3_PfN6thrust23THRUST_200600_302600_NS10device_ptrIlEEjNS1_19radix_merge_compareILb0ELb0EfNS0_19identity_decomposerEEEEE10hipError_tT0_T1_T2_jT3_P12ihipStream_tbPNSt15iterator_traitsISG_E10value_typeEPNSM_ISH_E10value_typeEPSI_NS1_7vsmem_tEENKUlT_SG_SH_SI_E_clIS7_S7_PlSB_EESF_SV_SG_SH_SI_EUlSV_E_NS1_11comp_targetILNS1_3genE9ELNS1_11target_archE1100ELNS1_3gpuE3ELNS1_3repE0EEENS1_48merge_mergepath_partition_config_static_selectorELNS0_4arch9wavefront6targetE1EEEvSH_
; %bb.0:
	.section	.rodata,"a",@progbits
	.p2align	6, 0x0
	.amdhsa_kernel _ZN7rocprim17ROCPRIM_400000_NS6detail17trampoline_kernelINS0_14default_configENS1_38merge_sort_block_merge_config_selectorIflEEZZNS1_27merge_sort_block_merge_implIS3_PfN6thrust23THRUST_200600_302600_NS10device_ptrIlEEjNS1_19radix_merge_compareILb0ELb0EfNS0_19identity_decomposerEEEEE10hipError_tT0_T1_T2_jT3_P12ihipStream_tbPNSt15iterator_traitsISG_E10value_typeEPNSM_ISH_E10value_typeEPSI_NS1_7vsmem_tEENKUlT_SG_SH_SI_E_clIS7_S7_PlSB_EESF_SV_SG_SH_SI_EUlSV_E_NS1_11comp_targetILNS1_3genE9ELNS1_11target_archE1100ELNS1_3gpuE3ELNS1_3repE0EEENS1_48merge_mergepath_partition_config_static_selectorELNS0_4arch9wavefront6targetE1EEEvSH_
		.amdhsa_group_segment_fixed_size 0
		.amdhsa_private_segment_fixed_size 0
		.amdhsa_kernarg_size 40
		.amdhsa_user_sgpr_count 6
		.amdhsa_user_sgpr_private_segment_buffer 1
		.amdhsa_user_sgpr_dispatch_ptr 0
		.amdhsa_user_sgpr_queue_ptr 0
		.amdhsa_user_sgpr_kernarg_segment_ptr 1
		.amdhsa_user_sgpr_dispatch_id 0
		.amdhsa_user_sgpr_flat_scratch_init 0
		.amdhsa_user_sgpr_kernarg_preload_length 0
		.amdhsa_user_sgpr_kernarg_preload_offset 0
		.amdhsa_user_sgpr_private_segment_size 0
		.amdhsa_uses_dynamic_stack 0
		.amdhsa_system_sgpr_private_segment_wavefront_offset 0
		.amdhsa_system_sgpr_workgroup_id_x 1
		.amdhsa_system_sgpr_workgroup_id_y 0
		.amdhsa_system_sgpr_workgroup_id_z 0
		.amdhsa_system_sgpr_workgroup_info 0
		.amdhsa_system_vgpr_workitem_id 0
		.amdhsa_next_free_vgpr 1
		.amdhsa_next_free_sgpr 0
		.amdhsa_accum_offset 4
		.amdhsa_reserve_vcc 0
		.amdhsa_reserve_flat_scratch 0
		.amdhsa_float_round_mode_32 0
		.amdhsa_float_round_mode_16_64 0
		.amdhsa_float_denorm_mode_32 3
		.amdhsa_float_denorm_mode_16_64 3
		.amdhsa_dx10_clamp 1
		.amdhsa_ieee_mode 1
		.amdhsa_fp16_overflow 0
		.amdhsa_tg_split 0
		.amdhsa_exception_fp_ieee_invalid_op 0
		.amdhsa_exception_fp_denorm_src 0
		.amdhsa_exception_fp_ieee_div_zero 0
		.amdhsa_exception_fp_ieee_overflow 0
		.amdhsa_exception_fp_ieee_underflow 0
		.amdhsa_exception_fp_ieee_inexact 0
		.amdhsa_exception_int_div_zero 0
	.end_amdhsa_kernel
	.section	.text._ZN7rocprim17ROCPRIM_400000_NS6detail17trampoline_kernelINS0_14default_configENS1_38merge_sort_block_merge_config_selectorIflEEZZNS1_27merge_sort_block_merge_implIS3_PfN6thrust23THRUST_200600_302600_NS10device_ptrIlEEjNS1_19radix_merge_compareILb0ELb0EfNS0_19identity_decomposerEEEEE10hipError_tT0_T1_T2_jT3_P12ihipStream_tbPNSt15iterator_traitsISG_E10value_typeEPNSM_ISH_E10value_typeEPSI_NS1_7vsmem_tEENKUlT_SG_SH_SI_E_clIS7_S7_PlSB_EESF_SV_SG_SH_SI_EUlSV_E_NS1_11comp_targetILNS1_3genE9ELNS1_11target_archE1100ELNS1_3gpuE3ELNS1_3repE0EEENS1_48merge_mergepath_partition_config_static_selectorELNS0_4arch9wavefront6targetE1EEEvSH_,"axG",@progbits,_ZN7rocprim17ROCPRIM_400000_NS6detail17trampoline_kernelINS0_14default_configENS1_38merge_sort_block_merge_config_selectorIflEEZZNS1_27merge_sort_block_merge_implIS3_PfN6thrust23THRUST_200600_302600_NS10device_ptrIlEEjNS1_19radix_merge_compareILb0ELb0EfNS0_19identity_decomposerEEEEE10hipError_tT0_T1_T2_jT3_P12ihipStream_tbPNSt15iterator_traitsISG_E10value_typeEPNSM_ISH_E10value_typeEPSI_NS1_7vsmem_tEENKUlT_SG_SH_SI_E_clIS7_S7_PlSB_EESF_SV_SG_SH_SI_EUlSV_E_NS1_11comp_targetILNS1_3genE9ELNS1_11target_archE1100ELNS1_3gpuE3ELNS1_3repE0EEENS1_48merge_mergepath_partition_config_static_selectorELNS0_4arch9wavefront6targetE1EEEvSH_,comdat
.Lfunc_end1766:
	.size	_ZN7rocprim17ROCPRIM_400000_NS6detail17trampoline_kernelINS0_14default_configENS1_38merge_sort_block_merge_config_selectorIflEEZZNS1_27merge_sort_block_merge_implIS3_PfN6thrust23THRUST_200600_302600_NS10device_ptrIlEEjNS1_19radix_merge_compareILb0ELb0EfNS0_19identity_decomposerEEEEE10hipError_tT0_T1_T2_jT3_P12ihipStream_tbPNSt15iterator_traitsISG_E10value_typeEPNSM_ISH_E10value_typeEPSI_NS1_7vsmem_tEENKUlT_SG_SH_SI_E_clIS7_S7_PlSB_EESF_SV_SG_SH_SI_EUlSV_E_NS1_11comp_targetILNS1_3genE9ELNS1_11target_archE1100ELNS1_3gpuE3ELNS1_3repE0EEENS1_48merge_mergepath_partition_config_static_selectorELNS0_4arch9wavefront6targetE1EEEvSH_, .Lfunc_end1766-_ZN7rocprim17ROCPRIM_400000_NS6detail17trampoline_kernelINS0_14default_configENS1_38merge_sort_block_merge_config_selectorIflEEZZNS1_27merge_sort_block_merge_implIS3_PfN6thrust23THRUST_200600_302600_NS10device_ptrIlEEjNS1_19radix_merge_compareILb0ELb0EfNS0_19identity_decomposerEEEEE10hipError_tT0_T1_T2_jT3_P12ihipStream_tbPNSt15iterator_traitsISG_E10value_typeEPNSM_ISH_E10value_typeEPSI_NS1_7vsmem_tEENKUlT_SG_SH_SI_E_clIS7_S7_PlSB_EESF_SV_SG_SH_SI_EUlSV_E_NS1_11comp_targetILNS1_3genE9ELNS1_11target_archE1100ELNS1_3gpuE3ELNS1_3repE0EEENS1_48merge_mergepath_partition_config_static_selectorELNS0_4arch9wavefront6targetE1EEEvSH_
                                        ; -- End function
	.section	.AMDGPU.csdata,"",@progbits
; Kernel info:
; codeLenInByte = 0
; NumSgprs: 4
; NumVgprs: 0
; NumAgprs: 0
; TotalNumVgprs: 0
; ScratchSize: 0
; MemoryBound: 0
; FloatMode: 240
; IeeeMode: 1
; LDSByteSize: 0 bytes/workgroup (compile time only)
; SGPRBlocks: 0
; VGPRBlocks: 0
; NumSGPRsForWavesPerEU: 4
; NumVGPRsForWavesPerEU: 1
; AccumOffset: 4
; Occupancy: 8
; WaveLimiterHint : 0
; COMPUTE_PGM_RSRC2:SCRATCH_EN: 0
; COMPUTE_PGM_RSRC2:USER_SGPR: 6
; COMPUTE_PGM_RSRC2:TRAP_HANDLER: 0
; COMPUTE_PGM_RSRC2:TGID_X_EN: 1
; COMPUTE_PGM_RSRC2:TGID_Y_EN: 0
; COMPUTE_PGM_RSRC2:TGID_Z_EN: 0
; COMPUTE_PGM_RSRC2:TIDIG_COMP_CNT: 0
; COMPUTE_PGM_RSRC3_GFX90A:ACCUM_OFFSET: 0
; COMPUTE_PGM_RSRC3_GFX90A:TG_SPLIT: 0
	.section	.text._ZN7rocprim17ROCPRIM_400000_NS6detail17trampoline_kernelINS0_14default_configENS1_38merge_sort_block_merge_config_selectorIflEEZZNS1_27merge_sort_block_merge_implIS3_PfN6thrust23THRUST_200600_302600_NS10device_ptrIlEEjNS1_19radix_merge_compareILb0ELb0EfNS0_19identity_decomposerEEEEE10hipError_tT0_T1_T2_jT3_P12ihipStream_tbPNSt15iterator_traitsISG_E10value_typeEPNSM_ISH_E10value_typeEPSI_NS1_7vsmem_tEENKUlT_SG_SH_SI_E_clIS7_S7_PlSB_EESF_SV_SG_SH_SI_EUlSV_E_NS1_11comp_targetILNS1_3genE8ELNS1_11target_archE1030ELNS1_3gpuE2ELNS1_3repE0EEENS1_48merge_mergepath_partition_config_static_selectorELNS0_4arch9wavefront6targetE1EEEvSH_,"axG",@progbits,_ZN7rocprim17ROCPRIM_400000_NS6detail17trampoline_kernelINS0_14default_configENS1_38merge_sort_block_merge_config_selectorIflEEZZNS1_27merge_sort_block_merge_implIS3_PfN6thrust23THRUST_200600_302600_NS10device_ptrIlEEjNS1_19radix_merge_compareILb0ELb0EfNS0_19identity_decomposerEEEEE10hipError_tT0_T1_T2_jT3_P12ihipStream_tbPNSt15iterator_traitsISG_E10value_typeEPNSM_ISH_E10value_typeEPSI_NS1_7vsmem_tEENKUlT_SG_SH_SI_E_clIS7_S7_PlSB_EESF_SV_SG_SH_SI_EUlSV_E_NS1_11comp_targetILNS1_3genE8ELNS1_11target_archE1030ELNS1_3gpuE2ELNS1_3repE0EEENS1_48merge_mergepath_partition_config_static_selectorELNS0_4arch9wavefront6targetE1EEEvSH_,comdat
	.protected	_ZN7rocprim17ROCPRIM_400000_NS6detail17trampoline_kernelINS0_14default_configENS1_38merge_sort_block_merge_config_selectorIflEEZZNS1_27merge_sort_block_merge_implIS3_PfN6thrust23THRUST_200600_302600_NS10device_ptrIlEEjNS1_19radix_merge_compareILb0ELb0EfNS0_19identity_decomposerEEEEE10hipError_tT0_T1_T2_jT3_P12ihipStream_tbPNSt15iterator_traitsISG_E10value_typeEPNSM_ISH_E10value_typeEPSI_NS1_7vsmem_tEENKUlT_SG_SH_SI_E_clIS7_S7_PlSB_EESF_SV_SG_SH_SI_EUlSV_E_NS1_11comp_targetILNS1_3genE8ELNS1_11target_archE1030ELNS1_3gpuE2ELNS1_3repE0EEENS1_48merge_mergepath_partition_config_static_selectorELNS0_4arch9wavefront6targetE1EEEvSH_ ; -- Begin function _ZN7rocprim17ROCPRIM_400000_NS6detail17trampoline_kernelINS0_14default_configENS1_38merge_sort_block_merge_config_selectorIflEEZZNS1_27merge_sort_block_merge_implIS3_PfN6thrust23THRUST_200600_302600_NS10device_ptrIlEEjNS1_19radix_merge_compareILb0ELb0EfNS0_19identity_decomposerEEEEE10hipError_tT0_T1_T2_jT3_P12ihipStream_tbPNSt15iterator_traitsISG_E10value_typeEPNSM_ISH_E10value_typeEPSI_NS1_7vsmem_tEENKUlT_SG_SH_SI_E_clIS7_S7_PlSB_EESF_SV_SG_SH_SI_EUlSV_E_NS1_11comp_targetILNS1_3genE8ELNS1_11target_archE1030ELNS1_3gpuE2ELNS1_3repE0EEENS1_48merge_mergepath_partition_config_static_selectorELNS0_4arch9wavefront6targetE1EEEvSH_
	.globl	_ZN7rocprim17ROCPRIM_400000_NS6detail17trampoline_kernelINS0_14default_configENS1_38merge_sort_block_merge_config_selectorIflEEZZNS1_27merge_sort_block_merge_implIS3_PfN6thrust23THRUST_200600_302600_NS10device_ptrIlEEjNS1_19radix_merge_compareILb0ELb0EfNS0_19identity_decomposerEEEEE10hipError_tT0_T1_T2_jT3_P12ihipStream_tbPNSt15iterator_traitsISG_E10value_typeEPNSM_ISH_E10value_typeEPSI_NS1_7vsmem_tEENKUlT_SG_SH_SI_E_clIS7_S7_PlSB_EESF_SV_SG_SH_SI_EUlSV_E_NS1_11comp_targetILNS1_3genE8ELNS1_11target_archE1030ELNS1_3gpuE2ELNS1_3repE0EEENS1_48merge_mergepath_partition_config_static_selectorELNS0_4arch9wavefront6targetE1EEEvSH_
	.p2align	8
	.type	_ZN7rocprim17ROCPRIM_400000_NS6detail17trampoline_kernelINS0_14default_configENS1_38merge_sort_block_merge_config_selectorIflEEZZNS1_27merge_sort_block_merge_implIS3_PfN6thrust23THRUST_200600_302600_NS10device_ptrIlEEjNS1_19radix_merge_compareILb0ELb0EfNS0_19identity_decomposerEEEEE10hipError_tT0_T1_T2_jT3_P12ihipStream_tbPNSt15iterator_traitsISG_E10value_typeEPNSM_ISH_E10value_typeEPSI_NS1_7vsmem_tEENKUlT_SG_SH_SI_E_clIS7_S7_PlSB_EESF_SV_SG_SH_SI_EUlSV_E_NS1_11comp_targetILNS1_3genE8ELNS1_11target_archE1030ELNS1_3gpuE2ELNS1_3repE0EEENS1_48merge_mergepath_partition_config_static_selectorELNS0_4arch9wavefront6targetE1EEEvSH_,@function
_ZN7rocprim17ROCPRIM_400000_NS6detail17trampoline_kernelINS0_14default_configENS1_38merge_sort_block_merge_config_selectorIflEEZZNS1_27merge_sort_block_merge_implIS3_PfN6thrust23THRUST_200600_302600_NS10device_ptrIlEEjNS1_19radix_merge_compareILb0ELb0EfNS0_19identity_decomposerEEEEE10hipError_tT0_T1_T2_jT3_P12ihipStream_tbPNSt15iterator_traitsISG_E10value_typeEPNSM_ISH_E10value_typeEPSI_NS1_7vsmem_tEENKUlT_SG_SH_SI_E_clIS7_S7_PlSB_EESF_SV_SG_SH_SI_EUlSV_E_NS1_11comp_targetILNS1_3genE8ELNS1_11target_archE1030ELNS1_3gpuE2ELNS1_3repE0EEENS1_48merge_mergepath_partition_config_static_selectorELNS0_4arch9wavefront6targetE1EEEvSH_: ; @_ZN7rocprim17ROCPRIM_400000_NS6detail17trampoline_kernelINS0_14default_configENS1_38merge_sort_block_merge_config_selectorIflEEZZNS1_27merge_sort_block_merge_implIS3_PfN6thrust23THRUST_200600_302600_NS10device_ptrIlEEjNS1_19radix_merge_compareILb0ELb0EfNS0_19identity_decomposerEEEEE10hipError_tT0_T1_T2_jT3_P12ihipStream_tbPNSt15iterator_traitsISG_E10value_typeEPNSM_ISH_E10value_typeEPSI_NS1_7vsmem_tEENKUlT_SG_SH_SI_E_clIS7_S7_PlSB_EESF_SV_SG_SH_SI_EUlSV_E_NS1_11comp_targetILNS1_3genE8ELNS1_11target_archE1030ELNS1_3gpuE2ELNS1_3repE0EEENS1_48merge_mergepath_partition_config_static_selectorELNS0_4arch9wavefront6targetE1EEEvSH_
; %bb.0:
	.section	.rodata,"a",@progbits
	.p2align	6, 0x0
	.amdhsa_kernel _ZN7rocprim17ROCPRIM_400000_NS6detail17trampoline_kernelINS0_14default_configENS1_38merge_sort_block_merge_config_selectorIflEEZZNS1_27merge_sort_block_merge_implIS3_PfN6thrust23THRUST_200600_302600_NS10device_ptrIlEEjNS1_19radix_merge_compareILb0ELb0EfNS0_19identity_decomposerEEEEE10hipError_tT0_T1_T2_jT3_P12ihipStream_tbPNSt15iterator_traitsISG_E10value_typeEPNSM_ISH_E10value_typeEPSI_NS1_7vsmem_tEENKUlT_SG_SH_SI_E_clIS7_S7_PlSB_EESF_SV_SG_SH_SI_EUlSV_E_NS1_11comp_targetILNS1_3genE8ELNS1_11target_archE1030ELNS1_3gpuE2ELNS1_3repE0EEENS1_48merge_mergepath_partition_config_static_selectorELNS0_4arch9wavefront6targetE1EEEvSH_
		.amdhsa_group_segment_fixed_size 0
		.amdhsa_private_segment_fixed_size 0
		.amdhsa_kernarg_size 40
		.amdhsa_user_sgpr_count 6
		.amdhsa_user_sgpr_private_segment_buffer 1
		.amdhsa_user_sgpr_dispatch_ptr 0
		.amdhsa_user_sgpr_queue_ptr 0
		.amdhsa_user_sgpr_kernarg_segment_ptr 1
		.amdhsa_user_sgpr_dispatch_id 0
		.amdhsa_user_sgpr_flat_scratch_init 0
		.amdhsa_user_sgpr_kernarg_preload_length 0
		.amdhsa_user_sgpr_kernarg_preload_offset 0
		.amdhsa_user_sgpr_private_segment_size 0
		.amdhsa_uses_dynamic_stack 0
		.amdhsa_system_sgpr_private_segment_wavefront_offset 0
		.amdhsa_system_sgpr_workgroup_id_x 1
		.amdhsa_system_sgpr_workgroup_id_y 0
		.amdhsa_system_sgpr_workgroup_id_z 0
		.amdhsa_system_sgpr_workgroup_info 0
		.amdhsa_system_vgpr_workitem_id 0
		.amdhsa_next_free_vgpr 1
		.amdhsa_next_free_sgpr 0
		.amdhsa_accum_offset 4
		.amdhsa_reserve_vcc 0
		.amdhsa_reserve_flat_scratch 0
		.amdhsa_float_round_mode_32 0
		.amdhsa_float_round_mode_16_64 0
		.amdhsa_float_denorm_mode_32 3
		.amdhsa_float_denorm_mode_16_64 3
		.amdhsa_dx10_clamp 1
		.amdhsa_ieee_mode 1
		.amdhsa_fp16_overflow 0
		.amdhsa_tg_split 0
		.amdhsa_exception_fp_ieee_invalid_op 0
		.amdhsa_exception_fp_denorm_src 0
		.amdhsa_exception_fp_ieee_div_zero 0
		.amdhsa_exception_fp_ieee_overflow 0
		.amdhsa_exception_fp_ieee_underflow 0
		.amdhsa_exception_fp_ieee_inexact 0
		.amdhsa_exception_int_div_zero 0
	.end_amdhsa_kernel
	.section	.text._ZN7rocprim17ROCPRIM_400000_NS6detail17trampoline_kernelINS0_14default_configENS1_38merge_sort_block_merge_config_selectorIflEEZZNS1_27merge_sort_block_merge_implIS3_PfN6thrust23THRUST_200600_302600_NS10device_ptrIlEEjNS1_19radix_merge_compareILb0ELb0EfNS0_19identity_decomposerEEEEE10hipError_tT0_T1_T2_jT3_P12ihipStream_tbPNSt15iterator_traitsISG_E10value_typeEPNSM_ISH_E10value_typeEPSI_NS1_7vsmem_tEENKUlT_SG_SH_SI_E_clIS7_S7_PlSB_EESF_SV_SG_SH_SI_EUlSV_E_NS1_11comp_targetILNS1_3genE8ELNS1_11target_archE1030ELNS1_3gpuE2ELNS1_3repE0EEENS1_48merge_mergepath_partition_config_static_selectorELNS0_4arch9wavefront6targetE1EEEvSH_,"axG",@progbits,_ZN7rocprim17ROCPRIM_400000_NS6detail17trampoline_kernelINS0_14default_configENS1_38merge_sort_block_merge_config_selectorIflEEZZNS1_27merge_sort_block_merge_implIS3_PfN6thrust23THRUST_200600_302600_NS10device_ptrIlEEjNS1_19radix_merge_compareILb0ELb0EfNS0_19identity_decomposerEEEEE10hipError_tT0_T1_T2_jT3_P12ihipStream_tbPNSt15iterator_traitsISG_E10value_typeEPNSM_ISH_E10value_typeEPSI_NS1_7vsmem_tEENKUlT_SG_SH_SI_E_clIS7_S7_PlSB_EESF_SV_SG_SH_SI_EUlSV_E_NS1_11comp_targetILNS1_3genE8ELNS1_11target_archE1030ELNS1_3gpuE2ELNS1_3repE0EEENS1_48merge_mergepath_partition_config_static_selectorELNS0_4arch9wavefront6targetE1EEEvSH_,comdat
.Lfunc_end1767:
	.size	_ZN7rocprim17ROCPRIM_400000_NS6detail17trampoline_kernelINS0_14default_configENS1_38merge_sort_block_merge_config_selectorIflEEZZNS1_27merge_sort_block_merge_implIS3_PfN6thrust23THRUST_200600_302600_NS10device_ptrIlEEjNS1_19radix_merge_compareILb0ELb0EfNS0_19identity_decomposerEEEEE10hipError_tT0_T1_T2_jT3_P12ihipStream_tbPNSt15iterator_traitsISG_E10value_typeEPNSM_ISH_E10value_typeEPSI_NS1_7vsmem_tEENKUlT_SG_SH_SI_E_clIS7_S7_PlSB_EESF_SV_SG_SH_SI_EUlSV_E_NS1_11comp_targetILNS1_3genE8ELNS1_11target_archE1030ELNS1_3gpuE2ELNS1_3repE0EEENS1_48merge_mergepath_partition_config_static_selectorELNS0_4arch9wavefront6targetE1EEEvSH_, .Lfunc_end1767-_ZN7rocprim17ROCPRIM_400000_NS6detail17trampoline_kernelINS0_14default_configENS1_38merge_sort_block_merge_config_selectorIflEEZZNS1_27merge_sort_block_merge_implIS3_PfN6thrust23THRUST_200600_302600_NS10device_ptrIlEEjNS1_19radix_merge_compareILb0ELb0EfNS0_19identity_decomposerEEEEE10hipError_tT0_T1_T2_jT3_P12ihipStream_tbPNSt15iterator_traitsISG_E10value_typeEPNSM_ISH_E10value_typeEPSI_NS1_7vsmem_tEENKUlT_SG_SH_SI_E_clIS7_S7_PlSB_EESF_SV_SG_SH_SI_EUlSV_E_NS1_11comp_targetILNS1_3genE8ELNS1_11target_archE1030ELNS1_3gpuE2ELNS1_3repE0EEENS1_48merge_mergepath_partition_config_static_selectorELNS0_4arch9wavefront6targetE1EEEvSH_
                                        ; -- End function
	.section	.AMDGPU.csdata,"",@progbits
; Kernel info:
; codeLenInByte = 0
; NumSgprs: 4
; NumVgprs: 0
; NumAgprs: 0
; TotalNumVgprs: 0
; ScratchSize: 0
; MemoryBound: 0
; FloatMode: 240
; IeeeMode: 1
; LDSByteSize: 0 bytes/workgroup (compile time only)
; SGPRBlocks: 0
; VGPRBlocks: 0
; NumSGPRsForWavesPerEU: 4
; NumVGPRsForWavesPerEU: 1
; AccumOffset: 4
; Occupancy: 8
; WaveLimiterHint : 0
; COMPUTE_PGM_RSRC2:SCRATCH_EN: 0
; COMPUTE_PGM_RSRC2:USER_SGPR: 6
; COMPUTE_PGM_RSRC2:TRAP_HANDLER: 0
; COMPUTE_PGM_RSRC2:TGID_X_EN: 1
; COMPUTE_PGM_RSRC2:TGID_Y_EN: 0
; COMPUTE_PGM_RSRC2:TGID_Z_EN: 0
; COMPUTE_PGM_RSRC2:TIDIG_COMP_CNT: 0
; COMPUTE_PGM_RSRC3_GFX90A:ACCUM_OFFSET: 0
; COMPUTE_PGM_RSRC3_GFX90A:TG_SPLIT: 0
	.section	.text._ZN7rocprim17ROCPRIM_400000_NS6detail17trampoline_kernelINS0_14default_configENS1_38merge_sort_block_merge_config_selectorIflEEZZNS1_27merge_sort_block_merge_implIS3_PfN6thrust23THRUST_200600_302600_NS10device_ptrIlEEjNS1_19radix_merge_compareILb0ELb0EfNS0_19identity_decomposerEEEEE10hipError_tT0_T1_T2_jT3_P12ihipStream_tbPNSt15iterator_traitsISG_E10value_typeEPNSM_ISH_E10value_typeEPSI_NS1_7vsmem_tEENKUlT_SG_SH_SI_E_clIS7_S7_PlSB_EESF_SV_SG_SH_SI_EUlSV_E0_NS1_11comp_targetILNS1_3genE0ELNS1_11target_archE4294967295ELNS1_3gpuE0ELNS1_3repE0EEENS1_38merge_mergepath_config_static_selectorELNS0_4arch9wavefront6targetE1EEEvSH_,"axG",@progbits,_ZN7rocprim17ROCPRIM_400000_NS6detail17trampoline_kernelINS0_14default_configENS1_38merge_sort_block_merge_config_selectorIflEEZZNS1_27merge_sort_block_merge_implIS3_PfN6thrust23THRUST_200600_302600_NS10device_ptrIlEEjNS1_19radix_merge_compareILb0ELb0EfNS0_19identity_decomposerEEEEE10hipError_tT0_T1_T2_jT3_P12ihipStream_tbPNSt15iterator_traitsISG_E10value_typeEPNSM_ISH_E10value_typeEPSI_NS1_7vsmem_tEENKUlT_SG_SH_SI_E_clIS7_S7_PlSB_EESF_SV_SG_SH_SI_EUlSV_E0_NS1_11comp_targetILNS1_3genE0ELNS1_11target_archE4294967295ELNS1_3gpuE0ELNS1_3repE0EEENS1_38merge_mergepath_config_static_selectorELNS0_4arch9wavefront6targetE1EEEvSH_,comdat
	.protected	_ZN7rocprim17ROCPRIM_400000_NS6detail17trampoline_kernelINS0_14default_configENS1_38merge_sort_block_merge_config_selectorIflEEZZNS1_27merge_sort_block_merge_implIS3_PfN6thrust23THRUST_200600_302600_NS10device_ptrIlEEjNS1_19radix_merge_compareILb0ELb0EfNS0_19identity_decomposerEEEEE10hipError_tT0_T1_T2_jT3_P12ihipStream_tbPNSt15iterator_traitsISG_E10value_typeEPNSM_ISH_E10value_typeEPSI_NS1_7vsmem_tEENKUlT_SG_SH_SI_E_clIS7_S7_PlSB_EESF_SV_SG_SH_SI_EUlSV_E0_NS1_11comp_targetILNS1_3genE0ELNS1_11target_archE4294967295ELNS1_3gpuE0ELNS1_3repE0EEENS1_38merge_mergepath_config_static_selectorELNS0_4arch9wavefront6targetE1EEEvSH_ ; -- Begin function _ZN7rocprim17ROCPRIM_400000_NS6detail17trampoline_kernelINS0_14default_configENS1_38merge_sort_block_merge_config_selectorIflEEZZNS1_27merge_sort_block_merge_implIS3_PfN6thrust23THRUST_200600_302600_NS10device_ptrIlEEjNS1_19radix_merge_compareILb0ELb0EfNS0_19identity_decomposerEEEEE10hipError_tT0_T1_T2_jT3_P12ihipStream_tbPNSt15iterator_traitsISG_E10value_typeEPNSM_ISH_E10value_typeEPSI_NS1_7vsmem_tEENKUlT_SG_SH_SI_E_clIS7_S7_PlSB_EESF_SV_SG_SH_SI_EUlSV_E0_NS1_11comp_targetILNS1_3genE0ELNS1_11target_archE4294967295ELNS1_3gpuE0ELNS1_3repE0EEENS1_38merge_mergepath_config_static_selectorELNS0_4arch9wavefront6targetE1EEEvSH_
	.globl	_ZN7rocprim17ROCPRIM_400000_NS6detail17trampoline_kernelINS0_14default_configENS1_38merge_sort_block_merge_config_selectorIflEEZZNS1_27merge_sort_block_merge_implIS3_PfN6thrust23THRUST_200600_302600_NS10device_ptrIlEEjNS1_19radix_merge_compareILb0ELb0EfNS0_19identity_decomposerEEEEE10hipError_tT0_T1_T2_jT3_P12ihipStream_tbPNSt15iterator_traitsISG_E10value_typeEPNSM_ISH_E10value_typeEPSI_NS1_7vsmem_tEENKUlT_SG_SH_SI_E_clIS7_S7_PlSB_EESF_SV_SG_SH_SI_EUlSV_E0_NS1_11comp_targetILNS1_3genE0ELNS1_11target_archE4294967295ELNS1_3gpuE0ELNS1_3repE0EEENS1_38merge_mergepath_config_static_selectorELNS0_4arch9wavefront6targetE1EEEvSH_
	.p2align	8
	.type	_ZN7rocprim17ROCPRIM_400000_NS6detail17trampoline_kernelINS0_14default_configENS1_38merge_sort_block_merge_config_selectorIflEEZZNS1_27merge_sort_block_merge_implIS3_PfN6thrust23THRUST_200600_302600_NS10device_ptrIlEEjNS1_19radix_merge_compareILb0ELb0EfNS0_19identity_decomposerEEEEE10hipError_tT0_T1_T2_jT3_P12ihipStream_tbPNSt15iterator_traitsISG_E10value_typeEPNSM_ISH_E10value_typeEPSI_NS1_7vsmem_tEENKUlT_SG_SH_SI_E_clIS7_S7_PlSB_EESF_SV_SG_SH_SI_EUlSV_E0_NS1_11comp_targetILNS1_3genE0ELNS1_11target_archE4294967295ELNS1_3gpuE0ELNS1_3repE0EEENS1_38merge_mergepath_config_static_selectorELNS0_4arch9wavefront6targetE1EEEvSH_,@function
_ZN7rocprim17ROCPRIM_400000_NS6detail17trampoline_kernelINS0_14default_configENS1_38merge_sort_block_merge_config_selectorIflEEZZNS1_27merge_sort_block_merge_implIS3_PfN6thrust23THRUST_200600_302600_NS10device_ptrIlEEjNS1_19radix_merge_compareILb0ELb0EfNS0_19identity_decomposerEEEEE10hipError_tT0_T1_T2_jT3_P12ihipStream_tbPNSt15iterator_traitsISG_E10value_typeEPNSM_ISH_E10value_typeEPSI_NS1_7vsmem_tEENKUlT_SG_SH_SI_E_clIS7_S7_PlSB_EESF_SV_SG_SH_SI_EUlSV_E0_NS1_11comp_targetILNS1_3genE0ELNS1_11target_archE4294967295ELNS1_3gpuE0ELNS1_3repE0EEENS1_38merge_mergepath_config_static_selectorELNS0_4arch9wavefront6targetE1EEEvSH_: ; @_ZN7rocprim17ROCPRIM_400000_NS6detail17trampoline_kernelINS0_14default_configENS1_38merge_sort_block_merge_config_selectorIflEEZZNS1_27merge_sort_block_merge_implIS3_PfN6thrust23THRUST_200600_302600_NS10device_ptrIlEEjNS1_19radix_merge_compareILb0ELb0EfNS0_19identity_decomposerEEEEE10hipError_tT0_T1_T2_jT3_P12ihipStream_tbPNSt15iterator_traitsISG_E10value_typeEPNSM_ISH_E10value_typeEPSI_NS1_7vsmem_tEENKUlT_SG_SH_SI_E_clIS7_S7_PlSB_EESF_SV_SG_SH_SI_EUlSV_E0_NS1_11comp_targetILNS1_3genE0ELNS1_11target_archE4294967295ELNS1_3gpuE0ELNS1_3repE0EEENS1_38merge_mergepath_config_static_selectorELNS0_4arch9wavefront6targetE1EEEvSH_
; %bb.0:
	.section	.rodata,"a",@progbits
	.p2align	6, 0x0
	.amdhsa_kernel _ZN7rocprim17ROCPRIM_400000_NS6detail17trampoline_kernelINS0_14default_configENS1_38merge_sort_block_merge_config_selectorIflEEZZNS1_27merge_sort_block_merge_implIS3_PfN6thrust23THRUST_200600_302600_NS10device_ptrIlEEjNS1_19radix_merge_compareILb0ELb0EfNS0_19identity_decomposerEEEEE10hipError_tT0_T1_T2_jT3_P12ihipStream_tbPNSt15iterator_traitsISG_E10value_typeEPNSM_ISH_E10value_typeEPSI_NS1_7vsmem_tEENKUlT_SG_SH_SI_E_clIS7_S7_PlSB_EESF_SV_SG_SH_SI_EUlSV_E0_NS1_11comp_targetILNS1_3genE0ELNS1_11target_archE4294967295ELNS1_3gpuE0ELNS1_3repE0EEENS1_38merge_mergepath_config_static_selectorELNS0_4arch9wavefront6targetE1EEEvSH_
		.amdhsa_group_segment_fixed_size 0
		.amdhsa_private_segment_fixed_size 0
		.amdhsa_kernarg_size 64
		.amdhsa_user_sgpr_count 6
		.amdhsa_user_sgpr_private_segment_buffer 1
		.amdhsa_user_sgpr_dispatch_ptr 0
		.amdhsa_user_sgpr_queue_ptr 0
		.amdhsa_user_sgpr_kernarg_segment_ptr 1
		.amdhsa_user_sgpr_dispatch_id 0
		.amdhsa_user_sgpr_flat_scratch_init 0
		.amdhsa_user_sgpr_kernarg_preload_length 0
		.amdhsa_user_sgpr_kernarg_preload_offset 0
		.amdhsa_user_sgpr_private_segment_size 0
		.amdhsa_uses_dynamic_stack 0
		.amdhsa_system_sgpr_private_segment_wavefront_offset 0
		.amdhsa_system_sgpr_workgroup_id_x 1
		.amdhsa_system_sgpr_workgroup_id_y 0
		.amdhsa_system_sgpr_workgroup_id_z 0
		.amdhsa_system_sgpr_workgroup_info 0
		.amdhsa_system_vgpr_workitem_id 0
		.amdhsa_next_free_vgpr 1
		.amdhsa_next_free_sgpr 0
		.amdhsa_accum_offset 4
		.amdhsa_reserve_vcc 0
		.amdhsa_reserve_flat_scratch 0
		.amdhsa_float_round_mode_32 0
		.amdhsa_float_round_mode_16_64 0
		.amdhsa_float_denorm_mode_32 3
		.amdhsa_float_denorm_mode_16_64 3
		.amdhsa_dx10_clamp 1
		.amdhsa_ieee_mode 1
		.amdhsa_fp16_overflow 0
		.amdhsa_tg_split 0
		.amdhsa_exception_fp_ieee_invalid_op 0
		.amdhsa_exception_fp_denorm_src 0
		.amdhsa_exception_fp_ieee_div_zero 0
		.amdhsa_exception_fp_ieee_overflow 0
		.amdhsa_exception_fp_ieee_underflow 0
		.amdhsa_exception_fp_ieee_inexact 0
		.amdhsa_exception_int_div_zero 0
	.end_amdhsa_kernel
	.section	.text._ZN7rocprim17ROCPRIM_400000_NS6detail17trampoline_kernelINS0_14default_configENS1_38merge_sort_block_merge_config_selectorIflEEZZNS1_27merge_sort_block_merge_implIS3_PfN6thrust23THRUST_200600_302600_NS10device_ptrIlEEjNS1_19radix_merge_compareILb0ELb0EfNS0_19identity_decomposerEEEEE10hipError_tT0_T1_T2_jT3_P12ihipStream_tbPNSt15iterator_traitsISG_E10value_typeEPNSM_ISH_E10value_typeEPSI_NS1_7vsmem_tEENKUlT_SG_SH_SI_E_clIS7_S7_PlSB_EESF_SV_SG_SH_SI_EUlSV_E0_NS1_11comp_targetILNS1_3genE0ELNS1_11target_archE4294967295ELNS1_3gpuE0ELNS1_3repE0EEENS1_38merge_mergepath_config_static_selectorELNS0_4arch9wavefront6targetE1EEEvSH_,"axG",@progbits,_ZN7rocprim17ROCPRIM_400000_NS6detail17trampoline_kernelINS0_14default_configENS1_38merge_sort_block_merge_config_selectorIflEEZZNS1_27merge_sort_block_merge_implIS3_PfN6thrust23THRUST_200600_302600_NS10device_ptrIlEEjNS1_19radix_merge_compareILb0ELb0EfNS0_19identity_decomposerEEEEE10hipError_tT0_T1_T2_jT3_P12ihipStream_tbPNSt15iterator_traitsISG_E10value_typeEPNSM_ISH_E10value_typeEPSI_NS1_7vsmem_tEENKUlT_SG_SH_SI_E_clIS7_S7_PlSB_EESF_SV_SG_SH_SI_EUlSV_E0_NS1_11comp_targetILNS1_3genE0ELNS1_11target_archE4294967295ELNS1_3gpuE0ELNS1_3repE0EEENS1_38merge_mergepath_config_static_selectorELNS0_4arch9wavefront6targetE1EEEvSH_,comdat
.Lfunc_end1768:
	.size	_ZN7rocprim17ROCPRIM_400000_NS6detail17trampoline_kernelINS0_14default_configENS1_38merge_sort_block_merge_config_selectorIflEEZZNS1_27merge_sort_block_merge_implIS3_PfN6thrust23THRUST_200600_302600_NS10device_ptrIlEEjNS1_19radix_merge_compareILb0ELb0EfNS0_19identity_decomposerEEEEE10hipError_tT0_T1_T2_jT3_P12ihipStream_tbPNSt15iterator_traitsISG_E10value_typeEPNSM_ISH_E10value_typeEPSI_NS1_7vsmem_tEENKUlT_SG_SH_SI_E_clIS7_S7_PlSB_EESF_SV_SG_SH_SI_EUlSV_E0_NS1_11comp_targetILNS1_3genE0ELNS1_11target_archE4294967295ELNS1_3gpuE0ELNS1_3repE0EEENS1_38merge_mergepath_config_static_selectorELNS0_4arch9wavefront6targetE1EEEvSH_, .Lfunc_end1768-_ZN7rocprim17ROCPRIM_400000_NS6detail17trampoline_kernelINS0_14default_configENS1_38merge_sort_block_merge_config_selectorIflEEZZNS1_27merge_sort_block_merge_implIS3_PfN6thrust23THRUST_200600_302600_NS10device_ptrIlEEjNS1_19radix_merge_compareILb0ELb0EfNS0_19identity_decomposerEEEEE10hipError_tT0_T1_T2_jT3_P12ihipStream_tbPNSt15iterator_traitsISG_E10value_typeEPNSM_ISH_E10value_typeEPSI_NS1_7vsmem_tEENKUlT_SG_SH_SI_E_clIS7_S7_PlSB_EESF_SV_SG_SH_SI_EUlSV_E0_NS1_11comp_targetILNS1_3genE0ELNS1_11target_archE4294967295ELNS1_3gpuE0ELNS1_3repE0EEENS1_38merge_mergepath_config_static_selectorELNS0_4arch9wavefront6targetE1EEEvSH_
                                        ; -- End function
	.section	.AMDGPU.csdata,"",@progbits
; Kernel info:
; codeLenInByte = 0
; NumSgprs: 4
; NumVgprs: 0
; NumAgprs: 0
; TotalNumVgprs: 0
; ScratchSize: 0
; MemoryBound: 0
; FloatMode: 240
; IeeeMode: 1
; LDSByteSize: 0 bytes/workgroup (compile time only)
; SGPRBlocks: 0
; VGPRBlocks: 0
; NumSGPRsForWavesPerEU: 4
; NumVGPRsForWavesPerEU: 1
; AccumOffset: 4
; Occupancy: 8
; WaveLimiterHint : 0
; COMPUTE_PGM_RSRC2:SCRATCH_EN: 0
; COMPUTE_PGM_RSRC2:USER_SGPR: 6
; COMPUTE_PGM_RSRC2:TRAP_HANDLER: 0
; COMPUTE_PGM_RSRC2:TGID_X_EN: 1
; COMPUTE_PGM_RSRC2:TGID_Y_EN: 0
; COMPUTE_PGM_RSRC2:TGID_Z_EN: 0
; COMPUTE_PGM_RSRC2:TIDIG_COMP_CNT: 0
; COMPUTE_PGM_RSRC3_GFX90A:ACCUM_OFFSET: 0
; COMPUTE_PGM_RSRC3_GFX90A:TG_SPLIT: 0
	.section	.text._ZN7rocprim17ROCPRIM_400000_NS6detail17trampoline_kernelINS0_14default_configENS1_38merge_sort_block_merge_config_selectorIflEEZZNS1_27merge_sort_block_merge_implIS3_PfN6thrust23THRUST_200600_302600_NS10device_ptrIlEEjNS1_19radix_merge_compareILb0ELb0EfNS0_19identity_decomposerEEEEE10hipError_tT0_T1_T2_jT3_P12ihipStream_tbPNSt15iterator_traitsISG_E10value_typeEPNSM_ISH_E10value_typeEPSI_NS1_7vsmem_tEENKUlT_SG_SH_SI_E_clIS7_S7_PlSB_EESF_SV_SG_SH_SI_EUlSV_E0_NS1_11comp_targetILNS1_3genE10ELNS1_11target_archE1201ELNS1_3gpuE5ELNS1_3repE0EEENS1_38merge_mergepath_config_static_selectorELNS0_4arch9wavefront6targetE1EEEvSH_,"axG",@progbits,_ZN7rocprim17ROCPRIM_400000_NS6detail17trampoline_kernelINS0_14default_configENS1_38merge_sort_block_merge_config_selectorIflEEZZNS1_27merge_sort_block_merge_implIS3_PfN6thrust23THRUST_200600_302600_NS10device_ptrIlEEjNS1_19radix_merge_compareILb0ELb0EfNS0_19identity_decomposerEEEEE10hipError_tT0_T1_T2_jT3_P12ihipStream_tbPNSt15iterator_traitsISG_E10value_typeEPNSM_ISH_E10value_typeEPSI_NS1_7vsmem_tEENKUlT_SG_SH_SI_E_clIS7_S7_PlSB_EESF_SV_SG_SH_SI_EUlSV_E0_NS1_11comp_targetILNS1_3genE10ELNS1_11target_archE1201ELNS1_3gpuE5ELNS1_3repE0EEENS1_38merge_mergepath_config_static_selectorELNS0_4arch9wavefront6targetE1EEEvSH_,comdat
	.protected	_ZN7rocprim17ROCPRIM_400000_NS6detail17trampoline_kernelINS0_14default_configENS1_38merge_sort_block_merge_config_selectorIflEEZZNS1_27merge_sort_block_merge_implIS3_PfN6thrust23THRUST_200600_302600_NS10device_ptrIlEEjNS1_19radix_merge_compareILb0ELb0EfNS0_19identity_decomposerEEEEE10hipError_tT0_T1_T2_jT3_P12ihipStream_tbPNSt15iterator_traitsISG_E10value_typeEPNSM_ISH_E10value_typeEPSI_NS1_7vsmem_tEENKUlT_SG_SH_SI_E_clIS7_S7_PlSB_EESF_SV_SG_SH_SI_EUlSV_E0_NS1_11comp_targetILNS1_3genE10ELNS1_11target_archE1201ELNS1_3gpuE5ELNS1_3repE0EEENS1_38merge_mergepath_config_static_selectorELNS0_4arch9wavefront6targetE1EEEvSH_ ; -- Begin function _ZN7rocprim17ROCPRIM_400000_NS6detail17trampoline_kernelINS0_14default_configENS1_38merge_sort_block_merge_config_selectorIflEEZZNS1_27merge_sort_block_merge_implIS3_PfN6thrust23THRUST_200600_302600_NS10device_ptrIlEEjNS1_19radix_merge_compareILb0ELb0EfNS0_19identity_decomposerEEEEE10hipError_tT0_T1_T2_jT3_P12ihipStream_tbPNSt15iterator_traitsISG_E10value_typeEPNSM_ISH_E10value_typeEPSI_NS1_7vsmem_tEENKUlT_SG_SH_SI_E_clIS7_S7_PlSB_EESF_SV_SG_SH_SI_EUlSV_E0_NS1_11comp_targetILNS1_3genE10ELNS1_11target_archE1201ELNS1_3gpuE5ELNS1_3repE0EEENS1_38merge_mergepath_config_static_selectorELNS0_4arch9wavefront6targetE1EEEvSH_
	.globl	_ZN7rocprim17ROCPRIM_400000_NS6detail17trampoline_kernelINS0_14default_configENS1_38merge_sort_block_merge_config_selectorIflEEZZNS1_27merge_sort_block_merge_implIS3_PfN6thrust23THRUST_200600_302600_NS10device_ptrIlEEjNS1_19radix_merge_compareILb0ELb0EfNS0_19identity_decomposerEEEEE10hipError_tT0_T1_T2_jT3_P12ihipStream_tbPNSt15iterator_traitsISG_E10value_typeEPNSM_ISH_E10value_typeEPSI_NS1_7vsmem_tEENKUlT_SG_SH_SI_E_clIS7_S7_PlSB_EESF_SV_SG_SH_SI_EUlSV_E0_NS1_11comp_targetILNS1_3genE10ELNS1_11target_archE1201ELNS1_3gpuE5ELNS1_3repE0EEENS1_38merge_mergepath_config_static_selectorELNS0_4arch9wavefront6targetE1EEEvSH_
	.p2align	8
	.type	_ZN7rocprim17ROCPRIM_400000_NS6detail17trampoline_kernelINS0_14default_configENS1_38merge_sort_block_merge_config_selectorIflEEZZNS1_27merge_sort_block_merge_implIS3_PfN6thrust23THRUST_200600_302600_NS10device_ptrIlEEjNS1_19radix_merge_compareILb0ELb0EfNS0_19identity_decomposerEEEEE10hipError_tT0_T1_T2_jT3_P12ihipStream_tbPNSt15iterator_traitsISG_E10value_typeEPNSM_ISH_E10value_typeEPSI_NS1_7vsmem_tEENKUlT_SG_SH_SI_E_clIS7_S7_PlSB_EESF_SV_SG_SH_SI_EUlSV_E0_NS1_11comp_targetILNS1_3genE10ELNS1_11target_archE1201ELNS1_3gpuE5ELNS1_3repE0EEENS1_38merge_mergepath_config_static_selectorELNS0_4arch9wavefront6targetE1EEEvSH_,@function
_ZN7rocprim17ROCPRIM_400000_NS6detail17trampoline_kernelINS0_14default_configENS1_38merge_sort_block_merge_config_selectorIflEEZZNS1_27merge_sort_block_merge_implIS3_PfN6thrust23THRUST_200600_302600_NS10device_ptrIlEEjNS1_19radix_merge_compareILb0ELb0EfNS0_19identity_decomposerEEEEE10hipError_tT0_T1_T2_jT3_P12ihipStream_tbPNSt15iterator_traitsISG_E10value_typeEPNSM_ISH_E10value_typeEPSI_NS1_7vsmem_tEENKUlT_SG_SH_SI_E_clIS7_S7_PlSB_EESF_SV_SG_SH_SI_EUlSV_E0_NS1_11comp_targetILNS1_3genE10ELNS1_11target_archE1201ELNS1_3gpuE5ELNS1_3repE0EEENS1_38merge_mergepath_config_static_selectorELNS0_4arch9wavefront6targetE1EEEvSH_: ; @_ZN7rocprim17ROCPRIM_400000_NS6detail17trampoline_kernelINS0_14default_configENS1_38merge_sort_block_merge_config_selectorIflEEZZNS1_27merge_sort_block_merge_implIS3_PfN6thrust23THRUST_200600_302600_NS10device_ptrIlEEjNS1_19radix_merge_compareILb0ELb0EfNS0_19identity_decomposerEEEEE10hipError_tT0_T1_T2_jT3_P12ihipStream_tbPNSt15iterator_traitsISG_E10value_typeEPNSM_ISH_E10value_typeEPSI_NS1_7vsmem_tEENKUlT_SG_SH_SI_E_clIS7_S7_PlSB_EESF_SV_SG_SH_SI_EUlSV_E0_NS1_11comp_targetILNS1_3genE10ELNS1_11target_archE1201ELNS1_3gpuE5ELNS1_3repE0EEENS1_38merge_mergepath_config_static_selectorELNS0_4arch9wavefront6targetE1EEEvSH_
; %bb.0:
	.section	.rodata,"a",@progbits
	.p2align	6, 0x0
	.amdhsa_kernel _ZN7rocprim17ROCPRIM_400000_NS6detail17trampoline_kernelINS0_14default_configENS1_38merge_sort_block_merge_config_selectorIflEEZZNS1_27merge_sort_block_merge_implIS3_PfN6thrust23THRUST_200600_302600_NS10device_ptrIlEEjNS1_19radix_merge_compareILb0ELb0EfNS0_19identity_decomposerEEEEE10hipError_tT0_T1_T2_jT3_P12ihipStream_tbPNSt15iterator_traitsISG_E10value_typeEPNSM_ISH_E10value_typeEPSI_NS1_7vsmem_tEENKUlT_SG_SH_SI_E_clIS7_S7_PlSB_EESF_SV_SG_SH_SI_EUlSV_E0_NS1_11comp_targetILNS1_3genE10ELNS1_11target_archE1201ELNS1_3gpuE5ELNS1_3repE0EEENS1_38merge_mergepath_config_static_selectorELNS0_4arch9wavefront6targetE1EEEvSH_
		.amdhsa_group_segment_fixed_size 0
		.amdhsa_private_segment_fixed_size 0
		.amdhsa_kernarg_size 64
		.amdhsa_user_sgpr_count 6
		.amdhsa_user_sgpr_private_segment_buffer 1
		.amdhsa_user_sgpr_dispatch_ptr 0
		.amdhsa_user_sgpr_queue_ptr 0
		.amdhsa_user_sgpr_kernarg_segment_ptr 1
		.amdhsa_user_sgpr_dispatch_id 0
		.amdhsa_user_sgpr_flat_scratch_init 0
		.amdhsa_user_sgpr_kernarg_preload_length 0
		.amdhsa_user_sgpr_kernarg_preload_offset 0
		.amdhsa_user_sgpr_private_segment_size 0
		.amdhsa_uses_dynamic_stack 0
		.amdhsa_system_sgpr_private_segment_wavefront_offset 0
		.amdhsa_system_sgpr_workgroup_id_x 1
		.amdhsa_system_sgpr_workgroup_id_y 0
		.amdhsa_system_sgpr_workgroup_id_z 0
		.amdhsa_system_sgpr_workgroup_info 0
		.amdhsa_system_vgpr_workitem_id 0
		.amdhsa_next_free_vgpr 1
		.amdhsa_next_free_sgpr 0
		.amdhsa_accum_offset 4
		.amdhsa_reserve_vcc 0
		.amdhsa_reserve_flat_scratch 0
		.amdhsa_float_round_mode_32 0
		.amdhsa_float_round_mode_16_64 0
		.amdhsa_float_denorm_mode_32 3
		.amdhsa_float_denorm_mode_16_64 3
		.amdhsa_dx10_clamp 1
		.amdhsa_ieee_mode 1
		.amdhsa_fp16_overflow 0
		.amdhsa_tg_split 0
		.amdhsa_exception_fp_ieee_invalid_op 0
		.amdhsa_exception_fp_denorm_src 0
		.amdhsa_exception_fp_ieee_div_zero 0
		.amdhsa_exception_fp_ieee_overflow 0
		.amdhsa_exception_fp_ieee_underflow 0
		.amdhsa_exception_fp_ieee_inexact 0
		.amdhsa_exception_int_div_zero 0
	.end_amdhsa_kernel
	.section	.text._ZN7rocprim17ROCPRIM_400000_NS6detail17trampoline_kernelINS0_14default_configENS1_38merge_sort_block_merge_config_selectorIflEEZZNS1_27merge_sort_block_merge_implIS3_PfN6thrust23THRUST_200600_302600_NS10device_ptrIlEEjNS1_19radix_merge_compareILb0ELb0EfNS0_19identity_decomposerEEEEE10hipError_tT0_T1_T2_jT3_P12ihipStream_tbPNSt15iterator_traitsISG_E10value_typeEPNSM_ISH_E10value_typeEPSI_NS1_7vsmem_tEENKUlT_SG_SH_SI_E_clIS7_S7_PlSB_EESF_SV_SG_SH_SI_EUlSV_E0_NS1_11comp_targetILNS1_3genE10ELNS1_11target_archE1201ELNS1_3gpuE5ELNS1_3repE0EEENS1_38merge_mergepath_config_static_selectorELNS0_4arch9wavefront6targetE1EEEvSH_,"axG",@progbits,_ZN7rocprim17ROCPRIM_400000_NS6detail17trampoline_kernelINS0_14default_configENS1_38merge_sort_block_merge_config_selectorIflEEZZNS1_27merge_sort_block_merge_implIS3_PfN6thrust23THRUST_200600_302600_NS10device_ptrIlEEjNS1_19radix_merge_compareILb0ELb0EfNS0_19identity_decomposerEEEEE10hipError_tT0_T1_T2_jT3_P12ihipStream_tbPNSt15iterator_traitsISG_E10value_typeEPNSM_ISH_E10value_typeEPSI_NS1_7vsmem_tEENKUlT_SG_SH_SI_E_clIS7_S7_PlSB_EESF_SV_SG_SH_SI_EUlSV_E0_NS1_11comp_targetILNS1_3genE10ELNS1_11target_archE1201ELNS1_3gpuE5ELNS1_3repE0EEENS1_38merge_mergepath_config_static_selectorELNS0_4arch9wavefront6targetE1EEEvSH_,comdat
.Lfunc_end1769:
	.size	_ZN7rocprim17ROCPRIM_400000_NS6detail17trampoline_kernelINS0_14default_configENS1_38merge_sort_block_merge_config_selectorIflEEZZNS1_27merge_sort_block_merge_implIS3_PfN6thrust23THRUST_200600_302600_NS10device_ptrIlEEjNS1_19radix_merge_compareILb0ELb0EfNS0_19identity_decomposerEEEEE10hipError_tT0_T1_T2_jT3_P12ihipStream_tbPNSt15iterator_traitsISG_E10value_typeEPNSM_ISH_E10value_typeEPSI_NS1_7vsmem_tEENKUlT_SG_SH_SI_E_clIS7_S7_PlSB_EESF_SV_SG_SH_SI_EUlSV_E0_NS1_11comp_targetILNS1_3genE10ELNS1_11target_archE1201ELNS1_3gpuE5ELNS1_3repE0EEENS1_38merge_mergepath_config_static_selectorELNS0_4arch9wavefront6targetE1EEEvSH_, .Lfunc_end1769-_ZN7rocprim17ROCPRIM_400000_NS6detail17trampoline_kernelINS0_14default_configENS1_38merge_sort_block_merge_config_selectorIflEEZZNS1_27merge_sort_block_merge_implIS3_PfN6thrust23THRUST_200600_302600_NS10device_ptrIlEEjNS1_19radix_merge_compareILb0ELb0EfNS0_19identity_decomposerEEEEE10hipError_tT0_T1_T2_jT3_P12ihipStream_tbPNSt15iterator_traitsISG_E10value_typeEPNSM_ISH_E10value_typeEPSI_NS1_7vsmem_tEENKUlT_SG_SH_SI_E_clIS7_S7_PlSB_EESF_SV_SG_SH_SI_EUlSV_E0_NS1_11comp_targetILNS1_3genE10ELNS1_11target_archE1201ELNS1_3gpuE5ELNS1_3repE0EEENS1_38merge_mergepath_config_static_selectorELNS0_4arch9wavefront6targetE1EEEvSH_
                                        ; -- End function
	.section	.AMDGPU.csdata,"",@progbits
; Kernel info:
; codeLenInByte = 0
; NumSgprs: 4
; NumVgprs: 0
; NumAgprs: 0
; TotalNumVgprs: 0
; ScratchSize: 0
; MemoryBound: 0
; FloatMode: 240
; IeeeMode: 1
; LDSByteSize: 0 bytes/workgroup (compile time only)
; SGPRBlocks: 0
; VGPRBlocks: 0
; NumSGPRsForWavesPerEU: 4
; NumVGPRsForWavesPerEU: 1
; AccumOffset: 4
; Occupancy: 8
; WaveLimiterHint : 0
; COMPUTE_PGM_RSRC2:SCRATCH_EN: 0
; COMPUTE_PGM_RSRC2:USER_SGPR: 6
; COMPUTE_PGM_RSRC2:TRAP_HANDLER: 0
; COMPUTE_PGM_RSRC2:TGID_X_EN: 1
; COMPUTE_PGM_RSRC2:TGID_Y_EN: 0
; COMPUTE_PGM_RSRC2:TGID_Z_EN: 0
; COMPUTE_PGM_RSRC2:TIDIG_COMP_CNT: 0
; COMPUTE_PGM_RSRC3_GFX90A:ACCUM_OFFSET: 0
; COMPUTE_PGM_RSRC3_GFX90A:TG_SPLIT: 0
	.section	.text._ZN7rocprim17ROCPRIM_400000_NS6detail17trampoline_kernelINS0_14default_configENS1_38merge_sort_block_merge_config_selectorIflEEZZNS1_27merge_sort_block_merge_implIS3_PfN6thrust23THRUST_200600_302600_NS10device_ptrIlEEjNS1_19radix_merge_compareILb0ELb0EfNS0_19identity_decomposerEEEEE10hipError_tT0_T1_T2_jT3_P12ihipStream_tbPNSt15iterator_traitsISG_E10value_typeEPNSM_ISH_E10value_typeEPSI_NS1_7vsmem_tEENKUlT_SG_SH_SI_E_clIS7_S7_PlSB_EESF_SV_SG_SH_SI_EUlSV_E0_NS1_11comp_targetILNS1_3genE5ELNS1_11target_archE942ELNS1_3gpuE9ELNS1_3repE0EEENS1_38merge_mergepath_config_static_selectorELNS0_4arch9wavefront6targetE1EEEvSH_,"axG",@progbits,_ZN7rocprim17ROCPRIM_400000_NS6detail17trampoline_kernelINS0_14default_configENS1_38merge_sort_block_merge_config_selectorIflEEZZNS1_27merge_sort_block_merge_implIS3_PfN6thrust23THRUST_200600_302600_NS10device_ptrIlEEjNS1_19radix_merge_compareILb0ELb0EfNS0_19identity_decomposerEEEEE10hipError_tT0_T1_T2_jT3_P12ihipStream_tbPNSt15iterator_traitsISG_E10value_typeEPNSM_ISH_E10value_typeEPSI_NS1_7vsmem_tEENKUlT_SG_SH_SI_E_clIS7_S7_PlSB_EESF_SV_SG_SH_SI_EUlSV_E0_NS1_11comp_targetILNS1_3genE5ELNS1_11target_archE942ELNS1_3gpuE9ELNS1_3repE0EEENS1_38merge_mergepath_config_static_selectorELNS0_4arch9wavefront6targetE1EEEvSH_,comdat
	.protected	_ZN7rocprim17ROCPRIM_400000_NS6detail17trampoline_kernelINS0_14default_configENS1_38merge_sort_block_merge_config_selectorIflEEZZNS1_27merge_sort_block_merge_implIS3_PfN6thrust23THRUST_200600_302600_NS10device_ptrIlEEjNS1_19radix_merge_compareILb0ELb0EfNS0_19identity_decomposerEEEEE10hipError_tT0_T1_T2_jT3_P12ihipStream_tbPNSt15iterator_traitsISG_E10value_typeEPNSM_ISH_E10value_typeEPSI_NS1_7vsmem_tEENKUlT_SG_SH_SI_E_clIS7_S7_PlSB_EESF_SV_SG_SH_SI_EUlSV_E0_NS1_11comp_targetILNS1_3genE5ELNS1_11target_archE942ELNS1_3gpuE9ELNS1_3repE0EEENS1_38merge_mergepath_config_static_selectorELNS0_4arch9wavefront6targetE1EEEvSH_ ; -- Begin function _ZN7rocprim17ROCPRIM_400000_NS6detail17trampoline_kernelINS0_14default_configENS1_38merge_sort_block_merge_config_selectorIflEEZZNS1_27merge_sort_block_merge_implIS3_PfN6thrust23THRUST_200600_302600_NS10device_ptrIlEEjNS1_19radix_merge_compareILb0ELb0EfNS0_19identity_decomposerEEEEE10hipError_tT0_T1_T2_jT3_P12ihipStream_tbPNSt15iterator_traitsISG_E10value_typeEPNSM_ISH_E10value_typeEPSI_NS1_7vsmem_tEENKUlT_SG_SH_SI_E_clIS7_S7_PlSB_EESF_SV_SG_SH_SI_EUlSV_E0_NS1_11comp_targetILNS1_3genE5ELNS1_11target_archE942ELNS1_3gpuE9ELNS1_3repE0EEENS1_38merge_mergepath_config_static_selectorELNS0_4arch9wavefront6targetE1EEEvSH_
	.globl	_ZN7rocprim17ROCPRIM_400000_NS6detail17trampoline_kernelINS0_14default_configENS1_38merge_sort_block_merge_config_selectorIflEEZZNS1_27merge_sort_block_merge_implIS3_PfN6thrust23THRUST_200600_302600_NS10device_ptrIlEEjNS1_19radix_merge_compareILb0ELb0EfNS0_19identity_decomposerEEEEE10hipError_tT0_T1_T2_jT3_P12ihipStream_tbPNSt15iterator_traitsISG_E10value_typeEPNSM_ISH_E10value_typeEPSI_NS1_7vsmem_tEENKUlT_SG_SH_SI_E_clIS7_S7_PlSB_EESF_SV_SG_SH_SI_EUlSV_E0_NS1_11comp_targetILNS1_3genE5ELNS1_11target_archE942ELNS1_3gpuE9ELNS1_3repE0EEENS1_38merge_mergepath_config_static_selectorELNS0_4arch9wavefront6targetE1EEEvSH_
	.p2align	8
	.type	_ZN7rocprim17ROCPRIM_400000_NS6detail17trampoline_kernelINS0_14default_configENS1_38merge_sort_block_merge_config_selectorIflEEZZNS1_27merge_sort_block_merge_implIS3_PfN6thrust23THRUST_200600_302600_NS10device_ptrIlEEjNS1_19radix_merge_compareILb0ELb0EfNS0_19identity_decomposerEEEEE10hipError_tT0_T1_T2_jT3_P12ihipStream_tbPNSt15iterator_traitsISG_E10value_typeEPNSM_ISH_E10value_typeEPSI_NS1_7vsmem_tEENKUlT_SG_SH_SI_E_clIS7_S7_PlSB_EESF_SV_SG_SH_SI_EUlSV_E0_NS1_11comp_targetILNS1_3genE5ELNS1_11target_archE942ELNS1_3gpuE9ELNS1_3repE0EEENS1_38merge_mergepath_config_static_selectorELNS0_4arch9wavefront6targetE1EEEvSH_,@function
_ZN7rocprim17ROCPRIM_400000_NS6detail17trampoline_kernelINS0_14default_configENS1_38merge_sort_block_merge_config_selectorIflEEZZNS1_27merge_sort_block_merge_implIS3_PfN6thrust23THRUST_200600_302600_NS10device_ptrIlEEjNS1_19radix_merge_compareILb0ELb0EfNS0_19identity_decomposerEEEEE10hipError_tT0_T1_T2_jT3_P12ihipStream_tbPNSt15iterator_traitsISG_E10value_typeEPNSM_ISH_E10value_typeEPSI_NS1_7vsmem_tEENKUlT_SG_SH_SI_E_clIS7_S7_PlSB_EESF_SV_SG_SH_SI_EUlSV_E0_NS1_11comp_targetILNS1_3genE5ELNS1_11target_archE942ELNS1_3gpuE9ELNS1_3repE0EEENS1_38merge_mergepath_config_static_selectorELNS0_4arch9wavefront6targetE1EEEvSH_: ; @_ZN7rocprim17ROCPRIM_400000_NS6detail17trampoline_kernelINS0_14default_configENS1_38merge_sort_block_merge_config_selectorIflEEZZNS1_27merge_sort_block_merge_implIS3_PfN6thrust23THRUST_200600_302600_NS10device_ptrIlEEjNS1_19radix_merge_compareILb0ELb0EfNS0_19identity_decomposerEEEEE10hipError_tT0_T1_T2_jT3_P12ihipStream_tbPNSt15iterator_traitsISG_E10value_typeEPNSM_ISH_E10value_typeEPSI_NS1_7vsmem_tEENKUlT_SG_SH_SI_E_clIS7_S7_PlSB_EESF_SV_SG_SH_SI_EUlSV_E0_NS1_11comp_targetILNS1_3genE5ELNS1_11target_archE942ELNS1_3gpuE9ELNS1_3repE0EEENS1_38merge_mergepath_config_static_selectorELNS0_4arch9wavefront6targetE1EEEvSH_
; %bb.0:
	.section	.rodata,"a",@progbits
	.p2align	6, 0x0
	.amdhsa_kernel _ZN7rocprim17ROCPRIM_400000_NS6detail17trampoline_kernelINS0_14default_configENS1_38merge_sort_block_merge_config_selectorIflEEZZNS1_27merge_sort_block_merge_implIS3_PfN6thrust23THRUST_200600_302600_NS10device_ptrIlEEjNS1_19radix_merge_compareILb0ELb0EfNS0_19identity_decomposerEEEEE10hipError_tT0_T1_T2_jT3_P12ihipStream_tbPNSt15iterator_traitsISG_E10value_typeEPNSM_ISH_E10value_typeEPSI_NS1_7vsmem_tEENKUlT_SG_SH_SI_E_clIS7_S7_PlSB_EESF_SV_SG_SH_SI_EUlSV_E0_NS1_11comp_targetILNS1_3genE5ELNS1_11target_archE942ELNS1_3gpuE9ELNS1_3repE0EEENS1_38merge_mergepath_config_static_selectorELNS0_4arch9wavefront6targetE1EEEvSH_
		.amdhsa_group_segment_fixed_size 0
		.amdhsa_private_segment_fixed_size 0
		.amdhsa_kernarg_size 64
		.amdhsa_user_sgpr_count 6
		.amdhsa_user_sgpr_private_segment_buffer 1
		.amdhsa_user_sgpr_dispatch_ptr 0
		.amdhsa_user_sgpr_queue_ptr 0
		.amdhsa_user_sgpr_kernarg_segment_ptr 1
		.amdhsa_user_sgpr_dispatch_id 0
		.amdhsa_user_sgpr_flat_scratch_init 0
		.amdhsa_user_sgpr_kernarg_preload_length 0
		.amdhsa_user_sgpr_kernarg_preload_offset 0
		.amdhsa_user_sgpr_private_segment_size 0
		.amdhsa_uses_dynamic_stack 0
		.amdhsa_system_sgpr_private_segment_wavefront_offset 0
		.amdhsa_system_sgpr_workgroup_id_x 1
		.amdhsa_system_sgpr_workgroup_id_y 0
		.amdhsa_system_sgpr_workgroup_id_z 0
		.amdhsa_system_sgpr_workgroup_info 0
		.amdhsa_system_vgpr_workitem_id 0
		.amdhsa_next_free_vgpr 1
		.amdhsa_next_free_sgpr 0
		.amdhsa_accum_offset 4
		.amdhsa_reserve_vcc 0
		.amdhsa_reserve_flat_scratch 0
		.amdhsa_float_round_mode_32 0
		.amdhsa_float_round_mode_16_64 0
		.amdhsa_float_denorm_mode_32 3
		.amdhsa_float_denorm_mode_16_64 3
		.amdhsa_dx10_clamp 1
		.amdhsa_ieee_mode 1
		.amdhsa_fp16_overflow 0
		.amdhsa_tg_split 0
		.amdhsa_exception_fp_ieee_invalid_op 0
		.amdhsa_exception_fp_denorm_src 0
		.amdhsa_exception_fp_ieee_div_zero 0
		.amdhsa_exception_fp_ieee_overflow 0
		.amdhsa_exception_fp_ieee_underflow 0
		.amdhsa_exception_fp_ieee_inexact 0
		.amdhsa_exception_int_div_zero 0
	.end_amdhsa_kernel
	.section	.text._ZN7rocprim17ROCPRIM_400000_NS6detail17trampoline_kernelINS0_14default_configENS1_38merge_sort_block_merge_config_selectorIflEEZZNS1_27merge_sort_block_merge_implIS3_PfN6thrust23THRUST_200600_302600_NS10device_ptrIlEEjNS1_19radix_merge_compareILb0ELb0EfNS0_19identity_decomposerEEEEE10hipError_tT0_T1_T2_jT3_P12ihipStream_tbPNSt15iterator_traitsISG_E10value_typeEPNSM_ISH_E10value_typeEPSI_NS1_7vsmem_tEENKUlT_SG_SH_SI_E_clIS7_S7_PlSB_EESF_SV_SG_SH_SI_EUlSV_E0_NS1_11comp_targetILNS1_3genE5ELNS1_11target_archE942ELNS1_3gpuE9ELNS1_3repE0EEENS1_38merge_mergepath_config_static_selectorELNS0_4arch9wavefront6targetE1EEEvSH_,"axG",@progbits,_ZN7rocprim17ROCPRIM_400000_NS6detail17trampoline_kernelINS0_14default_configENS1_38merge_sort_block_merge_config_selectorIflEEZZNS1_27merge_sort_block_merge_implIS3_PfN6thrust23THRUST_200600_302600_NS10device_ptrIlEEjNS1_19radix_merge_compareILb0ELb0EfNS0_19identity_decomposerEEEEE10hipError_tT0_T1_T2_jT3_P12ihipStream_tbPNSt15iterator_traitsISG_E10value_typeEPNSM_ISH_E10value_typeEPSI_NS1_7vsmem_tEENKUlT_SG_SH_SI_E_clIS7_S7_PlSB_EESF_SV_SG_SH_SI_EUlSV_E0_NS1_11comp_targetILNS1_3genE5ELNS1_11target_archE942ELNS1_3gpuE9ELNS1_3repE0EEENS1_38merge_mergepath_config_static_selectorELNS0_4arch9wavefront6targetE1EEEvSH_,comdat
.Lfunc_end1770:
	.size	_ZN7rocprim17ROCPRIM_400000_NS6detail17trampoline_kernelINS0_14default_configENS1_38merge_sort_block_merge_config_selectorIflEEZZNS1_27merge_sort_block_merge_implIS3_PfN6thrust23THRUST_200600_302600_NS10device_ptrIlEEjNS1_19radix_merge_compareILb0ELb0EfNS0_19identity_decomposerEEEEE10hipError_tT0_T1_T2_jT3_P12ihipStream_tbPNSt15iterator_traitsISG_E10value_typeEPNSM_ISH_E10value_typeEPSI_NS1_7vsmem_tEENKUlT_SG_SH_SI_E_clIS7_S7_PlSB_EESF_SV_SG_SH_SI_EUlSV_E0_NS1_11comp_targetILNS1_3genE5ELNS1_11target_archE942ELNS1_3gpuE9ELNS1_3repE0EEENS1_38merge_mergepath_config_static_selectorELNS0_4arch9wavefront6targetE1EEEvSH_, .Lfunc_end1770-_ZN7rocprim17ROCPRIM_400000_NS6detail17trampoline_kernelINS0_14default_configENS1_38merge_sort_block_merge_config_selectorIflEEZZNS1_27merge_sort_block_merge_implIS3_PfN6thrust23THRUST_200600_302600_NS10device_ptrIlEEjNS1_19radix_merge_compareILb0ELb0EfNS0_19identity_decomposerEEEEE10hipError_tT0_T1_T2_jT3_P12ihipStream_tbPNSt15iterator_traitsISG_E10value_typeEPNSM_ISH_E10value_typeEPSI_NS1_7vsmem_tEENKUlT_SG_SH_SI_E_clIS7_S7_PlSB_EESF_SV_SG_SH_SI_EUlSV_E0_NS1_11comp_targetILNS1_3genE5ELNS1_11target_archE942ELNS1_3gpuE9ELNS1_3repE0EEENS1_38merge_mergepath_config_static_selectorELNS0_4arch9wavefront6targetE1EEEvSH_
                                        ; -- End function
	.section	.AMDGPU.csdata,"",@progbits
; Kernel info:
; codeLenInByte = 0
; NumSgprs: 4
; NumVgprs: 0
; NumAgprs: 0
; TotalNumVgprs: 0
; ScratchSize: 0
; MemoryBound: 0
; FloatMode: 240
; IeeeMode: 1
; LDSByteSize: 0 bytes/workgroup (compile time only)
; SGPRBlocks: 0
; VGPRBlocks: 0
; NumSGPRsForWavesPerEU: 4
; NumVGPRsForWavesPerEU: 1
; AccumOffset: 4
; Occupancy: 8
; WaveLimiterHint : 0
; COMPUTE_PGM_RSRC2:SCRATCH_EN: 0
; COMPUTE_PGM_RSRC2:USER_SGPR: 6
; COMPUTE_PGM_RSRC2:TRAP_HANDLER: 0
; COMPUTE_PGM_RSRC2:TGID_X_EN: 1
; COMPUTE_PGM_RSRC2:TGID_Y_EN: 0
; COMPUTE_PGM_RSRC2:TGID_Z_EN: 0
; COMPUTE_PGM_RSRC2:TIDIG_COMP_CNT: 0
; COMPUTE_PGM_RSRC3_GFX90A:ACCUM_OFFSET: 0
; COMPUTE_PGM_RSRC3_GFX90A:TG_SPLIT: 0
	.section	.text._ZN7rocprim17ROCPRIM_400000_NS6detail17trampoline_kernelINS0_14default_configENS1_38merge_sort_block_merge_config_selectorIflEEZZNS1_27merge_sort_block_merge_implIS3_PfN6thrust23THRUST_200600_302600_NS10device_ptrIlEEjNS1_19radix_merge_compareILb0ELb0EfNS0_19identity_decomposerEEEEE10hipError_tT0_T1_T2_jT3_P12ihipStream_tbPNSt15iterator_traitsISG_E10value_typeEPNSM_ISH_E10value_typeEPSI_NS1_7vsmem_tEENKUlT_SG_SH_SI_E_clIS7_S7_PlSB_EESF_SV_SG_SH_SI_EUlSV_E0_NS1_11comp_targetILNS1_3genE4ELNS1_11target_archE910ELNS1_3gpuE8ELNS1_3repE0EEENS1_38merge_mergepath_config_static_selectorELNS0_4arch9wavefront6targetE1EEEvSH_,"axG",@progbits,_ZN7rocprim17ROCPRIM_400000_NS6detail17trampoline_kernelINS0_14default_configENS1_38merge_sort_block_merge_config_selectorIflEEZZNS1_27merge_sort_block_merge_implIS3_PfN6thrust23THRUST_200600_302600_NS10device_ptrIlEEjNS1_19radix_merge_compareILb0ELb0EfNS0_19identity_decomposerEEEEE10hipError_tT0_T1_T2_jT3_P12ihipStream_tbPNSt15iterator_traitsISG_E10value_typeEPNSM_ISH_E10value_typeEPSI_NS1_7vsmem_tEENKUlT_SG_SH_SI_E_clIS7_S7_PlSB_EESF_SV_SG_SH_SI_EUlSV_E0_NS1_11comp_targetILNS1_3genE4ELNS1_11target_archE910ELNS1_3gpuE8ELNS1_3repE0EEENS1_38merge_mergepath_config_static_selectorELNS0_4arch9wavefront6targetE1EEEvSH_,comdat
	.protected	_ZN7rocprim17ROCPRIM_400000_NS6detail17trampoline_kernelINS0_14default_configENS1_38merge_sort_block_merge_config_selectorIflEEZZNS1_27merge_sort_block_merge_implIS3_PfN6thrust23THRUST_200600_302600_NS10device_ptrIlEEjNS1_19radix_merge_compareILb0ELb0EfNS0_19identity_decomposerEEEEE10hipError_tT0_T1_T2_jT3_P12ihipStream_tbPNSt15iterator_traitsISG_E10value_typeEPNSM_ISH_E10value_typeEPSI_NS1_7vsmem_tEENKUlT_SG_SH_SI_E_clIS7_S7_PlSB_EESF_SV_SG_SH_SI_EUlSV_E0_NS1_11comp_targetILNS1_3genE4ELNS1_11target_archE910ELNS1_3gpuE8ELNS1_3repE0EEENS1_38merge_mergepath_config_static_selectorELNS0_4arch9wavefront6targetE1EEEvSH_ ; -- Begin function _ZN7rocprim17ROCPRIM_400000_NS6detail17trampoline_kernelINS0_14default_configENS1_38merge_sort_block_merge_config_selectorIflEEZZNS1_27merge_sort_block_merge_implIS3_PfN6thrust23THRUST_200600_302600_NS10device_ptrIlEEjNS1_19radix_merge_compareILb0ELb0EfNS0_19identity_decomposerEEEEE10hipError_tT0_T1_T2_jT3_P12ihipStream_tbPNSt15iterator_traitsISG_E10value_typeEPNSM_ISH_E10value_typeEPSI_NS1_7vsmem_tEENKUlT_SG_SH_SI_E_clIS7_S7_PlSB_EESF_SV_SG_SH_SI_EUlSV_E0_NS1_11comp_targetILNS1_3genE4ELNS1_11target_archE910ELNS1_3gpuE8ELNS1_3repE0EEENS1_38merge_mergepath_config_static_selectorELNS0_4arch9wavefront6targetE1EEEvSH_
	.globl	_ZN7rocprim17ROCPRIM_400000_NS6detail17trampoline_kernelINS0_14default_configENS1_38merge_sort_block_merge_config_selectorIflEEZZNS1_27merge_sort_block_merge_implIS3_PfN6thrust23THRUST_200600_302600_NS10device_ptrIlEEjNS1_19radix_merge_compareILb0ELb0EfNS0_19identity_decomposerEEEEE10hipError_tT0_T1_T2_jT3_P12ihipStream_tbPNSt15iterator_traitsISG_E10value_typeEPNSM_ISH_E10value_typeEPSI_NS1_7vsmem_tEENKUlT_SG_SH_SI_E_clIS7_S7_PlSB_EESF_SV_SG_SH_SI_EUlSV_E0_NS1_11comp_targetILNS1_3genE4ELNS1_11target_archE910ELNS1_3gpuE8ELNS1_3repE0EEENS1_38merge_mergepath_config_static_selectorELNS0_4arch9wavefront6targetE1EEEvSH_
	.p2align	8
	.type	_ZN7rocprim17ROCPRIM_400000_NS6detail17trampoline_kernelINS0_14default_configENS1_38merge_sort_block_merge_config_selectorIflEEZZNS1_27merge_sort_block_merge_implIS3_PfN6thrust23THRUST_200600_302600_NS10device_ptrIlEEjNS1_19radix_merge_compareILb0ELb0EfNS0_19identity_decomposerEEEEE10hipError_tT0_T1_T2_jT3_P12ihipStream_tbPNSt15iterator_traitsISG_E10value_typeEPNSM_ISH_E10value_typeEPSI_NS1_7vsmem_tEENKUlT_SG_SH_SI_E_clIS7_S7_PlSB_EESF_SV_SG_SH_SI_EUlSV_E0_NS1_11comp_targetILNS1_3genE4ELNS1_11target_archE910ELNS1_3gpuE8ELNS1_3repE0EEENS1_38merge_mergepath_config_static_selectorELNS0_4arch9wavefront6targetE1EEEvSH_,@function
_ZN7rocprim17ROCPRIM_400000_NS6detail17trampoline_kernelINS0_14default_configENS1_38merge_sort_block_merge_config_selectorIflEEZZNS1_27merge_sort_block_merge_implIS3_PfN6thrust23THRUST_200600_302600_NS10device_ptrIlEEjNS1_19radix_merge_compareILb0ELb0EfNS0_19identity_decomposerEEEEE10hipError_tT0_T1_T2_jT3_P12ihipStream_tbPNSt15iterator_traitsISG_E10value_typeEPNSM_ISH_E10value_typeEPSI_NS1_7vsmem_tEENKUlT_SG_SH_SI_E_clIS7_S7_PlSB_EESF_SV_SG_SH_SI_EUlSV_E0_NS1_11comp_targetILNS1_3genE4ELNS1_11target_archE910ELNS1_3gpuE8ELNS1_3repE0EEENS1_38merge_mergepath_config_static_selectorELNS0_4arch9wavefront6targetE1EEEvSH_: ; @_ZN7rocprim17ROCPRIM_400000_NS6detail17trampoline_kernelINS0_14default_configENS1_38merge_sort_block_merge_config_selectorIflEEZZNS1_27merge_sort_block_merge_implIS3_PfN6thrust23THRUST_200600_302600_NS10device_ptrIlEEjNS1_19radix_merge_compareILb0ELb0EfNS0_19identity_decomposerEEEEE10hipError_tT0_T1_T2_jT3_P12ihipStream_tbPNSt15iterator_traitsISG_E10value_typeEPNSM_ISH_E10value_typeEPSI_NS1_7vsmem_tEENKUlT_SG_SH_SI_E_clIS7_S7_PlSB_EESF_SV_SG_SH_SI_EUlSV_E0_NS1_11comp_targetILNS1_3genE4ELNS1_11target_archE910ELNS1_3gpuE8ELNS1_3repE0EEENS1_38merge_mergepath_config_static_selectorELNS0_4arch9wavefront6targetE1EEEvSH_
; %bb.0:
	s_load_dwordx2 s[22:23], s[4:5], 0x40
	s_load_dword s2, s[4:5], 0x30
	s_add_u32 s0, s4, 64
	s_addc_u32 s1, s5, 0
	s_waitcnt lgkmcnt(0)
	s_mul_i32 s3, s23, s8
	s_add_i32 s3, s3, s7
	s_mul_i32 s3, s3, s22
	s_add_i32 s20, s3, s6
	s_cmp_ge_u32 s20, s2
	s_cbranch_scc1 .LBB1771_69
; %bb.1:
	s_load_dwordx8 s[8:15], s[4:5], 0x10
	s_load_dwordx2 s[26:27], s[4:5], 0x8
	s_load_dwordx2 s[16:17], s[4:5], 0x38
	s_mov_b32 s21, 0
	v_mov_b32_e32 v5, 0
	s_waitcnt lgkmcnt(0)
	s_lshr_b32 s7, s14, 10
	s_cmp_lg_u32 s20, s7
	s_cselect_b64 s[2:3], -1, 0
	s_lshl_b64 s[4:5], s[20:21], 2
	s_add_u32 s4, s16, s4
	s_addc_u32 s5, s17, s5
	s_lshr_b32 s16, s15, 9
	s_and_b32 s16, s16, 0x7ffffe
	s_load_dwordx2 s[4:5], s[4:5], 0x0
	s_sub_i32 s17, 0, s16
	s_and_b32 s18, s20, s17
	s_lshl_b32 s19, s18, 10
	s_lshl_b32 s16, s20, 10
	s_lshl_b32 s18, s18, 11
	s_sub_i32 s23, s16, s19
	s_add_i32 s24, s18, s15
	s_add_i32 s23, s24, s23
	s_waitcnt lgkmcnt(0)
	s_sub_i32 s18, s23, s4
	s_sub_i32 s23, s23, s5
	;; [unrolled: 1-line block ×3, first 2 shown]
	s_min_u32 s18, s14, s18
	s_addk_i32 s23, 0x400
	s_or_b32 s17, s20, s17
	s_min_u32 s24, s14, s19
	s_add_i32 s19, s19, s15
	s_cmp_eq_u32 s17, -1
	s_cselect_b32 s15, s19, s23
	s_cselect_b32 s5, s24, s5
	s_min_u32 s17, s15, s14
	s_sub_i32 s15, s5, s4
	s_mov_b32 s5, s21
	s_lshl_b64 s[24:25], s[4:5], 2
	s_add_u32 s24, s26, s24
	s_mov_b32 s19, s21
	s_addc_u32 s25, s27, s25
	s_lshl_b64 s[28:29], s[18:19], 2
	s_add_u32 s21, s26, s28
	s_addc_u32 s23, s27, s29
	s_cmp_lt_u32 s6, s22
	s_cselect_b32 s6, 12, 18
	global_load_dword v1, v5, s[0:1] offset:14
	s_add_u32 s0, s0, s6
	s_addc_u32 s1, s1, 0
	global_load_ushort v2, v5, s[0:1]
	s_cmp_eq_u32 s20, s7
	s_waitcnt vmcnt(1)
	v_lshrrev_b32_e32 v3, 16, v1
	v_and_b32_e32 v1, 0xffff, v1
	v_mul_lo_u32 v1, v1, v3
	s_waitcnt vmcnt(0)
	v_mul_lo_u32 v19, v1, v2
	v_add_u32_e32 v14, v19, v0
	v_lshlrev_b32_e32 v1, 2, v0
	v_add_u32_e32 v10, v14, v19
	s_cbranch_scc1 .LBB1771_3
; %bb.2:
	v_mov_b32_e32 v2, s25
	v_add_co_u32_e32 v6, vcc, s24, v1
	v_subrev_u32_e32 v4, s15, v0
	v_addc_co_u32_e32 v7, vcc, 0, v2, vcc
	v_lshlrev_b64 v[2:3], 2, v[4:5]
	v_mov_b32_e32 v4, s23
	v_add_co_u32_e32 v2, vcc, s21, v2
	v_addc_co_u32_e32 v3, vcc, v4, v3, vcc
	v_cmp_gt_u32_e32 vcc, s15, v0
	v_mov_b32_e32 v15, v5
	v_cndmask_b32_e32 v3, v3, v7, vcc
	v_cndmask_b32_e32 v2, v2, v6, vcc
	v_lshlrev_b64 v[6:7], 2, v[14:15]
	global_load_dword v2, v[2:3], off
	v_mov_b32_e32 v3, s25
	v_add_co_u32_e32 v8, vcc, s24, v6
	v_subrev_u32_e32 v4, s15, v14
	v_addc_co_u32_e32 v3, vcc, v3, v7, vcc
	v_lshlrev_b64 v[6:7], 2, v[4:5]
	v_mov_b32_e32 v4, s23
	v_add_co_u32_e32 v6, vcc, s21, v6
	v_addc_co_u32_e32 v4, vcc, v4, v7, vcc
	v_cmp_gt_u32_e32 vcc, s15, v14
	v_cndmask_b32_e32 v7, v4, v3, vcc
	v_cndmask_b32_e32 v6, v6, v8, vcc
	v_mov_b32_e32 v11, v5
	global_load_dword v3, v[6:7], off
	v_lshlrev_b64 v[6:7], 2, v[10:11]
	v_mov_b32_e32 v4, s25
	v_add_co_u32_e32 v6, vcc, s24, v6
	v_addc_co_u32_e32 v7, vcc, v4, v7, vcc
	v_subrev_u32_e32 v4, s15, v10
	v_lshlrev_b64 v[4:5], 2, v[4:5]
	v_mov_b32_e32 v8, s23
	v_add_co_u32_e32 v4, vcc, s21, v4
	v_addc_co_u32_e32 v5, vcc, v8, v5, vcc
	v_cmp_gt_u32_e32 vcc, s15, v10
	v_cndmask_b32_e32 v5, v5, v7, vcc
	v_cndmask_b32_e32 v4, v4, v6, vcc
	global_load_dword v4, v[4:5], off
	v_add_u32_e32 v6, v10, v19
	s_mov_b64 s[0:1], -1
	s_sub_i32 s17, s17, s18
	s_cbranch_execz .LBB1771_4
	s_branch .LBB1771_9
.LBB1771_3:
	s_mov_b64 s[0:1], 0
                                        ; implicit-def: $vgpr2_vgpr3_vgpr4_vgpr5
                                        ; implicit-def: $vgpr6
	s_sub_i32 s17, s17, s18
.LBB1771_4:
	s_add_i32 s6, s17, s15
	v_cmp_gt_u32_e32 vcc, s6, v0
                                        ; implicit-def: $vgpr2_vgpr3_vgpr4_vgpr5
	s_and_saveexec_b64 s[0:1], vcc
	s_cbranch_execz .LBB1771_13
; %bb.5:
	s_waitcnt vmcnt(2)
	v_mov_b32_e32 v2, s25
	s_waitcnt vmcnt(0)
	v_add_co_u32_e32 v4, vcc, s24, v1
	v_mov_b32_e32 v3, 0
	v_addc_co_u32_e32 v5, vcc, 0, v2, vcc
	v_subrev_u32_e32 v2, s15, v0
	v_lshlrev_b64 v[2:3], 2, v[2:3]
	v_mov_b32_e32 v6, s23
	v_add_co_u32_e32 v2, vcc, s21, v2
	v_addc_co_u32_e32 v3, vcc, v6, v3, vcc
	v_cmp_gt_u32_e32 vcc, s15, v0
	v_cndmask_b32_e32 v3, v3, v5, vcc
	v_cndmask_b32_e32 v2, v2, v4, vcc
	global_load_dword v2, v[2:3], off
	s_or_b64 exec, exec, s[0:1]
	v_cmp_gt_u32_e32 vcc, s6, v14
	s_and_saveexec_b64 s[0:1], vcc
	s_cbranch_execnz .LBB1771_14
.LBB1771_6:
	s_or_b64 exec, exec, s[0:1]
	v_cmp_gt_u32_e32 vcc, s6, v10
	s_and_saveexec_b64 s[0:1], vcc
	s_cbranch_execz .LBB1771_8
.LBB1771_7:
	v_mov_b32_e32 v11, 0
	v_lshlrev_b64 v[6:7], 2, v[10:11]
	s_waitcnt vmcnt(0)
	v_mov_b32_e32 v4, s25
	v_add_co_u32_e32 v8, vcc, s24, v6
	v_addc_co_u32_e32 v4, vcc, v4, v7, vcc
	v_subrev_u32_e32 v6, s15, v10
	v_mov_b32_e32 v7, v11
	v_lshlrev_b64 v[6:7], 2, v[6:7]
	v_mov_b32_e32 v9, s23
	v_add_co_u32_e32 v6, vcc, s21, v6
	v_addc_co_u32_e32 v7, vcc, v9, v7, vcc
	v_cmp_gt_u32_e32 vcc, s15, v10
	v_cndmask_b32_e32 v7, v7, v4, vcc
	v_cndmask_b32_e32 v6, v6, v8, vcc
	global_load_dword v4, v[6:7], off
.LBB1771_8:
	s_or_b64 exec, exec, s[0:1]
	v_add_u32_e32 v6, v10, v19
	v_cmp_gt_u32_e64 s[0:1], s6, v6
.LBB1771_9:
	s_and_saveexec_b64 s[6:7], s[0:1]
	s_cbranch_execz .LBB1771_11
; %bb.10:
	v_mov_b32_e32 v7, 0
	v_lshlrev_b64 v[8:9], 2, v[6:7]
	v_mov_b32_e32 v5, s25
	v_add_co_u32_e32 v8, vcc, s24, v8
	v_addc_co_u32_e32 v5, vcc, v5, v9, vcc
	v_cmp_gt_u32_e32 vcc, s15, v6
	v_subrev_u32_e32 v6, s15, v6
	v_lshlrev_b64 v[6:7], 2, v[6:7]
	v_mov_b32_e32 v9, s23
	v_add_co_u32_e64 v6, s[0:1], s21, v6
	v_addc_co_u32_e64 v7, s[0:1], v9, v7, s[0:1]
	v_cndmask_b32_e32 v7, v7, v5, vcc
	v_cndmask_b32_e32 v6, v6, v8, vcc
	global_load_dword v5, v[6:7], off
.LBB1771_11:
	s_or_b64 exec, exec, s[6:7]
	s_lshl_b64 s[0:1], s[4:5], 3
	s_add_u32 s20, s10, s0
	s_addc_u32 s21, s11, s1
	s_lshl_b64 s[0:1], s[18:19], 3
	s_add_u32 s6, s10, s0
	s_addc_u32 s7, s11, s1
	s_andn2_b64 vcc, exec, s[2:3]
	v_lshlrev_b32_e32 v18, 3, v0
	s_waitcnt vmcnt(0)
	ds_write2st64_b32 v1, v2, v3 offset1:4
	ds_write2st64_b32 v1, v4, v5 offset0:8 offset1:12
	s_cbranch_vccnz .LBB1771_15
; %bb.12:
	v_mov_b32_e32 v17, 0
	v_mov_b32_e32 v6, s21
	v_add_co_u32_e32 v8, vcc, s20, v18
	v_subrev_u32_e32 v16, s15, v0
	v_addc_co_u32_e32 v9, vcc, 0, v6, vcc
	v_lshlrev_b64 v[6:7], 3, v[16:17]
	v_mov_b32_e32 v11, s7
	v_add_co_u32_e32 v6, vcc, s6, v6
	v_addc_co_u32_e32 v7, vcc, v11, v7, vcc
	v_cmp_gt_u32_e32 vcc, s15, v0
	v_mov_b32_e32 v15, v17
	v_cndmask_b32_e32 v7, v7, v9, vcc
	v_cndmask_b32_e32 v6, v6, v8, vcc
	v_lshlrev_b64 v[8:9], 3, v[14:15]
	v_mov_b32_e32 v11, s21
	v_add_co_u32_e32 v12, vcc, s20, v8
	v_subrev_u32_e32 v16, s15, v14
	v_addc_co_u32_e32 v11, vcc, v11, v9, vcc
	v_lshlrev_b64 v[8:9], 3, v[16:17]
	v_mov_b32_e32 v13, s7
	v_add_co_u32_e32 v8, vcc, s6, v8
	v_addc_co_u32_e32 v9, vcc, v13, v9, vcc
	v_cmp_gt_u32_e32 vcc, s15, v14
	v_cndmask_b32_e32 v9, v9, v11, vcc
	v_mov_b32_e32 v11, v17
	v_cndmask_b32_e32 v8, v8, v12, vcc
	v_lshlrev_b64 v[12:13], 3, v[10:11]
	v_mov_b32_e32 v11, s21
	v_add_co_u32_e32 v15, vcc, s20, v12
	v_subrev_u32_e32 v16, s15, v10
	v_addc_co_u32_e32 v11, vcc, v11, v13, vcc
	v_lshlrev_b64 v[12:13], 3, v[16:17]
	v_mov_b32_e32 v16, s7
	v_add_co_u32_e32 v12, vcc, s6, v12
	v_addc_co_u32_e32 v13, vcc, v16, v13, vcc
	v_add_u32_e32 v16, v10, v19
	v_cmp_gt_u32_e32 vcc, s15, v10
	v_lshlrev_b64 v[20:21], 3, v[16:17]
	v_cndmask_b32_e32 v13, v13, v11, vcc
	v_cndmask_b32_e32 v12, v12, v15, vcc
	v_mov_b32_e32 v11, s21
	v_add_co_u32_e32 v15, vcc, s20, v20
	v_addc_co_u32_e32 v11, vcc, v11, v21, vcc
	v_cmp_gt_u32_e32 vcc, s15, v16
	v_subrev_u32_e32 v16, s15, v16
	v_lshlrev_b64 v[16:17], 3, v[16:17]
	v_mov_b32_e32 v20, s7
	v_add_co_u32_e64 v16, s[0:1], s6, v16
	v_addc_co_u32_e64 v17, s[0:1], v20, v17, s[0:1]
	v_cndmask_b32_e32 v17, v17, v11, vcc
	v_cndmask_b32_e32 v16, v16, v15, vcc
	global_load_dwordx2 v[6:7], v[6:7], off
	s_add_i32 s24, s17, s15
	global_load_dwordx2 v[8:9], v[8:9], off
	s_nop 0
	global_load_dwordx2 v[12:13], v[12:13], off
	s_nop 0
	global_load_dwordx2 v[16:17], v[16:17], off
	s_cbranch_execz .LBB1771_16
	s_branch .LBB1771_25
.LBB1771_13:
	s_or_b64 exec, exec, s[0:1]
	v_cmp_gt_u32_e32 vcc, s6, v14
	s_and_saveexec_b64 s[0:1], vcc
	s_cbranch_execz .LBB1771_6
.LBB1771_14:
	v_mov_b32_e32 v15, 0
	v_lshlrev_b64 v[6:7], 2, v[14:15]
	s_waitcnt vmcnt(1)
	v_mov_b32_e32 v3, s25
	v_add_co_u32_e32 v8, vcc, s24, v6
	v_addc_co_u32_e32 v3, vcc, v3, v7, vcc
	v_subrev_u32_e32 v6, s15, v14
	v_mov_b32_e32 v7, v15
	v_lshlrev_b64 v[6:7], 2, v[6:7]
	v_mov_b32_e32 v9, s23
	v_add_co_u32_e32 v6, vcc, s21, v6
	v_addc_co_u32_e32 v7, vcc, v9, v7, vcc
	v_cmp_gt_u32_e32 vcc, s15, v14
	v_cndmask_b32_e32 v7, v7, v3, vcc
	v_cndmask_b32_e32 v6, v6, v8, vcc
	global_load_dword v3, v[6:7], off
	s_or_b64 exec, exec, s[0:1]
	v_cmp_gt_u32_e32 vcc, s6, v10
	s_and_saveexec_b64 s[0:1], vcc
	s_cbranch_execnz .LBB1771_7
	s_branch .LBB1771_8
.LBB1771_15:
                                        ; implicit-def: $vgpr6_vgpr7
                                        ; implicit-def: $vgpr8_vgpr9
                                        ; implicit-def: $vgpr12_vgpr13
                                        ; implicit-def: $vgpr16_vgpr17
                                        ; implicit-def: $sgpr24
.LBB1771_16:
	s_add_i32 s24, s17, s15
	v_cmp_gt_u32_e32 vcc, s24, v0
                                        ; implicit-def: $vgpr6_vgpr7
	s_and_saveexec_b64 s[0:1], vcc
	s_cbranch_execz .LBB1771_18
; %bb.17:
	s_waitcnt vmcnt(3)
	v_mov_b32_e32 v6, s21
	s_waitcnt vmcnt(2)
	v_add_co_u32_e32 v8, vcc, s20, v18
	v_mov_b32_e32 v7, 0
	v_addc_co_u32_e32 v9, vcc, 0, v6, vcc
	v_subrev_u32_e32 v6, s15, v0
	v_lshlrev_b64 v[6:7], 3, v[6:7]
	v_mov_b32_e32 v11, s7
	v_add_co_u32_e32 v6, vcc, s6, v6
	v_addc_co_u32_e32 v7, vcc, v11, v7, vcc
	v_cmp_gt_u32_e32 vcc, s15, v0
	v_cndmask_b32_e32 v7, v7, v9, vcc
	v_cndmask_b32_e32 v6, v6, v8, vcc
	global_load_dwordx2 v[6:7], v[6:7], off
.LBB1771_18:
	s_or_b64 exec, exec, s[0:1]
	v_cmp_gt_u32_e32 vcc, s24, v14
                                        ; implicit-def: $vgpr8_vgpr9
	s_and_saveexec_b64 s[4:5], vcc
	s_cbranch_execz .LBB1771_20
; %bb.19:
	v_mov_b32_e32 v15, 0
	s_waitcnt vmcnt(2)
	v_lshlrev_b64 v[8:9], 3, v[14:15]
	v_mov_b32_e32 v11, s21
	s_waitcnt vmcnt(1)
	v_add_co_u32_e32 v12, vcc, s20, v8
	v_addc_co_u32_e32 v11, vcc, v11, v9, vcc
	v_cmp_gt_u32_e32 vcc, s15, v14
	v_subrev_u32_e32 v14, s15, v14
	v_lshlrev_b64 v[8:9], 3, v[14:15]
	v_mov_b32_e32 v13, s7
	v_add_co_u32_e64 v8, s[0:1], s6, v8
	v_addc_co_u32_e64 v9, s[0:1], v13, v9, s[0:1]
	v_cndmask_b32_e32 v9, v9, v11, vcc
	v_cndmask_b32_e32 v8, v8, v12, vcc
	global_load_dwordx2 v[8:9], v[8:9], off
.LBB1771_20:
	s_or_b64 exec, exec, s[4:5]
	v_cmp_gt_u32_e32 vcc, s24, v10
                                        ; implicit-def: $vgpr12_vgpr13
	s_and_saveexec_b64 s[0:1], vcc
	s_cbranch_execz .LBB1771_22
; %bb.21:
	v_mov_b32_e32 v11, 0
	s_waitcnt vmcnt(1)
	v_lshlrev_b64 v[12:13], 3, v[10:11]
	v_mov_b32_e32 v14, s21
	v_add_co_u32_e32 v15, vcc, s20, v12
	v_addc_co_u32_e32 v14, vcc, v14, v13, vcc
	v_subrev_u32_e32 v12, s15, v10
	v_mov_b32_e32 v13, v11
	v_lshlrev_b64 v[12:13], 3, v[12:13]
	v_mov_b32_e32 v11, s7
	v_add_co_u32_e32 v12, vcc, s6, v12
	v_addc_co_u32_e32 v11, vcc, v11, v13, vcc
	v_cmp_gt_u32_e32 vcc, s15, v10
	v_cndmask_b32_e32 v13, v11, v14, vcc
	v_cndmask_b32_e32 v12, v12, v15, vcc
	global_load_dwordx2 v[12:13], v[12:13], off
.LBB1771_22:
	s_or_b64 exec, exec, s[0:1]
	v_add_u32_e32 v10, v10, v19
	v_cmp_gt_u32_e32 vcc, s24, v10
                                        ; implicit-def: $vgpr16_vgpr17
	s_and_saveexec_b64 s[4:5], vcc
	s_cbranch_execz .LBB1771_24
; %bb.23:
	v_mov_b32_e32 v11, 0
	v_lshlrev_b64 v[14:15], 3, v[10:11]
	s_waitcnt vmcnt(0)
	v_mov_b32_e32 v16, s21
	v_add_co_u32_e32 v14, vcc, s20, v14
	v_addc_co_u32_e32 v15, vcc, v16, v15, vcc
	v_cmp_gt_u32_e32 vcc, s15, v10
	v_subrev_u32_e32 v10, s15, v10
	v_lshlrev_b64 v[10:11], 3, v[10:11]
	v_mov_b32_e32 v16, s7
	v_add_co_u32_e64 v10, s[0:1], s6, v10
	v_addc_co_u32_e64 v11, s[0:1], v16, v11, s[0:1]
	v_cndmask_b32_e32 v11, v11, v15, vcc
	v_cndmask_b32_e32 v10, v10, v14, vcc
	global_load_dwordx2 v[16:17], v[10:11], off
.LBB1771_24:
	s_or_b64 exec, exec, s[4:5]
.LBB1771_25:
	v_min_u32_e32 v10, s24, v1
	v_sub_u32_e64 v19, v10, s17 clamp
	v_min_u32_e32 v11, s15, v10
	v_cmp_lt_u32_e32 vcc, v19, v11
	s_waitcnt lgkmcnt(0)
	s_barrier
	s_and_saveexec_b64 s[0:1], vcc
	s_cbranch_execz .LBB1771_29
; %bb.26:
	v_lshlrev_b32_e32 v14, 2, v10
	v_lshl_add_u32 v14, s15, 2, v14
	s_mov_b64 s[4:5], 0
.LBB1771_27:                            ; =>This Inner Loop Header: Depth=1
	v_add_u32_e32 v15, v11, v19
	v_lshrrev_b32_e32 v15, 1, v15
	v_not_b32_e32 v20, v15
	v_lshlrev_b32_e32 v21, 2, v15
	v_lshl_add_u32 v23, v20, 2, v14
	ds_read_b32 v20, v21
	ds_read_b32 v21, v23
	v_add_u32_e32 v22, 1, v15
	s_waitcnt lgkmcnt(0)
	v_pk_add_f32 v[20:21], v[20:21], 0 op_sel_hi:[1,0]
	v_ashrrev_i32_e32 v23, 31, v21
	v_ashrrev_i32_e32 v24, 31, v20
	v_or_b32_e32 v24, 0x80000000, v24
	v_or_b32_e32 v23, 0x80000000, v23
	v_xor_b32_e32 v21, v23, v21
	v_xor_b32_e32 v20, v24, v20
	v_cmp_gt_u32_e32 vcc, v20, v21
	v_cndmask_b32_e32 v11, v11, v15, vcc
	v_cndmask_b32_e32 v19, v22, v19, vcc
	v_cmp_ge_u32_e32 vcc, v19, v11
	s_or_b64 s[4:5], vcc, s[4:5]
	s_andn2_b64 exec, exec, s[4:5]
	s_cbranch_execnz .LBB1771_27
; %bb.28:
	s_or_b64 exec, exec, s[4:5]
.LBB1771_29:
	s_or_b64 exec, exec, s[0:1]
	v_sub_u32_e32 v10, v10, v19
	v_add_u32_e32 v21, s15, v10
	v_cmp_ge_u32_e32 vcc, s15, v19
	v_cmp_ge_u32_e64 s[0:1], s24, v21
	s_or_b64 s[0:1], vcc, s[0:1]
                                        ; implicit-def: $vgpr10
                                        ; implicit-def: $vgpr20
                                        ; implicit-def: $vgpr15
                                        ; implicit-def: $vgpr14
	s_and_saveexec_b64 s[4:5], s[0:1]
	s_xor_b64 s[4:5], exec, s[4:5]
	s_cbranch_execz .LBB1771_49
; %bb.30:
	v_cmp_le_u32_e32 vcc, s15, v19
	v_cmp_gt_u32_e64 s[0:1], s15, v19
                                        ; implicit-def: $vgpr10
	s_and_saveexec_b64 s[6:7], s[0:1]
	s_cbranch_execz .LBB1771_32
; %bb.31:
	v_lshlrev_b32_e32 v2, 2, v19
	ds_read_b32 v10, v2
.LBB1771_32:
	s_or_b64 exec, exec, s[6:7]
	v_cmp_le_u32_e64 s[6:7], s24, v21
	v_cmp_gt_u32_e64 s[0:1], s24, v21
	s_and_saveexec_b64 s[10:11], s[0:1]
	s_cbranch_execz .LBB1771_34
; %bb.33:
	v_lshlrev_b32_e32 v2, 2, v21
	ds_read_b32 v11, v2
.LBB1771_34:
	s_or_b64 exec, exec, s[10:11]
	s_or_b64 s[10:11], vcc, s[6:7]
	s_mov_b64 s[0:1], -1
	s_xor_b64 s[18:19], s[10:11], -1
	s_and_saveexec_b64 s[10:11], s[18:19]
	s_cbranch_execz .LBB1771_36
; %bb.35:
	s_waitcnt lgkmcnt(0)
	v_pk_add_f32 v[2:3], v[10:11], 0 op_sel_hi:[1,0]
	v_ashrrev_i32_e32 v4, 31, v3
	v_ashrrev_i32_e32 v5, 31, v2
	v_or_b32_e32 v5, 0x80000000, v5
	v_or_b32_e32 v4, 0x80000000, v4
	v_xor_b32_e32 v3, v4, v3
	v_xor_b32_e32 v2, v5, v2
	v_cmp_le_u32_e32 vcc, v2, v3
	s_andn2_b64 s[6:7], s[6:7], exec
	s_and_b64 s[18:19], vcc, exec
	s_or_b64 s[6:7], s[6:7], s[18:19]
.LBB1771_36:
	s_or_b64 exec, exec, s[10:11]
	v_mov_b32_e32 v2, s24
	v_mov_b32_e32 v3, s15
	v_cndmask_b32_e64 v14, v21, v19, s[6:7]
	v_cndmask_b32_e64 v2, v2, v3, s[6:7]
	v_add_u32_e32 v4, 1, v14
	v_add_u32_e32 v2, -1, v2
	v_min_u32_e32 v2, v4, v2
	v_lshlrev_b32_e32 v2, 2, v2
	ds_read_b32 v3, v2
	v_cndmask_b32_e64 v20, v4, v21, s[6:7]
	v_cndmask_b32_e64 v21, v19, v4, s[6:7]
	v_cmp_gt_u32_e32 vcc, s24, v20
	s_waitcnt lgkmcnt(0)
	v_cndmask_b32_e64 v2, v3, v11, s[6:7]
	v_cndmask_b32_e64 v3, v10, v3, s[6:7]
	s_and_saveexec_b64 s[10:11], vcc
	s_cbranch_execz .LBB1771_40
; %bb.37:
	v_cmp_gt_u32_e32 vcc, s15, v21
	s_mov_b64 s[18:19], 0
	s_and_saveexec_b64 s[0:1], vcc
; %bb.38:
	v_add_f32_e32 v4, 0, v3
	v_ashrrev_i32_e32 v15, 31, v4
	v_add_f32_e32 v5, 0, v2
	v_or_b32_e32 v15, 0x80000000, v15
	v_xor_b32_e32 v4, v15, v4
	v_ashrrev_i32_e32 v15, 31, v5
	v_or_b32_e32 v15, 0x80000000, v15
	v_xor_b32_e32 v5, v15, v5
	v_cmp_le_u32_e32 vcc, v4, v5
	s_and_b64 s[18:19], vcc, exec
; %bb.39:
	s_or_b64 exec, exec, s[0:1]
	s_orn2_b64 s[0:1], s[18:19], exec
.LBB1771_40:
	s_or_b64 exec, exec, s[10:11]
	v_mov_b32_e32 v4, s24
	v_mov_b32_e32 v5, s15
	v_cndmask_b32_e64 v15, v20, v21, s[0:1]
	v_cndmask_b32_e64 v4, v4, v5, s[0:1]
	v_add_u32_e32 v22, 1, v15
	v_add_u32_e32 v4, -1, v4
	v_min_u32_e32 v4, v22, v4
	v_lshlrev_b32_e32 v4, 2, v4
	ds_read_b32 v5, v4
	v_cndmask_b32_e64 v19, v22, v20, s[0:1]
	v_cndmask_b32_e64 v21, v21, v22, s[0:1]
	v_cmp_gt_u32_e32 vcc, s24, v19
	s_mov_b64 s[10:11], -1
	s_waitcnt lgkmcnt(0)
	v_cndmask_b32_e64 v4, v5, v2, s[0:1]
	v_cndmask_b32_e64 v5, v3, v5, s[0:1]
	s_mov_b64 s[18:19], -1
	s_and_saveexec_b64 s[20:21], vcc
	s_cbranch_execz .LBB1771_44
; %bb.41:
	v_cmp_gt_u32_e32 vcc, s15, v21
	s_mov_b64 s[22:23], 0
	s_and_saveexec_b64 s[18:19], vcc
; %bb.42:
	v_add_f32_e32 v20, 0, v5
	v_ashrrev_i32_e32 v23, 31, v20
	v_add_f32_e32 v22, 0, v4
	v_or_b32_e32 v23, 0x80000000, v23
	v_xor_b32_e32 v20, v23, v20
	v_ashrrev_i32_e32 v23, 31, v22
	v_or_b32_e32 v23, 0x80000000, v23
	v_xor_b32_e32 v22, v23, v22
	v_cmp_le_u32_e32 vcc, v20, v22
	s_and_b64 s[22:23], vcc, exec
; %bb.43:
	s_or_b64 exec, exec, s[18:19]
	s_orn2_b64 s[18:19], s[22:23], exec
.LBB1771_44:
	s_or_b64 exec, exec, s[20:21]
	v_mov_b32_e32 v22, s24
	v_mov_b32_e32 v23, s15
	v_cndmask_b32_e64 v20, v19, v21, s[18:19]
	v_cndmask_b32_e64 v22, v22, v23, s[18:19]
	v_add_u32_e32 v24, 1, v20
	v_add_u32_e32 v22, -1, v22
	v_min_u32_e32 v22, v24, v22
	v_lshlrev_b32_e32 v22, 2, v22
	ds_read_b32 v23, v22
	v_cndmask_b32_e64 v19, v24, v19, s[18:19]
	v_cndmask_b32_e64 v21, v21, v24, s[18:19]
	v_cmp_gt_u32_e32 vcc, s24, v19
	s_waitcnt lgkmcnt(0)
	v_cndmask_b32_e64 v22, v23, v4, s[18:19]
	v_cndmask_b32_e64 v23, v5, v23, s[18:19]
	s_and_saveexec_b64 s[20:21], vcc
	s_cbranch_execz .LBB1771_48
; %bb.45:
	v_cmp_gt_u32_e32 vcc, s15, v21
	s_mov_b64 s[22:23], 0
	s_and_saveexec_b64 s[10:11], vcc
; %bb.46:
	v_add_f32_e32 v24, 0, v23
	v_ashrrev_i32_e32 v26, 31, v24
	v_add_f32_e32 v25, 0, v22
	v_or_b32_e32 v26, 0x80000000, v26
	v_xor_b32_e32 v24, v26, v24
	v_ashrrev_i32_e32 v26, 31, v25
	v_or_b32_e32 v26, 0x80000000, v26
	v_xor_b32_e32 v25, v26, v25
	v_cmp_le_u32_e32 vcc, v24, v25
	s_and_b64 s[22:23], vcc, exec
; %bb.47:
	s_or_b64 exec, exec, s[10:11]
	s_orn2_b64 s[10:11], s[22:23], exec
.LBB1771_48:
	s_or_b64 exec, exec, s[20:21]
	v_cndmask_b32_e64 v4, v4, v5, s[18:19]
	v_cndmask_b32_e64 v3, v2, v3, s[0:1]
	;; [unrolled: 1-line block ×5, first 2 shown]
.LBB1771_49:
	s_andn2_saveexec_b64 s[0:1], s[4:5]
; %bb.50:
                                        ; implicit-def: $vgpr14
                                        ; implicit-def: $vgpr15
                                        ; implicit-def: $vgpr20
                                        ; implicit-def: $vgpr10
; %bb.51:
	s_or_b64 exec, exec, s[0:1]
	v_add_u32_e32 v27, v1, v1
	s_barrier
	s_waitcnt vmcnt(0)
	ds_write2st64_b64 v27, v[6:7], v[8:9] offset1:4
	ds_write2st64_b64 v27, v[12:13], v[16:17] offset0:8 offset1:12
	v_lshlrev_b32_e32 v6, 3, v14
	v_lshlrev_b32_e32 v7, 3, v15
	;; [unrolled: 1-line block ×4, first 2 shown]
	s_waitcnt lgkmcnt(0)
	s_barrier
	ds_read_b64 v[10:11], v6
	ds_read_b64 v[12:13], v7
	;; [unrolled: 1-line block ×4, first 2 shown]
	s_mov_b32 s17, 0
	s_lshl_b64 s[0:1], s[16:17], 2
	v_lshrrev_b32_e32 v14, 3, v0
	s_add_u32 s0, s8, s0
	v_add_u32_e32 v16, v14, v1
	s_addc_u32 s1, s9, s1
	v_lshlrev_b32_e32 v17, 2, v16
	s_waitcnt lgkmcnt(0)
	s_barrier
	s_barrier
	ds_write2_b32 v17, v2, v3 offset1:1
	ds_write2_b32 v17, v4, v5 offset0:2 offset1:3
	v_or_b32_e32 v23, 0x100, v0
	v_or_b32_e32 v22, 0x200, v0
	;; [unrolled: 1-line block ×3, first 2 shown]
	v_mov_b32_e32 v3, s1
	v_add_co_u32_e32 v2, vcc, s0, v1
	v_lshrrev_b32_e32 v14, 5, v0
	v_lshrrev_b32_e32 v4, 5, v23
	;; [unrolled: 1-line block ×4, first 2 shown]
	v_addc_co_u32_e32 v3, vcc, 0, v3, vcc
	v_lshl_add_u32 v15, v14, 2, v1
	v_lshl_add_u32 v24, v4, 2, v1
	;; [unrolled: 1-line block ×4, first 2 shown]
	s_and_b64 vcc, exec, s[2:3]
	v_lshl_add_u32 v1, v4, 3, v27
	v_lshl_add_u32 v19, v5, 3, v27
	;; [unrolled: 1-line block ×3, first 2 shown]
	s_waitcnt lgkmcnt(0)
	s_cbranch_vccz .LBB1771_53
; %bb.52:
	s_barrier
	ds_read_b32 v4, v15
	ds_read_b32 v5, v24 offset:1024
	ds_read_b32 v28, v25 offset:2048
	ds_read_b32 v29, v26 offset:3072
	s_lshl_b64 s[0:1], s[16:17], 3
	s_add_u32 s0, s12, s0
	s_waitcnt lgkmcnt(3)
	global_store_dword v[2:3], v4, off
	s_waitcnt lgkmcnt(2)
	global_store_dword v[2:3], v5, off offset:1024
	s_waitcnt lgkmcnt(1)
	global_store_dword v[2:3], v28, off offset:2048
	;; [unrolled: 2-line block ×3, first 2 shown]
	v_lshlrev_b32_e32 v4, 3, v16
	s_barrier
	ds_write2_b64 v4, v[10:11], v[12:13] offset1:1
	ds_write2_b64 v4, v[6:7], v[8:9] offset0:2 offset1:3
	v_lshl_add_u32 v4, v14, 3, v27
	s_addc_u32 s1, s13, s1
	s_waitcnt lgkmcnt(0)
	s_barrier
	ds_read_b64 v[28:29], v4
	ds_read_b64 v[30:31], v1 offset:2048
	ds_read_b64 v[32:33], v19 offset:4096
	ds_read_b64 v[4:5], v20 offset:6144
	v_mov_b32_e32 v27, s1
	v_add_co_u32_e32 v34, vcc, s0, v18
	v_addc_co_u32_e32 v27, vcc, 0, v27, vcc
	s_waitcnt lgkmcnt(3)
	global_store_dwordx2 v18, v[28:29], s[0:1]
	s_waitcnt lgkmcnt(2)
	global_store_dwordx2 v18, v[30:31], s[0:1] offset:2048
	v_add_co_u32_e32 v28, vcc, 0x1000, v34
	v_addc_co_u32_e32 v29, vcc, 0, v27, vcc
	s_waitcnt lgkmcnt(1)
	global_store_dwordx2 v[28:29], v[32:33], off
	s_mov_b64 s[6:7], -1
	s_cbranch_execz .LBB1771_54
	s_branch .LBB1771_67
.LBB1771_53:
	s_mov_b64 s[6:7], 0
                                        ; implicit-def: $vgpr4_vgpr5
.LBB1771_54:
	s_barrier
	s_waitcnt lgkmcnt(0)
	ds_read_b32 v24, v24 offset:1024
	ds_read_b32 v5, v25 offset:2048
	;; [unrolled: 1-line block ×3, first 2 shown]
	s_sub_i32 s6, s14, s16
	v_cmp_gt_u32_e32 vcc, s6, v0
	s_and_saveexec_b64 s[0:1], vcc
	s_cbranch_execz .LBB1771_58
; %bb.55:
	ds_read_b32 v25, v15
	s_waitcnt lgkmcnt(0)
	global_store_dword v[2:3], v25, off
	s_or_b64 exec, exec, s[0:1]
	v_cmp_gt_u32_e64 s[0:1], s6, v23
	s_and_saveexec_b64 s[2:3], s[0:1]
	s_cbranch_execnz .LBB1771_59
.LBB1771_56:
	s_or_b64 exec, exec, s[2:3]
	v_cmp_gt_u32_e64 s[2:3], s6, v22
	s_and_saveexec_b64 s[4:5], s[2:3]
	s_cbranch_execz .LBB1771_60
.LBB1771_57:
	s_waitcnt lgkmcnt(1)
	global_store_dword v[2:3], v5, off offset:2048
	s_or_b64 exec, exec, s[4:5]
	v_cmp_gt_u32_e64 s[6:7], s6, v21
	s_and_saveexec_b64 s[4:5], s[6:7]
	s_cbranch_execnz .LBB1771_61
	s_branch .LBB1771_62
.LBB1771_58:
	s_or_b64 exec, exec, s[0:1]
	v_cmp_gt_u32_e64 s[0:1], s6, v23
	s_and_saveexec_b64 s[2:3], s[0:1]
	s_cbranch_execz .LBB1771_56
.LBB1771_59:
	s_waitcnt lgkmcnt(2)
	global_store_dword v[2:3], v24, off offset:1024
	s_or_b64 exec, exec, s[2:3]
	v_cmp_gt_u32_e64 s[2:3], s6, v22
	s_and_saveexec_b64 s[4:5], s[2:3]
	s_cbranch_execnz .LBB1771_57
.LBB1771_60:
	s_or_b64 exec, exec, s[4:5]
	v_cmp_gt_u32_e64 s[6:7], s6, v21
	s_and_saveexec_b64 s[4:5], s[6:7]
	s_cbranch_execz .LBB1771_62
.LBB1771_61:
	s_waitcnt lgkmcnt(0)
	global_store_dword v[2:3], v4, off offset:3072
.LBB1771_62:
	s_or_b64 exec, exec, s[4:5]
	v_lshl_add_u32 v2, v16, 2, v17
	s_waitcnt lgkmcnt(0)
	s_barrier
	ds_write2_b64 v2, v[10:11], v[12:13] offset1:1
	ds_write2_b64 v2, v[6:7], v[8:9] offset0:2 offset1:3
	s_waitcnt lgkmcnt(0)
	s_barrier
	ds_read_b64 v[8:9], v1 offset:2048
	ds_read_b64 v[2:3], v19 offset:4096
	;; [unrolled: 1-line block ×3, first 2 shown]
	s_lshl_b64 s[4:5], s[16:17], 3
	s_add_u32 s4, s12, s4
	s_addc_u32 s5, s13, s5
	v_mov_b32_e32 v1, s5
	v_add_co_u32_e64 v6, s[4:5], s4, v18
	v_addc_co_u32_e64 v7, s[4:5], 0, v1, s[4:5]
	s_and_saveexec_b64 s[4:5], vcc
	s_cbranch_execz .LBB1771_70
; %bb.63:
	v_add_u32_e32 v0, v14, v0
	v_lshl_add_u32 v0, v0, 2, v15
	ds_read_b64 v[0:1], v0
	s_waitcnt lgkmcnt(0)
	global_store_dwordx2 v[6:7], v[0:1], off
	s_or_b64 exec, exec, s[4:5]
	s_and_saveexec_b64 s[4:5], s[0:1]
	s_cbranch_execnz .LBB1771_71
.LBB1771_64:
	s_or_b64 exec, exec, s[4:5]
	s_and_saveexec_b64 s[0:1], s[2:3]
	s_cbranch_execz .LBB1771_66
.LBB1771_65:
	v_add_co_u32_e32 v0, vcc, 0x1000, v6
	v_addc_co_u32_e32 v1, vcc, 0, v7, vcc
	s_waitcnt lgkmcnt(1)
	global_store_dwordx2 v[0:1], v[2:3], off
.LBB1771_66:
	s_or_b64 exec, exec, s[0:1]
.LBB1771_67:
	s_and_saveexec_b64 s[0:1], s[6:7]
	s_cbranch_execz .LBB1771_69
; %bb.68:
	s_lshl_b64 s[0:1], s[16:17], 3
	s_add_u32 s0, s12, s0
	s_addc_u32 s1, s13, s1
	v_mov_b32_e32 v0, s1
	v_add_co_u32_e32 v1, vcc, s0, v18
	s_waitcnt lgkmcnt(1)
	v_addc_co_u32_e32 v2, vcc, 0, v0, vcc
	v_add_co_u32_e32 v0, vcc, 0x1000, v1
	v_addc_co_u32_e32 v1, vcc, 0, v2, vcc
	s_waitcnt lgkmcnt(0)
	global_store_dwordx2 v[0:1], v[4:5], off offset:2048
.LBB1771_69:
	s_endpgm
.LBB1771_70:
	s_or_b64 exec, exec, s[4:5]
	s_and_saveexec_b64 s[4:5], s[0:1]
	s_cbranch_execz .LBB1771_64
.LBB1771_71:
	s_waitcnt lgkmcnt(2)
	global_store_dwordx2 v[6:7], v[8:9], off offset:2048
	s_or_b64 exec, exec, s[4:5]
	s_and_saveexec_b64 s[0:1], s[2:3]
	s_cbranch_execnz .LBB1771_65
	s_branch .LBB1771_66
	.section	.rodata,"a",@progbits
	.p2align	6, 0x0
	.amdhsa_kernel _ZN7rocprim17ROCPRIM_400000_NS6detail17trampoline_kernelINS0_14default_configENS1_38merge_sort_block_merge_config_selectorIflEEZZNS1_27merge_sort_block_merge_implIS3_PfN6thrust23THRUST_200600_302600_NS10device_ptrIlEEjNS1_19radix_merge_compareILb0ELb0EfNS0_19identity_decomposerEEEEE10hipError_tT0_T1_T2_jT3_P12ihipStream_tbPNSt15iterator_traitsISG_E10value_typeEPNSM_ISH_E10value_typeEPSI_NS1_7vsmem_tEENKUlT_SG_SH_SI_E_clIS7_S7_PlSB_EESF_SV_SG_SH_SI_EUlSV_E0_NS1_11comp_targetILNS1_3genE4ELNS1_11target_archE910ELNS1_3gpuE8ELNS1_3repE0EEENS1_38merge_mergepath_config_static_selectorELNS0_4arch9wavefront6targetE1EEEvSH_
		.amdhsa_group_segment_fixed_size 8448
		.amdhsa_private_segment_fixed_size 0
		.amdhsa_kernarg_size 320
		.amdhsa_user_sgpr_count 6
		.amdhsa_user_sgpr_private_segment_buffer 1
		.amdhsa_user_sgpr_dispatch_ptr 0
		.amdhsa_user_sgpr_queue_ptr 0
		.amdhsa_user_sgpr_kernarg_segment_ptr 1
		.amdhsa_user_sgpr_dispatch_id 0
		.amdhsa_user_sgpr_flat_scratch_init 0
		.amdhsa_user_sgpr_kernarg_preload_length 0
		.amdhsa_user_sgpr_kernarg_preload_offset 0
		.amdhsa_user_sgpr_private_segment_size 0
		.amdhsa_uses_dynamic_stack 0
		.amdhsa_system_sgpr_private_segment_wavefront_offset 0
		.amdhsa_system_sgpr_workgroup_id_x 1
		.amdhsa_system_sgpr_workgroup_id_y 1
		.amdhsa_system_sgpr_workgroup_id_z 1
		.amdhsa_system_sgpr_workgroup_info 0
		.amdhsa_system_vgpr_workitem_id 0
		.amdhsa_next_free_vgpr 35
		.amdhsa_next_free_sgpr 30
		.amdhsa_accum_offset 36
		.amdhsa_reserve_vcc 1
		.amdhsa_reserve_flat_scratch 0
		.amdhsa_float_round_mode_32 0
		.amdhsa_float_round_mode_16_64 0
		.amdhsa_float_denorm_mode_32 3
		.amdhsa_float_denorm_mode_16_64 3
		.amdhsa_dx10_clamp 1
		.amdhsa_ieee_mode 1
		.amdhsa_fp16_overflow 0
		.amdhsa_tg_split 0
		.amdhsa_exception_fp_ieee_invalid_op 0
		.amdhsa_exception_fp_denorm_src 0
		.amdhsa_exception_fp_ieee_div_zero 0
		.amdhsa_exception_fp_ieee_overflow 0
		.amdhsa_exception_fp_ieee_underflow 0
		.amdhsa_exception_fp_ieee_inexact 0
		.amdhsa_exception_int_div_zero 0
	.end_amdhsa_kernel
	.section	.text._ZN7rocprim17ROCPRIM_400000_NS6detail17trampoline_kernelINS0_14default_configENS1_38merge_sort_block_merge_config_selectorIflEEZZNS1_27merge_sort_block_merge_implIS3_PfN6thrust23THRUST_200600_302600_NS10device_ptrIlEEjNS1_19radix_merge_compareILb0ELb0EfNS0_19identity_decomposerEEEEE10hipError_tT0_T1_T2_jT3_P12ihipStream_tbPNSt15iterator_traitsISG_E10value_typeEPNSM_ISH_E10value_typeEPSI_NS1_7vsmem_tEENKUlT_SG_SH_SI_E_clIS7_S7_PlSB_EESF_SV_SG_SH_SI_EUlSV_E0_NS1_11comp_targetILNS1_3genE4ELNS1_11target_archE910ELNS1_3gpuE8ELNS1_3repE0EEENS1_38merge_mergepath_config_static_selectorELNS0_4arch9wavefront6targetE1EEEvSH_,"axG",@progbits,_ZN7rocprim17ROCPRIM_400000_NS6detail17trampoline_kernelINS0_14default_configENS1_38merge_sort_block_merge_config_selectorIflEEZZNS1_27merge_sort_block_merge_implIS3_PfN6thrust23THRUST_200600_302600_NS10device_ptrIlEEjNS1_19radix_merge_compareILb0ELb0EfNS0_19identity_decomposerEEEEE10hipError_tT0_T1_T2_jT3_P12ihipStream_tbPNSt15iterator_traitsISG_E10value_typeEPNSM_ISH_E10value_typeEPSI_NS1_7vsmem_tEENKUlT_SG_SH_SI_E_clIS7_S7_PlSB_EESF_SV_SG_SH_SI_EUlSV_E0_NS1_11comp_targetILNS1_3genE4ELNS1_11target_archE910ELNS1_3gpuE8ELNS1_3repE0EEENS1_38merge_mergepath_config_static_selectorELNS0_4arch9wavefront6targetE1EEEvSH_,comdat
.Lfunc_end1771:
	.size	_ZN7rocprim17ROCPRIM_400000_NS6detail17trampoline_kernelINS0_14default_configENS1_38merge_sort_block_merge_config_selectorIflEEZZNS1_27merge_sort_block_merge_implIS3_PfN6thrust23THRUST_200600_302600_NS10device_ptrIlEEjNS1_19radix_merge_compareILb0ELb0EfNS0_19identity_decomposerEEEEE10hipError_tT0_T1_T2_jT3_P12ihipStream_tbPNSt15iterator_traitsISG_E10value_typeEPNSM_ISH_E10value_typeEPSI_NS1_7vsmem_tEENKUlT_SG_SH_SI_E_clIS7_S7_PlSB_EESF_SV_SG_SH_SI_EUlSV_E0_NS1_11comp_targetILNS1_3genE4ELNS1_11target_archE910ELNS1_3gpuE8ELNS1_3repE0EEENS1_38merge_mergepath_config_static_selectorELNS0_4arch9wavefront6targetE1EEEvSH_, .Lfunc_end1771-_ZN7rocprim17ROCPRIM_400000_NS6detail17trampoline_kernelINS0_14default_configENS1_38merge_sort_block_merge_config_selectorIflEEZZNS1_27merge_sort_block_merge_implIS3_PfN6thrust23THRUST_200600_302600_NS10device_ptrIlEEjNS1_19radix_merge_compareILb0ELb0EfNS0_19identity_decomposerEEEEE10hipError_tT0_T1_T2_jT3_P12ihipStream_tbPNSt15iterator_traitsISG_E10value_typeEPNSM_ISH_E10value_typeEPSI_NS1_7vsmem_tEENKUlT_SG_SH_SI_E_clIS7_S7_PlSB_EESF_SV_SG_SH_SI_EUlSV_E0_NS1_11comp_targetILNS1_3genE4ELNS1_11target_archE910ELNS1_3gpuE8ELNS1_3repE0EEENS1_38merge_mergepath_config_static_selectorELNS0_4arch9wavefront6targetE1EEEvSH_
                                        ; -- End function
	.section	.AMDGPU.csdata,"",@progbits
; Kernel info:
; codeLenInByte = 3656
; NumSgprs: 34
; NumVgprs: 35
; NumAgprs: 0
; TotalNumVgprs: 35
; ScratchSize: 0
; MemoryBound: 0
; FloatMode: 240
; IeeeMode: 1
; LDSByteSize: 8448 bytes/workgroup (compile time only)
; SGPRBlocks: 4
; VGPRBlocks: 4
; NumSGPRsForWavesPerEU: 34
; NumVGPRsForWavesPerEU: 35
; AccumOffset: 36
; Occupancy: 7
; WaveLimiterHint : 1
; COMPUTE_PGM_RSRC2:SCRATCH_EN: 0
; COMPUTE_PGM_RSRC2:USER_SGPR: 6
; COMPUTE_PGM_RSRC2:TRAP_HANDLER: 0
; COMPUTE_PGM_RSRC2:TGID_X_EN: 1
; COMPUTE_PGM_RSRC2:TGID_Y_EN: 1
; COMPUTE_PGM_RSRC2:TGID_Z_EN: 1
; COMPUTE_PGM_RSRC2:TIDIG_COMP_CNT: 0
; COMPUTE_PGM_RSRC3_GFX90A:ACCUM_OFFSET: 8
; COMPUTE_PGM_RSRC3_GFX90A:TG_SPLIT: 0
	.section	.text._ZN7rocprim17ROCPRIM_400000_NS6detail17trampoline_kernelINS0_14default_configENS1_38merge_sort_block_merge_config_selectorIflEEZZNS1_27merge_sort_block_merge_implIS3_PfN6thrust23THRUST_200600_302600_NS10device_ptrIlEEjNS1_19radix_merge_compareILb0ELb0EfNS0_19identity_decomposerEEEEE10hipError_tT0_T1_T2_jT3_P12ihipStream_tbPNSt15iterator_traitsISG_E10value_typeEPNSM_ISH_E10value_typeEPSI_NS1_7vsmem_tEENKUlT_SG_SH_SI_E_clIS7_S7_PlSB_EESF_SV_SG_SH_SI_EUlSV_E0_NS1_11comp_targetILNS1_3genE3ELNS1_11target_archE908ELNS1_3gpuE7ELNS1_3repE0EEENS1_38merge_mergepath_config_static_selectorELNS0_4arch9wavefront6targetE1EEEvSH_,"axG",@progbits,_ZN7rocprim17ROCPRIM_400000_NS6detail17trampoline_kernelINS0_14default_configENS1_38merge_sort_block_merge_config_selectorIflEEZZNS1_27merge_sort_block_merge_implIS3_PfN6thrust23THRUST_200600_302600_NS10device_ptrIlEEjNS1_19radix_merge_compareILb0ELb0EfNS0_19identity_decomposerEEEEE10hipError_tT0_T1_T2_jT3_P12ihipStream_tbPNSt15iterator_traitsISG_E10value_typeEPNSM_ISH_E10value_typeEPSI_NS1_7vsmem_tEENKUlT_SG_SH_SI_E_clIS7_S7_PlSB_EESF_SV_SG_SH_SI_EUlSV_E0_NS1_11comp_targetILNS1_3genE3ELNS1_11target_archE908ELNS1_3gpuE7ELNS1_3repE0EEENS1_38merge_mergepath_config_static_selectorELNS0_4arch9wavefront6targetE1EEEvSH_,comdat
	.protected	_ZN7rocprim17ROCPRIM_400000_NS6detail17trampoline_kernelINS0_14default_configENS1_38merge_sort_block_merge_config_selectorIflEEZZNS1_27merge_sort_block_merge_implIS3_PfN6thrust23THRUST_200600_302600_NS10device_ptrIlEEjNS1_19radix_merge_compareILb0ELb0EfNS0_19identity_decomposerEEEEE10hipError_tT0_T1_T2_jT3_P12ihipStream_tbPNSt15iterator_traitsISG_E10value_typeEPNSM_ISH_E10value_typeEPSI_NS1_7vsmem_tEENKUlT_SG_SH_SI_E_clIS7_S7_PlSB_EESF_SV_SG_SH_SI_EUlSV_E0_NS1_11comp_targetILNS1_3genE3ELNS1_11target_archE908ELNS1_3gpuE7ELNS1_3repE0EEENS1_38merge_mergepath_config_static_selectorELNS0_4arch9wavefront6targetE1EEEvSH_ ; -- Begin function _ZN7rocprim17ROCPRIM_400000_NS6detail17trampoline_kernelINS0_14default_configENS1_38merge_sort_block_merge_config_selectorIflEEZZNS1_27merge_sort_block_merge_implIS3_PfN6thrust23THRUST_200600_302600_NS10device_ptrIlEEjNS1_19radix_merge_compareILb0ELb0EfNS0_19identity_decomposerEEEEE10hipError_tT0_T1_T2_jT3_P12ihipStream_tbPNSt15iterator_traitsISG_E10value_typeEPNSM_ISH_E10value_typeEPSI_NS1_7vsmem_tEENKUlT_SG_SH_SI_E_clIS7_S7_PlSB_EESF_SV_SG_SH_SI_EUlSV_E0_NS1_11comp_targetILNS1_3genE3ELNS1_11target_archE908ELNS1_3gpuE7ELNS1_3repE0EEENS1_38merge_mergepath_config_static_selectorELNS0_4arch9wavefront6targetE1EEEvSH_
	.globl	_ZN7rocprim17ROCPRIM_400000_NS6detail17trampoline_kernelINS0_14default_configENS1_38merge_sort_block_merge_config_selectorIflEEZZNS1_27merge_sort_block_merge_implIS3_PfN6thrust23THRUST_200600_302600_NS10device_ptrIlEEjNS1_19radix_merge_compareILb0ELb0EfNS0_19identity_decomposerEEEEE10hipError_tT0_T1_T2_jT3_P12ihipStream_tbPNSt15iterator_traitsISG_E10value_typeEPNSM_ISH_E10value_typeEPSI_NS1_7vsmem_tEENKUlT_SG_SH_SI_E_clIS7_S7_PlSB_EESF_SV_SG_SH_SI_EUlSV_E0_NS1_11comp_targetILNS1_3genE3ELNS1_11target_archE908ELNS1_3gpuE7ELNS1_3repE0EEENS1_38merge_mergepath_config_static_selectorELNS0_4arch9wavefront6targetE1EEEvSH_
	.p2align	8
	.type	_ZN7rocprim17ROCPRIM_400000_NS6detail17trampoline_kernelINS0_14default_configENS1_38merge_sort_block_merge_config_selectorIflEEZZNS1_27merge_sort_block_merge_implIS3_PfN6thrust23THRUST_200600_302600_NS10device_ptrIlEEjNS1_19radix_merge_compareILb0ELb0EfNS0_19identity_decomposerEEEEE10hipError_tT0_T1_T2_jT3_P12ihipStream_tbPNSt15iterator_traitsISG_E10value_typeEPNSM_ISH_E10value_typeEPSI_NS1_7vsmem_tEENKUlT_SG_SH_SI_E_clIS7_S7_PlSB_EESF_SV_SG_SH_SI_EUlSV_E0_NS1_11comp_targetILNS1_3genE3ELNS1_11target_archE908ELNS1_3gpuE7ELNS1_3repE0EEENS1_38merge_mergepath_config_static_selectorELNS0_4arch9wavefront6targetE1EEEvSH_,@function
_ZN7rocprim17ROCPRIM_400000_NS6detail17trampoline_kernelINS0_14default_configENS1_38merge_sort_block_merge_config_selectorIflEEZZNS1_27merge_sort_block_merge_implIS3_PfN6thrust23THRUST_200600_302600_NS10device_ptrIlEEjNS1_19radix_merge_compareILb0ELb0EfNS0_19identity_decomposerEEEEE10hipError_tT0_T1_T2_jT3_P12ihipStream_tbPNSt15iterator_traitsISG_E10value_typeEPNSM_ISH_E10value_typeEPSI_NS1_7vsmem_tEENKUlT_SG_SH_SI_E_clIS7_S7_PlSB_EESF_SV_SG_SH_SI_EUlSV_E0_NS1_11comp_targetILNS1_3genE3ELNS1_11target_archE908ELNS1_3gpuE7ELNS1_3repE0EEENS1_38merge_mergepath_config_static_selectorELNS0_4arch9wavefront6targetE1EEEvSH_: ; @_ZN7rocprim17ROCPRIM_400000_NS6detail17trampoline_kernelINS0_14default_configENS1_38merge_sort_block_merge_config_selectorIflEEZZNS1_27merge_sort_block_merge_implIS3_PfN6thrust23THRUST_200600_302600_NS10device_ptrIlEEjNS1_19radix_merge_compareILb0ELb0EfNS0_19identity_decomposerEEEEE10hipError_tT0_T1_T2_jT3_P12ihipStream_tbPNSt15iterator_traitsISG_E10value_typeEPNSM_ISH_E10value_typeEPSI_NS1_7vsmem_tEENKUlT_SG_SH_SI_E_clIS7_S7_PlSB_EESF_SV_SG_SH_SI_EUlSV_E0_NS1_11comp_targetILNS1_3genE3ELNS1_11target_archE908ELNS1_3gpuE7ELNS1_3repE0EEENS1_38merge_mergepath_config_static_selectorELNS0_4arch9wavefront6targetE1EEEvSH_
; %bb.0:
	.section	.rodata,"a",@progbits
	.p2align	6, 0x0
	.amdhsa_kernel _ZN7rocprim17ROCPRIM_400000_NS6detail17trampoline_kernelINS0_14default_configENS1_38merge_sort_block_merge_config_selectorIflEEZZNS1_27merge_sort_block_merge_implIS3_PfN6thrust23THRUST_200600_302600_NS10device_ptrIlEEjNS1_19radix_merge_compareILb0ELb0EfNS0_19identity_decomposerEEEEE10hipError_tT0_T1_T2_jT3_P12ihipStream_tbPNSt15iterator_traitsISG_E10value_typeEPNSM_ISH_E10value_typeEPSI_NS1_7vsmem_tEENKUlT_SG_SH_SI_E_clIS7_S7_PlSB_EESF_SV_SG_SH_SI_EUlSV_E0_NS1_11comp_targetILNS1_3genE3ELNS1_11target_archE908ELNS1_3gpuE7ELNS1_3repE0EEENS1_38merge_mergepath_config_static_selectorELNS0_4arch9wavefront6targetE1EEEvSH_
		.amdhsa_group_segment_fixed_size 0
		.amdhsa_private_segment_fixed_size 0
		.amdhsa_kernarg_size 64
		.amdhsa_user_sgpr_count 6
		.amdhsa_user_sgpr_private_segment_buffer 1
		.amdhsa_user_sgpr_dispatch_ptr 0
		.amdhsa_user_sgpr_queue_ptr 0
		.amdhsa_user_sgpr_kernarg_segment_ptr 1
		.amdhsa_user_sgpr_dispatch_id 0
		.amdhsa_user_sgpr_flat_scratch_init 0
		.amdhsa_user_sgpr_kernarg_preload_length 0
		.amdhsa_user_sgpr_kernarg_preload_offset 0
		.amdhsa_user_sgpr_private_segment_size 0
		.amdhsa_uses_dynamic_stack 0
		.amdhsa_system_sgpr_private_segment_wavefront_offset 0
		.amdhsa_system_sgpr_workgroup_id_x 1
		.amdhsa_system_sgpr_workgroup_id_y 0
		.amdhsa_system_sgpr_workgroup_id_z 0
		.amdhsa_system_sgpr_workgroup_info 0
		.amdhsa_system_vgpr_workitem_id 0
		.amdhsa_next_free_vgpr 1
		.amdhsa_next_free_sgpr 0
		.amdhsa_accum_offset 4
		.amdhsa_reserve_vcc 0
		.amdhsa_reserve_flat_scratch 0
		.amdhsa_float_round_mode_32 0
		.amdhsa_float_round_mode_16_64 0
		.amdhsa_float_denorm_mode_32 3
		.amdhsa_float_denorm_mode_16_64 3
		.amdhsa_dx10_clamp 1
		.amdhsa_ieee_mode 1
		.amdhsa_fp16_overflow 0
		.amdhsa_tg_split 0
		.amdhsa_exception_fp_ieee_invalid_op 0
		.amdhsa_exception_fp_denorm_src 0
		.amdhsa_exception_fp_ieee_div_zero 0
		.amdhsa_exception_fp_ieee_overflow 0
		.amdhsa_exception_fp_ieee_underflow 0
		.amdhsa_exception_fp_ieee_inexact 0
		.amdhsa_exception_int_div_zero 0
	.end_amdhsa_kernel
	.section	.text._ZN7rocprim17ROCPRIM_400000_NS6detail17trampoline_kernelINS0_14default_configENS1_38merge_sort_block_merge_config_selectorIflEEZZNS1_27merge_sort_block_merge_implIS3_PfN6thrust23THRUST_200600_302600_NS10device_ptrIlEEjNS1_19radix_merge_compareILb0ELb0EfNS0_19identity_decomposerEEEEE10hipError_tT0_T1_T2_jT3_P12ihipStream_tbPNSt15iterator_traitsISG_E10value_typeEPNSM_ISH_E10value_typeEPSI_NS1_7vsmem_tEENKUlT_SG_SH_SI_E_clIS7_S7_PlSB_EESF_SV_SG_SH_SI_EUlSV_E0_NS1_11comp_targetILNS1_3genE3ELNS1_11target_archE908ELNS1_3gpuE7ELNS1_3repE0EEENS1_38merge_mergepath_config_static_selectorELNS0_4arch9wavefront6targetE1EEEvSH_,"axG",@progbits,_ZN7rocprim17ROCPRIM_400000_NS6detail17trampoline_kernelINS0_14default_configENS1_38merge_sort_block_merge_config_selectorIflEEZZNS1_27merge_sort_block_merge_implIS3_PfN6thrust23THRUST_200600_302600_NS10device_ptrIlEEjNS1_19radix_merge_compareILb0ELb0EfNS0_19identity_decomposerEEEEE10hipError_tT0_T1_T2_jT3_P12ihipStream_tbPNSt15iterator_traitsISG_E10value_typeEPNSM_ISH_E10value_typeEPSI_NS1_7vsmem_tEENKUlT_SG_SH_SI_E_clIS7_S7_PlSB_EESF_SV_SG_SH_SI_EUlSV_E0_NS1_11comp_targetILNS1_3genE3ELNS1_11target_archE908ELNS1_3gpuE7ELNS1_3repE0EEENS1_38merge_mergepath_config_static_selectorELNS0_4arch9wavefront6targetE1EEEvSH_,comdat
.Lfunc_end1772:
	.size	_ZN7rocprim17ROCPRIM_400000_NS6detail17trampoline_kernelINS0_14default_configENS1_38merge_sort_block_merge_config_selectorIflEEZZNS1_27merge_sort_block_merge_implIS3_PfN6thrust23THRUST_200600_302600_NS10device_ptrIlEEjNS1_19radix_merge_compareILb0ELb0EfNS0_19identity_decomposerEEEEE10hipError_tT0_T1_T2_jT3_P12ihipStream_tbPNSt15iterator_traitsISG_E10value_typeEPNSM_ISH_E10value_typeEPSI_NS1_7vsmem_tEENKUlT_SG_SH_SI_E_clIS7_S7_PlSB_EESF_SV_SG_SH_SI_EUlSV_E0_NS1_11comp_targetILNS1_3genE3ELNS1_11target_archE908ELNS1_3gpuE7ELNS1_3repE0EEENS1_38merge_mergepath_config_static_selectorELNS0_4arch9wavefront6targetE1EEEvSH_, .Lfunc_end1772-_ZN7rocprim17ROCPRIM_400000_NS6detail17trampoline_kernelINS0_14default_configENS1_38merge_sort_block_merge_config_selectorIflEEZZNS1_27merge_sort_block_merge_implIS3_PfN6thrust23THRUST_200600_302600_NS10device_ptrIlEEjNS1_19radix_merge_compareILb0ELb0EfNS0_19identity_decomposerEEEEE10hipError_tT0_T1_T2_jT3_P12ihipStream_tbPNSt15iterator_traitsISG_E10value_typeEPNSM_ISH_E10value_typeEPSI_NS1_7vsmem_tEENKUlT_SG_SH_SI_E_clIS7_S7_PlSB_EESF_SV_SG_SH_SI_EUlSV_E0_NS1_11comp_targetILNS1_3genE3ELNS1_11target_archE908ELNS1_3gpuE7ELNS1_3repE0EEENS1_38merge_mergepath_config_static_selectorELNS0_4arch9wavefront6targetE1EEEvSH_
                                        ; -- End function
	.section	.AMDGPU.csdata,"",@progbits
; Kernel info:
; codeLenInByte = 0
; NumSgprs: 4
; NumVgprs: 0
; NumAgprs: 0
; TotalNumVgprs: 0
; ScratchSize: 0
; MemoryBound: 0
; FloatMode: 240
; IeeeMode: 1
; LDSByteSize: 0 bytes/workgroup (compile time only)
; SGPRBlocks: 0
; VGPRBlocks: 0
; NumSGPRsForWavesPerEU: 4
; NumVGPRsForWavesPerEU: 1
; AccumOffset: 4
; Occupancy: 8
; WaveLimiterHint : 0
; COMPUTE_PGM_RSRC2:SCRATCH_EN: 0
; COMPUTE_PGM_RSRC2:USER_SGPR: 6
; COMPUTE_PGM_RSRC2:TRAP_HANDLER: 0
; COMPUTE_PGM_RSRC2:TGID_X_EN: 1
; COMPUTE_PGM_RSRC2:TGID_Y_EN: 0
; COMPUTE_PGM_RSRC2:TGID_Z_EN: 0
; COMPUTE_PGM_RSRC2:TIDIG_COMP_CNT: 0
; COMPUTE_PGM_RSRC3_GFX90A:ACCUM_OFFSET: 0
; COMPUTE_PGM_RSRC3_GFX90A:TG_SPLIT: 0
	.section	.text._ZN7rocprim17ROCPRIM_400000_NS6detail17trampoline_kernelINS0_14default_configENS1_38merge_sort_block_merge_config_selectorIflEEZZNS1_27merge_sort_block_merge_implIS3_PfN6thrust23THRUST_200600_302600_NS10device_ptrIlEEjNS1_19radix_merge_compareILb0ELb0EfNS0_19identity_decomposerEEEEE10hipError_tT0_T1_T2_jT3_P12ihipStream_tbPNSt15iterator_traitsISG_E10value_typeEPNSM_ISH_E10value_typeEPSI_NS1_7vsmem_tEENKUlT_SG_SH_SI_E_clIS7_S7_PlSB_EESF_SV_SG_SH_SI_EUlSV_E0_NS1_11comp_targetILNS1_3genE2ELNS1_11target_archE906ELNS1_3gpuE6ELNS1_3repE0EEENS1_38merge_mergepath_config_static_selectorELNS0_4arch9wavefront6targetE1EEEvSH_,"axG",@progbits,_ZN7rocprim17ROCPRIM_400000_NS6detail17trampoline_kernelINS0_14default_configENS1_38merge_sort_block_merge_config_selectorIflEEZZNS1_27merge_sort_block_merge_implIS3_PfN6thrust23THRUST_200600_302600_NS10device_ptrIlEEjNS1_19radix_merge_compareILb0ELb0EfNS0_19identity_decomposerEEEEE10hipError_tT0_T1_T2_jT3_P12ihipStream_tbPNSt15iterator_traitsISG_E10value_typeEPNSM_ISH_E10value_typeEPSI_NS1_7vsmem_tEENKUlT_SG_SH_SI_E_clIS7_S7_PlSB_EESF_SV_SG_SH_SI_EUlSV_E0_NS1_11comp_targetILNS1_3genE2ELNS1_11target_archE906ELNS1_3gpuE6ELNS1_3repE0EEENS1_38merge_mergepath_config_static_selectorELNS0_4arch9wavefront6targetE1EEEvSH_,comdat
	.protected	_ZN7rocprim17ROCPRIM_400000_NS6detail17trampoline_kernelINS0_14default_configENS1_38merge_sort_block_merge_config_selectorIflEEZZNS1_27merge_sort_block_merge_implIS3_PfN6thrust23THRUST_200600_302600_NS10device_ptrIlEEjNS1_19radix_merge_compareILb0ELb0EfNS0_19identity_decomposerEEEEE10hipError_tT0_T1_T2_jT3_P12ihipStream_tbPNSt15iterator_traitsISG_E10value_typeEPNSM_ISH_E10value_typeEPSI_NS1_7vsmem_tEENKUlT_SG_SH_SI_E_clIS7_S7_PlSB_EESF_SV_SG_SH_SI_EUlSV_E0_NS1_11comp_targetILNS1_3genE2ELNS1_11target_archE906ELNS1_3gpuE6ELNS1_3repE0EEENS1_38merge_mergepath_config_static_selectorELNS0_4arch9wavefront6targetE1EEEvSH_ ; -- Begin function _ZN7rocprim17ROCPRIM_400000_NS6detail17trampoline_kernelINS0_14default_configENS1_38merge_sort_block_merge_config_selectorIflEEZZNS1_27merge_sort_block_merge_implIS3_PfN6thrust23THRUST_200600_302600_NS10device_ptrIlEEjNS1_19radix_merge_compareILb0ELb0EfNS0_19identity_decomposerEEEEE10hipError_tT0_T1_T2_jT3_P12ihipStream_tbPNSt15iterator_traitsISG_E10value_typeEPNSM_ISH_E10value_typeEPSI_NS1_7vsmem_tEENKUlT_SG_SH_SI_E_clIS7_S7_PlSB_EESF_SV_SG_SH_SI_EUlSV_E0_NS1_11comp_targetILNS1_3genE2ELNS1_11target_archE906ELNS1_3gpuE6ELNS1_3repE0EEENS1_38merge_mergepath_config_static_selectorELNS0_4arch9wavefront6targetE1EEEvSH_
	.globl	_ZN7rocprim17ROCPRIM_400000_NS6detail17trampoline_kernelINS0_14default_configENS1_38merge_sort_block_merge_config_selectorIflEEZZNS1_27merge_sort_block_merge_implIS3_PfN6thrust23THRUST_200600_302600_NS10device_ptrIlEEjNS1_19radix_merge_compareILb0ELb0EfNS0_19identity_decomposerEEEEE10hipError_tT0_T1_T2_jT3_P12ihipStream_tbPNSt15iterator_traitsISG_E10value_typeEPNSM_ISH_E10value_typeEPSI_NS1_7vsmem_tEENKUlT_SG_SH_SI_E_clIS7_S7_PlSB_EESF_SV_SG_SH_SI_EUlSV_E0_NS1_11comp_targetILNS1_3genE2ELNS1_11target_archE906ELNS1_3gpuE6ELNS1_3repE0EEENS1_38merge_mergepath_config_static_selectorELNS0_4arch9wavefront6targetE1EEEvSH_
	.p2align	8
	.type	_ZN7rocprim17ROCPRIM_400000_NS6detail17trampoline_kernelINS0_14default_configENS1_38merge_sort_block_merge_config_selectorIflEEZZNS1_27merge_sort_block_merge_implIS3_PfN6thrust23THRUST_200600_302600_NS10device_ptrIlEEjNS1_19radix_merge_compareILb0ELb0EfNS0_19identity_decomposerEEEEE10hipError_tT0_T1_T2_jT3_P12ihipStream_tbPNSt15iterator_traitsISG_E10value_typeEPNSM_ISH_E10value_typeEPSI_NS1_7vsmem_tEENKUlT_SG_SH_SI_E_clIS7_S7_PlSB_EESF_SV_SG_SH_SI_EUlSV_E0_NS1_11comp_targetILNS1_3genE2ELNS1_11target_archE906ELNS1_3gpuE6ELNS1_3repE0EEENS1_38merge_mergepath_config_static_selectorELNS0_4arch9wavefront6targetE1EEEvSH_,@function
_ZN7rocprim17ROCPRIM_400000_NS6detail17trampoline_kernelINS0_14default_configENS1_38merge_sort_block_merge_config_selectorIflEEZZNS1_27merge_sort_block_merge_implIS3_PfN6thrust23THRUST_200600_302600_NS10device_ptrIlEEjNS1_19radix_merge_compareILb0ELb0EfNS0_19identity_decomposerEEEEE10hipError_tT0_T1_T2_jT3_P12ihipStream_tbPNSt15iterator_traitsISG_E10value_typeEPNSM_ISH_E10value_typeEPSI_NS1_7vsmem_tEENKUlT_SG_SH_SI_E_clIS7_S7_PlSB_EESF_SV_SG_SH_SI_EUlSV_E0_NS1_11comp_targetILNS1_3genE2ELNS1_11target_archE906ELNS1_3gpuE6ELNS1_3repE0EEENS1_38merge_mergepath_config_static_selectorELNS0_4arch9wavefront6targetE1EEEvSH_: ; @_ZN7rocprim17ROCPRIM_400000_NS6detail17trampoline_kernelINS0_14default_configENS1_38merge_sort_block_merge_config_selectorIflEEZZNS1_27merge_sort_block_merge_implIS3_PfN6thrust23THRUST_200600_302600_NS10device_ptrIlEEjNS1_19radix_merge_compareILb0ELb0EfNS0_19identity_decomposerEEEEE10hipError_tT0_T1_T2_jT3_P12ihipStream_tbPNSt15iterator_traitsISG_E10value_typeEPNSM_ISH_E10value_typeEPSI_NS1_7vsmem_tEENKUlT_SG_SH_SI_E_clIS7_S7_PlSB_EESF_SV_SG_SH_SI_EUlSV_E0_NS1_11comp_targetILNS1_3genE2ELNS1_11target_archE906ELNS1_3gpuE6ELNS1_3repE0EEENS1_38merge_mergepath_config_static_selectorELNS0_4arch9wavefront6targetE1EEEvSH_
; %bb.0:
	.section	.rodata,"a",@progbits
	.p2align	6, 0x0
	.amdhsa_kernel _ZN7rocprim17ROCPRIM_400000_NS6detail17trampoline_kernelINS0_14default_configENS1_38merge_sort_block_merge_config_selectorIflEEZZNS1_27merge_sort_block_merge_implIS3_PfN6thrust23THRUST_200600_302600_NS10device_ptrIlEEjNS1_19radix_merge_compareILb0ELb0EfNS0_19identity_decomposerEEEEE10hipError_tT0_T1_T2_jT3_P12ihipStream_tbPNSt15iterator_traitsISG_E10value_typeEPNSM_ISH_E10value_typeEPSI_NS1_7vsmem_tEENKUlT_SG_SH_SI_E_clIS7_S7_PlSB_EESF_SV_SG_SH_SI_EUlSV_E0_NS1_11comp_targetILNS1_3genE2ELNS1_11target_archE906ELNS1_3gpuE6ELNS1_3repE0EEENS1_38merge_mergepath_config_static_selectorELNS0_4arch9wavefront6targetE1EEEvSH_
		.amdhsa_group_segment_fixed_size 0
		.amdhsa_private_segment_fixed_size 0
		.amdhsa_kernarg_size 64
		.amdhsa_user_sgpr_count 6
		.amdhsa_user_sgpr_private_segment_buffer 1
		.amdhsa_user_sgpr_dispatch_ptr 0
		.amdhsa_user_sgpr_queue_ptr 0
		.amdhsa_user_sgpr_kernarg_segment_ptr 1
		.amdhsa_user_sgpr_dispatch_id 0
		.amdhsa_user_sgpr_flat_scratch_init 0
		.amdhsa_user_sgpr_kernarg_preload_length 0
		.amdhsa_user_sgpr_kernarg_preload_offset 0
		.amdhsa_user_sgpr_private_segment_size 0
		.amdhsa_uses_dynamic_stack 0
		.amdhsa_system_sgpr_private_segment_wavefront_offset 0
		.amdhsa_system_sgpr_workgroup_id_x 1
		.amdhsa_system_sgpr_workgroup_id_y 0
		.amdhsa_system_sgpr_workgroup_id_z 0
		.amdhsa_system_sgpr_workgroup_info 0
		.amdhsa_system_vgpr_workitem_id 0
		.amdhsa_next_free_vgpr 1
		.amdhsa_next_free_sgpr 0
		.amdhsa_accum_offset 4
		.amdhsa_reserve_vcc 0
		.amdhsa_reserve_flat_scratch 0
		.amdhsa_float_round_mode_32 0
		.amdhsa_float_round_mode_16_64 0
		.amdhsa_float_denorm_mode_32 3
		.amdhsa_float_denorm_mode_16_64 3
		.amdhsa_dx10_clamp 1
		.amdhsa_ieee_mode 1
		.amdhsa_fp16_overflow 0
		.amdhsa_tg_split 0
		.amdhsa_exception_fp_ieee_invalid_op 0
		.amdhsa_exception_fp_denorm_src 0
		.amdhsa_exception_fp_ieee_div_zero 0
		.amdhsa_exception_fp_ieee_overflow 0
		.amdhsa_exception_fp_ieee_underflow 0
		.amdhsa_exception_fp_ieee_inexact 0
		.amdhsa_exception_int_div_zero 0
	.end_amdhsa_kernel
	.section	.text._ZN7rocprim17ROCPRIM_400000_NS6detail17trampoline_kernelINS0_14default_configENS1_38merge_sort_block_merge_config_selectorIflEEZZNS1_27merge_sort_block_merge_implIS3_PfN6thrust23THRUST_200600_302600_NS10device_ptrIlEEjNS1_19radix_merge_compareILb0ELb0EfNS0_19identity_decomposerEEEEE10hipError_tT0_T1_T2_jT3_P12ihipStream_tbPNSt15iterator_traitsISG_E10value_typeEPNSM_ISH_E10value_typeEPSI_NS1_7vsmem_tEENKUlT_SG_SH_SI_E_clIS7_S7_PlSB_EESF_SV_SG_SH_SI_EUlSV_E0_NS1_11comp_targetILNS1_3genE2ELNS1_11target_archE906ELNS1_3gpuE6ELNS1_3repE0EEENS1_38merge_mergepath_config_static_selectorELNS0_4arch9wavefront6targetE1EEEvSH_,"axG",@progbits,_ZN7rocprim17ROCPRIM_400000_NS6detail17trampoline_kernelINS0_14default_configENS1_38merge_sort_block_merge_config_selectorIflEEZZNS1_27merge_sort_block_merge_implIS3_PfN6thrust23THRUST_200600_302600_NS10device_ptrIlEEjNS1_19radix_merge_compareILb0ELb0EfNS0_19identity_decomposerEEEEE10hipError_tT0_T1_T2_jT3_P12ihipStream_tbPNSt15iterator_traitsISG_E10value_typeEPNSM_ISH_E10value_typeEPSI_NS1_7vsmem_tEENKUlT_SG_SH_SI_E_clIS7_S7_PlSB_EESF_SV_SG_SH_SI_EUlSV_E0_NS1_11comp_targetILNS1_3genE2ELNS1_11target_archE906ELNS1_3gpuE6ELNS1_3repE0EEENS1_38merge_mergepath_config_static_selectorELNS0_4arch9wavefront6targetE1EEEvSH_,comdat
.Lfunc_end1773:
	.size	_ZN7rocprim17ROCPRIM_400000_NS6detail17trampoline_kernelINS0_14default_configENS1_38merge_sort_block_merge_config_selectorIflEEZZNS1_27merge_sort_block_merge_implIS3_PfN6thrust23THRUST_200600_302600_NS10device_ptrIlEEjNS1_19radix_merge_compareILb0ELb0EfNS0_19identity_decomposerEEEEE10hipError_tT0_T1_T2_jT3_P12ihipStream_tbPNSt15iterator_traitsISG_E10value_typeEPNSM_ISH_E10value_typeEPSI_NS1_7vsmem_tEENKUlT_SG_SH_SI_E_clIS7_S7_PlSB_EESF_SV_SG_SH_SI_EUlSV_E0_NS1_11comp_targetILNS1_3genE2ELNS1_11target_archE906ELNS1_3gpuE6ELNS1_3repE0EEENS1_38merge_mergepath_config_static_selectorELNS0_4arch9wavefront6targetE1EEEvSH_, .Lfunc_end1773-_ZN7rocprim17ROCPRIM_400000_NS6detail17trampoline_kernelINS0_14default_configENS1_38merge_sort_block_merge_config_selectorIflEEZZNS1_27merge_sort_block_merge_implIS3_PfN6thrust23THRUST_200600_302600_NS10device_ptrIlEEjNS1_19radix_merge_compareILb0ELb0EfNS0_19identity_decomposerEEEEE10hipError_tT0_T1_T2_jT3_P12ihipStream_tbPNSt15iterator_traitsISG_E10value_typeEPNSM_ISH_E10value_typeEPSI_NS1_7vsmem_tEENKUlT_SG_SH_SI_E_clIS7_S7_PlSB_EESF_SV_SG_SH_SI_EUlSV_E0_NS1_11comp_targetILNS1_3genE2ELNS1_11target_archE906ELNS1_3gpuE6ELNS1_3repE0EEENS1_38merge_mergepath_config_static_selectorELNS0_4arch9wavefront6targetE1EEEvSH_
                                        ; -- End function
	.section	.AMDGPU.csdata,"",@progbits
; Kernel info:
; codeLenInByte = 0
; NumSgprs: 4
; NumVgprs: 0
; NumAgprs: 0
; TotalNumVgprs: 0
; ScratchSize: 0
; MemoryBound: 0
; FloatMode: 240
; IeeeMode: 1
; LDSByteSize: 0 bytes/workgroup (compile time only)
; SGPRBlocks: 0
; VGPRBlocks: 0
; NumSGPRsForWavesPerEU: 4
; NumVGPRsForWavesPerEU: 1
; AccumOffset: 4
; Occupancy: 8
; WaveLimiterHint : 0
; COMPUTE_PGM_RSRC2:SCRATCH_EN: 0
; COMPUTE_PGM_RSRC2:USER_SGPR: 6
; COMPUTE_PGM_RSRC2:TRAP_HANDLER: 0
; COMPUTE_PGM_RSRC2:TGID_X_EN: 1
; COMPUTE_PGM_RSRC2:TGID_Y_EN: 0
; COMPUTE_PGM_RSRC2:TGID_Z_EN: 0
; COMPUTE_PGM_RSRC2:TIDIG_COMP_CNT: 0
; COMPUTE_PGM_RSRC3_GFX90A:ACCUM_OFFSET: 0
; COMPUTE_PGM_RSRC3_GFX90A:TG_SPLIT: 0
	.section	.text._ZN7rocprim17ROCPRIM_400000_NS6detail17trampoline_kernelINS0_14default_configENS1_38merge_sort_block_merge_config_selectorIflEEZZNS1_27merge_sort_block_merge_implIS3_PfN6thrust23THRUST_200600_302600_NS10device_ptrIlEEjNS1_19radix_merge_compareILb0ELb0EfNS0_19identity_decomposerEEEEE10hipError_tT0_T1_T2_jT3_P12ihipStream_tbPNSt15iterator_traitsISG_E10value_typeEPNSM_ISH_E10value_typeEPSI_NS1_7vsmem_tEENKUlT_SG_SH_SI_E_clIS7_S7_PlSB_EESF_SV_SG_SH_SI_EUlSV_E0_NS1_11comp_targetILNS1_3genE9ELNS1_11target_archE1100ELNS1_3gpuE3ELNS1_3repE0EEENS1_38merge_mergepath_config_static_selectorELNS0_4arch9wavefront6targetE1EEEvSH_,"axG",@progbits,_ZN7rocprim17ROCPRIM_400000_NS6detail17trampoline_kernelINS0_14default_configENS1_38merge_sort_block_merge_config_selectorIflEEZZNS1_27merge_sort_block_merge_implIS3_PfN6thrust23THRUST_200600_302600_NS10device_ptrIlEEjNS1_19radix_merge_compareILb0ELb0EfNS0_19identity_decomposerEEEEE10hipError_tT0_T1_T2_jT3_P12ihipStream_tbPNSt15iterator_traitsISG_E10value_typeEPNSM_ISH_E10value_typeEPSI_NS1_7vsmem_tEENKUlT_SG_SH_SI_E_clIS7_S7_PlSB_EESF_SV_SG_SH_SI_EUlSV_E0_NS1_11comp_targetILNS1_3genE9ELNS1_11target_archE1100ELNS1_3gpuE3ELNS1_3repE0EEENS1_38merge_mergepath_config_static_selectorELNS0_4arch9wavefront6targetE1EEEvSH_,comdat
	.protected	_ZN7rocprim17ROCPRIM_400000_NS6detail17trampoline_kernelINS0_14default_configENS1_38merge_sort_block_merge_config_selectorIflEEZZNS1_27merge_sort_block_merge_implIS3_PfN6thrust23THRUST_200600_302600_NS10device_ptrIlEEjNS1_19radix_merge_compareILb0ELb0EfNS0_19identity_decomposerEEEEE10hipError_tT0_T1_T2_jT3_P12ihipStream_tbPNSt15iterator_traitsISG_E10value_typeEPNSM_ISH_E10value_typeEPSI_NS1_7vsmem_tEENKUlT_SG_SH_SI_E_clIS7_S7_PlSB_EESF_SV_SG_SH_SI_EUlSV_E0_NS1_11comp_targetILNS1_3genE9ELNS1_11target_archE1100ELNS1_3gpuE3ELNS1_3repE0EEENS1_38merge_mergepath_config_static_selectorELNS0_4arch9wavefront6targetE1EEEvSH_ ; -- Begin function _ZN7rocprim17ROCPRIM_400000_NS6detail17trampoline_kernelINS0_14default_configENS1_38merge_sort_block_merge_config_selectorIflEEZZNS1_27merge_sort_block_merge_implIS3_PfN6thrust23THRUST_200600_302600_NS10device_ptrIlEEjNS1_19radix_merge_compareILb0ELb0EfNS0_19identity_decomposerEEEEE10hipError_tT0_T1_T2_jT3_P12ihipStream_tbPNSt15iterator_traitsISG_E10value_typeEPNSM_ISH_E10value_typeEPSI_NS1_7vsmem_tEENKUlT_SG_SH_SI_E_clIS7_S7_PlSB_EESF_SV_SG_SH_SI_EUlSV_E0_NS1_11comp_targetILNS1_3genE9ELNS1_11target_archE1100ELNS1_3gpuE3ELNS1_3repE0EEENS1_38merge_mergepath_config_static_selectorELNS0_4arch9wavefront6targetE1EEEvSH_
	.globl	_ZN7rocprim17ROCPRIM_400000_NS6detail17trampoline_kernelINS0_14default_configENS1_38merge_sort_block_merge_config_selectorIflEEZZNS1_27merge_sort_block_merge_implIS3_PfN6thrust23THRUST_200600_302600_NS10device_ptrIlEEjNS1_19radix_merge_compareILb0ELb0EfNS0_19identity_decomposerEEEEE10hipError_tT0_T1_T2_jT3_P12ihipStream_tbPNSt15iterator_traitsISG_E10value_typeEPNSM_ISH_E10value_typeEPSI_NS1_7vsmem_tEENKUlT_SG_SH_SI_E_clIS7_S7_PlSB_EESF_SV_SG_SH_SI_EUlSV_E0_NS1_11comp_targetILNS1_3genE9ELNS1_11target_archE1100ELNS1_3gpuE3ELNS1_3repE0EEENS1_38merge_mergepath_config_static_selectorELNS0_4arch9wavefront6targetE1EEEvSH_
	.p2align	8
	.type	_ZN7rocprim17ROCPRIM_400000_NS6detail17trampoline_kernelINS0_14default_configENS1_38merge_sort_block_merge_config_selectorIflEEZZNS1_27merge_sort_block_merge_implIS3_PfN6thrust23THRUST_200600_302600_NS10device_ptrIlEEjNS1_19radix_merge_compareILb0ELb0EfNS0_19identity_decomposerEEEEE10hipError_tT0_T1_T2_jT3_P12ihipStream_tbPNSt15iterator_traitsISG_E10value_typeEPNSM_ISH_E10value_typeEPSI_NS1_7vsmem_tEENKUlT_SG_SH_SI_E_clIS7_S7_PlSB_EESF_SV_SG_SH_SI_EUlSV_E0_NS1_11comp_targetILNS1_3genE9ELNS1_11target_archE1100ELNS1_3gpuE3ELNS1_3repE0EEENS1_38merge_mergepath_config_static_selectorELNS0_4arch9wavefront6targetE1EEEvSH_,@function
_ZN7rocprim17ROCPRIM_400000_NS6detail17trampoline_kernelINS0_14default_configENS1_38merge_sort_block_merge_config_selectorIflEEZZNS1_27merge_sort_block_merge_implIS3_PfN6thrust23THRUST_200600_302600_NS10device_ptrIlEEjNS1_19radix_merge_compareILb0ELb0EfNS0_19identity_decomposerEEEEE10hipError_tT0_T1_T2_jT3_P12ihipStream_tbPNSt15iterator_traitsISG_E10value_typeEPNSM_ISH_E10value_typeEPSI_NS1_7vsmem_tEENKUlT_SG_SH_SI_E_clIS7_S7_PlSB_EESF_SV_SG_SH_SI_EUlSV_E0_NS1_11comp_targetILNS1_3genE9ELNS1_11target_archE1100ELNS1_3gpuE3ELNS1_3repE0EEENS1_38merge_mergepath_config_static_selectorELNS0_4arch9wavefront6targetE1EEEvSH_: ; @_ZN7rocprim17ROCPRIM_400000_NS6detail17trampoline_kernelINS0_14default_configENS1_38merge_sort_block_merge_config_selectorIflEEZZNS1_27merge_sort_block_merge_implIS3_PfN6thrust23THRUST_200600_302600_NS10device_ptrIlEEjNS1_19radix_merge_compareILb0ELb0EfNS0_19identity_decomposerEEEEE10hipError_tT0_T1_T2_jT3_P12ihipStream_tbPNSt15iterator_traitsISG_E10value_typeEPNSM_ISH_E10value_typeEPSI_NS1_7vsmem_tEENKUlT_SG_SH_SI_E_clIS7_S7_PlSB_EESF_SV_SG_SH_SI_EUlSV_E0_NS1_11comp_targetILNS1_3genE9ELNS1_11target_archE1100ELNS1_3gpuE3ELNS1_3repE0EEENS1_38merge_mergepath_config_static_selectorELNS0_4arch9wavefront6targetE1EEEvSH_
; %bb.0:
	.section	.rodata,"a",@progbits
	.p2align	6, 0x0
	.amdhsa_kernel _ZN7rocprim17ROCPRIM_400000_NS6detail17trampoline_kernelINS0_14default_configENS1_38merge_sort_block_merge_config_selectorIflEEZZNS1_27merge_sort_block_merge_implIS3_PfN6thrust23THRUST_200600_302600_NS10device_ptrIlEEjNS1_19radix_merge_compareILb0ELb0EfNS0_19identity_decomposerEEEEE10hipError_tT0_T1_T2_jT3_P12ihipStream_tbPNSt15iterator_traitsISG_E10value_typeEPNSM_ISH_E10value_typeEPSI_NS1_7vsmem_tEENKUlT_SG_SH_SI_E_clIS7_S7_PlSB_EESF_SV_SG_SH_SI_EUlSV_E0_NS1_11comp_targetILNS1_3genE9ELNS1_11target_archE1100ELNS1_3gpuE3ELNS1_3repE0EEENS1_38merge_mergepath_config_static_selectorELNS0_4arch9wavefront6targetE1EEEvSH_
		.amdhsa_group_segment_fixed_size 0
		.amdhsa_private_segment_fixed_size 0
		.amdhsa_kernarg_size 64
		.amdhsa_user_sgpr_count 6
		.amdhsa_user_sgpr_private_segment_buffer 1
		.amdhsa_user_sgpr_dispatch_ptr 0
		.amdhsa_user_sgpr_queue_ptr 0
		.amdhsa_user_sgpr_kernarg_segment_ptr 1
		.amdhsa_user_sgpr_dispatch_id 0
		.amdhsa_user_sgpr_flat_scratch_init 0
		.amdhsa_user_sgpr_kernarg_preload_length 0
		.amdhsa_user_sgpr_kernarg_preload_offset 0
		.amdhsa_user_sgpr_private_segment_size 0
		.amdhsa_uses_dynamic_stack 0
		.amdhsa_system_sgpr_private_segment_wavefront_offset 0
		.amdhsa_system_sgpr_workgroup_id_x 1
		.amdhsa_system_sgpr_workgroup_id_y 0
		.amdhsa_system_sgpr_workgroup_id_z 0
		.amdhsa_system_sgpr_workgroup_info 0
		.amdhsa_system_vgpr_workitem_id 0
		.amdhsa_next_free_vgpr 1
		.amdhsa_next_free_sgpr 0
		.amdhsa_accum_offset 4
		.amdhsa_reserve_vcc 0
		.amdhsa_reserve_flat_scratch 0
		.amdhsa_float_round_mode_32 0
		.amdhsa_float_round_mode_16_64 0
		.amdhsa_float_denorm_mode_32 3
		.amdhsa_float_denorm_mode_16_64 3
		.amdhsa_dx10_clamp 1
		.amdhsa_ieee_mode 1
		.amdhsa_fp16_overflow 0
		.amdhsa_tg_split 0
		.amdhsa_exception_fp_ieee_invalid_op 0
		.amdhsa_exception_fp_denorm_src 0
		.amdhsa_exception_fp_ieee_div_zero 0
		.amdhsa_exception_fp_ieee_overflow 0
		.amdhsa_exception_fp_ieee_underflow 0
		.amdhsa_exception_fp_ieee_inexact 0
		.amdhsa_exception_int_div_zero 0
	.end_amdhsa_kernel
	.section	.text._ZN7rocprim17ROCPRIM_400000_NS6detail17trampoline_kernelINS0_14default_configENS1_38merge_sort_block_merge_config_selectorIflEEZZNS1_27merge_sort_block_merge_implIS3_PfN6thrust23THRUST_200600_302600_NS10device_ptrIlEEjNS1_19radix_merge_compareILb0ELb0EfNS0_19identity_decomposerEEEEE10hipError_tT0_T1_T2_jT3_P12ihipStream_tbPNSt15iterator_traitsISG_E10value_typeEPNSM_ISH_E10value_typeEPSI_NS1_7vsmem_tEENKUlT_SG_SH_SI_E_clIS7_S7_PlSB_EESF_SV_SG_SH_SI_EUlSV_E0_NS1_11comp_targetILNS1_3genE9ELNS1_11target_archE1100ELNS1_3gpuE3ELNS1_3repE0EEENS1_38merge_mergepath_config_static_selectorELNS0_4arch9wavefront6targetE1EEEvSH_,"axG",@progbits,_ZN7rocprim17ROCPRIM_400000_NS6detail17trampoline_kernelINS0_14default_configENS1_38merge_sort_block_merge_config_selectorIflEEZZNS1_27merge_sort_block_merge_implIS3_PfN6thrust23THRUST_200600_302600_NS10device_ptrIlEEjNS1_19radix_merge_compareILb0ELb0EfNS0_19identity_decomposerEEEEE10hipError_tT0_T1_T2_jT3_P12ihipStream_tbPNSt15iterator_traitsISG_E10value_typeEPNSM_ISH_E10value_typeEPSI_NS1_7vsmem_tEENKUlT_SG_SH_SI_E_clIS7_S7_PlSB_EESF_SV_SG_SH_SI_EUlSV_E0_NS1_11comp_targetILNS1_3genE9ELNS1_11target_archE1100ELNS1_3gpuE3ELNS1_3repE0EEENS1_38merge_mergepath_config_static_selectorELNS0_4arch9wavefront6targetE1EEEvSH_,comdat
.Lfunc_end1774:
	.size	_ZN7rocprim17ROCPRIM_400000_NS6detail17trampoline_kernelINS0_14default_configENS1_38merge_sort_block_merge_config_selectorIflEEZZNS1_27merge_sort_block_merge_implIS3_PfN6thrust23THRUST_200600_302600_NS10device_ptrIlEEjNS1_19radix_merge_compareILb0ELb0EfNS0_19identity_decomposerEEEEE10hipError_tT0_T1_T2_jT3_P12ihipStream_tbPNSt15iterator_traitsISG_E10value_typeEPNSM_ISH_E10value_typeEPSI_NS1_7vsmem_tEENKUlT_SG_SH_SI_E_clIS7_S7_PlSB_EESF_SV_SG_SH_SI_EUlSV_E0_NS1_11comp_targetILNS1_3genE9ELNS1_11target_archE1100ELNS1_3gpuE3ELNS1_3repE0EEENS1_38merge_mergepath_config_static_selectorELNS0_4arch9wavefront6targetE1EEEvSH_, .Lfunc_end1774-_ZN7rocprim17ROCPRIM_400000_NS6detail17trampoline_kernelINS0_14default_configENS1_38merge_sort_block_merge_config_selectorIflEEZZNS1_27merge_sort_block_merge_implIS3_PfN6thrust23THRUST_200600_302600_NS10device_ptrIlEEjNS1_19radix_merge_compareILb0ELb0EfNS0_19identity_decomposerEEEEE10hipError_tT0_T1_T2_jT3_P12ihipStream_tbPNSt15iterator_traitsISG_E10value_typeEPNSM_ISH_E10value_typeEPSI_NS1_7vsmem_tEENKUlT_SG_SH_SI_E_clIS7_S7_PlSB_EESF_SV_SG_SH_SI_EUlSV_E0_NS1_11comp_targetILNS1_3genE9ELNS1_11target_archE1100ELNS1_3gpuE3ELNS1_3repE0EEENS1_38merge_mergepath_config_static_selectorELNS0_4arch9wavefront6targetE1EEEvSH_
                                        ; -- End function
	.section	.AMDGPU.csdata,"",@progbits
; Kernel info:
; codeLenInByte = 0
; NumSgprs: 4
; NumVgprs: 0
; NumAgprs: 0
; TotalNumVgprs: 0
; ScratchSize: 0
; MemoryBound: 0
; FloatMode: 240
; IeeeMode: 1
; LDSByteSize: 0 bytes/workgroup (compile time only)
; SGPRBlocks: 0
; VGPRBlocks: 0
; NumSGPRsForWavesPerEU: 4
; NumVGPRsForWavesPerEU: 1
; AccumOffset: 4
; Occupancy: 8
; WaveLimiterHint : 0
; COMPUTE_PGM_RSRC2:SCRATCH_EN: 0
; COMPUTE_PGM_RSRC2:USER_SGPR: 6
; COMPUTE_PGM_RSRC2:TRAP_HANDLER: 0
; COMPUTE_PGM_RSRC2:TGID_X_EN: 1
; COMPUTE_PGM_RSRC2:TGID_Y_EN: 0
; COMPUTE_PGM_RSRC2:TGID_Z_EN: 0
; COMPUTE_PGM_RSRC2:TIDIG_COMP_CNT: 0
; COMPUTE_PGM_RSRC3_GFX90A:ACCUM_OFFSET: 0
; COMPUTE_PGM_RSRC3_GFX90A:TG_SPLIT: 0
	.section	.text._ZN7rocprim17ROCPRIM_400000_NS6detail17trampoline_kernelINS0_14default_configENS1_38merge_sort_block_merge_config_selectorIflEEZZNS1_27merge_sort_block_merge_implIS3_PfN6thrust23THRUST_200600_302600_NS10device_ptrIlEEjNS1_19radix_merge_compareILb0ELb0EfNS0_19identity_decomposerEEEEE10hipError_tT0_T1_T2_jT3_P12ihipStream_tbPNSt15iterator_traitsISG_E10value_typeEPNSM_ISH_E10value_typeEPSI_NS1_7vsmem_tEENKUlT_SG_SH_SI_E_clIS7_S7_PlSB_EESF_SV_SG_SH_SI_EUlSV_E0_NS1_11comp_targetILNS1_3genE8ELNS1_11target_archE1030ELNS1_3gpuE2ELNS1_3repE0EEENS1_38merge_mergepath_config_static_selectorELNS0_4arch9wavefront6targetE1EEEvSH_,"axG",@progbits,_ZN7rocprim17ROCPRIM_400000_NS6detail17trampoline_kernelINS0_14default_configENS1_38merge_sort_block_merge_config_selectorIflEEZZNS1_27merge_sort_block_merge_implIS3_PfN6thrust23THRUST_200600_302600_NS10device_ptrIlEEjNS1_19radix_merge_compareILb0ELb0EfNS0_19identity_decomposerEEEEE10hipError_tT0_T1_T2_jT3_P12ihipStream_tbPNSt15iterator_traitsISG_E10value_typeEPNSM_ISH_E10value_typeEPSI_NS1_7vsmem_tEENKUlT_SG_SH_SI_E_clIS7_S7_PlSB_EESF_SV_SG_SH_SI_EUlSV_E0_NS1_11comp_targetILNS1_3genE8ELNS1_11target_archE1030ELNS1_3gpuE2ELNS1_3repE0EEENS1_38merge_mergepath_config_static_selectorELNS0_4arch9wavefront6targetE1EEEvSH_,comdat
	.protected	_ZN7rocprim17ROCPRIM_400000_NS6detail17trampoline_kernelINS0_14default_configENS1_38merge_sort_block_merge_config_selectorIflEEZZNS1_27merge_sort_block_merge_implIS3_PfN6thrust23THRUST_200600_302600_NS10device_ptrIlEEjNS1_19radix_merge_compareILb0ELb0EfNS0_19identity_decomposerEEEEE10hipError_tT0_T1_T2_jT3_P12ihipStream_tbPNSt15iterator_traitsISG_E10value_typeEPNSM_ISH_E10value_typeEPSI_NS1_7vsmem_tEENKUlT_SG_SH_SI_E_clIS7_S7_PlSB_EESF_SV_SG_SH_SI_EUlSV_E0_NS1_11comp_targetILNS1_3genE8ELNS1_11target_archE1030ELNS1_3gpuE2ELNS1_3repE0EEENS1_38merge_mergepath_config_static_selectorELNS0_4arch9wavefront6targetE1EEEvSH_ ; -- Begin function _ZN7rocprim17ROCPRIM_400000_NS6detail17trampoline_kernelINS0_14default_configENS1_38merge_sort_block_merge_config_selectorIflEEZZNS1_27merge_sort_block_merge_implIS3_PfN6thrust23THRUST_200600_302600_NS10device_ptrIlEEjNS1_19radix_merge_compareILb0ELb0EfNS0_19identity_decomposerEEEEE10hipError_tT0_T1_T2_jT3_P12ihipStream_tbPNSt15iterator_traitsISG_E10value_typeEPNSM_ISH_E10value_typeEPSI_NS1_7vsmem_tEENKUlT_SG_SH_SI_E_clIS7_S7_PlSB_EESF_SV_SG_SH_SI_EUlSV_E0_NS1_11comp_targetILNS1_3genE8ELNS1_11target_archE1030ELNS1_3gpuE2ELNS1_3repE0EEENS1_38merge_mergepath_config_static_selectorELNS0_4arch9wavefront6targetE1EEEvSH_
	.globl	_ZN7rocprim17ROCPRIM_400000_NS6detail17trampoline_kernelINS0_14default_configENS1_38merge_sort_block_merge_config_selectorIflEEZZNS1_27merge_sort_block_merge_implIS3_PfN6thrust23THRUST_200600_302600_NS10device_ptrIlEEjNS1_19radix_merge_compareILb0ELb0EfNS0_19identity_decomposerEEEEE10hipError_tT0_T1_T2_jT3_P12ihipStream_tbPNSt15iterator_traitsISG_E10value_typeEPNSM_ISH_E10value_typeEPSI_NS1_7vsmem_tEENKUlT_SG_SH_SI_E_clIS7_S7_PlSB_EESF_SV_SG_SH_SI_EUlSV_E0_NS1_11comp_targetILNS1_3genE8ELNS1_11target_archE1030ELNS1_3gpuE2ELNS1_3repE0EEENS1_38merge_mergepath_config_static_selectorELNS0_4arch9wavefront6targetE1EEEvSH_
	.p2align	8
	.type	_ZN7rocprim17ROCPRIM_400000_NS6detail17trampoline_kernelINS0_14default_configENS1_38merge_sort_block_merge_config_selectorIflEEZZNS1_27merge_sort_block_merge_implIS3_PfN6thrust23THRUST_200600_302600_NS10device_ptrIlEEjNS1_19radix_merge_compareILb0ELb0EfNS0_19identity_decomposerEEEEE10hipError_tT0_T1_T2_jT3_P12ihipStream_tbPNSt15iterator_traitsISG_E10value_typeEPNSM_ISH_E10value_typeEPSI_NS1_7vsmem_tEENKUlT_SG_SH_SI_E_clIS7_S7_PlSB_EESF_SV_SG_SH_SI_EUlSV_E0_NS1_11comp_targetILNS1_3genE8ELNS1_11target_archE1030ELNS1_3gpuE2ELNS1_3repE0EEENS1_38merge_mergepath_config_static_selectorELNS0_4arch9wavefront6targetE1EEEvSH_,@function
_ZN7rocprim17ROCPRIM_400000_NS6detail17trampoline_kernelINS0_14default_configENS1_38merge_sort_block_merge_config_selectorIflEEZZNS1_27merge_sort_block_merge_implIS3_PfN6thrust23THRUST_200600_302600_NS10device_ptrIlEEjNS1_19radix_merge_compareILb0ELb0EfNS0_19identity_decomposerEEEEE10hipError_tT0_T1_T2_jT3_P12ihipStream_tbPNSt15iterator_traitsISG_E10value_typeEPNSM_ISH_E10value_typeEPSI_NS1_7vsmem_tEENKUlT_SG_SH_SI_E_clIS7_S7_PlSB_EESF_SV_SG_SH_SI_EUlSV_E0_NS1_11comp_targetILNS1_3genE8ELNS1_11target_archE1030ELNS1_3gpuE2ELNS1_3repE0EEENS1_38merge_mergepath_config_static_selectorELNS0_4arch9wavefront6targetE1EEEvSH_: ; @_ZN7rocprim17ROCPRIM_400000_NS6detail17trampoline_kernelINS0_14default_configENS1_38merge_sort_block_merge_config_selectorIflEEZZNS1_27merge_sort_block_merge_implIS3_PfN6thrust23THRUST_200600_302600_NS10device_ptrIlEEjNS1_19radix_merge_compareILb0ELb0EfNS0_19identity_decomposerEEEEE10hipError_tT0_T1_T2_jT3_P12ihipStream_tbPNSt15iterator_traitsISG_E10value_typeEPNSM_ISH_E10value_typeEPSI_NS1_7vsmem_tEENKUlT_SG_SH_SI_E_clIS7_S7_PlSB_EESF_SV_SG_SH_SI_EUlSV_E0_NS1_11comp_targetILNS1_3genE8ELNS1_11target_archE1030ELNS1_3gpuE2ELNS1_3repE0EEENS1_38merge_mergepath_config_static_selectorELNS0_4arch9wavefront6targetE1EEEvSH_
; %bb.0:
	.section	.rodata,"a",@progbits
	.p2align	6, 0x0
	.amdhsa_kernel _ZN7rocprim17ROCPRIM_400000_NS6detail17trampoline_kernelINS0_14default_configENS1_38merge_sort_block_merge_config_selectorIflEEZZNS1_27merge_sort_block_merge_implIS3_PfN6thrust23THRUST_200600_302600_NS10device_ptrIlEEjNS1_19radix_merge_compareILb0ELb0EfNS0_19identity_decomposerEEEEE10hipError_tT0_T1_T2_jT3_P12ihipStream_tbPNSt15iterator_traitsISG_E10value_typeEPNSM_ISH_E10value_typeEPSI_NS1_7vsmem_tEENKUlT_SG_SH_SI_E_clIS7_S7_PlSB_EESF_SV_SG_SH_SI_EUlSV_E0_NS1_11comp_targetILNS1_3genE8ELNS1_11target_archE1030ELNS1_3gpuE2ELNS1_3repE0EEENS1_38merge_mergepath_config_static_selectorELNS0_4arch9wavefront6targetE1EEEvSH_
		.amdhsa_group_segment_fixed_size 0
		.amdhsa_private_segment_fixed_size 0
		.amdhsa_kernarg_size 64
		.amdhsa_user_sgpr_count 6
		.amdhsa_user_sgpr_private_segment_buffer 1
		.amdhsa_user_sgpr_dispatch_ptr 0
		.amdhsa_user_sgpr_queue_ptr 0
		.amdhsa_user_sgpr_kernarg_segment_ptr 1
		.amdhsa_user_sgpr_dispatch_id 0
		.amdhsa_user_sgpr_flat_scratch_init 0
		.amdhsa_user_sgpr_kernarg_preload_length 0
		.amdhsa_user_sgpr_kernarg_preload_offset 0
		.amdhsa_user_sgpr_private_segment_size 0
		.amdhsa_uses_dynamic_stack 0
		.amdhsa_system_sgpr_private_segment_wavefront_offset 0
		.amdhsa_system_sgpr_workgroup_id_x 1
		.amdhsa_system_sgpr_workgroup_id_y 0
		.amdhsa_system_sgpr_workgroup_id_z 0
		.amdhsa_system_sgpr_workgroup_info 0
		.amdhsa_system_vgpr_workitem_id 0
		.amdhsa_next_free_vgpr 1
		.amdhsa_next_free_sgpr 0
		.amdhsa_accum_offset 4
		.amdhsa_reserve_vcc 0
		.amdhsa_reserve_flat_scratch 0
		.amdhsa_float_round_mode_32 0
		.amdhsa_float_round_mode_16_64 0
		.amdhsa_float_denorm_mode_32 3
		.amdhsa_float_denorm_mode_16_64 3
		.amdhsa_dx10_clamp 1
		.amdhsa_ieee_mode 1
		.amdhsa_fp16_overflow 0
		.amdhsa_tg_split 0
		.amdhsa_exception_fp_ieee_invalid_op 0
		.amdhsa_exception_fp_denorm_src 0
		.amdhsa_exception_fp_ieee_div_zero 0
		.amdhsa_exception_fp_ieee_overflow 0
		.amdhsa_exception_fp_ieee_underflow 0
		.amdhsa_exception_fp_ieee_inexact 0
		.amdhsa_exception_int_div_zero 0
	.end_amdhsa_kernel
	.section	.text._ZN7rocprim17ROCPRIM_400000_NS6detail17trampoline_kernelINS0_14default_configENS1_38merge_sort_block_merge_config_selectorIflEEZZNS1_27merge_sort_block_merge_implIS3_PfN6thrust23THRUST_200600_302600_NS10device_ptrIlEEjNS1_19radix_merge_compareILb0ELb0EfNS0_19identity_decomposerEEEEE10hipError_tT0_T1_T2_jT3_P12ihipStream_tbPNSt15iterator_traitsISG_E10value_typeEPNSM_ISH_E10value_typeEPSI_NS1_7vsmem_tEENKUlT_SG_SH_SI_E_clIS7_S7_PlSB_EESF_SV_SG_SH_SI_EUlSV_E0_NS1_11comp_targetILNS1_3genE8ELNS1_11target_archE1030ELNS1_3gpuE2ELNS1_3repE0EEENS1_38merge_mergepath_config_static_selectorELNS0_4arch9wavefront6targetE1EEEvSH_,"axG",@progbits,_ZN7rocprim17ROCPRIM_400000_NS6detail17trampoline_kernelINS0_14default_configENS1_38merge_sort_block_merge_config_selectorIflEEZZNS1_27merge_sort_block_merge_implIS3_PfN6thrust23THRUST_200600_302600_NS10device_ptrIlEEjNS1_19radix_merge_compareILb0ELb0EfNS0_19identity_decomposerEEEEE10hipError_tT0_T1_T2_jT3_P12ihipStream_tbPNSt15iterator_traitsISG_E10value_typeEPNSM_ISH_E10value_typeEPSI_NS1_7vsmem_tEENKUlT_SG_SH_SI_E_clIS7_S7_PlSB_EESF_SV_SG_SH_SI_EUlSV_E0_NS1_11comp_targetILNS1_3genE8ELNS1_11target_archE1030ELNS1_3gpuE2ELNS1_3repE0EEENS1_38merge_mergepath_config_static_selectorELNS0_4arch9wavefront6targetE1EEEvSH_,comdat
.Lfunc_end1775:
	.size	_ZN7rocprim17ROCPRIM_400000_NS6detail17trampoline_kernelINS0_14default_configENS1_38merge_sort_block_merge_config_selectorIflEEZZNS1_27merge_sort_block_merge_implIS3_PfN6thrust23THRUST_200600_302600_NS10device_ptrIlEEjNS1_19radix_merge_compareILb0ELb0EfNS0_19identity_decomposerEEEEE10hipError_tT0_T1_T2_jT3_P12ihipStream_tbPNSt15iterator_traitsISG_E10value_typeEPNSM_ISH_E10value_typeEPSI_NS1_7vsmem_tEENKUlT_SG_SH_SI_E_clIS7_S7_PlSB_EESF_SV_SG_SH_SI_EUlSV_E0_NS1_11comp_targetILNS1_3genE8ELNS1_11target_archE1030ELNS1_3gpuE2ELNS1_3repE0EEENS1_38merge_mergepath_config_static_selectorELNS0_4arch9wavefront6targetE1EEEvSH_, .Lfunc_end1775-_ZN7rocprim17ROCPRIM_400000_NS6detail17trampoline_kernelINS0_14default_configENS1_38merge_sort_block_merge_config_selectorIflEEZZNS1_27merge_sort_block_merge_implIS3_PfN6thrust23THRUST_200600_302600_NS10device_ptrIlEEjNS1_19radix_merge_compareILb0ELb0EfNS0_19identity_decomposerEEEEE10hipError_tT0_T1_T2_jT3_P12ihipStream_tbPNSt15iterator_traitsISG_E10value_typeEPNSM_ISH_E10value_typeEPSI_NS1_7vsmem_tEENKUlT_SG_SH_SI_E_clIS7_S7_PlSB_EESF_SV_SG_SH_SI_EUlSV_E0_NS1_11comp_targetILNS1_3genE8ELNS1_11target_archE1030ELNS1_3gpuE2ELNS1_3repE0EEENS1_38merge_mergepath_config_static_selectorELNS0_4arch9wavefront6targetE1EEEvSH_
                                        ; -- End function
	.section	.AMDGPU.csdata,"",@progbits
; Kernel info:
; codeLenInByte = 0
; NumSgprs: 4
; NumVgprs: 0
; NumAgprs: 0
; TotalNumVgprs: 0
; ScratchSize: 0
; MemoryBound: 0
; FloatMode: 240
; IeeeMode: 1
; LDSByteSize: 0 bytes/workgroup (compile time only)
; SGPRBlocks: 0
; VGPRBlocks: 0
; NumSGPRsForWavesPerEU: 4
; NumVGPRsForWavesPerEU: 1
; AccumOffset: 4
; Occupancy: 8
; WaveLimiterHint : 0
; COMPUTE_PGM_RSRC2:SCRATCH_EN: 0
; COMPUTE_PGM_RSRC2:USER_SGPR: 6
; COMPUTE_PGM_RSRC2:TRAP_HANDLER: 0
; COMPUTE_PGM_RSRC2:TGID_X_EN: 1
; COMPUTE_PGM_RSRC2:TGID_Y_EN: 0
; COMPUTE_PGM_RSRC2:TGID_Z_EN: 0
; COMPUTE_PGM_RSRC2:TIDIG_COMP_CNT: 0
; COMPUTE_PGM_RSRC3_GFX90A:ACCUM_OFFSET: 0
; COMPUTE_PGM_RSRC3_GFX90A:TG_SPLIT: 0
	.section	.text._ZN7rocprim17ROCPRIM_400000_NS6detail17trampoline_kernelINS0_14default_configENS1_38merge_sort_block_merge_config_selectorIflEEZZNS1_27merge_sort_block_merge_implIS3_PfN6thrust23THRUST_200600_302600_NS10device_ptrIlEEjNS1_19radix_merge_compareILb0ELb0EfNS0_19identity_decomposerEEEEE10hipError_tT0_T1_T2_jT3_P12ihipStream_tbPNSt15iterator_traitsISG_E10value_typeEPNSM_ISH_E10value_typeEPSI_NS1_7vsmem_tEENKUlT_SG_SH_SI_E_clIS7_S7_PlSB_EESF_SV_SG_SH_SI_EUlSV_E1_NS1_11comp_targetILNS1_3genE0ELNS1_11target_archE4294967295ELNS1_3gpuE0ELNS1_3repE0EEENS1_36merge_oddeven_config_static_selectorELNS0_4arch9wavefront6targetE1EEEvSH_,"axG",@progbits,_ZN7rocprim17ROCPRIM_400000_NS6detail17trampoline_kernelINS0_14default_configENS1_38merge_sort_block_merge_config_selectorIflEEZZNS1_27merge_sort_block_merge_implIS3_PfN6thrust23THRUST_200600_302600_NS10device_ptrIlEEjNS1_19radix_merge_compareILb0ELb0EfNS0_19identity_decomposerEEEEE10hipError_tT0_T1_T2_jT3_P12ihipStream_tbPNSt15iterator_traitsISG_E10value_typeEPNSM_ISH_E10value_typeEPSI_NS1_7vsmem_tEENKUlT_SG_SH_SI_E_clIS7_S7_PlSB_EESF_SV_SG_SH_SI_EUlSV_E1_NS1_11comp_targetILNS1_3genE0ELNS1_11target_archE4294967295ELNS1_3gpuE0ELNS1_3repE0EEENS1_36merge_oddeven_config_static_selectorELNS0_4arch9wavefront6targetE1EEEvSH_,comdat
	.protected	_ZN7rocprim17ROCPRIM_400000_NS6detail17trampoline_kernelINS0_14default_configENS1_38merge_sort_block_merge_config_selectorIflEEZZNS1_27merge_sort_block_merge_implIS3_PfN6thrust23THRUST_200600_302600_NS10device_ptrIlEEjNS1_19radix_merge_compareILb0ELb0EfNS0_19identity_decomposerEEEEE10hipError_tT0_T1_T2_jT3_P12ihipStream_tbPNSt15iterator_traitsISG_E10value_typeEPNSM_ISH_E10value_typeEPSI_NS1_7vsmem_tEENKUlT_SG_SH_SI_E_clIS7_S7_PlSB_EESF_SV_SG_SH_SI_EUlSV_E1_NS1_11comp_targetILNS1_3genE0ELNS1_11target_archE4294967295ELNS1_3gpuE0ELNS1_3repE0EEENS1_36merge_oddeven_config_static_selectorELNS0_4arch9wavefront6targetE1EEEvSH_ ; -- Begin function _ZN7rocprim17ROCPRIM_400000_NS6detail17trampoline_kernelINS0_14default_configENS1_38merge_sort_block_merge_config_selectorIflEEZZNS1_27merge_sort_block_merge_implIS3_PfN6thrust23THRUST_200600_302600_NS10device_ptrIlEEjNS1_19radix_merge_compareILb0ELb0EfNS0_19identity_decomposerEEEEE10hipError_tT0_T1_T2_jT3_P12ihipStream_tbPNSt15iterator_traitsISG_E10value_typeEPNSM_ISH_E10value_typeEPSI_NS1_7vsmem_tEENKUlT_SG_SH_SI_E_clIS7_S7_PlSB_EESF_SV_SG_SH_SI_EUlSV_E1_NS1_11comp_targetILNS1_3genE0ELNS1_11target_archE4294967295ELNS1_3gpuE0ELNS1_3repE0EEENS1_36merge_oddeven_config_static_selectorELNS0_4arch9wavefront6targetE1EEEvSH_
	.globl	_ZN7rocprim17ROCPRIM_400000_NS6detail17trampoline_kernelINS0_14default_configENS1_38merge_sort_block_merge_config_selectorIflEEZZNS1_27merge_sort_block_merge_implIS3_PfN6thrust23THRUST_200600_302600_NS10device_ptrIlEEjNS1_19radix_merge_compareILb0ELb0EfNS0_19identity_decomposerEEEEE10hipError_tT0_T1_T2_jT3_P12ihipStream_tbPNSt15iterator_traitsISG_E10value_typeEPNSM_ISH_E10value_typeEPSI_NS1_7vsmem_tEENKUlT_SG_SH_SI_E_clIS7_S7_PlSB_EESF_SV_SG_SH_SI_EUlSV_E1_NS1_11comp_targetILNS1_3genE0ELNS1_11target_archE4294967295ELNS1_3gpuE0ELNS1_3repE0EEENS1_36merge_oddeven_config_static_selectorELNS0_4arch9wavefront6targetE1EEEvSH_
	.p2align	8
	.type	_ZN7rocprim17ROCPRIM_400000_NS6detail17trampoline_kernelINS0_14default_configENS1_38merge_sort_block_merge_config_selectorIflEEZZNS1_27merge_sort_block_merge_implIS3_PfN6thrust23THRUST_200600_302600_NS10device_ptrIlEEjNS1_19radix_merge_compareILb0ELb0EfNS0_19identity_decomposerEEEEE10hipError_tT0_T1_T2_jT3_P12ihipStream_tbPNSt15iterator_traitsISG_E10value_typeEPNSM_ISH_E10value_typeEPSI_NS1_7vsmem_tEENKUlT_SG_SH_SI_E_clIS7_S7_PlSB_EESF_SV_SG_SH_SI_EUlSV_E1_NS1_11comp_targetILNS1_3genE0ELNS1_11target_archE4294967295ELNS1_3gpuE0ELNS1_3repE0EEENS1_36merge_oddeven_config_static_selectorELNS0_4arch9wavefront6targetE1EEEvSH_,@function
_ZN7rocprim17ROCPRIM_400000_NS6detail17trampoline_kernelINS0_14default_configENS1_38merge_sort_block_merge_config_selectorIflEEZZNS1_27merge_sort_block_merge_implIS3_PfN6thrust23THRUST_200600_302600_NS10device_ptrIlEEjNS1_19radix_merge_compareILb0ELb0EfNS0_19identity_decomposerEEEEE10hipError_tT0_T1_T2_jT3_P12ihipStream_tbPNSt15iterator_traitsISG_E10value_typeEPNSM_ISH_E10value_typeEPSI_NS1_7vsmem_tEENKUlT_SG_SH_SI_E_clIS7_S7_PlSB_EESF_SV_SG_SH_SI_EUlSV_E1_NS1_11comp_targetILNS1_3genE0ELNS1_11target_archE4294967295ELNS1_3gpuE0ELNS1_3repE0EEENS1_36merge_oddeven_config_static_selectorELNS0_4arch9wavefront6targetE1EEEvSH_: ; @_ZN7rocprim17ROCPRIM_400000_NS6detail17trampoline_kernelINS0_14default_configENS1_38merge_sort_block_merge_config_selectorIflEEZZNS1_27merge_sort_block_merge_implIS3_PfN6thrust23THRUST_200600_302600_NS10device_ptrIlEEjNS1_19radix_merge_compareILb0ELb0EfNS0_19identity_decomposerEEEEE10hipError_tT0_T1_T2_jT3_P12ihipStream_tbPNSt15iterator_traitsISG_E10value_typeEPNSM_ISH_E10value_typeEPSI_NS1_7vsmem_tEENKUlT_SG_SH_SI_E_clIS7_S7_PlSB_EESF_SV_SG_SH_SI_EUlSV_E1_NS1_11comp_targetILNS1_3genE0ELNS1_11target_archE4294967295ELNS1_3gpuE0ELNS1_3repE0EEENS1_36merge_oddeven_config_static_selectorELNS0_4arch9wavefront6targetE1EEEvSH_
; %bb.0:
	.section	.rodata,"a",@progbits
	.p2align	6, 0x0
	.amdhsa_kernel _ZN7rocprim17ROCPRIM_400000_NS6detail17trampoline_kernelINS0_14default_configENS1_38merge_sort_block_merge_config_selectorIflEEZZNS1_27merge_sort_block_merge_implIS3_PfN6thrust23THRUST_200600_302600_NS10device_ptrIlEEjNS1_19radix_merge_compareILb0ELb0EfNS0_19identity_decomposerEEEEE10hipError_tT0_T1_T2_jT3_P12ihipStream_tbPNSt15iterator_traitsISG_E10value_typeEPNSM_ISH_E10value_typeEPSI_NS1_7vsmem_tEENKUlT_SG_SH_SI_E_clIS7_S7_PlSB_EESF_SV_SG_SH_SI_EUlSV_E1_NS1_11comp_targetILNS1_3genE0ELNS1_11target_archE4294967295ELNS1_3gpuE0ELNS1_3repE0EEENS1_36merge_oddeven_config_static_selectorELNS0_4arch9wavefront6targetE1EEEvSH_
		.amdhsa_group_segment_fixed_size 0
		.amdhsa_private_segment_fixed_size 0
		.amdhsa_kernarg_size 48
		.amdhsa_user_sgpr_count 6
		.amdhsa_user_sgpr_private_segment_buffer 1
		.amdhsa_user_sgpr_dispatch_ptr 0
		.amdhsa_user_sgpr_queue_ptr 0
		.amdhsa_user_sgpr_kernarg_segment_ptr 1
		.amdhsa_user_sgpr_dispatch_id 0
		.amdhsa_user_sgpr_flat_scratch_init 0
		.amdhsa_user_sgpr_kernarg_preload_length 0
		.amdhsa_user_sgpr_kernarg_preload_offset 0
		.amdhsa_user_sgpr_private_segment_size 0
		.amdhsa_uses_dynamic_stack 0
		.amdhsa_system_sgpr_private_segment_wavefront_offset 0
		.amdhsa_system_sgpr_workgroup_id_x 1
		.amdhsa_system_sgpr_workgroup_id_y 0
		.amdhsa_system_sgpr_workgroup_id_z 0
		.amdhsa_system_sgpr_workgroup_info 0
		.amdhsa_system_vgpr_workitem_id 0
		.amdhsa_next_free_vgpr 1
		.amdhsa_next_free_sgpr 0
		.amdhsa_accum_offset 4
		.amdhsa_reserve_vcc 0
		.amdhsa_reserve_flat_scratch 0
		.amdhsa_float_round_mode_32 0
		.amdhsa_float_round_mode_16_64 0
		.amdhsa_float_denorm_mode_32 3
		.amdhsa_float_denorm_mode_16_64 3
		.amdhsa_dx10_clamp 1
		.amdhsa_ieee_mode 1
		.amdhsa_fp16_overflow 0
		.amdhsa_tg_split 0
		.amdhsa_exception_fp_ieee_invalid_op 0
		.amdhsa_exception_fp_denorm_src 0
		.amdhsa_exception_fp_ieee_div_zero 0
		.amdhsa_exception_fp_ieee_overflow 0
		.amdhsa_exception_fp_ieee_underflow 0
		.amdhsa_exception_fp_ieee_inexact 0
		.amdhsa_exception_int_div_zero 0
	.end_amdhsa_kernel
	.section	.text._ZN7rocprim17ROCPRIM_400000_NS6detail17trampoline_kernelINS0_14default_configENS1_38merge_sort_block_merge_config_selectorIflEEZZNS1_27merge_sort_block_merge_implIS3_PfN6thrust23THRUST_200600_302600_NS10device_ptrIlEEjNS1_19radix_merge_compareILb0ELb0EfNS0_19identity_decomposerEEEEE10hipError_tT0_T1_T2_jT3_P12ihipStream_tbPNSt15iterator_traitsISG_E10value_typeEPNSM_ISH_E10value_typeEPSI_NS1_7vsmem_tEENKUlT_SG_SH_SI_E_clIS7_S7_PlSB_EESF_SV_SG_SH_SI_EUlSV_E1_NS1_11comp_targetILNS1_3genE0ELNS1_11target_archE4294967295ELNS1_3gpuE0ELNS1_3repE0EEENS1_36merge_oddeven_config_static_selectorELNS0_4arch9wavefront6targetE1EEEvSH_,"axG",@progbits,_ZN7rocprim17ROCPRIM_400000_NS6detail17trampoline_kernelINS0_14default_configENS1_38merge_sort_block_merge_config_selectorIflEEZZNS1_27merge_sort_block_merge_implIS3_PfN6thrust23THRUST_200600_302600_NS10device_ptrIlEEjNS1_19radix_merge_compareILb0ELb0EfNS0_19identity_decomposerEEEEE10hipError_tT0_T1_T2_jT3_P12ihipStream_tbPNSt15iterator_traitsISG_E10value_typeEPNSM_ISH_E10value_typeEPSI_NS1_7vsmem_tEENKUlT_SG_SH_SI_E_clIS7_S7_PlSB_EESF_SV_SG_SH_SI_EUlSV_E1_NS1_11comp_targetILNS1_3genE0ELNS1_11target_archE4294967295ELNS1_3gpuE0ELNS1_3repE0EEENS1_36merge_oddeven_config_static_selectorELNS0_4arch9wavefront6targetE1EEEvSH_,comdat
.Lfunc_end1776:
	.size	_ZN7rocprim17ROCPRIM_400000_NS6detail17trampoline_kernelINS0_14default_configENS1_38merge_sort_block_merge_config_selectorIflEEZZNS1_27merge_sort_block_merge_implIS3_PfN6thrust23THRUST_200600_302600_NS10device_ptrIlEEjNS1_19radix_merge_compareILb0ELb0EfNS0_19identity_decomposerEEEEE10hipError_tT0_T1_T2_jT3_P12ihipStream_tbPNSt15iterator_traitsISG_E10value_typeEPNSM_ISH_E10value_typeEPSI_NS1_7vsmem_tEENKUlT_SG_SH_SI_E_clIS7_S7_PlSB_EESF_SV_SG_SH_SI_EUlSV_E1_NS1_11comp_targetILNS1_3genE0ELNS1_11target_archE4294967295ELNS1_3gpuE0ELNS1_3repE0EEENS1_36merge_oddeven_config_static_selectorELNS0_4arch9wavefront6targetE1EEEvSH_, .Lfunc_end1776-_ZN7rocprim17ROCPRIM_400000_NS6detail17trampoline_kernelINS0_14default_configENS1_38merge_sort_block_merge_config_selectorIflEEZZNS1_27merge_sort_block_merge_implIS3_PfN6thrust23THRUST_200600_302600_NS10device_ptrIlEEjNS1_19radix_merge_compareILb0ELb0EfNS0_19identity_decomposerEEEEE10hipError_tT0_T1_T2_jT3_P12ihipStream_tbPNSt15iterator_traitsISG_E10value_typeEPNSM_ISH_E10value_typeEPSI_NS1_7vsmem_tEENKUlT_SG_SH_SI_E_clIS7_S7_PlSB_EESF_SV_SG_SH_SI_EUlSV_E1_NS1_11comp_targetILNS1_3genE0ELNS1_11target_archE4294967295ELNS1_3gpuE0ELNS1_3repE0EEENS1_36merge_oddeven_config_static_selectorELNS0_4arch9wavefront6targetE1EEEvSH_
                                        ; -- End function
	.section	.AMDGPU.csdata,"",@progbits
; Kernel info:
; codeLenInByte = 0
; NumSgprs: 4
; NumVgprs: 0
; NumAgprs: 0
; TotalNumVgprs: 0
; ScratchSize: 0
; MemoryBound: 0
; FloatMode: 240
; IeeeMode: 1
; LDSByteSize: 0 bytes/workgroup (compile time only)
; SGPRBlocks: 0
; VGPRBlocks: 0
; NumSGPRsForWavesPerEU: 4
; NumVGPRsForWavesPerEU: 1
; AccumOffset: 4
; Occupancy: 8
; WaveLimiterHint : 0
; COMPUTE_PGM_RSRC2:SCRATCH_EN: 0
; COMPUTE_PGM_RSRC2:USER_SGPR: 6
; COMPUTE_PGM_RSRC2:TRAP_HANDLER: 0
; COMPUTE_PGM_RSRC2:TGID_X_EN: 1
; COMPUTE_PGM_RSRC2:TGID_Y_EN: 0
; COMPUTE_PGM_RSRC2:TGID_Z_EN: 0
; COMPUTE_PGM_RSRC2:TIDIG_COMP_CNT: 0
; COMPUTE_PGM_RSRC3_GFX90A:ACCUM_OFFSET: 0
; COMPUTE_PGM_RSRC3_GFX90A:TG_SPLIT: 0
	.section	.text._ZN7rocprim17ROCPRIM_400000_NS6detail17trampoline_kernelINS0_14default_configENS1_38merge_sort_block_merge_config_selectorIflEEZZNS1_27merge_sort_block_merge_implIS3_PfN6thrust23THRUST_200600_302600_NS10device_ptrIlEEjNS1_19radix_merge_compareILb0ELb0EfNS0_19identity_decomposerEEEEE10hipError_tT0_T1_T2_jT3_P12ihipStream_tbPNSt15iterator_traitsISG_E10value_typeEPNSM_ISH_E10value_typeEPSI_NS1_7vsmem_tEENKUlT_SG_SH_SI_E_clIS7_S7_PlSB_EESF_SV_SG_SH_SI_EUlSV_E1_NS1_11comp_targetILNS1_3genE10ELNS1_11target_archE1201ELNS1_3gpuE5ELNS1_3repE0EEENS1_36merge_oddeven_config_static_selectorELNS0_4arch9wavefront6targetE1EEEvSH_,"axG",@progbits,_ZN7rocprim17ROCPRIM_400000_NS6detail17trampoline_kernelINS0_14default_configENS1_38merge_sort_block_merge_config_selectorIflEEZZNS1_27merge_sort_block_merge_implIS3_PfN6thrust23THRUST_200600_302600_NS10device_ptrIlEEjNS1_19radix_merge_compareILb0ELb0EfNS0_19identity_decomposerEEEEE10hipError_tT0_T1_T2_jT3_P12ihipStream_tbPNSt15iterator_traitsISG_E10value_typeEPNSM_ISH_E10value_typeEPSI_NS1_7vsmem_tEENKUlT_SG_SH_SI_E_clIS7_S7_PlSB_EESF_SV_SG_SH_SI_EUlSV_E1_NS1_11comp_targetILNS1_3genE10ELNS1_11target_archE1201ELNS1_3gpuE5ELNS1_3repE0EEENS1_36merge_oddeven_config_static_selectorELNS0_4arch9wavefront6targetE1EEEvSH_,comdat
	.protected	_ZN7rocprim17ROCPRIM_400000_NS6detail17trampoline_kernelINS0_14default_configENS1_38merge_sort_block_merge_config_selectorIflEEZZNS1_27merge_sort_block_merge_implIS3_PfN6thrust23THRUST_200600_302600_NS10device_ptrIlEEjNS1_19radix_merge_compareILb0ELb0EfNS0_19identity_decomposerEEEEE10hipError_tT0_T1_T2_jT3_P12ihipStream_tbPNSt15iterator_traitsISG_E10value_typeEPNSM_ISH_E10value_typeEPSI_NS1_7vsmem_tEENKUlT_SG_SH_SI_E_clIS7_S7_PlSB_EESF_SV_SG_SH_SI_EUlSV_E1_NS1_11comp_targetILNS1_3genE10ELNS1_11target_archE1201ELNS1_3gpuE5ELNS1_3repE0EEENS1_36merge_oddeven_config_static_selectorELNS0_4arch9wavefront6targetE1EEEvSH_ ; -- Begin function _ZN7rocprim17ROCPRIM_400000_NS6detail17trampoline_kernelINS0_14default_configENS1_38merge_sort_block_merge_config_selectorIflEEZZNS1_27merge_sort_block_merge_implIS3_PfN6thrust23THRUST_200600_302600_NS10device_ptrIlEEjNS1_19radix_merge_compareILb0ELb0EfNS0_19identity_decomposerEEEEE10hipError_tT0_T1_T2_jT3_P12ihipStream_tbPNSt15iterator_traitsISG_E10value_typeEPNSM_ISH_E10value_typeEPSI_NS1_7vsmem_tEENKUlT_SG_SH_SI_E_clIS7_S7_PlSB_EESF_SV_SG_SH_SI_EUlSV_E1_NS1_11comp_targetILNS1_3genE10ELNS1_11target_archE1201ELNS1_3gpuE5ELNS1_3repE0EEENS1_36merge_oddeven_config_static_selectorELNS0_4arch9wavefront6targetE1EEEvSH_
	.globl	_ZN7rocprim17ROCPRIM_400000_NS6detail17trampoline_kernelINS0_14default_configENS1_38merge_sort_block_merge_config_selectorIflEEZZNS1_27merge_sort_block_merge_implIS3_PfN6thrust23THRUST_200600_302600_NS10device_ptrIlEEjNS1_19radix_merge_compareILb0ELb0EfNS0_19identity_decomposerEEEEE10hipError_tT0_T1_T2_jT3_P12ihipStream_tbPNSt15iterator_traitsISG_E10value_typeEPNSM_ISH_E10value_typeEPSI_NS1_7vsmem_tEENKUlT_SG_SH_SI_E_clIS7_S7_PlSB_EESF_SV_SG_SH_SI_EUlSV_E1_NS1_11comp_targetILNS1_3genE10ELNS1_11target_archE1201ELNS1_3gpuE5ELNS1_3repE0EEENS1_36merge_oddeven_config_static_selectorELNS0_4arch9wavefront6targetE1EEEvSH_
	.p2align	8
	.type	_ZN7rocprim17ROCPRIM_400000_NS6detail17trampoline_kernelINS0_14default_configENS1_38merge_sort_block_merge_config_selectorIflEEZZNS1_27merge_sort_block_merge_implIS3_PfN6thrust23THRUST_200600_302600_NS10device_ptrIlEEjNS1_19radix_merge_compareILb0ELb0EfNS0_19identity_decomposerEEEEE10hipError_tT0_T1_T2_jT3_P12ihipStream_tbPNSt15iterator_traitsISG_E10value_typeEPNSM_ISH_E10value_typeEPSI_NS1_7vsmem_tEENKUlT_SG_SH_SI_E_clIS7_S7_PlSB_EESF_SV_SG_SH_SI_EUlSV_E1_NS1_11comp_targetILNS1_3genE10ELNS1_11target_archE1201ELNS1_3gpuE5ELNS1_3repE0EEENS1_36merge_oddeven_config_static_selectorELNS0_4arch9wavefront6targetE1EEEvSH_,@function
_ZN7rocprim17ROCPRIM_400000_NS6detail17trampoline_kernelINS0_14default_configENS1_38merge_sort_block_merge_config_selectorIflEEZZNS1_27merge_sort_block_merge_implIS3_PfN6thrust23THRUST_200600_302600_NS10device_ptrIlEEjNS1_19radix_merge_compareILb0ELb0EfNS0_19identity_decomposerEEEEE10hipError_tT0_T1_T2_jT3_P12ihipStream_tbPNSt15iterator_traitsISG_E10value_typeEPNSM_ISH_E10value_typeEPSI_NS1_7vsmem_tEENKUlT_SG_SH_SI_E_clIS7_S7_PlSB_EESF_SV_SG_SH_SI_EUlSV_E1_NS1_11comp_targetILNS1_3genE10ELNS1_11target_archE1201ELNS1_3gpuE5ELNS1_3repE0EEENS1_36merge_oddeven_config_static_selectorELNS0_4arch9wavefront6targetE1EEEvSH_: ; @_ZN7rocprim17ROCPRIM_400000_NS6detail17trampoline_kernelINS0_14default_configENS1_38merge_sort_block_merge_config_selectorIflEEZZNS1_27merge_sort_block_merge_implIS3_PfN6thrust23THRUST_200600_302600_NS10device_ptrIlEEjNS1_19radix_merge_compareILb0ELb0EfNS0_19identity_decomposerEEEEE10hipError_tT0_T1_T2_jT3_P12ihipStream_tbPNSt15iterator_traitsISG_E10value_typeEPNSM_ISH_E10value_typeEPSI_NS1_7vsmem_tEENKUlT_SG_SH_SI_E_clIS7_S7_PlSB_EESF_SV_SG_SH_SI_EUlSV_E1_NS1_11comp_targetILNS1_3genE10ELNS1_11target_archE1201ELNS1_3gpuE5ELNS1_3repE0EEENS1_36merge_oddeven_config_static_selectorELNS0_4arch9wavefront6targetE1EEEvSH_
; %bb.0:
	.section	.rodata,"a",@progbits
	.p2align	6, 0x0
	.amdhsa_kernel _ZN7rocprim17ROCPRIM_400000_NS6detail17trampoline_kernelINS0_14default_configENS1_38merge_sort_block_merge_config_selectorIflEEZZNS1_27merge_sort_block_merge_implIS3_PfN6thrust23THRUST_200600_302600_NS10device_ptrIlEEjNS1_19radix_merge_compareILb0ELb0EfNS0_19identity_decomposerEEEEE10hipError_tT0_T1_T2_jT3_P12ihipStream_tbPNSt15iterator_traitsISG_E10value_typeEPNSM_ISH_E10value_typeEPSI_NS1_7vsmem_tEENKUlT_SG_SH_SI_E_clIS7_S7_PlSB_EESF_SV_SG_SH_SI_EUlSV_E1_NS1_11comp_targetILNS1_3genE10ELNS1_11target_archE1201ELNS1_3gpuE5ELNS1_3repE0EEENS1_36merge_oddeven_config_static_selectorELNS0_4arch9wavefront6targetE1EEEvSH_
		.amdhsa_group_segment_fixed_size 0
		.amdhsa_private_segment_fixed_size 0
		.amdhsa_kernarg_size 48
		.amdhsa_user_sgpr_count 6
		.amdhsa_user_sgpr_private_segment_buffer 1
		.amdhsa_user_sgpr_dispatch_ptr 0
		.amdhsa_user_sgpr_queue_ptr 0
		.amdhsa_user_sgpr_kernarg_segment_ptr 1
		.amdhsa_user_sgpr_dispatch_id 0
		.amdhsa_user_sgpr_flat_scratch_init 0
		.amdhsa_user_sgpr_kernarg_preload_length 0
		.amdhsa_user_sgpr_kernarg_preload_offset 0
		.amdhsa_user_sgpr_private_segment_size 0
		.amdhsa_uses_dynamic_stack 0
		.amdhsa_system_sgpr_private_segment_wavefront_offset 0
		.amdhsa_system_sgpr_workgroup_id_x 1
		.amdhsa_system_sgpr_workgroup_id_y 0
		.amdhsa_system_sgpr_workgroup_id_z 0
		.amdhsa_system_sgpr_workgroup_info 0
		.amdhsa_system_vgpr_workitem_id 0
		.amdhsa_next_free_vgpr 1
		.amdhsa_next_free_sgpr 0
		.amdhsa_accum_offset 4
		.amdhsa_reserve_vcc 0
		.amdhsa_reserve_flat_scratch 0
		.amdhsa_float_round_mode_32 0
		.amdhsa_float_round_mode_16_64 0
		.amdhsa_float_denorm_mode_32 3
		.amdhsa_float_denorm_mode_16_64 3
		.amdhsa_dx10_clamp 1
		.amdhsa_ieee_mode 1
		.amdhsa_fp16_overflow 0
		.amdhsa_tg_split 0
		.amdhsa_exception_fp_ieee_invalid_op 0
		.amdhsa_exception_fp_denorm_src 0
		.amdhsa_exception_fp_ieee_div_zero 0
		.amdhsa_exception_fp_ieee_overflow 0
		.amdhsa_exception_fp_ieee_underflow 0
		.amdhsa_exception_fp_ieee_inexact 0
		.amdhsa_exception_int_div_zero 0
	.end_amdhsa_kernel
	.section	.text._ZN7rocprim17ROCPRIM_400000_NS6detail17trampoline_kernelINS0_14default_configENS1_38merge_sort_block_merge_config_selectorIflEEZZNS1_27merge_sort_block_merge_implIS3_PfN6thrust23THRUST_200600_302600_NS10device_ptrIlEEjNS1_19radix_merge_compareILb0ELb0EfNS0_19identity_decomposerEEEEE10hipError_tT0_T1_T2_jT3_P12ihipStream_tbPNSt15iterator_traitsISG_E10value_typeEPNSM_ISH_E10value_typeEPSI_NS1_7vsmem_tEENKUlT_SG_SH_SI_E_clIS7_S7_PlSB_EESF_SV_SG_SH_SI_EUlSV_E1_NS1_11comp_targetILNS1_3genE10ELNS1_11target_archE1201ELNS1_3gpuE5ELNS1_3repE0EEENS1_36merge_oddeven_config_static_selectorELNS0_4arch9wavefront6targetE1EEEvSH_,"axG",@progbits,_ZN7rocprim17ROCPRIM_400000_NS6detail17trampoline_kernelINS0_14default_configENS1_38merge_sort_block_merge_config_selectorIflEEZZNS1_27merge_sort_block_merge_implIS3_PfN6thrust23THRUST_200600_302600_NS10device_ptrIlEEjNS1_19radix_merge_compareILb0ELb0EfNS0_19identity_decomposerEEEEE10hipError_tT0_T1_T2_jT3_P12ihipStream_tbPNSt15iterator_traitsISG_E10value_typeEPNSM_ISH_E10value_typeEPSI_NS1_7vsmem_tEENKUlT_SG_SH_SI_E_clIS7_S7_PlSB_EESF_SV_SG_SH_SI_EUlSV_E1_NS1_11comp_targetILNS1_3genE10ELNS1_11target_archE1201ELNS1_3gpuE5ELNS1_3repE0EEENS1_36merge_oddeven_config_static_selectorELNS0_4arch9wavefront6targetE1EEEvSH_,comdat
.Lfunc_end1777:
	.size	_ZN7rocprim17ROCPRIM_400000_NS6detail17trampoline_kernelINS0_14default_configENS1_38merge_sort_block_merge_config_selectorIflEEZZNS1_27merge_sort_block_merge_implIS3_PfN6thrust23THRUST_200600_302600_NS10device_ptrIlEEjNS1_19radix_merge_compareILb0ELb0EfNS0_19identity_decomposerEEEEE10hipError_tT0_T1_T2_jT3_P12ihipStream_tbPNSt15iterator_traitsISG_E10value_typeEPNSM_ISH_E10value_typeEPSI_NS1_7vsmem_tEENKUlT_SG_SH_SI_E_clIS7_S7_PlSB_EESF_SV_SG_SH_SI_EUlSV_E1_NS1_11comp_targetILNS1_3genE10ELNS1_11target_archE1201ELNS1_3gpuE5ELNS1_3repE0EEENS1_36merge_oddeven_config_static_selectorELNS0_4arch9wavefront6targetE1EEEvSH_, .Lfunc_end1777-_ZN7rocprim17ROCPRIM_400000_NS6detail17trampoline_kernelINS0_14default_configENS1_38merge_sort_block_merge_config_selectorIflEEZZNS1_27merge_sort_block_merge_implIS3_PfN6thrust23THRUST_200600_302600_NS10device_ptrIlEEjNS1_19radix_merge_compareILb0ELb0EfNS0_19identity_decomposerEEEEE10hipError_tT0_T1_T2_jT3_P12ihipStream_tbPNSt15iterator_traitsISG_E10value_typeEPNSM_ISH_E10value_typeEPSI_NS1_7vsmem_tEENKUlT_SG_SH_SI_E_clIS7_S7_PlSB_EESF_SV_SG_SH_SI_EUlSV_E1_NS1_11comp_targetILNS1_3genE10ELNS1_11target_archE1201ELNS1_3gpuE5ELNS1_3repE0EEENS1_36merge_oddeven_config_static_selectorELNS0_4arch9wavefront6targetE1EEEvSH_
                                        ; -- End function
	.section	.AMDGPU.csdata,"",@progbits
; Kernel info:
; codeLenInByte = 0
; NumSgprs: 4
; NumVgprs: 0
; NumAgprs: 0
; TotalNumVgprs: 0
; ScratchSize: 0
; MemoryBound: 0
; FloatMode: 240
; IeeeMode: 1
; LDSByteSize: 0 bytes/workgroup (compile time only)
; SGPRBlocks: 0
; VGPRBlocks: 0
; NumSGPRsForWavesPerEU: 4
; NumVGPRsForWavesPerEU: 1
; AccumOffset: 4
; Occupancy: 8
; WaveLimiterHint : 0
; COMPUTE_PGM_RSRC2:SCRATCH_EN: 0
; COMPUTE_PGM_RSRC2:USER_SGPR: 6
; COMPUTE_PGM_RSRC2:TRAP_HANDLER: 0
; COMPUTE_PGM_RSRC2:TGID_X_EN: 1
; COMPUTE_PGM_RSRC2:TGID_Y_EN: 0
; COMPUTE_PGM_RSRC2:TGID_Z_EN: 0
; COMPUTE_PGM_RSRC2:TIDIG_COMP_CNT: 0
; COMPUTE_PGM_RSRC3_GFX90A:ACCUM_OFFSET: 0
; COMPUTE_PGM_RSRC3_GFX90A:TG_SPLIT: 0
	.section	.text._ZN7rocprim17ROCPRIM_400000_NS6detail17trampoline_kernelINS0_14default_configENS1_38merge_sort_block_merge_config_selectorIflEEZZNS1_27merge_sort_block_merge_implIS3_PfN6thrust23THRUST_200600_302600_NS10device_ptrIlEEjNS1_19radix_merge_compareILb0ELb0EfNS0_19identity_decomposerEEEEE10hipError_tT0_T1_T2_jT3_P12ihipStream_tbPNSt15iterator_traitsISG_E10value_typeEPNSM_ISH_E10value_typeEPSI_NS1_7vsmem_tEENKUlT_SG_SH_SI_E_clIS7_S7_PlSB_EESF_SV_SG_SH_SI_EUlSV_E1_NS1_11comp_targetILNS1_3genE5ELNS1_11target_archE942ELNS1_3gpuE9ELNS1_3repE0EEENS1_36merge_oddeven_config_static_selectorELNS0_4arch9wavefront6targetE1EEEvSH_,"axG",@progbits,_ZN7rocprim17ROCPRIM_400000_NS6detail17trampoline_kernelINS0_14default_configENS1_38merge_sort_block_merge_config_selectorIflEEZZNS1_27merge_sort_block_merge_implIS3_PfN6thrust23THRUST_200600_302600_NS10device_ptrIlEEjNS1_19radix_merge_compareILb0ELb0EfNS0_19identity_decomposerEEEEE10hipError_tT0_T1_T2_jT3_P12ihipStream_tbPNSt15iterator_traitsISG_E10value_typeEPNSM_ISH_E10value_typeEPSI_NS1_7vsmem_tEENKUlT_SG_SH_SI_E_clIS7_S7_PlSB_EESF_SV_SG_SH_SI_EUlSV_E1_NS1_11comp_targetILNS1_3genE5ELNS1_11target_archE942ELNS1_3gpuE9ELNS1_3repE0EEENS1_36merge_oddeven_config_static_selectorELNS0_4arch9wavefront6targetE1EEEvSH_,comdat
	.protected	_ZN7rocprim17ROCPRIM_400000_NS6detail17trampoline_kernelINS0_14default_configENS1_38merge_sort_block_merge_config_selectorIflEEZZNS1_27merge_sort_block_merge_implIS3_PfN6thrust23THRUST_200600_302600_NS10device_ptrIlEEjNS1_19radix_merge_compareILb0ELb0EfNS0_19identity_decomposerEEEEE10hipError_tT0_T1_T2_jT3_P12ihipStream_tbPNSt15iterator_traitsISG_E10value_typeEPNSM_ISH_E10value_typeEPSI_NS1_7vsmem_tEENKUlT_SG_SH_SI_E_clIS7_S7_PlSB_EESF_SV_SG_SH_SI_EUlSV_E1_NS1_11comp_targetILNS1_3genE5ELNS1_11target_archE942ELNS1_3gpuE9ELNS1_3repE0EEENS1_36merge_oddeven_config_static_selectorELNS0_4arch9wavefront6targetE1EEEvSH_ ; -- Begin function _ZN7rocprim17ROCPRIM_400000_NS6detail17trampoline_kernelINS0_14default_configENS1_38merge_sort_block_merge_config_selectorIflEEZZNS1_27merge_sort_block_merge_implIS3_PfN6thrust23THRUST_200600_302600_NS10device_ptrIlEEjNS1_19radix_merge_compareILb0ELb0EfNS0_19identity_decomposerEEEEE10hipError_tT0_T1_T2_jT3_P12ihipStream_tbPNSt15iterator_traitsISG_E10value_typeEPNSM_ISH_E10value_typeEPSI_NS1_7vsmem_tEENKUlT_SG_SH_SI_E_clIS7_S7_PlSB_EESF_SV_SG_SH_SI_EUlSV_E1_NS1_11comp_targetILNS1_3genE5ELNS1_11target_archE942ELNS1_3gpuE9ELNS1_3repE0EEENS1_36merge_oddeven_config_static_selectorELNS0_4arch9wavefront6targetE1EEEvSH_
	.globl	_ZN7rocprim17ROCPRIM_400000_NS6detail17trampoline_kernelINS0_14default_configENS1_38merge_sort_block_merge_config_selectorIflEEZZNS1_27merge_sort_block_merge_implIS3_PfN6thrust23THRUST_200600_302600_NS10device_ptrIlEEjNS1_19radix_merge_compareILb0ELb0EfNS0_19identity_decomposerEEEEE10hipError_tT0_T1_T2_jT3_P12ihipStream_tbPNSt15iterator_traitsISG_E10value_typeEPNSM_ISH_E10value_typeEPSI_NS1_7vsmem_tEENKUlT_SG_SH_SI_E_clIS7_S7_PlSB_EESF_SV_SG_SH_SI_EUlSV_E1_NS1_11comp_targetILNS1_3genE5ELNS1_11target_archE942ELNS1_3gpuE9ELNS1_3repE0EEENS1_36merge_oddeven_config_static_selectorELNS0_4arch9wavefront6targetE1EEEvSH_
	.p2align	8
	.type	_ZN7rocprim17ROCPRIM_400000_NS6detail17trampoline_kernelINS0_14default_configENS1_38merge_sort_block_merge_config_selectorIflEEZZNS1_27merge_sort_block_merge_implIS3_PfN6thrust23THRUST_200600_302600_NS10device_ptrIlEEjNS1_19radix_merge_compareILb0ELb0EfNS0_19identity_decomposerEEEEE10hipError_tT0_T1_T2_jT3_P12ihipStream_tbPNSt15iterator_traitsISG_E10value_typeEPNSM_ISH_E10value_typeEPSI_NS1_7vsmem_tEENKUlT_SG_SH_SI_E_clIS7_S7_PlSB_EESF_SV_SG_SH_SI_EUlSV_E1_NS1_11comp_targetILNS1_3genE5ELNS1_11target_archE942ELNS1_3gpuE9ELNS1_3repE0EEENS1_36merge_oddeven_config_static_selectorELNS0_4arch9wavefront6targetE1EEEvSH_,@function
_ZN7rocprim17ROCPRIM_400000_NS6detail17trampoline_kernelINS0_14default_configENS1_38merge_sort_block_merge_config_selectorIflEEZZNS1_27merge_sort_block_merge_implIS3_PfN6thrust23THRUST_200600_302600_NS10device_ptrIlEEjNS1_19radix_merge_compareILb0ELb0EfNS0_19identity_decomposerEEEEE10hipError_tT0_T1_T2_jT3_P12ihipStream_tbPNSt15iterator_traitsISG_E10value_typeEPNSM_ISH_E10value_typeEPSI_NS1_7vsmem_tEENKUlT_SG_SH_SI_E_clIS7_S7_PlSB_EESF_SV_SG_SH_SI_EUlSV_E1_NS1_11comp_targetILNS1_3genE5ELNS1_11target_archE942ELNS1_3gpuE9ELNS1_3repE0EEENS1_36merge_oddeven_config_static_selectorELNS0_4arch9wavefront6targetE1EEEvSH_: ; @_ZN7rocprim17ROCPRIM_400000_NS6detail17trampoline_kernelINS0_14default_configENS1_38merge_sort_block_merge_config_selectorIflEEZZNS1_27merge_sort_block_merge_implIS3_PfN6thrust23THRUST_200600_302600_NS10device_ptrIlEEjNS1_19radix_merge_compareILb0ELb0EfNS0_19identity_decomposerEEEEE10hipError_tT0_T1_T2_jT3_P12ihipStream_tbPNSt15iterator_traitsISG_E10value_typeEPNSM_ISH_E10value_typeEPSI_NS1_7vsmem_tEENKUlT_SG_SH_SI_E_clIS7_S7_PlSB_EESF_SV_SG_SH_SI_EUlSV_E1_NS1_11comp_targetILNS1_3genE5ELNS1_11target_archE942ELNS1_3gpuE9ELNS1_3repE0EEENS1_36merge_oddeven_config_static_selectorELNS0_4arch9wavefront6targetE1EEEvSH_
; %bb.0:
	.section	.rodata,"a",@progbits
	.p2align	6, 0x0
	.amdhsa_kernel _ZN7rocprim17ROCPRIM_400000_NS6detail17trampoline_kernelINS0_14default_configENS1_38merge_sort_block_merge_config_selectorIflEEZZNS1_27merge_sort_block_merge_implIS3_PfN6thrust23THRUST_200600_302600_NS10device_ptrIlEEjNS1_19radix_merge_compareILb0ELb0EfNS0_19identity_decomposerEEEEE10hipError_tT0_T1_T2_jT3_P12ihipStream_tbPNSt15iterator_traitsISG_E10value_typeEPNSM_ISH_E10value_typeEPSI_NS1_7vsmem_tEENKUlT_SG_SH_SI_E_clIS7_S7_PlSB_EESF_SV_SG_SH_SI_EUlSV_E1_NS1_11comp_targetILNS1_3genE5ELNS1_11target_archE942ELNS1_3gpuE9ELNS1_3repE0EEENS1_36merge_oddeven_config_static_selectorELNS0_4arch9wavefront6targetE1EEEvSH_
		.amdhsa_group_segment_fixed_size 0
		.amdhsa_private_segment_fixed_size 0
		.amdhsa_kernarg_size 48
		.amdhsa_user_sgpr_count 6
		.amdhsa_user_sgpr_private_segment_buffer 1
		.amdhsa_user_sgpr_dispatch_ptr 0
		.amdhsa_user_sgpr_queue_ptr 0
		.amdhsa_user_sgpr_kernarg_segment_ptr 1
		.amdhsa_user_sgpr_dispatch_id 0
		.amdhsa_user_sgpr_flat_scratch_init 0
		.amdhsa_user_sgpr_kernarg_preload_length 0
		.amdhsa_user_sgpr_kernarg_preload_offset 0
		.amdhsa_user_sgpr_private_segment_size 0
		.amdhsa_uses_dynamic_stack 0
		.amdhsa_system_sgpr_private_segment_wavefront_offset 0
		.amdhsa_system_sgpr_workgroup_id_x 1
		.amdhsa_system_sgpr_workgroup_id_y 0
		.amdhsa_system_sgpr_workgroup_id_z 0
		.amdhsa_system_sgpr_workgroup_info 0
		.amdhsa_system_vgpr_workitem_id 0
		.amdhsa_next_free_vgpr 1
		.amdhsa_next_free_sgpr 0
		.amdhsa_accum_offset 4
		.amdhsa_reserve_vcc 0
		.amdhsa_reserve_flat_scratch 0
		.amdhsa_float_round_mode_32 0
		.amdhsa_float_round_mode_16_64 0
		.amdhsa_float_denorm_mode_32 3
		.amdhsa_float_denorm_mode_16_64 3
		.amdhsa_dx10_clamp 1
		.amdhsa_ieee_mode 1
		.amdhsa_fp16_overflow 0
		.amdhsa_tg_split 0
		.amdhsa_exception_fp_ieee_invalid_op 0
		.amdhsa_exception_fp_denorm_src 0
		.amdhsa_exception_fp_ieee_div_zero 0
		.amdhsa_exception_fp_ieee_overflow 0
		.amdhsa_exception_fp_ieee_underflow 0
		.amdhsa_exception_fp_ieee_inexact 0
		.amdhsa_exception_int_div_zero 0
	.end_amdhsa_kernel
	.section	.text._ZN7rocprim17ROCPRIM_400000_NS6detail17trampoline_kernelINS0_14default_configENS1_38merge_sort_block_merge_config_selectorIflEEZZNS1_27merge_sort_block_merge_implIS3_PfN6thrust23THRUST_200600_302600_NS10device_ptrIlEEjNS1_19radix_merge_compareILb0ELb0EfNS0_19identity_decomposerEEEEE10hipError_tT0_T1_T2_jT3_P12ihipStream_tbPNSt15iterator_traitsISG_E10value_typeEPNSM_ISH_E10value_typeEPSI_NS1_7vsmem_tEENKUlT_SG_SH_SI_E_clIS7_S7_PlSB_EESF_SV_SG_SH_SI_EUlSV_E1_NS1_11comp_targetILNS1_3genE5ELNS1_11target_archE942ELNS1_3gpuE9ELNS1_3repE0EEENS1_36merge_oddeven_config_static_selectorELNS0_4arch9wavefront6targetE1EEEvSH_,"axG",@progbits,_ZN7rocprim17ROCPRIM_400000_NS6detail17trampoline_kernelINS0_14default_configENS1_38merge_sort_block_merge_config_selectorIflEEZZNS1_27merge_sort_block_merge_implIS3_PfN6thrust23THRUST_200600_302600_NS10device_ptrIlEEjNS1_19radix_merge_compareILb0ELb0EfNS0_19identity_decomposerEEEEE10hipError_tT0_T1_T2_jT3_P12ihipStream_tbPNSt15iterator_traitsISG_E10value_typeEPNSM_ISH_E10value_typeEPSI_NS1_7vsmem_tEENKUlT_SG_SH_SI_E_clIS7_S7_PlSB_EESF_SV_SG_SH_SI_EUlSV_E1_NS1_11comp_targetILNS1_3genE5ELNS1_11target_archE942ELNS1_3gpuE9ELNS1_3repE0EEENS1_36merge_oddeven_config_static_selectorELNS0_4arch9wavefront6targetE1EEEvSH_,comdat
.Lfunc_end1778:
	.size	_ZN7rocprim17ROCPRIM_400000_NS6detail17trampoline_kernelINS0_14default_configENS1_38merge_sort_block_merge_config_selectorIflEEZZNS1_27merge_sort_block_merge_implIS3_PfN6thrust23THRUST_200600_302600_NS10device_ptrIlEEjNS1_19radix_merge_compareILb0ELb0EfNS0_19identity_decomposerEEEEE10hipError_tT0_T1_T2_jT3_P12ihipStream_tbPNSt15iterator_traitsISG_E10value_typeEPNSM_ISH_E10value_typeEPSI_NS1_7vsmem_tEENKUlT_SG_SH_SI_E_clIS7_S7_PlSB_EESF_SV_SG_SH_SI_EUlSV_E1_NS1_11comp_targetILNS1_3genE5ELNS1_11target_archE942ELNS1_3gpuE9ELNS1_3repE0EEENS1_36merge_oddeven_config_static_selectorELNS0_4arch9wavefront6targetE1EEEvSH_, .Lfunc_end1778-_ZN7rocprim17ROCPRIM_400000_NS6detail17trampoline_kernelINS0_14default_configENS1_38merge_sort_block_merge_config_selectorIflEEZZNS1_27merge_sort_block_merge_implIS3_PfN6thrust23THRUST_200600_302600_NS10device_ptrIlEEjNS1_19radix_merge_compareILb0ELb0EfNS0_19identity_decomposerEEEEE10hipError_tT0_T1_T2_jT3_P12ihipStream_tbPNSt15iterator_traitsISG_E10value_typeEPNSM_ISH_E10value_typeEPSI_NS1_7vsmem_tEENKUlT_SG_SH_SI_E_clIS7_S7_PlSB_EESF_SV_SG_SH_SI_EUlSV_E1_NS1_11comp_targetILNS1_3genE5ELNS1_11target_archE942ELNS1_3gpuE9ELNS1_3repE0EEENS1_36merge_oddeven_config_static_selectorELNS0_4arch9wavefront6targetE1EEEvSH_
                                        ; -- End function
	.section	.AMDGPU.csdata,"",@progbits
; Kernel info:
; codeLenInByte = 0
; NumSgprs: 4
; NumVgprs: 0
; NumAgprs: 0
; TotalNumVgprs: 0
; ScratchSize: 0
; MemoryBound: 0
; FloatMode: 240
; IeeeMode: 1
; LDSByteSize: 0 bytes/workgroup (compile time only)
; SGPRBlocks: 0
; VGPRBlocks: 0
; NumSGPRsForWavesPerEU: 4
; NumVGPRsForWavesPerEU: 1
; AccumOffset: 4
; Occupancy: 8
; WaveLimiterHint : 0
; COMPUTE_PGM_RSRC2:SCRATCH_EN: 0
; COMPUTE_PGM_RSRC2:USER_SGPR: 6
; COMPUTE_PGM_RSRC2:TRAP_HANDLER: 0
; COMPUTE_PGM_RSRC2:TGID_X_EN: 1
; COMPUTE_PGM_RSRC2:TGID_Y_EN: 0
; COMPUTE_PGM_RSRC2:TGID_Z_EN: 0
; COMPUTE_PGM_RSRC2:TIDIG_COMP_CNT: 0
; COMPUTE_PGM_RSRC3_GFX90A:ACCUM_OFFSET: 0
; COMPUTE_PGM_RSRC3_GFX90A:TG_SPLIT: 0
	.section	.text._ZN7rocprim17ROCPRIM_400000_NS6detail17trampoline_kernelINS0_14default_configENS1_38merge_sort_block_merge_config_selectorIflEEZZNS1_27merge_sort_block_merge_implIS3_PfN6thrust23THRUST_200600_302600_NS10device_ptrIlEEjNS1_19radix_merge_compareILb0ELb0EfNS0_19identity_decomposerEEEEE10hipError_tT0_T1_T2_jT3_P12ihipStream_tbPNSt15iterator_traitsISG_E10value_typeEPNSM_ISH_E10value_typeEPSI_NS1_7vsmem_tEENKUlT_SG_SH_SI_E_clIS7_S7_PlSB_EESF_SV_SG_SH_SI_EUlSV_E1_NS1_11comp_targetILNS1_3genE4ELNS1_11target_archE910ELNS1_3gpuE8ELNS1_3repE0EEENS1_36merge_oddeven_config_static_selectorELNS0_4arch9wavefront6targetE1EEEvSH_,"axG",@progbits,_ZN7rocprim17ROCPRIM_400000_NS6detail17trampoline_kernelINS0_14default_configENS1_38merge_sort_block_merge_config_selectorIflEEZZNS1_27merge_sort_block_merge_implIS3_PfN6thrust23THRUST_200600_302600_NS10device_ptrIlEEjNS1_19radix_merge_compareILb0ELb0EfNS0_19identity_decomposerEEEEE10hipError_tT0_T1_T2_jT3_P12ihipStream_tbPNSt15iterator_traitsISG_E10value_typeEPNSM_ISH_E10value_typeEPSI_NS1_7vsmem_tEENKUlT_SG_SH_SI_E_clIS7_S7_PlSB_EESF_SV_SG_SH_SI_EUlSV_E1_NS1_11comp_targetILNS1_3genE4ELNS1_11target_archE910ELNS1_3gpuE8ELNS1_3repE0EEENS1_36merge_oddeven_config_static_selectorELNS0_4arch9wavefront6targetE1EEEvSH_,comdat
	.protected	_ZN7rocprim17ROCPRIM_400000_NS6detail17trampoline_kernelINS0_14default_configENS1_38merge_sort_block_merge_config_selectorIflEEZZNS1_27merge_sort_block_merge_implIS3_PfN6thrust23THRUST_200600_302600_NS10device_ptrIlEEjNS1_19radix_merge_compareILb0ELb0EfNS0_19identity_decomposerEEEEE10hipError_tT0_T1_T2_jT3_P12ihipStream_tbPNSt15iterator_traitsISG_E10value_typeEPNSM_ISH_E10value_typeEPSI_NS1_7vsmem_tEENKUlT_SG_SH_SI_E_clIS7_S7_PlSB_EESF_SV_SG_SH_SI_EUlSV_E1_NS1_11comp_targetILNS1_3genE4ELNS1_11target_archE910ELNS1_3gpuE8ELNS1_3repE0EEENS1_36merge_oddeven_config_static_selectorELNS0_4arch9wavefront6targetE1EEEvSH_ ; -- Begin function _ZN7rocprim17ROCPRIM_400000_NS6detail17trampoline_kernelINS0_14default_configENS1_38merge_sort_block_merge_config_selectorIflEEZZNS1_27merge_sort_block_merge_implIS3_PfN6thrust23THRUST_200600_302600_NS10device_ptrIlEEjNS1_19radix_merge_compareILb0ELb0EfNS0_19identity_decomposerEEEEE10hipError_tT0_T1_T2_jT3_P12ihipStream_tbPNSt15iterator_traitsISG_E10value_typeEPNSM_ISH_E10value_typeEPSI_NS1_7vsmem_tEENKUlT_SG_SH_SI_E_clIS7_S7_PlSB_EESF_SV_SG_SH_SI_EUlSV_E1_NS1_11comp_targetILNS1_3genE4ELNS1_11target_archE910ELNS1_3gpuE8ELNS1_3repE0EEENS1_36merge_oddeven_config_static_selectorELNS0_4arch9wavefront6targetE1EEEvSH_
	.globl	_ZN7rocprim17ROCPRIM_400000_NS6detail17trampoline_kernelINS0_14default_configENS1_38merge_sort_block_merge_config_selectorIflEEZZNS1_27merge_sort_block_merge_implIS3_PfN6thrust23THRUST_200600_302600_NS10device_ptrIlEEjNS1_19radix_merge_compareILb0ELb0EfNS0_19identity_decomposerEEEEE10hipError_tT0_T1_T2_jT3_P12ihipStream_tbPNSt15iterator_traitsISG_E10value_typeEPNSM_ISH_E10value_typeEPSI_NS1_7vsmem_tEENKUlT_SG_SH_SI_E_clIS7_S7_PlSB_EESF_SV_SG_SH_SI_EUlSV_E1_NS1_11comp_targetILNS1_3genE4ELNS1_11target_archE910ELNS1_3gpuE8ELNS1_3repE0EEENS1_36merge_oddeven_config_static_selectorELNS0_4arch9wavefront6targetE1EEEvSH_
	.p2align	8
	.type	_ZN7rocprim17ROCPRIM_400000_NS6detail17trampoline_kernelINS0_14default_configENS1_38merge_sort_block_merge_config_selectorIflEEZZNS1_27merge_sort_block_merge_implIS3_PfN6thrust23THRUST_200600_302600_NS10device_ptrIlEEjNS1_19radix_merge_compareILb0ELb0EfNS0_19identity_decomposerEEEEE10hipError_tT0_T1_T2_jT3_P12ihipStream_tbPNSt15iterator_traitsISG_E10value_typeEPNSM_ISH_E10value_typeEPSI_NS1_7vsmem_tEENKUlT_SG_SH_SI_E_clIS7_S7_PlSB_EESF_SV_SG_SH_SI_EUlSV_E1_NS1_11comp_targetILNS1_3genE4ELNS1_11target_archE910ELNS1_3gpuE8ELNS1_3repE0EEENS1_36merge_oddeven_config_static_selectorELNS0_4arch9wavefront6targetE1EEEvSH_,@function
_ZN7rocprim17ROCPRIM_400000_NS6detail17trampoline_kernelINS0_14default_configENS1_38merge_sort_block_merge_config_selectorIflEEZZNS1_27merge_sort_block_merge_implIS3_PfN6thrust23THRUST_200600_302600_NS10device_ptrIlEEjNS1_19radix_merge_compareILb0ELb0EfNS0_19identity_decomposerEEEEE10hipError_tT0_T1_T2_jT3_P12ihipStream_tbPNSt15iterator_traitsISG_E10value_typeEPNSM_ISH_E10value_typeEPSI_NS1_7vsmem_tEENKUlT_SG_SH_SI_E_clIS7_S7_PlSB_EESF_SV_SG_SH_SI_EUlSV_E1_NS1_11comp_targetILNS1_3genE4ELNS1_11target_archE910ELNS1_3gpuE8ELNS1_3repE0EEENS1_36merge_oddeven_config_static_selectorELNS0_4arch9wavefront6targetE1EEEvSH_: ; @_ZN7rocprim17ROCPRIM_400000_NS6detail17trampoline_kernelINS0_14default_configENS1_38merge_sort_block_merge_config_selectorIflEEZZNS1_27merge_sort_block_merge_implIS3_PfN6thrust23THRUST_200600_302600_NS10device_ptrIlEEjNS1_19radix_merge_compareILb0ELb0EfNS0_19identity_decomposerEEEEE10hipError_tT0_T1_T2_jT3_P12ihipStream_tbPNSt15iterator_traitsISG_E10value_typeEPNSM_ISH_E10value_typeEPSI_NS1_7vsmem_tEENKUlT_SG_SH_SI_E_clIS7_S7_PlSB_EESF_SV_SG_SH_SI_EUlSV_E1_NS1_11comp_targetILNS1_3genE4ELNS1_11target_archE910ELNS1_3gpuE8ELNS1_3repE0EEENS1_36merge_oddeven_config_static_selectorELNS0_4arch9wavefront6targetE1EEEvSH_
; %bb.0:
	s_load_dword s20, s[4:5], 0x20
	s_waitcnt lgkmcnt(0)
	s_lshr_b32 s2, s20, 8
	s_cmp_lg_u32 s6, s2
	s_cselect_b64 s[0:1], -1, 0
	s_cmp_eq_u32 s6, s2
	s_cselect_b64 s[16:17], -1, 0
	s_lshl_b32 s18, s6, 8
	s_sub_i32 s2, s20, s18
	v_cmp_gt_u32_e64 s[2:3], s2, v0
	s_or_b64 s[0:1], s[0:1], s[2:3]
	s_and_saveexec_b64 s[8:9], s[0:1]
	s_cbranch_execz .LBB1779_26
; %bb.1:
	s_load_dwordx8 s[8:15], s[4:5], 0x0
	s_mov_b32 s19, 0
	s_lshl_b64 s[0:1], s[18:19], 2
	v_lshlrev_b32_e32 v4, 3, v0
	v_lshlrev_b32_e32 v1, 2, v0
	s_waitcnt lgkmcnt(0)
	s_add_u32 s0, s8, s0
	s_addc_u32 s1, s9, s1
	s_lshl_b64 s[22:23], s[18:19], 3
	s_add_u32 s12, s12, s22
	s_addc_u32 s13, s13, s23
	global_load_dwordx2 v[2:3], v4, s[12:13]
	global_load_dword v6, v1, s[0:1]
	s_load_dword s21, s[4:5], 0x24
	v_add_u32_e32 v4, s18, v0
	s_waitcnt lgkmcnt(0)
	s_lshr_b32 s0, s21, 8
	s_sub_i32 s1, 0, s0
	s_and_b32 s1, s6, s1
	s_and_b32 s0, s1, s0
	s_lshl_b32 s22, s1, 8
	s_sub_i32 s6, 0, s21
	s_cmp_eq_u32 s0, 0
	s_cselect_b64 s[0:1], -1, 0
	s_and_b64 s[4:5], s[0:1], exec
	s_cselect_b32 s19, s21, s6
	s_add_i32 s19, s19, s22
	s_cmp_lt_u32 s19, s20
	s_cbranch_scc1 .LBB1779_6
; %bb.2:
	s_and_b64 vcc, exec, s[16:17]
	s_cbranch_vccz .LBB1779_7
; %bb.3:
	v_cmp_gt_u32_e32 vcc, s20, v4
	s_mov_b64 s[6:7], 0
	s_mov_b64 s[4:5], 0
                                        ; implicit-def: $vgpr0_vgpr1
	s_and_saveexec_b64 s[12:13], vcc
	s_cbranch_execz .LBB1779_5
; %bb.4:
	v_mov_b32_e32 v5, 0
	v_lshlrev_b64 v[0:1], 3, v[4:5]
	v_mov_b32_e32 v7, s15
	v_add_co_u32_e32 v0, vcc, s14, v0
	v_addc_co_u32_e32 v1, vcc, v7, v1, vcc
	v_lshlrev_b64 v[8:9], 2, v[4:5]
	v_mov_b32_e32 v5, s11
	v_add_co_u32_e32 v8, vcc, s10, v8
	s_mov_b64 s[4:5], exec
	v_addc_co_u32_e32 v9, vcc, v5, v9, vcc
	s_waitcnt vmcnt(0)
	global_store_dword v[8:9], v6, off
.LBB1779_5:
	s_or_b64 exec, exec, s[12:13]
	s_and_b64 vcc, exec, s[6:7]
	s_cbranch_vccnz .LBB1779_8
	s_branch .LBB1779_9
.LBB1779_6:
	s_mov_b64 s[4:5], 0
                                        ; implicit-def: $vgpr0_vgpr1
	s_cbranch_execnz .LBB1779_10
	s_branch .LBB1779_24
.LBB1779_7:
	s_mov_b64 s[4:5], 0
                                        ; implicit-def: $vgpr0_vgpr1
	s_cbranch_execz .LBB1779_9
.LBB1779_8:
	v_mov_b32_e32 v5, 0
	v_lshlrev_b64 v[0:1], 2, v[4:5]
	v_mov_b32_e32 v7, s11
	v_add_co_u32_e32 v0, vcc, s10, v0
	v_addc_co_u32_e32 v1, vcc, v7, v1, vcc
	s_waitcnt vmcnt(0)
	global_store_dword v[0:1], v6, off
	v_lshlrev_b64 v[0:1], 3, v[4:5]
	v_mov_b32_e32 v5, s15
	v_add_co_u32_e32 v0, vcc, s14, v0
	v_addc_co_u32_e32 v1, vcc, v5, v1, vcc
	s_or_b64 s[4:5], s[4:5], exec
.LBB1779_9:
	s_branch .LBB1779_24
.LBB1779_10:
	s_min_u32 s12, s19, s20
	s_add_i32 s6, s12, s21
	s_min_u32 s13, s6, s20
	s_min_u32 s6, s22, s12
	s_add_i32 s22, s22, s12
	v_subrev_u32_e32 v0, s22, v4
	v_add_u32_e32 v4, s6, v0
	s_and_b64 vcc, exec, s[16:17]
	s_cbranch_vccz .LBB1779_18
; %bb.11:
                                        ; implicit-def: $vgpr0_vgpr1
	s_and_saveexec_b64 s[6:7], s[2:3]
	s_cbranch_execz .LBB1779_17
; %bb.12:
	s_cmp_ge_u32 s19, s13
	v_mov_b32_e32 v5, s12
	s_cbranch_scc1 .LBB1779_16
; %bb.13:
	s_waitcnt vmcnt(0)
	v_add_f32_e32 v0, 0, v6
	v_ashrrev_i32_e32 v1, 31, v0
	v_or_b32_e32 v1, 0x80000000, v1
	v_xor_b32_e32 v7, v1, v0
	s_mov_b64 s[2:3], 0
	v_mov_b32_e32 v8, s13
	v_mov_b32_e32 v5, s12
	;; [unrolled: 1-line block ×4, first 2 shown]
.LBB1779_14:                            ; =>This Inner Loop Header: Depth=1
	v_add_u32_e32 v0, v5, v8
	v_lshrrev_b32_e32 v0, 1, v0
	v_lshlrev_b64 v[10:11], 2, v[0:1]
	v_add_co_u32_e32 v10, vcc, s8, v10
	v_addc_co_u32_e32 v11, vcc, v9, v11, vcc
	global_load_dword v10, v[10:11], off
	v_add_u32_e32 v11, 1, v0
	s_waitcnt vmcnt(0)
	v_add_f32_e32 v10, 0, v10
	v_ashrrev_i32_e32 v12, 31, v10
	v_or_b32_e32 v12, 0x80000000, v12
	v_xor_b32_e32 v10, v12, v10
	v_cmp_gt_u32_e32 vcc, v7, v10
	v_cndmask_b32_e64 v12, 0, 1, vcc
	v_cmp_le_u32_e32 vcc, v10, v7
	v_cndmask_b32_e64 v10, 0, 1, vcc
	v_cndmask_b32_e64 v10, v10, v12, s[0:1]
	v_and_b32_e32 v10, 1, v10
	v_cmp_eq_u32_e32 vcc, 1, v10
	v_cndmask_b32_e32 v8, v0, v8, vcc
	v_cndmask_b32_e32 v5, v5, v11, vcc
	v_cmp_ge_u32_e32 vcc, v5, v8
	s_or_b64 s[2:3], vcc, s[2:3]
	s_andn2_b64 exec, exec, s[2:3]
	s_cbranch_execnz .LBB1779_14
; %bb.15:
	s_or_b64 exec, exec, s[2:3]
.LBB1779_16:
	v_add_u32_e32 v0, v5, v4
	v_mov_b32_e32 v1, 0
	v_lshlrev_b64 v[8:9], 2, v[0:1]
	v_mov_b32_e32 v5, s11
	v_add_co_u32_e32 v8, vcc, s10, v8
	v_addc_co_u32_e32 v9, vcc, v5, v9, vcc
	v_lshlrev_b64 v[0:1], 3, v[0:1]
	v_mov_b32_e32 v5, s15
	v_add_co_u32_e32 v0, vcc, s14, v0
	s_waitcnt vmcnt(0)
	global_store_dword v[8:9], v6, off
	v_addc_co_u32_e32 v1, vcc, v5, v1, vcc
	s_or_b64 s[4:5], s[4:5], exec
.LBB1779_17:
	s_or_b64 exec, exec, s[6:7]
	s_branch .LBB1779_24
.LBB1779_18:
                                        ; implicit-def: $vgpr0_vgpr1
	s_cbranch_execz .LBB1779_24
; %bb.19:
	s_cmp_ge_u32 s19, s13
	v_mov_b32_e32 v5, s12
	s_cbranch_scc1 .LBB1779_23
; %bb.20:
	s_waitcnt vmcnt(0)
	v_add_f32_e32 v0, 0, v6
	v_ashrrev_i32_e32 v1, 31, v0
	v_or_b32_e32 v1, 0x80000000, v1
	v_xor_b32_e32 v7, v1, v0
	s_mov_b64 s[2:3], 0
	v_mov_b32_e32 v8, s13
	v_mov_b32_e32 v5, s12
	;; [unrolled: 1-line block ×4, first 2 shown]
.LBB1779_21:                            ; =>This Inner Loop Header: Depth=1
	v_add_u32_e32 v0, v5, v8
	v_lshrrev_b32_e32 v0, 1, v0
	v_lshlrev_b64 v[10:11], 2, v[0:1]
	v_add_co_u32_e32 v10, vcc, s8, v10
	v_addc_co_u32_e32 v11, vcc, v9, v11, vcc
	global_load_dword v10, v[10:11], off
	v_add_u32_e32 v11, 1, v0
	s_waitcnt vmcnt(0)
	v_add_f32_e32 v10, 0, v10
	v_ashrrev_i32_e32 v12, 31, v10
	v_or_b32_e32 v12, 0x80000000, v12
	v_xor_b32_e32 v10, v12, v10
	v_cmp_gt_u32_e32 vcc, v7, v10
	v_cndmask_b32_e64 v12, 0, 1, vcc
	v_cmp_le_u32_e32 vcc, v10, v7
	v_cndmask_b32_e64 v10, 0, 1, vcc
	v_cndmask_b32_e64 v10, v10, v12, s[0:1]
	v_and_b32_e32 v10, 1, v10
	v_cmp_eq_u32_e32 vcc, 1, v10
	v_cndmask_b32_e32 v8, v0, v8, vcc
	v_cndmask_b32_e32 v5, v5, v11, vcc
	v_cmp_ge_u32_e32 vcc, v5, v8
	s_or_b64 s[2:3], vcc, s[2:3]
	s_andn2_b64 exec, exec, s[2:3]
	s_cbranch_execnz .LBB1779_21
; %bb.22:
	s_or_b64 exec, exec, s[2:3]
.LBB1779_23:
	v_add_u32_e32 v0, v5, v4
	v_mov_b32_e32 v1, 0
	v_lshlrev_b64 v[4:5], 2, v[0:1]
	v_mov_b32_e32 v7, s11
	v_add_co_u32_e32 v4, vcc, s10, v4
	v_addc_co_u32_e32 v5, vcc, v7, v5, vcc
	v_lshlrev_b64 v[0:1], 3, v[0:1]
	s_waitcnt vmcnt(0)
	global_store_dword v[4:5], v6, off
	v_mov_b32_e32 v4, s15
	v_add_co_u32_e32 v0, vcc, s14, v0
	v_addc_co_u32_e32 v1, vcc, v4, v1, vcc
	s_mov_b64 s[4:5], -1
.LBB1779_24:
	s_and_b64 exec, exec, s[4:5]
	s_cbranch_execz .LBB1779_26
; %bb.25:
	s_waitcnt vmcnt(1)
	global_store_dwordx2 v[0:1], v[2:3], off
.LBB1779_26:
	s_endpgm
	.section	.rodata,"a",@progbits
	.p2align	6, 0x0
	.amdhsa_kernel _ZN7rocprim17ROCPRIM_400000_NS6detail17trampoline_kernelINS0_14default_configENS1_38merge_sort_block_merge_config_selectorIflEEZZNS1_27merge_sort_block_merge_implIS3_PfN6thrust23THRUST_200600_302600_NS10device_ptrIlEEjNS1_19radix_merge_compareILb0ELb0EfNS0_19identity_decomposerEEEEE10hipError_tT0_T1_T2_jT3_P12ihipStream_tbPNSt15iterator_traitsISG_E10value_typeEPNSM_ISH_E10value_typeEPSI_NS1_7vsmem_tEENKUlT_SG_SH_SI_E_clIS7_S7_PlSB_EESF_SV_SG_SH_SI_EUlSV_E1_NS1_11comp_targetILNS1_3genE4ELNS1_11target_archE910ELNS1_3gpuE8ELNS1_3repE0EEENS1_36merge_oddeven_config_static_selectorELNS0_4arch9wavefront6targetE1EEEvSH_
		.amdhsa_group_segment_fixed_size 0
		.amdhsa_private_segment_fixed_size 0
		.amdhsa_kernarg_size 48
		.amdhsa_user_sgpr_count 6
		.amdhsa_user_sgpr_private_segment_buffer 1
		.amdhsa_user_sgpr_dispatch_ptr 0
		.amdhsa_user_sgpr_queue_ptr 0
		.amdhsa_user_sgpr_kernarg_segment_ptr 1
		.amdhsa_user_sgpr_dispatch_id 0
		.amdhsa_user_sgpr_flat_scratch_init 0
		.amdhsa_user_sgpr_kernarg_preload_length 0
		.amdhsa_user_sgpr_kernarg_preload_offset 0
		.amdhsa_user_sgpr_private_segment_size 0
		.amdhsa_uses_dynamic_stack 0
		.amdhsa_system_sgpr_private_segment_wavefront_offset 0
		.amdhsa_system_sgpr_workgroup_id_x 1
		.amdhsa_system_sgpr_workgroup_id_y 0
		.amdhsa_system_sgpr_workgroup_id_z 0
		.amdhsa_system_sgpr_workgroup_info 0
		.amdhsa_system_vgpr_workitem_id 0
		.amdhsa_next_free_vgpr 13
		.amdhsa_next_free_sgpr 24
		.amdhsa_accum_offset 16
		.amdhsa_reserve_vcc 1
		.amdhsa_reserve_flat_scratch 0
		.amdhsa_float_round_mode_32 0
		.amdhsa_float_round_mode_16_64 0
		.amdhsa_float_denorm_mode_32 3
		.amdhsa_float_denorm_mode_16_64 3
		.amdhsa_dx10_clamp 1
		.amdhsa_ieee_mode 1
		.amdhsa_fp16_overflow 0
		.amdhsa_tg_split 0
		.amdhsa_exception_fp_ieee_invalid_op 0
		.amdhsa_exception_fp_denorm_src 0
		.amdhsa_exception_fp_ieee_div_zero 0
		.amdhsa_exception_fp_ieee_overflow 0
		.amdhsa_exception_fp_ieee_underflow 0
		.amdhsa_exception_fp_ieee_inexact 0
		.amdhsa_exception_int_div_zero 0
	.end_amdhsa_kernel
	.section	.text._ZN7rocprim17ROCPRIM_400000_NS6detail17trampoline_kernelINS0_14default_configENS1_38merge_sort_block_merge_config_selectorIflEEZZNS1_27merge_sort_block_merge_implIS3_PfN6thrust23THRUST_200600_302600_NS10device_ptrIlEEjNS1_19radix_merge_compareILb0ELb0EfNS0_19identity_decomposerEEEEE10hipError_tT0_T1_T2_jT3_P12ihipStream_tbPNSt15iterator_traitsISG_E10value_typeEPNSM_ISH_E10value_typeEPSI_NS1_7vsmem_tEENKUlT_SG_SH_SI_E_clIS7_S7_PlSB_EESF_SV_SG_SH_SI_EUlSV_E1_NS1_11comp_targetILNS1_3genE4ELNS1_11target_archE910ELNS1_3gpuE8ELNS1_3repE0EEENS1_36merge_oddeven_config_static_selectorELNS0_4arch9wavefront6targetE1EEEvSH_,"axG",@progbits,_ZN7rocprim17ROCPRIM_400000_NS6detail17trampoline_kernelINS0_14default_configENS1_38merge_sort_block_merge_config_selectorIflEEZZNS1_27merge_sort_block_merge_implIS3_PfN6thrust23THRUST_200600_302600_NS10device_ptrIlEEjNS1_19radix_merge_compareILb0ELb0EfNS0_19identity_decomposerEEEEE10hipError_tT0_T1_T2_jT3_P12ihipStream_tbPNSt15iterator_traitsISG_E10value_typeEPNSM_ISH_E10value_typeEPSI_NS1_7vsmem_tEENKUlT_SG_SH_SI_E_clIS7_S7_PlSB_EESF_SV_SG_SH_SI_EUlSV_E1_NS1_11comp_targetILNS1_3genE4ELNS1_11target_archE910ELNS1_3gpuE8ELNS1_3repE0EEENS1_36merge_oddeven_config_static_selectorELNS0_4arch9wavefront6targetE1EEEvSH_,comdat
.Lfunc_end1779:
	.size	_ZN7rocprim17ROCPRIM_400000_NS6detail17trampoline_kernelINS0_14default_configENS1_38merge_sort_block_merge_config_selectorIflEEZZNS1_27merge_sort_block_merge_implIS3_PfN6thrust23THRUST_200600_302600_NS10device_ptrIlEEjNS1_19radix_merge_compareILb0ELb0EfNS0_19identity_decomposerEEEEE10hipError_tT0_T1_T2_jT3_P12ihipStream_tbPNSt15iterator_traitsISG_E10value_typeEPNSM_ISH_E10value_typeEPSI_NS1_7vsmem_tEENKUlT_SG_SH_SI_E_clIS7_S7_PlSB_EESF_SV_SG_SH_SI_EUlSV_E1_NS1_11comp_targetILNS1_3genE4ELNS1_11target_archE910ELNS1_3gpuE8ELNS1_3repE0EEENS1_36merge_oddeven_config_static_selectorELNS0_4arch9wavefront6targetE1EEEvSH_, .Lfunc_end1779-_ZN7rocprim17ROCPRIM_400000_NS6detail17trampoline_kernelINS0_14default_configENS1_38merge_sort_block_merge_config_selectorIflEEZZNS1_27merge_sort_block_merge_implIS3_PfN6thrust23THRUST_200600_302600_NS10device_ptrIlEEjNS1_19radix_merge_compareILb0ELb0EfNS0_19identity_decomposerEEEEE10hipError_tT0_T1_T2_jT3_P12ihipStream_tbPNSt15iterator_traitsISG_E10value_typeEPNSM_ISH_E10value_typeEPSI_NS1_7vsmem_tEENKUlT_SG_SH_SI_E_clIS7_S7_PlSB_EESF_SV_SG_SH_SI_EUlSV_E1_NS1_11comp_targetILNS1_3genE4ELNS1_11target_archE910ELNS1_3gpuE8ELNS1_3repE0EEENS1_36merge_oddeven_config_static_selectorELNS0_4arch9wavefront6targetE1EEEvSH_
                                        ; -- End function
	.section	.AMDGPU.csdata,"",@progbits
; Kernel info:
; codeLenInByte = 956
; NumSgprs: 28
; NumVgprs: 13
; NumAgprs: 0
; TotalNumVgprs: 13
; ScratchSize: 0
; MemoryBound: 0
; FloatMode: 240
; IeeeMode: 1
; LDSByteSize: 0 bytes/workgroup (compile time only)
; SGPRBlocks: 3
; VGPRBlocks: 1
; NumSGPRsForWavesPerEU: 28
; NumVGPRsForWavesPerEU: 13
; AccumOffset: 16
; Occupancy: 8
; WaveLimiterHint : 0
; COMPUTE_PGM_RSRC2:SCRATCH_EN: 0
; COMPUTE_PGM_RSRC2:USER_SGPR: 6
; COMPUTE_PGM_RSRC2:TRAP_HANDLER: 0
; COMPUTE_PGM_RSRC2:TGID_X_EN: 1
; COMPUTE_PGM_RSRC2:TGID_Y_EN: 0
; COMPUTE_PGM_RSRC2:TGID_Z_EN: 0
; COMPUTE_PGM_RSRC2:TIDIG_COMP_CNT: 0
; COMPUTE_PGM_RSRC3_GFX90A:ACCUM_OFFSET: 3
; COMPUTE_PGM_RSRC3_GFX90A:TG_SPLIT: 0
	.section	.text._ZN7rocprim17ROCPRIM_400000_NS6detail17trampoline_kernelINS0_14default_configENS1_38merge_sort_block_merge_config_selectorIflEEZZNS1_27merge_sort_block_merge_implIS3_PfN6thrust23THRUST_200600_302600_NS10device_ptrIlEEjNS1_19radix_merge_compareILb0ELb0EfNS0_19identity_decomposerEEEEE10hipError_tT0_T1_T2_jT3_P12ihipStream_tbPNSt15iterator_traitsISG_E10value_typeEPNSM_ISH_E10value_typeEPSI_NS1_7vsmem_tEENKUlT_SG_SH_SI_E_clIS7_S7_PlSB_EESF_SV_SG_SH_SI_EUlSV_E1_NS1_11comp_targetILNS1_3genE3ELNS1_11target_archE908ELNS1_3gpuE7ELNS1_3repE0EEENS1_36merge_oddeven_config_static_selectorELNS0_4arch9wavefront6targetE1EEEvSH_,"axG",@progbits,_ZN7rocprim17ROCPRIM_400000_NS6detail17trampoline_kernelINS0_14default_configENS1_38merge_sort_block_merge_config_selectorIflEEZZNS1_27merge_sort_block_merge_implIS3_PfN6thrust23THRUST_200600_302600_NS10device_ptrIlEEjNS1_19radix_merge_compareILb0ELb0EfNS0_19identity_decomposerEEEEE10hipError_tT0_T1_T2_jT3_P12ihipStream_tbPNSt15iterator_traitsISG_E10value_typeEPNSM_ISH_E10value_typeEPSI_NS1_7vsmem_tEENKUlT_SG_SH_SI_E_clIS7_S7_PlSB_EESF_SV_SG_SH_SI_EUlSV_E1_NS1_11comp_targetILNS1_3genE3ELNS1_11target_archE908ELNS1_3gpuE7ELNS1_3repE0EEENS1_36merge_oddeven_config_static_selectorELNS0_4arch9wavefront6targetE1EEEvSH_,comdat
	.protected	_ZN7rocprim17ROCPRIM_400000_NS6detail17trampoline_kernelINS0_14default_configENS1_38merge_sort_block_merge_config_selectorIflEEZZNS1_27merge_sort_block_merge_implIS3_PfN6thrust23THRUST_200600_302600_NS10device_ptrIlEEjNS1_19radix_merge_compareILb0ELb0EfNS0_19identity_decomposerEEEEE10hipError_tT0_T1_T2_jT3_P12ihipStream_tbPNSt15iterator_traitsISG_E10value_typeEPNSM_ISH_E10value_typeEPSI_NS1_7vsmem_tEENKUlT_SG_SH_SI_E_clIS7_S7_PlSB_EESF_SV_SG_SH_SI_EUlSV_E1_NS1_11comp_targetILNS1_3genE3ELNS1_11target_archE908ELNS1_3gpuE7ELNS1_3repE0EEENS1_36merge_oddeven_config_static_selectorELNS0_4arch9wavefront6targetE1EEEvSH_ ; -- Begin function _ZN7rocprim17ROCPRIM_400000_NS6detail17trampoline_kernelINS0_14default_configENS1_38merge_sort_block_merge_config_selectorIflEEZZNS1_27merge_sort_block_merge_implIS3_PfN6thrust23THRUST_200600_302600_NS10device_ptrIlEEjNS1_19radix_merge_compareILb0ELb0EfNS0_19identity_decomposerEEEEE10hipError_tT0_T1_T2_jT3_P12ihipStream_tbPNSt15iterator_traitsISG_E10value_typeEPNSM_ISH_E10value_typeEPSI_NS1_7vsmem_tEENKUlT_SG_SH_SI_E_clIS7_S7_PlSB_EESF_SV_SG_SH_SI_EUlSV_E1_NS1_11comp_targetILNS1_3genE3ELNS1_11target_archE908ELNS1_3gpuE7ELNS1_3repE0EEENS1_36merge_oddeven_config_static_selectorELNS0_4arch9wavefront6targetE1EEEvSH_
	.globl	_ZN7rocprim17ROCPRIM_400000_NS6detail17trampoline_kernelINS0_14default_configENS1_38merge_sort_block_merge_config_selectorIflEEZZNS1_27merge_sort_block_merge_implIS3_PfN6thrust23THRUST_200600_302600_NS10device_ptrIlEEjNS1_19radix_merge_compareILb0ELb0EfNS0_19identity_decomposerEEEEE10hipError_tT0_T1_T2_jT3_P12ihipStream_tbPNSt15iterator_traitsISG_E10value_typeEPNSM_ISH_E10value_typeEPSI_NS1_7vsmem_tEENKUlT_SG_SH_SI_E_clIS7_S7_PlSB_EESF_SV_SG_SH_SI_EUlSV_E1_NS1_11comp_targetILNS1_3genE3ELNS1_11target_archE908ELNS1_3gpuE7ELNS1_3repE0EEENS1_36merge_oddeven_config_static_selectorELNS0_4arch9wavefront6targetE1EEEvSH_
	.p2align	8
	.type	_ZN7rocprim17ROCPRIM_400000_NS6detail17trampoline_kernelINS0_14default_configENS1_38merge_sort_block_merge_config_selectorIflEEZZNS1_27merge_sort_block_merge_implIS3_PfN6thrust23THRUST_200600_302600_NS10device_ptrIlEEjNS1_19radix_merge_compareILb0ELb0EfNS0_19identity_decomposerEEEEE10hipError_tT0_T1_T2_jT3_P12ihipStream_tbPNSt15iterator_traitsISG_E10value_typeEPNSM_ISH_E10value_typeEPSI_NS1_7vsmem_tEENKUlT_SG_SH_SI_E_clIS7_S7_PlSB_EESF_SV_SG_SH_SI_EUlSV_E1_NS1_11comp_targetILNS1_3genE3ELNS1_11target_archE908ELNS1_3gpuE7ELNS1_3repE0EEENS1_36merge_oddeven_config_static_selectorELNS0_4arch9wavefront6targetE1EEEvSH_,@function
_ZN7rocprim17ROCPRIM_400000_NS6detail17trampoline_kernelINS0_14default_configENS1_38merge_sort_block_merge_config_selectorIflEEZZNS1_27merge_sort_block_merge_implIS3_PfN6thrust23THRUST_200600_302600_NS10device_ptrIlEEjNS1_19radix_merge_compareILb0ELb0EfNS0_19identity_decomposerEEEEE10hipError_tT0_T1_T2_jT3_P12ihipStream_tbPNSt15iterator_traitsISG_E10value_typeEPNSM_ISH_E10value_typeEPSI_NS1_7vsmem_tEENKUlT_SG_SH_SI_E_clIS7_S7_PlSB_EESF_SV_SG_SH_SI_EUlSV_E1_NS1_11comp_targetILNS1_3genE3ELNS1_11target_archE908ELNS1_3gpuE7ELNS1_3repE0EEENS1_36merge_oddeven_config_static_selectorELNS0_4arch9wavefront6targetE1EEEvSH_: ; @_ZN7rocprim17ROCPRIM_400000_NS6detail17trampoline_kernelINS0_14default_configENS1_38merge_sort_block_merge_config_selectorIflEEZZNS1_27merge_sort_block_merge_implIS3_PfN6thrust23THRUST_200600_302600_NS10device_ptrIlEEjNS1_19radix_merge_compareILb0ELb0EfNS0_19identity_decomposerEEEEE10hipError_tT0_T1_T2_jT3_P12ihipStream_tbPNSt15iterator_traitsISG_E10value_typeEPNSM_ISH_E10value_typeEPSI_NS1_7vsmem_tEENKUlT_SG_SH_SI_E_clIS7_S7_PlSB_EESF_SV_SG_SH_SI_EUlSV_E1_NS1_11comp_targetILNS1_3genE3ELNS1_11target_archE908ELNS1_3gpuE7ELNS1_3repE0EEENS1_36merge_oddeven_config_static_selectorELNS0_4arch9wavefront6targetE1EEEvSH_
; %bb.0:
	.section	.rodata,"a",@progbits
	.p2align	6, 0x0
	.amdhsa_kernel _ZN7rocprim17ROCPRIM_400000_NS6detail17trampoline_kernelINS0_14default_configENS1_38merge_sort_block_merge_config_selectorIflEEZZNS1_27merge_sort_block_merge_implIS3_PfN6thrust23THRUST_200600_302600_NS10device_ptrIlEEjNS1_19radix_merge_compareILb0ELb0EfNS0_19identity_decomposerEEEEE10hipError_tT0_T1_T2_jT3_P12ihipStream_tbPNSt15iterator_traitsISG_E10value_typeEPNSM_ISH_E10value_typeEPSI_NS1_7vsmem_tEENKUlT_SG_SH_SI_E_clIS7_S7_PlSB_EESF_SV_SG_SH_SI_EUlSV_E1_NS1_11comp_targetILNS1_3genE3ELNS1_11target_archE908ELNS1_3gpuE7ELNS1_3repE0EEENS1_36merge_oddeven_config_static_selectorELNS0_4arch9wavefront6targetE1EEEvSH_
		.amdhsa_group_segment_fixed_size 0
		.amdhsa_private_segment_fixed_size 0
		.amdhsa_kernarg_size 48
		.amdhsa_user_sgpr_count 6
		.amdhsa_user_sgpr_private_segment_buffer 1
		.amdhsa_user_sgpr_dispatch_ptr 0
		.amdhsa_user_sgpr_queue_ptr 0
		.amdhsa_user_sgpr_kernarg_segment_ptr 1
		.amdhsa_user_sgpr_dispatch_id 0
		.amdhsa_user_sgpr_flat_scratch_init 0
		.amdhsa_user_sgpr_kernarg_preload_length 0
		.amdhsa_user_sgpr_kernarg_preload_offset 0
		.amdhsa_user_sgpr_private_segment_size 0
		.amdhsa_uses_dynamic_stack 0
		.amdhsa_system_sgpr_private_segment_wavefront_offset 0
		.amdhsa_system_sgpr_workgroup_id_x 1
		.amdhsa_system_sgpr_workgroup_id_y 0
		.amdhsa_system_sgpr_workgroup_id_z 0
		.amdhsa_system_sgpr_workgroup_info 0
		.amdhsa_system_vgpr_workitem_id 0
		.amdhsa_next_free_vgpr 1
		.amdhsa_next_free_sgpr 0
		.amdhsa_accum_offset 4
		.amdhsa_reserve_vcc 0
		.amdhsa_reserve_flat_scratch 0
		.amdhsa_float_round_mode_32 0
		.amdhsa_float_round_mode_16_64 0
		.amdhsa_float_denorm_mode_32 3
		.amdhsa_float_denorm_mode_16_64 3
		.amdhsa_dx10_clamp 1
		.amdhsa_ieee_mode 1
		.amdhsa_fp16_overflow 0
		.amdhsa_tg_split 0
		.amdhsa_exception_fp_ieee_invalid_op 0
		.amdhsa_exception_fp_denorm_src 0
		.amdhsa_exception_fp_ieee_div_zero 0
		.amdhsa_exception_fp_ieee_overflow 0
		.amdhsa_exception_fp_ieee_underflow 0
		.amdhsa_exception_fp_ieee_inexact 0
		.amdhsa_exception_int_div_zero 0
	.end_amdhsa_kernel
	.section	.text._ZN7rocprim17ROCPRIM_400000_NS6detail17trampoline_kernelINS0_14default_configENS1_38merge_sort_block_merge_config_selectorIflEEZZNS1_27merge_sort_block_merge_implIS3_PfN6thrust23THRUST_200600_302600_NS10device_ptrIlEEjNS1_19radix_merge_compareILb0ELb0EfNS0_19identity_decomposerEEEEE10hipError_tT0_T1_T2_jT3_P12ihipStream_tbPNSt15iterator_traitsISG_E10value_typeEPNSM_ISH_E10value_typeEPSI_NS1_7vsmem_tEENKUlT_SG_SH_SI_E_clIS7_S7_PlSB_EESF_SV_SG_SH_SI_EUlSV_E1_NS1_11comp_targetILNS1_3genE3ELNS1_11target_archE908ELNS1_3gpuE7ELNS1_3repE0EEENS1_36merge_oddeven_config_static_selectorELNS0_4arch9wavefront6targetE1EEEvSH_,"axG",@progbits,_ZN7rocprim17ROCPRIM_400000_NS6detail17trampoline_kernelINS0_14default_configENS1_38merge_sort_block_merge_config_selectorIflEEZZNS1_27merge_sort_block_merge_implIS3_PfN6thrust23THRUST_200600_302600_NS10device_ptrIlEEjNS1_19radix_merge_compareILb0ELb0EfNS0_19identity_decomposerEEEEE10hipError_tT0_T1_T2_jT3_P12ihipStream_tbPNSt15iterator_traitsISG_E10value_typeEPNSM_ISH_E10value_typeEPSI_NS1_7vsmem_tEENKUlT_SG_SH_SI_E_clIS7_S7_PlSB_EESF_SV_SG_SH_SI_EUlSV_E1_NS1_11comp_targetILNS1_3genE3ELNS1_11target_archE908ELNS1_3gpuE7ELNS1_3repE0EEENS1_36merge_oddeven_config_static_selectorELNS0_4arch9wavefront6targetE1EEEvSH_,comdat
.Lfunc_end1780:
	.size	_ZN7rocprim17ROCPRIM_400000_NS6detail17trampoline_kernelINS0_14default_configENS1_38merge_sort_block_merge_config_selectorIflEEZZNS1_27merge_sort_block_merge_implIS3_PfN6thrust23THRUST_200600_302600_NS10device_ptrIlEEjNS1_19radix_merge_compareILb0ELb0EfNS0_19identity_decomposerEEEEE10hipError_tT0_T1_T2_jT3_P12ihipStream_tbPNSt15iterator_traitsISG_E10value_typeEPNSM_ISH_E10value_typeEPSI_NS1_7vsmem_tEENKUlT_SG_SH_SI_E_clIS7_S7_PlSB_EESF_SV_SG_SH_SI_EUlSV_E1_NS1_11comp_targetILNS1_3genE3ELNS1_11target_archE908ELNS1_3gpuE7ELNS1_3repE0EEENS1_36merge_oddeven_config_static_selectorELNS0_4arch9wavefront6targetE1EEEvSH_, .Lfunc_end1780-_ZN7rocprim17ROCPRIM_400000_NS6detail17trampoline_kernelINS0_14default_configENS1_38merge_sort_block_merge_config_selectorIflEEZZNS1_27merge_sort_block_merge_implIS3_PfN6thrust23THRUST_200600_302600_NS10device_ptrIlEEjNS1_19radix_merge_compareILb0ELb0EfNS0_19identity_decomposerEEEEE10hipError_tT0_T1_T2_jT3_P12ihipStream_tbPNSt15iterator_traitsISG_E10value_typeEPNSM_ISH_E10value_typeEPSI_NS1_7vsmem_tEENKUlT_SG_SH_SI_E_clIS7_S7_PlSB_EESF_SV_SG_SH_SI_EUlSV_E1_NS1_11comp_targetILNS1_3genE3ELNS1_11target_archE908ELNS1_3gpuE7ELNS1_3repE0EEENS1_36merge_oddeven_config_static_selectorELNS0_4arch9wavefront6targetE1EEEvSH_
                                        ; -- End function
	.section	.AMDGPU.csdata,"",@progbits
; Kernel info:
; codeLenInByte = 0
; NumSgprs: 4
; NumVgprs: 0
; NumAgprs: 0
; TotalNumVgprs: 0
; ScratchSize: 0
; MemoryBound: 0
; FloatMode: 240
; IeeeMode: 1
; LDSByteSize: 0 bytes/workgroup (compile time only)
; SGPRBlocks: 0
; VGPRBlocks: 0
; NumSGPRsForWavesPerEU: 4
; NumVGPRsForWavesPerEU: 1
; AccumOffset: 4
; Occupancy: 8
; WaveLimiterHint : 0
; COMPUTE_PGM_RSRC2:SCRATCH_EN: 0
; COMPUTE_PGM_RSRC2:USER_SGPR: 6
; COMPUTE_PGM_RSRC2:TRAP_HANDLER: 0
; COMPUTE_PGM_RSRC2:TGID_X_EN: 1
; COMPUTE_PGM_RSRC2:TGID_Y_EN: 0
; COMPUTE_PGM_RSRC2:TGID_Z_EN: 0
; COMPUTE_PGM_RSRC2:TIDIG_COMP_CNT: 0
; COMPUTE_PGM_RSRC3_GFX90A:ACCUM_OFFSET: 0
; COMPUTE_PGM_RSRC3_GFX90A:TG_SPLIT: 0
	.section	.text._ZN7rocprim17ROCPRIM_400000_NS6detail17trampoline_kernelINS0_14default_configENS1_38merge_sort_block_merge_config_selectorIflEEZZNS1_27merge_sort_block_merge_implIS3_PfN6thrust23THRUST_200600_302600_NS10device_ptrIlEEjNS1_19radix_merge_compareILb0ELb0EfNS0_19identity_decomposerEEEEE10hipError_tT0_T1_T2_jT3_P12ihipStream_tbPNSt15iterator_traitsISG_E10value_typeEPNSM_ISH_E10value_typeEPSI_NS1_7vsmem_tEENKUlT_SG_SH_SI_E_clIS7_S7_PlSB_EESF_SV_SG_SH_SI_EUlSV_E1_NS1_11comp_targetILNS1_3genE2ELNS1_11target_archE906ELNS1_3gpuE6ELNS1_3repE0EEENS1_36merge_oddeven_config_static_selectorELNS0_4arch9wavefront6targetE1EEEvSH_,"axG",@progbits,_ZN7rocprim17ROCPRIM_400000_NS6detail17trampoline_kernelINS0_14default_configENS1_38merge_sort_block_merge_config_selectorIflEEZZNS1_27merge_sort_block_merge_implIS3_PfN6thrust23THRUST_200600_302600_NS10device_ptrIlEEjNS1_19radix_merge_compareILb0ELb0EfNS0_19identity_decomposerEEEEE10hipError_tT0_T1_T2_jT3_P12ihipStream_tbPNSt15iterator_traitsISG_E10value_typeEPNSM_ISH_E10value_typeEPSI_NS1_7vsmem_tEENKUlT_SG_SH_SI_E_clIS7_S7_PlSB_EESF_SV_SG_SH_SI_EUlSV_E1_NS1_11comp_targetILNS1_3genE2ELNS1_11target_archE906ELNS1_3gpuE6ELNS1_3repE0EEENS1_36merge_oddeven_config_static_selectorELNS0_4arch9wavefront6targetE1EEEvSH_,comdat
	.protected	_ZN7rocprim17ROCPRIM_400000_NS6detail17trampoline_kernelINS0_14default_configENS1_38merge_sort_block_merge_config_selectorIflEEZZNS1_27merge_sort_block_merge_implIS3_PfN6thrust23THRUST_200600_302600_NS10device_ptrIlEEjNS1_19radix_merge_compareILb0ELb0EfNS0_19identity_decomposerEEEEE10hipError_tT0_T1_T2_jT3_P12ihipStream_tbPNSt15iterator_traitsISG_E10value_typeEPNSM_ISH_E10value_typeEPSI_NS1_7vsmem_tEENKUlT_SG_SH_SI_E_clIS7_S7_PlSB_EESF_SV_SG_SH_SI_EUlSV_E1_NS1_11comp_targetILNS1_3genE2ELNS1_11target_archE906ELNS1_3gpuE6ELNS1_3repE0EEENS1_36merge_oddeven_config_static_selectorELNS0_4arch9wavefront6targetE1EEEvSH_ ; -- Begin function _ZN7rocprim17ROCPRIM_400000_NS6detail17trampoline_kernelINS0_14default_configENS1_38merge_sort_block_merge_config_selectorIflEEZZNS1_27merge_sort_block_merge_implIS3_PfN6thrust23THRUST_200600_302600_NS10device_ptrIlEEjNS1_19radix_merge_compareILb0ELb0EfNS0_19identity_decomposerEEEEE10hipError_tT0_T1_T2_jT3_P12ihipStream_tbPNSt15iterator_traitsISG_E10value_typeEPNSM_ISH_E10value_typeEPSI_NS1_7vsmem_tEENKUlT_SG_SH_SI_E_clIS7_S7_PlSB_EESF_SV_SG_SH_SI_EUlSV_E1_NS1_11comp_targetILNS1_3genE2ELNS1_11target_archE906ELNS1_3gpuE6ELNS1_3repE0EEENS1_36merge_oddeven_config_static_selectorELNS0_4arch9wavefront6targetE1EEEvSH_
	.globl	_ZN7rocprim17ROCPRIM_400000_NS6detail17trampoline_kernelINS0_14default_configENS1_38merge_sort_block_merge_config_selectorIflEEZZNS1_27merge_sort_block_merge_implIS3_PfN6thrust23THRUST_200600_302600_NS10device_ptrIlEEjNS1_19radix_merge_compareILb0ELb0EfNS0_19identity_decomposerEEEEE10hipError_tT0_T1_T2_jT3_P12ihipStream_tbPNSt15iterator_traitsISG_E10value_typeEPNSM_ISH_E10value_typeEPSI_NS1_7vsmem_tEENKUlT_SG_SH_SI_E_clIS7_S7_PlSB_EESF_SV_SG_SH_SI_EUlSV_E1_NS1_11comp_targetILNS1_3genE2ELNS1_11target_archE906ELNS1_3gpuE6ELNS1_3repE0EEENS1_36merge_oddeven_config_static_selectorELNS0_4arch9wavefront6targetE1EEEvSH_
	.p2align	8
	.type	_ZN7rocprim17ROCPRIM_400000_NS6detail17trampoline_kernelINS0_14default_configENS1_38merge_sort_block_merge_config_selectorIflEEZZNS1_27merge_sort_block_merge_implIS3_PfN6thrust23THRUST_200600_302600_NS10device_ptrIlEEjNS1_19radix_merge_compareILb0ELb0EfNS0_19identity_decomposerEEEEE10hipError_tT0_T1_T2_jT3_P12ihipStream_tbPNSt15iterator_traitsISG_E10value_typeEPNSM_ISH_E10value_typeEPSI_NS1_7vsmem_tEENKUlT_SG_SH_SI_E_clIS7_S7_PlSB_EESF_SV_SG_SH_SI_EUlSV_E1_NS1_11comp_targetILNS1_3genE2ELNS1_11target_archE906ELNS1_3gpuE6ELNS1_3repE0EEENS1_36merge_oddeven_config_static_selectorELNS0_4arch9wavefront6targetE1EEEvSH_,@function
_ZN7rocprim17ROCPRIM_400000_NS6detail17trampoline_kernelINS0_14default_configENS1_38merge_sort_block_merge_config_selectorIflEEZZNS1_27merge_sort_block_merge_implIS3_PfN6thrust23THRUST_200600_302600_NS10device_ptrIlEEjNS1_19radix_merge_compareILb0ELb0EfNS0_19identity_decomposerEEEEE10hipError_tT0_T1_T2_jT3_P12ihipStream_tbPNSt15iterator_traitsISG_E10value_typeEPNSM_ISH_E10value_typeEPSI_NS1_7vsmem_tEENKUlT_SG_SH_SI_E_clIS7_S7_PlSB_EESF_SV_SG_SH_SI_EUlSV_E1_NS1_11comp_targetILNS1_3genE2ELNS1_11target_archE906ELNS1_3gpuE6ELNS1_3repE0EEENS1_36merge_oddeven_config_static_selectorELNS0_4arch9wavefront6targetE1EEEvSH_: ; @_ZN7rocprim17ROCPRIM_400000_NS6detail17trampoline_kernelINS0_14default_configENS1_38merge_sort_block_merge_config_selectorIflEEZZNS1_27merge_sort_block_merge_implIS3_PfN6thrust23THRUST_200600_302600_NS10device_ptrIlEEjNS1_19radix_merge_compareILb0ELb0EfNS0_19identity_decomposerEEEEE10hipError_tT0_T1_T2_jT3_P12ihipStream_tbPNSt15iterator_traitsISG_E10value_typeEPNSM_ISH_E10value_typeEPSI_NS1_7vsmem_tEENKUlT_SG_SH_SI_E_clIS7_S7_PlSB_EESF_SV_SG_SH_SI_EUlSV_E1_NS1_11comp_targetILNS1_3genE2ELNS1_11target_archE906ELNS1_3gpuE6ELNS1_3repE0EEENS1_36merge_oddeven_config_static_selectorELNS0_4arch9wavefront6targetE1EEEvSH_
; %bb.0:
	.section	.rodata,"a",@progbits
	.p2align	6, 0x0
	.amdhsa_kernel _ZN7rocprim17ROCPRIM_400000_NS6detail17trampoline_kernelINS0_14default_configENS1_38merge_sort_block_merge_config_selectorIflEEZZNS1_27merge_sort_block_merge_implIS3_PfN6thrust23THRUST_200600_302600_NS10device_ptrIlEEjNS1_19radix_merge_compareILb0ELb0EfNS0_19identity_decomposerEEEEE10hipError_tT0_T1_T2_jT3_P12ihipStream_tbPNSt15iterator_traitsISG_E10value_typeEPNSM_ISH_E10value_typeEPSI_NS1_7vsmem_tEENKUlT_SG_SH_SI_E_clIS7_S7_PlSB_EESF_SV_SG_SH_SI_EUlSV_E1_NS1_11comp_targetILNS1_3genE2ELNS1_11target_archE906ELNS1_3gpuE6ELNS1_3repE0EEENS1_36merge_oddeven_config_static_selectorELNS0_4arch9wavefront6targetE1EEEvSH_
		.amdhsa_group_segment_fixed_size 0
		.amdhsa_private_segment_fixed_size 0
		.amdhsa_kernarg_size 48
		.amdhsa_user_sgpr_count 6
		.amdhsa_user_sgpr_private_segment_buffer 1
		.amdhsa_user_sgpr_dispatch_ptr 0
		.amdhsa_user_sgpr_queue_ptr 0
		.amdhsa_user_sgpr_kernarg_segment_ptr 1
		.amdhsa_user_sgpr_dispatch_id 0
		.amdhsa_user_sgpr_flat_scratch_init 0
		.amdhsa_user_sgpr_kernarg_preload_length 0
		.amdhsa_user_sgpr_kernarg_preload_offset 0
		.amdhsa_user_sgpr_private_segment_size 0
		.amdhsa_uses_dynamic_stack 0
		.amdhsa_system_sgpr_private_segment_wavefront_offset 0
		.amdhsa_system_sgpr_workgroup_id_x 1
		.amdhsa_system_sgpr_workgroup_id_y 0
		.amdhsa_system_sgpr_workgroup_id_z 0
		.amdhsa_system_sgpr_workgroup_info 0
		.amdhsa_system_vgpr_workitem_id 0
		.amdhsa_next_free_vgpr 1
		.amdhsa_next_free_sgpr 0
		.amdhsa_accum_offset 4
		.amdhsa_reserve_vcc 0
		.amdhsa_reserve_flat_scratch 0
		.amdhsa_float_round_mode_32 0
		.amdhsa_float_round_mode_16_64 0
		.amdhsa_float_denorm_mode_32 3
		.amdhsa_float_denorm_mode_16_64 3
		.amdhsa_dx10_clamp 1
		.amdhsa_ieee_mode 1
		.amdhsa_fp16_overflow 0
		.amdhsa_tg_split 0
		.amdhsa_exception_fp_ieee_invalid_op 0
		.amdhsa_exception_fp_denorm_src 0
		.amdhsa_exception_fp_ieee_div_zero 0
		.amdhsa_exception_fp_ieee_overflow 0
		.amdhsa_exception_fp_ieee_underflow 0
		.amdhsa_exception_fp_ieee_inexact 0
		.amdhsa_exception_int_div_zero 0
	.end_amdhsa_kernel
	.section	.text._ZN7rocprim17ROCPRIM_400000_NS6detail17trampoline_kernelINS0_14default_configENS1_38merge_sort_block_merge_config_selectorIflEEZZNS1_27merge_sort_block_merge_implIS3_PfN6thrust23THRUST_200600_302600_NS10device_ptrIlEEjNS1_19radix_merge_compareILb0ELb0EfNS0_19identity_decomposerEEEEE10hipError_tT0_T1_T2_jT3_P12ihipStream_tbPNSt15iterator_traitsISG_E10value_typeEPNSM_ISH_E10value_typeEPSI_NS1_7vsmem_tEENKUlT_SG_SH_SI_E_clIS7_S7_PlSB_EESF_SV_SG_SH_SI_EUlSV_E1_NS1_11comp_targetILNS1_3genE2ELNS1_11target_archE906ELNS1_3gpuE6ELNS1_3repE0EEENS1_36merge_oddeven_config_static_selectorELNS0_4arch9wavefront6targetE1EEEvSH_,"axG",@progbits,_ZN7rocprim17ROCPRIM_400000_NS6detail17trampoline_kernelINS0_14default_configENS1_38merge_sort_block_merge_config_selectorIflEEZZNS1_27merge_sort_block_merge_implIS3_PfN6thrust23THRUST_200600_302600_NS10device_ptrIlEEjNS1_19radix_merge_compareILb0ELb0EfNS0_19identity_decomposerEEEEE10hipError_tT0_T1_T2_jT3_P12ihipStream_tbPNSt15iterator_traitsISG_E10value_typeEPNSM_ISH_E10value_typeEPSI_NS1_7vsmem_tEENKUlT_SG_SH_SI_E_clIS7_S7_PlSB_EESF_SV_SG_SH_SI_EUlSV_E1_NS1_11comp_targetILNS1_3genE2ELNS1_11target_archE906ELNS1_3gpuE6ELNS1_3repE0EEENS1_36merge_oddeven_config_static_selectorELNS0_4arch9wavefront6targetE1EEEvSH_,comdat
.Lfunc_end1781:
	.size	_ZN7rocprim17ROCPRIM_400000_NS6detail17trampoline_kernelINS0_14default_configENS1_38merge_sort_block_merge_config_selectorIflEEZZNS1_27merge_sort_block_merge_implIS3_PfN6thrust23THRUST_200600_302600_NS10device_ptrIlEEjNS1_19radix_merge_compareILb0ELb0EfNS0_19identity_decomposerEEEEE10hipError_tT0_T1_T2_jT3_P12ihipStream_tbPNSt15iterator_traitsISG_E10value_typeEPNSM_ISH_E10value_typeEPSI_NS1_7vsmem_tEENKUlT_SG_SH_SI_E_clIS7_S7_PlSB_EESF_SV_SG_SH_SI_EUlSV_E1_NS1_11comp_targetILNS1_3genE2ELNS1_11target_archE906ELNS1_3gpuE6ELNS1_3repE0EEENS1_36merge_oddeven_config_static_selectorELNS0_4arch9wavefront6targetE1EEEvSH_, .Lfunc_end1781-_ZN7rocprim17ROCPRIM_400000_NS6detail17trampoline_kernelINS0_14default_configENS1_38merge_sort_block_merge_config_selectorIflEEZZNS1_27merge_sort_block_merge_implIS3_PfN6thrust23THRUST_200600_302600_NS10device_ptrIlEEjNS1_19radix_merge_compareILb0ELb0EfNS0_19identity_decomposerEEEEE10hipError_tT0_T1_T2_jT3_P12ihipStream_tbPNSt15iterator_traitsISG_E10value_typeEPNSM_ISH_E10value_typeEPSI_NS1_7vsmem_tEENKUlT_SG_SH_SI_E_clIS7_S7_PlSB_EESF_SV_SG_SH_SI_EUlSV_E1_NS1_11comp_targetILNS1_3genE2ELNS1_11target_archE906ELNS1_3gpuE6ELNS1_3repE0EEENS1_36merge_oddeven_config_static_selectorELNS0_4arch9wavefront6targetE1EEEvSH_
                                        ; -- End function
	.section	.AMDGPU.csdata,"",@progbits
; Kernel info:
; codeLenInByte = 0
; NumSgprs: 4
; NumVgprs: 0
; NumAgprs: 0
; TotalNumVgprs: 0
; ScratchSize: 0
; MemoryBound: 0
; FloatMode: 240
; IeeeMode: 1
; LDSByteSize: 0 bytes/workgroup (compile time only)
; SGPRBlocks: 0
; VGPRBlocks: 0
; NumSGPRsForWavesPerEU: 4
; NumVGPRsForWavesPerEU: 1
; AccumOffset: 4
; Occupancy: 8
; WaveLimiterHint : 0
; COMPUTE_PGM_RSRC2:SCRATCH_EN: 0
; COMPUTE_PGM_RSRC2:USER_SGPR: 6
; COMPUTE_PGM_RSRC2:TRAP_HANDLER: 0
; COMPUTE_PGM_RSRC2:TGID_X_EN: 1
; COMPUTE_PGM_RSRC2:TGID_Y_EN: 0
; COMPUTE_PGM_RSRC2:TGID_Z_EN: 0
; COMPUTE_PGM_RSRC2:TIDIG_COMP_CNT: 0
; COMPUTE_PGM_RSRC3_GFX90A:ACCUM_OFFSET: 0
; COMPUTE_PGM_RSRC3_GFX90A:TG_SPLIT: 0
	.section	.text._ZN7rocprim17ROCPRIM_400000_NS6detail17trampoline_kernelINS0_14default_configENS1_38merge_sort_block_merge_config_selectorIflEEZZNS1_27merge_sort_block_merge_implIS3_PfN6thrust23THRUST_200600_302600_NS10device_ptrIlEEjNS1_19radix_merge_compareILb0ELb0EfNS0_19identity_decomposerEEEEE10hipError_tT0_T1_T2_jT3_P12ihipStream_tbPNSt15iterator_traitsISG_E10value_typeEPNSM_ISH_E10value_typeEPSI_NS1_7vsmem_tEENKUlT_SG_SH_SI_E_clIS7_S7_PlSB_EESF_SV_SG_SH_SI_EUlSV_E1_NS1_11comp_targetILNS1_3genE9ELNS1_11target_archE1100ELNS1_3gpuE3ELNS1_3repE0EEENS1_36merge_oddeven_config_static_selectorELNS0_4arch9wavefront6targetE1EEEvSH_,"axG",@progbits,_ZN7rocprim17ROCPRIM_400000_NS6detail17trampoline_kernelINS0_14default_configENS1_38merge_sort_block_merge_config_selectorIflEEZZNS1_27merge_sort_block_merge_implIS3_PfN6thrust23THRUST_200600_302600_NS10device_ptrIlEEjNS1_19radix_merge_compareILb0ELb0EfNS0_19identity_decomposerEEEEE10hipError_tT0_T1_T2_jT3_P12ihipStream_tbPNSt15iterator_traitsISG_E10value_typeEPNSM_ISH_E10value_typeEPSI_NS1_7vsmem_tEENKUlT_SG_SH_SI_E_clIS7_S7_PlSB_EESF_SV_SG_SH_SI_EUlSV_E1_NS1_11comp_targetILNS1_3genE9ELNS1_11target_archE1100ELNS1_3gpuE3ELNS1_3repE0EEENS1_36merge_oddeven_config_static_selectorELNS0_4arch9wavefront6targetE1EEEvSH_,comdat
	.protected	_ZN7rocprim17ROCPRIM_400000_NS6detail17trampoline_kernelINS0_14default_configENS1_38merge_sort_block_merge_config_selectorIflEEZZNS1_27merge_sort_block_merge_implIS3_PfN6thrust23THRUST_200600_302600_NS10device_ptrIlEEjNS1_19radix_merge_compareILb0ELb0EfNS0_19identity_decomposerEEEEE10hipError_tT0_T1_T2_jT3_P12ihipStream_tbPNSt15iterator_traitsISG_E10value_typeEPNSM_ISH_E10value_typeEPSI_NS1_7vsmem_tEENKUlT_SG_SH_SI_E_clIS7_S7_PlSB_EESF_SV_SG_SH_SI_EUlSV_E1_NS1_11comp_targetILNS1_3genE9ELNS1_11target_archE1100ELNS1_3gpuE3ELNS1_3repE0EEENS1_36merge_oddeven_config_static_selectorELNS0_4arch9wavefront6targetE1EEEvSH_ ; -- Begin function _ZN7rocprim17ROCPRIM_400000_NS6detail17trampoline_kernelINS0_14default_configENS1_38merge_sort_block_merge_config_selectorIflEEZZNS1_27merge_sort_block_merge_implIS3_PfN6thrust23THRUST_200600_302600_NS10device_ptrIlEEjNS1_19radix_merge_compareILb0ELb0EfNS0_19identity_decomposerEEEEE10hipError_tT0_T1_T2_jT3_P12ihipStream_tbPNSt15iterator_traitsISG_E10value_typeEPNSM_ISH_E10value_typeEPSI_NS1_7vsmem_tEENKUlT_SG_SH_SI_E_clIS7_S7_PlSB_EESF_SV_SG_SH_SI_EUlSV_E1_NS1_11comp_targetILNS1_3genE9ELNS1_11target_archE1100ELNS1_3gpuE3ELNS1_3repE0EEENS1_36merge_oddeven_config_static_selectorELNS0_4arch9wavefront6targetE1EEEvSH_
	.globl	_ZN7rocprim17ROCPRIM_400000_NS6detail17trampoline_kernelINS0_14default_configENS1_38merge_sort_block_merge_config_selectorIflEEZZNS1_27merge_sort_block_merge_implIS3_PfN6thrust23THRUST_200600_302600_NS10device_ptrIlEEjNS1_19radix_merge_compareILb0ELb0EfNS0_19identity_decomposerEEEEE10hipError_tT0_T1_T2_jT3_P12ihipStream_tbPNSt15iterator_traitsISG_E10value_typeEPNSM_ISH_E10value_typeEPSI_NS1_7vsmem_tEENKUlT_SG_SH_SI_E_clIS7_S7_PlSB_EESF_SV_SG_SH_SI_EUlSV_E1_NS1_11comp_targetILNS1_3genE9ELNS1_11target_archE1100ELNS1_3gpuE3ELNS1_3repE0EEENS1_36merge_oddeven_config_static_selectorELNS0_4arch9wavefront6targetE1EEEvSH_
	.p2align	8
	.type	_ZN7rocprim17ROCPRIM_400000_NS6detail17trampoline_kernelINS0_14default_configENS1_38merge_sort_block_merge_config_selectorIflEEZZNS1_27merge_sort_block_merge_implIS3_PfN6thrust23THRUST_200600_302600_NS10device_ptrIlEEjNS1_19radix_merge_compareILb0ELb0EfNS0_19identity_decomposerEEEEE10hipError_tT0_T1_T2_jT3_P12ihipStream_tbPNSt15iterator_traitsISG_E10value_typeEPNSM_ISH_E10value_typeEPSI_NS1_7vsmem_tEENKUlT_SG_SH_SI_E_clIS7_S7_PlSB_EESF_SV_SG_SH_SI_EUlSV_E1_NS1_11comp_targetILNS1_3genE9ELNS1_11target_archE1100ELNS1_3gpuE3ELNS1_3repE0EEENS1_36merge_oddeven_config_static_selectorELNS0_4arch9wavefront6targetE1EEEvSH_,@function
_ZN7rocprim17ROCPRIM_400000_NS6detail17trampoline_kernelINS0_14default_configENS1_38merge_sort_block_merge_config_selectorIflEEZZNS1_27merge_sort_block_merge_implIS3_PfN6thrust23THRUST_200600_302600_NS10device_ptrIlEEjNS1_19radix_merge_compareILb0ELb0EfNS0_19identity_decomposerEEEEE10hipError_tT0_T1_T2_jT3_P12ihipStream_tbPNSt15iterator_traitsISG_E10value_typeEPNSM_ISH_E10value_typeEPSI_NS1_7vsmem_tEENKUlT_SG_SH_SI_E_clIS7_S7_PlSB_EESF_SV_SG_SH_SI_EUlSV_E1_NS1_11comp_targetILNS1_3genE9ELNS1_11target_archE1100ELNS1_3gpuE3ELNS1_3repE0EEENS1_36merge_oddeven_config_static_selectorELNS0_4arch9wavefront6targetE1EEEvSH_: ; @_ZN7rocprim17ROCPRIM_400000_NS6detail17trampoline_kernelINS0_14default_configENS1_38merge_sort_block_merge_config_selectorIflEEZZNS1_27merge_sort_block_merge_implIS3_PfN6thrust23THRUST_200600_302600_NS10device_ptrIlEEjNS1_19radix_merge_compareILb0ELb0EfNS0_19identity_decomposerEEEEE10hipError_tT0_T1_T2_jT3_P12ihipStream_tbPNSt15iterator_traitsISG_E10value_typeEPNSM_ISH_E10value_typeEPSI_NS1_7vsmem_tEENKUlT_SG_SH_SI_E_clIS7_S7_PlSB_EESF_SV_SG_SH_SI_EUlSV_E1_NS1_11comp_targetILNS1_3genE9ELNS1_11target_archE1100ELNS1_3gpuE3ELNS1_3repE0EEENS1_36merge_oddeven_config_static_selectorELNS0_4arch9wavefront6targetE1EEEvSH_
; %bb.0:
	.section	.rodata,"a",@progbits
	.p2align	6, 0x0
	.amdhsa_kernel _ZN7rocprim17ROCPRIM_400000_NS6detail17trampoline_kernelINS0_14default_configENS1_38merge_sort_block_merge_config_selectorIflEEZZNS1_27merge_sort_block_merge_implIS3_PfN6thrust23THRUST_200600_302600_NS10device_ptrIlEEjNS1_19radix_merge_compareILb0ELb0EfNS0_19identity_decomposerEEEEE10hipError_tT0_T1_T2_jT3_P12ihipStream_tbPNSt15iterator_traitsISG_E10value_typeEPNSM_ISH_E10value_typeEPSI_NS1_7vsmem_tEENKUlT_SG_SH_SI_E_clIS7_S7_PlSB_EESF_SV_SG_SH_SI_EUlSV_E1_NS1_11comp_targetILNS1_3genE9ELNS1_11target_archE1100ELNS1_3gpuE3ELNS1_3repE0EEENS1_36merge_oddeven_config_static_selectorELNS0_4arch9wavefront6targetE1EEEvSH_
		.amdhsa_group_segment_fixed_size 0
		.amdhsa_private_segment_fixed_size 0
		.amdhsa_kernarg_size 48
		.amdhsa_user_sgpr_count 6
		.amdhsa_user_sgpr_private_segment_buffer 1
		.amdhsa_user_sgpr_dispatch_ptr 0
		.amdhsa_user_sgpr_queue_ptr 0
		.amdhsa_user_sgpr_kernarg_segment_ptr 1
		.amdhsa_user_sgpr_dispatch_id 0
		.amdhsa_user_sgpr_flat_scratch_init 0
		.amdhsa_user_sgpr_kernarg_preload_length 0
		.amdhsa_user_sgpr_kernarg_preload_offset 0
		.amdhsa_user_sgpr_private_segment_size 0
		.amdhsa_uses_dynamic_stack 0
		.amdhsa_system_sgpr_private_segment_wavefront_offset 0
		.amdhsa_system_sgpr_workgroup_id_x 1
		.amdhsa_system_sgpr_workgroup_id_y 0
		.amdhsa_system_sgpr_workgroup_id_z 0
		.amdhsa_system_sgpr_workgroup_info 0
		.amdhsa_system_vgpr_workitem_id 0
		.amdhsa_next_free_vgpr 1
		.amdhsa_next_free_sgpr 0
		.amdhsa_accum_offset 4
		.amdhsa_reserve_vcc 0
		.amdhsa_reserve_flat_scratch 0
		.amdhsa_float_round_mode_32 0
		.amdhsa_float_round_mode_16_64 0
		.amdhsa_float_denorm_mode_32 3
		.amdhsa_float_denorm_mode_16_64 3
		.amdhsa_dx10_clamp 1
		.amdhsa_ieee_mode 1
		.amdhsa_fp16_overflow 0
		.amdhsa_tg_split 0
		.amdhsa_exception_fp_ieee_invalid_op 0
		.amdhsa_exception_fp_denorm_src 0
		.amdhsa_exception_fp_ieee_div_zero 0
		.amdhsa_exception_fp_ieee_overflow 0
		.amdhsa_exception_fp_ieee_underflow 0
		.amdhsa_exception_fp_ieee_inexact 0
		.amdhsa_exception_int_div_zero 0
	.end_amdhsa_kernel
	.section	.text._ZN7rocprim17ROCPRIM_400000_NS6detail17trampoline_kernelINS0_14default_configENS1_38merge_sort_block_merge_config_selectorIflEEZZNS1_27merge_sort_block_merge_implIS3_PfN6thrust23THRUST_200600_302600_NS10device_ptrIlEEjNS1_19radix_merge_compareILb0ELb0EfNS0_19identity_decomposerEEEEE10hipError_tT0_T1_T2_jT3_P12ihipStream_tbPNSt15iterator_traitsISG_E10value_typeEPNSM_ISH_E10value_typeEPSI_NS1_7vsmem_tEENKUlT_SG_SH_SI_E_clIS7_S7_PlSB_EESF_SV_SG_SH_SI_EUlSV_E1_NS1_11comp_targetILNS1_3genE9ELNS1_11target_archE1100ELNS1_3gpuE3ELNS1_3repE0EEENS1_36merge_oddeven_config_static_selectorELNS0_4arch9wavefront6targetE1EEEvSH_,"axG",@progbits,_ZN7rocprim17ROCPRIM_400000_NS6detail17trampoline_kernelINS0_14default_configENS1_38merge_sort_block_merge_config_selectorIflEEZZNS1_27merge_sort_block_merge_implIS3_PfN6thrust23THRUST_200600_302600_NS10device_ptrIlEEjNS1_19radix_merge_compareILb0ELb0EfNS0_19identity_decomposerEEEEE10hipError_tT0_T1_T2_jT3_P12ihipStream_tbPNSt15iterator_traitsISG_E10value_typeEPNSM_ISH_E10value_typeEPSI_NS1_7vsmem_tEENKUlT_SG_SH_SI_E_clIS7_S7_PlSB_EESF_SV_SG_SH_SI_EUlSV_E1_NS1_11comp_targetILNS1_3genE9ELNS1_11target_archE1100ELNS1_3gpuE3ELNS1_3repE0EEENS1_36merge_oddeven_config_static_selectorELNS0_4arch9wavefront6targetE1EEEvSH_,comdat
.Lfunc_end1782:
	.size	_ZN7rocprim17ROCPRIM_400000_NS6detail17trampoline_kernelINS0_14default_configENS1_38merge_sort_block_merge_config_selectorIflEEZZNS1_27merge_sort_block_merge_implIS3_PfN6thrust23THRUST_200600_302600_NS10device_ptrIlEEjNS1_19radix_merge_compareILb0ELb0EfNS0_19identity_decomposerEEEEE10hipError_tT0_T1_T2_jT3_P12ihipStream_tbPNSt15iterator_traitsISG_E10value_typeEPNSM_ISH_E10value_typeEPSI_NS1_7vsmem_tEENKUlT_SG_SH_SI_E_clIS7_S7_PlSB_EESF_SV_SG_SH_SI_EUlSV_E1_NS1_11comp_targetILNS1_3genE9ELNS1_11target_archE1100ELNS1_3gpuE3ELNS1_3repE0EEENS1_36merge_oddeven_config_static_selectorELNS0_4arch9wavefront6targetE1EEEvSH_, .Lfunc_end1782-_ZN7rocprim17ROCPRIM_400000_NS6detail17trampoline_kernelINS0_14default_configENS1_38merge_sort_block_merge_config_selectorIflEEZZNS1_27merge_sort_block_merge_implIS3_PfN6thrust23THRUST_200600_302600_NS10device_ptrIlEEjNS1_19radix_merge_compareILb0ELb0EfNS0_19identity_decomposerEEEEE10hipError_tT0_T1_T2_jT3_P12ihipStream_tbPNSt15iterator_traitsISG_E10value_typeEPNSM_ISH_E10value_typeEPSI_NS1_7vsmem_tEENKUlT_SG_SH_SI_E_clIS7_S7_PlSB_EESF_SV_SG_SH_SI_EUlSV_E1_NS1_11comp_targetILNS1_3genE9ELNS1_11target_archE1100ELNS1_3gpuE3ELNS1_3repE0EEENS1_36merge_oddeven_config_static_selectorELNS0_4arch9wavefront6targetE1EEEvSH_
                                        ; -- End function
	.section	.AMDGPU.csdata,"",@progbits
; Kernel info:
; codeLenInByte = 0
; NumSgprs: 4
; NumVgprs: 0
; NumAgprs: 0
; TotalNumVgprs: 0
; ScratchSize: 0
; MemoryBound: 0
; FloatMode: 240
; IeeeMode: 1
; LDSByteSize: 0 bytes/workgroup (compile time only)
; SGPRBlocks: 0
; VGPRBlocks: 0
; NumSGPRsForWavesPerEU: 4
; NumVGPRsForWavesPerEU: 1
; AccumOffset: 4
; Occupancy: 8
; WaveLimiterHint : 0
; COMPUTE_PGM_RSRC2:SCRATCH_EN: 0
; COMPUTE_PGM_RSRC2:USER_SGPR: 6
; COMPUTE_PGM_RSRC2:TRAP_HANDLER: 0
; COMPUTE_PGM_RSRC2:TGID_X_EN: 1
; COMPUTE_PGM_RSRC2:TGID_Y_EN: 0
; COMPUTE_PGM_RSRC2:TGID_Z_EN: 0
; COMPUTE_PGM_RSRC2:TIDIG_COMP_CNT: 0
; COMPUTE_PGM_RSRC3_GFX90A:ACCUM_OFFSET: 0
; COMPUTE_PGM_RSRC3_GFX90A:TG_SPLIT: 0
	.section	.text._ZN7rocprim17ROCPRIM_400000_NS6detail17trampoline_kernelINS0_14default_configENS1_38merge_sort_block_merge_config_selectorIflEEZZNS1_27merge_sort_block_merge_implIS3_PfN6thrust23THRUST_200600_302600_NS10device_ptrIlEEjNS1_19radix_merge_compareILb0ELb0EfNS0_19identity_decomposerEEEEE10hipError_tT0_T1_T2_jT3_P12ihipStream_tbPNSt15iterator_traitsISG_E10value_typeEPNSM_ISH_E10value_typeEPSI_NS1_7vsmem_tEENKUlT_SG_SH_SI_E_clIS7_S7_PlSB_EESF_SV_SG_SH_SI_EUlSV_E1_NS1_11comp_targetILNS1_3genE8ELNS1_11target_archE1030ELNS1_3gpuE2ELNS1_3repE0EEENS1_36merge_oddeven_config_static_selectorELNS0_4arch9wavefront6targetE1EEEvSH_,"axG",@progbits,_ZN7rocprim17ROCPRIM_400000_NS6detail17trampoline_kernelINS0_14default_configENS1_38merge_sort_block_merge_config_selectorIflEEZZNS1_27merge_sort_block_merge_implIS3_PfN6thrust23THRUST_200600_302600_NS10device_ptrIlEEjNS1_19radix_merge_compareILb0ELb0EfNS0_19identity_decomposerEEEEE10hipError_tT0_T1_T2_jT3_P12ihipStream_tbPNSt15iterator_traitsISG_E10value_typeEPNSM_ISH_E10value_typeEPSI_NS1_7vsmem_tEENKUlT_SG_SH_SI_E_clIS7_S7_PlSB_EESF_SV_SG_SH_SI_EUlSV_E1_NS1_11comp_targetILNS1_3genE8ELNS1_11target_archE1030ELNS1_3gpuE2ELNS1_3repE0EEENS1_36merge_oddeven_config_static_selectorELNS0_4arch9wavefront6targetE1EEEvSH_,comdat
	.protected	_ZN7rocprim17ROCPRIM_400000_NS6detail17trampoline_kernelINS0_14default_configENS1_38merge_sort_block_merge_config_selectorIflEEZZNS1_27merge_sort_block_merge_implIS3_PfN6thrust23THRUST_200600_302600_NS10device_ptrIlEEjNS1_19radix_merge_compareILb0ELb0EfNS0_19identity_decomposerEEEEE10hipError_tT0_T1_T2_jT3_P12ihipStream_tbPNSt15iterator_traitsISG_E10value_typeEPNSM_ISH_E10value_typeEPSI_NS1_7vsmem_tEENKUlT_SG_SH_SI_E_clIS7_S7_PlSB_EESF_SV_SG_SH_SI_EUlSV_E1_NS1_11comp_targetILNS1_3genE8ELNS1_11target_archE1030ELNS1_3gpuE2ELNS1_3repE0EEENS1_36merge_oddeven_config_static_selectorELNS0_4arch9wavefront6targetE1EEEvSH_ ; -- Begin function _ZN7rocprim17ROCPRIM_400000_NS6detail17trampoline_kernelINS0_14default_configENS1_38merge_sort_block_merge_config_selectorIflEEZZNS1_27merge_sort_block_merge_implIS3_PfN6thrust23THRUST_200600_302600_NS10device_ptrIlEEjNS1_19radix_merge_compareILb0ELb0EfNS0_19identity_decomposerEEEEE10hipError_tT0_T1_T2_jT3_P12ihipStream_tbPNSt15iterator_traitsISG_E10value_typeEPNSM_ISH_E10value_typeEPSI_NS1_7vsmem_tEENKUlT_SG_SH_SI_E_clIS7_S7_PlSB_EESF_SV_SG_SH_SI_EUlSV_E1_NS1_11comp_targetILNS1_3genE8ELNS1_11target_archE1030ELNS1_3gpuE2ELNS1_3repE0EEENS1_36merge_oddeven_config_static_selectorELNS0_4arch9wavefront6targetE1EEEvSH_
	.globl	_ZN7rocprim17ROCPRIM_400000_NS6detail17trampoline_kernelINS0_14default_configENS1_38merge_sort_block_merge_config_selectorIflEEZZNS1_27merge_sort_block_merge_implIS3_PfN6thrust23THRUST_200600_302600_NS10device_ptrIlEEjNS1_19radix_merge_compareILb0ELb0EfNS0_19identity_decomposerEEEEE10hipError_tT0_T1_T2_jT3_P12ihipStream_tbPNSt15iterator_traitsISG_E10value_typeEPNSM_ISH_E10value_typeEPSI_NS1_7vsmem_tEENKUlT_SG_SH_SI_E_clIS7_S7_PlSB_EESF_SV_SG_SH_SI_EUlSV_E1_NS1_11comp_targetILNS1_3genE8ELNS1_11target_archE1030ELNS1_3gpuE2ELNS1_3repE0EEENS1_36merge_oddeven_config_static_selectorELNS0_4arch9wavefront6targetE1EEEvSH_
	.p2align	8
	.type	_ZN7rocprim17ROCPRIM_400000_NS6detail17trampoline_kernelINS0_14default_configENS1_38merge_sort_block_merge_config_selectorIflEEZZNS1_27merge_sort_block_merge_implIS3_PfN6thrust23THRUST_200600_302600_NS10device_ptrIlEEjNS1_19radix_merge_compareILb0ELb0EfNS0_19identity_decomposerEEEEE10hipError_tT0_T1_T2_jT3_P12ihipStream_tbPNSt15iterator_traitsISG_E10value_typeEPNSM_ISH_E10value_typeEPSI_NS1_7vsmem_tEENKUlT_SG_SH_SI_E_clIS7_S7_PlSB_EESF_SV_SG_SH_SI_EUlSV_E1_NS1_11comp_targetILNS1_3genE8ELNS1_11target_archE1030ELNS1_3gpuE2ELNS1_3repE0EEENS1_36merge_oddeven_config_static_selectorELNS0_4arch9wavefront6targetE1EEEvSH_,@function
_ZN7rocprim17ROCPRIM_400000_NS6detail17trampoline_kernelINS0_14default_configENS1_38merge_sort_block_merge_config_selectorIflEEZZNS1_27merge_sort_block_merge_implIS3_PfN6thrust23THRUST_200600_302600_NS10device_ptrIlEEjNS1_19radix_merge_compareILb0ELb0EfNS0_19identity_decomposerEEEEE10hipError_tT0_T1_T2_jT3_P12ihipStream_tbPNSt15iterator_traitsISG_E10value_typeEPNSM_ISH_E10value_typeEPSI_NS1_7vsmem_tEENKUlT_SG_SH_SI_E_clIS7_S7_PlSB_EESF_SV_SG_SH_SI_EUlSV_E1_NS1_11comp_targetILNS1_3genE8ELNS1_11target_archE1030ELNS1_3gpuE2ELNS1_3repE0EEENS1_36merge_oddeven_config_static_selectorELNS0_4arch9wavefront6targetE1EEEvSH_: ; @_ZN7rocprim17ROCPRIM_400000_NS6detail17trampoline_kernelINS0_14default_configENS1_38merge_sort_block_merge_config_selectorIflEEZZNS1_27merge_sort_block_merge_implIS3_PfN6thrust23THRUST_200600_302600_NS10device_ptrIlEEjNS1_19radix_merge_compareILb0ELb0EfNS0_19identity_decomposerEEEEE10hipError_tT0_T1_T2_jT3_P12ihipStream_tbPNSt15iterator_traitsISG_E10value_typeEPNSM_ISH_E10value_typeEPSI_NS1_7vsmem_tEENKUlT_SG_SH_SI_E_clIS7_S7_PlSB_EESF_SV_SG_SH_SI_EUlSV_E1_NS1_11comp_targetILNS1_3genE8ELNS1_11target_archE1030ELNS1_3gpuE2ELNS1_3repE0EEENS1_36merge_oddeven_config_static_selectorELNS0_4arch9wavefront6targetE1EEEvSH_
; %bb.0:
	.section	.rodata,"a",@progbits
	.p2align	6, 0x0
	.amdhsa_kernel _ZN7rocprim17ROCPRIM_400000_NS6detail17trampoline_kernelINS0_14default_configENS1_38merge_sort_block_merge_config_selectorIflEEZZNS1_27merge_sort_block_merge_implIS3_PfN6thrust23THRUST_200600_302600_NS10device_ptrIlEEjNS1_19radix_merge_compareILb0ELb0EfNS0_19identity_decomposerEEEEE10hipError_tT0_T1_T2_jT3_P12ihipStream_tbPNSt15iterator_traitsISG_E10value_typeEPNSM_ISH_E10value_typeEPSI_NS1_7vsmem_tEENKUlT_SG_SH_SI_E_clIS7_S7_PlSB_EESF_SV_SG_SH_SI_EUlSV_E1_NS1_11comp_targetILNS1_3genE8ELNS1_11target_archE1030ELNS1_3gpuE2ELNS1_3repE0EEENS1_36merge_oddeven_config_static_selectorELNS0_4arch9wavefront6targetE1EEEvSH_
		.amdhsa_group_segment_fixed_size 0
		.amdhsa_private_segment_fixed_size 0
		.amdhsa_kernarg_size 48
		.amdhsa_user_sgpr_count 6
		.amdhsa_user_sgpr_private_segment_buffer 1
		.amdhsa_user_sgpr_dispatch_ptr 0
		.amdhsa_user_sgpr_queue_ptr 0
		.amdhsa_user_sgpr_kernarg_segment_ptr 1
		.amdhsa_user_sgpr_dispatch_id 0
		.amdhsa_user_sgpr_flat_scratch_init 0
		.amdhsa_user_sgpr_kernarg_preload_length 0
		.amdhsa_user_sgpr_kernarg_preload_offset 0
		.amdhsa_user_sgpr_private_segment_size 0
		.amdhsa_uses_dynamic_stack 0
		.amdhsa_system_sgpr_private_segment_wavefront_offset 0
		.amdhsa_system_sgpr_workgroup_id_x 1
		.amdhsa_system_sgpr_workgroup_id_y 0
		.amdhsa_system_sgpr_workgroup_id_z 0
		.amdhsa_system_sgpr_workgroup_info 0
		.amdhsa_system_vgpr_workitem_id 0
		.amdhsa_next_free_vgpr 1
		.amdhsa_next_free_sgpr 0
		.amdhsa_accum_offset 4
		.amdhsa_reserve_vcc 0
		.amdhsa_reserve_flat_scratch 0
		.amdhsa_float_round_mode_32 0
		.amdhsa_float_round_mode_16_64 0
		.amdhsa_float_denorm_mode_32 3
		.amdhsa_float_denorm_mode_16_64 3
		.amdhsa_dx10_clamp 1
		.amdhsa_ieee_mode 1
		.amdhsa_fp16_overflow 0
		.amdhsa_tg_split 0
		.amdhsa_exception_fp_ieee_invalid_op 0
		.amdhsa_exception_fp_denorm_src 0
		.amdhsa_exception_fp_ieee_div_zero 0
		.amdhsa_exception_fp_ieee_overflow 0
		.amdhsa_exception_fp_ieee_underflow 0
		.amdhsa_exception_fp_ieee_inexact 0
		.amdhsa_exception_int_div_zero 0
	.end_amdhsa_kernel
	.section	.text._ZN7rocprim17ROCPRIM_400000_NS6detail17trampoline_kernelINS0_14default_configENS1_38merge_sort_block_merge_config_selectorIflEEZZNS1_27merge_sort_block_merge_implIS3_PfN6thrust23THRUST_200600_302600_NS10device_ptrIlEEjNS1_19radix_merge_compareILb0ELb0EfNS0_19identity_decomposerEEEEE10hipError_tT0_T1_T2_jT3_P12ihipStream_tbPNSt15iterator_traitsISG_E10value_typeEPNSM_ISH_E10value_typeEPSI_NS1_7vsmem_tEENKUlT_SG_SH_SI_E_clIS7_S7_PlSB_EESF_SV_SG_SH_SI_EUlSV_E1_NS1_11comp_targetILNS1_3genE8ELNS1_11target_archE1030ELNS1_3gpuE2ELNS1_3repE0EEENS1_36merge_oddeven_config_static_selectorELNS0_4arch9wavefront6targetE1EEEvSH_,"axG",@progbits,_ZN7rocprim17ROCPRIM_400000_NS6detail17trampoline_kernelINS0_14default_configENS1_38merge_sort_block_merge_config_selectorIflEEZZNS1_27merge_sort_block_merge_implIS3_PfN6thrust23THRUST_200600_302600_NS10device_ptrIlEEjNS1_19radix_merge_compareILb0ELb0EfNS0_19identity_decomposerEEEEE10hipError_tT0_T1_T2_jT3_P12ihipStream_tbPNSt15iterator_traitsISG_E10value_typeEPNSM_ISH_E10value_typeEPSI_NS1_7vsmem_tEENKUlT_SG_SH_SI_E_clIS7_S7_PlSB_EESF_SV_SG_SH_SI_EUlSV_E1_NS1_11comp_targetILNS1_3genE8ELNS1_11target_archE1030ELNS1_3gpuE2ELNS1_3repE0EEENS1_36merge_oddeven_config_static_selectorELNS0_4arch9wavefront6targetE1EEEvSH_,comdat
.Lfunc_end1783:
	.size	_ZN7rocprim17ROCPRIM_400000_NS6detail17trampoline_kernelINS0_14default_configENS1_38merge_sort_block_merge_config_selectorIflEEZZNS1_27merge_sort_block_merge_implIS3_PfN6thrust23THRUST_200600_302600_NS10device_ptrIlEEjNS1_19radix_merge_compareILb0ELb0EfNS0_19identity_decomposerEEEEE10hipError_tT0_T1_T2_jT3_P12ihipStream_tbPNSt15iterator_traitsISG_E10value_typeEPNSM_ISH_E10value_typeEPSI_NS1_7vsmem_tEENKUlT_SG_SH_SI_E_clIS7_S7_PlSB_EESF_SV_SG_SH_SI_EUlSV_E1_NS1_11comp_targetILNS1_3genE8ELNS1_11target_archE1030ELNS1_3gpuE2ELNS1_3repE0EEENS1_36merge_oddeven_config_static_selectorELNS0_4arch9wavefront6targetE1EEEvSH_, .Lfunc_end1783-_ZN7rocprim17ROCPRIM_400000_NS6detail17trampoline_kernelINS0_14default_configENS1_38merge_sort_block_merge_config_selectorIflEEZZNS1_27merge_sort_block_merge_implIS3_PfN6thrust23THRUST_200600_302600_NS10device_ptrIlEEjNS1_19radix_merge_compareILb0ELb0EfNS0_19identity_decomposerEEEEE10hipError_tT0_T1_T2_jT3_P12ihipStream_tbPNSt15iterator_traitsISG_E10value_typeEPNSM_ISH_E10value_typeEPSI_NS1_7vsmem_tEENKUlT_SG_SH_SI_E_clIS7_S7_PlSB_EESF_SV_SG_SH_SI_EUlSV_E1_NS1_11comp_targetILNS1_3genE8ELNS1_11target_archE1030ELNS1_3gpuE2ELNS1_3repE0EEENS1_36merge_oddeven_config_static_selectorELNS0_4arch9wavefront6targetE1EEEvSH_
                                        ; -- End function
	.section	.AMDGPU.csdata,"",@progbits
; Kernel info:
; codeLenInByte = 0
; NumSgprs: 4
; NumVgprs: 0
; NumAgprs: 0
; TotalNumVgprs: 0
; ScratchSize: 0
; MemoryBound: 0
; FloatMode: 240
; IeeeMode: 1
; LDSByteSize: 0 bytes/workgroup (compile time only)
; SGPRBlocks: 0
; VGPRBlocks: 0
; NumSGPRsForWavesPerEU: 4
; NumVGPRsForWavesPerEU: 1
; AccumOffset: 4
; Occupancy: 8
; WaveLimiterHint : 0
; COMPUTE_PGM_RSRC2:SCRATCH_EN: 0
; COMPUTE_PGM_RSRC2:USER_SGPR: 6
; COMPUTE_PGM_RSRC2:TRAP_HANDLER: 0
; COMPUTE_PGM_RSRC2:TGID_X_EN: 1
; COMPUTE_PGM_RSRC2:TGID_Y_EN: 0
; COMPUTE_PGM_RSRC2:TGID_Z_EN: 0
; COMPUTE_PGM_RSRC2:TIDIG_COMP_CNT: 0
; COMPUTE_PGM_RSRC3_GFX90A:ACCUM_OFFSET: 0
; COMPUTE_PGM_RSRC3_GFX90A:TG_SPLIT: 0
	.section	.text._ZN7rocprim17ROCPRIM_400000_NS6detail17trampoline_kernelINS0_14default_configENS1_38merge_sort_block_merge_config_selectorIflEEZZNS1_27merge_sort_block_merge_implIS3_PfN6thrust23THRUST_200600_302600_NS10device_ptrIlEEjNS1_19radix_merge_compareILb0ELb0EfNS0_19identity_decomposerEEEEE10hipError_tT0_T1_T2_jT3_P12ihipStream_tbPNSt15iterator_traitsISG_E10value_typeEPNSM_ISH_E10value_typeEPSI_NS1_7vsmem_tEENKUlT_SG_SH_SI_E_clIS7_S7_SB_PlEESF_SV_SG_SH_SI_EUlSV_E_NS1_11comp_targetILNS1_3genE0ELNS1_11target_archE4294967295ELNS1_3gpuE0ELNS1_3repE0EEENS1_48merge_mergepath_partition_config_static_selectorELNS0_4arch9wavefront6targetE1EEEvSH_,"axG",@progbits,_ZN7rocprim17ROCPRIM_400000_NS6detail17trampoline_kernelINS0_14default_configENS1_38merge_sort_block_merge_config_selectorIflEEZZNS1_27merge_sort_block_merge_implIS3_PfN6thrust23THRUST_200600_302600_NS10device_ptrIlEEjNS1_19radix_merge_compareILb0ELb0EfNS0_19identity_decomposerEEEEE10hipError_tT0_T1_T2_jT3_P12ihipStream_tbPNSt15iterator_traitsISG_E10value_typeEPNSM_ISH_E10value_typeEPSI_NS1_7vsmem_tEENKUlT_SG_SH_SI_E_clIS7_S7_SB_PlEESF_SV_SG_SH_SI_EUlSV_E_NS1_11comp_targetILNS1_3genE0ELNS1_11target_archE4294967295ELNS1_3gpuE0ELNS1_3repE0EEENS1_48merge_mergepath_partition_config_static_selectorELNS0_4arch9wavefront6targetE1EEEvSH_,comdat
	.protected	_ZN7rocprim17ROCPRIM_400000_NS6detail17trampoline_kernelINS0_14default_configENS1_38merge_sort_block_merge_config_selectorIflEEZZNS1_27merge_sort_block_merge_implIS3_PfN6thrust23THRUST_200600_302600_NS10device_ptrIlEEjNS1_19radix_merge_compareILb0ELb0EfNS0_19identity_decomposerEEEEE10hipError_tT0_T1_T2_jT3_P12ihipStream_tbPNSt15iterator_traitsISG_E10value_typeEPNSM_ISH_E10value_typeEPSI_NS1_7vsmem_tEENKUlT_SG_SH_SI_E_clIS7_S7_SB_PlEESF_SV_SG_SH_SI_EUlSV_E_NS1_11comp_targetILNS1_3genE0ELNS1_11target_archE4294967295ELNS1_3gpuE0ELNS1_3repE0EEENS1_48merge_mergepath_partition_config_static_selectorELNS0_4arch9wavefront6targetE1EEEvSH_ ; -- Begin function _ZN7rocprim17ROCPRIM_400000_NS6detail17trampoline_kernelINS0_14default_configENS1_38merge_sort_block_merge_config_selectorIflEEZZNS1_27merge_sort_block_merge_implIS3_PfN6thrust23THRUST_200600_302600_NS10device_ptrIlEEjNS1_19radix_merge_compareILb0ELb0EfNS0_19identity_decomposerEEEEE10hipError_tT0_T1_T2_jT3_P12ihipStream_tbPNSt15iterator_traitsISG_E10value_typeEPNSM_ISH_E10value_typeEPSI_NS1_7vsmem_tEENKUlT_SG_SH_SI_E_clIS7_S7_SB_PlEESF_SV_SG_SH_SI_EUlSV_E_NS1_11comp_targetILNS1_3genE0ELNS1_11target_archE4294967295ELNS1_3gpuE0ELNS1_3repE0EEENS1_48merge_mergepath_partition_config_static_selectorELNS0_4arch9wavefront6targetE1EEEvSH_
	.globl	_ZN7rocprim17ROCPRIM_400000_NS6detail17trampoline_kernelINS0_14default_configENS1_38merge_sort_block_merge_config_selectorIflEEZZNS1_27merge_sort_block_merge_implIS3_PfN6thrust23THRUST_200600_302600_NS10device_ptrIlEEjNS1_19radix_merge_compareILb0ELb0EfNS0_19identity_decomposerEEEEE10hipError_tT0_T1_T2_jT3_P12ihipStream_tbPNSt15iterator_traitsISG_E10value_typeEPNSM_ISH_E10value_typeEPSI_NS1_7vsmem_tEENKUlT_SG_SH_SI_E_clIS7_S7_SB_PlEESF_SV_SG_SH_SI_EUlSV_E_NS1_11comp_targetILNS1_3genE0ELNS1_11target_archE4294967295ELNS1_3gpuE0ELNS1_3repE0EEENS1_48merge_mergepath_partition_config_static_selectorELNS0_4arch9wavefront6targetE1EEEvSH_
	.p2align	8
	.type	_ZN7rocprim17ROCPRIM_400000_NS6detail17trampoline_kernelINS0_14default_configENS1_38merge_sort_block_merge_config_selectorIflEEZZNS1_27merge_sort_block_merge_implIS3_PfN6thrust23THRUST_200600_302600_NS10device_ptrIlEEjNS1_19radix_merge_compareILb0ELb0EfNS0_19identity_decomposerEEEEE10hipError_tT0_T1_T2_jT3_P12ihipStream_tbPNSt15iterator_traitsISG_E10value_typeEPNSM_ISH_E10value_typeEPSI_NS1_7vsmem_tEENKUlT_SG_SH_SI_E_clIS7_S7_SB_PlEESF_SV_SG_SH_SI_EUlSV_E_NS1_11comp_targetILNS1_3genE0ELNS1_11target_archE4294967295ELNS1_3gpuE0ELNS1_3repE0EEENS1_48merge_mergepath_partition_config_static_selectorELNS0_4arch9wavefront6targetE1EEEvSH_,@function
_ZN7rocprim17ROCPRIM_400000_NS6detail17trampoline_kernelINS0_14default_configENS1_38merge_sort_block_merge_config_selectorIflEEZZNS1_27merge_sort_block_merge_implIS3_PfN6thrust23THRUST_200600_302600_NS10device_ptrIlEEjNS1_19radix_merge_compareILb0ELb0EfNS0_19identity_decomposerEEEEE10hipError_tT0_T1_T2_jT3_P12ihipStream_tbPNSt15iterator_traitsISG_E10value_typeEPNSM_ISH_E10value_typeEPSI_NS1_7vsmem_tEENKUlT_SG_SH_SI_E_clIS7_S7_SB_PlEESF_SV_SG_SH_SI_EUlSV_E_NS1_11comp_targetILNS1_3genE0ELNS1_11target_archE4294967295ELNS1_3gpuE0ELNS1_3repE0EEENS1_48merge_mergepath_partition_config_static_selectorELNS0_4arch9wavefront6targetE1EEEvSH_: ; @_ZN7rocprim17ROCPRIM_400000_NS6detail17trampoline_kernelINS0_14default_configENS1_38merge_sort_block_merge_config_selectorIflEEZZNS1_27merge_sort_block_merge_implIS3_PfN6thrust23THRUST_200600_302600_NS10device_ptrIlEEjNS1_19radix_merge_compareILb0ELb0EfNS0_19identity_decomposerEEEEE10hipError_tT0_T1_T2_jT3_P12ihipStream_tbPNSt15iterator_traitsISG_E10value_typeEPNSM_ISH_E10value_typeEPSI_NS1_7vsmem_tEENKUlT_SG_SH_SI_E_clIS7_S7_SB_PlEESF_SV_SG_SH_SI_EUlSV_E_NS1_11comp_targetILNS1_3genE0ELNS1_11target_archE4294967295ELNS1_3gpuE0ELNS1_3repE0EEENS1_48merge_mergepath_partition_config_static_selectorELNS0_4arch9wavefront6targetE1EEEvSH_
; %bb.0:
	.section	.rodata,"a",@progbits
	.p2align	6, 0x0
	.amdhsa_kernel _ZN7rocprim17ROCPRIM_400000_NS6detail17trampoline_kernelINS0_14default_configENS1_38merge_sort_block_merge_config_selectorIflEEZZNS1_27merge_sort_block_merge_implIS3_PfN6thrust23THRUST_200600_302600_NS10device_ptrIlEEjNS1_19radix_merge_compareILb0ELb0EfNS0_19identity_decomposerEEEEE10hipError_tT0_T1_T2_jT3_P12ihipStream_tbPNSt15iterator_traitsISG_E10value_typeEPNSM_ISH_E10value_typeEPSI_NS1_7vsmem_tEENKUlT_SG_SH_SI_E_clIS7_S7_SB_PlEESF_SV_SG_SH_SI_EUlSV_E_NS1_11comp_targetILNS1_3genE0ELNS1_11target_archE4294967295ELNS1_3gpuE0ELNS1_3repE0EEENS1_48merge_mergepath_partition_config_static_selectorELNS0_4arch9wavefront6targetE1EEEvSH_
		.amdhsa_group_segment_fixed_size 0
		.amdhsa_private_segment_fixed_size 0
		.amdhsa_kernarg_size 40
		.amdhsa_user_sgpr_count 6
		.amdhsa_user_sgpr_private_segment_buffer 1
		.amdhsa_user_sgpr_dispatch_ptr 0
		.amdhsa_user_sgpr_queue_ptr 0
		.amdhsa_user_sgpr_kernarg_segment_ptr 1
		.amdhsa_user_sgpr_dispatch_id 0
		.amdhsa_user_sgpr_flat_scratch_init 0
		.amdhsa_user_sgpr_kernarg_preload_length 0
		.amdhsa_user_sgpr_kernarg_preload_offset 0
		.amdhsa_user_sgpr_private_segment_size 0
		.amdhsa_uses_dynamic_stack 0
		.amdhsa_system_sgpr_private_segment_wavefront_offset 0
		.amdhsa_system_sgpr_workgroup_id_x 1
		.amdhsa_system_sgpr_workgroup_id_y 0
		.amdhsa_system_sgpr_workgroup_id_z 0
		.amdhsa_system_sgpr_workgroup_info 0
		.amdhsa_system_vgpr_workitem_id 0
		.amdhsa_next_free_vgpr 1
		.amdhsa_next_free_sgpr 0
		.amdhsa_accum_offset 4
		.amdhsa_reserve_vcc 0
		.amdhsa_reserve_flat_scratch 0
		.amdhsa_float_round_mode_32 0
		.amdhsa_float_round_mode_16_64 0
		.amdhsa_float_denorm_mode_32 3
		.amdhsa_float_denorm_mode_16_64 3
		.amdhsa_dx10_clamp 1
		.amdhsa_ieee_mode 1
		.amdhsa_fp16_overflow 0
		.amdhsa_tg_split 0
		.amdhsa_exception_fp_ieee_invalid_op 0
		.amdhsa_exception_fp_denorm_src 0
		.amdhsa_exception_fp_ieee_div_zero 0
		.amdhsa_exception_fp_ieee_overflow 0
		.amdhsa_exception_fp_ieee_underflow 0
		.amdhsa_exception_fp_ieee_inexact 0
		.amdhsa_exception_int_div_zero 0
	.end_amdhsa_kernel
	.section	.text._ZN7rocprim17ROCPRIM_400000_NS6detail17trampoline_kernelINS0_14default_configENS1_38merge_sort_block_merge_config_selectorIflEEZZNS1_27merge_sort_block_merge_implIS3_PfN6thrust23THRUST_200600_302600_NS10device_ptrIlEEjNS1_19radix_merge_compareILb0ELb0EfNS0_19identity_decomposerEEEEE10hipError_tT0_T1_T2_jT3_P12ihipStream_tbPNSt15iterator_traitsISG_E10value_typeEPNSM_ISH_E10value_typeEPSI_NS1_7vsmem_tEENKUlT_SG_SH_SI_E_clIS7_S7_SB_PlEESF_SV_SG_SH_SI_EUlSV_E_NS1_11comp_targetILNS1_3genE0ELNS1_11target_archE4294967295ELNS1_3gpuE0ELNS1_3repE0EEENS1_48merge_mergepath_partition_config_static_selectorELNS0_4arch9wavefront6targetE1EEEvSH_,"axG",@progbits,_ZN7rocprim17ROCPRIM_400000_NS6detail17trampoline_kernelINS0_14default_configENS1_38merge_sort_block_merge_config_selectorIflEEZZNS1_27merge_sort_block_merge_implIS3_PfN6thrust23THRUST_200600_302600_NS10device_ptrIlEEjNS1_19radix_merge_compareILb0ELb0EfNS0_19identity_decomposerEEEEE10hipError_tT0_T1_T2_jT3_P12ihipStream_tbPNSt15iterator_traitsISG_E10value_typeEPNSM_ISH_E10value_typeEPSI_NS1_7vsmem_tEENKUlT_SG_SH_SI_E_clIS7_S7_SB_PlEESF_SV_SG_SH_SI_EUlSV_E_NS1_11comp_targetILNS1_3genE0ELNS1_11target_archE4294967295ELNS1_3gpuE0ELNS1_3repE0EEENS1_48merge_mergepath_partition_config_static_selectorELNS0_4arch9wavefront6targetE1EEEvSH_,comdat
.Lfunc_end1784:
	.size	_ZN7rocprim17ROCPRIM_400000_NS6detail17trampoline_kernelINS0_14default_configENS1_38merge_sort_block_merge_config_selectorIflEEZZNS1_27merge_sort_block_merge_implIS3_PfN6thrust23THRUST_200600_302600_NS10device_ptrIlEEjNS1_19radix_merge_compareILb0ELb0EfNS0_19identity_decomposerEEEEE10hipError_tT0_T1_T2_jT3_P12ihipStream_tbPNSt15iterator_traitsISG_E10value_typeEPNSM_ISH_E10value_typeEPSI_NS1_7vsmem_tEENKUlT_SG_SH_SI_E_clIS7_S7_SB_PlEESF_SV_SG_SH_SI_EUlSV_E_NS1_11comp_targetILNS1_3genE0ELNS1_11target_archE4294967295ELNS1_3gpuE0ELNS1_3repE0EEENS1_48merge_mergepath_partition_config_static_selectorELNS0_4arch9wavefront6targetE1EEEvSH_, .Lfunc_end1784-_ZN7rocprim17ROCPRIM_400000_NS6detail17trampoline_kernelINS0_14default_configENS1_38merge_sort_block_merge_config_selectorIflEEZZNS1_27merge_sort_block_merge_implIS3_PfN6thrust23THRUST_200600_302600_NS10device_ptrIlEEjNS1_19radix_merge_compareILb0ELb0EfNS0_19identity_decomposerEEEEE10hipError_tT0_T1_T2_jT3_P12ihipStream_tbPNSt15iterator_traitsISG_E10value_typeEPNSM_ISH_E10value_typeEPSI_NS1_7vsmem_tEENKUlT_SG_SH_SI_E_clIS7_S7_SB_PlEESF_SV_SG_SH_SI_EUlSV_E_NS1_11comp_targetILNS1_3genE0ELNS1_11target_archE4294967295ELNS1_3gpuE0ELNS1_3repE0EEENS1_48merge_mergepath_partition_config_static_selectorELNS0_4arch9wavefront6targetE1EEEvSH_
                                        ; -- End function
	.section	.AMDGPU.csdata,"",@progbits
; Kernel info:
; codeLenInByte = 0
; NumSgprs: 4
; NumVgprs: 0
; NumAgprs: 0
; TotalNumVgprs: 0
; ScratchSize: 0
; MemoryBound: 0
; FloatMode: 240
; IeeeMode: 1
; LDSByteSize: 0 bytes/workgroup (compile time only)
; SGPRBlocks: 0
; VGPRBlocks: 0
; NumSGPRsForWavesPerEU: 4
; NumVGPRsForWavesPerEU: 1
; AccumOffset: 4
; Occupancy: 8
; WaveLimiterHint : 0
; COMPUTE_PGM_RSRC2:SCRATCH_EN: 0
; COMPUTE_PGM_RSRC2:USER_SGPR: 6
; COMPUTE_PGM_RSRC2:TRAP_HANDLER: 0
; COMPUTE_PGM_RSRC2:TGID_X_EN: 1
; COMPUTE_PGM_RSRC2:TGID_Y_EN: 0
; COMPUTE_PGM_RSRC2:TGID_Z_EN: 0
; COMPUTE_PGM_RSRC2:TIDIG_COMP_CNT: 0
; COMPUTE_PGM_RSRC3_GFX90A:ACCUM_OFFSET: 0
; COMPUTE_PGM_RSRC3_GFX90A:TG_SPLIT: 0
	.section	.text._ZN7rocprim17ROCPRIM_400000_NS6detail17trampoline_kernelINS0_14default_configENS1_38merge_sort_block_merge_config_selectorIflEEZZNS1_27merge_sort_block_merge_implIS3_PfN6thrust23THRUST_200600_302600_NS10device_ptrIlEEjNS1_19radix_merge_compareILb0ELb0EfNS0_19identity_decomposerEEEEE10hipError_tT0_T1_T2_jT3_P12ihipStream_tbPNSt15iterator_traitsISG_E10value_typeEPNSM_ISH_E10value_typeEPSI_NS1_7vsmem_tEENKUlT_SG_SH_SI_E_clIS7_S7_SB_PlEESF_SV_SG_SH_SI_EUlSV_E_NS1_11comp_targetILNS1_3genE10ELNS1_11target_archE1201ELNS1_3gpuE5ELNS1_3repE0EEENS1_48merge_mergepath_partition_config_static_selectorELNS0_4arch9wavefront6targetE1EEEvSH_,"axG",@progbits,_ZN7rocprim17ROCPRIM_400000_NS6detail17trampoline_kernelINS0_14default_configENS1_38merge_sort_block_merge_config_selectorIflEEZZNS1_27merge_sort_block_merge_implIS3_PfN6thrust23THRUST_200600_302600_NS10device_ptrIlEEjNS1_19radix_merge_compareILb0ELb0EfNS0_19identity_decomposerEEEEE10hipError_tT0_T1_T2_jT3_P12ihipStream_tbPNSt15iterator_traitsISG_E10value_typeEPNSM_ISH_E10value_typeEPSI_NS1_7vsmem_tEENKUlT_SG_SH_SI_E_clIS7_S7_SB_PlEESF_SV_SG_SH_SI_EUlSV_E_NS1_11comp_targetILNS1_3genE10ELNS1_11target_archE1201ELNS1_3gpuE5ELNS1_3repE0EEENS1_48merge_mergepath_partition_config_static_selectorELNS0_4arch9wavefront6targetE1EEEvSH_,comdat
	.protected	_ZN7rocprim17ROCPRIM_400000_NS6detail17trampoline_kernelINS0_14default_configENS1_38merge_sort_block_merge_config_selectorIflEEZZNS1_27merge_sort_block_merge_implIS3_PfN6thrust23THRUST_200600_302600_NS10device_ptrIlEEjNS1_19radix_merge_compareILb0ELb0EfNS0_19identity_decomposerEEEEE10hipError_tT0_T1_T2_jT3_P12ihipStream_tbPNSt15iterator_traitsISG_E10value_typeEPNSM_ISH_E10value_typeEPSI_NS1_7vsmem_tEENKUlT_SG_SH_SI_E_clIS7_S7_SB_PlEESF_SV_SG_SH_SI_EUlSV_E_NS1_11comp_targetILNS1_3genE10ELNS1_11target_archE1201ELNS1_3gpuE5ELNS1_3repE0EEENS1_48merge_mergepath_partition_config_static_selectorELNS0_4arch9wavefront6targetE1EEEvSH_ ; -- Begin function _ZN7rocprim17ROCPRIM_400000_NS6detail17trampoline_kernelINS0_14default_configENS1_38merge_sort_block_merge_config_selectorIflEEZZNS1_27merge_sort_block_merge_implIS3_PfN6thrust23THRUST_200600_302600_NS10device_ptrIlEEjNS1_19radix_merge_compareILb0ELb0EfNS0_19identity_decomposerEEEEE10hipError_tT0_T1_T2_jT3_P12ihipStream_tbPNSt15iterator_traitsISG_E10value_typeEPNSM_ISH_E10value_typeEPSI_NS1_7vsmem_tEENKUlT_SG_SH_SI_E_clIS7_S7_SB_PlEESF_SV_SG_SH_SI_EUlSV_E_NS1_11comp_targetILNS1_3genE10ELNS1_11target_archE1201ELNS1_3gpuE5ELNS1_3repE0EEENS1_48merge_mergepath_partition_config_static_selectorELNS0_4arch9wavefront6targetE1EEEvSH_
	.globl	_ZN7rocprim17ROCPRIM_400000_NS6detail17trampoline_kernelINS0_14default_configENS1_38merge_sort_block_merge_config_selectorIflEEZZNS1_27merge_sort_block_merge_implIS3_PfN6thrust23THRUST_200600_302600_NS10device_ptrIlEEjNS1_19radix_merge_compareILb0ELb0EfNS0_19identity_decomposerEEEEE10hipError_tT0_T1_T2_jT3_P12ihipStream_tbPNSt15iterator_traitsISG_E10value_typeEPNSM_ISH_E10value_typeEPSI_NS1_7vsmem_tEENKUlT_SG_SH_SI_E_clIS7_S7_SB_PlEESF_SV_SG_SH_SI_EUlSV_E_NS1_11comp_targetILNS1_3genE10ELNS1_11target_archE1201ELNS1_3gpuE5ELNS1_3repE0EEENS1_48merge_mergepath_partition_config_static_selectorELNS0_4arch9wavefront6targetE1EEEvSH_
	.p2align	8
	.type	_ZN7rocprim17ROCPRIM_400000_NS6detail17trampoline_kernelINS0_14default_configENS1_38merge_sort_block_merge_config_selectorIflEEZZNS1_27merge_sort_block_merge_implIS3_PfN6thrust23THRUST_200600_302600_NS10device_ptrIlEEjNS1_19radix_merge_compareILb0ELb0EfNS0_19identity_decomposerEEEEE10hipError_tT0_T1_T2_jT3_P12ihipStream_tbPNSt15iterator_traitsISG_E10value_typeEPNSM_ISH_E10value_typeEPSI_NS1_7vsmem_tEENKUlT_SG_SH_SI_E_clIS7_S7_SB_PlEESF_SV_SG_SH_SI_EUlSV_E_NS1_11comp_targetILNS1_3genE10ELNS1_11target_archE1201ELNS1_3gpuE5ELNS1_3repE0EEENS1_48merge_mergepath_partition_config_static_selectorELNS0_4arch9wavefront6targetE1EEEvSH_,@function
_ZN7rocprim17ROCPRIM_400000_NS6detail17trampoline_kernelINS0_14default_configENS1_38merge_sort_block_merge_config_selectorIflEEZZNS1_27merge_sort_block_merge_implIS3_PfN6thrust23THRUST_200600_302600_NS10device_ptrIlEEjNS1_19radix_merge_compareILb0ELb0EfNS0_19identity_decomposerEEEEE10hipError_tT0_T1_T2_jT3_P12ihipStream_tbPNSt15iterator_traitsISG_E10value_typeEPNSM_ISH_E10value_typeEPSI_NS1_7vsmem_tEENKUlT_SG_SH_SI_E_clIS7_S7_SB_PlEESF_SV_SG_SH_SI_EUlSV_E_NS1_11comp_targetILNS1_3genE10ELNS1_11target_archE1201ELNS1_3gpuE5ELNS1_3repE0EEENS1_48merge_mergepath_partition_config_static_selectorELNS0_4arch9wavefront6targetE1EEEvSH_: ; @_ZN7rocprim17ROCPRIM_400000_NS6detail17trampoline_kernelINS0_14default_configENS1_38merge_sort_block_merge_config_selectorIflEEZZNS1_27merge_sort_block_merge_implIS3_PfN6thrust23THRUST_200600_302600_NS10device_ptrIlEEjNS1_19radix_merge_compareILb0ELb0EfNS0_19identity_decomposerEEEEE10hipError_tT0_T1_T2_jT3_P12ihipStream_tbPNSt15iterator_traitsISG_E10value_typeEPNSM_ISH_E10value_typeEPSI_NS1_7vsmem_tEENKUlT_SG_SH_SI_E_clIS7_S7_SB_PlEESF_SV_SG_SH_SI_EUlSV_E_NS1_11comp_targetILNS1_3genE10ELNS1_11target_archE1201ELNS1_3gpuE5ELNS1_3repE0EEENS1_48merge_mergepath_partition_config_static_selectorELNS0_4arch9wavefront6targetE1EEEvSH_
; %bb.0:
	.section	.rodata,"a",@progbits
	.p2align	6, 0x0
	.amdhsa_kernel _ZN7rocprim17ROCPRIM_400000_NS6detail17trampoline_kernelINS0_14default_configENS1_38merge_sort_block_merge_config_selectorIflEEZZNS1_27merge_sort_block_merge_implIS3_PfN6thrust23THRUST_200600_302600_NS10device_ptrIlEEjNS1_19radix_merge_compareILb0ELb0EfNS0_19identity_decomposerEEEEE10hipError_tT0_T1_T2_jT3_P12ihipStream_tbPNSt15iterator_traitsISG_E10value_typeEPNSM_ISH_E10value_typeEPSI_NS1_7vsmem_tEENKUlT_SG_SH_SI_E_clIS7_S7_SB_PlEESF_SV_SG_SH_SI_EUlSV_E_NS1_11comp_targetILNS1_3genE10ELNS1_11target_archE1201ELNS1_3gpuE5ELNS1_3repE0EEENS1_48merge_mergepath_partition_config_static_selectorELNS0_4arch9wavefront6targetE1EEEvSH_
		.amdhsa_group_segment_fixed_size 0
		.amdhsa_private_segment_fixed_size 0
		.amdhsa_kernarg_size 40
		.amdhsa_user_sgpr_count 6
		.amdhsa_user_sgpr_private_segment_buffer 1
		.amdhsa_user_sgpr_dispatch_ptr 0
		.amdhsa_user_sgpr_queue_ptr 0
		.amdhsa_user_sgpr_kernarg_segment_ptr 1
		.amdhsa_user_sgpr_dispatch_id 0
		.amdhsa_user_sgpr_flat_scratch_init 0
		.amdhsa_user_sgpr_kernarg_preload_length 0
		.amdhsa_user_sgpr_kernarg_preload_offset 0
		.amdhsa_user_sgpr_private_segment_size 0
		.amdhsa_uses_dynamic_stack 0
		.amdhsa_system_sgpr_private_segment_wavefront_offset 0
		.amdhsa_system_sgpr_workgroup_id_x 1
		.amdhsa_system_sgpr_workgroup_id_y 0
		.amdhsa_system_sgpr_workgroup_id_z 0
		.amdhsa_system_sgpr_workgroup_info 0
		.amdhsa_system_vgpr_workitem_id 0
		.amdhsa_next_free_vgpr 1
		.amdhsa_next_free_sgpr 0
		.amdhsa_accum_offset 4
		.amdhsa_reserve_vcc 0
		.amdhsa_reserve_flat_scratch 0
		.amdhsa_float_round_mode_32 0
		.amdhsa_float_round_mode_16_64 0
		.amdhsa_float_denorm_mode_32 3
		.amdhsa_float_denorm_mode_16_64 3
		.amdhsa_dx10_clamp 1
		.amdhsa_ieee_mode 1
		.amdhsa_fp16_overflow 0
		.amdhsa_tg_split 0
		.amdhsa_exception_fp_ieee_invalid_op 0
		.amdhsa_exception_fp_denorm_src 0
		.amdhsa_exception_fp_ieee_div_zero 0
		.amdhsa_exception_fp_ieee_overflow 0
		.amdhsa_exception_fp_ieee_underflow 0
		.amdhsa_exception_fp_ieee_inexact 0
		.amdhsa_exception_int_div_zero 0
	.end_amdhsa_kernel
	.section	.text._ZN7rocprim17ROCPRIM_400000_NS6detail17trampoline_kernelINS0_14default_configENS1_38merge_sort_block_merge_config_selectorIflEEZZNS1_27merge_sort_block_merge_implIS3_PfN6thrust23THRUST_200600_302600_NS10device_ptrIlEEjNS1_19radix_merge_compareILb0ELb0EfNS0_19identity_decomposerEEEEE10hipError_tT0_T1_T2_jT3_P12ihipStream_tbPNSt15iterator_traitsISG_E10value_typeEPNSM_ISH_E10value_typeEPSI_NS1_7vsmem_tEENKUlT_SG_SH_SI_E_clIS7_S7_SB_PlEESF_SV_SG_SH_SI_EUlSV_E_NS1_11comp_targetILNS1_3genE10ELNS1_11target_archE1201ELNS1_3gpuE5ELNS1_3repE0EEENS1_48merge_mergepath_partition_config_static_selectorELNS0_4arch9wavefront6targetE1EEEvSH_,"axG",@progbits,_ZN7rocprim17ROCPRIM_400000_NS6detail17trampoline_kernelINS0_14default_configENS1_38merge_sort_block_merge_config_selectorIflEEZZNS1_27merge_sort_block_merge_implIS3_PfN6thrust23THRUST_200600_302600_NS10device_ptrIlEEjNS1_19radix_merge_compareILb0ELb0EfNS0_19identity_decomposerEEEEE10hipError_tT0_T1_T2_jT3_P12ihipStream_tbPNSt15iterator_traitsISG_E10value_typeEPNSM_ISH_E10value_typeEPSI_NS1_7vsmem_tEENKUlT_SG_SH_SI_E_clIS7_S7_SB_PlEESF_SV_SG_SH_SI_EUlSV_E_NS1_11comp_targetILNS1_3genE10ELNS1_11target_archE1201ELNS1_3gpuE5ELNS1_3repE0EEENS1_48merge_mergepath_partition_config_static_selectorELNS0_4arch9wavefront6targetE1EEEvSH_,comdat
.Lfunc_end1785:
	.size	_ZN7rocprim17ROCPRIM_400000_NS6detail17trampoline_kernelINS0_14default_configENS1_38merge_sort_block_merge_config_selectorIflEEZZNS1_27merge_sort_block_merge_implIS3_PfN6thrust23THRUST_200600_302600_NS10device_ptrIlEEjNS1_19radix_merge_compareILb0ELb0EfNS0_19identity_decomposerEEEEE10hipError_tT0_T1_T2_jT3_P12ihipStream_tbPNSt15iterator_traitsISG_E10value_typeEPNSM_ISH_E10value_typeEPSI_NS1_7vsmem_tEENKUlT_SG_SH_SI_E_clIS7_S7_SB_PlEESF_SV_SG_SH_SI_EUlSV_E_NS1_11comp_targetILNS1_3genE10ELNS1_11target_archE1201ELNS1_3gpuE5ELNS1_3repE0EEENS1_48merge_mergepath_partition_config_static_selectorELNS0_4arch9wavefront6targetE1EEEvSH_, .Lfunc_end1785-_ZN7rocprim17ROCPRIM_400000_NS6detail17trampoline_kernelINS0_14default_configENS1_38merge_sort_block_merge_config_selectorIflEEZZNS1_27merge_sort_block_merge_implIS3_PfN6thrust23THRUST_200600_302600_NS10device_ptrIlEEjNS1_19radix_merge_compareILb0ELb0EfNS0_19identity_decomposerEEEEE10hipError_tT0_T1_T2_jT3_P12ihipStream_tbPNSt15iterator_traitsISG_E10value_typeEPNSM_ISH_E10value_typeEPSI_NS1_7vsmem_tEENKUlT_SG_SH_SI_E_clIS7_S7_SB_PlEESF_SV_SG_SH_SI_EUlSV_E_NS1_11comp_targetILNS1_3genE10ELNS1_11target_archE1201ELNS1_3gpuE5ELNS1_3repE0EEENS1_48merge_mergepath_partition_config_static_selectorELNS0_4arch9wavefront6targetE1EEEvSH_
                                        ; -- End function
	.section	.AMDGPU.csdata,"",@progbits
; Kernel info:
; codeLenInByte = 0
; NumSgprs: 4
; NumVgprs: 0
; NumAgprs: 0
; TotalNumVgprs: 0
; ScratchSize: 0
; MemoryBound: 0
; FloatMode: 240
; IeeeMode: 1
; LDSByteSize: 0 bytes/workgroup (compile time only)
; SGPRBlocks: 0
; VGPRBlocks: 0
; NumSGPRsForWavesPerEU: 4
; NumVGPRsForWavesPerEU: 1
; AccumOffset: 4
; Occupancy: 8
; WaveLimiterHint : 0
; COMPUTE_PGM_RSRC2:SCRATCH_EN: 0
; COMPUTE_PGM_RSRC2:USER_SGPR: 6
; COMPUTE_PGM_RSRC2:TRAP_HANDLER: 0
; COMPUTE_PGM_RSRC2:TGID_X_EN: 1
; COMPUTE_PGM_RSRC2:TGID_Y_EN: 0
; COMPUTE_PGM_RSRC2:TGID_Z_EN: 0
; COMPUTE_PGM_RSRC2:TIDIG_COMP_CNT: 0
; COMPUTE_PGM_RSRC3_GFX90A:ACCUM_OFFSET: 0
; COMPUTE_PGM_RSRC3_GFX90A:TG_SPLIT: 0
	.section	.text._ZN7rocprim17ROCPRIM_400000_NS6detail17trampoline_kernelINS0_14default_configENS1_38merge_sort_block_merge_config_selectorIflEEZZNS1_27merge_sort_block_merge_implIS3_PfN6thrust23THRUST_200600_302600_NS10device_ptrIlEEjNS1_19radix_merge_compareILb0ELb0EfNS0_19identity_decomposerEEEEE10hipError_tT0_T1_T2_jT3_P12ihipStream_tbPNSt15iterator_traitsISG_E10value_typeEPNSM_ISH_E10value_typeEPSI_NS1_7vsmem_tEENKUlT_SG_SH_SI_E_clIS7_S7_SB_PlEESF_SV_SG_SH_SI_EUlSV_E_NS1_11comp_targetILNS1_3genE5ELNS1_11target_archE942ELNS1_3gpuE9ELNS1_3repE0EEENS1_48merge_mergepath_partition_config_static_selectorELNS0_4arch9wavefront6targetE1EEEvSH_,"axG",@progbits,_ZN7rocprim17ROCPRIM_400000_NS6detail17trampoline_kernelINS0_14default_configENS1_38merge_sort_block_merge_config_selectorIflEEZZNS1_27merge_sort_block_merge_implIS3_PfN6thrust23THRUST_200600_302600_NS10device_ptrIlEEjNS1_19radix_merge_compareILb0ELb0EfNS0_19identity_decomposerEEEEE10hipError_tT0_T1_T2_jT3_P12ihipStream_tbPNSt15iterator_traitsISG_E10value_typeEPNSM_ISH_E10value_typeEPSI_NS1_7vsmem_tEENKUlT_SG_SH_SI_E_clIS7_S7_SB_PlEESF_SV_SG_SH_SI_EUlSV_E_NS1_11comp_targetILNS1_3genE5ELNS1_11target_archE942ELNS1_3gpuE9ELNS1_3repE0EEENS1_48merge_mergepath_partition_config_static_selectorELNS0_4arch9wavefront6targetE1EEEvSH_,comdat
	.protected	_ZN7rocprim17ROCPRIM_400000_NS6detail17trampoline_kernelINS0_14default_configENS1_38merge_sort_block_merge_config_selectorIflEEZZNS1_27merge_sort_block_merge_implIS3_PfN6thrust23THRUST_200600_302600_NS10device_ptrIlEEjNS1_19radix_merge_compareILb0ELb0EfNS0_19identity_decomposerEEEEE10hipError_tT0_T1_T2_jT3_P12ihipStream_tbPNSt15iterator_traitsISG_E10value_typeEPNSM_ISH_E10value_typeEPSI_NS1_7vsmem_tEENKUlT_SG_SH_SI_E_clIS7_S7_SB_PlEESF_SV_SG_SH_SI_EUlSV_E_NS1_11comp_targetILNS1_3genE5ELNS1_11target_archE942ELNS1_3gpuE9ELNS1_3repE0EEENS1_48merge_mergepath_partition_config_static_selectorELNS0_4arch9wavefront6targetE1EEEvSH_ ; -- Begin function _ZN7rocprim17ROCPRIM_400000_NS6detail17trampoline_kernelINS0_14default_configENS1_38merge_sort_block_merge_config_selectorIflEEZZNS1_27merge_sort_block_merge_implIS3_PfN6thrust23THRUST_200600_302600_NS10device_ptrIlEEjNS1_19radix_merge_compareILb0ELb0EfNS0_19identity_decomposerEEEEE10hipError_tT0_T1_T2_jT3_P12ihipStream_tbPNSt15iterator_traitsISG_E10value_typeEPNSM_ISH_E10value_typeEPSI_NS1_7vsmem_tEENKUlT_SG_SH_SI_E_clIS7_S7_SB_PlEESF_SV_SG_SH_SI_EUlSV_E_NS1_11comp_targetILNS1_3genE5ELNS1_11target_archE942ELNS1_3gpuE9ELNS1_3repE0EEENS1_48merge_mergepath_partition_config_static_selectorELNS0_4arch9wavefront6targetE1EEEvSH_
	.globl	_ZN7rocprim17ROCPRIM_400000_NS6detail17trampoline_kernelINS0_14default_configENS1_38merge_sort_block_merge_config_selectorIflEEZZNS1_27merge_sort_block_merge_implIS3_PfN6thrust23THRUST_200600_302600_NS10device_ptrIlEEjNS1_19radix_merge_compareILb0ELb0EfNS0_19identity_decomposerEEEEE10hipError_tT0_T1_T2_jT3_P12ihipStream_tbPNSt15iterator_traitsISG_E10value_typeEPNSM_ISH_E10value_typeEPSI_NS1_7vsmem_tEENKUlT_SG_SH_SI_E_clIS7_S7_SB_PlEESF_SV_SG_SH_SI_EUlSV_E_NS1_11comp_targetILNS1_3genE5ELNS1_11target_archE942ELNS1_3gpuE9ELNS1_3repE0EEENS1_48merge_mergepath_partition_config_static_selectorELNS0_4arch9wavefront6targetE1EEEvSH_
	.p2align	8
	.type	_ZN7rocprim17ROCPRIM_400000_NS6detail17trampoline_kernelINS0_14default_configENS1_38merge_sort_block_merge_config_selectorIflEEZZNS1_27merge_sort_block_merge_implIS3_PfN6thrust23THRUST_200600_302600_NS10device_ptrIlEEjNS1_19radix_merge_compareILb0ELb0EfNS0_19identity_decomposerEEEEE10hipError_tT0_T1_T2_jT3_P12ihipStream_tbPNSt15iterator_traitsISG_E10value_typeEPNSM_ISH_E10value_typeEPSI_NS1_7vsmem_tEENKUlT_SG_SH_SI_E_clIS7_S7_SB_PlEESF_SV_SG_SH_SI_EUlSV_E_NS1_11comp_targetILNS1_3genE5ELNS1_11target_archE942ELNS1_3gpuE9ELNS1_3repE0EEENS1_48merge_mergepath_partition_config_static_selectorELNS0_4arch9wavefront6targetE1EEEvSH_,@function
_ZN7rocprim17ROCPRIM_400000_NS6detail17trampoline_kernelINS0_14default_configENS1_38merge_sort_block_merge_config_selectorIflEEZZNS1_27merge_sort_block_merge_implIS3_PfN6thrust23THRUST_200600_302600_NS10device_ptrIlEEjNS1_19radix_merge_compareILb0ELb0EfNS0_19identity_decomposerEEEEE10hipError_tT0_T1_T2_jT3_P12ihipStream_tbPNSt15iterator_traitsISG_E10value_typeEPNSM_ISH_E10value_typeEPSI_NS1_7vsmem_tEENKUlT_SG_SH_SI_E_clIS7_S7_SB_PlEESF_SV_SG_SH_SI_EUlSV_E_NS1_11comp_targetILNS1_3genE5ELNS1_11target_archE942ELNS1_3gpuE9ELNS1_3repE0EEENS1_48merge_mergepath_partition_config_static_selectorELNS0_4arch9wavefront6targetE1EEEvSH_: ; @_ZN7rocprim17ROCPRIM_400000_NS6detail17trampoline_kernelINS0_14default_configENS1_38merge_sort_block_merge_config_selectorIflEEZZNS1_27merge_sort_block_merge_implIS3_PfN6thrust23THRUST_200600_302600_NS10device_ptrIlEEjNS1_19radix_merge_compareILb0ELb0EfNS0_19identity_decomposerEEEEE10hipError_tT0_T1_T2_jT3_P12ihipStream_tbPNSt15iterator_traitsISG_E10value_typeEPNSM_ISH_E10value_typeEPSI_NS1_7vsmem_tEENKUlT_SG_SH_SI_E_clIS7_S7_SB_PlEESF_SV_SG_SH_SI_EUlSV_E_NS1_11comp_targetILNS1_3genE5ELNS1_11target_archE942ELNS1_3gpuE9ELNS1_3repE0EEENS1_48merge_mergepath_partition_config_static_selectorELNS0_4arch9wavefront6targetE1EEEvSH_
; %bb.0:
	.section	.rodata,"a",@progbits
	.p2align	6, 0x0
	.amdhsa_kernel _ZN7rocprim17ROCPRIM_400000_NS6detail17trampoline_kernelINS0_14default_configENS1_38merge_sort_block_merge_config_selectorIflEEZZNS1_27merge_sort_block_merge_implIS3_PfN6thrust23THRUST_200600_302600_NS10device_ptrIlEEjNS1_19radix_merge_compareILb0ELb0EfNS0_19identity_decomposerEEEEE10hipError_tT0_T1_T2_jT3_P12ihipStream_tbPNSt15iterator_traitsISG_E10value_typeEPNSM_ISH_E10value_typeEPSI_NS1_7vsmem_tEENKUlT_SG_SH_SI_E_clIS7_S7_SB_PlEESF_SV_SG_SH_SI_EUlSV_E_NS1_11comp_targetILNS1_3genE5ELNS1_11target_archE942ELNS1_3gpuE9ELNS1_3repE0EEENS1_48merge_mergepath_partition_config_static_selectorELNS0_4arch9wavefront6targetE1EEEvSH_
		.amdhsa_group_segment_fixed_size 0
		.amdhsa_private_segment_fixed_size 0
		.amdhsa_kernarg_size 40
		.amdhsa_user_sgpr_count 6
		.amdhsa_user_sgpr_private_segment_buffer 1
		.amdhsa_user_sgpr_dispatch_ptr 0
		.amdhsa_user_sgpr_queue_ptr 0
		.amdhsa_user_sgpr_kernarg_segment_ptr 1
		.amdhsa_user_sgpr_dispatch_id 0
		.amdhsa_user_sgpr_flat_scratch_init 0
		.amdhsa_user_sgpr_kernarg_preload_length 0
		.amdhsa_user_sgpr_kernarg_preload_offset 0
		.amdhsa_user_sgpr_private_segment_size 0
		.amdhsa_uses_dynamic_stack 0
		.amdhsa_system_sgpr_private_segment_wavefront_offset 0
		.amdhsa_system_sgpr_workgroup_id_x 1
		.amdhsa_system_sgpr_workgroup_id_y 0
		.amdhsa_system_sgpr_workgroup_id_z 0
		.amdhsa_system_sgpr_workgroup_info 0
		.amdhsa_system_vgpr_workitem_id 0
		.amdhsa_next_free_vgpr 1
		.amdhsa_next_free_sgpr 0
		.amdhsa_accum_offset 4
		.amdhsa_reserve_vcc 0
		.amdhsa_reserve_flat_scratch 0
		.amdhsa_float_round_mode_32 0
		.amdhsa_float_round_mode_16_64 0
		.amdhsa_float_denorm_mode_32 3
		.amdhsa_float_denorm_mode_16_64 3
		.amdhsa_dx10_clamp 1
		.amdhsa_ieee_mode 1
		.amdhsa_fp16_overflow 0
		.amdhsa_tg_split 0
		.amdhsa_exception_fp_ieee_invalid_op 0
		.amdhsa_exception_fp_denorm_src 0
		.amdhsa_exception_fp_ieee_div_zero 0
		.amdhsa_exception_fp_ieee_overflow 0
		.amdhsa_exception_fp_ieee_underflow 0
		.amdhsa_exception_fp_ieee_inexact 0
		.amdhsa_exception_int_div_zero 0
	.end_amdhsa_kernel
	.section	.text._ZN7rocprim17ROCPRIM_400000_NS6detail17trampoline_kernelINS0_14default_configENS1_38merge_sort_block_merge_config_selectorIflEEZZNS1_27merge_sort_block_merge_implIS3_PfN6thrust23THRUST_200600_302600_NS10device_ptrIlEEjNS1_19radix_merge_compareILb0ELb0EfNS0_19identity_decomposerEEEEE10hipError_tT0_T1_T2_jT3_P12ihipStream_tbPNSt15iterator_traitsISG_E10value_typeEPNSM_ISH_E10value_typeEPSI_NS1_7vsmem_tEENKUlT_SG_SH_SI_E_clIS7_S7_SB_PlEESF_SV_SG_SH_SI_EUlSV_E_NS1_11comp_targetILNS1_3genE5ELNS1_11target_archE942ELNS1_3gpuE9ELNS1_3repE0EEENS1_48merge_mergepath_partition_config_static_selectorELNS0_4arch9wavefront6targetE1EEEvSH_,"axG",@progbits,_ZN7rocprim17ROCPRIM_400000_NS6detail17trampoline_kernelINS0_14default_configENS1_38merge_sort_block_merge_config_selectorIflEEZZNS1_27merge_sort_block_merge_implIS3_PfN6thrust23THRUST_200600_302600_NS10device_ptrIlEEjNS1_19radix_merge_compareILb0ELb0EfNS0_19identity_decomposerEEEEE10hipError_tT0_T1_T2_jT3_P12ihipStream_tbPNSt15iterator_traitsISG_E10value_typeEPNSM_ISH_E10value_typeEPSI_NS1_7vsmem_tEENKUlT_SG_SH_SI_E_clIS7_S7_SB_PlEESF_SV_SG_SH_SI_EUlSV_E_NS1_11comp_targetILNS1_3genE5ELNS1_11target_archE942ELNS1_3gpuE9ELNS1_3repE0EEENS1_48merge_mergepath_partition_config_static_selectorELNS0_4arch9wavefront6targetE1EEEvSH_,comdat
.Lfunc_end1786:
	.size	_ZN7rocprim17ROCPRIM_400000_NS6detail17trampoline_kernelINS0_14default_configENS1_38merge_sort_block_merge_config_selectorIflEEZZNS1_27merge_sort_block_merge_implIS3_PfN6thrust23THRUST_200600_302600_NS10device_ptrIlEEjNS1_19radix_merge_compareILb0ELb0EfNS0_19identity_decomposerEEEEE10hipError_tT0_T1_T2_jT3_P12ihipStream_tbPNSt15iterator_traitsISG_E10value_typeEPNSM_ISH_E10value_typeEPSI_NS1_7vsmem_tEENKUlT_SG_SH_SI_E_clIS7_S7_SB_PlEESF_SV_SG_SH_SI_EUlSV_E_NS1_11comp_targetILNS1_3genE5ELNS1_11target_archE942ELNS1_3gpuE9ELNS1_3repE0EEENS1_48merge_mergepath_partition_config_static_selectorELNS0_4arch9wavefront6targetE1EEEvSH_, .Lfunc_end1786-_ZN7rocprim17ROCPRIM_400000_NS6detail17trampoline_kernelINS0_14default_configENS1_38merge_sort_block_merge_config_selectorIflEEZZNS1_27merge_sort_block_merge_implIS3_PfN6thrust23THRUST_200600_302600_NS10device_ptrIlEEjNS1_19radix_merge_compareILb0ELb0EfNS0_19identity_decomposerEEEEE10hipError_tT0_T1_T2_jT3_P12ihipStream_tbPNSt15iterator_traitsISG_E10value_typeEPNSM_ISH_E10value_typeEPSI_NS1_7vsmem_tEENKUlT_SG_SH_SI_E_clIS7_S7_SB_PlEESF_SV_SG_SH_SI_EUlSV_E_NS1_11comp_targetILNS1_3genE5ELNS1_11target_archE942ELNS1_3gpuE9ELNS1_3repE0EEENS1_48merge_mergepath_partition_config_static_selectorELNS0_4arch9wavefront6targetE1EEEvSH_
                                        ; -- End function
	.section	.AMDGPU.csdata,"",@progbits
; Kernel info:
; codeLenInByte = 0
; NumSgprs: 4
; NumVgprs: 0
; NumAgprs: 0
; TotalNumVgprs: 0
; ScratchSize: 0
; MemoryBound: 0
; FloatMode: 240
; IeeeMode: 1
; LDSByteSize: 0 bytes/workgroup (compile time only)
; SGPRBlocks: 0
; VGPRBlocks: 0
; NumSGPRsForWavesPerEU: 4
; NumVGPRsForWavesPerEU: 1
; AccumOffset: 4
; Occupancy: 8
; WaveLimiterHint : 0
; COMPUTE_PGM_RSRC2:SCRATCH_EN: 0
; COMPUTE_PGM_RSRC2:USER_SGPR: 6
; COMPUTE_PGM_RSRC2:TRAP_HANDLER: 0
; COMPUTE_PGM_RSRC2:TGID_X_EN: 1
; COMPUTE_PGM_RSRC2:TGID_Y_EN: 0
; COMPUTE_PGM_RSRC2:TGID_Z_EN: 0
; COMPUTE_PGM_RSRC2:TIDIG_COMP_CNT: 0
; COMPUTE_PGM_RSRC3_GFX90A:ACCUM_OFFSET: 0
; COMPUTE_PGM_RSRC3_GFX90A:TG_SPLIT: 0
	.section	.text._ZN7rocprim17ROCPRIM_400000_NS6detail17trampoline_kernelINS0_14default_configENS1_38merge_sort_block_merge_config_selectorIflEEZZNS1_27merge_sort_block_merge_implIS3_PfN6thrust23THRUST_200600_302600_NS10device_ptrIlEEjNS1_19radix_merge_compareILb0ELb0EfNS0_19identity_decomposerEEEEE10hipError_tT0_T1_T2_jT3_P12ihipStream_tbPNSt15iterator_traitsISG_E10value_typeEPNSM_ISH_E10value_typeEPSI_NS1_7vsmem_tEENKUlT_SG_SH_SI_E_clIS7_S7_SB_PlEESF_SV_SG_SH_SI_EUlSV_E_NS1_11comp_targetILNS1_3genE4ELNS1_11target_archE910ELNS1_3gpuE8ELNS1_3repE0EEENS1_48merge_mergepath_partition_config_static_selectorELNS0_4arch9wavefront6targetE1EEEvSH_,"axG",@progbits,_ZN7rocprim17ROCPRIM_400000_NS6detail17trampoline_kernelINS0_14default_configENS1_38merge_sort_block_merge_config_selectorIflEEZZNS1_27merge_sort_block_merge_implIS3_PfN6thrust23THRUST_200600_302600_NS10device_ptrIlEEjNS1_19radix_merge_compareILb0ELb0EfNS0_19identity_decomposerEEEEE10hipError_tT0_T1_T2_jT3_P12ihipStream_tbPNSt15iterator_traitsISG_E10value_typeEPNSM_ISH_E10value_typeEPSI_NS1_7vsmem_tEENKUlT_SG_SH_SI_E_clIS7_S7_SB_PlEESF_SV_SG_SH_SI_EUlSV_E_NS1_11comp_targetILNS1_3genE4ELNS1_11target_archE910ELNS1_3gpuE8ELNS1_3repE0EEENS1_48merge_mergepath_partition_config_static_selectorELNS0_4arch9wavefront6targetE1EEEvSH_,comdat
	.protected	_ZN7rocprim17ROCPRIM_400000_NS6detail17trampoline_kernelINS0_14default_configENS1_38merge_sort_block_merge_config_selectorIflEEZZNS1_27merge_sort_block_merge_implIS3_PfN6thrust23THRUST_200600_302600_NS10device_ptrIlEEjNS1_19radix_merge_compareILb0ELb0EfNS0_19identity_decomposerEEEEE10hipError_tT0_T1_T2_jT3_P12ihipStream_tbPNSt15iterator_traitsISG_E10value_typeEPNSM_ISH_E10value_typeEPSI_NS1_7vsmem_tEENKUlT_SG_SH_SI_E_clIS7_S7_SB_PlEESF_SV_SG_SH_SI_EUlSV_E_NS1_11comp_targetILNS1_3genE4ELNS1_11target_archE910ELNS1_3gpuE8ELNS1_3repE0EEENS1_48merge_mergepath_partition_config_static_selectorELNS0_4arch9wavefront6targetE1EEEvSH_ ; -- Begin function _ZN7rocprim17ROCPRIM_400000_NS6detail17trampoline_kernelINS0_14default_configENS1_38merge_sort_block_merge_config_selectorIflEEZZNS1_27merge_sort_block_merge_implIS3_PfN6thrust23THRUST_200600_302600_NS10device_ptrIlEEjNS1_19radix_merge_compareILb0ELb0EfNS0_19identity_decomposerEEEEE10hipError_tT0_T1_T2_jT3_P12ihipStream_tbPNSt15iterator_traitsISG_E10value_typeEPNSM_ISH_E10value_typeEPSI_NS1_7vsmem_tEENKUlT_SG_SH_SI_E_clIS7_S7_SB_PlEESF_SV_SG_SH_SI_EUlSV_E_NS1_11comp_targetILNS1_3genE4ELNS1_11target_archE910ELNS1_3gpuE8ELNS1_3repE0EEENS1_48merge_mergepath_partition_config_static_selectorELNS0_4arch9wavefront6targetE1EEEvSH_
	.globl	_ZN7rocprim17ROCPRIM_400000_NS6detail17trampoline_kernelINS0_14default_configENS1_38merge_sort_block_merge_config_selectorIflEEZZNS1_27merge_sort_block_merge_implIS3_PfN6thrust23THRUST_200600_302600_NS10device_ptrIlEEjNS1_19radix_merge_compareILb0ELb0EfNS0_19identity_decomposerEEEEE10hipError_tT0_T1_T2_jT3_P12ihipStream_tbPNSt15iterator_traitsISG_E10value_typeEPNSM_ISH_E10value_typeEPSI_NS1_7vsmem_tEENKUlT_SG_SH_SI_E_clIS7_S7_SB_PlEESF_SV_SG_SH_SI_EUlSV_E_NS1_11comp_targetILNS1_3genE4ELNS1_11target_archE910ELNS1_3gpuE8ELNS1_3repE0EEENS1_48merge_mergepath_partition_config_static_selectorELNS0_4arch9wavefront6targetE1EEEvSH_
	.p2align	8
	.type	_ZN7rocprim17ROCPRIM_400000_NS6detail17trampoline_kernelINS0_14default_configENS1_38merge_sort_block_merge_config_selectorIflEEZZNS1_27merge_sort_block_merge_implIS3_PfN6thrust23THRUST_200600_302600_NS10device_ptrIlEEjNS1_19radix_merge_compareILb0ELb0EfNS0_19identity_decomposerEEEEE10hipError_tT0_T1_T2_jT3_P12ihipStream_tbPNSt15iterator_traitsISG_E10value_typeEPNSM_ISH_E10value_typeEPSI_NS1_7vsmem_tEENKUlT_SG_SH_SI_E_clIS7_S7_SB_PlEESF_SV_SG_SH_SI_EUlSV_E_NS1_11comp_targetILNS1_3genE4ELNS1_11target_archE910ELNS1_3gpuE8ELNS1_3repE0EEENS1_48merge_mergepath_partition_config_static_selectorELNS0_4arch9wavefront6targetE1EEEvSH_,@function
_ZN7rocprim17ROCPRIM_400000_NS6detail17trampoline_kernelINS0_14default_configENS1_38merge_sort_block_merge_config_selectorIflEEZZNS1_27merge_sort_block_merge_implIS3_PfN6thrust23THRUST_200600_302600_NS10device_ptrIlEEjNS1_19radix_merge_compareILb0ELb0EfNS0_19identity_decomposerEEEEE10hipError_tT0_T1_T2_jT3_P12ihipStream_tbPNSt15iterator_traitsISG_E10value_typeEPNSM_ISH_E10value_typeEPSI_NS1_7vsmem_tEENKUlT_SG_SH_SI_E_clIS7_S7_SB_PlEESF_SV_SG_SH_SI_EUlSV_E_NS1_11comp_targetILNS1_3genE4ELNS1_11target_archE910ELNS1_3gpuE8ELNS1_3repE0EEENS1_48merge_mergepath_partition_config_static_selectorELNS0_4arch9wavefront6targetE1EEEvSH_: ; @_ZN7rocprim17ROCPRIM_400000_NS6detail17trampoline_kernelINS0_14default_configENS1_38merge_sort_block_merge_config_selectorIflEEZZNS1_27merge_sort_block_merge_implIS3_PfN6thrust23THRUST_200600_302600_NS10device_ptrIlEEjNS1_19radix_merge_compareILb0ELb0EfNS0_19identity_decomposerEEEEE10hipError_tT0_T1_T2_jT3_P12ihipStream_tbPNSt15iterator_traitsISG_E10value_typeEPNSM_ISH_E10value_typeEPSI_NS1_7vsmem_tEENKUlT_SG_SH_SI_E_clIS7_S7_SB_PlEESF_SV_SG_SH_SI_EUlSV_E_NS1_11comp_targetILNS1_3genE4ELNS1_11target_archE910ELNS1_3gpuE8ELNS1_3repE0EEENS1_48merge_mergepath_partition_config_static_selectorELNS0_4arch9wavefront6targetE1EEEvSH_
; %bb.0:
	s_load_dword s0, s[4:5], 0x0
	v_lshl_or_b32 v0, s6, 7, v0
	s_waitcnt lgkmcnt(0)
	v_cmp_gt_u32_e32 vcc, s0, v0
	s_and_saveexec_b64 s[0:1], vcc
	s_cbranch_execz .LBB1787_6
; %bb.1:
	s_load_dwordx2 s[2:3], s[4:5], 0x4
	s_load_dwordx2 s[0:1], s[4:5], 0x20
	s_waitcnt lgkmcnt(0)
	s_lshr_b32 s6, s2, 9
	s_and_b32 s6, s6, 0x7ffffe
	s_add_i32 s7, s6, -1
	s_sub_i32 s6, 0, s6
	v_and_b32_e32 v1, s6, v0
	v_lshlrev_b32_e32 v1, 10, v1
	v_min_u32_e32 v2, s3, v1
	v_add_u32_e32 v1, s2, v1
	v_min_u32_e32 v4, s3, v1
	v_add_u32_e32 v1, s2, v4
	v_and_b32_e32 v3, s7, v0
	v_min_u32_e32 v1, s3, v1
	v_sub_u32_e32 v5, v1, v2
	v_lshlrev_b32_e32 v3, 10, v3
	v_min_u32_e32 v6, v5, v3
	v_sub_u32_e32 v3, v4, v2
	v_sub_u32_e32 v1, v1, v4
	v_sub_u32_e64 v1, v6, v1 clamp
	v_min_u32_e32 v7, v6, v3
	v_cmp_lt_u32_e32 vcc, v1, v7
	s_and_saveexec_b64 s[2:3], vcc
	s_cbranch_execz .LBB1787_5
; %bb.2:
	s_load_dwordx2 s[4:5], s[4:5], 0x10
	v_mov_b32_e32 v5, 0
	v_mov_b32_e32 v3, v5
	v_lshlrev_b64 v[8:9], 2, v[2:3]
	v_lshlrev_b64 v[10:11], 2, v[4:5]
	s_waitcnt lgkmcnt(0)
	v_mov_b32_e32 v12, s5
	v_add_co_u32_e32 v3, vcc, s4, v8
	v_addc_co_u32_e32 v8, vcc, v12, v9, vcc
	v_add_co_u32_e32 v9, vcc, s4, v10
	v_addc_co_u32_e32 v10, vcc, v12, v11, vcc
	s_mov_b64 s[4:5], 0
.LBB1787_3:                             ; =>This Inner Loop Header: Depth=1
	v_add_u32_e32 v4, v7, v1
	v_lshrrev_b32_e32 v4, 1, v4
	v_lshlrev_b64 v[14:15], 2, v[4:5]
	v_mov_b32_e32 v13, v5
	v_xad_u32 v12, v4, -1, v6
	v_add_co_u32_e32 v14, vcc, v3, v14
	v_addc_co_u32_e32 v15, vcc, v8, v15, vcc
	v_lshlrev_b64 v[12:13], 2, v[12:13]
	v_add_co_u32_e32 v12, vcc, v9, v12
	v_addc_co_u32_e32 v13, vcc, v10, v13, vcc
	global_load_dword v16, v[14:15], off
	global_load_dword v17, v[12:13], off
	v_add_u32_e32 v11, 1, v4
	s_waitcnt vmcnt(0)
	v_pk_add_f32 v[12:13], v[16:17], 0 op_sel_hi:[1,0]
	v_ashrrev_i32_e32 v14, 31, v13
	v_ashrrev_i32_e32 v15, 31, v12
	v_or_b32_e32 v15, 0x80000000, v15
	v_or_b32_e32 v14, 0x80000000, v14
	v_xor_b32_e32 v13, v14, v13
	v_xor_b32_e32 v12, v15, v12
	v_cmp_gt_u32_e32 vcc, v12, v13
	v_cndmask_b32_e32 v7, v7, v4, vcc
	v_cndmask_b32_e32 v1, v11, v1, vcc
	v_cmp_ge_u32_e32 vcc, v1, v7
	s_or_b64 s[4:5], vcc, s[4:5]
	s_andn2_b64 exec, exec, s[4:5]
	s_cbranch_execnz .LBB1787_3
; %bb.4:
	s_or_b64 exec, exec, s[4:5]
.LBB1787_5:
	s_or_b64 exec, exec, s[2:3]
	v_add_u32_e32 v2, v1, v2
	v_mov_b32_e32 v1, 0
	v_lshlrev_b64 v[0:1], 2, v[0:1]
	v_mov_b32_e32 v3, s1
	v_add_co_u32_e32 v0, vcc, s0, v0
	v_addc_co_u32_e32 v1, vcc, v3, v1, vcc
	global_store_dword v[0:1], v2, off
.LBB1787_6:
	s_endpgm
	.section	.rodata,"a",@progbits
	.p2align	6, 0x0
	.amdhsa_kernel _ZN7rocprim17ROCPRIM_400000_NS6detail17trampoline_kernelINS0_14default_configENS1_38merge_sort_block_merge_config_selectorIflEEZZNS1_27merge_sort_block_merge_implIS3_PfN6thrust23THRUST_200600_302600_NS10device_ptrIlEEjNS1_19radix_merge_compareILb0ELb0EfNS0_19identity_decomposerEEEEE10hipError_tT0_T1_T2_jT3_P12ihipStream_tbPNSt15iterator_traitsISG_E10value_typeEPNSM_ISH_E10value_typeEPSI_NS1_7vsmem_tEENKUlT_SG_SH_SI_E_clIS7_S7_SB_PlEESF_SV_SG_SH_SI_EUlSV_E_NS1_11comp_targetILNS1_3genE4ELNS1_11target_archE910ELNS1_3gpuE8ELNS1_3repE0EEENS1_48merge_mergepath_partition_config_static_selectorELNS0_4arch9wavefront6targetE1EEEvSH_
		.amdhsa_group_segment_fixed_size 0
		.amdhsa_private_segment_fixed_size 0
		.amdhsa_kernarg_size 40
		.amdhsa_user_sgpr_count 6
		.amdhsa_user_sgpr_private_segment_buffer 1
		.amdhsa_user_sgpr_dispatch_ptr 0
		.amdhsa_user_sgpr_queue_ptr 0
		.amdhsa_user_sgpr_kernarg_segment_ptr 1
		.amdhsa_user_sgpr_dispatch_id 0
		.amdhsa_user_sgpr_flat_scratch_init 0
		.amdhsa_user_sgpr_kernarg_preload_length 0
		.amdhsa_user_sgpr_kernarg_preload_offset 0
		.amdhsa_user_sgpr_private_segment_size 0
		.amdhsa_uses_dynamic_stack 0
		.amdhsa_system_sgpr_private_segment_wavefront_offset 0
		.amdhsa_system_sgpr_workgroup_id_x 1
		.amdhsa_system_sgpr_workgroup_id_y 0
		.amdhsa_system_sgpr_workgroup_id_z 0
		.amdhsa_system_sgpr_workgroup_info 0
		.amdhsa_system_vgpr_workitem_id 0
		.amdhsa_next_free_vgpr 18
		.amdhsa_next_free_sgpr 8
		.amdhsa_accum_offset 20
		.amdhsa_reserve_vcc 1
		.amdhsa_reserve_flat_scratch 0
		.amdhsa_float_round_mode_32 0
		.amdhsa_float_round_mode_16_64 0
		.amdhsa_float_denorm_mode_32 3
		.amdhsa_float_denorm_mode_16_64 3
		.amdhsa_dx10_clamp 1
		.amdhsa_ieee_mode 1
		.amdhsa_fp16_overflow 0
		.amdhsa_tg_split 0
		.amdhsa_exception_fp_ieee_invalid_op 0
		.amdhsa_exception_fp_denorm_src 0
		.amdhsa_exception_fp_ieee_div_zero 0
		.amdhsa_exception_fp_ieee_overflow 0
		.amdhsa_exception_fp_ieee_underflow 0
		.amdhsa_exception_fp_ieee_inexact 0
		.amdhsa_exception_int_div_zero 0
	.end_amdhsa_kernel
	.section	.text._ZN7rocprim17ROCPRIM_400000_NS6detail17trampoline_kernelINS0_14default_configENS1_38merge_sort_block_merge_config_selectorIflEEZZNS1_27merge_sort_block_merge_implIS3_PfN6thrust23THRUST_200600_302600_NS10device_ptrIlEEjNS1_19radix_merge_compareILb0ELb0EfNS0_19identity_decomposerEEEEE10hipError_tT0_T1_T2_jT3_P12ihipStream_tbPNSt15iterator_traitsISG_E10value_typeEPNSM_ISH_E10value_typeEPSI_NS1_7vsmem_tEENKUlT_SG_SH_SI_E_clIS7_S7_SB_PlEESF_SV_SG_SH_SI_EUlSV_E_NS1_11comp_targetILNS1_3genE4ELNS1_11target_archE910ELNS1_3gpuE8ELNS1_3repE0EEENS1_48merge_mergepath_partition_config_static_selectorELNS0_4arch9wavefront6targetE1EEEvSH_,"axG",@progbits,_ZN7rocprim17ROCPRIM_400000_NS6detail17trampoline_kernelINS0_14default_configENS1_38merge_sort_block_merge_config_selectorIflEEZZNS1_27merge_sort_block_merge_implIS3_PfN6thrust23THRUST_200600_302600_NS10device_ptrIlEEjNS1_19radix_merge_compareILb0ELb0EfNS0_19identity_decomposerEEEEE10hipError_tT0_T1_T2_jT3_P12ihipStream_tbPNSt15iterator_traitsISG_E10value_typeEPNSM_ISH_E10value_typeEPSI_NS1_7vsmem_tEENKUlT_SG_SH_SI_E_clIS7_S7_SB_PlEESF_SV_SG_SH_SI_EUlSV_E_NS1_11comp_targetILNS1_3genE4ELNS1_11target_archE910ELNS1_3gpuE8ELNS1_3repE0EEENS1_48merge_mergepath_partition_config_static_selectorELNS0_4arch9wavefront6targetE1EEEvSH_,comdat
.Lfunc_end1787:
	.size	_ZN7rocprim17ROCPRIM_400000_NS6detail17trampoline_kernelINS0_14default_configENS1_38merge_sort_block_merge_config_selectorIflEEZZNS1_27merge_sort_block_merge_implIS3_PfN6thrust23THRUST_200600_302600_NS10device_ptrIlEEjNS1_19radix_merge_compareILb0ELb0EfNS0_19identity_decomposerEEEEE10hipError_tT0_T1_T2_jT3_P12ihipStream_tbPNSt15iterator_traitsISG_E10value_typeEPNSM_ISH_E10value_typeEPSI_NS1_7vsmem_tEENKUlT_SG_SH_SI_E_clIS7_S7_SB_PlEESF_SV_SG_SH_SI_EUlSV_E_NS1_11comp_targetILNS1_3genE4ELNS1_11target_archE910ELNS1_3gpuE8ELNS1_3repE0EEENS1_48merge_mergepath_partition_config_static_selectorELNS0_4arch9wavefront6targetE1EEEvSH_, .Lfunc_end1787-_ZN7rocprim17ROCPRIM_400000_NS6detail17trampoline_kernelINS0_14default_configENS1_38merge_sort_block_merge_config_selectorIflEEZZNS1_27merge_sort_block_merge_implIS3_PfN6thrust23THRUST_200600_302600_NS10device_ptrIlEEjNS1_19radix_merge_compareILb0ELb0EfNS0_19identity_decomposerEEEEE10hipError_tT0_T1_T2_jT3_P12ihipStream_tbPNSt15iterator_traitsISG_E10value_typeEPNSM_ISH_E10value_typeEPSI_NS1_7vsmem_tEENKUlT_SG_SH_SI_E_clIS7_S7_SB_PlEESF_SV_SG_SH_SI_EUlSV_E_NS1_11comp_targetILNS1_3genE4ELNS1_11target_archE910ELNS1_3gpuE8ELNS1_3repE0EEENS1_48merge_mergepath_partition_config_static_selectorELNS0_4arch9wavefront6targetE1EEEvSH_
                                        ; -- End function
	.section	.AMDGPU.csdata,"",@progbits
; Kernel info:
; codeLenInByte = 400
; NumSgprs: 12
; NumVgprs: 18
; NumAgprs: 0
; TotalNumVgprs: 18
; ScratchSize: 0
; MemoryBound: 0
; FloatMode: 240
; IeeeMode: 1
; LDSByteSize: 0 bytes/workgroup (compile time only)
; SGPRBlocks: 1
; VGPRBlocks: 2
; NumSGPRsForWavesPerEU: 12
; NumVGPRsForWavesPerEU: 18
; AccumOffset: 20
; Occupancy: 8
; WaveLimiterHint : 0
; COMPUTE_PGM_RSRC2:SCRATCH_EN: 0
; COMPUTE_PGM_RSRC2:USER_SGPR: 6
; COMPUTE_PGM_RSRC2:TRAP_HANDLER: 0
; COMPUTE_PGM_RSRC2:TGID_X_EN: 1
; COMPUTE_PGM_RSRC2:TGID_Y_EN: 0
; COMPUTE_PGM_RSRC2:TGID_Z_EN: 0
; COMPUTE_PGM_RSRC2:TIDIG_COMP_CNT: 0
; COMPUTE_PGM_RSRC3_GFX90A:ACCUM_OFFSET: 4
; COMPUTE_PGM_RSRC3_GFX90A:TG_SPLIT: 0
	.section	.text._ZN7rocprim17ROCPRIM_400000_NS6detail17trampoline_kernelINS0_14default_configENS1_38merge_sort_block_merge_config_selectorIflEEZZNS1_27merge_sort_block_merge_implIS3_PfN6thrust23THRUST_200600_302600_NS10device_ptrIlEEjNS1_19radix_merge_compareILb0ELb0EfNS0_19identity_decomposerEEEEE10hipError_tT0_T1_T2_jT3_P12ihipStream_tbPNSt15iterator_traitsISG_E10value_typeEPNSM_ISH_E10value_typeEPSI_NS1_7vsmem_tEENKUlT_SG_SH_SI_E_clIS7_S7_SB_PlEESF_SV_SG_SH_SI_EUlSV_E_NS1_11comp_targetILNS1_3genE3ELNS1_11target_archE908ELNS1_3gpuE7ELNS1_3repE0EEENS1_48merge_mergepath_partition_config_static_selectorELNS0_4arch9wavefront6targetE1EEEvSH_,"axG",@progbits,_ZN7rocprim17ROCPRIM_400000_NS6detail17trampoline_kernelINS0_14default_configENS1_38merge_sort_block_merge_config_selectorIflEEZZNS1_27merge_sort_block_merge_implIS3_PfN6thrust23THRUST_200600_302600_NS10device_ptrIlEEjNS1_19radix_merge_compareILb0ELb0EfNS0_19identity_decomposerEEEEE10hipError_tT0_T1_T2_jT3_P12ihipStream_tbPNSt15iterator_traitsISG_E10value_typeEPNSM_ISH_E10value_typeEPSI_NS1_7vsmem_tEENKUlT_SG_SH_SI_E_clIS7_S7_SB_PlEESF_SV_SG_SH_SI_EUlSV_E_NS1_11comp_targetILNS1_3genE3ELNS1_11target_archE908ELNS1_3gpuE7ELNS1_3repE0EEENS1_48merge_mergepath_partition_config_static_selectorELNS0_4arch9wavefront6targetE1EEEvSH_,comdat
	.protected	_ZN7rocprim17ROCPRIM_400000_NS6detail17trampoline_kernelINS0_14default_configENS1_38merge_sort_block_merge_config_selectorIflEEZZNS1_27merge_sort_block_merge_implIS3_PfN6thrust23THRUST_200600_302600_NS10device_ptrIlEEjNS1_19radix_merge_compareILb0ELb0EfNS0_19identity_decomposerEEEEE10hipError_tT0_T1_T2_jT3_P12ihipStream_tbPNSt15iterator_traitsISG_E10value_typeEPNSM_ISH_E10value_typeEPSI_NS1_7vsmem_tEENKUlT_SG_SH_SI_E_clIS7_S7_SB_PlEESF_SV_SG_SH_SI_EUlSV_E_NS1_11comp_targetILNS1_3genE3ELNS1_11target_archE908ELNS1_3gpuE7ELNS1_3repE0EEENS1_48merge_mergepath_partition_config_static_selectorELNS0_4arch9wavefront6targetE1EEEvSH_ ; -- Begin function _ZN7rocprim17ROCPRIM_400000_NS6detail17trampoline_kernelINS0_14default_configENS1_38merge_sort_block_merge_config_selectorIflEEZZNS1_27merge_sort_block_merge_implIS3_PfN6thrust23THRUST_200600_302600_NS10device_ptrIlEEjNS1_19radix_merge_compareILb0ELb0EfNS0_19identity_decomposerEEEEE10hipError_tT0_T1_T2_jT3_P12ihipStream_tbPNSt15iterator_traitsISG_E10value_typeEPNSM_ISH_E10value_typeEPSI_NS1_7vsmem_tEENKUlT_SG_SH_SI_E_clIS7_S7_SB_PlEESF_SV_SG_SH_SI_EUlSV_E_NS1_11comp_targetILNS1_3genE3ELNS1_11target_archE908ELNS1_3gpuE7ELNS1_3repE0EEENS1_48merge_mergepath_partition_config_static_selectorELNS0_4arch9wavefront6targetE1EEEvSH_
	.globl	_ZN7rocprim17ROCPRIM_400000_NS6detail17trampoline_kernelINS0_14default_configENS1_38merge_sort_block_merge_config_selectorIflEEZZNS1_27merge_sort_block_merge_implIS3_PfN6thrust23THRUST_200600_302600_NS10device_ptrIlEEjNS1_19radix_merge_compareILb0ELb0EfNS0_19identity_decomposerEEEEE10hipError_tT0_T1_T2_jT3_P12ihipStream_tbPNSt15iterator_traitsISG_E10value_typeEPNSM_ISH_E10value_typeEPSI_NS1_7vsmem_tEENKUlT_SG_SH_SI_E_clIS7_S7_SB_PlEESF_SV_SG_SH_SI_EUlSV_E_NS1_11comp_targetILNS1_3genE3ELNS1_11target_archE908ELNS1_3gpuE7ELNS1_3repE0EEENS1_48merge_mergepath_partition_config_static_selectorELNS0_4arch9wavefront6targetE1EEEvSH_
	.p2align	8
	.type	_ZN7rocprim17ROCPRIM_400000_NS6detail17trampoline_kernelINS0_14default_configENS1_38merge_sort_block_merge_config_selectorIflEEZZNS1_27merge_sort_block_merge_implIS3_PfN6thrust23THRUST_200600_302600_NS10device_ptrIlEEjNS1_19radix_merge_compareILb0ELb0EfNS0_19identity_decomposerEEEEE10hipError_tT0_T1_T2_jT3_P12ihipStream_tbPNSt15iterator_traitsISG_E10value_typeEPNSM_ISH_E10value_typeEPSI_NS1_7vsmem_tEENKUlT_SG_SH_SI_E_clIS7_S7_SB_PlEESF_SV_SG_SH_SI_EUlSV_E_NS1_11comp_targetILNS1_3genE3ELNS1_11target_archE908ELNS1_3gpuE7ELNS1_3repE0EEENS1_48merge_mergepath_partition_config_static_selectorELNS0_4arch9wavefront6targetE1EEEvSH_,@function
_ZN7rocprim17ROCPRIM_400000_NS6detail17trampoline_kernelINS0_14default_configENS1_38merge_sort_block_merge_config_selectorIflEEZZNS1_27merge_sort_block_merge_implIS3_PfN6thrust23THRUST_200600_302600_NS10device_ptrIlEEjNS1_19radix_merge_compareILb0ELb0EfNS0_19identity_decomposerEEEEE10hipError_tT0_T1_T2_jT3_P12ihipStream_tbPNSt15iterator_traitsISG_E10value_typeEPNSM_ISH_E10value_typeEPSI_NS1_7vsmem_tEENKUlT_SG_SH_SI_E_clIS7_S7_SB_PlEESF_SV_SG_SH_SI_EUlSV_E_NS1_11comp_targetILNS1_3genE3ELNS1_11target_archE908ELNS1_3gpuE7ELNS1_3repE0EEENS1_48merge_mergepath_partition_config_static_selectorELNS0_4arch9wavefront6targetE1EEEvSH_: ; @_ZN7rocprim17ROCPRIM_400000_NS6detail17trampoline_kernelINS0_14default_configENS1_38merge_sort_block_merge_config_selectorIflEEZZNS1_27merge_sort_block_merge_implIS3_PfN6thrust23THRUST_200600_302600_NS10device_ptrIlEEjNS1_19radix_merge_compareILb0ELb0EfNS0_19identity_decomposerEEEEE10hipError_tT0_T1_T2_jT3_P12ihipStream_tbPNSt15iterator_traitsISG_E10value_typeEPNSM_ISH_E10value_typeEPSI_NS1_7vsmem_tEENKUlT_SG_SH_SI_E_clIS7_S7_SB_PlEESF_SV_SG_SH_SI_EUlSV_E_NS1_11comp_targetILNS1_3genE3ELNS1_11target_archE908ELNS1_3gpuE7ELNS1_3repE0EEENS1_48merge_mergepath_partition_config_static_selectorELNS0_4arch9wavefront6targetE1EEEvSH_
; %bb.0:
	.section	.rodata,"a",@progbits
	.p2align	6, 0x0
	.amdhsa_kernel _ZN7rocprim17ROCPRIM_400000_NS6detail17trampoline_kernelINS0_14default_configENS1_38merge_sort_block_merge_config_selectorIflEEZZNS1_27merge_sort_block_merge_implIS3_PfN6thrust23THRUST_200600_302600_NS10device_ptrIlEEjNS1_19radix_merge_compareILb0ELb0EfNS0_19identity_decomposerEEEEE10hipError_tT0_T1_T2_jT3_P12ihipStream_tbPNSt15iterator_traitsISG_E10value_typeEPNSM_ISH_E10value_typeEPSI_NS1_7vsmem_tEENKUlT_SG_SH_SI_E_clIS7_S7_SB_PlEESF_SV_SG_SH_SI_EUlSV_E_NS1_11comp_targetILNS1_3genE3ELNS1_11target_archE908ELNS1_3gpuE7ELNS1_3repE0EEENS1_48merge_mergepath_partition_config_static_selectorELNS0_4arch9wavefront6targetE1EEEvSH_
		.amdhsa_group_segment_fixed_size 0
		.amdhsa_private_segment_fixed_size 0
		.amdhsa_kernarg_size 40
		.amdhsa_user_sgpr_count 6
		.amdhsa_user_sgpr_private_segment_buffer 1
		.amdhsa_user_sgpr_dispatch_ptr 0
		.amdhsa_user_sgpr_queue_ptr 0
		.amdhsa_user_sgpr_kernarg_segment_ptr 1
		.amdhsa_user_sgpr_dispatch_id 0
		.amdhsa_user_sgpr_flat_scratch_init 0
		.amdhsa_user_sgpr_kernarg_preload_length 0
		.amdhsa_user_sgpr_kernarg_preload_offset 0
		.amdhsa_user_sgpr_private_segment_size 0
		.amdhsa_uses_dynamic_stack 0
		.amdhsa_system_sgpr_private_segment_wavefront_offset 0
		.amdhsa_system_sgpr_workgroup_id_x 1
		.amdhsa_system_sgpr_workgroup_id_y 0
		.amdhsa_system_sgpr_workgroup_id_z 0
		.amdhsa_system_sgpr_workgroup_info 0
		.amdhsa_system_vgpr_workitem_id 0
		.amdhsa_next_free_vgpr 1
		.amdhsa_next_free_sgpr 0
		.amdhsa_accum_offset 4
		.amdhsa_reserve_vcc 0
		.amdhsa_reserve_flat_scratch 0
		.amdhsa_float_round_mode_32 0
		.amdhsa_float_round_mode_16_64 0
		.amdhsa_float_denorm_mode_32 3
		.amdhsa_float_denorm_mode_16_64 3
		.amdhsa_dx10_clamp 1
		.amdhsa_ieee_mode 1
		.amdhsa_fp16_overflow 0
		.amdhsa_tg_split 0
		.amdhsa_exception_fp_ieee_invalid_op 0
		.amdhsa_exception_fp_denorm_src 0
		.amdhsa_exception_fp_ieee_div_zero 0
		.amdhsa_exception_fp_ieee_overflow 0
		.amdhsa_exception_fp_ieee_underflow 0
		.amdhsa_exception_fp_ieee_inexact 0
		.amdhsa_exception_int_div_zero 0
	.end_amdhsa_kernel
	.section	.text._ZN7rocprim17ROCPRIM_400000_NS6detail17trampoline_kernelINS0_14default_configENS1_38merge_sort_block_merge_config_selectorIflEEZZNS1_27merge_sort_block_merge_implIS3_PfN6thrust23THRUST_200600_302600_NS10device_ptrIlEEjNS1_19radix_merge_compareILb0ELb0EfNS0_19identity_decomposerEEEEE10hipError_tT0_T1_T2_jT3_P12ihipStream_tbPNSt15iterator_traitsISG_E10value_typeEPNSM_ISH_E10value_typeEPSI_NS1_7vsmem_tEENKUlT_SG_SH_SI_E_clIS7_S7_SB_PlEESF_SV_SG_SH_SI_EUlSV_E_NS1_11comp_targetILNS1_3genE3ELNS1_11target_archE908ELNS1_3gpuE7ELNS1_3repE0EEENS1_48merge_mergepath_partition_config_static_selectorELNS0_4arch9wavefront6targetE1EEEvSH_,"axG",@progbits,_ZN7rocprim17ROCPRIM_400000_NS6detail17trampoline_kernelINS0_14default_configENS1_38merge_sort_block_merge_config_selectorIflEEZZNS1_27merge_sort_block_merge_implIS3_PfN6thrust23THRUST_200600_302600_NS10device_ptrIlEEjNS1_19radix_merge_compareILb0ELb0EfNS0_19identity_decomposerEEEEE10hipError_tT0_T1_T2_jT3_P12ihipStream_tbPNSt15iterator_traitsISG_E10value_typeEPNSM_ISH_E10value_typeEPSI_NS1_7vsmem_tEENKUlT_SG_SH_SI_E_clIS7_S7_SB_PlEESF_SV_SG_SH_SI_EUlSV_E_NS1_11comp_targetILNS1_3genE3ELNS1_11target_archE908ELNS1_3gpuE7ELNS1_3repE0EEENS1_48merge_mergepath_partition_config_static_selectorELNS0_4arch9wavefront6targetE1EEEvSH_,comdat
.Lfunc_end1788:
	.size	_ZN7rocprim17ROCPRIM_400000_NS6detail17trampoline_kernelINS0_14default_configENS1_38merge_sort_block_merge_config_selectorIflEEZZNS1_27merge_sort_block_merge_implIS3_PfN6thrust23THRUST_200600_302600_NS10device_ptrIlEEjNS1_19radix_merge_compareILb0ELb0EfNS0_19identity_decomposerEEEEE10hipError_tT0_T1_T2_jT3_P12ihipStream_tbPNSt15iterator_traitsISG_E10value_typeEPNSM_ISH_E10value_typeEPSI_NS1_7vsmem_tEENKUlT_SG_SH_SI_E_clIS7_S7_SB_PlEESF_SV_SG_SH_SI_EUlSV_E_NS1_11comp_targetILNS1_3genE3ELNS1_11target_archE908ELNS1_3gpuE7ELNS1_3repE0EEENS1_48merge_mergepath_partition_config_static_selectorELNS0_4arch9wavefront6targetE1EEEvSH_, .Lfunc_end1788-_ZN7rocprim17ROCPRIM_400000_NS6detail17trampoline_kernelINS0_14default_configENS1_38merge_sort_block_merge_config_selectorIflEEZZNS1_27merge_sort_block_merge_implIS3_PfN6thrust23THRUST_200600_302600_NS10device_ptrIlEEjNS1_19radix_merge_compareILb0ELb0EfNS0_19identity_decomposerEEEEE10hipError_tT0_T1_T2_jT3_P12ihipStream_tbPNSt15iterator_traitsISG_E10value_typeEPNSM_ISH_E10value_typeEPSI_NS1_7vsmem_tEENKUlT_SG_SH_SI_E_clIS7_S7_SB_PlEESF_SV_SG_SH_SI_EUlSV_E_NS1_11comp_targetILNS1_3genE3ELNS1_11target_archE908ELNS1_3gpuE7ELNS1_3repE0EEENS1_48merge_mergepath_partition_config_static_selectorELNS0_4arch9wavefront6targetE1EEEvSH_
                                        ; -- End function
	.section	.AMDGPU.csdata,"",@progbits
; Kernel info:
; codeLenInByte = 0
; NumSgprs: 4
; NumVgprs: 0
; NumAgprs: 0
; TotalNumVgprs: 0
; ScratchSize: 0
; MemoryBound: 0
; FloatMode: 240
; IeeeMode: 1
; LDSByteSize: 0 bytes/workgroup (compile time only)
; SGPRBlocks: 0
; VGPRBlocks: 0
; NumSGPRsForWavesPerEU: 4
; NumVGPRsForWavesPerEU: 1
; AccumOffset: 4
; Occupancy: 8
; WaveLimiterHint : 0
; COMPUTE_PGM_RSRC2:SCRATCH_EN: 0
; COMPUTE_PGM_RSRC2:USER_SGPR: 6
; COMPUTE_PGM_RSRC2:TRAP_HANDLER: 0
; COMPUTE_PGM_RSRC2:TGID_X_EN: 1
; COMPUTE_PGM_RSRC2:TGID_Y_EN: 0
; COMPUTE_PGM_RSRC2:TGID_Z_EN: 0
; COMPUTE_PGM_RSRC2:TIDIG_COMP_CNT: 0
; COMPUTE_PGM_RSRC3_GFX90A:ACCUM_OFFSET: 0
; COMPUTE_PGM_RSRC3_GFX90A:TG_SPLIT: 0
	.section	.text._ZN7rocprim17ROCPRIM_400000_NS6detail17trampoline_kernelINS0_14default_configENS1_38merge_sort_block_merge_config_selectorIflEEZZNS1_27merge_sort_block_merge_implIS3_PfN6thrust23THRUST_200600_302600_NS10device_ptrIlEEjNS1_19radix_merge_compareILb0ELb0EfNS0_19identity_decomposerEEEEE10hipError_tT0_T1_T2_jT3_P12ihipStream_tbPNSt15iterator_traitsISG_E10value_typeEPNSM_ISH_E10value_typeEPSI_NS1_7vsmem_tEENKUlT_SG_SH_SI_E_clIS7_S7_SB_PlEESF_SV_SG_SH_SI_EUlSV_E_NS1_11comp_targetILNS1_3genE2ELNS1_11target_archE906ELNS1_3gpuE6ELNS1_3repE0EEENS1_48merge_mergepath_partition_config_static_selectorELNS0_4arch9wavefront6targetE1EEEvSH_,"axG",@progbits,_ZN7rocprim17ROCPRIM_400000_NS6detail17trampoline_kernelINS0_14default_configENS1_38merge_sort_block_merge_config_selectorIflEEZZNS1_27merge_sort_block_merge_implIS3_PfN6thrust23THRUST_200600_302600_NS10device_ptrIlEEjNS1_19radix_merge_compareILb0ELb0EfNS0_19identity_decomposerEEEEE10hipError_tT0_T1_T2_jT3_P12ihipStream_tbPNSt15iterator_traitsISG_E10value_typeEPNSM_ISH_E10value_typeEPSI_NS1_7vsmem_tEENKUlT_SG_SH_SI_E_clIS7_S7_SB_PlEESF_SV_SG_SH_SI_EUlSV_E_NS1_11comp_targetILNS1_3genE2ELNS1_11target_archE906ELNS1_3gpuE6ELNS1_3repE0EEENS1_48merge_mergepath_partition_config_static_selectorELNS0_4arch9wavefront6targetE1EEEvSH_,comdat
	.protected	_ZN7rocprim17ROCPRIM_400000_NS6detail17trampoline_kernelINS0_14default_configENS1_38merge_sort_block_merge_config_selectorIflEEZZNS1_27merge_sort_block_merge_implIS3_PfN6thrust23THRUST_200600_302600_NS10device_ptrIlEEjNS1_19radix_merge_compareILb0ELb0EfNS0_19identity_decomposerEEEEE10hipError_tT0_T1_T2_jT3_P12ihipStream_tbPNSt15iterator_traitsISG_E10value_typeEPNSM_ISH_E10value_typeEPSI_NS1_7vsmem_tEENKUlT_SG_SH_SI_E_clIS7_S7_SB_PlEESF_SV_SG_SH_SI_EUlSV_E_NS1_11comp_targetILNS1_3genE2ELNS1_11target_archE906ELNS1_3gpuE6ELNS1_3repE0EEENS1_48merge_mergepath_partition_config_static_selectorELNS0_4arch9wavefront6targetE1EEEvSH_ ; -- Begin function _ZN7rocprim17ROCPRIM_400000_NS6detail17trampoline_kernelINS0_14default_configENS1_38merge_sort_block_merge_config_selectorIflEEZZNS1_27merge_sort_block_merge_implIS3_PfN6thrust23THRUST_200600_302600_NS10device_ptrIlEEjNS1_19radix_merge_compareILb0ELb0EfNS0_19identity_decomposerEEEEE10hipError_tT0_T1_T2_jT3_P12ihipStream_tbPNSt15iterator_traitsISG_E10value_typeEPNSM_ISH_E10value_typeEPSI_NS1_7vsmem_tEENKUlT_SG_SH_SI_E_clIS7_S7_SB_PlEESF_SV_SG_SH_SI_EUlSV_E_NS1_11comp_targetILNS1_3genE2ELNS1_11target_archE906ELNS1_3gpuE6ELNS1_3repE0EEENS1_48merge_mergepath_partition_config_static_selectorELNS0_4arch9wavefront6targetE1EEEvSH_
	.globl	_ZN7rocprim17ROCPRIM_400000_NS6detail17trampoline_kernelINS0_14default_configENS1_38merge_sort_block_merge_config_selectorIflEEZZNS1_27merge_sort_block_merge_implIS3_PfN6thrust23THRUST_200600_302600_NS10device_ptrIlEEjNS1_19radix_merge_compareILb0ELb0EfNS0_19identity_decomposerEEEEE10hipError_tT0_T1_T2_jT3_P12ihipStream_tbPNSt15iterator_traitsISG_E10value_typeEPNSM_ISH_E10value_typeEPSI_NS1_7vsmem_tEENKUlT_SG_SH_SI_E_clIS7_S7_SB_PlEESF_SV_SG_SH_SI_EUlSV_E_NS1_11comp_targetILNS1_3genE2ELNS1_11target_archE906ELNS1_3gpuE6ELNS1_3repE0EEENS1_48merge_mergepath_partition_config_static_selectorELNS0_4arch9wavefront6targetE1EEEvSH_
	.p2align	8
	.type	_ZN7rocprim17ROCPRIM_400000_NS6detail17trampoline_kernelINS0_14default_configENS1_38merge_sort_block_merge_config_selectorIflEEZZNS1_27merge_sort_block_merge_implIS3_PfN6thrust23THRUST_200600_302600_NS10device_ptrIlEEjNS1_19radix_merge_compareILb0ELb0EfNS0_19identity_decomposerEEEEE10hipError_tT0_T1_T2_jT3_P12ihipStream_tbPNSt15iterator_traitsISG_E10value_typeEPNSM_ISH_E10value_typeEPSI_NS1_7vsmem_tEENKUlT_SG_SH_SI_E_clIS7_S7_SB_PlEESF_SV_SG_SH_SI_EUlSV_E_NS1_11comp_targetILNS1_3genE2ELNS1_11target_archE906ELNS1_3gpuE6ELNS1_3repE0EEENS1_48merge_mergepath_partition_config_static_selectorELNS0_4arch9wavefront6targetE1EEEvSH_,@function
_ZN7rocprim17ROCPRIM_400000_NS6detail17trampoline_kernelINS0_14default_configENS1_38merge_sort_block_merge_config_selectorIflEEZZNS1_27merge_sort_block_merge_implIS3_PfN6thrust23THRUST_200600_302600_NS10device_ptrIlEEjNS1_19radix_merge_compareILb0ELb0EfNS0_19identity_decomposerEEEEE10hipError_tT0_T1_T2_jT3_P12ihipStream_tbPNSt15iterator_traitsISG_E10value_typeEPNSM_ISH_E10value_typeEPSI_NS1_7vsmem_tEENKUlT_SG_SH_SI_E_clIS7_S7_SB_PlEESF_SV_SG_SH_SI_EUlSV_E_NS1_11comp_targetILNS1_3genE2ELNS1_11target_archE906ELNS1_3gpuE6ELNS1_3repE0EEENS1_48merge_mergepath_partition_config_static_selectorELNS0_4arch9wavefront6targetE1EEEvSH_: ; @_ZN7rocprim17ROCPRIM_400000_NS6detail17trampoline_kernelINS0_14default_configENS1_38merge_sort_block_merge_config_selectorIflEEZZNS1_27merge_sort_block_merge_implIS3_PfN6thrust23THRUST_200600_302600_NS10device_ptrIlEEjNS1_19radix_merge_compareILb0ELb0EfNS0_19identity_decomposerEEEEE10hipError_tT0_T1_T2_jT3_P12ihipStream_tbPNSt15iterator_traitsISG_E10value_typeEPNSM_ISH_E10value_typeEPSI_NS1_7vsmem_tEENKUlT_SG_SH_SI_E_clIS7_S7_SB_PlEESF_SV_SG_SH_SI_EUlSV_E_NS1_11comp_targetILNS1_3genE2ELNS1_11target_archE906ELNS1_3gpuE6ELNS1_3repE0EEENS1_48merge_mergepath_partition_config_static_selectorELNS0_4arch9wavefront6targetE1EEEvSH_
; %bb.0:
	.section	.rodata,"a",@progbits
	.p2align	6, 0x0
	.amdhsa_kernel _ZN7rocprim17ROCPRIM_400000_NS6detail17trampoline_kernelINS0_14default_configENS1_38merge_sort_block_merge_config_selectorIflEEZZNS1_27merge_sort_block_merge_implIS3_PfN6thrust23THRUST_200600_302600_NS10device_ptrIlEEjNS1_19radix_merge_compareILb0ELb0EfNS0_19identity_decomposerEEEEE10hipError_tT0_T1_T2_jT3_P12ihipStream_tbPNSt15iterator_traitsISG_E10value_typeEPNSM_ISH_E10value_typeEPSI_NS1_7vsmem_tEENKUlT_SG_SH_SI_E_clIS7_S7_SB_PlEESF_SV_SG_SH_SI_EUlSV_E_NS1_11comp_targetILNS1_3genE2ELNS1_11target_archE906ELNS1_3gpuE6ELNS1_3repE0EEENS1_48merge_mergepath_partition_config_static_selectorELNS0_4arch9wavefront6targetE1EEEvSH_
		.amdhsa_group_segment_fixed_size 0
		.amdhsa_private_segment_fixed_size 0
		.amdhsa_kernarg_size 40
		.amdhsa_user_sgpr_count 6
		.amdhsa_user_sgpr_private_segment_buffer 1
		.amdhsa_user_sgpr_dispatch_ptr 0
		.amdhsa_user_sgpr_queue_ptr 0
		.amdhsa_user_sgpr_kernarg_segment_ptr 1
		.amdhsa_user_sgpr_dispatch_id 0
		.amdhsa_user_sgpr_flat_scratch_init 0
		.amdhsa_user_sgpr_kernarg_preload_length 0
		.amdhsa_user_sgpr_kernarg_preload_offset 0
		.amdhsa_user_sgpr_private_segment_size 0
		.amdhsa_uses_dynamic_stack 0
		.amdhsa_system_sgpr_private_segment_wavefront_offset 0
		.amdhsa_system_sgpr_workgroup_id_x 1
		.amdhsa_system_sgpr_workgroup_id_y 0
		.amdhsa_system_sgpr_workgroup_id_z 0
		.amdhsa_system_sgpr_workgroup_info 0
		.amdhsa_system_vgpr_workitem_id 0
		.amdhsa_next_free_vgpr 1
		.amdhsa_next_free_sgpr 0
		.amdhsa_accum_offset 4
		.amdhsa_reserve_vcc 0
		.amdhsa_reserve_flat_scratch 0
		.amdhsa_float_round_mode_32 0
		.amdhsa_float_round_mode_16_64 0
		.amdhsa_float_denorm_mode_32 3
		.amdhsa_float_denorm_mode_16_64 3
		.amdhsa_dx10_clamp 1
		.amdhsa_ieee_mode 1
		.amdhsa_fp16_overflow 0
		.amdhsa_tg_split 0
		.amdhsa_exception_fp_ieee_invalid_op 0
		.amdhsa_exception_fp_denorm_src 0
		.amdhsa_exception_fp_ieee_div_zero 0
		.amdhsa_exception_fp_ieee_overflow 0
		.amdhsa_exception_fp_ieee_underflow 0
		.amdhsa_exception_fp_ieee_inexact 0
		.amdhsa_exception_int_div_zero 0
	.end_amdhsa_kernel
	.section	.text._ZN7rocprim17ROCPRIM_400000_NS6detail17trampoline_kernelINS0_14default_configENS1_38merge_sort_block_merge_config_selectorIflEEZZNS1_27merge_sort_block_merge_implIS3_PfN6thrust23THRUST_200600_302600_NS10device_ptrIlEEjNS1_19radix_merge_compareILb0ELb0EfNS0_19identity_decomposerEEEEE10hipError_tT0_T1_T2_jT3_P12ihipStream_tbPNSt15iterator_traitsISG_E10value_typeEPNSM_ISH_E10value_typeEPSI_NS1_7vsmem_tEENKUlT_SG_SH_SI_E_clIS7_S7_SB_PlEESF_SV_SG_SH_SI_EUlSV_E_NS1_11comp_targetILNS1_3genE2ELNS1_11target_archE906ELNS1_3gpuE6ELNS1_3repE0EEENS1_48merge_mergepath_partition_config_static_selectorELNS0_4arch9wavefront6targetE1EEEvSH_,"axG",@progbits,_ZN7rocprim17ROCPRIM_400000_NS6detail17trampoline_kernelINS0_14default_configENS1_38merge_sort_block_merge_config_selectorIflEEZZNS1_27merge_sort_block_merge_implIS3_PfN6thrust23THRUST_200600_302600_NS10device_ptrIlEEjNS1_19radix_merge_compareILb0ELb0EfNS0_19identity_decomposerEEEEE10hipError_tT0_T1_T2_jT3_P12ihipStream_tbPNSt15iterator_traitsISG_E10value_typeEPNSM_ISH_E10value_typeEPSI_NS1_7vsmem_tEENKUlT_SG_SH_SI_E_clIS7_S7_SB_PlEESF_SV_SG_SH_SI_EUlSV_E_NS1_11comp_targetILNS1_3genE2ELNS1_11target_archE906ELNS1_3gpuE6ELNS1_3repE0EEENS1_48merge_mergepath_partition_config_static_selectorELNS0_4arch9wavefront6targetE1EEEvSH_,comdat
.Lfunc_end1789:
	.size	_ZN7rocprim17ROCPRIM_400000_NS6detail17trampoline_kernelINS0_14default_configENS1_38merge_sort_block_merge_config_selectorIflEEZZNS1_27merge_sort_block_merge_implIS3_PfN6thrust23THRUST_200600_302600_NS10device_ptrIlEEjNS1_19radix_merge_compareILb0ELb0EfNS0_19identity_decomposerEEEEE10hipError_tT0_T1_T2_jT3_P12ihipStream_tbPNSt15iterator_traitsISG_E10value_typeEPNSM_ISH_E10value_typeEPSI_NS1_7vsmem_tEENKUlT_SG_SH_SI_E_clIS7_S7_SB_PlEESF_SV_SG_SH_SI_EUlSV_E_NS1_11comp_targetILNS1_3genE2ELNS1_11target_archE906ELNS1_3gpuE6ELNS1_3repE0EEENS1_48merge_mergepath_partition_config_static_selectorELNS0_4arch9wavefront6targetE1EEEvSH_, .Lfunc_end1789-_ZN7rocprim17ROCPRIM_400000_NS6detail17trampoline_kernelINS0_14default_configENS1_38merge_sort_block_merge_config_selectorIflEEZZNS1_27merge_sort_block_merge_implIS3_PfN6thrust23THRUST_200600_302600_NS10device_ptrIlEEjNS1_19radix_merge_compareILb0ELb0EfNS0_19identity_decomposerEEEEE10hipError_tT0_T1_T2_jT3_P12ihipStream_tbPNSt15iterator_traitsISG_E10value_typeEPNSM_ISH_E10value_typeEPSI_NS1_7vsmem_tEENKUlT_SG_SH_SI_E_clIS7_S7_SB_PlEESF_SV_SG_SH_SI_EUlSV_E_NS1_11comp_targetILNS1_3genE2ELNS1_11target_archE906ELNS1_3gpuE6ELNS1_3repE0EEENS1_48merge_mergepath_partition_config_static_selectorELNS0_4arch9wavefront6targetE1EEEvSH_
                                        ; -- End function
	.section	.AMDGPU.csdata,"",@progbits
; Kernel info:
; codeLenInByte = 0
; NumSgprs: 4
; NumVgprs: 0
; NumAgprs: 0
; TotalNumVgprs: 0
; ScratchSize: 0
; MemoryBound: 0
; FloatMode: 240
; IeeeMode: 1
; LDSByteSize: 0 bytes/workgroup (compile time only)
; SGPRBlocks: 0
; VGPRBlocks: 0
; NumSGPRsForWavesPerEU: 4
; NumVGPRsForWavesPerEU: 1
; AccumOffset: 4
; Occupancy: 8
; WaveLimiterHint : 0
; COMPUTE_PGM_RSRC2:SCRATCH_EN: 0
; COMPUTE_PGM_RSRC2:USER_SGPR: 6
; COMPUTE_PGM_RSRC2:TRAP_HANDLER: 0
; COMPUTE_PGM_RSRC2:TGID_X_EN: 1
; COMPUTE_PGM_RSRC2:TGID_Y_EN: 0
; COMPUTE_PGM_RSRC2:TGID_Z_EN: 0
; COMPUTE_PGM_RSRC2:TIDIG_COMP_CNT: 0
; COMPUTE_PGM_RSRC3_GFX90A:ACCUM_OFFSET: 0
; COMPUTE_PGM_RSRC3_GFX90A:TG_SPLIT: 0
	.section	.text._ZN7rocprim17ROCPRIM_400000_NS6detail17trampoline_kernelINS0_14default_configENS1_38merge_sort_block_merge_config_selectorIflEEZZNS1_27merge_sort_block_merge_implIS3_PfN6thrust23THRUST_200600_302600_NS10device_ptrIlEEjNS1_19radix_merge_compareILb0ELb0EfNS0_19identity_decomposerEEEEE10hipError_tT0_T1_T2_jT3_P12ihipStream_tbPNSt15iterator_traitsISG_E10value_typeEPNSM_ISH_E10value_typeEPSI_NS1_7vsmem_tEENKUlT_SG_SH_SI_E_clIS7_S7_SB_PlEESF_SV_SG_SH_SI_EUlSV_E_NS1_11comp_targetILNS1_3genE9ELNS1_11target_archE1100ELNS1_3gpuE3ELNS1_3repE0EEENS1_48merge_mergepath_partition_config_static_selectorELNS0_4arch9wavefront6targetE1EEEvSH_,"axG",@progbits,_ZN7rocprim17ROCPRIM_400000_NS6detail17trampoline_kernelINS0_14default_configENS1_38merge_sort_block_merge_config_selectorIflEEZZNS1_27merge_sort_block_merge_implIS3_PfN6thrust23THRUST_200600_302600_NS10device_ptrIlEEjNS1_19radix_merge_compareILb0ELb0EfNS0_19identity_decomposerEEEEE10hipError_tT0_T1_T2_jT3_P12ihipStream_tbPNSt15iterator_traitsISG_E10value_typeEPNSM_ISH_E10value_typeEPSI_NS1_7vsmem_tEENKUlT_SG_SH_SI_E_clIS7_S7_SB_PlEESF_SV_SG_SH_SI_EUlSV_E_NS1_11comp_targetILNS1_3genE9ELNS1_11target_archE1100ELNS1_3gpuE3ELNS1_3repE0EEENS1_48merge_mergepath_partition_config_static_selectorELNS0_4arch9wavefront6targetE1EEEvSH_,comdat
	.protected	_ZN7rocprim17ROCPRIM_400000_NS6detail17trampoline_kernelINS0_14default_configENS1_38merge_sort_block_merge_config_selectorIflEEZZNS1_27merge_sort_block_merge_implIS3_PfN6thrust23THRUST_200600_302600_NS10device_ptrIlEEjNS1_19radix_merge_compareILb0ELb0EfNS0_19identity_decomposerEEEEE10hipError_tT0_T1_T2_jT3_P12ihipStream_tbPNSt15iterator_traitsISG_E10value_typeEPNSM_ISH_E10value_typeEPSI_NS1_7vsmem_tEENKUlT_SG_SH_SI_E_clIS7_S7_SB_PlEESF_SV_SG_SH_SI_EUlSV_E_NS1_11comp_targetILNS1_3genE9ELNS1_11target_archE1100ELNS1_3gpuE3ELNS1_3repE0EEENS1_48merge_mergepath_partition_config_static_selectorELNS0_4arch9wavefront6targetE1EEEvSH_ ; -- Begin function _ZN7rocprim17ROCPRIM_400000_NS6detail17trampoline_kernelINS0_14default_configENS1_38merge_sort_block_merge_config_selectorIflEEZZNS1_27merge_sort_block_merge_implIS3_PfN6thrust23THRUST_200600_302600_NS10device_ptrIlEEjNS1_19radix_merge_compareILb0ELb0EfNS0_19identity_decomposerEEEEE10hipError_tT0_T1_T2_jT3_P12ihipStream_tbPNSt15iterator_traitsISG_E10value_typeEPNSM_ISH_E10value_typeEPSI_NS1_7vsmem_tEENKUlT_SG_SH_SI_E_clIS7_S7_SB_PlEESF_SV_SG_SH_SI_EUlSV_E_NS1_11comp_targetILNS1_3genE9ELNS1_11target_archE1100ELNS1_3gpuE3ELNS1_3repE0EEENS1_48merge_mergepath_partition_config_static_selectorELNS0_4arch9wavefront6targetE1EEEvSH_
	.globl	_ZN7rocprim17ROCPRIM_400000_NS6detail17trampoline_kernelINS0_14default_configENS1_38merge_sort_block_merge_config_selectorIflEEZZNS1_27merge_sort_block_merge_implIS3_PfN6thrust23THRUST_200600_302600_NS10device_ptrIlEEjNS1_19radix_merge_compareILb0ELb0EfNS0_19identity_decomposerEEEEE10hipError_tT0_T1_T2_jT3_P12ihipStream_tbPNSt15iterator_traitsISG_E10value_typeEPNSM_ISH_E10value_typeEPSI_NS1_7vsmem_tEENKUlT_SG_SH_SI_E_clIS7_S7_SB_PlEESF_SV_SG_SH_SI_EUlSV_E_NS1_11comp_targetILNS1_3genE9ELNS1_11target_archE1100ELNS1_3gpuE3ELNS1_3repE0EEENS1_48merge_mergepath_partition_config_static_selectorELNS0_4arch9wavefront6targetE1EEEvSH_
	.p2align	8
	.type	_ZN7rocprim17ROCPRIM_400000_NS6detail17trampoline_kernelINS0_14default_configENS1_38merge_sort_block_merge_config_selectorIflEEZZNS1_27merge_sort_block_merge_implIS3_PfN6thrust23THRUST_200600_302600_NS10device_ptrIlEEjNS1_19radix_merge_compareILb0ELb0EfNS0_19identity_decomposerEEEEE10hipError_tT0_T1_T2_jT3_P12ihipStream_tbPNSt15iterator_traitsISG_E10value_typeEPNSM_ISH_E10value_typeEPSI_NS1_7vsmem_tEENKUlT_SG_SH_SI_E_clIS7_S7_SB_PlEESF_SV_SG_SH_SI_EUlSV_E_NS1_11comp_targetILNS1_3genE9ELNS1_11target_archE1100ELNS1_3gpuE3ELNS1_3repE0EEENS1_48merge_mergepath_partition_config_static_selectorELNS0_4arch9wavefront6targetE1EEEvSH_,@function
_ZN7rocprim17ROCPRIM_400000_NS6detail17trampoline_kernelINS0_14default_configENS1_38merge_sort_block_merge_config_selectorIflEEZZNS1_27merge_sort_block_merge_implIS3_PfN6thrust23THRUST_200600_302600_NS10device_ptrIlEEjNS1_19radix_merge_compareILb0ELb0EfNS0_19identity_decomposerEEEEE10hipError_tT0_T1_T2_jT3_P12ihipStream_tbPNSt15iterator_traitsISG_E10value_typeEPNSM_ISH_E10value_typeEPSI_NS1_7vsmem_tEENKUlT_SG_SH_SI_E_clIS7_S7_SB_PlEESF_SV_SG_SH_SI_EUlSV_E_NS1_11comp_targetILNS1_3genE9ELNS1_11target_archE1100ELNS1_3gpuE3ELNS1_3repE0EEENS1_48merge_mergepath_partition_config_static_selectorELNS0_4arch9wavefront6targetE1EEEvSH_: ; @_ZN7rocprim17ROCPRIM_400000_NS6detail17trampoline_kernelINS0_14default_configENS1_38merge_sort_block_merge_config_selectorIflEEZZNS1_27merge_sort_block_merge_implIS3_PfN6thrust23THRUST_200600_302600_NS10device_ptrIlEEjNS1_19radix_merge_compareILb0ELb0EfNS0_19identity_decomposerEEEEE10hipError_tT0_T1_T2_jT3_P12ihipStream_tbPNSt15iterator_traitsISG_E10value_typeEPNSM_ISH_E10value_typeEPSI_NS1_7vsmem_tEENKUlT_SG_SH_SI_E_clIS7_S7_SB_PlEESF_SV_SG_SH_SI_EUlSV_E_NS1_11comp_targetILNS1_3genE9ELNS1_11target_archE1100ELNS1_3gpuE3ELNS1_3repE0EEENS1_48merge_mergepath_partition_config_static_selectorELNS0_4arch9wavefront6targetE1EEEvSH_
; %bb.0:
	.section	.rodata,"a",@progbits
	.p2align	6, 0x0
	.amdhsa_kernel _ZN7rocprim17ROCPRIM_400000_NS6detail17trampoline_kernelINS0_14default_configENS1_38merge_sort_block_merge_config_selectorIflEEZZNS1_27merge_sort_block_merge_implIS3_PfN6thrust23THRUST_200600_302600_NS10device_ptrIlEEjNS1_19radix_merge_compareILb0ELb0EfNS0_19identity_decomposerEEEEE10hipError_tT0_T1_T2_jT3_P12ihipStream_tbPNSt15iterator_traitsISG_E10value_typeEPNSM_ISH_E10value_typeEPSI_NS1_7vsmem_tEENKUlT_SG_SH_SI_E_clIS7_S7_SB_PlEESF_SV_SG_SH_SI_EUlSV_E_NS1_11comp_targetILNS1_3genE9ELNS1_11target_archE1100ELNS1_3gpuE3ELNS1_3repE0EEENS1_48merge_mergepath_partition_config_static_selectorELNS0_4arch9wavefront6targetE1EEEvSH_
		.amdhsa_group_segment_fixed_size 0
		.amdhsa_private_segment_fixed_size 0
		.amdhsa_kernarg_size 40
		.amdhsa_user_sgpr_count 6
		.amdhsa_user_sgpr_private_segment_buffer 1
		.amdhsa_user_sgpr_dispatch_ptr 0
		.amdhsa_user_sgpr_queue_ptr 0
		.amdhsa_user_sgpr_kernarg_segment_ptr 1
		.amdhsa_user_sgpr_dispatch_id 0
		.amdhsa_user_sgpr_flat_scratch_init 0
		.amdhsa_user_sgpr_kernarg_preload_length 0
		.amdhsa_user_sgpr_kernarg_preload_offset 0
		.amdhsa_user_sgpr_private_segment_size 0
		.amdhsa_uses_dynamic_stack 0
		.amdhsa_system_sgpr_private_segment_wavefront_offset 0
		.amdhsa_system_sgpr_workgroup_id_x 1
		.amdhsa_system_sgpr_workgroup_id_y 0
		.amdhsa_system_sgpr_workgroup_id_z 0
		.amdhsa_system_sgpr_workgroup_info 0
		.amdhsa_system_vgpr_workitem_id 0
		.amdhsa_next_free_vgpr 1
		.amdhsa_next_free_sgpr 0
		.amdhsa_accum_offset 4
		.amdhsa_reserve_vcc 0
		.amdhsa_reserve_flat_scratch 0
		.amdhsa_float_round_mode_32 0
		.amdhsa_float_round_mode_16_64 0
		.amdhsa_float_denorm_mode_32 3
		.amdhsa_float_denorm_mode_16_64 3
		.amdhsa_dx10_clamp 1
		.amdhsa_ieee_mode 1
		.amdhsa_fp16_overflow 0
		.amdhsa_tg_split 0
		.amdhsa_exception_fp_ieee_invalid_op 0
		.amdhsa_exception_fp_denorm_src 0
		.amdhsa_exception_fp_ieee_div_zero 0
		.amdhsa_exception_fp_ieee_overflow 0
		.amdhsa_exception_fp_ieee_underflow 0
		.amdhsa_exception_fp_ieee_inexact 0
		.amdhsa_exception_int_div_zero 0
	.end_amdhsa_kernel
	.section	.text._ZN7rocprim17ROCPRIM_400000_NS6detail17trampoline_kernelINS0_14default_configENS1_38merge_sort_block_merge_config_selectorIflEEZZNS1_27merge_sort_block_merge_implIS3_PfN6thrust23THRUST_200600_302600_NS10device_ptrIlEEjNS1_19radix_merge_compareILb0ELb0EfNS0_19identity_decomposerEEEEE10hipError_tT0_T1_T2_jT3_P12ihipStream_tbPNSt15iterator_traitsISG_E10value_typeEPNSM_ISH_E10value_typeEPSI_NS1_7vsmem_tEENKUlT_SG_SH_SI_E_clIS7_S7_SB_PlEESF_SV_SG_SH_SI_EUlSV_E_NS1_11comp_targetILNS1_3genE9ELNS1_11target_archE1100ELNS1_3gpuE3ELNS1_3repE0EEENS1_48merge_mergepath_partition_config_static_selectorELNS0_4arch9wavefront6targetE1EEEvSH_,"axG",@progbits,_ZN7rocprim17ROCPRIM_400000_NS6detail17trampoline_kernelINS0_14default_configENS1_38merge_sort_block_merge_config_selectorIflEEZZNS1_27merge_sort_block_merge_implIS3_PfN6thrust23THRUST_200600_302600_NS10device_ptrIlEEjNS1_19radix_merge_compareILb0ELb0EfNS0_19identity_decomposerEEEEE10hipError_tT0_T1_T2_jT3_P12ihipStream_tbPNSt15iterator_traitsISG_E10value_typeEPNSM_ISH_E10value_typeEPSI_NS1_7vsmem_tEENKUlT_SG_SH_SI_E_clIS7_S7_SB_PlEESF_SV_SG_SH_SI_EUlSV_E_NS1_11comp_targetILNS1_3genE9ELNS1_11target_archE1100ELNS1_3gpuE3ELNS1_3repE0EEENS1_48merge_mergepath_partition_config_static_selectorELNS0_4arch9wavefront6targetE1EEEvSH_,comdat
.Lfunc_end1790:
	.size	_ZN7rocprim17ROCPRIM_400000_NS6detail17trampoline_kernelINS0_14default_configENS1_38merge_sort_block_merge_config_selectorIflEEZZNS1_27merge_sort_block_merge_implIS3_PfN6thrust23THRUST_200600_302600_NS10device_ptrIlEEjNS1_19radix_merge_compareILb0ELb0EfNS0_19identity_decomposerEEEEE10hipError_tT0_T1_T2_jT3_P12ihipStream_tbPNSt15iterator_traitsISG_E10value_typeEPNSM_ISH_E10value_typeEPSI_NS1_7vsmem_tEENKUlT_SG_SH_SI_E_clIS7_S7_SB_PlEESF_SV_SG_SH_SI_EUlSV_E_NS1_11comp_targetILNS1_3genE9ELNS1_11target_archE1100ELNS1_3gpuE3ELNS1_3repE0EEENS1_48merge_mergepath_partition_config_static_selectorELNS0_4arch9wavefront6targetE1EEEvSH_, .Lfunc_end1790-_ZN7rocprim17ROCPRIM_400000_NS6detail17trampoline_kernelINS0_14default_configENS1_38merge_sort_block_merge_config_selectorIflEEZZNS1_27merge_sort_block_merge_implIS3_PfN6thrust23THRUST_200600_302600_NS10device_ptrIlEEjNS1_19radix_merge_compareILb0ELb0EfNS0_19identity_decomposerEEEEE10hipError_tT0_T1_T2_jT3_P12ihipStream_tbPNSt15iterator_traitsISG_E10value_typeEPNSM_ISH_E10value_typeEPSI_NS1_7vsmem_tEENKUlT_SG_SH_SI_E_clIS7_S7_SB_PlEESF_SV_SG_SH_SI_EUlSV_E_NS1_11comp_targetILNS1_3genE9ELNS1_11target_archE1100ELNS1_3gpuE3ELNS1_3repE0EEENS1_48merge_mergepath_partition_config_static_selectorELNS0_4arch9wavefront6targetE1EEEvSH_
                                        ; -- End function
	.section	.AMDGPU.csdata,"",@progbits
; Kernel info:
; codeLenInByte = 0
; NumSgprs: 4
; NumVgprs: 0
; NumAgprs: 0
; TotalNumVgprs: 0
; ScratchSize: 0
; MemoryBound: 0
; FloatMode: 240
; IeeeMode: 1
; LDSByteSize: 0 bytes/workgroup (compile time only)
; SGPRBlocks: 0
; VGPRBlocks: 0
; NumSGPRsForWavesPerEU: 4
; NumVGPRsForWavesPerEU: 1
; AccumOffset: 4
; Occupancy: 8
; WaveLimiterHint : 0
; COMPUTE_PGM_RSRC2:SCRATCH_EN: 0
; COMPUTE_PGM_RSRC2:USER_SGPR: 6
; COMPUTE_PGM_RSRC2:TRAP_HANDLER: 0
; COMPUTE_PGM_RSRC2:TGID_X_EN: 1
; COMPUTE_PGM_RSRC2:TGID_Y_EN: 0
; COMPUTE_PGM_RSRC2:TGID_Z_EN: 0
; COMPUTE_PGM_RSRC2:TIDIG_COMP_CNT: 0
; COMPUTE_PGM_RSRC3_GFX90A:ACCUM_OFFSET: 0
; COMPUTE_PGM_RSRC3_GFX90A:TG_SPLIT: 0
	.section	.text._ZN7rocprim17ROCPRIM_400000_NS6detail17trampoline_kernelINS0_14default_configENS1_38merge_sort_block_merge_config_selectorIflEEZZNS1_27merge_sort_block_merge_implIS3_PfN6thrust23THRUST_200600_302600_NS10device_ptrIlEEjNS1_19radix_merge_compareILb0ELb0EfNS0_19identity_decomposerEEEEE10hipError_tT0_T1_T2_jT3_P12ihipStream_tbPNSt15iterator_traitsISG_E10value_typeEPNSM_ISH_E10value_typeEPSI_NS1_7vsmem_tEENKUlT_SG_SH_SI_E_clIS7_S7_SB_PlEESF_SV_SG_SH_SI_EUlSV_E_NS1_11comp_targetILNS1_3genE8ELNS1_11target_archE1030ELNS1_3gpuE2ELNS1_3repE0EEENS1_48merge_mergepath_partition_config_static_selectorELNS0_4arch9wavefront6targetE1EEEvSH_,"axG",@progbits,_ZN7rocprim17ROCPRIM_400000_NS6detail17trampoline_kernelINS0_14default_configENS1_38merge_sort_block_merge_config_selectorIflEEZZNS1_27merge_sort_block_merge_implIS3_PfN6thrust23THRUST_200600_302600_NS10device_ptrIlEEjNS1_19radix_merge_compareILb0ELb0EfNS0_19identity_decomposerEEEEE10hipError_tT0_T1_T2_jT3_P12ihipStream_tbPNSt15iterator_traitsISG_E10value_typeEPNSM_ISH_E10value_typeEPSI_NS1_7vsmem_tEENKUlT_SG_SH_SI_E_clIS7_S7_SB_PlEESF_SV_SG_SH_SI_EUlSV_E_NS1_11comp_targetILNS1_3genE8ELNS1_11target_archE1030ELNS1_3gpuE2ELNS1_3repE0EEENS1_48merge_mergepath_partition_config_static_selectorELNS0_4arch9wavefront6targetE1EEEvSH_,comdat
	.protected	_ZN7rocprim17ROCPRIM_400000_NS6detail17trampoline_kernelINS0_14default_configENS1_38merge_sort_block_merge_config_selectorIflEEZZNS1_27merge_sort_block_merge_implIS3_PfN6thrust23THRUST_200600_302600_NS10device_ptrIlEEjNS1_19radix_merge_compareILb0ELb0EfNS0_19identity_decomposerEEEEE10hipError_tT0_T1_T2_jT3_P12ihipStream_tbPNSt15iterator_traitsISG_E10value_typeEPNSM_ISH_E10value_typeEPSI_NS1_7vsmem_tEENKUlT_SG_SH_SI_E_clIS7_S7_SB_PlEESF_SV_SG_SH_SI_EUlSV_E_NS1_11comp_targetILNS1_3genE8ELNS1_11target_archE1030ELNS1_3gpuE2ELNS1_3repE0EEENS1_48merge_mergepath_partition_config_static_selectorELNS0_4arch9wavefront6targetE1EEEvSH_ ; -- Begin function _ZN7rocprim17ROCPRIM_400000_NS6detail17trampoline_kernelINS0_14default_configENS1_38merge_sort_block_merge_config_selectorIflEEZZNS1_27merge_sort_block_merge_implIS3_PfN6thrust23THRUST_200600_302600_NS10device_ptrIlEEjNS1_19radix_merge_compareILb0ELb0EfNS0_19identity_decomposerEEEEE10hipError_tT0_T1_T2_jT3_P12ihipStream_tbPNSt15iterator_traitsISG_E10value_typeEPNSM_ISH_E10value_typeEPSI_NS1_7vsmem_tEENKUlT_SG_SH_SI_E_clIS7_S7_SB_PlEESF_SV_SG_SH_SI_EUlSV_E_NS1_11comp_targetILNS1_3genE8ELNS1_11target_archE1030ELNS1_3gpuE2ELNS1_3repE0EEENS1_48merge_mergepath_partition_config_static_selectorELNS0_4arch9wavefront6targetE1EEEvSH_
	.globl	_ZN7rocprim17ROCPRIM_400000_NS6detail17trampoline_kernelINS0_14default_configENS1_38merge_sort_block_merge_config_selectorIflEEZZNS1_27merge_sort_block_merge_implIS3_PfN6thrust23THRUST_200600_302600_NS10device_ptrIlEEjNS1_19radix_merge_compareILb0ELb0EfNS0_19identity_decomposerEEEEE10hipError_tT0_T1_T2_jT3_P12ihipStream_tbPNSt15iterator_traitsISG_E10value_typeEPNSM_ISH_E10value_typeEPSI_NS1_7vsmem_tEENKUlT_SG_SH_SI_E_clIS7_S7_SB_PlEESF_SV_SG_SH_SI_EUlSV_E_NS1_11comp_targetILNS1_3genE8ELNS1_11target_archE1030ELNS1_3gpuE2ELNS1_3repE0EEENS1_48merge_mergepath_partition_config_static_selectorELNS0_4arch9wavefront6targetE1EEEvSH_
	.p2align	8
	.type	_ZN7rocprim17ROCPRIM_400000_NS6detail17trampoline_kernelINS0_14default_configENS1_38merge_sort_block_merge_config_selectorIflEEZZNS1_27merge_sort_block_merge_implIS3_PfN6thrust23THRUST_200600_302600_NS10device_ptrIlEEjNS1_19radix_merge_compareILb0ELb0EfNS0_19identity_decomposerEEEEE10hipError_tT0_T1_T2_jT3_P12ihipStream_tbPNSt15iterator_traitsISG_E10value_typeEPNSM_ISH_E10value_typeEPSI_NS1_7vsmem_tEENKUlT_SG_SH_SI_E_clIS7_S7_SB_PlEESF_SV_SG_SH_SI_EUlSV_E_NS1_11comp_targetILNS1_3genE8ELNS1_11target_archE1030ELNS1_3gpuE2ELNS1_3repE0EEENS1_48merge_mergepath_partition_config_static_selectorELNS0_4arch9wavefront6targetE1EEEvSH_,@function
_ZN7rocprim17ROCPRIM_400000_NS6detail17trampoline_kernelINS0_14default_configENS1_38merge_sort_block_merge_config_selectorIflEEZZNS1_27merge_sort_block_merge_implIS3_PfN6thrust23THRUST_200600_302600_NS10device_ptrIlEEjNS1_19radix_merge_compareILb0ELb0EfNS0_19identity_decomposerEEEEE10hipError_tT0_T1_T2_jT3_P12ihipStream_tbPNSt15iterator_traitsISG_E10value_typeEPNSM_ISH_E10value_typeEPSI_NS1_7vsmem_tEENKUlT_SG_SH_SI_E_clIS7_S7_SB_PlEESF_SV_SG_SH_SI_EUlSV_E_NS1_11comp_targetILNS1_3genE8ELNS1_11target_archE1030ELNS1_3gpuE2ELNS1_3repE0EEENS1_48merge_mergepath_partition_config_static_selectorELNS0_4arch9wavefront6targetE1EEEvSH_: ; @_ZN7rocprim17ROCPRIM_400000_NS6detail17trampoline_kernelINS0_14default_configENS1_38merge_sort_block_merge_config_selectorIflEEZZNS1_27merge_sort_block_merge_implIS3_PfN6thrust23THRUST_200600_302600_NS10device_ptrIlEEjNS1_19radix_merge_compareILb0ELb0EfNS0_19identity_decomposerEEEEE10hipError_tT0_T1_T2_jT3_P12ihipStream_tbPNSt15iterator_traitsISG_E10value_typeEPNSM_ISH_E10value_typeEPSI_NS1_7vsmem_tEENKUlT_SG_SH_SI_E_clIS7_S7_SB_PlEESF_SV_SG_SH_SI_EUlSV_E_NS1_11comp_targetILNS1_3genE8ELNS1_11target_archE1030ELNS1_3gpuE2ELNS1_3repE0EEENS1_48merge_mergepath_partition_config_static_selectorELNS0_4arch9wavefront6targetE1EEEvSH_
; %bb.0:
	.section	.rodata,"a",@progbits
	.p2align	6, 0x0
	.amdhsa_kernel _ZN7rocprim17ROCPRIM_400000_NS6detail17trampoline_kernelINS0_14default_configENS1_38merge_sort_block_merge_config_selectorIflEEZZNS1_27merge_sort_block_merge_implIS3_PfN6thrust23THRUST_200600_302600_NS10device_ptrIlEEjNS1_19radix_merge_compareILb0ELb0EfNS0_19identity_decomposerEEEEE10hipError_tT0_T1_T2_jT3_P12ihipStream_tbPNSt15iterator_traitsISG_E10value_typeEPNSM_ISH_E10value_typeEPSI_NS1_7vsmem_tEENKUlT_SG_SH_SI_E_clIS7_S7_SB_PlEESF_SV_SG_SH_SI_EUlSV_E_NS1_11comp_targetILNS1_3genE8ELNS1_11target_archE1030ELNS1_3gpuE2ELNS1_3repE0EEENS1_48merge_mergepath_partition_config_static_selectorELNS0_4arch9wavefront6targetE1EEEvSH_
		.amdhsa_group_segment_fixed_size 0
		.amdhsa_private_segment_fixed_size 0
		.amdhsa_kernarg_size 40
		.amdhsa_user_sgpr_count 6
		.amdhsa_user_sgpr_private_segment_buffer 1
		.amdhsa_user_sgpr_dispatch_ptr 0
		.amdhsa_user_sgpr_queue_ptr 0
		.amdhsa_user_sgpr_kernarg_segment_ptr 1
		.amdhsa_user_sgpr_dispatch_id 0
		.amdhsa_user_sgpr_flat_scratch_init 0
		.amdhsa_user_sgpr_kernarg_preload_length 0
		.amdhsa_user_sgpr_kernarg_preload_offset 0
		.amdhsa_user_sgpr_private_segment_size 0
		.amdhsa_uses_dynamic_stack 0
		.amdhsa_system_sgpr_private_segment_wavefront_offset 0
		.amdhsa_system_sgpr_workgroup_id_x 1
		.amdhsa_system_sgpr_workgroup_id_y 0
		.amdhsa_system_sgpr_workgroup_id_z 0
		.amdhsa_system_sgpr_workgroup_info 0
		.amdhsa_system_vgpr_workitem_id 0
		.amdhsa_next_free_vgpr 1
		.amdhsa_next_free_sgpr 0
		.amdhsa_accum_offset 4
		.amdhsa_reserve_vcc 0
		.amdhsa_reserve_flat_scratch 0
		.amdhsa_float_round_mode_32 0
		.amdhsa_float_round_mode_16_64 0
		.amdhsa_float_denorm_mode_32 3
		.amdhsa_float_denorm_mode_16_64 3
		.amdhsa_dx10_clamp 1
		.amdhsa_ieee_mode 1
		.amdhsa_fp16_overflow 0
		.amdhsa_tg_split 0
		.amdhsa_exception_fp_ieee_invalid_op 0
		.amdhsa_exception_fp_denorm_src 0
		.amdhsa_exception_fp_ieee_div_zero 0
		.amdhsa_exception_fp_ieee_overflow 0
		.amdhsa_exception_fp_ieee_underflow 0
		.amdhsa_exception_fp_ieee_inexact 0
		.amdhsa_exception_int_div_zero 0
	.end_amdhsa_kernel
	.section	.text._ZN7rocprim17ROCPRIM_400000_NS6detail17trampoline_kernelINS0_14default_configENS1_38merge_sort_block_merge_config_selectorIflEEZZNS1_27merge_sort_block_merge_implIS3_PfN6thrust23THRUST_200600_302600_NS10device_ptrIlEEjNS1_19radix_merge_compareILb0ELb0EfNS0_19identity_decomposerEEEEE10hipError_tT0_T1_T2_jT3_P12ihipStream_tbPNSt15iterator_traitsISG_E10value_typeEPNSM_ISH_E10value_typeEPSI_NS1_7vsmem_tEENKUlT_SG_SH_SI_E_clIS7_S7_SB_PlEESF_SV_SG_SH_SI_EUlSV_E_NS1_11comp_targetILNS1_3genE8ELNS1_11target_archE1030ELNS1_3gpuE2ELNS1_3repE0EEENS1_48merge_mergepath_partition_config_static_selectorELNS0_4arch9wavefront6targetE1EEEvSH_,"axG",@progbits,_ZN7rocprim17ROCPRIM_400000_NS6detail17trampoline_kernelINS0_14default_configENS1_38merge_sort_block_merge_config_selectorIflEEZZNS1_27merge_sort_block_merge_implIS3_PfN6thrust23THRUST_200600_302600_NS10device_ptrIlEEjNS1_19radix_merge_compareILb0ELb0EfNS0_19identity_decomposerEEEEE10hipError_tT0_T1_T2_jT3_P12ihipStream_tbPNSt15iterator_traitsISG_E10value_typeEPNSM_ISH_E10value_typeEPSI_NS1_7vsmem_tEENKUlT_SG_SH_SI_E_clIS7_S7_SB_PlEESF_SV_SG_SH_SI_EUlSV_E_NS1_11comp_targetILNS1_3genE8ELNS1_11target_archE1030ELNS1_3gpuE2ELNS1_3repE0EEENS1_48merge_mergepath_partition_config_static_selectorELNS0_4arch9wavefront6targetE1EEEvSH_,comdat
.Lfunc_end1791:
	.size	_ZN7rocprim17ROCPRIM_400000_NS6detail17trampoline_kernelINS0_14default_configENS1_38merge_sort_block_merge_config_selectorIflEEZZNS1_27merge_sort_block_merge_implIS3_PfN6thrust23THRUST_200600_302600_NS10device_ptrIlEEjNS1_19radix_merge_compareILb0ELb0EfNS0_19identity_decomposerEEEEE10hipError_tT0_T1_T2_jT3_P12ihipStream_tbPNSt15iterator_traitsISG_E10value_typeEPNSM_ISH_E10value_typeEPSI_NS1_7vsmem_tEENKUlT_SG_SH_SI_E_clIS7_S7_SB_PlEESF_SV_SG_SH_SI_EUlSV_E_NS1_11comp_targetILNS1_3genE8ELNS1_11target_archE1030ELNS1_3gpuE2ELNS1_3repE0EEENS1_48merge_mergepath_partition_config_static_selectorELNS0_4arch9wavefront6targetE1EEEvSH_, .Lfunc_end1791-_ZN7rocprim17ROCPRIM_400000_NS6detail17trampoline_kernelINS0_14default_configENS1_38merge_sort_block_merge_config_selectorIflEEZZNS1_27merge_sort_block_merge_implIS3_PfN6thrust23THRUST_200600_302600_NS10device_ptrIlEEjNS1_19radix_merge_compareILb0ELb0EfNS0_19identity_decomposerEEEEE10hipError_tT0_T1_T2_jT3_P12ihipStream_tbPNSt15iterator_traitsISG_E10value_typeEPNSM_ISH_E10value_typeEPSI_NS1_7vsmem_tEENKUlT_SG_SH_SI_E_clIS7_S7_SB_PlEESF_SV_SG_SH_SI_EUlSV_E_NS1_11comp_targetILNS1_3genE8ELNS1_11target_archE1030ELNS1_3gpuE2ELNS1_3repE0EEENS1_48merge_mergepath_partition_config_static_selectorELNS0_4arch9wavefront6targetE1EEEvSH_
                                        ; -- End function
	.section	.AMDGPU.csdata,"",@progbits
; Kernel info:
; codeLenInByte = 0
; NumSgprs: 4
; NumVgprs: 0
; NumAgprs: 0
; TotalNumVgprs: 0
; ScratchSize: 0
; MemoryBound: 0
; FloatMode: 240
; IeeeMode: 1
; LDSByteSize: 0 bytes/workgroup (compile time only)
; SGPRBlocks: 0
; VGPRBlocks: 0
; NumSGPRsForWavesPerEU: 4
; NumVGPRsForWavesPerEU: 1
; AccumOffset: 4
; Occupancy: 8
; WaveLimiterHint : 0
; COMPUTE_PGM_RSRC2:SCRATCH_EN: 0
; COMPUTE_PGM_RSRC2:USER_SGPR: 6
; COMPUTE_PGM_RSRC2:TRAP_HANDLER: 0
; COMPUTE_PGM_RSRC2:TGID_X_EN: 1
; COMPUTE_PGM_RSRC2:TGID_Y_EN: 0
; COMPUTE_PGM_RSRC2:TGID_Z_EN: 0
; COMPUTE_PGM_RSRC2:TIDIG_COMP_CNT: 0
; COMPUTE_PGM_RSRC3_GFX90A:ACCUM_OFFSET: 0
; COMPUTE_PGM_RSRC3_GFX90A:TG_SPLIT: 0
	.section	.text._ZN7rocprim17ROCPRIM_400000_NS6detail17trampoline_kernelINS0_14default_configENS1_38merge_sort_block_merge_config_selectorIflEEZZNS1_27merge_sort_block_merge_implIS3_PfN6thrust23THRUST_200600_302600_NS10device_ptrIlEEjNS1_19radix_merge_compareILb0ELb0EfNS0_19identity_decomposerEEEEE10hipError_tT0_T1_T2_jT3_P12ihipStream_tbPNSt15iterator_traitsISG_E10value_typeEPNSM_ISH_E10value_typeEPSI_NS1_7vsmem_tEENKUlT_SG_SH_SI_E_clIS7_S7_SB_PlEESF_SV_SG_SH_SI_EUlSV_E0_NS1_11comp_targetILNS1_3genE0ELNS1_11target_archE4294967295ELNS1_3gpuE0ELNS1_3repE0EEENS1_38merge_mergepath_config_static_selectorELNS0_4arch9wavefront6targetE1EEEvSH_,"axG",@progbits,_ZN7rocprim17ROCPRIM_400000_NS6detail17trampoline_kernelINS0_14default_configENS1_38merge_sort_block_merge_config_selectorIflEEZZNS1_27merge_sort_block_merge_implIS3_PfN6thrust23THRUST_200600_302600_NS10device_ptrIlEEjNS1_19radix_merge_compareILb0ELb0EfNS0_19identity_decomposerEEEEE10hipError_tT0_T1_T2_jT3_P12ihipStream_tbPNSt15iterator_traitsISG_E10value_typeEPNSM_ISH_E10value_typeEPSI_NS1_7vsmem_tEENKUlT_SG_SH_SI_E_clIS7_S7_SB_PlEESF_SV_SG_SH_SI_EUlSV_E0_NS1_11comp_targetILNS1_3genE0ELNS1_11target_archE4294967295ELNS1_3gpuE0ELNS1_3repE0EEENS1_38merge_mergepath_config_static_selectorELNS0_4arch9wavefront6targetE1EEEvSH_,comdat
	.protected	_ZN7rocprim17ROCPRIM_400000_NS6detail17trampoline_kernelINS0_14default_configENS1_38merge_sort_block_merge_config_selectorIflEEZZNS1_27merge_sort_block_merge_implIS3_PfN6thrust23THRUST_200600_302600_NS10device_ptrIlEEjNS1_19radix_merge_compareILb0ELb0EfNS0_19identity_decomposerEEEEE10hipError_tT0_T1_T2_jT3_P12ihipStream_tbPNSt15iterator_traitsISG_E10value_typeEPNSM_ISH_E10value_typeEPSI_NS1_7vsmem_tEENKUlT_SG_SH_SI_E_clIS7_S7_SB_PlEESF_SV_SG_SH_SI_EUlSV_E0_NS1_11comp_targetILNS1_3genE0ELNS1_11target_archE4294967295ELNS1_3gpuE0ELNS1_3repE0EEENS1_38merge_mergepath_config_static_selectorELNS0_4arch9wavefront6targetE1EEEvSH_ ; -- Begin function _ZN7rocprim17ROCPRIM_400000_NS6detail17trampoline_kernelINS0_14default_configENS1_38merge_sort_block_merge_config_selectorIflEEZZNS1_27merge_sort_block_merge_implIS3_PfN6thrust23THRUST_200600_302600_NS10device_ptrIlEEjNS1_19radix_merge_compareILb0ELb0EfNS0_19identity_decomposerEEEEE10hipError_tT0_T1_T2_jT3_P12ihipStream_tbPNSt15iterator_traitsISG_E10value_typeEPNSM_ISH_E10value_typeEPSI_NS1_7vsmem_tEENKUlT_SG_SH_SI_E_clIS7_S7_SB_PlEESF_SV_SG_SH_SI_EUlSV_E0_NS1_11comp_targetILNS1_3genE0ELNS1_11target_archE4294967295ELNS1_3gpuE0ELNS1_3repE0EEENS1_38merge_mergepath_config_static_selectorELNS0_4arch9wavefront6targetE1EEEvSH_
	.globl	_ZN7rocprim17ROCPRIM_400000_NS6detail17trampoline_kernelINS0_14default_configENS1_38merge_sort_block_merge_config_selectorIflEEZZNS1_27merge_sort_block_merge_implIS3_PfN6thrust23THRUST_200600_302600_NS10device_ptrIlEEjNS1_19radix_merge_compareILb0ELb0EfNS0_19identity_decomposerEEEEE10hipError_tT0_T1_T2_jT3_P12ihipStream_tbPNSt15iterator_traitsISG_E10value_typeEPNSM_ISH_E10value_typeEPSI_NS1_7vsmem_tEENKUlT_SG_SH_SI_E_clIS7_S7_SB_PlEESF_SV_SG_SH_SI_EUlSV_E0_NS1_11comp_targetILNS1_3genE0ELNS1_11target_archE4294967295ELNS1_3gpuE0ELNS1_3repE0EEENS1_38merge_mergepath_config_static_selectorELNS0_4arch9wavefront6targetE1EEEvSH_
	.p2align	8
	.type	_ZN7rocprim17ROCPRIM_400000_NS6detail17trampoline_kernelINS0_14default_configENS1_38merge_sort_block_merge_config_selectorIflEEZZNS1_27merge_sort_block_merge_implIS3_PfN6thrust23THRUST_200600_302600_NS10device_ptrIlEEjNS1_19radix_merge_compareILb0ELb0EfNS0_19identity_decomposerEEEEE10hipError_tT0_T1_T2_jT3_P12ihipStream_tbPNSt15iterator_traitsISG_E10value_typeEPNSM_ISH_E10value_typeEPSI_NS1_7vsmem_tEENKUlT_SG_SH_SI_E_clIS7_S7_SB_PlEESF_SV_SG_SH_SI_EUlSV_E0_NS1_11comp_targetILNS1_3genE0ELNS1_11target_archE4294967295ELNS1_3gpuE0ELNS1_3repE0EEENS1_38merge_mergepath_config_static_selectorELNS0_4arch9wavefront6targetE1EEEvSH_,@function
_ZN7rocprim17ROCPRIM_400000_NS6detail17trampoline_kernelINS0_14default_configENS1_38merge_sort_block_merge_config_selectorIflEEZZNS1_27merge_sort_block_merge_implIS3_PfN6thrust23THRUST_200600_302600_NS10device_ptrIlEEjNS1_19radix_merge_compareILb0ELb0EfNS0_19identity_decomposerEEEEE10hipError_tT0_T1_T2_jT3_P12ihipStream_tbPNSt15iterator_traitsISG_E10value_typeEPNSM_ISH_E10value_typeEPSI_NS1_7vsmem_tEENKUlT_SG_SH_SI_E_clIS7_S7_SB_PlEESF_SV_SG_SH_SI_EUlSV_E0_NS1_11comp_targetILNS1_3genE0ELNS1_11target_archE4294967295ELNS1_3gpuE0ELNS1_3repE0EEENS1_38merge_mergepath_config_static_selectorELNS0_4arch9wavefront6targetE1EEEvSH_: ; @_ZN7rocprim17ROCPRIM_400000_NS6detail17trampoline_kernelINS0_14default_configENS1_38merge_sort_block_merge_config_selectorIflEEZZNS1_27merge_sort_block_merge_implIS3_PfN6thrust23THRUST_200600_302600_NS10device_ptrIlEEjNS1_19radix_merge_compareILb0ELb0EfNS0_19identity_decomposerEEEEE10hipError_tT0_T1_T2_jT3_P12ihipStream_tbPNSt15iterator_traitsISG_E10value_typeEPNSM_ISH_E10value_typeEPSI_NS1_7vsmem_tEENKUlT_SG_SH_SI_E_clIS7_S7_SB_PlEESF_SV_SG_SH_SI_EUlSV_E0_NS1_11comp_targetILNS1_3genE0ELNS1_11target_archE4294967295ELNS1_3gpuE0ELNS1_3repE0EEENS1_38merge_mergepath_config_static_selectorELNS0_4arch9wavefront6targetE1EEEvSH_
; %bb.0:
	.section	.rodata,"a",@progbits
	.p2align	6, 0x0
	.amdhsa_kernel _ZN7rocprim17ROCPRIM_400000_NS6detail17trampoline_kernelINS0_14default_configENS1_38merge_sort_block_merge_config_selectorIflEEZZNS1_27merge_sort_block_merge_implIS3_PfN6thrust23THRUST_200600_302600_NS10device_ptrIlEEjNS1_19radix_merge_compareILb0ELb0EfNS0_19identity_decomposerEEEEE10hipError_tT0_T1_T2_jT3_P12ihipStream_tbPNSt15iterator_traitsISG_E10value_typeEPNSM_ISH_E10value_typeEPSI_NS1_7vsmem_tEENKUlT_SG_SH_SI_E_clIS7_S7_SB_PlEESF_SV_SG_SH_SI_EUlSV_E0_NS1_11comp_targetILNS1_3genE0ELNS1_11target_archE4294967295ELNS1_3gpuE0ELNS1_3repE0EEENS1_38merge_mergepath_config_static_selectorELNS0_4arch9wavefront6targetE1EEEvSH_
		.amdhsa_group_segment_fixed_size 0
		.amdhsa_private_segment_fixed_size 0
		.amdhsa_kernarg_size 64
		.amdhsa_user_sgpr_count 6
		.amdhsa_user_sgpr_private_segment_buffer 1
		.amdhsa_user_sgpr_dispatch_ptr 0
		.amdhsa_user_sgpr_queue_ptr 0
		.amdhsa_user_sgpr_kernarg_segment_ptr 1
		.amdhsa_user_sgpr_dispatch_id 0
		.amdhsa_user_sgpr_flat_scratch_init 0
		.amdhsa_user_sgpr_kernarg_preload_length 0
		.amdhsa_user_sgpr_kernarg_preload_offset 0
		.amdhsa_user_sgpr_private_segment_size 0
		.amdhsa_uses_dynamic_stack 0
		.amdhsa_system_sgpr_private_segment_wavefront_offset 0
		.amdhsa_system_sgpr_workgroup_id_x 1
		.amdhsa_system_sgpr_workgroup_id_y 0
		.amdhsa_system_sgpr_workgroup_id_z 0
		.amdhsa_system_sgpr_workgroup_info 0
		.amdhsa_system_vgpr_workitem_id 0
		.amdhsa_next_free_vgpr 1
		.amdhsa_next_free_sgpr 0
		.amdhsa_accum_offset 4
		.amdhsa_reserve_vcc 0
		.amdhsa_reserve_flat_scratch 0
		.amdhsa_float_round_mode_32 0
		.amdhsa_float_round_mode_16_64 0
		.amdhsa_float_denorm_mode_32 3
		.amdhsa_float_denorm_mode_16_64 3
		.amdhsa_dx10_clamp 1
		.amdhsa_ieee_mode 1
		.amdhsa_fp16_overflow 0
		.amdhsa_tg_split 0
		.amdhsa_exception_fp_ieee_invalid_op 0
		.amdhsa_exception_fp_denorm_src 0
		.amdhsa_exception_fp_ieee_div_zero 0
		.amdhsa_exception_fp_ieee_overflow 0
		.amdhsa_exception_fp_ieee_underflow 0
		.amdhsa_exception_fp_ieee_inexact 0
		.amdhsa_exception_int_div_zero 0
	.end_amdhsa_kernel
	.section	.text._ZN7rocprim17ROCPRIM_400000_NS6detail17trampoline_kernelINS0_14default_configENS1_38merge_sort_block_merge_config_selectorIflEEZZNS1_27merge_sort_block_merge_implIS3_PfN6thrust23THRUST_200600_302600_NS10device_ptrIlEEjNS1_19radix_merge_compareILb0ELb0EfNS0_19identity_decomposerEEEEE10hipError_tT0_T1_T2_jT3_P12ihipStream_tbPNSt15iterator_traitsISG_E10value_typeEPNSM_ISH_E10value_typeEPSI_NS1_7vsmem_tEENKUlT_SG_SH_SI_E_clIS7_S7_SB_PlEESF_SV_SG_SH_SI_EUlSV_E0_NS1_11comp_targetILNS1_3genE0ELNS1_11target_archE4294967295ELNS1_3gpuE0ELNS1_3repE0EEENS1_38merge_mergepath_config_static_selectorELNS0_4arch9wavefront6targetE1EEEvSH_,"axG",@progbits,_ZN7rocprim17ROCPRIM_400000_NS6detail17trampoline_kernelINS0_14default_configENS1_38merge_sort_block_merge_config_selectorIflEEZZNS1_27merge_sort_block_merge_implIS3_PfN6thrust23THRUST_200600_302600_NS10device_ptrIlEEjNS1_19radix_merge_compareILb0ELb0EfNS0_19identity_decomposerEEEEE10hipError_tT0_T1_T2_jT3_P12ihipStream_tbPNSt15iterator_traitsISG_E10value_typeEPNSM_ISH_E10value_typeEPSI_NS1_7vsmem_tEENKUlT_SG_SH_SI_E_clIS7_S7_SB_PlEESF_SV_SG_SH_SI_EUlSV_E0_NS1_11comp_targetILNS1_3genE0ELNS1_11target_archE4294967295ELNS1_3gpuE0ELNS1_3repE0EEENS1_38merge_mergepath_config_static_selectorELNS0_4arch9wavefront6targetE1EEEvSH_,comdat
.Lfunc_end1792:
	.size	_ZN7rocprim17ROCPRIM_400000_NS6detail17trampoline_kernelINS0_14default_configENS1_38merge_sort_block_merge_config_selectorIflEEZZNS1_27merge_sort_block_merge_implIS3_PfN6thrust23THRUST_200600_302600_NS10device_ptrIlEEjNS1_19radix_merge_compareILb0ELb0EfNS0_19identity_decomposerEEEEE10hipError_tT0_T1_T2_jT3_P12ihipStream_tbPNSt15iterator_traitsISG_E10value_typeEPNSM_ISH_E10value_typeEPSI_NS1_7vsmem_tEENKUlT_SG_SH_SI_E_clIS7_S7_SB_PlEESF_SV_SG_SH_SI_EUlSV_E0_NS1_11comp_targetILNS1_3genE0ELNS1_11target_archE4294967295ELNS1_3gpuE0ELNS1_3repE0EEENS1_38merge_mergepath_config_static_selectorELNS0_4arch9wavefront6targetE1EEEvSH_, .Lfunc_end1792-_ZN7rocprim17ROCPRIM_400000_NS6detail17trampoline_kernelINS0_14default_configENS1_38merge_sort_block_merge_config_selectorIflEEZZNS1_27merge_sort_block_merge_implIS3_PfN6thrust23THRUST_200600_302600_NS10device_ptrIlEEjNS1_19radix_merge_compareILb0ELb0EfNS0_19identity_decomposerEEEEE10hipError_tT0_T1_T2_jT3_P12ihipStream_tbPNSt15iterator_traitsISG_E10value_typeEPNSM_ISH_E10value_typeEPSI_NS1_7vsmem_tEENKUlT_SG_SH_SI_E_clIS7_S7_SB_PlEESF_SV_SG_SH_SI_EUlSV_E0_NS1_11comp_targetILNS1_3genE0ELNS1_11target_archE4294967295ELNS1_3gpuE0ELNS1_3repE0EEENS1_38merge_mergepath_config_static_selectorELNS0_4arch9wavefront6targetE1EEEvSH_
                                        ; -- End function
	.section	.AMDGPU.csdata,"",@progbits
; Kernel info:
; codeLenInByte = 0
; NumSgprs: 4
; NumVgprs: 0
; NumAgprs: 0
; TotalNumVgprs: 0
; ScratchSize: 0
; MemoryBound: 0
; FloatMode: 240
; IeeeMode: 1
; LDSByteSize: 0 bytes/workgroup (compile time only)
; SGPRBlocks: 0
; VGPRBlocks: 0
; NumSGPRsForWavesPerEU: 4
; NumVGPRsForWavesPerEU: 1
; AccumOffset: 4
; Occupancy: 8
; WaveLimiterHint : 0
; COMPUTE_PGM_RSRC2:SCRATCH_EN: 0
; COMPUTE_PGM_RSRC2:USER_SGPR: 6
; COMPUTE_PGM_RSRC2:TRAP_HANDLER: 0
; COMPUTE_PGM_RSRC2:TGID_X_EN: 1
; COMPUTE_PGM_RSRC2:TGID_Y_EN: 0
; COMPUTE_PGM_RSRC2:TGID_Z_EN: 0
; COMPUTE_PGM_RSRC2:TIDIG_COMP_CNT: 0
; COMPUTE_PGM_RSRC3_GFX90A:ACCUM_OFFSET: 0
; COMPUTE_PGM_RSRC3_GFX90A:TG_SPLIT: 0
	.section	.text._ZN7rocprim17ROCPRIM_400000_NS6detail17trampoline_kernelINS0_14default_configENS1_38merge_sort_block_merge_config_selectorIflEEZZNS1_27merge_sort_block_merge_implIS3_PfN6thrust23THRUST_200600_302600_NS10device_ptrIlEEjNS1_19radix_merge_compareILb0ELb0EfNS0_19identity_decomposerEEEEE10hipError_tT0_T1_T2_jT3_P12ihipStream_tbPNSt15iterator_traitsISG_E10value_typeEPNSM_ISH_E10value_typeEPSI_NS1_7vsmem_tEENKUlT_SG_SH_SI_E_clIS7_S7_SB_PlEESF_SV_SG_SH_SI_EUlSV_E0_NS1_11comp_targetILNS1_3genE10ELNS1_11target_archE1201ELNS1_3gpuE5ELNS1_3repE0EEENS1_38merge_mergepath_config_static_selectorELNS0_4arch9wavefront6targetE1EEEvSH_,"axG",@progbits,_ZN7rocprim17ROCPRIM_400000_NS6detail17trampoline_kernelINS0_14default_configENS1_38merge_sort_block_merge_config_selectorIflEEZZNS1_27merge_sort_block_merge_implIS3_PfN6thrust23THRUST_200600_302600_NS10device_ptrIlEEjNS1_19radix_merge_compareILb0ELb0EfNS0_19identity_decomposerEEEEE10hipError_tT0_T1_T2_jT3_P12ihipStream_tbPNSt15iterator_traitsISG_E10value_typeEPNSM_ISH_E10value_typeEPSI_NS1_7vsmem_tEENKUlT_SG_SH_SI_E_clIS7_S7_SB_PlEESF_SV_SG_SH_SI_EUlSV_E0_NS1_11comp_targetILNS1_3genE10ELNS1_11target_archE1201ELNS1_3gpuE5ELNS1_3repE0EEENS1_38merge_mergepath_config_static_selectorELNS0_4arch9wavefront6targetE1EEEvSH_,comdat
	.protected	_ZN7rocprim17ROCPRIM_400000_NS6detail17trampoline_kernelINS0_14default_configENS1_38merge_sort_block_merge_config_selectorIflEEZZNS1_27merge_sort_block_merge_implIS3_PfN6thrust23THRUST_200600_302600_NS10device_ptrIlEEjNS1_19radix_merge_compareILb0ELb0EfNS0_19identity_decomposerEEEEE10hipError_tT0_T1_T2_jT3_P12ihipStream_tbPNSt15iterator_traitsISG_E10value_typeEPNSM_ISH_E10value_typeEPSI_NS1_7vsmem_tEENKUlT_SG_SH_SI_E_clIS7_S7_SB_PlEESF_SV_SG_SH_SI_EUlSV_E0_NS1_11comp_targetILNS1_3genE10ELNS1_11target_archE1201ELNS1_3gpuE5ELNS1_3repE0EEENS1_38merge_mergepath_config_static_selectorELNS0_4arch9wavefront6targetE1EEEvSH_ ; -- Begin function _ZN7rocprim17ROCPRIM_400000_NS6detail17trampoline_kernelINS0_14default_configENS1_38merge_sort_block_merge_config_selectorIflEEZZNS1_27merge_sort_block_merge_implIS3_PfN6thrust23THRUST_200600_302600_NS10device_ptrIlEEjNS1_19radix_merge_compareILb0ELb0EfNS0_19identity_decomposerEEEEE10hipError_tT0_T1_T2_jT3_P12ihipStream_tbPNSt15iterator_traitsISG_E10value_typeEPNSM_ISH_E10value_typeEPSI_NS1_7vsmem_tEENKUlT_SG_SH_SI_E_clIS7_S7_SB_PlEESF_SV_SG_SH_SI_EUlSV_E0_NS1_11comp_targetILNS1_3genE10ELNS1_11target_archE1201ELNS1_3gpuE5ELNS1_3repE0EEENS1_38merge_mergepath_config_static_selectorELNS0_4arch9wavefront6targetE1EEEvSH_
	.globl	_ZN7rocprim17ROCPRIM_400000_NS6detail17trampoline_kernelINS0_14default_configENS1_38merge_sort_block_merge_config_selectorIflEEZZNS1_27merge_sort_block_merge_implIS3_PfN6thrust23THRUST_200600_302600_NS10device_ptrIlEEjNS1_19radix_merge_compareILb0ELb0EfNS0_19identity_decomposerEEEEE10hipError_tT0_T1_T2_jT3_P12ihipStream_tbPNSt15iterator_traitsISG_E10value_typeEPNSM_ISH_E10value_typeEPSI_NS1_7vsmem_tEENKUlT_SG_SH_SI_E_clIS7_S7_SB_PlEESF_SV_SG_SH_SI_EUlSV_E0_NS1_11comp_targetILNS1_3genE10ELNS1_11target_archE1201ELNS1_3gpuE5ELNS1_3repE0EEENS1_38merge_mergepath_config_static_selectorELNS0_4arch9wavefront6targetE1EEEvSH_
	.p2align	8
	.type	_ZN7rocprim17ROCPRIM_400000_NS6detail17trampoline_kernelINS0_14default_configENS1_38merge_sort_block_merge_config_selectorIflEEZZNS1_27merge_sort_block_merge_implIS3_PfN6thrust23THRUST_200600_302600_NS10device_ptrIlEEjNS1_19radix_merge_compareILb0ELb0EfNS0_19identity_decomposerEEEEE10hipError_tT0_T1_T2_jT3_P12ihipStream_tbPNSt15iterator_traitsISG_E10value_typeEPNSM_ISH_E10value_typeEPSI_NS1_7vsmem_tEENKUlT_SG_SH_SI_E_clIS7_S7_SB_PlEESF_SV_SG_SH_SI_EUlSV_E0_NS1_11comp_targetILNS1_3genE10ELNS1_11target_archE1201ELNS1_3gpuE5ELNS1_3repE0EEENS1_38merge_mergepath_config_static_selectorELNS0_4arch9wavefront6targetE1EEEvSH_,@function
_ZN7rocprim17ROCPRIM_400000_NS6detail17trampoline_kernelINS0_14default_configENS1_38merge_sort_block_merge_config_selectorIflEEZZNS1_27merge_sort_block_merge_implIS3_PfN6thrust23THRUST_200600_302600_NS10device_ptrIlEEjNS1_19radix_merge_compareILb0ELb0EfNS0_19identity_decomposerEEEEE10hipError_tT0_T1_T2_jT3_P12ihipStream_tbPNSt15iterator_traitsISG_E10value_typeEPNSM_ISH_E10value_typeEPSI_NS1_7vsmem_tEENKUlT_SG_SH_SI_E_clIS7_S7_SB_PlEESF_SV_SG_SH_SI_EUlSV_E0_NS1_11comp_targetILNS1_3genE10ELNS1_11target_archE1201ELNS1_3gpuE5ELNS1_3repE0EEENS1_38merge_mergepath_config_static_selectorELNS0_4arch9wavefront6targetE1EEEvSH_: ; @_ZN7rocprim17ROCPRIM_400000_NS6detail17trampoline_kernelINS0_14default_configENS1_38merge_sort_block_merge_config_selectorIflEEZZNS1_27merge_sort_block_merge_implIS3_PfN6thrust23THRUST_200600_302600_NS10device_ptrIlEEjNS1_19radix_merge_compareILb0ELb0EfNS0_19identity_decomposerEEEEE10hipError_tT0_T1_T2_jT3_P12ihipStream_tbPNSt15iterator_traitsISG_E10value_typeEPNSM_ISH_E10value_typeEPSI_NS1_7vsmem_tEENKUlT_SG_SH_SI_E_clIS7_S7_SB_PlEESF_SV_SG_SH_SI_EUlSV_E0_NS1_11comp_targetILNS1_3genE10ELNS1_11target_archE1201ELNS1_3gpuE5ELNS1_3repE0EEENS1_38merge_mergepath_config_static_selectorELNS0_4arch9wavefront6targetE1EEEvSH_
; %bb.0:
	.section	.rodata,"a",@progbits
	.p2align	6, 0x0
	.amdhsa_kernel _ZN7rocprim17ROCPRIM_400000_NS6detail17trampoline_kernelINS0_14default_configENS1_38merge_sort_block_merge_config_selectorIflEEZZNS1_27merge_sort_block_merge_implIS3_PfN6thrust23THRUST_200600_302600_NS10device_ptrIlEEjNS1_19radix_merge_compareILb0ELb0EfNS0_19identity_decomposerEEEEE10hipError_tT0_T1_T2_jT3_P12ihipStream_tbPNSt15iterator_traitsISG_E10value_typeEPNSM_ISH_E10value_typeEPSI_NS1_7vsmem_tEENKUlT_SG_SH_SI_E_clIS7_S7_SB_PlEESF_SV_SG_SH_SI_EUlSV_E0_NS1_11comp_targetILNS1_3genE10ELNS1_11target_archE1201ELNS1_3gpuE5ELNS1_3repE0EEENS1_38merge_mergepath_config_static_selectorELNS0_4arch9wavefront6targetE1EEEvSH_
		.amdhsa_group_segment_fixed_size 0
		.amdhsa_private_segment_fixed_size 0
		.amdhsa_kernarg_size 64
		.amdhsa_user_sgpr_count 6
		.amdhsa_user_sgpr_private_segment_buffer 1
		.amdhsa_user_sgpr_dispatch_ptr 0
		.amdhsa_user_sgpr_queue_ptr 0
		.amdhsa_user_sgpr_kernarg_segment_ptr 1
		.amdhsa_user_sgpr_dispatch_id 0
		.amdhsa_user_sgpr_flat_scratch_init 0
		.amdhsa_user_sgpr_kernarg_preload_length 0
		.amdhsa_user_sgpr_kernarg_preload_offset 0
		.amdhsa_user_sgpr_private_segment_size 0
		.amdhsa_uses_dynamic_stack 0
		.amdhsa_system_sgpr_private_segment_wavefront_offset 0
		.amdhsa_system_sgpr_workgroup_id_x 1
		.amdhsa_system_sgpr_workgroup_id_y 0
		.amdhsa_system_sgpr_workgroup_id_z 0
		.amdhsa_system_sgpr_workgroup_info 0
		.amdhsa_system_vgpr_workitem_id 0
		.amdhsa_next_free_vgpr 1
		.amdhsa_next_free_sgpr 0
		.amdhsa_accum_offset 4
		.amdhsa_reserve_vcc 0
		.amdhsa_reserve_flat_scratch 0
		.amdhsa_float_round_mode_32 0
		.amdhsa_float_round_mode_16_64 0
		.amdhsa_float_denorm_mode_32 3
		.amdhsa_float_denorm_mode_16_64 3
		.amdhsa_dx10_clamp 1
		.amdhsa_ieee_mode 1
		.amdhsa_fp16_overflow 0
		.amdhsa_tg_split 0
		.amdhsa_exception_fp_ieee_invalid_op 0
		.amdhsa_exception_fp_denorm_src 0
		.amdhsa_exception_fp_ieee_div_zero 0
		.amdhsa_exception_fp_ieee_overflow 0
		.amdhsa_exception_fp_ieee_underflow 0
		.amdhsa_exception_fp_ieee_inexact 0
		.amdhsa_exception_int_div_zero 0
	.end_amdhsa_kernel
	.section	.text._ZN7rocprim17ROCPRIM_400000_NS6detail17trampoline_kernelINS0_14default_configENS1_38merge_sort_block_merge_config_selectorIflEEZZNS1_27merge_sort_block_merge_implIS3_PfN6thrust23THRUST_200600_302600_NS10device_ptrIlEEjNS1_19radix_merge_compareILb0ELb0EfNS0_19identity_decomposerEEEEE10hipError_tT0_T1_T2_jT3_P12ihipStream_tbPNSt15iterator_traitsISG_E10value_typeEPNSM_ISH_E10value_typeEPSI_NS1_7vsmem_tEENKUlT_SG_SH_SI_E_clIS7_S7_SB_PlEESF_SV_SG_SH_SI_EUlSV_E0_NS1_11comp_targetILNS1_3genE10ELNS1_11target_archE1201ELNS1_3gpuE5ELNS1_3repE0EEENS1_38merge_mergepath_config_static_selectorELNS0_4arch9wavefront6targetE1EEEvSH_,"axG",@progbits,_ZN7rocprim17ROCPRIM_400000_NS6detail17trampoline_kernelINS0_14default_configENS1_38merge_sort_block_merge_config_selectorIflEEZZNS1_27merge_sort_block_merge_implIS3_PfN6thrust23THRUST_200600_302600_NS10device_ptrIlEEjNS1_19radix_merge_compareILb0ELb0EfNS0_19identity_decomposerEEEEE10hipError_tT0_T1_T2_jT3_P12ihipStream_tbPNSt15iterator_traitsISG_E10value_typeEPNSM_ISH_E10value_typeEPSI_NS1_7vsmem_tEENKUlT_SG_SH_SI_E_clIS7_S7_SB_PlEESF_SV_SG_SH_SI_EUlSV_E0_NS1_11comp_targetILNS1_3genE10ELNS1_11target_archE1201ELNS1_3gpuE5ELNS1_3repE0EEENS1_38merge_mergepath_config_static_selectorELNS0_4arch9wavefront6targetE1EEEvSH_,comdat
.Lfunc_end1793:
	.size	_ZN7rocprim17ROCPRIM_400000_NS6detail17trampoline_kernelINS0_14default_configENS1_38merge_sort_block_merge_config_selectorIflEEZZNS1_27merge_sort_block_merge_implIS3_PfN6thrust23THRUST_200600_302600_NS10device_ptrIlEEjNS1_19radix_merge_compareILb0ELb0EfNS0_19identity_decomposerEEEEE10hipError_tT0_T1_T2_jT3_P12ihipStream_tbPNSt15iterator_traitsISG_E10value_typeEPNSM_ISH_E10value_typeEPSI_NS1_7vsmem_tEENKUlT_SG_SH_SI_E_clIS7_S7_SB_PlEESF_SV_SG_SH_SI_EUlSV_E0_NS1_11comp_targetILNS1_3genE10ELNS1_11target_archE1201ELNS1_3gpuE5ELNS1_3repE0EEENS1_38merge_mergepath_config_static_selectorELNS0_4arch9wavefront6targetE1EEEvSH_, .Lfunc_end1793-_ZN7rocprim17ROCPRIM_400000_NS6detail17trampoline_kernelINS0_14default_configENS1_38merge_sort_block_merge_config_selectorIflEEZZNS1_27merge_sort_block_merge_implIS3_PfN6thrust23THRUST_200600_302600_NS10device_ptrIlEEjNS1_19radix_merge_compareILb0ELb0EfNS0_19identity_decomposerEEEEE10hipError_tT0_T1_T2_jT3_P12ihipStream_tbPNSt15iterator_traitsISG_E10value_typeEPNSM_ISH_E10value_typeEPSI_NS1_7vsmem_tEENKUlT_SG_SH_SI_E_clIS7_S7_SB_PlEESF_SV_SG_SH_SI_EUlSV_E0_NS1_11comp_targetILNS1_3genE10ELNS1_11target_archE1201ELNS1_3gpuE5ELNS1_3repE0EEENS1_38merge_mergepath_config_static_selectorELNS0_4arch9wavefront6targetE1EEEvSH_
                                        ; -- End function
	.section	.AMDGPU.csdata,"",@progbits
; Kernel info:
; codeLenInByte = 0
; NumSgprs: 4
; NumVgprs: 0
; NumAgprs: 0
; TotalNumVgprs: 0
; ScratchSize: 0
; MemoryBound: 0
; FloatMode: 240
; IeeeMode: 1
; LDSByteSize: 0 bytes/workgroup (compile time only)
; SGPRBlocks: 0
; VGPRBlocks: 0
; NumSGPRsForWavesPerEU: 4
; NumVGPRsForWavesPerEU: 1
; AccumOffset: 4
; Occupancy: 8
; WaveLimiterHint : 0
; COMPUTE_PGM_RSRC2:SCRATCH_EN: 0
; COMPUTE_PGM_RSRC2:USER_SGPR: 6
; COMPUTE_PGM_RSRC2:TRAP_HANDLER: 0
; COMPUTE_PGM_RSRC2:TGID_X_EN: 1
; COMPUTE_PGM_RSRC2:TGID_Y_EN: 0
; COMPUTE_PGM_RSRC2:TGID_Z_EN: 0
; COMPUTE_PGM_RSRC2:TIDIG_COMP_CNT: 0
; COMPUTE_PGM_RSRC3_GFX90A:ACCUM_OFFSET: 0
; COMPUTE_PGM_RSRC3_GFX90A:TG_SPLIT: 0
	.section	.text._ZN7rocprim17ROCPRIM_400000_NS6detail17trampoline_kernelINS0_14default_configENS1_38merge_sort_block_merge_config_selectorIflEEZZNS1_27merge_sort_block_merge_implIS3_PfN6thrust23THRUST_200600_302600_NS10device_ptrIlEEjNS1_19radix_merge_compareILb0ELb0EfNS0_19identity_decomposerEEEEE10hipError_tT0_T1_T2_jT3_P12ihipStream_tbPNSt15iterator_traitsISG_E10value_typeEPNSM_ISH_E10value_typeEPSI_NS1_7vsmem_tEENKUlT_SG_SH_SI_E_clIS7_S7_SB_PlEESF_SV_SG_SH_SI_EUlSV_E0_NS1_11comp_targetILNS1_3genE5ELNS1_11target_archE942ELNS1_3gpuE9ELNS1_3repE0EEENS1_38merge_mergepath_config_static_selectorELNS0_4arch9wavefront6targetE1EEEvSH_,"axG",@progbits,_ZN7rocprim17ROCPRIM_400000_NS6detail17trampoline_kernelINS0_14default_configENS1_38merge_sort_block_merge_config_selectorIflEEZZNS1_27merge_sort_block_merge_implIS3_PfN6thrust23THRUST_200600_302600_NS10device_ptrIlEEjNS1_19radix_merge_compareILb0ELb0EfNS0_19identity_decomposerEEEEE10hipError_tT0_T1_T2_jT3_P12ihipStream_tbPNSt15iterator_traitsISG_E10value_typeEPNSM_ISH_E10value_typeEPSI_NS1_7vsmem_tEENKUlT_SG_SH_SI_E_clIS7_S7_SB_PlEESF_SV_SG_SH_SI_EUlSV_E0_NS1_11comp_targetILNS1_3genE5ELNS1_11target_archE942ELNS1_3gpuE9ELNS1_3repE0EEENS1_38merge_mergepath_config_static_selectorELNS0_4arch9wavefront6targetE1EEEvSH_,comdat
	.protected	_ZN7rocprim17ROCPRIM_400000_NS6detail17trampoline_kernelINS0_14default_configENS1_38merge_sort_block_merge_config_selectorIflEEZZNS1_27merge_sort_block_merge_implIS3_PfN6thrust23THRUST_200600_302600_NS10device_ptrIlEEjNS1_19radix_merge_compareILb0ELb0EfNS0_19identity_decomposerEEEEE10hipError_tT0_T1_T2_jT3_P12ihipStream_tbPNSt15iterator_traitsISG_E10value_typeEPNSM_ISH_E10value_typeEPSI_NS1_7vsmem_tEENKUlT_SG_SH_SI_E_clIS7_S7_SB_PlEESF_SV_SG_SH_SI_EUlSV_E0_NS1_11comp_targetILNS1_3genE5ELNS1_11target_archE942ELNS1_3gpuE9ELNS1_3repE0EEENS1_38merge_mergepath_config_static_selectorELNS0_4arch9wavefront6targetE1EEEvSH_ ; -- Begin function _ZN7rocprim17ROCPRIM_400000_NS6detail17trampoline_kernelINS0_14default_configENS1_38merge_sort_block_merge_config_selectorIflEEZZNS1_27merge_sort_block_merge_implIS3_PfN6thrust23THRUST_200600_302600_NS10device_ptrIlEEjNS1_19radix_merge_compareILb0ELb0EfNS0_19identity_decomposerEEEEE10hipError_tT0_T1_T2_jT3_P12ihipStream_tbPNSt15iterator_traitsISG_E10value_typeEPNSM_ISH_E10value_typeEPSI_NS1_7vsmem_tEENKUlT_SG_SH_SI_E_clIS7_S7_SB_PlEESF_SV_SG_SH_SI_EUlSV_E0_NS1_11comp_targetILNS1_3genE5ELNS1_11target_archE942ELNS1_3gpuE9ELNS1_3repE0EEENS1_38merge_mergepath_config_static_selectorELNS0_4arch9wavefront6targetE1EEEvSH_
	.globl	_ZN7rocprim17ROCPRIM_400000_NS6detail17trampoline_kernelINS0_14default_configENS1_38merge_sort_block_merge_config_selectorIflEEZZNS1_27merge_sort_block_merge_implIS3_PfN6thrust23THRUST_200600_302600_NS10device_ptrIlEEjNS1_19radix_merge_compareILb0ELb0EfNS0_19identity_decomposerEEEEE10hipError_tT0_T1_T2_jT3_P12ihipStream_tbPNSt15iterator_traitsISG_E10value_typeEPNSM_ISH_E10value_typeEPSI_NS1_7vsmem_tEENKUlT_SG_SH_SI_E_clIS7_S7_SB_PlEESF_SV_SG_SH_SI_EUlSV_E0_NS1_11comp_targetILNS1_3genE5ELNS1_11target_archE942ELNS1_3gpuE9ELNS1_3repE0EEENS1_38merge_mergepath_config_static_selectorELNS0_4arch9wavefront6targetE1EEEvSH_
	.p2align	8
	.type	_ZN7rocprim17ROCPRIM_400000_NS6detail17trampoline_kernelINS0_14default_configENS1_38merge_sort_block_merge_config_selectorIflEEZZNS1_27merge_sort_block_merge_implIS3_PfN6thrust23THRUST_200600_302600_NS10device_ptrIlEEjNS1_19radix_merge_compareILb0ELb0EfNS0_19identity_decomposerEEEEE10hipError_tT0_T1_T2_jT3_P12ihipStream_tbPNSt15iterator_traitsISG_E10value_typeEPNSM_ISH_E10value_typeEPSI_NS1_7vsmem_tEENKUlT_SG_SH_SI_E_clIS7_S7_SB_PlEESF_SV_SG_SH_SI_EUlSV_E0_NS1_11comp_targetILNS1_3genE5ELNS1_11target_archE942ELNS1_3gpuE9ELNS1_3repE0EEENS1_38merge_mergepath_config_static_selectorELNS0_4arch9wavefront6targetE1EEEvSH_,@function
_ZN7rocprim17ROCPRIM_400000_NS6detail17trampoline_kernelINS0_14default_configENS1_38merge_sort_block_merge_config_selectorIflEEZZNS1_27merge_sort_block_merge_implIS3_PfN6thrust23THRUST_200600_302600_NS10device_ptrIlEEjNS1_19radix_merge_compareILb0ELb0EfNS0_19identity_decomposerEEEEE10hipError_tT0_T1_T2_jT3_P12ihipStream_tbPNSt15iterator_traitsISG_E10value_typeEPNSM_ISH_E10value_typeEPSI_NS1_7vsmem_tEENKUlT_SG_SH_SI_E_clIS7_S7_SB_PlEESF_SV_SG_SH_SI_EUlSV_E0_NS1_11comp_targetILNS1_3genE5ELNS1_11target_archE942ELNS1_3gpuE9ELNS1_3repE0EEENS1_38merge_mergepath_config_static_selectorELNS0_4arch9wavefront6targetE1EEEvSH_: ; @_ZN7rocprim17ROCPRIM_400000_NS6detail17trampoline_kernelINS0_14default_configENS1_38merge_sort_block_merge_config_selectorIflEEZZNS1_27merge_sort_block_merge_implIS3_PfN6thrust23THRUST_200600_302600_NS10device_ptrIlEEjNS1_19radix_merge_compareILb0ELb0EfNS0_19identity_decomposerEEEEE10hipError_tT0_T1_T2_jT3_P12ihipStream_tbPNSt15iterator_traitsISG_E10value_typeEPNSM_ISH_E10value_typeEPSI_NS1_7vsmem_tEENKUlT_SG_SH_SI_E_clIS7_S7_SB_PlEESF_SV_SG_SH_SI_EUlSV_E0_NS1_11comp_targetILNS1_3genE5ELNS1_11target_archE942ELNS1_3gpuE9ELNS1_3repE0EEENS1_38merge_mergepath_config_static_selectorELNS0_4arch9wavefront6targetE1EEEvSH_
; %bb.0:
	.section	.rodata,"a",@progbits
	.p2align	6, 0x0
	.amdhsa_kernel _ZN7rocprim17ROCPRIM_400000_NS6detail17trampoline_kernelINS0_14default_configENS1_38merge_sort_block_merge_config_selectorIflEEZZNS1_27merge_sort_block_merge_implIS3_PfN6thrust23THRUST_200600_302600_NS10device_ptrIlEEjNS1_19radix_merge_compareILb0ELb0EfNS0_19identity_decomposerEEEEE10hipError_tT0_T1_T2_jT3_P12ihipStream_tbPNSt15iterator_traitsISG_E10value_typeEPNSM_ISH_E10value_typeEPSI_NS1_7vsmem_tEENKUlT_SG_SH_SI_E_clIS7_S7_SB_PlEESF_SV_SG_SH_SI_EUlSV_E0_NS1_11comp_targetILNS1_3genE5ELNS1_11target_archE942ELNS1_3gpuE9ELNS1_3repE0EEENS1_38merge_mergepath_config_static_selectorELNS0_4arch9wavefront6targetE1EEEvSH_
		.amdhsa_group_segment_fixed_size 0
		.amdhsa_private_segment_fixed_size 0
		.amdhsa_kernarg_size 64
		.amdhsa_user_sgpr_count 6
		.amdhsa_user_sgpr_private_segment_buffer 1
		.amdhsa_user_sgpr_dispatch_ptr 0
		.amdhsa_user_sgpr_queue_ptr 0
		.amdhsa_user_sgpr_kernarg_segment_ptr 1
		.amdhsa_user_sgpr_dispatch_id 0
		.amdhsa_user_sgpr_flat_scratch_init 0
		.amdhsa_user_sgpr_kernarg_preload_length 0
		.amdhsa_user_sgpr_kernarg_preload_offset 0
		.amdhsa_user_sgpr_private_segment_size 0
		.amdhsa_uses_dynamic_stack 0
		.amdhsa_system_sgpr_private_segment_wavefront_offset 0
		.amdhsa_system_sgpr_workgroup_id_x 1
		.amdhsa_system_sgpr_workgroup_id_y 0
		.amdhsa_system_sgpr_workgroup_id_z 0
		.amdhsa_system_sgpr_workgroup_info 0
		.amdhsa_system_vgpr_workitem_id 0
		.amdhsa_next_free_vgpr 1
		.amdhsa_next_free_sgpr 0
		.amdhsa_accum_offset 4
		.amdhsa_reserve_vcc 0
		.amdhsa_reserve_flat_scratch 0
		.amdhsa_float_round_mode_32 0
		.amdhsa_float_round_mode_16_64 0
		.amdhsa_float_denorm_mode_32 3
		.amdhsa_float_denorm_mode_16_64 3
		.amdhsa_dx10_clamp 1
		.amdhsa_ieee_mode 1
		.amdhsa_fp16_overflow 0
		.amdhsa_tg_split 0
		.amdhsa_exception_fp_ieee_invalid_op 0
		.amdhsa_exception_fp_denorm_src 0
		.amdhsa_exception_fp_ieee_div_zero 0
		.amdhsa_exception_fp_ieee_overflow 0
		.amdhsa_exception_fp_ieee_underflow 0
		.amdhsa_exception_fp_ieee_inexact 0
		.amdhsa_exception_int_div_zero 0
	.end_amdhsa_kernel
	.section	.text._ZN7rocprim17ROCPRIM_400000_NS6detail17trampoline_kernelINS0_14default_configENS1_38merge_sort_block_merge_config_selectorIflEEZZNS1_27merge_sort_block_merge_implIS3_PfN6thrust23THRUST_200600_302600_NS10device_ptrIlEEjNS1_19radix_merge_compareILb0ELb0EfNS0_19identity_decomposerEEEEE10hipError_tT0_T1_T2_jT3_P12ihipStream_tbPNSt15iterator_traitsISG_E10value_typeEPNSM_ISH_E10value_typeEPSI_NS1_7vsmem_tEENKUlT_SG_SH_SI_E_clIS7_S7_SB_PlEESF_SV_SG_SH_SI_EUlSV_E0_NS1_11comp_targetILNS1_3genE5ELNS1_11target_archE942ELNS1_3gpuE9ELNS1_3repE0EEENS1_38merge_mergepath_config_static_selectorELNS0_4arch9wavefront6targetE1EEEvSH_,"axG",@progbits,_ZN7rocprim17ROCPRIM_400000_NS6detail17trampoline_kernelINS0_14default_configENS1_38merge_sort_block_merge_config_selectorIflEEZZNS1_27merge_sort_block_merge_implIS3_PfN6thrust23THRUST_200600_302600_NS10device_ptrIlEEjNS1_19radix_merge_compareILb0ELb0EfNS0_19identity_decomposerEEEEE10hipError_tT0_T1_T2_jT3_P12ihipStream_tbPNSt15iterator_traitsISG_E10value_typeEPNSM_ISH_E10value_typeEPSI_NS1_7vsmem_tEENKUlT_SG_SH_SI_E_clIS7_S7_SB_PlEESF_SV_SG_SH_SI_EUlSV_E0_NS1_11comp_targetILNS1_3genE5ELNS1_11target_archE942ELNS1_3gpuE9ELNS1_3repE0EEENS1_38merge_mergepath_config_static_selectorELNS0_4arch9wavefront6targetE1EEEvSH_,comdat
.Lfunc_end1794:
	.size	_ZN7rocprim17ROCPRIM_400000_NS6detail17trampoline_kernelINS0_14default_configENS1_38merge_sort_block_merge_config_selectorIflEEZZNS1_27merge_sort_block_merge_implIS3_PfN6thrust23THRUST_200600_302600_NS10device_ptrIlEEjNS1_19radix_merge_compareILb0ELb0EfNS0_19identity_decomposerEEEEE10hipError_tT0_T1_T2_jT3_P12ihipStream_tbPNSt15iterator_traitsISG_E10value_typeEPNSM_ISH_E10value_typeEPSI_NS1_7vsmem_tEENKUlT_SG_SH_SI_E_clIS7_S7_SB_PlEESF_SV_SG_SH_SI_EUlSV_E0_NS1_11comp_targetILNS1_3genE5ELNS1_11target_archE942ELNS1_3gpuE9ELNS1_3repE0EEENS1_38merge_mergepath_config_static_selectorELNS0_4arch9wavefront6targetE1EEEvSH_, .Lfunc_end1794-_ZN7rocprim17ROCPRIM_400000_NS6detail17trampoline_kernelINS0_14default_configENS1_38merge_sort_block_merge_config_selectorIflEEZZNS1_27merge_sort_block_merge_implIS3_PfN6thrust23THRUST_200600_302600_NS10device_ptrIlEEjNS1_19radix_merge_compareILb0ELb0EfNS0_19identity_decomposerEEEEE10hipError_tT0_T1_T2_jT3_P12ihipStream_tbPNSt15iterator_traitsISG_E10value_typeEPNSM_ISH_E10value_typeEPSI_NS1_7vsmem_tEENKUlT_SG_SH_SI_E_clIS7_S7_SB_PlEESF_SV_SG_SH_SI_EUlSV_E0_NS1_11comp_targetILNS1_3genE5ELNS1_11target_archE942ELNS1_3gpuE9ELNS1_3repE0EEENS1_38merge_mergepath_config_static_selectorELNS0_4arch9wavefront6targetE1EEEvSH_
                                        ; -- End function
	.section	.AMDGPU.csdata,"",@progbits
; Kernel info:
; codeLenInByte = 0
; NumSgprs: 4
; NumVgprs: 0
; NumAgprs: 0
; TotalNumVgprs: 0
; ScratchSize: 0
; MemoryBound: 0
; FloatMode: 240
; IeeeMode: 1
; LDSByteSize: 0 bytes/workgroup (compile time only)
; SGPRBlocks: 0
; VGPRBlocks: 0
; NumSGPRsForWavesPerEU: 4
; NumVGPRsForWavesPerEU: 1
; AccumOffset: 4
; Occupancy: 8
; WaveLimiterHint : 0
; COMPUTE_PGM_RSRC2:SCRATCH_EN: 0
; COMPUTE_PGM_RSRC2:USER_SGPR: 6
; COMPUTE_PGM_RSRC2:TRAP_HANDLER: 0
; COMPUTE_PGM_RSRC2:TGID_X_EN: 1
; COMPUTE_PGM_RSRC2:TGID_Y_EN: 0
; COMPUTE_PGM_RSRC2:TGID_Z_EN: 0
; COMPUTE_PGM_RSRC2:TIDIG_COMP_CNT: 0
; COMPUTE_PGM_RSRC3_GFX90A:ACCUM_OFFSET: 0
; COMPUTE_PGM_RSRC3_GFX90A:TG_SPLIT: 0
	.section	.text._ZN7rocprim17ROCPRIM_400000_NS6detail17trampoline_kernelINS0_14default_configENS1_38merge_sort_block_merge_config_selectorIflEEZZNS1_27merge_sort_block_merge_implIS3_PfN6thrust23THRUST_200600_302600_NS10device_ptrIlEEjNS1_19radix_merge_compareILb0ELb0EfNS0_19identity_decomposerEEEEE10hipError_tT0_T1_T2_jT3_P12ihipStream_tbPNSt15iterator_traitsISG_E10value_typeEPNSM_ISH_E10value_typeEPSI_NS1_7vsmem_tEENKUlT_SG_SH_SI_E_clIS7_S7_SB_PlEESF_SV_SG_SH_SI_EUlSV_E0_NS1_11comp_targetILNS1_3genE4ELNS1_11target_archE910ELNS1_3gpuE8ELNS1_3repE0EEENS1_38merge_mergepath_config_static_selectorELNS0_4arch9wavefront6targetE1EEEvSH_,"axG",@progbits,_ZN7rocprim17ROCPRIM_400000_NS6detail17trampoline_kernelINS0_14default_configENS1_38merge_sort_block_merge_config_selectorIflEEZZNS1_27merge_sort_block_merge_implIS3_PfN6thrust23THRUST_200600_302600_NS10device_ptrIlEEjNS1_19radix_merge_compareILb0ELb0EfNS0_19identity_decomposerEEEEE10hipError_tT0_T1_T2_jT3_P12ihipStream_tbPNSt15iterator_traitsISG_E10value_typeEPNSM_ISH_E10value_typeEPSI_NS1_7vsmem_tEENKUlT_SG_SH_SI_E_clIS7_S7_SB_PlEESF_SV_SG_SH_SI_EUlSV_E0_NS1_11comp_targetILNS1_3genE4ELNS1_11target_archE910ELNS1_3gpuE8ELNS1_3repE0EEENS1_38merge_mergepath_config_static_selectorELNS0_4arch9wavefront6targetE1EEEvSH_,comdat
	.protected	_ZN7rocprim17ROCPRIM_400000_NS6detail17trampoline_kernelINS0_14default_configENS1_38merge_sort_block_merge_config_selectorIflEEZZNS1_27merge_sort_block_merge_implIS3_PfN6thrust23THRUST_200600_302600_NS10device_ptrIlEEjNS1_19radix_merge_compareILb0ELb0EfNS0_19identity_decomposerEEEEE10hipError_tT0_T1_T2_jT3_P12ihipStream_tbPNSt15iterator_traitsISG_E10value_typeEPNSM_ISH_E10value_typeEPSI_NS1_7vsmem_tEENKUlT_SG_SH_SI_E_clIS7_S7_SB_PlEESF_SV_SG_SH_SI_EUlSV_E0_NS1_11comp_targetILNS1_3genE4ELNS1_11target_archE910ELNS1_3gpuE8ELNS1_3repE0EEENS1_38merge_mergepath_config_static_selectorELNS0_4arch9wavefront6targetE1EEEvSH_ ; -- Begin function _ZN7rocprim17ROCPRIM_400000_NS6detail17trampoline_kernelINS0_14default_configENS1_38merge_sort_block_merge_config_selectorIflEEZZNS1_27merge_sort_block_merge_implIS3_PfN6thrust23THRUST_200600_302600_NS10device_ptrIlEEjNS1_19radix_merge_compareILb0ELb0EfNS0_19identity_decomposerEEEEE10hipError_tT0_T1_T2_jT3_P12ihipStream_tbPNSt15iterator_traitsISG_E10value_typeEPNSM_ISH_E10value_typeEPSI_NS1_7vsmem_tEENKUlT_SG_SH_SI_E_clIS7_S7_SB_PlEESF_SV_SG_SH_SI_EUlSV_E0_NS1_11comp_targetILNS1_3genE4ELNS1_11target_archE910ELNS1_3gpuE8ELNS1_3repE0EEENS1_38merge_mergepath_config_static_selectorELNS0_4arch9wavefront6targetE1EEEvSH_
	.globl	_ZN7rocprim17ROCPRIM_400000_NS6detail17trampoline_kernelINS0_14default_configENS1_38merge_sort_block_merge_config_selectorIflEEZZNS1_27merge_sort_block_merge_implIS3_PfN6thrust23THRUST_200600_302600_NS10device_ptrIlEEjNS1_19radix_merge_compareILb0ELb0EfNS0_19identity_decomposerEEEEE10hipError_tT0_T1_T2_jT3_P12ihipStream_tbPNSt15iterator_traitsISG_E10value_typeEPNSM_ISH_E10value_typeEPSI_NS1_7vsmem_tEENKUlT_SG_SH_SI_E_clIS7_S7_SB_PlEESF_SV_SG_SH_SI_EUlSV_E0_NS1_11comp_targetILNS1_3genE4ELNS1_11target_archE910ELNS1_3gpuE8ELNS1_3repE0EEENS1_38merge_mergepath_config_static_selectorELNS0_4arch9wavefront6targetE1EEEvSH_
	.p2align	8
	.type	_ZN7rocprim17ROCPRIM_400000_NS6detail17trampoline_kernelINS0_14default_configENS1_38merge_sort_block_merge_config_selectorIflEEZZNS1_27merge_sort_block_merge_implIS3_PfN6thrust23THRUST_200600_302600_NS10device_ptrIlEEjNS1_19radix_merge_compareILb0ELb0EfNS0_19identity_decomposerEEEEE10hipError_tT0_T1_T2_jT3_P12ihipStream_tbPNSt15iterator_traitsISG_E10value_typeEPNSM_ISH_E10value_typeEPSI_NS1_7vsmem_tEENKUlT_SG_SH_SI_E_clIS7_S7_SB_PlEESF_SV_SG_SH_SI_EUlSV_E0_NS1_11comp_targetILNS1_3genE4ELNS1_11target_archE910ELNS1_3gpuE8ELNS1_3repE0EEENS1_38merge_mergepath_config_static_selectorELNS0_4arch9wavefront6targetE1EEEvSH_,@function
_ZN7rocprim17ROCPRIM_400000_NS6detail17trampoline_kernelINS0_14default_configENS1_38merge_sort_block_merge_config_selectorIflEEZZNS1_27merge_sort_block_merge_implIS3_PfN6thrust23THRUST_200600_302600_NS10device_ptrIlEEjNS1_19radix_merge_compareILb0ELb0EfNS0_19identity_decomposerEEEEE10hipError_tT0_T1_T2_jT3_P12ihipStream_tbPNSt15iterator_traitsISG_E10value_typeEPNSM_ISH_E10value_typeEPSI_NS1_7vsmem_tEENKUlT_SG_SH_SI_E_clIS7_S7_SB_PlEESF_SV_SG_SH_SI_EUlSV_E0_NS1_11comp_targetILNS1_3genE4ELNS1_11target_archE910ELNS1_3gpuE8ELNS1_3repE0EEENS1_38merge_mergepath_config_static_selectorELNS0_4arch9wavefront6targetE1EEEvSH_: ; @_ZN7rocprim17ROCPRIM_400000_NS6detail17trampoline_kernelINS0_14default_configENS1_38merge_sort_block_merge_config_selectorIflEEZZNS1_27merge_sort_block_merge_implIS3_PfN6thrust23THRUST_200600_302600_NS10device_ptrIlEEjNS1_19radix_merge_compareILb0ELb0EfNS0_19identity_decomposerEEEEE10hipError_tT0_T1_T2_jT3_P12ihipStream_tbPNSt15iterator_traitsISG_E10value_typeEPNSM_ISH_E10value_typeEPSI_NS1_7vsmem_tEENKUlT_SG_SH_SI_E_clIS7_S7_SB_PlEESF_SV_SG_SH_SI_EUlSV_E0_NS1_11comp_targetILNS1_3genE4ELNS1_11target_archE910ELNS1_3gpuE8ELNS1_3repE0EEENS1_38merge_mergepath_config_static_selectorELNS0_4arch9wavefront6targetE1EEEvSH_
; %bb.0:
	s_load_dwordx2 s[22:23], s[4:5], 0x40
	s_load_dword s2, s[4:5], 0x30
	s_add_u32 s0, s4, 64
	s_addc_u32 s1, s5, 0
	s_waitcnt lgkmcnt(0)
	s_mul_i32 s3, s23, s8
	s_add_i32 s3, s3, s7
	s_mul_i32 s3, s3, s22
	s_add_i32 s20, s3, s6
	s_cmp_ge_u32 s20, s2
	s_cbranch_scc1 .LBB1795_62
; %bb.1:
	s_load_dwordx8 s[8:15], s[4:5], 0x10
	s_load_dwordx2 s[26:27], s[4:5], 0x8
	s_load_dwordx2 s[16:17], s[4:5], 0x38
	s_mov_b32 s21, 0
	v_mov_b32_e32 v3, 0
	s_waitcnt lgkmcnt(0)
	s_lshr_b32 s7, s14, 10
	s_cmp_lg_u32 s20, s7
	s_cselect_b64 s[2:3], -1, 0
	s_lshl_b64 s[4:5], s[20:21], 2
	s_add_u32 s4, s16, s4
	s_addc_u32 s5, s17, s5
	s_lshr_b32 s16, s15, 9
	s_and_b32 s16, s16, 0x7ffffe
	s_load_dwordx2 s[4:5], s[4:5], 0x0
	s_sub_i32 s17, 0, s16
	s_and_b32 s18, s20, s17
	s_lshl_b32 s19, s18, 10
	s_lshl_b32 s16, s20, 10
	;; [unrolled: 1-line block ×3, first 2 shown]
	s_sub_i32 s23, s16, s19
	s_add_i32 s24, s18, s15
	s_add_i32 s23, s24, s23
	s_waitcnt lgkmcnt(0)
	s_sub_i32 s18, s23, s4
	s_sub_i32 s23, s23, s5
	;; [unrolled: 1-line block ×3, first 2 shown]
	s_min_u32 s18, s14, s18
	s_addk_i32 s23, 0x400
	s_or_b32 s17, s20, s17
	s_min_u32 s24, s14, s19
	s_add_i32 s19, s19, s15
	s_cmp_eq_u32 s17, -1
	s_cselect_b32 s15, s19, s23
	s_cselect_b32 s5, s24, s5
	s_min_u32 s17, s15, s14
	s_sub_i32 s15, s5, s4
	s_mov_b32 s5, s21
	s_lshl_b64 s[24:25], s[4:5], 2
	s_add_u32 s24, s26, s24
	s_mov_b32 s19, s21
	s_addc_u32 s25, s27, s25
	s_lshl_b64 s[28:29], s[18:19], 2
	s_add_u32 s21, s26, s28
	s_addc_u32 s23, s27, s29
	s_cmp_lt_u32 s6, s22
	s_cselect_b32 s6, 12, 18
	global_load_dword v1, v3, s[0:1] offset:14
	s_add_u32 s0, s0, s6
	s_addc_u32 s1, s1, 0
	global_load_ushort v2, v3, s[0:1]
	s_cmp_eq_u32 s20, s7
	s_waitcnt vmcnt(1)
	v_lshrrev_b32_e32 v4, 16, v1
	v_and_b32_e32 v1, 0xffff, v1
	v_mul_lo_u32 v1, v1, v4
	s_waitcnt vmcnt(0)
	v_mul_lo_u32 v19, v1, v2
	v_add_u32_e32 v16, v19, v0
	v_lshlrev_b32_e32 v1, 2, v0
	v_add_u32_e32 v14, v16, v19
	s_cbranch_scc1 .LBB1795_3
; %bb.2:
	v_mov_b32_e32 v2, s25
	v_add_co_u32_e32 v6, vcc, s24, v1
	v_addc_co_u32_e32 v7, vcc, 0, v2, vcc
	v_subrev_u32_e32 v2, s15, v0
	v_lshlrev_b64 v[4:5], 2, v[2:3]
	v_mov_b32_e32 v2, s23
	v_add_co_u32_e32 v4, vcc, s21, v4
	v_addc_co_u32_e32 v2, vcc, v2, v5, vcc
	v_cmp_gt_u32_e32 vcc, s15, v0
	v_cndmask_b32_e32 v5, v2, v7, vcc
	v_cndmask_b32_e32 v4, v4, v6, vcc
	v_mov_b32_e32 v17, v3
	global_load_dword v10, v[4:5], off
	v_lshlrev_b64 v[4:5], 2, v[16:17]
	v_mov_b32_e32 v2, s25
	v_add_co_u32_e32 v6, vcc, s24, v4
	v_addc_co_u32_e32 v7, vcc, v2, v5, vcc
	v_subrev_u32_e32 v2, s15, v16
	v_lshlrev_b64 v[4:5], 2, v[2:3]
	v_mov_b32_e32 v2, s23
	v_add_co_u32_e32 v4, vcc, s21, v4
	v_addc_co_u32_e32 v2, vcc, v2, v5, vcc
	v_cmp_gt_u32_e32 vcc, s15, v16
	v_cndmask_b32_e32 v5, v2, v7, vcc
	v_cndmask_b32_e32 v4, v4, v6, vcc
	v_mov_b32_e32 v15, v3
	global_load_dword v11, v[4:5], off
	v_lshlrev_b64 v[4:5], 2, v[14:15]
	v_mov_b32_e32 v2, s25
	v_add_co_u32_e32 v4, vcc, s24, v4
	v_addc_co_u32_e32 v5, vcc, v2, v5, vcc
	v_subrev_u32_e32 v2, s15, v14
	v_lshlrev_b64 v[2:3], 2, v[2:3]
	v_mov_b32_e32 v6, s23
	v_add_co_u32_e32 v2, vcc, s21, v2
	v_addc_co_u32_e32 v3, vcc, v6, v3, vcc
	v_cmp_gt_u32_e32 vcc, s15, v14
	v_cndmask_b32_e32 v3, v3, v5, vcc
	v_cndmask_b32_e32 v2, v2, v4, vcc
	global_load_dword v12, v[2:3], off
	v_add_u32_e32 v2, v14, v19
	s_mov_b64 s[0:1], -1
	s_sub_i32 s17, s17, s18
	s_cbranch_execz .LBB1795_4
	s_branch .LBB1795_9
.LBB1795_3:
	s_mov_b64 s[0:1], 0
                                        ; implicit-def: $vgpr10_vgpr11_vgpr12_vgpr13
                                        ; implicit-def: $vgpr2
	s_sub_i32 s17, s17, s18
.LBB1795_4:
	s_add_i32 s6, s17, s15
	v_cmp_gt_u32_e32 vcc, s6, v0
                                        ; implicit-def: $vgpr10_vgpr11_vgpr12_vgpr13
	s_and_saveexec_b64 s[0:1], vcc
	s_cbranch_execnz .LBB1795_63
; %bb.5:
	s_or_b64 exec, exec, s[0:1]
	v_cmp_gt_u32_e32 vcc, s6, v16
	s_and_saveexec_b64 s[0:1], vcc
	s_cbranch_execnz .LBB1795_64
.LBB1795_6:
	s_or_b64 exec, exec, s[0:1]
	v_cmp_gt_u32_e32 vcc, s6, v14
	s_and_saveexec_b64 s[0:1], vcc
	s_cbranch_execz .LBB1795_8
.LBB1795_7:
	v_mov_b32_e32 v15, 0
	v_lshlrev_b64 v[2:3], 2, v[14:15]
	v_mov_b32_e32 v4, s25
	v_add_co_u32_e32 v5, vcc, s24, v2
	v_addc_co_u32_e32 v4, vcc, v4, v3, vcc
	v_subrev_u32_e32 v2, s15, v14
	v_mov_b32_e32 v3, v15
	v_lshlrev_b64 v[2:3], 2, v[2:3]
	v_mov_b32_e32 v6, s23
	v_add_co_u32_e32 v2, vcc, s21, v2
	v_addc_co_u32_e32 v3, vcc, v6, v3, vcc
	v_cmp_gt_u32_e32 vcc, s15, v14
	v_cndmask_b32_e32 v3, v3, v4, vcc
	v_cndmask_b32_e32 v2, v2, v5, vcc
	global_load_dword v12, v[2:3], off
.LBB1795_8:
	s_or_b64 exec, exec, s[0:1]
	v_add_u32_e32 v2, v14, v19
	v_cmp_gt_u32_e64 s[0:1], s6, v2
.LBB1795_9:
	s_and_saveexec_b64 s[6:7], s[0:1]
	s_cbranch_execz .LBB1795_11
; %bb.10:
	v_mov_b32_e32 v3, 0
	v_lshlrev_b64 v[4:5], 2, v[2:3]
	v_mov_b32_e32 v6, s25
	v_add_co_u32_e32 v4, vcc, s24, v4
	v_addc_co_u32_e32 v5, vcc, v6, v5, vcc
	v_cmp_gt_u32_e32 vcc, s15, v2
	v_subrev_u32_e32 v2, s15, v2
	v_lshlrev_b64 v[2:3], 2, v[2:3]
	v_mov_b32_e32 v6, s23
	v_add_co_u32_e64 v2, s[0:1], s21, v2
	v_addc_co_u32_e64 v3, s[0:1], v6, v3, s[0:1]
	v_cndmask_b32_e32 v3, v3, v5, vcc
	v_cndmask_b32_e32 v2, v2, v4, vcc
	global_load_dword v13, v[2:3], off
.LBB1795_11:
	s_or_b64 exec, exec, s[6:7]
	s_lshl_b64 s[0:1], s[4:5], 3
	s_add_u32 s6, s10, s0
	s_addc_u32 s7, s11, s1
	s_lshl_b64 s[0:1], s[18:19], 3
	s_add_u32 s10, s10, s0
	s_addc_u32 s11, s11, s1
	s_andn2_b64 vcc, exec, s[2:3]
	v_lshlrev_b32_e32 v20, 3, v0
	s_waitcnt vmcnt(0)
	ds_write2st64_b32 v1, v10, v11 offset1:4
	ds_write2st64_b32 v1, v12, v13 offset0:8 offset1:12
	s_cbranch_vccnz .LBB1795_13
; %bb.12:
	v_subrev_u32_e32 v6, s15, v0
	v_mov_b32_e32 v7, 0
	v_lshlrev_b64 v[2:3], 3, v[6:7]
	v_mov_b32_e32 v4, s11
	v_add_co_u32_e32 v2, vcc, s10, v2
	v_addc_co_u32_e32 v3, vcc, v4, v3, vcc
	v_mov_b32_e32 v4, s7
	v_add_co_u32_e32 v5, vcc, s6, v20
	v_addc_co_u32_e32 v4, vcc, 0, v4, vcc
	v_cmp_gt_u32_e32 vcc, s15, v0
	v_subrev_u32_e32 v6, s15, v16
	v_cndmask_b32_e32 v3, v3, v4, vcc
	v_cndmask_b32_e32 v2, v2, v5, vcc
	v_lshlrev_b64 v[4:5], 3, v[6:7]
	v_mov_b32_e32 v6, s11
	v_add_co_u32_e32 v8, vcc, s10, v4
	v_mov_b32_e32 v17, v7
	v_addc_co_u32_e32 v6, vcc, v6, v5, vcc
	v_lshlrev_b64 v[4:5], 3, v[16:17]
	v_mov_b32_e32 v9, s7
	v_add_co_u32_e32 v4, vcc, s6, v4
	v_addc_co_u32_e32 v5, vcc, v9, v5, vcc
	v_cmp_gt_u32_e32 vcc, s15, v16
	v_cndmask_b32_e32 v5, v6, v5, vcc
	v_subrev_u32_e32 v6, s15, v14
	v_cndmask_b32_e32 v4, v8, v4, vcc
	v_lshlrev_b64 v[8:9], 3, v[6:7]
	v_mov_b32_e32 v6, s11
	v_add_co_u32_e32 v8, vcc, s10, v8
	v_mov_b32_e32 v15, v7
	v_addc_co_u32_e32 v9, vcc, v6, v9, vcc
	v_lshlrev_b64 v[6:7], 3, v[14:15]
	v_mov_b32_e32 v15, s7
	v_add_co_u32_e32 v6, vcc, s6, v6
	v_addc_co_u32_e32 v7, vcc, v15, v7, vcc
	v_cmp_gt_u32_e32 vcc, s15, v14
	v_cndmask_b32_e32 v7, v9, v7, vcc
	v_cndmask_b32_e32 v6, v8, v6, vcc
	global_load_dwordx2 v[2:3], v[2:3], off
	v_add_u32_e32 v18, v14, v19
	global_load_dwordx2 v[4:5], v[4:5], off
	s_add_i32 s18, s17, s15
	global_load_dwordx2 v[6:7], v[6:7], off
	s_mov_b64 s[0:1], -1
	s_cbranch_execz .LBB1795_14
	s_branch .LBB1795_19
.LBB1795_13:
	s_mov_b64 s[0:1], 0
                                        ; implicit-def: $vgpr18
                                        ; implicit-def: $vgpr2_vgpr3_vgpr4_vgpr5_vgpr6_vgpr7_vgpr8_vgpr9
                                        ; implicit-def: $sgpr18
.LBB1795_14:
	s_add_i32 s18, s17, s15
	v_cmp_gt_u32_e32 vcc, s18, v0
                                        ; implicit-def: $vgpr2_vgpr3_vgpr4_vgpr5_vgpr6_vgpr7_vgpr8_vgpr9
	s_and_saveexec_b64 s[0:1], vcc
	s_cbranch_execnz .LBB1795_65
; %bb.15:
	s_or_b64 exec, exec, s[0:1]
	v_cmp_gt_u32_e32 vcc, s18, v16
	s_and_saveexec_b64 s[4:5], vcc
	s_cbranch_execnz .LBB1795_66
.LBB1795_16:
	s_or_b64 exec, exec, s[4:5]
	v_cmp_gt_u32_e32 vcc, s18, v14
	s_and_saveexec_b64 s[0:1], vcc
	s_cbranch_execz .LBB1795_18
.LBB1795_17:
	v_mov_b32_e32 v15, 0
	s_waitcnt vmcnt(0)
	v_lshlrev_b64 v[6:7], 3, v[14:15]
	v_mov_b32_e32 v16, s7
	v_add_co_u32_e32 v17, vcc, s6, v6
	v_addc_co_u32_e32 v16, vcc, v16, v7, vcc
	v_subrev_u32_e32 v6, s15, v14
	v_mov_b32_e32 v7, v15
	v_lshlrev_b64 v[6:7], 3, v[6:7]
	v_mov_b32_e32 v15, s11
	v_add_co_u32_e32 v6, vcc, s10, v6
	v_addc_co_u32_e32 v7, vcc, v15, v7, vcc
	v_cmp_gt_u32_e32 vcc, s15, v14
	v_cndmask_b32_e32 v7, v7, v16, vcc
	v_cndmask_b32_e32 v6, v6, v17, vcc
	global_load_dwordx2 v[6:7], v[6:7], off
.LBB1795_18:
	s_or_b64 exec, exec, s[0:1]
	v_add_u32_e32 v18, v14, v19
	v_cmp_gt_u32_e64 s[0:1], s18, v18
.LBB1795_19:
	v_mov_b32_e32 v16, s18
	s_and_saveexec_b64 s[4:5], s[0:1]
	s_cbranch_execz .LBB1795_21
; %bb.20:
	v_subrev_u32_e32 v8, s15, v18
	v_mov_b32_e32 v9, 0
	v_lshlrev_b64 v[14:15], 3, v[8:9]
	v_mov_b32_e32 v8, s11
	v_add_co_u32_e32 v14, vcc, s10, v14
	v_mov_b32_e32 v19, v9
	v_addc_co_u32_e32 v15, vcc, v8, v15, vcc
	v_lshlrev_b64 v[8:9], 3, v[18:19]
	v_mov_b32_e32 v16, s7
	v_add_co_u32_e32 v8, vcc, s6, v8
	v_addc_co_u32_e32 v9, vcc, v16, v9, vcc
	v_cmp_gt_u32_e32 vcc, s15, v18
	v_cndmask_b32_e32 v9, v15, v9, vcc
	v_cndmask_b32_e32 v8, v14, v8, vcc
	global_load_dwordx2 v[8:9], v[8:9], off
	v_mov_b32_e32 v16, s18
.LBB1795_21:
	s_or_b64 exec, exec, s[4:5]
	v_min_u32_e32 v14, v16, v1
	v_sub_u32_e64 v19, v14, s17 clamp
	v_min_u32_e32 v15, s15, v14
	v_cmp_lt_u32_e32 vcc, v19, v15
	s_waitcnt lgkmcnt(0)
	s_barrier
	s_and_saveexec_b64 s[0:1], vcc
	s_cbranch_execz .LBB1795_25
; %bb.22:
	v_lshlrev_b32_e32 v17, 2, v14
	v_lshl_add_u32 v17, s15, 2, v17
	s_mov_b64 s[4:5], 0
.LBB1795_23:                            ; =>This Inner Loop Header: Depth=1
	v_add_u32_e32 v18, v15, v19
	v_lshrrev_b32_e32 v18, 1, v18
	v_not_b32_e32 v21, v18
	v_lshlrev_b32_e32 v22, 2, v18
	v_lshl_add_u32 v21, v21, 2, v17
	ds_read_b32 v22, v22
	ds_read_b32 v23, v21
	v_add_u32_e32 v24, 1, v18
	s_waitcnt lgkmcnt(0)
	v_pk_add_f32 v[22:23], v[22:23], 0 op_sel_hi:[1,0]
	v_ashrrev_i32_e32 v21, 31, v23
	v_ashrrev_i32_e32 v25, 31, v22
	v_or_b32_e32 v25, 0x80000000, v25
	v_or_b32_e32 v21, 0x80000000, v21
	v_xor_b32_e32 v21, v21, v23
	v_xor_b32_e32 v22, v25, v22
	v_cmp_gt_u32_e32 vcc, v22, v21
	v_cndmask_b32_e32 v15, v15, v18, vcc
	v_cndmask_b32_e32 v19, v24, v19, vcc
	v_cmp_ge_u32_e32 vcc, v19, v15
	s_or_b64 s[4:5], vcc, s[4:5]
	s_andn2_b64 exec, exec, s[4:5]
	s_cbranch_execnz .LBB1795_23
; %bb.24:
	s_or_b64 exec, exec, s[4:5]
.LBB1795_25:
	s_or_b64 exec, exec, s[0:1]
	v_sub_u32_e32 v14, v14, v19
	v_add_u32_e32 v22, s15, v14
	v_cmp_ge_u32_e32 vcc, s15, v19
	v_cmp_le_u32_e64 s[0:1], v22, v16
	s_or_b64 s[0:1], vcc, s[0:1]
                                        ; implicit-def: $vgpr14
                                        ; implicit-def: $vgpr21
                                        ; implicit-def: $vgpr18
                                        ; implicit-def: $vgpr17
	s_and_saveexec_b64 s[4:5], s[0:1]
	s_xor_b64 s[4:5], exec, s[4:5]
	s_cbranch_execz .LBB1795_45
; %bb.26:
	v_cmp_le_u32_e32 vcc, s15, v19
	v_cmp_gt_u32_e64 s[0:1], s15, v19
                                        ; implicit-def: $vgpr14
	s_and_saveexec_b64 s[6:7], s[0:1]
	s_cbranch_execz .LBB1795_28
; %bb.27:
	v_lshlrev_b32_e32 v10, 2, v19
	ds_read_b32 v14, v10
.LBB1795_28:
	s_or_b64 exec, exec, s[6:7]
	v_cmp_ge_u32_e64 s[6:7], v22, v16
	v_cmp_lt_u32_e64 s[0:1], v22, v16
	s_and_saveexec_b64 s[10:11], s[0:1]
	s_cbranch_execz .LBB1795_30
; %bb.29:
	v_lshlrev_b32_e32 v10, 2, v22
	ds_read_b32 v15, v10
.LBB1795_30:
	s_or_b64 exec, exec, s[10:11]
	s_or_b64 s[10:11], vcc, s[6:7]
	s_mov_b64 s[0:1], -1
	s_xor_b64 s[18:19], s[10:11], -1
	s_and_saveexec_b64 s[10:11], s[18:19]
	s_cbranch_execz .LBB1795_32
; %bb.31:
	s_waitcnt lgkmcnt(0)
	v_pk_add_f32 v[10:11], v[14:15], 0 op_sel_hi:[1,0]
	v_ashrrev_i32_e32 v12, 31, v11
	v_ashrrev_i32_e32 v13, 31, v10
	v_or_b32_e32 v13, 0x80000000, v13
	v_or_b32_e32 v12, 0x80000000, v12
	v_xor_b32_e32 v11, v12, v11
	v_xor_b32_e32 v10, v13, v10
	v_cmp_le_u32_e32 vcc, v10, v11
	s_andn2_b64 s[6:7], s[6:7], exec
	s_and_b64 s[18:19], vcc, exec
	s_or_b64 s[6:7], s[6:7], s[18:19]
.LBB1795_32:
	s_or_b64 exec, exec, s[10:11]
	v_mov_b32_e32 v10, s15
	v_cndmask_b32_e64 v17, v22, v19, s[6:7]
	v_cndmask_b32_e64 v10, v16, v10, s[6:7]
	v_add_u32_e32 v13, 1, v17
	v_add_u32_e32 v10, -1, v10
	v_min_u32_e32 v10, v13, v10
	v_lshlrev_b32_e32 v10, 2, v10
	ds_read_b32 v11, v10
	v_cndmask_b32_e64 v12, v13, v22, s[6:7]
	v_cndmask_b32_e64 v21, v19, v13, s[6:7]
	v_cmp_lt_u32_e32 vcc, v12, v16
	s_waitcnt lgkmcnt(0)
	v_cndmask_b32_e64 v10, v11, v15, s[6:7]
	v_cndmask_b32_e64 v11, v14, v11, s[6:7]
	s_and_saveexec_b64 s[10:11], vcc
	s_cbranch_execz .LBB1795_36
; %bb.33:
	v_cmp_gt_u32_e32 vcc, s15, v21
	s_mov_b64 s[18:19], 0
	s_and_saveexec_b64 s[0:1], vcc
; %bb.34:
	v_add_f32_e32 v13, 0, v11
	v_ashrrev_i32_e32 v19, 31, v13
	v_add_f32_e32 v18, 0, v10
	v_or_b32_e32 v19, 0x80000000, v19
	v_xor_b32_e32 v13, v19, v13
	v_ashrrev_i32_e32 v19, 31, v18
	v_or_b32_e32 v19, 0x80000000, v19
	v_xor_b32_e32 v18, v19, v18
	v_cmp_le_u32_e32 vcc, v13, v18
	s_and_b64 s[18:19], vcc, exec
; %bb.35:
	s_or_b64 exec, exec, s[0:1]
	s_orn2_b64 s[0:1], s[18:19], exec
.LBB1795_36:
	s_or_b64 exec, exec, s[10:11]
	v_mov_b32_e32 v13, s15
	v_cndmask_b32_e64 v18, v12, v21, s[0:1]
	v_cndmask_b32_e64 v13, v16, v13, s[0:1]
	v_add_u32_e32 v22, 1, v18
	v_add_u32_e32 v13, -1, v13
	v_min_u32_e32 v13, v22, v13
	v_lshlrev_b32_e32 v13, 2, v13
	ds_read_b32 v13, v13
	v_cndmask_b32_e64 v19, v22, v12, s[0:1]
	v_cndmask_b32_e64 v22, v21, v22, s[0:1]
	v_cmp_lt_u32_e32 vcc, v19, v16
	s_mov_b64 s[10:11], -1
	s_waitcnt lgkmcnt(0)
	v_cndmask_b32_e64 v12, v13, v10, s[0:1]
	v_cndmask_b32_e64 v13, v11, v13, s[0:1]
	s_mov_b64 s[18:19], -1
	s_and_saveexec_b64 s[20:21], vcc
	s_cbranch_execz .LBB1795_40
; %bb.37:
	v_cmp_gt_u32_e32 vcc, s15, v22
	s_mov_b64 s[22:23], 0
	s_and_saveexec_b64 s[18:19], vcc
; %bb.38:
	v_add_f32_e32 v21, 0, v13
	v_ashrrev_i32_e32 v24, 31, v21
	v_add_f32_e32 v23, 0, v12
	v_or_b32_e32 v24, 0x80000000, v24
	v_xor_b32_e32 v21, v24, v21
	v_ashrrev_i32_e32 v24, 31, v23
	v_or_b32_e32 v24, 0x80000000, v24
	v_xor_b32_e32 v23, v24, v23
	v_cmp_le_u32_e32 vcc, v21, v23
	s_and_b64 s[22:23], vcc, exec
; %bb.39:
	s_or_b64 exec, exec, s[18:19]
	s_orn2_b64 s[18:19], s[22:23], exec
.LBB1795_40:
	s_or_b64 exec, exec, s[20:21]
	v_mov_b32_e32 v23, s15
	v_cndmask_b32_e64 v21, v19, v22, s[18:19]
	v_cndmask_b32_e64 v23, v16, v23, s[18:19]
	v_add_u32_e32 v25, 1, v21
	v_add_u32_e32 v23, -1, v23
	v_min_u32_e32 v23, v25, v23
	v_lshlrev_b32_e32 v23, 2, v23
	ds_read_b32 v24, v23
	v_cndmask_b32_e64 v23, v25, v19, s[18:19]
	v_cndmask_b32_e64 v22, v22, v25, s[18:19]
	v_cmp_lt_u32_e32 vcc, v23, v16
	s_waitcnt lgkmcnt(0)
	v_cndmask_b32_e64 v19, v24, v12, s[18:19]
	v_cndmask_b32_e64 v24, v13, v24, s[18:19]
	s_and_saveexec_b64 s[20:21], vcc
	s_cbranch_execz .LBB1795_44
; %bb.41:
	v_cmp_gt_u32_e32 vcc, s15, v22
	s_mov_b64 s[22:23], 0
	s_and_saveexec_b64 s[10:11], vcc
; %bb.42:
	v_add_f32_e32 v16, 0, v24
	v_ashrrev_i32_e32 v26, 31, v16
	v_add_f32_e32 v25, 0, v19
	v_or_b32_e32 v26, 0x80000000, v26
	v_xor_b32_e32 v16, v26, v16
	v_ashrrev_i32_e32 v26, 31, v25
	v_or_b32_e32 v26, 0x80000000, v26
	v_xor_b32_e32 v25, v26, v25
	v_cmp_le_u32_e32 vcc, v16, v25
	s_and_b64 s[22:23], vcc, exec
; %bb.43:
	s_or_b64 exec, exec, s[10:11]
	s_orn2_b64 s[10:11], s[22:23], exec
.LBB1795_44:
	s_or_b64 exec, exec, s[20:21]
	v_cndmask_b32_e64 v12, v12, v13, s[18:19]
	v_cndmask_b32_e64 v11, v10, v11, s[0:1]
	;; [unrolled: 1-line block ×5, first 2 shown]
.LBB1795_45:
	s_andn2_saveexec_b64 s[0:1], s[4:5]
; %bb.46:
                                        ; implicit-def: $vgpr17
                                        ; implicit-def: $vgpr18
                                        ; implicit-def: $vgpr21
                                        ; implicit-def: $vgpr14
; %bb.47:
	s_or_b64 exec, exec, s[0:1]
	v_add_u32_e32 v24, v1, v1
	s_barrier
	s_waitcnt vmcnt(0)
	ds_write2st64_b64 v24, v[2:3], v[4:5] offset1:4
	ds_write2st64_b64 v24, v[6:7], v[8:9] offset0:8 offset1:12
	v_lshlrev_b32_e32 v2, 3, v17
	v_lshlrev_b32_e32 v3, 3, v18
	;; [unrolled: 1-line block ×4, first 2 shown]
	s_waitcnt lgkmcnt(0)
	s_barrier
	ds_read_b64 v[6:7], v2
	ds_read_b64 v[8:9], v3
	;; [unrolled: 1-line block ×4, first 2 shown]
	s_mov_b32 s17, 0
	s_lshl_b64 s[0:1], s[16:17], 2
	v_lshrrev_b32_e32 v14, 3, v0
	s_add_u32 s0, s8, s0
	v_add_u32_e32 v16, v14, v1
	s_addc_u32 s1, s9, s1
	v_lshlrev_b32_e32 v17, 2, v16
	s_waitcnt lgkmcnt(0)
	s_barrier
	s_barrier
	ds_write2_b32 v17, v10, v11 offset1:1
	ds_write2_b32 v17, v12, v13 offset0:2 offset1:3
	v_or_b32_e32 v23, 0x100, v0
	v_or_b32_e32 v22, 0x200, v0
	;; [unrolled: 1-line block ×3, first 2 shown]
	v_mov_b32_e32 v11, s1
	v_add_co_u32_e32 v10, vcc, s0, v1
	v_lshrrev_b32_e32 v14, 5, v0
	v_lshrrev_b32_e32 v12, 5, v23
	;; [unrolled: 1-line block ×4, first 2 shown]
	v_addc_co_u32_e32 v11, vcc, 0, v11, vcc
	v_lshl_add_u32 v15, v14, 2, v1
	v_lshl_add_u32 v25, v12, 2, v1
	;; [unrolled: 1-line block ×4, first 2 shown]
	s_and_b64 vcc, exec, s[2:3]
	v_lshl_add_u32 v1, v12, 3, v24
	v_lshl_add_u32 v18, v13, 3, v24
	;; [unrolled: 1-line block ×3, first 2 shown]
	s_waitcnt lgkmcnt(0)
	s_cbranch_vccz .LBB1795_49
; %bb.48:
	s_barrier
	ds_read_b32 v12, v15
	ds_read_b32 v13, v25 offset:1024
	ds_read_b32 v28, v26 offset:2048
	;; [unrolled: 1-line block ×3, first 2 shown]
	s_lshl_b64 s[0:1], s[16:17], 3
	s_add_u32 s0, s12, s0
	s_waitcnt lgkmcnt(3)
	global_store_dword v[10:11], v12, off
	s_waitcnt lgkmcnt(2)
	global_store_dword v[10:11], v13, off offset:1024
	s_waitcnt lgkmcnt(1)
	global_store_dword v[10:11], v28, off offset:2048
	;; [unrolled: 2-line block ×3, first 2 shown]
	v_lshlrev_b32_e32 v12, 3, v16
	s_barrier
	ds_write2_b64 v12, v[6:7], v[8:9] offset1:1
	ds_write2_b64 v12, v[2:3], v[4:5] offset0:2 offset1:3
	v_lshl_add_u32 v12, v14, 3, v24
	s_addc_u32 s1, s13, s1
	s_waitcnt lgkmcnt(0)
	s_barrier
	ds_read_b64 v[28:29], v12
	ds_read_b64 v[30:31], v1 offset:2048
	ds_read_b64 v[32:33], v18 offset:4096
	;; [unrolled: 1-line block ×3, first 2 shown]
	v_mov_b32_e32 v24, s1
	v_add_co_u32_e32 v34, vcc, s0, v20
	v_addc_co_u32_e32 v24, vcc, 0, v24, vcc
	s_waitcnt lgkmcnt(3)
	global_store_dwordx2 v20, v[28:29], s[0:1]
	s_waitcnt lgkmcnt(2)
	global_store_dwordx2 v20, v[30:31], s[0:1] offset:2048
	v_add_co_u32_e32 v28, vcc, 0x1000, v34
	v_addc_co_u32_e32 v29, vcc, 0, v24, vcc
	s_waitcnt lgkmcnt(1)
	global_store_dwordx2 v[28:29], v[32:33], off
	s_mov_b64 s[6:7], -1
	s_cbranch_execz .LBB1795_50
	s_branch .LBB1795_60
.LBB1795_49:
	s_mov_b64 s[6:7], 0
                                        ; implicit-def: $vgpr12_vgpr13
.LBB1795_50:
	s_barrier
	s_waitcnt lgkmcnt(0)
	ds_read_b32 v24, v25 offset:1024
	ds_read_b32 v13, v26 offset:2048
	ds_read_b32 v12, v27 offset:3072
	s_sub_i32 s6, s14, s16
	v_cmp_gt_u32_e32 vcc, s6, v0
	s_and_saveexec_b64 s[0:1], vcc
	s_cbranch_execnz .LBB1795_67
; %bb.51:
	s_or_b64 exec, exec, s[0:1]
	v_cmp_gt_u32_e64 s[0:1], s6, v23
	s_and_saveexec_b64 s[2:3], s[0:1]
	s_cbranch_execnz .LBB1795_68
.LBB1795_52:
	s_or_b64 exec, exec, s[2:3]
	v_cmp_gt_u32_e64 s[2:3], s6, v22
	s_and_saveexec_b64 s[4:5], s[2:3]
	s_cbranch_execnz .LBB1795_69
.LBB1795_53:
	s_or_b64 exec, exec, s[4:5]
	v_cmp_gt_u32_e64 s[6:7], s6, v21
	s_and_saveexec_b64 s[4:5], s[6:7]
	s_cbranch_execz .LBB1795_55
.LBB1795_54:
	s_waitcnt lgkmcnt(0)
	global_store_dword v[10:11], v12, off offset:3072
.LBB1795_55:
	s_or_b64 exec, exec, s[4:5]
	v_lshl_add_u32 v10, v16, 2, v17
	s_waitcnt lgkmcnt(0)
	s_barrier
	ds_write2_b64 v10, v[6:7], v[8:9] offset1:1
	ds_write2_b64 v10, v[2:3], v[4:5] offset0:2 offset1:3
	s_waitcnt lgkmcnt(0)
	s_barrier
	ds_read_b64 v[6:7], v1 offset:2048
	ds_read_b64 v[2:3], v18 offset:4096
	;; [unrolled: 1-line block ×3, first 2 shown]
	s_lshl_b64 s[4:5], s[16:17], 3
	s_add_u32 s4, s12, s4
	s_addc_u32 s5, s13, s5
	v_mov_b32_e32 v1, s5
	v_add_co_u32_e64 v4, s[4:5], s4, v20
	v_addc_co_u32_e64 v5, s[4:5], 0, v1, s[4:5]
	s_and_saveexec_b64 s[4:5], vcc
	s_cbranch_execnz .LBB1795_70
; %bb.56:
	s_or_b64 exec, exec, s[4:5]
	s_and_saveexec_b64 s[4:5], s[0:1]
	s_cbranch_execnz .LBB1795_71
.LBB1795_57:
	s_or_b64 exec, exec, s[4:5]
	s_and_saveexec_b64 s[0:1], s[2:3]
	s_cbranch_execz .LBB1795_59
.LBB1795_58:
	v_add_co_u32_e32 v0, vcc, 0x1000, v4
	v_addc_co_u32_e32 v1, vcc, 0, v5, vcc
	s_waitcnt lgkmcnt(1)
	global_store_dwordx2 v[0:1], v[2:3], off
.LBB1795_59:
	s_or_b64 exec, exec, s[0:1]
.LBB1795_60:
	s_and_saveexec_b64 s[0:1], s[6:7]
	s_cbranch_execz .LBB1795_62
; %bb.61:
	s_lshl_b64 s[0:1], s[16:17], 3
	s_add_u32 s0, s12, s0
	s_addc_u32 s1, s13, s1
	v_mov_b32_e32 v0, s1
	v_add_co_u32_e32 v1, vcc, s0, v20
	s_waitcnt lgkmcnt(1)
	v_addc_co_u32_e32 v2, vcc, 0, v0, vcc
	v_add_co_u32_e32 v0, vcc, 0x1000, v1
	v_addc_co_u32_e32 v1, vcc, 0, v2, vcc
	s_waitcnt lgkmcnt(0)
	global_store_dwordx2 v[0:1], v[12:13], off offset:2048
.LBB1795_62:
	s_endpgm
.LBB1795_63:
	v_mov_b32_e32 v2, s25
	v_add_co_u32_e32 v4, vcc, s24, v1
	v_mov_b32_e32 v3, 0
	v_addc_co_u32_e32 v5, vcc, 0, v2, vcc
	v_subrev_u32_e32 v2, s15, v0
	v_lshlrev_b64 v[2:3], 2, v[2:3]
	v_mov_b32_e32 v6, s23
	v_add_co_u32_e32 v2, vcc, s21, v2
	v_addc_co_u32_e32 v3, vcc, v6, v3, vcc
	v_cmp_gt_u32_e32 vcc, s15, v0
	v_cndmask_b32_e32 v3, v3, v5, vcc
	v_cndmask_b32_e32 v2, v2, v4, vcc
	global_load_dword v10, v[2:3], off
	s_or_b64 exec, exec, s[0:1]
	v_cmp_gt_u32_e32 vcc, s6, v16
	s_and_saveexec_b64 s[0:1], vcc
	s_cbranch_execz .LBB1795_6
.LBB1795_64:
	v_mov_b32_e32 v17, 0
	v_lshlrev_b64 v[2:3], 2, v[16:17]
	v_mov_b32_e32 v4, s25
	v_add_co_u32_e32 v5, vcc, s24, v2
	v_addc_co_u32_e32 v4, vcc, v4, v3, vcc
	v_subrev_u32_e32 v2, s15, v16
	v_mov_b32_e32 v3, v17
	v_lshlrev_b64 v[2:3], 2, v[2:3]
	v_mov_b32_e32 v6, s23
	v_add_co_u32_e32 v2, vcc, s21, v2
	v_addc_co_u32_e32 v3, vcc, v6, v3, vcc
	v_cmp_gt_u32_e32 vcc, s15, v16
	v_cndmask_b32_e32 v3, v3, v4, vcc
	v_cndmask_b32_e32 v2, v2, v5, vcc
	global_load_dword v11, v[2:3], off
	s_or_b64 exec, exec, s[0:1]
	v_cmp_gt_u32_e32 vcc, s6, v14
	s_and_saveexec_b64 s[0:1], vcc
	s_cbranch_execnz .LBB1795_7
	s_branch .LBB1795_8
.LBB1795_65:
	s_waitcnt vmcnt(2)
	v_mov_b32_e32 v2, s7
	s_waitcnt vmcnt(1)
	v_add_co_u32_e32 v4, vcc, s6, v20
	v_mov_b32_e32 v3, 0
	v_addc_co_u32_e32 v5, vcc, 0, v2, vcc
	v_subrev_u32_e32 v2, s15, v0
	v_lshlrev_b64 v[2:3], 3, v[2:3]
	s_waitcnt vmcnt(0)
	v_mov_b32_e32 v6, s11
	v_add_co_u32_e32 v2, vcc, s10, v2
	v_addc_co_u32_e32 v3, vcc, v6, v3, vcc
	v_cmp_gt_u32_e32 vcc, s15, v0
	v_cndmask_b32_e32 v3, v3, v5, vcc
	v_cndmask_b32_e32 v2, v2, v4, vcc
	global_load_dwordx2 v[2:3], v[2:3], off
	s_or_b64 exec, exec, s[0:1]
	v_cmp_gt_u32_e32 vcc, s18, v16
	s_and_saveexec_b64 s[4:5], vcc
	s_cbranch_execz .LBB1795_16
.LBB1795_66:
	v_mov_b32_e32 v17, 0
	s_waitcnt vmcnt(1)
	v_lshlrev_b64 v[4:5], 3, v[16:17]
	v_mov_b32_e32 v15, s7
	v_add_co_u32_e32 v18, vcc, s6, v4
	v_addc_co_u32_e32 v15, vcc, v15, v5, vcc
	v_cmp_gt_u32_e32 vcc, s15, v16
	v_subrev_u32_e32 v16, s15, v16
	v_lshlrev_b64 v[4:5], 3, v[16:17]
	v_mov_b32_e32 v16, s11
	v_add_co_u32_e64 v4, s[0:1], s10, v4
	v_addc_co_u32_e64 v5, s[0:1], v16, v5, s[0:1]
	v_cndmask_b32_e32 v5, v5, v15, vcc
	v_cndmask_b32_e32 v4, v4, v18, vcc
	global_load_dwordx2 v[4:5], v[4:5], off
	s_or_b64 exec, exec, s[4:5]
	v_cmp_gt_u32_e32 vcc, s18, v14
	s_and_saveexec_b64 s[0:1], vcc
	s_cbranch_execnz .LBB1795_17
	s_branch .LBB1795_18
.LBB1795_67:
	ds_read_b32 v25, v15
	s_waitcnt lgkmcnt(0)
	global_store_dword v[10:11], v25, off
	s_or_b64 exec, exec, s[0:1]
	v_cmp_gt_u32_e64 s[0:1], s6, v23
	s_and_saveexec_b64 s[2:3], s[0:1]
	s_cbranch_execz .LBB1795_52
.LBB1795_68:
	s_waitcnt lgkmcnt(2)
	global_store_dword v[10:11], v24, off offset:1024
	s_or_b64 exec, exec, s[2:3]
	v_cmp_gt_u32_e64 s[2:3], s6, v22
	s_and_saveexec_b64 s[4:5], s[2:3]
	s_cbranch_execz .LBB1795_53
.LBB1795_69:
	s_waitcnt lgkmcnt(1)
	global_store_dword v[10:11], v13, off offset:2048
	s_or_b64 exec, exec, s[4:5]
	v_cmp_gt_u32_e64 s[6:7], s6, v21
	s_and_saveexec_b64 s[4:5], s[6:7]
	s_cbranch_execnz .LBB1795_54
	s_branch .LBB1795_55
.LBB1795_70:
	v_add_u32_e32 v0, v14, v0
	v_lshl_add_u32 v0, v0, 2, v15
	ds_read_b64 v[0:1], v0
	s_waitcnt lgkmcnt(0)
	global_store_dwordx2 v[4:5], v[0:1], off
	s_or_b64 exec, exec, s[4:5]
	s_and_saveexec_b64 s[4:5], s[0:1]
	s_cbranch_execz .LBB1795_57
.LBB1795_71:
	s_waitcnt lgkmcnt(2)
	global_store_dwordx2 v[4:5], v[6:7], off offset:2048
	s_or_b64 exec, exec, s[4:5]
	s_and_saveexec_b64 s[0:1], s[2:3]
	s_cbranch_execnz .LBB1795_58
	s_branch .LBB1795_59
	.section	.rodata,"a",@progbits
	.p2align	6, 0x0
	.amdhsa_kernel _ZN7rocprim17ROCPRIM_400000_NS6detail17trampoline_kernelINS0_14default_configENS1_38merge_sort_block_merge_config_selectorIflEEZZNS1_27merge_sort_block_merge_implIS3_PfN6thrust23THRUST_200600_302600_NS10device_ptrIlEEjNS1_19radix_merge_compareILb0ELb0EfNS0_19identity_decomposerEEEEE10hipError_tT0_T1_T2_jT3_P12ihipStream_tbPNSt15iterator_traitsISG_E10value_typeEPNSM_ISH_E10value_typeEPSI_NS1_7vsmem_tEENKUlT_SG_SH_SI_E_clIS7_S7_SB_PlEESF_SV_SG_SH_SI_EUlSV_E0_NS1_11comp_targetILNS1_3genE4ELNS1_11target_archE910ELNS1_3gpuE8ELNS1_3repE0EEENS1_38merge_mergepath_config_static_selectorELNS0_4arch9wavefront6targetE1EEEvSH_
		.amdhsa_group_segment_fixed_size 8448
		.amdhsa_private_segment_fixed_size 0
		.amdhsa_kernarg_size 320
		.amdhsa_user_sgpr_count 6
		.amdhsa_user_sgpr_private_segment_buffer 1
		.amdhsa_user_sgpr_dispatch_ptr 0
		.amdhsa_user_sgpr_queue_ptr 0
		.amdhsa_user_sgpr_kernarg_segment_ptr 1
		.amdhsa_user_sgpr_dispatch_id 0
		.amdhsa_user_sgpr_flat_scratch_init 0
		.amdhsa_user_sgpr_kernarg_preload_length 0
		.amdhsa_user_sgpr_kernarg_preload_offset 0
		.amdhsa_user_sgpr_private_segment_size 0
		.amdhsa_uses_dynamic_stack 0
		.amdhsa_system_sgpr_private_segment_wavefront_offset 0
		.amdhsa_system_sgpr_workgroup_id_x 1
		.amdhsa_system_sgpr_workgroup_id_y 1
		.amdhsa_system_sgpr_workgroup_id_z 1
		.amdhsa_system_sgpr_workgroup_info 0
		.amdhsa_system_vgpr_workitem_id 0
		.amdhsa_next_free_vgpr 35
		.amdhsa_next_free_sgpr 30
		.amdhsa_accum_offset 36
		.amdhsa_reserve_vcc 1
		.amdhsa_reserve_flat_scratch 0
		.amdhsa_float_round_mode_32 0
		.amdhsa_float_round_mode_16_64 0
		.amdhsa_float_denorm_mode_32 3
		.amdhsa_float_denorm_mode_16_64 3
		.amdhsa_dx10_clamp 1
		.amdhsa_ieee_mode 1
		.amdhsa_fp16_overflow 0
		.amdhsa_tg_split 0
		.amdhsa_exception_fp_ieee_invalid_op 0
		.amdhsa_exception_fp_denorm_src 0
		.amdhsa_exception_fp_ieee_div_zero 0
		.amdhsa_exception_fp_ieee_overflow 0
		.amdhsa_exception_fp_ieee_underflow 0
		.amdhsa_exception_fp_ieee_inexact 0
		.amdhsa_exception_int_div_zero 0
	.end_amdhsa_kernel
	.section	.text._ZN7rocprim17ROCPRIM_400000_NS6detail17trampoline_kernelINS0_14default_configENS1_38merge_sort_block_merge_config_selectorIflEEZZNS1_27merge_sort_block_merge_implIS3_PfN6thrust23THRUST_200600_302600_NS10device_ptrIlEEjNS1_19radix_merge_compareILb0ELb0EfNS0_19identity_decomposerEEEEE10hipError_tT0_T1_T2_jT3_P12ihipStream_tbPNSt15iterator_traitsISG_E10value_typeEPNSM_ISH_E10value_typeEPSI_NS1_7vsmem_tEENKUlT_SG_SH_SI_E_clIS7_S7_SB_PlEESF_SV_SG_SH_SI_EUlSV_E0_NS1_11comp_targetILNS1_3genE4ELNS1_11target_archE910ELNS1_3gpuE8ELNS1_3repE0EEENS1_38merge_mergepath_config_static_selectorELNS0_4arch9wavefront6targetE1EEEvSH_,"axG",@progbits,_ZN7rocprim17ROCPRIM_400000_NS6detail17trampoline_kernelINS0_14default_configENS1_38merge_sort_block_merge_config_selectorIflEEZZNS1_27merge_sort_block_merge_implIS3_PfN6thrust23THRUST_200600_302600_NS10device_ptrIlEEjNS1_19radix_merge_compareILb0ELb0EfNS0_19identity_decomposerEEEEE10hipError_tT0_T1_T2_jT3_P12ihipStream_tbPNSt15iterator_traitsISG_E10value_typeEPNSM_ISH_E10value_typeEPSI_NS1_7vsmem_tEENKUlT_SG_SH_SI_E_clIS7_S7_SB_PlEESF_SV_SG_SH_SI_EUlSV_E0_NS1_11comp_targetILNS1_3genE4ELNS1_11target_archE910ELNS1_3gpuE8ELNS1_3repE0EEENS1_38merge_mergepath_config_static_selectorELNS0_4arch9wavefront6targetE1EEEvSH_,comdat
.Lfunc_end1795:
	.size	_ZN7rocprim17ROCPRIM_400000_NS6detail17trampoline_kernelINS0_14default_configENS1_38merge_sort_block_merge_config_selectorIflEEZZNS1_27merge_sort_block_merge_implIS3_PfN6thrust23THRUST_200600_302600_NS10device_ptrIlEEjNS1_19radix_merge_compareILb0ELb0EfNS0_19identity_decomposerEEEEE10hipError_tT0_T1_T2_jT3_P12ihipStream_tbPNSt15iterator_traitsISG_E10value_typeEPNSM_ISH_E10value_typeEPSI_NS1_7vsmem_tEENKUlT_SG_SH_SI_E_clIS7_S7_SB_PlEESF_SV_SG_SH_SI_EUlSV_E0_NS1_11comp_targetILNS1_3genE4ELNS1_11target_archE910ELNS1_3gpuE8ELNS1_3repE0EEENS1_38merge_mergepath_config_static_selectorELNS0_4arch9wavefront6targetE1EEEvSH_, .Lfunc_end1795-_ZN7rocprim17ROCPRIM_400000_NS6detail17trampoline_kernelINS0_14default_configENS1_38merge_sort_block_merge_config_selectorIflEEZZNS1_27merge_sort_block_merge_implIS3_PfN6thrust23THRUST_200600_302600_NS10device_ptrIlEEjNS1_19radix_merge_compareILb0ELb0EfNS0_19identity_decomposerEEEEE10hipError_tT0_T1_T2_jT3_P12ihipStream_tbPNSt15iterator_traitsISG_E10value_typeEPNSM_ISH_E10value_typeEPSI_NS1_7vsmem_tEENKUlT_SG_SH_SI_E_clIS7_S7_SB_PlEESF_SV_SG_SH_SI_EUlSV_E0_NS1_11comp_targetILNS1_3genE4ELNS1_11target_archE910ELNS1_3gpuE8ELNS1_3repE0EEENS1_38merge_mergepath_config_static_selectorELNS0_4arch9wavefront6targetE1EEEvSH_
                                        ; -- End function
	.section	.AMDGPU.csdata,"",@progbits
; Kernel info:
; codeLenInByte = 3596
; NumSgprs: 34
; NumVgprs: 35
; NumAgprs: 0
; TotalNumVgprs: 35
; ScratchSize: 0
; MemoryBound: 0
; FloatMode: 240
; IeeeMode: 1
; LDSByteSize: 8448 bytes/workgroup (compile time only)
; SGPRBlocks: 4
; VGPRBlocks: 4
; NumSGPRsForWavesPerEU: 34
; NumVGPRsForWavesPerEU: 35
; AccumOffset: 36
; Occupancy: 7
; WaveLimiterHint : 1
; COMPUTE_PGM_RSRC2:SCRATCH_EN: 0
; COMPUTE_PGM_RSRC2:USER_SGPR: 6
; COMPUTE_PGM_RSRC2:TRAP_HANDLER: 0
; COMPUTE_PGM_RSRC2:TGID_X_EN: 1
; COMPUTE_PGM_RSRC2:TGID_Y_EN: 1
; COMPUTE_PGM_RSRC2:TGID_Z_EN: 1
; COMPUTE_PGM_RSRC2:TIDIG_COMP_CNT: 0
; COMPUTE_PGM_RSRC3_GFX90A:ACCUM_OFFSET: 8
; COMPUTE_PGM_RSRC3_GFX90A:TG_SPLIT: 0
	.section	.text._ZN7rocprim17ROCPRIM_400000_NS6detail17trampoline_kernelINS0_14default_configENS1_38merge_sort_block_merge_config_selectorIflEEZZNS1_27merge_sort_block_merge_implIS3_PfN6thrust23THRUST_200600_302600_NS10device_ptrIlEEjNS1_19radix_merge_compareILb0ELb0EfNS0_19identity_decomposerEEEEE10hipError_tT0_T1_T2_jT3_P12ihipStream_tbPNSt15iterator_traitsISG_E10value_typeEPNSM_ISH_E10value_typeEPSI_NS1_7vsmem_tEENKUlT_SG_SH_SI_E_clIS7_S7_SB_PlEESF_SV_SG_SH_SI_EUlSV_E0_NS1_11comp_targetILNS1_3genE3ELNS1_11target_archE908ELNS1_3gpuE7ELNS1_3repE0EEENS1_38merge_mergepath_config_static_selectorELNS0_4arch9wavefront6targetE1EEEvSH_,"axG",@progbits,_ZN7rocprim17ROCPRIM_400000_NS6detail17trampoline_kernelINS0_14default_configENS1_38merge_sort_block_merge_config_selectorIflEEZZNS1_27merge_sort_block_merge_implIS3_PfN6thrust23THRUST_200600_302600_NS10device_ptrIlEEjNS1_19radix_merge_compareILb0ELb0EfNS0_19identity_decomposerEEEEE10hipError_tT0_T1_T2_jT3_P12ihipStream_tbPNSt15iterator_traitsISG_E10value_typeEPNSM_ISH_E10value_typeEPSI_NS1_7vsmem_tEENKUlT_SG_SH_SI_E_clIS7_S7_SB_PlEESF_SV_SG_SH_SI_EUlSV_E0_NS1_11comp_targetILNS1_3genE3ELNS1_11target_archE908ELNS1_3gpuE7ELNS1_3repE0EEENS1_38merge_mergepath_config_static_selectorELNS0_4arch9wavefront6targetE1EEEvSH_,comdat
	.protected	_ZN7rocprim17ROCPRIM_400000_NS6detail17trampoline_kernelINS0_14default_configENS1_38merge_sort_block_merge_config_selectorIflEEZZNS1_27merge_sort_block_merge_implIS3_PfN6thrust23THRUST_200600_302600_NS10device_ptrIlEEjNS1_19radix_merge_compareILb0ELb0EfNS0_19identity_decomposerEEEEE10hipError_tT0_T1_T2_jT3_P12ihipStream_tbPNSt15iterator_traitsISG_E10value_typeEPNSM_ISH_E10value_typeEPSI_NS1_7vsmem_tEENKUlT_SG_SH_SI_E_clIS7_S7_SB_PlEESF_SV_SG_SH_SI_EUlSV_E0_NS1_11comp_targetILNS1_3genE3ELNS1_11target_archE908ELNS1_3gpuE7ELNS1_3repE0EEENS1_38merge_mergepath_config_static_selectorELNS0_4arch9wavefront6targetE1EEEvSH_ ; -- Begin function _ZN7rocprim17ROCPRIM_400000_NS6detail17trampoline_kernelINS0_14default_configENS1_38merge_sort_block_merge_config_selectorIflEEZZNS1_27merge_sort_block_merge_implIS3_PfN6thrust23THRUST_200600_302600_NS10device_ptrIlEEjNS1_19radix_merge_compareILb0ELb0EfNS0_19identity_decomposerEEEEE10hipError_tT0_T1_T2_jT3_P12ihipStream_tbPNSt15iterator_traitsISG_E10value_typeEPNSM_ISH_E10value_typeEPSI_NS1_7vsmem_tEENKUlT_SG_SH_SI_E_clIS7_S7_SB_PlEESF_SV_SG_SH_SI_EUlSV_E0_NS1_11comp_targetILNS1_3genE3ELNS1_11target_archE908ELNS1_3gpuE7ELNS1_3repE0EEENS1_38merge_mergepath_config_static_selectorELNS0_4arch9wavefront6targetE1EEEvSH_
	.globl	_ZN7rocprim17ROCPRIM_400000_NS6detail17trampoline_kernelINS0_14default_configENS1_38merge_sort_block_merge_config_selectorIflEEZZNS1_27merge_sort_block_merge_implIS3_PfN6thrust23THRUST_200600_302600_NS10device_ptrIlEEjNS1_19radix_merge_compareILb0ELb0EfNS0_19identity_decomposerEEEEE10hipError_tT0_T1_T2_jT3_P12ihipStream_tbPNSt15iterator_traitsISG_E10value_typeEPNSM_ISH_E10value_typeEPSI_NS1_7vsmem_tEENKUlT_SG_SH_SI_E_clIS7_S7_SB_PlEESF_SV_SG_SH_SI_EUlSV_E0_NS1_11comp_targetILNS1_3genE3ELNS1_11target_archE908ELNS1_3gpuE7ELNS1_3repE0EEENS1_38merge_mergepath_config_static_selectorELNS0_4arch9wavefront6targetE1EEEvSH_
	.p2align	8
	.type	_ZN7rocprim17ROCPRIM_400000_NS6detail17trampoline_kernelINS0_14default_configENS1_38merge_sort_block_merge_config_selectorIflEEZZNS1_27merge_sort_block_merge_implIS3_PfN6thrust23THRUST_200600_302600_NS10device_ptrIlEEjNS1_19radix_merge_compareILb0ELb0EfNS0_19identity_decomposerEEEEE10hipError_tT0_T1_T2_jT3_P12ihipStream_tbPNSt15iterator_traitsISG_E10value_typeEPNSM_ISH_E10value_typeEPSI_NS1_7vsmem_tEENKUlT_SG_SH_SI_E_clIS7_S7_SB_PlEESF_SV_SG_SH_SI_EUlSV_E0_NS1_11comp_targetILNS1_3genE3ELNS1_11target_archE908ELNS1_3gpuE7ELNS1_3repE0EEENS1_38merge_mergepath_config_static_selectorELNS0_4arch9wavefront6targetE1EEEvSH_,@function
_ZN7rocprim17ROCPRIM_400000_NS6detail17trampoline_kernelINS0_14default_configENS1_38merge_sort_block_merge_config_selectorIflEEZZNS1_27merge_sort_block_merge_implIS3_PfN6thrust23THRUST_200600_302600_NS10device_ptrIlEEjNS1_19radix_merge_compareILb0ELb0EfNS0_19identity_decomposerEEEEE10hipError_tT0_T1_T2_jT3_P12ihipStream_tbPNSt15iterator_traitsISG_E10value_typeEPNSM_ISH_E10value_typeEPSI_NS1_7vsmem_tEENKUlT_SG_SH_SI_E_clIS7_S7_SB_PlEESF_SV_SG_SH_SI_EUlSV_E0_NS1_11comp_targetILNS1_3genE3ELNS1_11target_archE908ELNS1_3gpuE7ELNS1_3repE0EEENS1_38merge_mergepath_config_static_selectorELNS0_4arch9wavefront6targetE1EEEvSH_: ; @_ZN7rocprim17ROCPRIM_400000_NS6detail17trampoline_kernelINS0_14default_configENS1_38merge_sort_block_merge_config_selectorIflEEZZNS1_27merge_sort_block_merge_implIS3_PfN6thrust23THRUST_200600_302600_NS10device_ptrIlEEjNS1_19radix_merge_compareILb0ELb0EfNS0_19identity_decomposerEEEEE10hipError_tT0_T1_T2_jT3_P12ihipStream_tbPNSt15iterator_traitsISG_E10value_typeEPNSM_ISH_E10value_typeEPSI_NS1_7vsmem_tEENKUlT_SG_SH_SI_E_clIS7_S7_SB_PlEESF_SV_SG_SH_SI_EUlSV_E0_NS1_11comp_targetILNS1_3genE3ELNS1_11target_archE908ELNS1_3gpuE7ELNS1_3repE0EEENS1_38merge_mergepath_config_static_selectorELNS0_4arch9wavefront6targetE1EEEvSH_
; %bb.0:
	.section	.rodata,"a",@progbits
	.p2align	6, 0x0
	.amdhsa_kernel _ZN7rocprim17ROCPRIM_400000_NS6detail17trampoline_kernelINS0_14default_configENS1_38merge_sort_block_merge_config_selectorIflEEZZNS1_27merge_sort_block_merge_implIS3_PfN6thrust23THRUST_200600_302600_NS10device_ptrIlEEjNS1_19radix_merge_compareILb0ELb0EfNS0_19identity_decomposerEEEEE10hipError_tT0_T1_T2_jT3_P12ihipStream_tbPNSt15iterator_traitsISG_E10value_typeEPNSM_ISH_E10value_typeEPSI_NS1_7vsmem_tEENKUlT_SG_SH_SI_E_clIS7_S7_SB_PlEESF_SV_SG_SH_SI_EUlSV_E0_NS1_11comp_targetILNS1_3genE3ELNS1_11target_archE908ELNS1_3gpuE7ELNS1_3repE0EEENS1_38merge_mergepath_config_static_selectorELNS0_4arch9wavefront6targetE1EEEvSH_
		.amdhsa_group_segment_fixed_size 0
		.amdhsa_private_segment_fixed_size 0
		.amdhsa_kernarg_size 64
		.amdhsa_user_sgpr_count 6
		.amdhsa_user_sgpr_private_segment_buffer 1
		.amdhsa_user_sgpr_dispatch_ptr 0
		.amdhsa_user_sgpr_queue_ptr 0
		.amdhsa_user_sgpr_kernarg_segment_ptr 1
		.amdhsa_user_sgpr_dispatch_id 0
		.amdhsa_user_sgpr_flat_scratch_init 0
		.amdhsa_user_sgpr_kernarg_preload_length 0
		.amdhsa_user_sgpr_kernarg_preload_offset 0
		.amdhsa_user_sgpr_private_segment_size 0
		.amdhsa_uses_dynamic_stack 0
		.amdhsa_system_sgpr_private_segment_wavefront_offset 0
		.amdhsa_system_sgpr_workgroup_id_x 1
		.amdhsa_system_sgpr_workgroup_id_y 0
		.amdhsa_system_sgpr_workgroup_id_z 0
		.amdhsa_system_sgpr_workgroup_info 0
		.amdhsa_system_vgpr_workitem_id 0
		.amdhsa_next_free_vgpr 1
		.amdhsa_next_free_sgpr 0
		.amdhsa_accum_offset 4
		.amdhsa_reserve_vcc 0
		.amdhsa_reserve_flat_scratch 0
		.amdhsa_float_round_mode_32 0
		.amdhsa_float_round_mode_16_64 0
		.amdhsa_float_denorm_mode_32 3
		.amdhsa_float_denorm_mode_16_64 3
		.amdhsa_dx10_clamp 1
		.amdhsa_ieee_mode 1
		.amdhsa_fp16_overflow 0
		.amdhsa_tg_split 0
		.amdhsa_exception_fp_ieee_invalid_op 0
		.amdhsa_exception_fp_denorm_src 0
		.amdhsa_exception_fp_ieee_div_zero 0
		.amdhsa_exception_fp_ieee_overflow 0
		.amdhsa_exception_fp_ieee_underflow 0
		.amdhsa_exception_fp_ieee_inexact 0
		.amdhsa_exception_int_div_zero 0
	.end_amdhsa_kernel
	.section	.text._ZN7rocprim17ROCPRIM_400000_NS6detail17trampoline_kernelINS0_14default_configENS1_38merge_sort_block_merge_config_selectorIflEEZZNS1_27merge_sort_block_merge_implIS3_PfN6thrust23THRUST_200600_302600_NS10device_ptrIlEEjNS1_19radix_merge_compareILb0ELb0EfNS0_19identity_decomposerEEEEE10hipError_tT0_T1_T2_jT3_P12ihipStream_tbPNSt15iterator_traitsISG_E10value_typeEPNSM_ISH_E10value_typeEPSI_NS1_7vsmem_tEENKUlT_SG_SH_SI_E_clIS7_S7_SB_PlEESF_SV_SG_SH_SI_EUlSV_E0_NS1_11comp_targetILNS1_3genE3ELNS1_11target_archE908ELNS1_3gpuE7ELNS1_3repE0EEENS1_38merge_mergepath_config_static_selectorELNS0_4arch9wavefront6targetE1EEEvSH_,"axG",@progbits,_ZN7rocprim17ROCPRIM_400000_NS6detail17trampoline_kernelINS0_14default_configENS1_38merge_sort_block_merge_config_selectorIflEEZZNS1_27merge_sort_block_merge_implIS3_PfN6thrust23THRUST_200600_302600_NS10device_ptrIlEEjNS1_19radix_merge_compareILb0ELb0EfNS0_19identity_decomposerEEEEE10hipError_tT0_T1_T2_jT3_P12ihipStream_tbPNSt15iterator_traitsISG_E10value_typeEPNSM_ISH_E10value_typeEPSI_NS1_7vsmem_tEENKUlT_SG_SH_SI_E_clIS7_S7_SB_PlEESF_SV_SG_SH_SI_EUlSV_E0_NS1_11comp_targetILNS1_3genE3ELNS1_11target_archE908ELNS1_3gpuE7ELNS1_3repE0EEENS1_38merge_mergepath_config_static_selectorELNS0_4arch9wavefront6targetE1EEEvSH_,comdat
.Lfunc_end1796:
	.size	_ZN7rocprim17ROCPRIM_400000_NS6detail17trampoline_kernelINS0_14default_configENS1_38merge_sort_block_merge_config_selectorIflEEZZNS1_27merge_sort_block_merge_implIS3_PfN6thrust23THRUST_200600_302600_NS10device_ptrIlEEjNS1_19radix_merge_compareILb0ELb0EfNS0_19identity_decomposerEEEEE10hipError_tT0_T1_T2_jT3_P12ihipStream_tbPNSt15iterator_traitsISG_E10value_typeEPNSM_ISH_E10value_typeEPSI_NS1_7vsmem_tEENKUlT_SG_SH_SI_E_clIS7_S7_SB_PlEESF_SV_SG_SH_SI_EUlSV_E0_NS1_11comp_targetILNS1_3genE3ELNS1_11target_archE908ELNS1_3gpuE7ELNS1_3repE0EEENS1_38merge_mergepath_config_static_selectorELNS0_4arch9wavefront6targetE1EEEvSH_, .Lfunc_end1796-_ZN7rocprim17ROCPRIM_400000_NS6detail17trampoline_kernelINS0_14default_configENS1_38merge_sort_block_merge_config_selectorIflEEZZNS1_27merge_sort_block_merge_implIS3_PfN6thrust23THRUST_200600_302600_NS10device_ptrIlEEjNS1_19radix_merge_compareILb0ELb0EfNS0_19identity_decomposerEEEEE10hipError_tT0_T1_T2_jT3_P12ihipStream_tbPNSt15iterator_traitsISG_E10value_typeEPNSM_ISH_E10value_typeEPSI_NS1_7vsmem_tEENKUlT_SG_SH_SI_E_clIS7_S7_SB_PlEESF_SV_SG_SH_SI_EUlSV_E0_NS1_11comp_targetILNS1_3genE3ELNS1_11target_archE908ELNS1_3gpuE7ELNS1_3repE0EEENS1_38merge_mergepath_config_static_selectorELNS0_4arch9wavefront6targetE1EEEvSH_
                                        ; -- End function
	.section	.AMDGPU.csdata,"",@progbits
; Kernel info:
; codeLenInByte = 0
; NumSgprs: 4
; NumVgprs: 0
; NumAgprs: 0
; TotalNumVgprs: 0
; ScratchSize: 0
; MemoryBound: 0
; FloatMode: 240
; IeeeMode: 1
; LDSByteSize: 0 bytes/workgroup (compile time only)
; SGPRBlocks: 0
; VGPRBlocks: 0
; NumSGPRsForWavesPerEU: 4
; NumVGPRsForWavesPerEU: 1
; AccumOffset: 4
; Occupancy: 8
; WaveLimiterHint : 0
; COMPUTE_PGM_RSRC2:SCRATCH_EN: 0
; COMPUTE_PGM_RSRC2:USER_SGPR: 6
; COMPUTE_PGM_RSRC2:TRAP_HANDLER: 0
; COMPUTE_PGM_RSRC2:TGID_X_EN: 1
; COMPUTE_PGM_RSRC2:TGID_Y_EN: 0
; COMPUTE_PGM_RSRC2:TGID_Z_EN: 0
; COMPUTE_PGM_RSRC2:TIDIG_COMP_CNT: 0
; COMPUTE_PGM_RSRC3_GFX90A:ACCUM_OFFSET: 0
; COMPUTE_PGM_RSRC3_GFX90A:TG_SPLIT: 0
	.section	.text._ZN7rocprim17ROCPRIM_400000_NS6detail17trampoline_kernelINS0_14default_configENS1_38merge_sort_block_merge_config_selectorIflEEZZNS1_27merge_sort_block_merge_implIS3_PfN6thrust23THRUST_200600_302600_NS10device_ptrIlEEjNS1_19radix_merge_compareILb0ELb0EfNS0_19identity_decomposerEEEEE10hipError_tT0_T1_T2_jT3_P12ihipStream_tbPNSt15iterator_traitsISG_E10value_typeEPNSM_ISH_E10value_typeEPSI_NS1_7vsmem_tEENKUlT_SG_SH_SI_E_clIS7_S7_SB_PlEESF_SV_SG_SH_SI_EUlSV_E0_NS1_11comp_targetILNS1_3genE2ELNS1_11target_archE906ELNS1_3gpuE6ELNS1_3repE0EEENS1_38merge_mergepath_config_static_selectorELNS0_4arch9wavefront6targetE1EEEvSH_,"axG",@progbits,_ZN7rocprim17ROCPRIM_400000_NS6detail17trampoline_kernelINS0_14default_configENS1_38merge_sort_block_merge_config_selectorIflEEZZNS1_27merge_sort_block_merge_implIS3_PfN6thrust23THRUST_200600_302600_NS10device_ptrIlEEjNS1_19radix_merge_compareILb0ELb0EfNS0_19identity_decomposerEEEEE10hipError_tT0_T1_T2_jT3_P12ihipStream_tbPNSt15iterator_traitsISG_E10value_typeEPNSM_ISH_E10value_typeEPSI_NS1_7vsmem_tEENKUlT_SG_SH_SI_E_clIS7_S7_SB_PlEESF_SV_SG_SH_SI_EUlSV_E0_NS1_11comp_targetILNS1_3genE2ELNS1_11target_archE906ELNS1_3gpuE6ELNS1_3repE0EEENS1_38merge_mergepath_config_static_selectorELNS0_4arch9wavefront6targetE1EEEvSH_,comdat
	.protected	_ZN7rocprim17ROCPRIM_400000_NS6detail17trampoline_kernelINS0_14default_configENS1_38merge_sort_block_merge_config_selectorIflEEZZNS1_27merge_sort_block_merge_implIS3_PfN6thrust23THRUST_200600_302600_NS10device_ptrIlEEjNS1_19radix_merge_compareILb0ELb0EfNS0_19identity_decomposerEEEEE10hipError_tT0_T1_T2_jT3_P12ihipStream_tbPNSt15iterator_traitsISG_E10value_typeEPNSM_ISH_E10value_typeEPSI_NS1_7vsmem_tEENKUlT_SG_SH_SI_E_clIS7_S7_SB_PlEESF_SV_SG_SH_SI_EUlSV_E0_NS1_11comp_targetILNS1_3genE2ELNS1_11target_archE906ELNS1_3gpuE6ELNS1_3repE0EEENS1_38merge_mergepath_config_static_selectorELNS0_4arch9wavefront6targetE1EEEvSH_ ; -- Begin function _ZN7rocprim17ROCPRIM_400000_NS6detail17trampoline_kernelINS0_14default_configENS1_38merge_sort_block_merge_config_selectorIflEEZZNS1_27merge_sort_block_merge_implIS3_PfN6thrust23THRUST_200600_302600_NS10device_ptrIlEEjNS1_19radix_merge_compareILb0ELb0EfNS0_19identity_decomposerEEEEE10hipError_tT0_T1_T2_jT3_P12ihipStream_tbPNSt15iterator_traitsISG_E10value_typeEPNSM_ISH_E10value_typeEPSI_NS1_7vsmem_tEENKUlT_SG_SH_SI_E_clIS7_S7_SB_PlEESF_SV_SG_SH_SI_EUlSV_E0_NS1_11comp_targetILNS1_3genE2ELNS1_11target_archE906ELNS1_3gpuE6ELNS1_3repE0EEENS1_38merge_mergepath_config_static_selectorELNS0_4arch9wavefront6targetE1EEEvSH_
	.globl	_ZN7rocprim17ROCPRIM_400000_NS6detail17trampoline_kernelINS0_14default_configENS1_38merge_sort_block_merge_config_selectorIflEEZZNS1_27merge_sort_block_merge_implIS3_PfN6thrust23THRUST_200600_302600_NS10device_ptrIlEEjNS1_19radix_merge_compareILb0ELb0EfNS0_19identity_decomposerEEEEE10hipError_tT0_T1_T2_jT3_P12ihipStream_tbPNSt15iterator_traitsISG_E10value_typeEPNSM_ISH_E10value_typeEPSI_NS1_7vsmem_tEENKUlT_SG_SH_SI_E_clIS7_S7_SB_PlEESF_SV_SG_SH_SI_EUlSV_E0_NS1_11comp_targetILNS1_3genE2ELNS1_11target_archE906ELNS1_3gpuE6ELNS1_3repE0EEENS1_38merge_mergepath_config_static_selectorELNS0_4arch9wavefront6targetE1EEEvSH_
	.p2align	8
	.type	_ZN7rocprim17ROCPRIM_400000_NS6detail17trampoline_kernelINS0_14default_configENS1_38merge_sort_block_merge_config_selectorIflEEZZNS1_27merge_sort_block_merge_implIS3_PfN6thrust23THRUST_200600_302600_NS10device_ptrIlEEjNS1_19radix_merge_compareILb0ELb0EfNS0_19identity_decomposerEEEEE10hipError_tT0_T1_T2_jT3_P12ihipStream_tbPNSt15iterator_traitsISG_E10value_typeEPNSM_ISH_E10value_typeEPSI_NS1_7vsmem_tEENKUlT_SG_SH_SI_E_clIS7_S7_SB_PlEESF_SV_SG_SH_SI_EUlSV_E0_NS1_11comp_targetILNS1_3genE2ELNS1_11target_archE906ELNS1_3gpuE6ELNS1_3repE0EEENS1_38merge_mergepath_config_static_selectorELNS0_4arch9wavefront6targetE1EEEvSH_,@function
_ZN7rocprim17ROCPRIM_400000_NS6detail17trampoline_kernelINS0_14default_configENS1_38merge_sort_block_merge_config_selectorIflEEZZNS1_27merge_sort_block_merge_implIS3_PfN6thrust23THRUST_200600_302600_NS10device_ptrIlEEjNS1_19radix_merge_compareILb0ELb0EfNS0_19identity_decomposerEEEEE10hipError_tT0_T1_T2_jT3_P12ihipStream_tbPNSt15iterator_traitsISG_E10value_typeEPNSM_ISH_E10value_typeEPSI_NS1_7vsmem_tEENKUlT_SG_SH_SI_E_clIS7_S7_SB_PlEESF_SV_SG_SH_SI_EUlSV_E0_NS1_11comp_targetILNS1_3genE2ELNS1_11target_archE906ELNS1_3gpuE6ELNS1_3repE0EEENS1_38merge_mergepath_config_static_selectorELNS0_4arch9wavefront6targetE1EEEvSH_: ; @_ZN7rocprim17ROCPRIM_400000_NS6detail17trampoline_kernelINS0_14default_configENS1_38merge_sort_block_merge_config_selectorIflEEZZNS1_27merge_sort_block_merge_implIS3_PfN6thrust23THRUST_200600_302600_NS10device_ptrIlEEjNS1_19radix_merge_compareILb0ELb0EfNS0_19identity_decomposerEEEEE10hipError_tT0_T1_T2_jT3_P12ihipStream_tbPNSt15iterator_traitsISG_E10value_typeEPNSM_ISH_E10value_typeEPSI_NS1_7vsmem_tEENKUlT_SG_SH_SI_E_clIS7_S7_SB_PlEESF_SV_SG_SH_SI_EUlSV_E0_NS1_11comp_targetILNS1_3genE2ELNS1_11target_archE906ELNS1_3gpuE6ELNS1_3repE0EEENS1_38merge_mergepath_config_static_selectorELNS0_4arch9wavefront6targetE1EEEvSH_
; %bb.0:
	.section	.rodata,"a",@progbits
	.p2align	6, 0x0
	.amdhsa_kernel _ZN7rocprim17ROCPRIM_400000_NS6detail17trampoline_kernelINS0_14default_configENS1_38merge_sort_block_merge_config_selectorIflEEZZNS1_27merge_sort_block_merge_implIS3_PfN6thrust23THRUST_200600_302600_NS10device_ptrIlEEjNS1_19radix_merge_compareILb0ELb0EfNS0_19identity_decomposerEEEEE10hipError_tT0_T1_T2_jT3_P12ihipStream_tbPNSt15iterator_traitsISG_E10value_typeEPNSM_ISH_E10value_typeEPSI_NS1_7vsmem_tEENKUlT_SG_SH_SI_E_clIS7_S7_SB_PlEESF_SV_SG_SH_SI_EUlSV_E0_NS1_11comp_targetILNS1_3genE2ELNS1_11target_archE906ELNS1_3gpuE6ELNS1_3repE0EEENS1_38merge_mergepath_config_static_selectorELNS0_4arch9wavefront6targetE1EEEvSH_
		.amdhsa_group_segment_fixed_size 0
		.amdhsa_private_segment_fixed_size 0
		.amdhsa_kernarg_size 64
		.amdhsa_user_sgpr_count 6
		.amdhsa_user_sgpr_private_segment_buffer 1
		.amdhsa_user_sgpr_dispatch_ptr 0
		.amdhsa_user_sgpr_queue_ptr 0
		.amdhsa_user_sgpr_kernarg_segment_ptr 1
		.amdhsa_user_sgpr_dispatch_id 0
		.amdhsa_user_sgpr_flat_scratch_init 0
		.amdhsa_user_sgpr_kernarg_preload_length 0
		.amdhsa_user_sgpr_kernarg_preload_offset 0
		.amdhsa_user_sgpr_private_segment_size 0
		.amdhsa_uses_dynamic_stack 0
		.amdhsa_system_sgpr_private_segment_wavefront_offset 0
		.amdhsa_system_sgpr_workgroup_id_x 1
		.amdhsa_system_sgpr_workgroup_id_y 0
		.amdhsa_system_sgpr_workgroup_id_z 0
		.amdhsa_system_sgpr_workgroup_info 0
		.amdhsa_system_vgpr_workitem_id 0
		.amdhsa_next_free_vgpr 1
		.amdhsa_next_free_sgpr 0
		.amdhsa_accum_offset 4
		.amdhsa_reserve_vcc 0
		.amdhsa_reserve_flat_scratch 0
		.amdhsa_float_round_mode_32 0
		.amdhsa_float_round_mode_16_64 0
		.amdhsa_float_denorm_mode_32 3
		.amdhsa_float_denorm_mode_16_64 3
		.amdhsa_dx10_clamp 1
		.amdhsa_ieee_mode 1
		.amdhsa_fp16_overflow 0
		.amdhsa_tg_split 0
		.amdhsa_exception_fp_ieee_invalid_op 0
		.amdhsa_exception_fp_denorm_src 0
		.amdhsa_exception_fp_ieee_div_zero 0
		.amdhsa_exception_fp_ieee_overflow 0
		.amdhsa_exception_fp_ieee_underflow 0
		.amdhsa_exception_fp_ieee_inexact 0
		.amdhsa_exception_int_div_zero 0
	.end_amdhsa_kernel
	.section	.text._ZN7rocprim17ROCPRIM_400000_NS6detail17trampoline_kernelINS0_14default_configENS1_38merge_sort_block_merge_config_selectorIflEEZZNS1_27merge_sort_block_merge_implIS3_PfN6thrust23THRUST_200600_302600_NS10device_ptrIlEEjNS1_19radix_merge_compareILb0ELb0EfNS0_19identity_decomposerEEEEE10hipError_tT0_T1_T2_jT3_P12ihipStream_tbPNSt15iterator_traitsISG_E10value_typeEPNSM_ISH_E10value_typeEPSI_NS1_7vsmem_tEENKUlT_SG_SH_SI_E_clIS7_S7_SB_PlEESF_SV_SG_SH_SI_EUlSV_E0_NS1_11comp_targetILNS1_3genE2ELNS1_11target_archE906ELNS1_3gpuE6ELNS1_3repE0EEENS1_38merge_mergepath_config_static_selectorELNS0_4arch9wavefront6targetE1EEEvSH_,"axG",@progbits,_ZN7rocprim17ROCPRIM_400000_NS6detail17trampoline_kernelINS0_14default_configENS1_38merge_sort_block_merge_config_selectorIflEEZZNS1_27merge_sort_block_merge_implIS3_PfN6thrust23THRUST_200600_302600_NS10device_ptrIlEEjNS1_19radix_merge_compareILb0ELb0EfNS0_19identity_decomposerEEEEE10hipError_tT0_T1_T2_jT3_P12ihipStream_tbPNSt15iterator_traitsISG_E10value_typeEPNSM_ISH_E10value_typeEPSI_NS1_7vsmem_tEENKUlT_SG_SH_SI_E_clIS7_S7_SB_PlEESF_SV_SG_SH_SI_EUlSV_E0_NS1_11comp_targetILNS1_3genE2ELNS1_11target_archE906ELNS1_3gpuE6ELNS1_3repE0EEENS1_38merge_mergepath_config_static_selectorELNS0_4arch9wavefront6targetE1EEEvSH_,comdat
.Lfunc_end1797:
	.size	_ZN7rocprim17ROCPRIM_400000_NS6detail17trampoline_kernelINS0_14default_configENS1_38merge_sort_block_merge_config_selectorIflEEZZNS1_27merge_sort_block_merge_implIS3_PfN6thrust23THRUST_200600_302600_NS10device_ptrIlEEjNS1_19radix_merge_compareILb0ELb0EfNS0_19identity_decomposerEEEEE10hipError_tT0_T1_T2_jT3_P12ihipStream_tbPNSt15iterator_traitsISG_E10value_typeEPNSM_ISH_E10value_typeEPSI_NS1_7vsmem_tEENKUlT_SG_SH_SI_E_clIS7_S7_SB_PlEESF_SV_SG_SH_SI_EUlSV_E0_NS1_11comp_targetILNS1_3genE2ELNS1_11target_archE906ELNS1_3gpuE6ELNS1_3repE0EEENS1_38merge_mergepath_config_static_selectorELNS0_4arch9wavefront6targetE1EEEvSH_, .Lfunc_end1797-_ZN7rocprim17ROCPRIM_400000_NS6detail17trampoline_kernelINS0_14default_configENS1_38merge_sort_block_merge_config_selectorIflEEZZNS1_27merge_sort_block_merge_implIS3_PfN6thrust23THRUST_200600_302600_NS10device_ptrIlEEjNS1_19radix_merge_compareILb0ELb0EfNS0_19identity_decomposerEEEEE10hipError_tT0_T1_T2_jT3_P12ihipStream_tbPNSt15iterator_traitsISG_E10value_typeEPNSM_ISH_E10value_typeEPSI_NS1_7vsmem_tEENKUlT_SG_SH_SI_E_clIS7_S7_SB_PlEESF_SV_SG_SH_SI_EUlSV_E0_NS1_11comp_targetILNS1_3genE2ELNS1_11target_archE906ELNS1_3gpuE6ELNS1_3repE0EEENS1_38merge_mergepath_config_static_selectorELNS0_4arch9wavefront6targetE1EEEvSH_
                                        ; -- End function
	.section	.AMDGPU.csdata,"",@progbits
; Kernel info:
; codeLenInByte = 0
; NumSgprs: 4
; NumVgprs: 0
; NumAgprs: 0
; TotalNumVgprs: 0
; ScratchSize: 0
; MemoryBound: 0
; FloatMode: 240
; IeeeMode: 1
; LDSByteSize: 0 bytes/workgroup (compile time only)
; SGPRBlocks: 0
; VGPRBlocks: 0
; NumSGPRsForWavesPerEU: 4
; NumVGPRsForWavesPerEU: 1
; AccumOffset: 4
; Occupancy: 8
; WaveLimiterHint : 0
; COMPUTE_PGM_RSRC2:SCRATCH_EN: 0
; COMPUTE_PGM_RSRC2:USER_SGPR: 6
; COMPUTE_PGM_RSRC2:TRAP_HANDLER: 0
; COMPUTE_PGM_RSRC2:TGID_X_EN: 1
; COMPUTE_PGM_RSRC2:TGID_Y_EN: 0
; COMPUTE_PGM_RSRC2:TGID_Z_EN: 0
; COMPUTE_PGM_RSRC2:TIDIG_COMP_CNT: 0
; COMPUTE_PGM_RSRC3_GFX90A:ACCUM_OFFSET: 0
; COMPUTE_PGM_RSRC3_GFX90A:TG_SPLIT: 0
	.section	.text._ZN7rocprim17ROCPRIM_400000_NS6detail17trampoline_kernelINS0_14default_configENS1_38merge_sort_block_merge_config_selectorIflEEZZNS1_27merge_sort_block_merge_implIS3_PfN6thrust23THRUST_200600_302600_NS10device_ptrIlEEjNS1_19radix_merge_compareILb0ELb0EfNS0_19identity_decomposerEEEEE10hipError_tT0_T1_T2_jT3_P12ihipStream_tbPNSt15iterator_traitsISG_E10value_typeEPNSM_ISH_E10value_typeEPSI_NS1_7vsmem_tEENKUlT_SG_SH_SI_E_clIS7_S7_SB_PlEESF_SV_SG_SH_SI_EUlSV_E0_NS1_11comp_targetILNS1_3genE9ELNS1_11target_archE1100ELNS1_3gpuE3ELNS1_3repE0EEENS1_38merge_mergepath_config_static_selectorELNS0_4arch9wavefront6targetE1EEEvSH_,"axG",@progbits,_ZN7rocprim17ROCPRIM_400000_NS6detail17trampoline_kernelINS0_14default_configENS1_38merge_sort_block_merge_config_selectorIflEEZZNS1_27merge_sort_block_merge_implIS3_PfN6thrust23THRUST_200600_302600_NS10device_ptrIlEEjNS1_19radix_merge_compareILb0ELb0EfNS0_19identity_decomposerEEEEE10hipError_tT0_T1_T2_jT3_P12ihipStream_tbPNSt15iterator_traitsISG_E10value_typeEPNSM_ISH_E10value_typeEPSI_NS1_7vsmem_tEENKUlT_SG_SH_SI_E_clIS7_S7_SB_PlEESF_SV_SG_SH_SI_EUlSV_E0_NS1_11comp_targetILNS1_3genE9ELNS1_11target_archE1100ELNS1_3gpuE3ELNS1_3repE0EEENS1_38merge_mergepath_config_static_selectorELNS0_4arch9wavefront6targetE1EEEvSH_,comdat
	.protected	_ZN7rocprim17ROCPRIM_400000_NS6detail17trampoline_kernelINS0_14default_configENS1_38merge_sort_block_merge_config_selectorIflEEZZNS1_27merge_sort_block_merge_implIS3_PfN6thrust23THRUST_200600_302600_NS10device_ptrIlEEjNS1_19radix_merge_compareILb0ELb0EfNS0_19identity_decomposerEEEEE10hipError_tT0_T1_T2_jT3_P12ihipStream_tbPNSt15iterator_traitsISG_E10value_typeEPNSM_ISH_E10value_typeEPSI_NS1_7vsmem_tEENKUlT_SG_SH_SI_E_clIS7_S7_SB_PlEESF_SV_SG_SH_SI_EUlSV_E0_NS1_11comp_targetILNS1_3genE9ELNS1_11target_archE1100ELNS1_3gpuE3ELNS1_3repE0EEENS1_38merge_mergepath_config_static_selectorELNS0_4arch9wavefront6targetE1EEEvSH_ ; -- Begin function _ZN7rocprim17ROCPRIM_400000_NS6detail17trampoline_kernelINS0_14default_configENS1_38merge_sort_block_merge_config_selectorIflEEZZNS1_27merge_sort_block_merge_implIS3_PfN6thrust23THRUST_200600_302600_NS10device_ptrIlEEjNS1_19radix_merge_compareILb0ELb0EfNS0_19identity_decomposerEEEEE10hipError_tT0_T1_T2_jT3_P12ihipStream_tbPNSt15iterator_traitsISG_E10value_typeEPNSM_ISH_E10value_typeEPSI_NS1_7vsmem_tEENKUlT_SG_SH_SI_E_clIS7_S7_SB_PlEESF_SV_SG_SH_SI_EUlSV_E0_NS1_11comp_targetILNS1_3genE9ELNS1_11target_archE1100ELNS1_3gpuE3ELNS1_3repE0EEENS1_38merge_mergepath_config_static_selectorELNS0_4arch9wavefront6targetE1EEEvSH_
	.globl	_ZN7rocprim17ROCPRIM_400000_NS6detail17trampoline_kernelINS0_14default_configENS1_38merge_sort_block_merge_config_selectorIflEEZZNS1_27merge_sort_block_merge_implIS3_PfN6thrust23THRUST_200600_302600_NS10device_ptrIlEEjNS1_19radix_merge_compareILb0ELb0EfNS0_19identity_decomposerEEEEE10hipError_tT0_T1_T2_jT3_P12ihipStream_tbPNSt15iterator_traitsISG_E10value_typeEPNSM_ISH_E10value_typeEPSI_NS1_7vsmem_tEENKUlT_SG_SH_SI_E_clIS7_S7_SB_PlEESF_SV_SG_SH_SI_EUlSV_E0_NS1_11comp_targetILNS1_3genE9ELNS1_11target_archE1100ELNS1_3gpuE3ELNS1_3repE0EEENS1_38merge_mergepath_config_static_selectorELNS0_4arch9wavefront6targetE1EEEvSH_
	.p2align	8
	.type	_ZN7rocprim17ROCPRIM_400000_NS6detail17trampoline_kernelINS0_14default_configENS1_38merge_sort_block_merge_config_selectorIflEEZZNS1_27merge_sort_block_merge_implIS3_PfN6thrust23THRUST_200600_302600_NS10device_ptrIlEEjNS1_19radix_merge_compareILb0ELb0EfNS0_19identity_decomposerEEEEE10hipError_tT0_T1_T2_jT3_P12ihipStream_tbPNSt15iterator_traitsISG_E10value_typeEPNSM_ISH_E10value_typeEPSI_NS1_7vsmem_tEENKUlT_SG_SH_SI_E_clIS7_S7_SB_PlEESF_SV_SG_SH_SI_EUlSV_E0_NS1_11comp_targetILNS1_3genE9ELNS1_11target_archE1100ELNS1_3gpuE3ELNS1_3repE0EEENS1_38merge_mergepath_config_static_selectorELNS0_4arch9wavefront6targetE1EEEvSH_,@function
_ZN7rocprim17ROCPRIM_400000_NS6detail17trampoline_kernelINS0_14default_configENS1_38merge_sort_block_merge_config_selectorIflEEZZNS1_27merge_sort_block_merge_implIS3_PfN6thrust23THRUST_200600_302600_NS10device_ptrIlEEjNS1_19radix_merge_compareILb0ELb0EfNS0_19identity_decomposerEEEEE10hipError_tT0_T1_T2_jT3_P12ihipStream_tbPNSt15iterator_traitsISG_E10value_typeEPNSM_ISH_E10value_typeEPSI_NS1_7vsmem_tEENKUlT_SG_SH_SI_E_clIS7_S7_SB_PlEESF_SV_SG_SH_SI_EUlSV_E0_NS1_11comp_targetILNS1_3genE9ELNS1_11target_archE1100ELNS1_3gpuE3ELNS1_3repE0EEENS1_38merge_mergepath_config_static_selectorELNS0_4arch9wavefront6targetE1EEEvSH_: ; @_ZN7rocprim17ROCPRIM_400000_NS6detail17trampoline_kernelINS0_14default_configENS1_38merge_sort_block_merge_config_selectorIflEEZZNS1_27merge_sort_block_merge_implIS3_PfN6thrust23THRUST_200600_302600_NS10device_ptrIlEEjNS1_19radix_merge_compareILb0ELb0EfNS0_19identity_decomposerEEEEE10hipError_tT0_T1_T2_jT3_P12ihipStream_tbPNSt15iterator_traitsISG_E10value_typeEPNSM_ISH_E10value_typeEPSI_NS1_7vsmem_tEENKUlT_SG_SH_SI_E_clIS7_S7_SB_PlEESF_SV_SG_SH_SI_EUlSV_E0_NS1_11comp_targetILNS1_3genE9ELNS1_11target_archE1100ELNS1_3gpuE3ELNS1_3repE0EEENS1_38merge_mergepath_config_static_selectorELNS0_4arch9wavefront6targetE1EEEvSH_
; %bb.0:
	.section	.rodata,"a",@progbits
	.p2align	6, 0x0
	.amdhsa_kernel _ZN7rocprim17ROCPRIM_400000_NS6detail17trampoline_kernelINS0_14default_configENS1_38merge_sort_block_merge_config_selectorIflEEZZNS1_27merge_sort_block_merge_implIS3_PfN6thrust23THRUST_200600_302600_NS10device_ptrIlEEjNS1_19radix_merge_compareILb0ELb0EfNS0_19identity_decomposerEEEEE10hipError_tT0_T1_T2_jT3_P12ihipStream_tbPNSt15iterator_traitsISG_E10value_typeEPNSM_ISH_E10value_typeEPSI_NS1_7vsmem_tEENKUlT_SG_SH_SI_E_clIS7_S7_SB_PlEESF_SV_SG_SH_SI_EUlSV_E0_NS1_11comp_targetILNS1_3genE9ELNS1_11target_archE1100ELNS1_3gpuE3ELNS1_3repE0EEENS1_38merge_mergepath_config_static_selectorELNS0_4arch9wavefront6targetE1EEEvSH_
		.amdhsa_group_segment_fixed_size 0
		.amdhsa_private_segment_fixed_size 0
		.amdhsa_kernarg_size 64
		.amdhsa_user_sgpr_count 6
		.amdhsa_user_sgpr_private_segment_buffer 1
		.amdhsa_user_sgpr_dispatch_ptr 0
		.amdhsa_user_sgpr_queue_ptr 0
		.amdhsa_user_sgpr_kernarg_segment_ptr 1
		.amdhsa_user_sgpr_dispatch_id 0
		.amdhsa_user_sgpr_flat_scratch_init 0
		.amdhsa_user_sgpr_kernarg_preload_length 0
		.amdhsa_user_sgpr_kernarg_preload_offset 0
		.amdhsa_user_sgpr_private_segment_size 0
		.amdhsa_uses_dynamic_stack 0
		.amdhsa_system_sgpr_private_segment_wavefront_offset 0
		.amdhsa_system_sgpr_workgroup_id_x 1
		.amdhsa_system_sgpr_workgroup_id_y 0
		.amdhsa_system_sgpr_workgroup_id_z 0
		.amdhsa_system_sgpr_workgroup_info 0
		.amdhsa_system_vgpr_workitem_id 0
		.amdhsa_next_free_vgpr 1
		.amdhsa_next_free_sgpr 0
		.amdhsa_accum_offset 4
		.amdhsa_reserve_vcc 0
		.amdhsa_reserve_flat_scratch 0
		.amdhsa_float_round_mode_32 0
		.amdhsa_float_round_mode_16_64 0
		.amdhsa_float_denorm_mode_32 3
		.amdhsa_float_denorm_mode_16_64 3
		.amdhsa_dx10_clamp 1
		.amdhsa_ieee_mode 1
		.amdhsa_fp16_overflow 0
		.amdhsa_tg_split 0
		.amdhsa_exception_fp_ieee_invalid_op 0
		.amdhsa_exception_fp_denorm_src 0
		.amdhsa_exception_fp_ieee_div_zero 0
		.amdhsa_exception_fp_ieee_overflow 0
		.amdhsa_exception_fp_ieee_underflow 0
		.amdhsa_exception_fp_ieee_inexact 0
		.amdhsa_exception_int_div_zero 0
	.end_amdhsa_kernel
	.section	.text._ZN7rocprim17ROCPRIM_400000_NS6detail17trampoline_kernelINS0_14default_configENS1_38merge_sort_block_merge_config_selectorIflEEZZNS1_27merge_sort_block_merge_implIS3_PfN6thrust23THRUST_200600_302600_NS10device_ptrIlEEjNS1_19radix_merge_compareILb0ELb0EfNS0_19identity_decomposerEEEEE10hipError_tT0_T1_T2_jT3_P12ihipStream_tbPNSt15iterator_traitsISG_E10value_typeEPNSM_ISH_E10value_typeEPSI_NS1_7vsmem_tEENKUlT_SG_SH_SI_E_clIS7_S7_SB_PlEESF_SV_SG_SH_SI_EUlSV_E0_NS1_11comp_targetILNS1_3genE9ELNS1_11target_archE1100ELNS1_3gpuE3ELNS1_3repE0EEENS1_38merge_mergepath_config_static_selectorELNS0_4arch9wavefront6targetE1EEEvSH_,"axG",@progbits,_ZN7rocprim17ROCPRIM_400000_NS6detail17trampoline_kernelINS0_14default_configENS1_38merge_sort_block_merge_config_selectorIflEEZZNS1_27merge_sort_block_merge_implIS3_PfN6thrust23THRUST_200600_302600_NS10device_ptrIlEEjNS1_19radix_merge_compareILb0ELb0EfNS0_19identity_decomposerEEEEE10hipError_tT0_T1_T2_jT3_P12ihipStream_tbPNSt15iterator_traitsISG_E10value_typeEPNSM_ISH_E10value_typeEPSI_NS1_7vsmem_tEENKUlT_SG_SH_SI_E_clIS7_S7_SB_PlEESF_SV_SG_SH_SI_EUlSV_E0_NS1_11comp_targetILNS1_3genE9ELNS1_11target_archE1100ELNS1_3gpuE3ELNS1_3repE0EEENS1_38merge_mergepath_config_static_selectorELNS0_4arch9wavefront6targetE1EEEvSH_,comdat
.Lfunc_end1798:
	.size	_ZN7rocprim17ROCPRIM_400000_NS6detail17trampoline_kernelINS0_14default_configENS1_38merge_sort_block_merge_config_selectorIflEEZZNS1_27merge_sort_block_merge_implIS3_PfN6thrust23THRUST_200600_302600_NS10device_ptrIlEEjNS1_19radix_merge_compareILb0ELb0EfNS0_19identity_decomposerEEEEE10hipError_tT0_T1_T2_jT3_P12ihipStream_tbPNSt15iterator_traitsISG_E10value_typeEPNSM_ISH_E10value_typeEPSI_NS1_7vsmem_tEENKUlT_SG_SH_SI_E_clIS7_S7_SB_PlEESF_SV_SG_SH_SI_EUlSV_E0_NS1_11comp_targetILNS1_3genE9ELNS1_11target_archE1100ELNS1_3gpuE3ELNS1_3repE0EEENS1_38merge_mergepath_config_static_selectorELNS0_4arch9wavefront6targetE1EEEvSH_, .Lfunc_end1798-_ZN7rocprim17ROCPRIM_400000_NS6detail17trampoline_kernelINS0_14default_configENS1_38merge_sort_block_merge_config_selectorIflEEZZNS1_27merge_sort_block_merge_implIS3_PfN6thrust23THRUST_200600_302600_NS10device_ptrIlEEjNS1_19radix_merge_compareILb0ELb0EfNS0_19identity_decomposerEEEEE10hipError_tT0_T1_T2_jT3_P12ihipStream_tbPNSt15iterator_traitsISG_E10value_typeEPNSM_ISH_E10value_typeEPSI_NS1_7vsmem_tEENKUlT_SG_SH_SI_E_clIS7_S7_SB_PlEESF_SV_SG_SH_SI_EUlSV_E0_NS1_11comp_targetILNS1_3genE9ELNS1_11target_archE1100ELNS1_3gpuE3ELNS1_3repE0EEENS1_38merge_mergepath_config_static_selectorELNS0_4arch9wavefront6targetE1EEEvSH_
                                        ; -- End function
	.section	.AMDGPU.csdata,"",@progbits
; Kernel info:
; codeLenInByte = 0
; NumSgprs: 4
; NumVgprs: 0
; NumAgprs: 0
; TotalNumVgprs: 0
; ScratchSize: 0
; MemoryBound: 0
; FloatMode: 240
; IeeeMode: 1
; LDSByteSize: 0 bytes/workgroup (compile time only)
; SGPRBlocks: 0
; VGPRBlocks: 0
; NumSGPRsForWavesPerEU: 4
; NumVGPRsForWavesPerEU: 1
; AccumOffset: 4
; Occupancy: 8
; WaveLimiterHint : 0
; COMPUTE_PGM_RSRC2:SCRATCH_EN: 0
; COMPUTE_PGM_RSRC2:USER_SGPR: 6
; COMPUTE_PGM_RSRC2:TRAP_HANDLER: 0
; COMPUTE_PGM_RSRC2:TGID_X_EN: 1
; COMPUTE_PGM_RSRC2:TGID_Y_EN: 0
; COMPUTE_PGM_RSRC2:TGID_Z_EN: 0
; COMPUTE_PGM_RSRC2:TIDIG_COMP_CNT: 0
; COMPUTE_PGM_RSRC3_GFX90A:ACCUM_OFFSET: 0
; COMPUTE_PGM_RSRC3_GFX90A:TG_SPLIT: 0
	.section	.text._ZN7rocprim17ROCPRIM_400000_NS6detail17trampoline_kernelINS0_14default_configENS1_38merge_sort_block_merge_config_selectorIflEEZZNS1_27merge_sort_block_merge_implIS3_PfN6thrust23THRUST_200600_302600_NS10device_ptrIlEEjNS1_19radix_merge_compareILb0ELb0EfNS0_19identity_decomposerEEEEE10hipError_tT0_T1_T2_jT3_P12ihipStream_tbPNSt15iterator_traitsISG_E10value_typeEPNSM_ISH_E10value_typeEPSI_NS1_7vsmem_tEENKUlT_SG_SH_SI_E_clIS7_S7_SB_PlEESF_SV_SG_SH_SI_EUlSV_E0_NS1_11comp_targetILNS1_3genE8ELNS1_11target_archE1030ELNS1_3gpuE2ELNS1_3repE0EEENS1_38merge_mergepath_config_static_selectorELNS0_4arch9wavefront6targetE1EEEvSH_,"axG",@progbits,_ZN7rocprim17ROCPRIM_400000_NS6detail17trampoline_kernelINS0_14default_configENS1_38merge_sort_block_merge_config_selectorIflEEZZNS1_27merge_sort_block_merge_implIS3_PfN6thrust23THRUST_200600_302600_NS10device_ptrIlEEjNS1_19radix_merge_compareILb0ELb0EfNS0_19identity_decomposerEEEEE10hipError_tT0_T1_T2_jT3_P12ihipStream_tbPNSt15iterator_traitsISG_E10value_typeEPNSM_ISH_E10value_typeEPSI_NS1_7vsmem_tEENKUlT_SG_SH_SI_E_clIS7_S7_SB_PlEESF_SV_SG_SH_SI_EUlSV_E0_NS1_11comp_targetILNS1_3genE8ELNS1_11target_archE1030ELNS1_3gpuE2ELNS1_3repE0EEENS1_38merge_mergepath_config_static_selectorELNS0_4arch9wavefront6targetE1EEEvSH_,comdat
	.protected	_ZN7rocprim17ROCPRIM_400000_NS6detail17trampoline_kernelINS0_14default_configENS1_38merge_sort_block_merge_config_selectorIflEEZZNS1_27merge_sort_block_merge_implIS3_PfN6thrust23THRUST_200600_302600_NS10device_ptrIlEEjNS1_19radix_merge_compareILb0ELb0EfNS0_19identity_decomposerEEEEE10hipError_tT0_T1_T2_jT3_P12ihipStream_tbPNSt15iterator_traitsISG_E10value_typeEPNSM_ISH_E10value_typeEPSI_NS1_7vsmem_tEENKUlT_SG_SH_SI_E_clIS7_S7_SB_PlEESF_SV_SG_SH_SI_EUlSV_E0_NS1_11comp_targetILNS1_3genE8ELNS1_11target_archE1030ELNS1_3gpuE2ELNS1_3repE0EEENS1_38merge_mergepath_config_static_selectorELNS0_4arch9wavefront6targetE1EEEvSH_ ; -- Begin function _ZN7rocprim17ROCPRIM_400000_NS6detail17trampoline_kernelINS0_14default_configENS1_38merge_sort_block_merge_config_selectorIflEEZZNS1_27merge_sort_block_merge_implIS3_PfN6thrust23THRUST_200600_302600_NS10device_ptrIlEEjNS1_19radix_merge_compareILb0ELb0EfNS0_19identity_decomposerEEEEE10hipError_tT0_T1_T2_jT3_P12ihipStream_tbPNSt15iterator_traitsISG_E10value_typeEPNSM_ISH_E10value_typeEPSI_NS1_7vsmem_tEENKUlT_SG_SH_SI_E_clIS7_S7_SB_PlEESF_SV_SG_SH_SI_EUlSV_E0_NS1_11comp_targetILNS1_3genE8ELNS1_11target_archE1030ELNS1_3gpuE2ELNS1_3repE0EEENS1_38merge_mergepath_config_static_selectorELNS0_4arch9wavefront6targetE1EEEvSH_
	.globl	_ZN7rocprim17ROCPRIM_400000_NS6detail17trampoline_kernelINS0_14default_configENS1_38merge_sort_block_merge_config_selectorIflEEZZNS1_27merge_sort_block_merge_implIS3_PfN6thrust23THRUST_200600_302600_NS10device_ptrIlEEjNS1_19radix_merge_compareILb0ELb0EfNS0_19identity_decomposerEEEEE10hipError_tT0_T1_T2_jT3_P12ihipStream_tbPNSt15iterator_traitsISG_E10value_typeEPNSM_ISH_E10value_typeEPSI_NS1_7vsmem_tEENKUlT_SG_SH_SI_E_clIS7_S7_SB_PlEESF_SV_SG_SH_SI_EUlSV_E0_NS1_11comp_targetILNS1_3genE8ELNS1_11target_archE1030ELNS1_3gpuE2ELNS1_3repE0EEENS1_38merge_mergepath_config_static_selectorELNS0_4arch9wavefront6targetE1EEEvSH_
	.p2align	8
	.type	_ZN7rocprim17ROCPRIM_400000_NS6detail17trampoline_kernelINS0_14default_configENS1_38merge_sort_block_merge_config_selectorIflEEZZNS1_27merge_sort_block_merge_implIS3_PfN6thrust23THRUST_200600_302600_NS10device_ptrIlEEjNS1_19radix_merge_compareILb0ELb0EfNS0_19identity_decomposerEEEEE10hipError_tT0_T1_T2_jT3_P12ihipStream_tbPNSt15iterator_traitsISG_E10value_typeEPNSM_ISH_E10value_typeEPSI_NS1_7vsmem_tEENKUlT_SG_SH_SI_E_clIS7_S7_SB_PlEESF_SV_SG_SH_SI_EUlSV_E0_NS1_11comp_targetILNS1_3genE8ELNS1_11target_archE1030ELNS1_3gpuE2ELNS1_3repE0EEENS1_38merge_mergepath_config_static_selectorELNS0_4arch9wavefront6targetE1EEEvSH_,@function
_ZN7rocprim17ROCPRIM_400000_NS6detail17trampoline_kernelINS0_14default_configENS1_38merge_sort_block_merge_config_selectorIflEEZZNS1_27merge_sort_block_merge_implIS3_PfN6thrust23THRUST_200600_302600_NS10device_ptrIlEEjNS1_19radix_merge_compareILb0ELb0EfNS0_19identity_decomposerEEEEE10hipError_tT0_T1_T2_jT3_P12ihipStream_tbPNSt15iterator_traitsISG_E10value_typeEPNSM_ISH_E10value_typeEPSI_NS1_7vsmem_tEENKUlT_SG_SH_SI_E_clIS7_S7_SB_PlEESF_SV_SG_SH_SI_EUlSV_E0_NS1_11comp_targetILNS1_3genE8ELNS1_11target_archE1030ELNS1_3gpuE2ELNS1_3repE0EEENS1_38merge_mergepath_config_static_selectorELNS0_4arch9wavefront6targetE1EEEvSH_: ; @_ZN7rocprim17ROCPRIM_400000_NS6detail17trampoline_kernelINS0_14default_configENS1_38merge_sort_block_merge_config_selectorIflEEZZNS1_27merge_sort_block_merge_implIS3_PfN6thrust23THRUST_200600_302600_NS10device_ptrIlEEjNS1_19radix_merge_compareILb0ELb0EfNS0_19identity_decomposerEEEEE10hipError_tT0_T1_T2_jT3_P12ihipStream_tbPNSt15iterator_traitsISG_E10value_typeEPNSM_ISH_E10value_typeEPSI_NS1_7vsmem_tEENKUlT_SG_SH_SI_E_clIS7_S7_SB_PlEESF_SV_SG_SH_SI_EUlSV_E0_NS1_11comp_targetILNS1_3genE8ELNS1_11target_archE1030ELNS1_3gpuE2ELNS1_3repE0EEENS1_38merge_mergepath_config_static_selectorELNS0_4arch9wavefront6targetE1EEEvSH_
; %bb.0:
	.section	.rodata,"a",@progbits
	.p2align	6, 0x0
	.amdhsa_kernel _ZN7rocprim17ROCPRIM_400000_NS6detail17trampoline_kernelINS0_14default_configENS1_38merge_sort_block_merge_config_selectorIflEEZZNS1_27merge_sort_block_merge_implIS3_PfN6thrust23THRUST_200600_302600_NS10device_ptrIlEEjNS1_19radix_merge_compareILb0ELb0EfNS0_19identity_decomposerEEEEE10hipError_tT0_T1_T2_jT3_P12ihipStream_tbPNSt15iterator_traitsISG_E10value_typeEPNSM_ISH_E10value_typeEPSI_NS1_7vsmem_tEENKUlT_SG_SH_SI_E_clIS7_S7_SB_PlEESF_SV_SG_SH_SI_EUlSV_E0_NS1_11comp_targetILNS1_3genE8ELNS1_11target_archE1030ELNS1_3gpuE2ELNS1_3repE0EEENS1_38merge_mergepath_config_static_selectorELNS0_4arch9wavefront6targetE1EEEvSH_
		.amdhsa_group_segment_fixed_size 0
		.amdhsa_private_segment_fixed_size 0
		.amdhsa_kernarg_size 64
		.amdhsa_user_sgpr_count 6
		.amdhsa_user_sgpr_private_segment_buffer 1
		.amdhsa_user_sgpr_dispatch_ptr 0
		.amdhsa_user_sgpr_queue_ptr 0
		.amdhsa_user_sgpr_kernarg_segment_ptr 1
		.amdhsa_user_sgpr_dispatch_id 0
		.amdhsa_user_sgpr_flat_scratch_init 0
		.amdhsa_user_sgpr_kernarg_preload_length 0
		.amdhsa_user_sgpr_kernarg_preload_offset 0
		.amdhsa_user_sgpr_private_segment_size 0
		.amdhsa_uses_dynamic_stack 0
		.amdhsa_system_sgpr_private_segment_wavefront_offset 0
		.amdhsa_system_sgpr_workgroup_id_x 1
		.amdhsa_system_sgpr_workgroup_id_y 0
		.amdhsa_system_sgpr_workgroup_id_z 0
		.amdhsa_system_sgpr_workgroup_info 0
		.amdhsa_system_vgpr_workitem_id 0
		.amdhsa_next_free_vgpr 1
		.amdhsa_next_free_sgpr 0
		.amdhsa_accum_offset 4
		.amdhsa_reserve_vcc 0
		.amdhsa_reserve_flat_scratch 0
		.amdhsa_float_round_mode_32 0
		.amdhsa_float_round_mode_16_64 0
		.amdhsa_float_denorm_mode_32 3
		.amdhsa_float_denorm_mode_16_64 3
		.amdhsa_dx10_clamp 1
		.amdhsa_ieee_mode 1
		.amdhsa_fp16_overflow 0
		.amdhsa_tg_split 0
		.amdhsa_exception_fp_ieee_invalid_op 0
		.amdhsa_exception_fp_denorm_src 0
		.amdhsa_exception_fp_ieee_div_zero 0
		.amdhsa_exception_fp_ieee_overflow 0
		.amdhsa_exception_fp_ieee_underflow 0
		.amdhsa_exception_fp_ieee_inexact 0
		.amdhsa_exception_int_div_zero 0
	.end_amdhsa_kernel
	.section	.text._ZN7rocprim17ROCPRIM_400000_NS6detail17trampoline_kernelINS0_14default_configENS1_38merge_sort_block_merge_config_selectorIflEEZZNS1_27merge_sort_block_merge_implIS3_PfN6thrust23THRUST_200600_302600_NS10device_ptrIlEEjNS1_19radix_merge_compareILb0ELb0EfNS0_19identity_decomposerEEEEE10hipError_tT0_T1_T2_jT3_P12ihipStream_tbPNSt15iterator_traitsISG_E10value_typeEPNSM_ISH_E10value_typeEPSI_NS1_7vsmem_tEENKUlT_SG_SH_SI_E_clIS7_S7_SB_PlEESF_SV_SG_SH_SI_EUlSV_E0_NS1_11comp_targetILNS1_3genE8ELNS1_11target_archE1030ELNS1_3gpuE2ELNS1_3repE0EEENS1_38merge_mergepath_config_static_selectorELNS0_4arch9wavefront6targetE1EEEvSH_,"axG",@progbits,_ZN7rocprim17ROCPRIM_400000_NS6detail17trampoline_kernelINS0_14default_configENS1_38merge_sort_block_merge_config_selectorIflEEZZNS1_27merge_sort_block_merge_implIS3_PfN6thrust23THRUST_200600_302600_NS10device_ptrIlEEjNS1_19radix_merge_compareILb0ELb0EfNS0_19identity_decomposerEEEEE10hipError_tT0_T1_T2_jT3_P12ihipStream_tbPNSt15iterator_traitsISG_E10value_typeEPNSM_ISH_E10value_typeEPSI_NS1_7vsmem_tEENKUlT_SG_SH_SI_E_clIS7_S7_SB_PlEESF_SV_SG_SH_SI_EUlSV_E0_NS1_11comp_targetILNS1_3genE8ELNS1_11target_archE1030ELNS1_3gpuE2ELNS1_3repE0EEENS1_38merge_mergepath_config_static_selectorELNS0_4arch9wavefront6targetE1EEEvSH_,comdat
.Lfunc_end1799:
	.size	_ZN7rocprim17ROCPRIM_400000_NS6detail17trampoline_kernelINS0_14default_configENS1_38merge_sort_block_merge_config_selectorIflEEZZNS1_27merge_sort_block_merge_implIS3_PfN6thrust23THRUST_200600_302600_NS10device_ptrIlEEjNS1_19radix_merge_compareILb0ELb0EfNS0_19identity_decomposerEEEEE10hipError_tT0_T1_T2_jT3_P12ihipStream_tbPNSt15iterator_traitsISG_E10value_typeEPNSM_ISH_E10value_typeEPSI_NS1_7vsmem_tEENKUlT_SG_SH_SI_E_clIS7_S7_SB_PlEESF_SV_SG_SH_SI_EUlSV_E0_NS1_11comp_targetILNS1_3genE8ELNS1_11target_archE1030ELNS1_3gpuE2ELNS1_3repE0EEENS1_38merge_mergepath_config_static_selectorELNS0_4arch9wavefront6targetE1EEEvSH_, .Lfunc_end1799-_ZN7rocprim17ROCPRIM_400000_NS6detail17trampoline_kernelINS0_14default_configENS1_38merge_sort_block_merge_config_selectorIflEEZZNS1_27merge_sort_block_merge_implIS3_PfN6thrust23THRUST_200600_302600_NS10device_ptrIlEEjNS1_19radix_merge_compareILb0ELb0EfNS0_19identity_decomposerEEEEE10hipError_tT0_T1_T2_jT3_P12ihipStream_tbPNSt15iterator_traitsISG_E10value_typeEPNSM_ISH_E10value_typeEPSI_NS1_7vsmem_tEENKUlT_SG_SH_SI_E_clIS7_S7_SB_PlEESF_SV_SG_SH_SI_EUlSV_E0_NS1_11comp_targetILNS1_3genE8ELNS1_11target_archE1030ELNS1_3gpuE2ELNS1_3repE0EEENS1_38merge_mergepath_config_static_selectorELNS0_4arch9wavefront6targetE1EEEvSH_
                                        ; -- End function
	.section	.AMDGPU.csdata,"",@progbits
; Kernel info:
; codeLenInByte = 0
; NumSgprs: 4
; NumVgprs: 0
; NumAgprs: 0
; TotalNumVgprs: 0
; ScratchSize: 0
; MemoryBound: 0
; FloatMode: 240
; IeeeMode: 1
; LDSByteSize: 0 bytes/workgroup (compile time only)
; SGPRBlocks: 0
; VGPRBlocks: 0
; NumSGPRsForWavesPerEU: 4
; NumVGPRsForWavesPerEU: 1
; AccumOffset: 4
; Occupancy: 8
; WaveLimiterHint : 0
; COMPUTE_PGM_RSRC2:SCRATCH_EN: 0
; COMPUTE_PGM_RSRC2:USER_SGPR: 6
; COMPUTE_PGM_RSRC2:TRAP_HANDLER: 0
; COMPUTE_PGM_RSRC2:TGID_X_EN: 1
; COMPUTE_PGM_RSRC2:TGID_Y_EN: 0
; COMPUTE_PGM_RSRC2:TGID_Z_EN: 0
; COMPUTE_PGM_RSRC2:TIDIG_COMP_CNT: 0
; COMPUTE_PGM_RSRC3_GFX90A:ACCUM_OFFSET: 0
; COMPUTE_PGM_RSRC3_GFX90A:TG_SPLIT: 0
	.section	.text._ZN7rocprim17ROCPRIM_400000_NS6detail17trampoline_kernelINS0_14default_configENS1_38merge_sort_block_merge_config_selectorIflEEZZNS1_27merge_sort_block_merge_implIS3_PfN6thrust23THRUST_200600_302600_NS10device_ptrIlEEjNS1_19radix_merge_compareILb0ELb0EfNS0_19identity_decomposerEEEEE10hipError_tT0_T1_T2_jT3_P12ihipStream_tbPNSt15iterator_traitsISG_E10value_typeEPNSM_ISH_E10value_typeEPSI_NS1_7vsmem_tEENKUlT_SG_SH_SI_E_clIS7_S7_SB_PlEESF_SV_SG_SH_SI_EUlSV_E1_NS1_11comp_targetILNS1_3genE0ELNS1_11target_archE4294967295ELNS1_3gpuE0ELNS1_3repE0EEENS1_36merge_oddeven_config_static_selectorELNS0_4arch9wavefront6targetE1EEEvSH_,"axG",@progbits,_ZN7rocprim17ROCPRIM_400000_NS6detail17trampoline_kernelINS0_14default_configENS1_38merge_sort_block_merge_config_selectorIflEEZZNS1_27merge_sort_block_merge_implIS3_PfN6thrust23THRUST_200600_302600_NS10device_ptrIlEEjNS1_19radix_merge_compareILb0ELb0EfNS0_19identity_decomposerEEEEE10hipError_tT0_T1_T2_jT3_P12ihipStream_tbPNSt15iterator_traitsISG_E10value_typeEPNSM_ISH_E10value_typeEPSI_NS1_7vsmem_tEENKUlT_SG_SH_SI_E_clIS7_S7_SB_PlEESF_SV_SG_SH_SI_EUlSV_E1_NS1_11comp_targetILNS1_3genE0ELNS1_11target_archE4294967295ELNS1_3gpuE0ELNS1_3repE0EEENS1_36merge_oddeven_config_static_selectorELNS0_4arch9wavefront6targetE1EEEvSH_,comdat
	.protected	_ZN7rocprim17ROCPRIM_400000_NS6detail17trampoline_kernelINS0_14default_configENS1_38merge_sort_block_merge_config_selectorIflEEZZNS1_27merge_sort_block_merge_implIS3_PfN6thrust23THRUST_200600_302600_NS10device_ptrIlEEjNS1_19radix_merge_compareILb0ELb0EfNS0_19identity_decomposerEEEEE10hipError_tT0_T1_T2_jT3_P12ihipStream_tbPNSt15iterator_traitsISG_E10value_typeEPNSM_ISH_E10value_typeEPSI_NS1_7vsmem_tEENKUlT_SG_SH_SI_E_clIS7_S7_SB_PlEESF_SV_SG_SH_SI_EUlSV_E1_NS1_11comp_targetILNS1_3genE0ELNS1_11target_archE4294967295ELNS1_3gpuE0ELNS1_3repE0EEENS1_36merge_oddeven_config_static_selectorELNS0_4arch9wavefront6targetE1EEEvSH_ ; -- Begin function _ZN7rocprim17ROCPRIM_400000_NS6detail17trampoline_kernelINS0_14default_configENS1_38merge_sort_block_merge_config_selectorIflEEZZNS1_27merge_sort_block_merge_implIS3_PfN6thrust23THRUST_200600_302600_NS10device_ptrIlEEjNS1_19radix_merge_compareILb0ELb0EfNS0_19identity_decomposerEEEEE10hipError_tT0_T1_T2_jT3_P12ihipStream_tbPNSt15iterator_traitsISG_E10value_typeEPNSM_ISH_E10value_typeEPSI_NS1_7vsmem_tEENKUlT_SG_SH_SI_E_clIS7_S7_SB_PlEESF_SV_SG_SH_SI_EUlSV_E1_NS1_11comp_targetILNS1_3genE0ELNS1_11target_archE4294967295ELNS1_3gpuE0ELNS1_3repE0EEENS1_36merge_oddeven_config_static_selectorELNS0_4arch9wavefront6targetE1EEEvSH_
	.globl	_ZN7rocprim17ROCPRIM_400000_NS6detail17trampoline_kernelINS0_14default_configENS1_38merge_sort_block_merge_config_selectorIflEEZZNS1_27merge_sort_block_merge_implIS3_PfN6thrust23THRUST_200600_302600_NS10device_ptrIlEEjNS1_19radix_merge_compareILb0ELb0EfNS0_19identity_decomposerEEEEE10hipError_tT0_T1_T2_jT3_P12ihipStream_tbPNSt15iterator_traitsISG_E10value_typeEPNSM_ISH_E10value_typeEPSI_NS1_7vsmem_tEENKUlT_SG_SH_SI_E_clIS7_S7_SB_PlEESF_SV_SG_SH_SI_EUlSV_E1_NS1_11comp_targetILNS1_3genE0ELNS1_11target_archE4294967295ELNS1_3gpuE0ELNS1_3repE0EEENS1_36merge_oddeven_config_static_selectorELNS0_4arch9wavefront6targetE1EEEvSH_
	.p2align	8
	.type	_ZN7rocprim17ROCPRIM_400000_NS6detail17trampoline_kernelINS0_14default_configENS1_38merge_sort_block_merge_config_selectorIflEEZZNS1_27merge_sort_block_merge_implIS3_PfN6thrust23THRUST_200600_302600_NS10device_ptrIlEEjNS1_19radix_merge_compareILb0ELb0EfNS0_19identity_decomposerEEEEE10hipError_tT0_T1_T2_jT3_P12ihipStream_tbPNSt15iterator_traitsISG_E10value_typeEPNSM_ISH_E10value_typeEPSI_NS1_7vsmem_tEENKUlT_SG_SH_SI_E_clIS7_S7_SB_PlEESF_SV_SG_SH_SI_EUlSV_E1_NS1_11comp_targetILNS1_3genE0ELNS1_11target_archE4294967295ELNS1_3gpuE0ELNS1_3repE0EEENS1_36merge_oddeven_config_static_selectorELNS0_4arch9wavefront6targetE1EEEvSH_,@function
_ZN7rocprim17ROCPRIM_400000_NS6detail17trampoline_kernelINS0_14default_configENS1_38merge_sort_block_merge_config_selectorIflEEZZNS1_27merge_sort_block_merge_implIS3_PfN6thrust23THRUST_200600_302600_NS10device_ptrIlEEjNS1_19radix_merge_compareILb0ELb0EfNS0_19identity_decomposerEEEEE10hipError_tT0_T1_T2_jT3_P12ihipStream_tbPNSt15iterator_traitsISG_E10value_typeEPNSM_ISH_E10value_typeEPSI_NS1_7vsmem_tEENKUlT_SG_SH_SI_E_clIS7_S7_SB_PlEESF_SV_SG_SH_SI_EUlSV_E1_NS1_11comp_targetILNS1_3genE0ELNS1_11target_archE4294967295ELNS1_3gpuE0ELNS1_3repE0EEENS1_36merge_oddeven_config_static_selectorELNS0_4arch9wavefront6targetE1EEEvSH_: ; @_ZN7rocprim17ROCPRIM_400000_NS6detail17trampoline_kernelINS0_14default_configENS1_38merge_sort_block_merge_config_selectorIflEEZZNS1_27merge_sort_block_merge_implIS3_PfN6thrust23THRUST_200600_302600_NS10device_ptrIlEEjNS1_19radix_merge_compareILb0ELb0EfNS0_19identity_decomposerEEEEE10hipError_tT0_T1_T2_jT3_P12ihipStream_tbPNSt15iterator_traitsISG_E10value_typeEPNSM_ISH_E10value_typeEPSI_NS1_7vsmem_tEENKUlT_SG_SH_SI_E_clIS7_S7_SB_PlEESF_SV_SG_SH_SI_EUlSV_E1_NS1_11comp_targetILNS1_3genE0ELNS1_11target_archE4294967295ELNS1_3gpuE0ELNS1_3repE0EEENS1_36merge_oddeven_config_static_selectorELNS0_4arch9wavefront6targetE1EEEvSH_
; %bb.0:
	.section	.rodata,"a",@progbits
	.p2align	6, 0x0
	.amdhsa_kernel _ZN7rocprim17ROCPRIM_400000_NS6detail17trampoline_kernelINS0_14default_configENS1_38merge_sort_block_merge_config_selectorIflEEZZNS1_27merge_sort_block_merge_implIS3_PfN6thrust23THRUST_200600_302600_NS10device_ptrIlEEjNS1_19radix_merge_compareILb0ELb0EfNS0_19identity_decomposerEEEEE10hipError_tT0_T1_T2_jT3_P12ihipStream_tbPNSt15iterator_traitsISG_E10value_typeEPNSM_ISH_E10value_typeEPSI_NS1_7vsmem_tEENKUlT_SG_SH_SI_E_clIS7_S7_SB_PlEESF_SV_SG_SH_SI_EUlSV_E1_NS1_11comp_targetILNS1_3genE0ELNS1_11target_archE4294967295ELNS1_3gpuE0ELNS1_3repE0EEENS1_36merge_oddeven_config_static_selectorELNS0_4arch9wavefront6targetE1EEEvSH_
		.amdhsa_group_segment_fixed_size 0
		.amdhsa_private_segment_fixed_size 0
		.amdhsa_kernarg_size 48
		.amdhsa_user_sgpr_count 6
		.amdhsa_user_sgpr_private_segment_buffer 1
		.amdhsa_user_sgpr_dispatch_ptr 0
		.amdhsa_user_sgpr_queue_ptr 0
		.amdhsa_user_sgpr_kernarg_segment_ptr 1
		.amdhsa_user_sgpr_dispatch_id 0
		.amdhsa_user_sgpr_flat_scratch_init 0
		.amdhsa_user_sgpr_kernarg_preload_length 0
		.amdhsa_user_sgpr_kernarg_preload_offset 0
		.amdhsa_user_sgpr_private_segment_size 0
		.amdhsa_uses_dynamic_stack 0
		.amdhsa_system_sgpr_private_segment_wavefront_offset 0
		.amdhsa_system_sgpr_workgroup_id_x 1
		.amdhsa_system_sgpr_workgroup_id_y 0
		.amdhsa_system_sgpr_workgroup_id_z 0
		.amdhsa_system_sgpr_workgroup_info 0
		.amdhsa_system_vgpr_workitem_id 0
		.amdhsa_next_free_vgpr 1
		.amdhsa_next_free_sgpr 0
		.amdhsa_accum_offset 4
		.amdhsa_reserve_vcc 0
		.amdhsa_reserve_flat_scratch 0
		.amdhsa_float_round_mode_32 0
		.amdhsa_float_round_mode_16_64 0
		.amdhsa_float_denorm_mode_32 3
		.amdhsa_float_denorm_mode_16_64 3
		.amdhsa_dx10_clamp 1
		.amdhsa_ieee_mode 1
		.amdhsa_fp16_overflow 0
		.amdhsa_tg_split 0
		.amdhsa_exception_fp_ieee_invalid_op 0
		.amdhsa_exception_fp_denorm_src 0
		.amdhsa_exception_fp_ieee_div_zero 0
		.amdhsa_exception_fp_ieee_overflow 0
		.amdhsa_exception_fp_ieee_underflow 0
		.amdhsa_exception_fp_ieee_inexact 0
		.amdhsa_exception_int_div_zero 0
	.end_amdhsa_kernel
	.section	.text._ZN7rocprim17ROCPRIM_400000_NS6detail17trampoline_kernelINS0_14default_configENS1_38merge_sort_block_merge_config_selectorIflEEZZNS1_27merge_sort_block_merge_implIS3_PfN6thrust23THRUST_200600_302600_NS10device_ptrIlEEjNS1_19radix_merge_compareILb0ELb0EfNS0_19identity_decomposerEEEEE10hipError_tT0_T1_T2_jT3_P12ihipStream_tbPNSt15iterator_traitsISG_E10value_typeEPNSM_ISH_E10value_typeEPSI_NS1_7vsmem_tEENKUlT_SG_SH_SI_E_clIS7_S7_SB_PlEESF_SV_SG_SH_SI_EUlSV_E1_NS1_11comp_targetILNS1_3genE0ELNS1_11target_archE4294967295ELNS1_3gpuE0ELNS1_3repE0EEENS1_36merge_oddeven_config_static_selectorELNS0_4arch9wavefront6targetE1EEEvSH_,"axG",@progbits,_ZN7rocprim17ROCPRIM_400000_NS6detail17trampoline_kernelINS0_14default_configENS1_38merge_sort_block_merge_config_selectorIflEEZZNS1_27merge_sort_block_merge_implIS3_PfN6thrust23THRUST_200600_302600_NS10device_ptrIlEEjNS1_19radix_merge_compareILb0ELb0EfNS0_19identity_decomposerEEEEE10hipError_tT0_T1_T2_jT3_P12ihipStream_tbPNSt15iterator_traitsISG_E10value_typeEPNSM_ISH_E10value_typeEPSI_NS1_7vsmem_tEENKUlT_SG_SH_SI_E_clIS7_S7_SB_PlEESF_SV_SG_SH_SI_EUlSV_E1_NS1_11comp_targetILNS1_3genE0ELNS1_11target_archE4294967295ELNS1_3gpuE0ELNS1_3repE0EEENS1_36merge_oddeven_config_static_selectorELNS0_4arch9wavefront6targetE1EEEvSH_,comdat
.Lfunc_end1800:
	.size	_ZN7rocprim17ROCPRIM_400000_NS6detail17trampoline_kernelINS0_14default_configENS1_38merge_sort_block_merge_config_selectorIflEEZZNS1_27merge_sort_block_merge_implIS3_PfN6thrust23THRUST_200600_302600_NS10device_ptrIlEEjNS1_19radix_merge_compareILb0ELb0EfNS0_19identity_decomposerEEEEE10hipError_tT0_T1_T2_jT3_P12ihipStream_tbPNSt15iterator_traitsISG_E10value_typeEPNSM_ISH_E10value_typeEPSI_NS1_7vsmem_tEENKUlT_SG_SH_SI_E_clIS7_S7_SB_PlEESF_SV_SG_SH_SI_EUlSV_E1_NS1_11comp_targetILNS1_3genE0ELNS1_11target_archE4294967295ELNS1_3gpuE0ELNS1_3repE0EEENS1_36merge_oddeven_config_static_selectorELNS0_4arch9wavefront6targetE1EEEvSH_, .Lfunc_end1800-_ZN7rocprim17ROCPRIM_400000_NS6detail17trampoline_kernelINS0_14default_configENS1_38merge_sort_block_merge_config_selectorIflEEZZNS1_27merge_sort_block_merge_implIS3_PfN6thrust23THRUST_200600_302600_NS10device_ptrIlEEjNS1_19radix_merge_compareILb0ELb0EfNS0_19identity_decomposerEEEEE10hipError_tT0_T1_T2_jT3_P12ihipStream_tbPNSt15iterator_traitsISG_E10value_typeEPNSM_ISH_E10value_typeEPSI_NS1_7vsmem_tEENKUlT_SG_SH_SI_E_clIS7_S7_SB_PlEESF_SV_SG_SH_SI_EUlSV_E1_NS1_11comp_targetILNS1_3genE0ELNS1_11target_archE4294967295ELNS1_3gpuE0ELNS1_3repE0EEENS1_36merge_oddeven_config_static_selectorELNS0_4arch9wavefront6targetE1EEEvSH_
                                        ; -- End function
	.section	.AMDGPU.csdata,"",@progbits
; Kernel info:
; codeLenInByte = 0
; NumSgprs: 4
; NumVgprs: 0
; NumAgprs: 0
; TotalNumVgprs: 0
; ScratchSize: 0
; MemoryBound: 0
; FloatMode: 240
; IeeeMode: 1
; LDSByteSize: 0 bytes/workgroup (compile time only)
; SGPRBlocks: 0
; VGPRBlocks: 0
; NumSGPRsForWavesPerEU: 4
; NumVGPRsForWavesPerEU: 1
; AccumOffset: 4
; Occupancy: 8
; WaveLimiterHint : 0
; COMPUTE_PGM_RSRC2:SCRATCH_EN: 0
; COMPUTE_PGM_RSRC2:USER_SGPR: 6
; COMPUTE_PGM_RSRC2:TRAP_HANDLER: 0
; COMPUTE_PGM_RSRC2:TGID_X_EN: 1
; COMPUTE_PGM_RSRC2:TGID_Y_EN: 0
; COMPUTE_PGM_RSRC2:TGID_Z_EN: 0
; COMPUTE_PGM_RSRC2:TIDIG_COMP_CNT: 0
; COMPUTE_PGM_RSRC3_GFX90A:ACCUM_OFFSET: 0
; COMPUTE_PGM_RSRC3_GFX90A:TG_SPLIT: 0
	.section	.text._ZN7rocprim17ROCPRIM_400000_NS6detail17trampoline_kernelINS0_14default_configENS1_38merge_sort_block_merge_config_selectorIflEEZZNS1_27merge_sort_block_merge_implIS3_PfN6thrust23THRUST_200600_302600_NS10device_ptrIlEEjNS1_19radix_merge_compareILb0ELb0EfNS0_19identity_decomposerEEEEE10hipError_tT0_T1_T2_jT3_P12ihipStream_tbPNSt15iterator_traitsISG_E10value_typeEPNSM_ISH_E10value_typeEPSI_NS1_7vsmem_tEENKUlT_SG_SH_SI_E_clIS7_S7_SB_PlEESF_SV_SG_SH_SI_EUlSV_E1_NS1_11comp_targetILNS1_3genE10ELNS1_11target_archE1201ELNS1_3gpuE5ELNS1_3repE0EEENS1_36merge_oddeven_config_static_selectorELNS0_4arch9wavefront6targetE1EEEvSH_,"axG",@progbits,_ZN7rocprim17ROCPRIM_400000_NS6detail17trampoline_kernelINS0_14default_configENS1_38merge_sort_block_merge_config_selectorIflEEZZNS1_27merge_sort_block_merge_implIS3_PfN6thrust23THRUST_200600_302600_NS10device_ptrIlEEjNS1_19radix_merge_compareILb0ELb0EfNS0_19identity_decomposerEEEEE10hipError_tT0_T1_T2_jT3_P12ihipStream_tbPNSt15iterator_traitsISG_E10value_typeEPNSM_ISH_E10value_typeEPSI_NS1_7vsmem_tEENKUlT_SG_SH_SI_E_clIS7_S7_SB_PlEESF_SV_SG_SH_SI_EUlSV_E1_NS1_11comp_targetILNS1_3genE10ELNS1_11target_archE1201ELNS1_3gpuE5ELNS1_3repE0EEENS1_36merge_oddeven_config_static_selectorELNS0_4arch9wavefront6targetE1EEEvSH_,comdat
	.protected	_ZN7rocprim17ROCPRIM_400000_NS6detail17trampoline_kernelINS0_14default_configENS1_38merge_sort_block_merge_config_selectorIflEEZZNS1_27merge_sort_block_merge_implIS3_PfN6thrust23THRUST_200600_302600_NS10device_ptrIlEEjNS1_19radix_merge_compareILb0ELb0EfNS0_19identity_decomposerEEEEE10hipError_tT0_T1_T2_jT3_P12ihipStream_tbPNSt15iterator_traitsISG_E10value_typeEPNSM_ISH_E10value_typeEPSI_NS1_7vsmem_tEENKUlT_SG_SH_SI_E_clIS7_S7_SB_PlEESF_SV_SG_SH_SI_EUlSV_E1_NS1_11comp_targetILNS1_3genE10ELNS1_11target_archE1201ELNS1_3gpuE5ELNS1_3repE0EEENS1_36merge_oddeven_config_static_selectorELNS0_4arch9wavefront6targetE1EEEvSH_ ; -- Begin function _ZN7rocprim17ROCPRIM_400000_NS6detail17trampoline_kernelINS0_14default_configENS1_38merge_sort_block_merge_config_selectorIflEEZZNS1_27merge_sort_block_merge_implIS3_PfN6thrust23THRUST_200600_302600_NS10device_ptrIlEEjNS1_19radix_merge_compareILb0ELb0EfNS0_19identity_decomposerEEEEE10hipError_tT0_T1_T2_jT3_P12ihipStream_tbPNSt15iterator_traitsISG_E10value_typeEPNSM_ISH_E10value_typeEPSI_NS1_7vsmem_tEENKUlT_SG_SH_SI_E_clIS7_S7_SB_PlEESF_SV_SG_SH_SI_EUlSV_E1_NS1_11comp_targetILNS1_3genE10ELNS1_11target_archE1201ELNS1_3gpuE5ELNS1_3repE0EEENS1_36merge_oddeven_config_static_selectorELNS0_4arch9wavefront6targetE1EEEvSH_
	.globl	_ZN7rocprim17ROCPRIM_400000_NS6detail17trampoline_kernelINS0_14default_configENS1_38merge_sort_block_merge_config_selectorIflEEZZNS1_27merge_sort_block_merge_implIS3_PfN6thrust23THRUST_200600_302600_NS10device_ptrIlEEjNS1_19radix_merge_compareILb0ELb0EfNS0_19identity_decomposerEEEEE10hipError_tT0_T1_T2_jT3_P12ihipStream_tbPNSt15iterator_traitsISG_E10value_typeEPNSM_ISH_E10value_typeEPSI_NS1_7vsmem_tEENKUlT_SG_SH_SI_E_clIS7_S7_SB_PlEESF_SV_SG_SH_SI_EUlSV_E1_NS1_11comp_targetILNS1_3genE10ELNS1_11target_archE1201ELNS1_3gpuE5ELNS1_3repE0EEENS1_36merge_oddeven_config_static_selectorELNS0_4arch9wavefront6targetE1EEEvSH_
	.p2align	8
	.type	_ZN7rocprim17ROCPRIM_400000_NS6detail17trampoline_kernelINS0_14default_configENS1_38merge_sort_block_merge_config_selectorIflEEZZNS1_27merge_sort_block_merge_implIS3_PfN6thrust23THRUST_200600_302600_NS10device_ptrIlEEjNS1_19radix_merge_compareILb0ELb0EfNS0_19identity_decomposerEEEEE10hipError_tT0_T1_T2_jT3_P12ihipStream_tbPNSt15iterator_traitsISG_E10value_typeEPNSM_ISH_E10value_typeEPSI_NS1_7vsmem_tEENKUlT_SG_SH_SI_E_clIS7_S7_SB_PlEESF_SV_SG_SH_SI_EUlSV_E1_NS1_11comp_targetILNS1_3genE10ELNS1_11target_archE1201ELNS1_3gpuE5ELNS1_3repE0EEENS1_36merge_oddeven_config_static_selectorELNS0_4arch9wavefront6targetE1EEEvSH_,@function
_ZN7rocprim17ROCPRIM_400000_NS6detail17trampoline_kernelINS0_14default_configENS1_38merge_sort_block_merge_config_selectorIflEEZZNS1_27merge_sort_block_merge_implIS3_PfN6thrust23THRUST_200600_302600_NS10device_ptrIlEEjNS1_19radix_merge_compareILb0ELb0EfNS0_19identity_decomposerEEEEE10hipError_tT0_T1_T2_jT3_P12ihipStream_tbPNSt15iterator_traitsISG_E10value_typeEPNSM_ISH_E10value_typeEPSI_NS1_7vsmem_tEENKUlT_SG_SH_SI_E_clIS7_S7_SB_PlEESF_SV_SG_SH_SI_EUlSV_E1_NS1_11comp_targetILNS1_3genE10ELNS1_11target_archE1201ELNS1_3gpuE5ELNS1_3repE0EEENS1_36merge_oddeven_config_static_selectorELNS0_4arch9wavefront6targetE1EEEvSH_: ; @_ZN7rocprim17ROCPRIM_400000_NS6detail17trampoline_kernelINS0_14default_configENS1_38merge_sort_block_merge_config_selectorIflEEZZNS1_27merge_sort_block_merge_implIS3_PfN6thrust23THRUST_200600_302600_NS10device_ptrIlEEjNS1_19radix_merge_compareILb0ELb0EfNS0_19identity_decomposerEEEEE10hipError_tT0_T1_T2_jT3_P12ihipStream_tbPNSt15iterator_traitsISG_E10value_typeEPNSM_ISH_E10value_typeEPSI_NS1_7vsmem_tEENKUlT_SG_SH_SI_E_clIS7_S7_SB_PlEESF_SV_SG_SH_SI_EUlSV_E1_NS1_11comp_targetILNS1_3genE10ELNS1_11target_archE1201ELNS1_3gpuE5ELNS1_3repE0EEENS1_36merge_oddeven_config_static_selectorELNS0_4arch9wavefront6targetE1EEEvSH_
; %bb.0:
	.section	.rodata,"a",@progbits
	.p2align	6, 0x0
	.amdhsa_kernel _ZN7rocprim17ROCPRIM_400000_NS6detail17trampoline_kernelINS0_14default_configENS1_38merge_sort_block_merge_config_selectorIflEEZZNS1_27merge_sort_block_merge_implIS3_PfN6thrust23THRUST_200600_302600_NS10device_ptrIlEEjNS1_19radix_merge_compareILb0ELb0EfNS0_19identity_decomposerEEEEE10hipError_tT0_T1_T2_jT3_P12ihipStream_tbPNSt15iterator_traitsISG_E10value_typeEPNSM_ISH_E10value_typeEPSI_NS1_7vsmem_tEENKUlT_SG_SH_SI_E_clIS7_S7_SB_PlEESF_SV_SG_SH_SI_EUlSV_E1_NS1_11comp_targetILNS1_3genE10ELNS1_11target_archE1201ELNS1_3gpuE5ELNS1_3repE0EEENS1_36merge_oddeven_config_static_selectorELNS0_4arch9wavefront6targetE1EEEvSH_
		.amdhsa_group_segment_fixed_size 0
		.amdhsa_private_segment_fixed_size 0
		.amdhsa_kernarg_size 48
		.amdhsa_user_sgpr_count 6
		.amdhsa_user_sgpr_private_segment_buffer 1
		.amdhsa_user_sgpr_dispatch_ptr 0
		.amdhsa_user_sgpr_queue_ptr 0
		.amdhsa_user_sgpr_kernarg_segment_ptr 1
		.amdhsa_user_sgpr_dispatch_id 0
		.amdhsa_user_sgpr_flat_scratch_init 0
		.amdhsa_user_sgpr_kernarg_preload_length 0
		.amdhsa_user_sgpr_kernarg_preload_offset 0
		.amdhsa_user_sgpr_private_segment_size 0
		.amdhsa_uses_dynamic_stack 0
		.amdhsa_system_sgpr_private_segment_wavefront_offset 0
		.amdhsa_system_sgpr_workgroup_id_x 1
		.amdhsa_system_sgpr_workgroup_id_y 0
		.amdhsa_system_sgpr_workgroup_id_z 0
		.amdhsa_system_sgpr_workgroup_info 0
		.amdhsa_system_vgpr_workitem_id 0
		.amdhsa_next_free_vgpr 1
		.amdhsa_next_free_sgpr 0
		.amdhsa_accum_offset 4
		.amdhsa_reserve_vcc 0
		.amdhsa_reserve_flat_scratch 0
		.amdhsa_float_round_mode_32 0
		.amdhsa_float_round_mode_16_64 0
		.amdhsa_float_denorm_mode_32 3
		.amdhsa_float_denorm_mode_16_64 3
		.amdhsa_dx10_clamp 1
		.amdhsa_ieee_mode 1
		.amdhsa_fp16_overflow 0
		.amdhsa_tg_split 0
		.amdhsa_exception_fp_ieee_invalid_op 0
		.amdhsa_exception_fp_denorm_src 0
		.amdhsa_exception_fp_ieee_div_zero 0
		.amdhsa_exception_fp_ieee_overflow 0
		.amdhsa_exception_fp_ieee_underflow 0
		.amdhsa_exception_fp_ieee_inexact 0
		.amdhsa_exception_int_div_zero 0
	.end_amdhsa_kernel
	.section	.text._ZN7rocprim17ROCPRIM_400000_NS6detail17trampoline_kernelINS0_14default_configENS1_38merge_sort_block_merge_config_selectorIflEEZZNS1_27merge_sort_block_merge_implIS3_PfN6thrust23THRUST_200600_302600_NS10device_ptrIlEEjNS1_19radix_merge_compareILb0ELb0EfNS0_19identity_decomposerEEEEE10hipError_tT0_T1_T2_jT3_P12ihipStream_tbPNSt15iterator_traitsISG_E10value_typeEPNSM_ISH_E10value_typeEPSI_NS1_7vsmem_tEENKUlT_SG_SH_SI_E_clIS7_S7_SB_PlEESF_SV_SG_SH_SI_EUlSV_E1_NS1_11comp_targetILNS1_3genE10ELNS1_11target_archE1201ELNS1_3gpuE5ELNS1_3repE0EEENS1_36merge_oddeven_config_static_selectorELNS0_4arch9wavefront6targetE1EEEvSH_,"axG",@progbits,_ZN7rocprim17ROCPRIM_400000_NS6detail17trampoline_kernelINS0_14default_configENS1_38merge_sort_block_merge_config_selectorIflEEZZNS1_27merge_sort_block_merge_implIS3_PfN6thrust23THRUST_200600_302600_NS10device_ptrIlEEjNS1_19radix_merge_compareILb0ELb0EfNS0_19identity_decomposerEEEEE10hipError_tT0_T1_T2_jT3_P12ihipStream_tbPNSt15iterator_traitsISG_E10value_typeEPNSM_ISH_E10value_typeEPSI_NS1_7vsmem_tEENKUlT_SG_SH_SI_E_clIS7_S7_SB_PlEESF_SV_SG_SH_SI_EUlSV_E1_NS1_11comp_targetILNS1_3genE10ELNS1_11target_archE1201ELNS1_3gpuE5ELNS1_3repE0EEENS1_36merge_oddeven_config_static_selectorELNS0_4arch9wavefront6targetE1EEEvSH_,comdat
.Lfunc_end1801:
	.size	_ZN7rocprim17ROCPRIM_400000_NS6detail17trampoline_kernelINS0_14default_configENS1_38merge_sort_block_merge_config_selectorIflEEZZNS1_27merge_sort_block_merge_implIS3_PfN6thrust23THRUST_200600_302600_NS10device_ptrIlEEjNS1_19radix_merge_compareILb0ELb0EfNS0_19identity_decomposerEEEEE10hipError_tT0_T1_T2_jT3_P12ihipStream_tbPNSt15iterator_traitsISG_E10value_typeEPNSM_ISH_E10value_typeEPSI_NS1_7vsmem_tEENKUlT_SG_SH_SI_E_clIS7_S7_SB_PlEESF_SV_SG_SH_SI_EUlSV_E1_NS1_11comp_targetILNS1_3genE10ELNS1_11target_archE1201ELNS1_3gpuE5ELNS1_3repE0EEENS1_36merge_oddeven_config_static_selectorELNS0_4arch9wavefront6targetE1EEEvSH_, .Lfunc_end1801-_ZN7rocprim17ROCPRIM_400000_NS6detail17trampoline_kernelINS0_14default_configENS1_38merge_sort_block_merge_config_selectorIflEEZZNS1_27merge_sort_block_merge_implIS3_PfN6thrust23THRUST_200600_302600_NS10device_ptrIlEEjNS1_19radix_merge_compareILb0ELb0EfNS0_19identity_decomposerEEEEE10hipError_tT0_T1_T2_jT3_P12ihipStream_tbPNSt15iterator_traitsISG_E10value_typeEPNSM_ISH_E10value_typeEPSI_NS1_7vsmem_tEENKUlT_SG_SH_SI_E_clIS7_S7_SB_PlEESF_SV_SG_SH_SI_EUlSV_E1_NS1_11comp_targetILNS1_3genE10ELNS1_11target_archE1201ELNS1_3gpuE5ELNS1_3repE0EEENS1_36merge_oddeven_config_static_selectorELNS0_4arch9wavefront6targetE1EEEvSH_
                                        ; -- End function
	.section	.AMDGPU.csdata,"",@progbits
; Kernel info:
; codeLenInByte = 0
; NumSgprs: 4
; NumVgprs: 0
; NumAgprs: 0
; TotalNumVgprs: 0
; ScratchSize: 0
; MemoryBound: 0
; FloatMode: 240
; IeeeMode: 1
; LDSByteSize: 0 bytes/workgroup (compile time only)
; SGPRBlocks: 0
; VGPRBlocks: 0
; NumSGPRsForWavesPerEU: 4
; NumVGPRsForWavesPerEU: 1
; AccumOffset: 4
; Occupancy: 8
; WaveLimiterHint : 0
; COMPUTE_PGM_RSRC2:SCRATCH_EN: 0
; COMPUTE_PGM_RSRC2:USER_SGPR: 6
; COMPUTE_PGM_RSRC2:TRAP_HANDLER: 0
; COMPUTE_PGM_RSRC2:TGID_X_EN: 1
; COMPUTE_PGM_RSRC2:TGID_Y_EN: 0
; COMPUTE_PGM_RSRC2:TGID_Z_EN: 0
; COMPUTE_PGM_RSRC2:TIDIG_COMP_CNT: 0
; COMPUTE_PGM_RSRC3_GFX90A:ACCUM_OFFSET: 0
; COMPUTE_PGM_RSRC3_GFX90A:TG_SPLIT: 0
	.section	.text._ZN7rocprim17ROCPRIM_400000_NS6detail17trampoline_kernelINS0_14default_configENS1_38merge_sort_block_merge_config_selectorIflEEZZNS1_27merge_sort_block_merge_implIS3_PfN6thrust23THRUST_200600_302600_NS10device_ptrIlEEjNS1_19radix_merge_compareILb0ELb0EfNS0_19identity_decomposerEEEEE10hipError_tT0_T1_T2_jT3_P12ihipStream_tbPNSt15iterator_traitsISG_E10value_typeEPNSM_ISH_E10value_typeEPSI_NS1_7vsmem_tEENKUlT_SG_SH_SI_E_clIS7_S7_SB_PlEESF_SV_SG_SH_SI_EUlSV_E1_NS1_11comp_targetILNS1_3genE5ELNS1_11target_archE942ELNS1_3gpuE9ELNS1_3repE0EEENS1_36merge_oddeven_config_static_selectorELNS0_4arch9wavefront6targetE1EEEvSH_,"axG",@progbits,_ZN7rocprim17ROCPRIM_400000_NS6detail17trampoline_kernelINS0_14default_configENS1_38merge_sort_block_merge_config_selectorIflEEZZNS1_27merge_sort_block_merge_implIS3_PfN6thrust23THRUST_200600_302600_NS10device_ptrIlEEjNS1_19radix_merge_compareILb0ELb0EfNS0_19identity_decomposerEEEEE10hipError_tT0_T1_T2_jT3_P12ihipStream_tbPNSt15iterator_traitsISG_E10value_typeEPNSM_ISH_E10value_typeEPSI_NS1_7vsmem_tEENKUlT_SG_SH_SI_E_clIS7_S7_SB_PlEESF_SV_SG_SH_SI_EUlSV_E1_NS1_11comp_targetILNS1_3genE5ELNS1_11target_archE942ELNS1_3gpuE9ELNS1_3repE0EEENS1_36merge_oddeven_config_static_selectorELNS0_4arch9wavefront6targetE1EEEvSH_,comdat
	.protected	_ZN7rocprim17ROCPRIM_400000_NS6detail17trampoline_kernelINS0_14default_configENS1_38merge_sort_block_merge_config_selectorIflEEZZNS1_27merge_sort_block_merge_implIS3_PfN6thrust23THRUST_200600_302600_NS10device_ptrIlEEjNS1_19radix_merge_compareILb0ELb0EfNS0_19identity_decomposerEEEEE10hipError_tT0_T1_T2_jT3_P12ihipStream_tbPNSt15iterator_traitsISG_E10value_typeEPNSM_ISH_E10value_typeEPSI_NS1_7vsmem_tEENKUlT_SG_SH_SI_E_clIS7_S7_SB_PlEESF_SV_SG_SH_SI_EUlSV_E1_NS1_11comp_targetILNS1_3genE5ELNS1_11target_archE942ELNS1_3gpuE9ELNS1_3repE0EEENS1_36merge_oddeven_config_static_selectorELNS0_4arch9wavefront6targetE1EEEvSH_ ; -- Begin function _ZN7rocprim17ROCPRIM_400000_NS6detail17trampoline_kernelINS0_14default_configENS1_38merge_sort_block_merge_config_selectorIflEEZZNS1_27merge_sort_block_merge_implIS3_PfN6thrust23THRUST_200600_302600_NS10device_ptrIlEEjNS1_19radix_merge_compareILb0ELb0EfNS0_19identity_decomposerEEEEE10hipError_tT0_T1_T2_jT3_P12ihipStream_tbPNSt15iterator_traitsISG_E10value_typeEPNSM_ISH_E10value_typeEPSI_NS1_7vsmem_tEENKUlT_SG_SH_SI_E_clIS7_S7_SB_PlEESF_SV_SG_SH_SI_EUlSV_E1_NS1_11comp_targetILNS1_3genE5ELNS1_11target_archE942ELNS1_3gpuE9ELNS1_3repE0EEENS1_36merge_oddeven_config_static_selectorELNS0_4arch9wavefront6targetE1EEEvSH_
	.globl	_ZN7rocprim17ROCPRIM_400000_NS6detail17trampoline_kernelINS0_14default_configENS1_38merge_sort_block_merge_config_selectorIflEEZZNS1_27merge_sort_block_merge_implIS3_PfN6thrust23THRUST_200600_302600_NS10device_ptrIlEEjNS1_19radix_merge_compareILb0ELb0EfNS0_19identity_decomposerEEEEE10hipError_tT0_T1_T2_jT3_P12ihipStream_tbPNSt15iterator_traitsISG_E10value_typeEPNSM_ISH_E10value_typeEPSI_NS1_7vsmem_tEENKUlT_SG_SH_SI_E_clIS7_S7_SB_PlEESF_SV_SG_SH_SI_EUlSV_E1_NS1_11comp_targetILNS1_3genE5ELNS1_11target_archE942ELNS1_3gpuE9ELNS1_3repE0EEENS1_36merge_oddeven_config_static_selectorELNS0_4arch9wavefront6targetE1EEEvSH_
	.p2align	8
	.type	_ZN7rocprim17ROCPRIM_400000_NS6detail17trampoline_kernelINS0_14default_configENS1_38merge_sort_block_merge_config_selectorIflEEZZNS1_27merge_sort_block_merge_implIS3_PfN6thrust23THRUST_200600_302600_NS10device_ptrIlEEjNS1_19radix_merge_compareILb0ELb0EfNS0_19identity_decomposerEEEEE10hipError_tT0_T1_T2_jT3_P12ihipStream_tbPNSt15iterator_traitsISG_E10value_typeEPNSM_ISH_E10value_typeEPSI_NS1_7vsmem_tEENKUlT_SG_SH_SI_E_clIS7_S7_SB_PlEESF_SV_SG_SH_SI_EUlSV_E1_NS1_11comp_targetILNS1_3genE5ELNS1_11target_archE942ELNS1_3gpuE9ELNS1_3repE0EEENS1_36merge_oddeven_config_static_selectorELNS0_4arch9wavefront6targetE1EEEvSH_,@function
_ZN7rocprim17ROCPRIM_400000_NS6detail17trampoline_kernelINS0_14default_configENS1_38merge_sort_block_merge_config_selectorIflEEZZNS1_27merge_sort_block_merge_implIS3_PfN6thrust23THRUST_200600_302600_NS10device_ptrIlEEjNS1_19radix_merge_compareILb0ELb0EfNS0_19identity_decomposerEEEEE10hipError_tT0_T1_T2_jT3_P12ihipStream_tbPNSt15iterator_traitsISG_E10value_typeEPNSM_ISH_E10value_typeEPSI_NS1_7vsmem_tEENKUlT_SG_SH_SI_E_clIS7_S7_SB_PlEESF_SV_SG_SH_SI_EUlSV_E1_NS1_11comp_targetILNS1_3genE5ELNS1_11target_archE942ELNS1_3gpuE9ELNS1_3repE0EEENS1_36merge_oddeven_config_static_selectorELNS0_4arch9wavefront6targetE1EEEvSH_: ; @_ZN7rocprim17ROCPRIM_400000_NS6detail17trampoline_kernelINS0_14default_configENS1_38merge_sort_block_merge_config_selectorIflEEZZNS1_27merge_sort_block_merge_implIS3_PfN6thrust23THRUST_200600_302600_NS10device_ptrIlEEjNS1_19radix_merge_compareILb0ELb0EfNS0_19identity_decomposerEEEEE10hipError_tT0_T1_T2_jT3_P12ihipStream_tbPNSt15iterator_traitsISG_E10value_typeEPNSM_ISH_E10value_typeEPSI_NS1_7vsmem_tEENKUlT_SG_SH_SI_E_clIS7_S7_SB_PlEESF_SV_SG_SH_SI_EUlSV_E1_NS1_11comp_targetILNS1_3genE5ELNS1_11target_archE942ELNS1_3gpuE9ELNS1_3repE0EEENS1_36merge_oddeven_config_static_selectorELNS0_4arch9wavefront6targetE1EEEvSH_
; %bb.0:
	.section	.rodata,"a",@progbits
	.p2align	6, 0x0
	.amdhsa_kernel _ZN7rocprim17ROCPRIM_400000_NS6detail17trampoline_kernelINS0_14default_configENS1_38merge_sort_block_merge_config_selectorIflEEZZNS1_27merge_sort_block_merge_implIS3_PfN6thrust23THRUST_200600_302600_NS10device_ptrIlEEjNS1_19radix_merge_compareILb0ELb0EfNS0_19identity_decomposerEEEEE10hipError_tT0_T1_T2_jT3_P12ihipStream_tbPNSt15iterator_traitsISG_E10value_typeEPNSM_ISH_E10value_typeEPSI_NS1_7vsmem_tEENKUlT_SG_SH_SI_E_clIS7_S7_SB_PlEESF_SV_SG_SH_SI_EUlSV_E1_NS1_11comp_targetILNS1_3genE5ELNS1_11target_archE942ELNS1_3gpuE9ELNS1_3repE0EEENS1_36merge_oddeven_config_static_selectorELNS0_4arch9wavefront6targetE1EEEvSH_
		.amdhsa_group_segment_fixed_size 0
		.amdhsa_private_segment_fixed_size 0
		.amdhsa_kernarg_size 48
		.amdhsa_user_sgpr_count 6
		.amdhsa_user_sgpr_private_segment_buffer 1
		.amdhsa_user_sgpr_dispatch_ptr 0
		.amdhsa_user_sgpr_queue_ptr 0
		.amdhsa_user_sgpr_kernarg_segment_ptr 1
		.amdhsa_user_sgpr_dispatch_id 0
		.amdhsa_user_sgpr_flat_scratch_init 0
		.amdhsa_user_sgpr_kernarg_preload_length 0
		.amdhsa_user_sgpr_kernarg_preload_offset 0
		.amdhsa_user_sgpr_private_segment_size 0
		.amdhsa_uses_dynamic_stack 0
		.amdhsa_system_sgpr_private_segment_wavefront_offset 0
		.amdhsa_system_sgpr_workgroup_id_x 1
		.amdhsa_system_sgpr_workgroup_id_y 0
		.amdhsa_system_sgpr_workgroup_id_z 0
		.amdhsa_system_sgpr_workgroup_info 0
		.amdhsa_system_vgpr_workitem_id 0
		.amdhsa_next_free_vgpr 1
		.amdhsa_next_free_sgpr 0
		.amdhsa_accum_offset 4
		.amdhsa_reserve_vcc 0
		.amdhsa_reserve_flat_scratch 0
		.amdhsa_float_round_mode_32 0
		.amdhsa_float_round_mode_16_64 0
		.amdhsa_float_denorm_mode_32 3
		.amdhsa_float_denorm_mode_16_64 3
		.amdhsa_dx10_clamp 1
		.amdhsa_ieee_mode 1
		.amdhsa_fp16_overflow 0
		.amdhsa_tg_split 0
		.amdhsa_exception_fp_ieee_invalid_op 0
		.amdhsa_exception_fp_denorm_src 0
		.amdhsa_exception_fp_ieee_div_zero 0
		.amdhsa_exception_fp_ieee_overflow 0
		.amdhsa_exception_fp_ieee_underflow 0
		.amdhsa_exception_fp_ieee_inexact 0
		.amdhsa_exception_int_div_zero 0
	.end_amdhsa_kernel
	.section	.text._ZN7rocprim17ROCPRIM_400000_NS6detail17trampoline_kernelINS0_14default_configENS1_38merge_sort_block_merge_config_selectorIflEEZZNS1_27merge_sort_block_merge_implIS3_PfN6thrust23THRUST_200600_302600_NS10device_ptrIlEEjNS1_19radix_merge_compareILb0ELb0EfNS0_19identity_decomposerEEEEE10hipError_tT0_T1_T2_jT3_P12ihipStream_tbPNSt15iterator_traitsISG_E10value_typeEPNSM_ISH_E10value_typeEPSI_NS1_7vsmem_tEENKUlT_SG_SH_SI_E_clIS7_S7_SB_PlEESF_SV_SG_SH_SI_EUlSV_E1_NS1_11comp_targetILNS1_3genE5ELNS1_11target_archE942ELNS1_3gpuE9ELNS1_3repE0EEENS1_36merge_oddeven_config_static_selectorELNS0_4arch9wavefront6targetE1EEEvSH_,"axG",@progbits,_ZN7rocprim17ROCPRIM_400000_NS6detail17trampoline_kernelINS0_14default_configENS1_38merge_sort_block_merge_config_selectorIflEEZZNS1_27merge_sort_block_merge_implIS3_PfN6thrust23THRUST_200600_302600_NS10device_ptrIlEEjNS1_19radix_merge_compareILb0ELb0EfNS0_19identity_decomposerEEEEE10hipError_tT0_T1_T2_jT3_P12ihipStream_tbPNSt15iterator_traitsISG_E10value_typeEPNSM_ISH_E10value_typeEPSI_NS1_7vsmem_tEENKUlT_SG_SH_SI_E_clIS7_S7_SB_PlEESF_SV_SG_SH_SI_EUlSV_E1_NS1_11comp_targetILNS1_3genE5ELNS1_11target_archE942ELNS1_3gpuE9ELNS1_3repE0EEENS1_36merge_oddeven_config_static_selectorELNS0_4arch9wavefront6targetE1EEEvSH_,comdat
.Lfunc_end1802:
	.size	_ZN7rocprim17ROCPRIM_400000_NS6detail17trampoline_kernelINS0_14default_configENS1_38merge_sort_block_merge_config_selectorIflEEZZNS1_27merge_sort_block_merge_implIS3_PfN6thrust23THRUST_200600_302600_NS10device_ptrIlEEjNS1_19radix_merge_compareILb0ELb0EfNS0_19identity_decomposerEEEEE10hipError_tT0_T1_T2_jT3_P12ihipStream_tbPNSt15iterator_traitsISG_E10value_typeEPNSM_ISH_E10value_typeEPSI_NS1_7vsmem_tEENKUlT_SG_SH_SI_E_clIS7_S7_SB_PlEESF_SV_SG_SH_SI_EUlSV_E1_NS1_11comp_targetILNS1_3genE5ELNS1_11target_archE942ELNS1_3gpuE9ELNS1_3repE0EEENS1_36merge_oddeven_config_static_selectorELNS0_4arch9wavefront6targetE1EEEvSH_, .Lfunc_end1802-_ZN7rocprim17ROCPRIM_400000_NS6detail17trampoline_kernelINS0_14default_configENS1_38merge_sort_block_merge_config_selectorIflEEZZNS1_27merge_sort_block_merge_implIS3_PfN6thrust23THRUST_200600_302600_NS10device_ptrIlEEjNS1_19radix_merge_compareILb0ELb0EfNS0_19identity_decomposerEEEEE10hipError_tT0_T1_T2_jT3_P12ihipStream_tbPNSt15iterator_traitsISG_E10value_typeEPNSM_ISH_E10value_typeEPSI_NS1_7vsmem_tEENKUlT_SG_SH_SI_E_clIS7_S7_SB_PlEESF_SV_SG_SH_SI_EUlSV_E1_NS1_11comp_targetILNS1_3genE5ELNS1_11target_archE942ELNS1_3gpuE9ELNS1_3repE0EEENS1_36merge_oddeven_config_static_selectorELNS0_4arch9wavefront6targetE1EEEvSH_
                                        ; -- End function
	.section	.AMDGPU.csdata,"",@progbits
; Kernel info:
; codeLenInByte = 0
; NumSgprs: 4
; NumVgprs: 0
; NumAgprs: 0
; TotalNumVgprs: 0
; ScratchSize: 0
; MemoryBound: 0
; FloatMode: 240
; IeeeMode: 1
; LDSByteSize: 0 bytes/workgroup (compile time only)
; SGPRBlocks: 0
; VGPRBlocks: 0
; NumSGPRsForWavesPerEU: 4
; NumVGPRsForWavesPerEU: 1
; AccumOffset: 4
; Occupancy: 8
; WaveLimiterHint : 0
; COMPUTE_PGM_RSRC2:SCRATCH_EN: 0
; COMPUTE_PGM_RSRC2:USER_SGPR: 6
; COMPUTE_PGM_RSRC2:TRAP_HANDLER: 0
; COMPUTE_PGM_RSRC2:TGID_X_EN: 1
; COMPUTE_PGM_RSRC2:TGID_Y_EN: 0
; COMPUTE_PGM_RSRC2:TGID_Z_EN: 0
; COMPUTE_PGM_RSRC2:TIDIG_COMP_CNT: 0
; COMPUTE_PGM_RSRC3_GFX90A:ACCUM_OFFSET: 0
; COMPUTE_PGM_RSRC3_GFX90A:TG_SPLIT: 0
	.section	.text._ZN7rocprim17ROCPRIM_400000_NS6detail17trampoline_kernelINS0_14default_configENS1_38merge_sort_block_merge_config_selectorIflEEZZNS1_27merge_sort_block_merge_implIS3_PfN6thrust23THRUST_200600_302600_NS10device_ptrIlEEjNS1_19radix_merge_compareILb0ELb0EfNS0_19identity_decomposerEEEEE10hipError_tT0_T1_T2_jT3_P12ihipStream_tbPNSt15iterator_traitsISG_E10value_typeEPNSM_ISH_E10value_typeEPSI_NS1_7vsmem_tEENKUlT_SG_SH_SI_E_clIS7_S7_SB_PlEESF_SV_SG_SH_SI_EUlSV_E1_NS1_11comp_targetILNS1_3genE4ELNS1_11target_archE910ELNS1_3gpuE8ELNS1_3repE0EEENS1_36merge_oddeven_config_static_selectorELNS0_4arch9wavefront6targetE1EEEvSH_,"axG",@progbits,_ZN7rocprim17ROCPRIM_400000_NS6detail17trampoline_kernelINS0_14default_configENS1_38merge_sort_block_merge_config_selectorIflEEZZNS1_27merge_sort_block_merge_implIS3_PfN6thrust23THRUST_200600_302600_NS10device_ptrIlEEjNS1_19radix_merge_compareILb0ELb0EfNS0_19identity_decomposerEEEEE10hipError_tT0_T1_T2_jT3_P12ihipStream_tbPNSt15iterator_traitsISG_E10value_typeEPNSM_ISH_E10value_typeEPSI_NS1_7vsmem_tEENKUlT_SG_SH_SI_E_clIS7_S7_SB_PlEESF_SV_SG_SH_SI_EUlSV_E1_NS1_11comp_targetILNS1_3genE4ELNS1_11target_archE910ELNS1_3gpuE8ELNS1_3repE0EEENS1_36merge_oddeven_config_static_selectorELNS0_4arch9wavefront6targetE1EEEvSH_,comdat
	.protected	_ZN7rocprim17ROCPRIM_400000_NS6detail17trampoline_kernelINS0_14default_configENS1_38merge_sort_block_merge_config_selectorIflEEZZNS1_27merge_sort_block_merge_implIS3_PfN6thrust23THRUST_200600_302600_NS10device_ptrIlEEjNS1_19radix_merge_compareILb0ELb0EfNS0_19identity_decomposerEEEEE10hipError_tT0_T1_T2_jT3_P12ihipStream_tbPNSt15iterator_traitsISG_E10value_typeEPNSM_ISH_E10value_typeEPSI_NS1_7vsmem_tEENKUlT_SG_SH_SI_E_clIS7_S7_SB_PlEESF_SV_SG_SH_SI_EUlSV_E1_NS1_11comp_targetILNS1_3genE4ELNS1_11target_archE910ELNS1_3gpuE8ELNS1_3repE0EEENS1_36merge_oddeven_config_static_selectorELNS0_4arch9wavefront6targetE1EEEvSH_ ; -- Begin function _ZN7rocprim17ROCPRIM_400000_NS6detail17trampoline_kernelINS0_14default_configENS1_38merge_sort_block_merge_config_selectorIflEEZZNS1_27merge_sort_block_merge_implIS3_PfN6thrust23THRUST_200600_302600_NS10device_ptrIlEEjNS1_19radix_merge_compareILb0ELb0EfNS0_19identity_decomposerEEEEE10hipError_tT0_T1_T2_jT3_P12ihipStream_tbPNSt15iterator_traitsISG_E10value_typeEPNSM_ISH_E10value_typeEPSI_NS1_7vsmem_tEENKUlT_SG_SH_SI_E_clIS7_S7_SB_PlEESF_SV_SG_SH_SI_EUlSV_E1_NS1_11comp_targetILNS1_3genE4ELNS1_11target_archE910ELNS1_3gpuE8ELNS1_3repE0EEENS1_36merge_oddeven_config_static_selectorELNS0_4arch9wavefront6targetE1EEEvSH_
	.globl	_ZN7rocprim17ROCPRIM_400000_NS6detail17trampoline_kernelINS0_14default_configENS1_38merge_sort_block_merge_config_selectorIflEEZZNS1_27merge_sort_block_merge_implIS3_PfN6thrust23THRUST_200600_302600_NS10device_ptrIlEEjNS1_19radix_merge_compareILb0ELb0EfNS0_19identity_decomposerEEEEE10hipError_tT0_T1_T2_jT3_P12ihipStream_tbPNSt15iterator_traitsISG_E10value_typeEPNSM_ISH_E10value_typeEPSI_NS1_7vsmem_tEENKUlT_SG_SH_SI_E_clIS7_S7_SB_PlEESF_SV_SG_SH_SI_EUlSV_E1_NS1_11comp_targetILNS1_3genE4ELNS1_11target_archE910ELNS1_3gpuE8ELNS1_3repE0EEENS1_36merge_oddeven_config_static_selectorELNS0_4arch9wavefront6targetE1EEEvSH_
	.p2align	8
	.type	_ZN7rocprim17ROCPRIM_400000_NS6detail17trampoline_kernelINS0_14default_configENS1_38merge_sort_block_merge_config_selectorIflEEZZNS1_27merge_sort_block_merge_implIS3_PfN6thrust23THRUST_200600_302600_NS10device_ptrIlEEjNS1_19radix_merge_compareILb0ELb0EfNS0_19identity_decomposerEEEEE10hipError_tT0_T1_T2_jT3_P12ihipStream_tbPNSt15iterator_traitsISG_E10value_typeEPNSM_ISH_E10value_typeEPSI_NS1_7vsmem_tEENKUlT_SG_SH_SI_E_clIS7_S7_SB_PlEESF_SV_SG_SH_SI_EUlSV_E1_NS1_11comp_targetILNS1_3genE4ELNS1_11target_archE910ELNS1_3gpuE8ELNS1_3repE0EEENS1_36merge_oddeven_config_static_selectorELNS0_4arch9wavefront6targetE1EEEvSH_,@function
_ZN7rocprim17ROCPRIM_400000_NS6detail17trampoline_kernelINS0_14default_configENS1_38merge_sort_block_merge_config_selectorIflEEZZNS1_27merge_sort_block_merge_implIS3_PfN6thrust23THRUST_200600_302600_NS10device_ptrIlEEjNS1_19radix_merge_compareILb0ELb0EfNS0_19identity_decomposerEEEEE10hipError_tT0_T1_T2_jT3_P12ihipStream_tbPNSt15iterator_traitsISG_E10value_typeEPNSM_ISH_E10value_typeEPSI_NS1_7vsmem_tEENKUlT_SG_SH_SI_E_clIS7_S7_SB_PlEESF_SV_SG_SH_SI_EUlSV_E1_NS1_11comp_targetILNS1_3genE4ELNS1_11target_archE910ELNS1_3gpuE8ELNS1_3repE0EEENS1_36merge_oddeven_config_static_selectorELNS0_4arch9wavefront6targetE1EEEvSH_: ; @_ZN7rocprim17ROCPRIM_400000_NS6detail17trampoline_kernelINS0_14default_configENS1_38merge_sort_block_merge_config_selectorIflEEZZNS1_27merge_sort_block_merge_implIS3_PfN6thrust23THRUST_200600_302600_NS10device_ptrIlEEjNS1_19radix_merge_compareILb0ELb0EfNS0_19identity_decomposerEEEEE10hipError_tT0_T1_T2_jT3_P12ihipStream_tbPNSt15iterator_traitsISG_E10value_typeEPNSM_ISH_E10value_typeEPSI_NS1_7vsmem_tEENKUlT_SG_SH_SI_E_clIS7_S7_SB_PlEESF_SV_SG_SH_SI_EUlSV_E1_NS1_11comp_targetILNS1_3genE4ELNS1_11target_archE910ELNS1_3gpuE8ELNS1_3repE0EEENS1_36merge_oddeven_config_static_selectorELNS0_4arch9wavefront6targetE1EEEvSH_
; %bb.0:
	s_load_dword s20, s[4:5], 0x20
	s_waitcnt lgkmcnt(0)
	s_lshr_b32 s2, s20, 8
	s_cmp_lg_u32 s6, s2
	s_cselect_b64 s[0:1], -1, 0
	s_cmp_eq_u32 s6, s2
	s_cselect_b64 s[16:17], -1, 0
	s_lshl_b32 s18, s6, 8
	s_sub_i32 s2, s20, s18
	v_cmp_gt_u32_e64 s[2:3], s2, v0
	s_or_b64 s[0:1], s[0:1], s[2:3]
	s_and_saveexec_b64 s[8:9], s[0:1]
	s_cbranch_execz .LBB1803_26
; %bb.1:
	s_load_dwordx8 s[8:15], s[4:5], 0x0
	s_mov_b32 s19, 0
	s_lshl_b64 s[0:1], s[18:19], 2
	v_lshlrev_b32_e32 v4, 3, v0
	v_lshlrev_b32_e32 v1, 2, v0
	s_waitcnt lgkmcnt(0)
	s_add_u32 s0, s8, s0
	s_addc_u32 s1, s9, s1
	s_lshl_b64 s[22:23], s[18:19], 3
	s_add_u32 s12, s12, s22
	s_addc_u32 s13, s13, s23
	global_load_dwordx2 v[2:3], v4, s[12:13]
	global_load_dword v6, v1, s[0:1]
	s_load_dword s21, s[4:5], 0x24
	v_add_u32_e32 v4, s18, v0
	s_waitcnt lgkmcnt(0)
	s_lshr_b32 s0, s21, 8
	s_sub_i32 s1, 0, s0
	s_and_b32 s1, s6, s1
	s_and_b32 s0, s1, s0
	s_lshl_b32 s22, s1, 8
	s_sub_i32 s6, 0, s21
	s_cmp_eq_u32 s0, 0
	s_cselect_b64 s[0:1], -1, 0
	s_and_b64 s[4:5], s[0:1], exec
	s_cselect_b32 s19, s21, s6
	s_add_i32 s19, s19, s22
	s_cmp_lt_u32 s19, s20
	s_cbranch_scc1 .LBB1803_6
; %bb.2:
	s_and_b64 vcc, exec, s[16:17]
	s_cbranch_vccz .LBB1803_7
; %bb.3:
	v_cmp_gt_u32_e32 vcc, s20, v4
	s_mov_b64 s[6:7], 0
	s_mov_b64 s[4:5], 0
                                        ; implicit-def: $vgpr0_vgpr1
	s_and_saveexec_b64 s[12:13], vcc
	s_cbranch_execz .LBB1803_5
; %bb.4:
	v_mov_b32_e32 v5, 0
	v_lshlrev_b64 v[0:1], 3, v[4:5]
	v_mov_b32_e32 v7, s15
	v_add_co_u32_e32 v0, vcc, s14, v0
	v_addc_co_u32_e32 v1, vcc, v7, v1, vcc
	v_lshlrev_b64 v[8:9], 2, v[4:5]
	v_mov_b32_e32 v5, s11
	v_add_co_u32_e32 v8, vcc, s10, v8
	s_mov_b64 s[4:5], exec
	v_addc_co_u32_e32 v9, vcc, v5, v9, vcc
	s_waitcnt vmcnt(0)
	global_store_dword v[8:9], v6, off
.LBB1803_5:
	s_or_b64 exec, exec, s[12:13]
	s_and_b64 vcc, exec, s[6:7]
	s_cbranch_vccnz .LBB1803_8
	s_branch .LBB1803_9
.LBB1803_6:
	s_mov_b64 s[4:5], 0
                                        ; implicit-def: $vgpr0_vgpr1
	s_cbranch_execnz .LBB1803_10
	s_branch .LBB1803_24
.LBB1803_7:
	s_mov_b64 s[4:5], 0
                                        ; implicit-def: $vgpr0_vgpr1
	s_cbranch_execz .LBB1803_9
.LBB1803_8:
	v_mov_b32_e32 v5, 0
	v_lshlrev_b64 v[0:1], 2, v[4:5]
	v_mov_b32_e32 v7, s11
	v_add_co_u32_e32 v0, vcc, s10, v0
	v_addc_co_u32_e32 v1, vcc, v7, v1, vcc
	s_waitcnt vmcnt(0)
	global_store_dword v[0:1], v6, off
	v_lshlrev_b64 v[0:1], 3, v[4:5]
	v_mov_b32_e32 v5, s15
	v_add_co_u32_e32 v0, vcc, s14, v0
	v_addc_co_u32_e32 v1, vcc, v5, v1, vcc
	s_or_b64 s[4:5], s[4:5], exec
.LBB1803_9:
	s_branch .LBB1803_24
.LBB1803_10:
	s_min_u32 s12, s19, s20
	s_add_i32 s6, s12, s21
	s_min_u32 s13, s6, s20
	s_min_u32 s6, s22, s12
	s_add_i32 s22, s22, s12
	v_subrev_u32_e32 v0, s22, v4
	v_add_u32_e32 v4, s6, v0
	s_and_b64 vcc, exec, s[16:17]
	s_cbranch_vccz .LBB1803_18
; %bb.11:
                                        ; implicit-def: $vgpr0_vgpr1
	s_and_saveexec_b64 s[6:7], s[2:3]
	s_cbranch_execz .LBB1803_17
; %bb.12:
	s_cmp_ge_u32 s19, s13
	v_mov_b32_e32 v5, s12
	s_cbranch_scc1 .LBB1803_16
; %bb.13:
	s_waitcnt vmcnt(0)
	v_add_f32_e32 v0, 0, v6
	v_ashrrev_i32_e32 v1, 31, v0
	v_or_b32_e32 v1, 0x80000000, v1
	v_xor_b32_e32 v7, v1, v0
	s_mov_b64 s[2:3], 0
	v_mov_b32_e32 v8, s13
	v_mov_b32_e32 v5, s12
	;; [unrolled: 1-line block ×4, first 2 shown]
.LBB1803_14:                            ; =>This Inner Loop Header: Depth=1
	v_add_u32_e32 v0, v5, v8
	v_lshrrev_b32_e32 v0, 1, v0
	v_lshlrev_b64 v[10:11], 2, v[0:1]
	v_add_co_u32_e32 v10, vcc, s8, v10
	v_addc_co_u32_e32 v11, vcc, v9, v11, vcc
	global_load_dword v10, v[10:11], off
	v_add_u32_e32 v11, 1, v0
	s_waitcnt vmcnt(0)
	v_add_f32_e32 v10, 0, v10
	v_ashrrev_i32_e32 v12, 31, v10
	v_or_b32_e32 v12, 0x80000000, v12
	v_xor_b32_e32 v10, v12, v10
	v_cmp_gt_u32_e32 vcc, v7, v10
	v_cndmask_b32_e64 v12, 0, 1, vcc
	v_cmp_le_u32_e32 vcc, v10, v7
	v_cndmask_b32_e64 v10, 0, 1, vcc
	v_cndmask_b32_e64 v10, v10, v12, s[0:1]
	v_and_b32_e32 v10, 1, v10
	v_cmp_eq_u32_e32 vcc, 1, v10
	v_cndmask_b32_e32 v8, v0, v8, vcc
	v_cndmask_b32_e32 v5, v5, v11, vcc
	v_cmp_ge_u32_e32 vcc, v5, v8
	s_or_b64 s[2:3], vcc, s[2:3]
	s_andn2_b64 exec, exec, s[2:3]
	s_cbranch_execnz .LBB1803_14
; %bb.15:
	s_or_b64 exec, exec, s[2:3]
.LBB1803_16:
	v_add_u32_e32 v0, v5, v4
	v_mov_b32_e32 v1, 0
	v_lshlrev_b64 v[8:9], 2, v[0:1]
	v_mov_b32_e32 v5, s11
	v_add_co_u32_e32 v8, vcc, s10, v8
	v_addc_co_u32_e32 v9, vcc, v5, v9, vcc
	v_lshlrev_b64 v[0:1], 3, v[0:1]
	v_mov_b32_e32 v5, s15
	v_add_co_u32_e32 v0, vcc, s14, v0
	s_waitcnt vmcnt(0)
	global_store_dword v[8:9], v6, off
	v_addc_co_u32_e32 v1, vcc, v5, v1, vcc
	s_or_b64 s[4:5], s[4:5], exec
.LBB1803_17:
	s_or_b64 exec, exec, s[6:7]
	s_branch .LBB1803_24
.LBB1803_18:
                                        ; implicit-def: $vgpr0_vgpr1
	s_cbranch_execz .LBB1803_24
; %bb.19:
	s_cmp_ge_u32 s19, s13
	v_mov_b32_e32 v5, s12
	s_cbranch_scc1 .LBB1803_23
; %bb.20:
	s_waitcnt vmcnt(0)
	v_add_f32_e32 v0, 0, v6
	v_ashrrev_i32_e32 v1, 31, v0
	v_or_b32_e32 v1, 0x80000000, v1
	v_xor_b32_e32 v7, v1, v0
	s_mov_b64 s[2:3], 0
	v_mov_b32_e32 v8, s13
	v_mov_b32_e32 v5, s12
	v_mov_b32_e32 v1, 0
	v_mov_b32_e32 v9, s9
.LBB1803_21:                            ; =>This Inner Loop Header: Depth=1
	v_add_u32_e32 v0, v5, v8
	v_lshrrev_b32_e32 v0, 1, v0
	v_lshlrev_b64 v[10:11], 2, v[0:1]
	v_add_co_u32_e32 v10, vcc, s8, v10
	v_addc_co_u32_e32 v11, vcc, v9, v11, vcc
	global_load_dword v10, v[10:11], off
	v_add_u32_e32 v11, 1, v0
	s_waitcnt vmcnt(0)
	v_add_f32_e32 v10, 0, v10
	v_ashrrev_i32_e32 v12, 31, v10
	v_or_b32_e32 v12, 0x80000000, v12
	v_xor_b32_e32 v10, v12, v10
	v_cmp_gt_u32_e32 vcc, v7, v10
	v_cndmask_b32_e64 v12, 0, 1, vcc
	v_cmp_le_u32_e32 vcc, v10, v7
	v_cndmask_b32_e64 v10, 0, 1, vcc
	v_cndmask_b32_e64 v10, v10, v12, s[0:1]
	v_and_b32_e32 v10, 1, v10
	v_cmp_eq_u32_e32 vcc, 1, v10
	v_cndmask_b32_e32 v8, v0, v8, vcc
	v_cndmask_b32_e32 v5, v5, v11, vcc
	v_cmp_ge_u32_e32 vcc, v5, v8
	s_or_b64 s[2:3], vcc, s[2:3]
	s_andn2_b64 exec, exec, s[2:3]
	s_cbranch_execnz .LBB1803_21
; %bb.22:
	s_or_b64 exec, exec, s[2:3]
.LBB1803_23:
	v_add_u32_e32 v0, v5, v4
	v_mov_b32_e32 v1, 0
	v_lshlrev_b64 v[4:5], 2, v[0:1]
	v_mov_b32_e32 v7, s11
	v_add_co_u32_e32 v4, vcc, s10, v4
	v_addc_co_u32_e32 v5, vcc, v7, v5, vcc
	v_lshlrev_b64 v[0:1], 3, v[0:1]
	s_waitcnt vmcnt(0)
	global_store_dword v[4:5], v6, off
	v_mov_b32_e32 v4, s15
	v_add_co_u32_e32 v0, vcc, s14, v0
	v_addc_co_u32_e32 v1, vcc, v4, v1, vcc
	s_mov_b64 s[4:5], -1
.LBB1803_24:
	s_and_b64 exec, exec, s[4:5]
	s_cbranch_execz .LBB1803_26
; %bb.25:
	s_waitcnt vmcnt(1)
	global_store_dwordx2 v[0:1], v[2:3], off
.LBB1803_26:
	s_endpgm
	.section	.rodata,"a",@progbits
	.p2align	6, 0x0
	.amdhsa_kernel _ZN7rocprim17ROCPRIM_400000_NS6detail17trampoline_kernelINS0_14default_configENS1_38merge_sort_block_merge_config_selectorIflEEZZNS1_27merge_sort_block_merge_implIS3_PfN6thrust23THRUST_200600_302600_NS10device_ptrIlEEjNS1_19radix_merge_compareILb0ELb0EfNS0_19identity_decomposerEEEEE10hipError_tT0_T1_T2_jT3_P12ihipStream_tbPNSt15iterator_traitsISG_E10value_typeEPNSM_ISH_E10value_typeEPSI_NS1_7vsmem_tEENKUlT_SG_SH_SI_E_clIS7_S7_SB_PlEESF_SV_SG_SH_SI_EUlSV_E1_NS1_11comp_targetILNS1_3genE4ELNS1_11target_archE910ELNS1_3gpuE8ELNS1_3repE0EEENS1_36merge_oddeven_config_static_selectorELNS0_4arch9wavefront6targetE1EEEvSH_
		.amdhsa_group_segment_fixed_size 0
		.amdhsa_private_segment_fixed_size 0
		.amdhsa_kernarg_size 48
		.amdhsa_user_sgpr_count 6
		.amdhsa_user_sgpr_private_segment_buffer 1
		.amdhsa_user_sgpr_dispatch_ptr 0
		.amdhsa_user_sgpr_queue_ptr 0
		.amdhsa_user_sgpr_kernarg_segment_ptr 1
		.amdhsa_user_sgpr_dispatch_id 0
		.amdhsa_user_sgpr_flat_scratch_init 0
		.amdhsa_user_sgpr_kernarg_preload_length 0
		.amdhsa_user_sgpr_kernarg_preload_offset 0
		.amdhsa_user_sgpr_private_segment_size 0
		.amdhsa_uses_dynamic_stack 0
		.amdhsa_system_sgpr_private_segment_wavefront_offset 0
		.amdhsa_system_sgpr_workgroup_id_x 1
		.amdhsa_system_sgpr_workgroup_id_y 0
		.amdhsa_system_sgpr_workgroup_id_z 0
		.amdhsa_system_sgpr_workgroup_info 0
		.amdhsa_system_vgpr_workitem_id 0
		.amdhsa_next_free_vgpr 13
		.amdhsa_next_free_sgpr 24
		.amdhsa_accum_offset 16
		.amdhsa_reserve_vcc 1
		.amdhsa_reserve_flat_scratch 0
		.amdhsa_float_round_mode_32 0
		.amdhsa_float_round_mode_16_64 0
		.amdhsa_float_denorm_mode_32 3
		.amdhsa_float_denorm_mode_16_64 3
		.amdhsa_dx10_clamp 1
		.amdhsa_ieee_mode 1
		.amdhsa_fp16_overflow 0
		.amdhsa_tg_split 0
		.amdhsa_exception_fp_ieee_invalid_op 0
		.amdhsa_exception_fp_denorm_src 0
		.amdhsa_exception_fp_ieee_div_zero 0
		.amdhsa_exception_fp_ieee_overflow 0
		.amdhsa_exception_fp_ieee_underflow 0
		.amdhsa_exception_fp_ieee_inexact 0
		.amdhsa_exception_int_div_zero 0
	.end_amdhsa_kernel
	.section	.text._ZN7rocprim17ROCPRIM_400000_NS6detail17trampoline_kernelINS0_14default_configENS1_38merge_sort_block_merge_config_selectorIflEEZZNS1_27merge_sort_block_merge_implIS3_PfN6thrust23THRUST_200600_302600_NS10device_ptrIlEEjNS1_19radix_merge_compareILb0ELb0EfNS0_19identity_decomposerEEEEE10hipError_tT0_T1_T2_jT3_P12ihipStream_tbPNSt15iterator_traitsISG_E10value_typeEPNSM_ISH_E10value_typeEPSI_NS1_7vsmem_tEENKUlT_SG_SH_SI_E_clIS7_S7_SB_PlEESF_SV_SG_SH_SI_EUlSV_E1_NS1_11comp_targetILNS1_3genE4ELNS1_11target_archE910ELNS1_3gpuE8ELNS1_3repE0EEENS1_36merge_oddeven_config_static_selectorELNS0_4arch9wavefront6targetE1EEEvSH_,"axG",@progbits,_ZN7rocprim17ROCPRIM_400000_NS6detail17trampoline_kernelINS0_14default_configENS1_38merge_sort_block_merge_config_selectorIflEEZZNS1_27merge_sort_block_merge_implIS3_PfN6thrust23THRUST_200600_302600_NS10device_ptrIlEEjNS1_19radix_merge_compareILb0ELb0EfNS0_19identity_decomposerEEEEE10hipError_tT0_T1_T2_jT3_P12ihipStream_tbPNSt15iterator_traitsISG_E10value_typeEPNSM_ISH_E10value_typeEPSI_NS1_7vsmem_tEENKUlT_SG_SH_SI_E_clIS7_S7_SB_PlEESF_SV_SG_SH_SI_EUlSV_E1_NS1_11comp_targetILNS1_3genE4ELNS1_11target_archE910ELNS1_3gpuE8ELNS1_3repE0EEENS1_36merge_oddeven_config_static_selectorELNS0_4arch9wavefront6targetE1EEEvSH_,comdat
.Lfunc_end1803:
	.size	_ZN7rocprim17ROCPRIM_400000_NS6detail17trampoline_kernelINS0_14default_configENS1_38merge_sort_block_merge_config_selectorIflEEZZNS1_27merge_sort_block_merge_implIS3_PfN6thrust23THRUST_200600_302600_NS10device_ptrIlEEjNS1_19radix_merge_compareILb0ELb0EfNS0_19identity_decomposerEEEEE10hipError_tT0_T1_T2_jT3_P12ihipStream_tbPNSt15iterator_traitsISG_E10value_typeEPNSM_ISH_E10value_typeEPSI_NS1_7vsmem_tEENKUlT_SG_SH_SI_E_clIS7_S7_SB_PlEESF_SV_SG_SH_SI_EUlSV_E1_NS1_11comp_targetILNS1_3genE4ELNS1_11target_archE910ELNS1_3gpuE8ELNS1_3repE0EEENS1_36merge_oddeven_config_static_selectorELNS0_4arch9wavefront6targetE1EEEvSH_, .Lfunc_end1803-_ZN7rocprim17ROCPRIM_400000_NS6detail17trampoline_kernelINS0_14default_configENS1_38merge_sort_block_merge_config_selectorIflEEZZNS1_27merge_sort_block_merge_implIS3_PfN6thrust23THRUST_200600_302600_NS10device_ptrIlEEjNS1_19radix_merge_compareILb0ELb0EfNS0_19identity_decomposerEEEEE10hipError_tT0_T1_T2_jT3_P12ihipStream_tbPNSt15iterator_traitsISG_E10value_typeEPNSM_ISH_E10value_typeEPSI_NS1_7vsmem_tEENKUlT_SG_SH_SI_E_clIS7_S7_SB_PlEESF_SV_SG_SH_SI_EUlSV_E1_NS1_11comp_targetILNS1_3genE4ELNS1_11target_archE910ELNS1_3gpuE8ELNS1_3repE0EEENS1_36merge_oddeven_config_static_selectorELNS0_4arch9wavefront6targetE1EEEvSH_
                                        ; -- End function
	.section	.AMDGPU.csdata,"",@progbits
; Kernel info:
; codeLenInByte = 956
; NumSgprs: 28
; NumVgprs: 13
; NumAgprs: 0
; TotalNumVgprs: 13
; ScratchSize: 0
; MemoryBound: 0
; FloatMode: 240
; IeeeMode: 1
; LDSByteSize: 0 bytes/workgroup (compile time only)
; SGPRBlocks: 3
; VGPRBlocks: 1
; NumSGPRsForWavesPerEU: 28
; NumVGPRsForWavesPerEU: 13
; AccumOffset: 16
; Occupancy: 8
; WaveLimiterHint : 0
; COMPUTE_PGM_RSRC2:SCRATCH_EN: 0
; COMPUTE_PGM_RSRC2:USER_SGPR: 6
; COMPUTE_PGM_RSRC2:TRAP_HANDLER: 0
; COMPUTE_PGM_RSRC2:TGID_X_EN: 1
; COMPUTE_PGM_RSRC2:TGID_Y_EN: 0
; COMPUTE_PGM_RSRC2:TGID_Z_EN: 0
; COMPUTE_PGM_RSRC2:TIDIG_COMP_CNT: 0
; COMPUTE_PGM_RSRC3_GFX90A:ACCUM_OFFSET: 3
; COMPUTE_PGM_RSRC3_GFX90A:TG_SPLIT: 0
	.section	.text._ZN7rocprim17ROCPRIM_400000_NS6detail17trampoline_kernelINS0_14default_configENS1_38merge_sort_block_merge_config_selectorIflEEZZNS1_27merge_sort_block_merge_implIS3_PfN6thrust23THRUST_200600_302600_NS10device_ptrIlEEjNS1_19radix_merge_compareILb0ELb0EfNS0_19identity_decomposerEEEEE10hipError_tT0_T1_T2_jT3_P12ihipStream_tbPNSt15iterator_traitsISG_E10value_typeEPNSM_ISH_E10value_typeEPSI_NS1_7vsmem_tEENKUlT_SG_SH_SI_E_clIS7_S7_SB_PlEESF_SV_SG_SH_SI_EUlSV_E1_NS1_11comp_targetILNS1_3genE3ELNS1_11target_archE908ELNS1_3gpuE7ELNS1_3repE0EEENS1_36merge_oddeven_config_static_selectorELNS0_4arch9wavefront6targetE1EEEvSH_,"axG",@progbits,_ZN7rocprim17ROCPRIM_400000_NS6detail17trampoline_kernelINS0_14default_configENS1_38merge_sort_block_merge_config_selectorIflEEZZNS1_27merge_sort_block_merge_implIS3_PfN6thrust23THRUST_200600_302600_NS10device_ptrIlEEjNS1_19radix_merge_compareILb0ELb0EfNS0_19identity_decomposerEEEEE10hipError_tT0_T1_T2_jT3_P12ihipStream_tbPNSt15iterator_traitsISG_E10value_typeEPNSM_ISH_E10value_typeEPSI_NS1_7vsmem_tEENKUlT_SG_SH_SI_E_clIS7_S7_SB_PlEESF_SV_SG_SH_SI_EUlSV_E1_NS1_11comp_targetILNS1_3genE3ELNS1_11target_archE908ELNS1_3gpuE7ELNS1_3repE0EEENS1_36merge_oddeven_config_static_selectorELNS0_4arch9wavefront6targetE1EEEvSH_,comdat
	.protected	_ZN7rocprim17ROCPRIM_400000_NS6detail17trampoline_kernelINS0_14default_configENS1_38merge_sort_block_merge_config_selectorIflEEZZNS1_27merge_sort_block_merge_implIS3_PfN6thrust23THRUST_200600_302600_NS10device_ptrIlEEjNS1_19radix_merge_compareILb0ELb0EfNS0_19identity_decomposerEEEEE10hipError_tT0_T1_T2_jT3_P12ihipStream_tbPNSt15iterator_traitsISG_E10value_typeEPNSM_ISH_E10value_typeEPSI_NS1_7vsmem_tEENKUlT_SG_SH_SI_E_clIS7_S7_SB_PlEESF_SV_SG_SH_SI_EUlSV_E1_NS1_11comp_targetILNS1_3genE3ELNS1_11target_archE908ELNS1_3gpuE7ELNS1_3repE0EEENS1_36merge_oddeven_config_static_selectorELNS0_4arch9wavefront6targetE1EEEvSH_ ; -- Begin function _ZN7rocprim17ROCPRIM_400000_NS6detail17trampoline_kernelINS0_14default_configENS1_38merge_sort_block_merge_config_selectorIflEEZZNS1_27merge_sort_block_merge_implIS3_PfN6thrust23THRUST_200600_302600_NS10device_ptrIlEEjNS1_19radix_merge_compareILb0ELb0EfNS0_19identity_decomposerEEEEE10hipError_tT0_T1_T2_jT3_P12ihipStream_tbPNSt15iterator_traitsISG_E10value_typeEPNSM_ISH_E10value_typeEPSI_NS1_7vsmem_tEENKUlT_SG_SH_SI_E_clIS7_S7_SB_PlEESF_SV_SG_SH_SI_EUlSV_E1_NS1_11comp_targetILNS1_3genE3ELNS1_11target_archE908ELNS1_3gpuE7ELNS1_3repE0EEENS1_36merge_oddeven_config_static_selectorELNS0_4arch9wavefront6targetE1EEEvSH_
	.globl	_ZN7rocprim17ROCPRIM_400000_NS6detail17trampoline_kernelINS0_14default_configENS1_38merge_sort_block_merge_config_selectorIflEEZZNS1_27merge_sort_block_merge_implIS3_PfN6thrust23THRUST_200600_302600_NS10device_ptrIlEEjNS1_19radix_merge_compareILb0ELb0EfNS0_19identity_decomposerEEEEE10hipError_tT0_T1_T2_jT3_P12ihipStream_tbPNSt15iterator_traitsISG_E10value_typeEPNSM_ISH_E10value_typeEPSI_NS1_7vsmem_tEENKUlT_SG_SH_SI_E_clIS7_S7_SB_PlEESF_SV_SG_SH_SI_EUlSV_E1_NS1_11comp_targetILNS1_3genE3ELNS1_11target_archE908ELNS1_3gpuE7ELNS1_3repE0EEENS1_36merge_oddeven_config_static_selectorELNS0_4arch9wavefront6targetE1EEEvSH_
	.p2align	8
	.type	_ZN7rocprim17ROCPRIM_400000_NS6detail17trampoline_kernelINS0_14default_configENS1_38merge_sort_block_merge_config_selectorIflEEZZNS1_27merge_sort_block_merge_implIS3_PfN6thrust23THRUST_200600_302600_NS10device_ptrIlEEjNS1_19radix_merge_compareILb0ELb0EfNS0_19identity_decomposerEEEEE10hipError_tT0_T1_T2_jT3_P12ihipStream_tbPNSt15iterator_traitsISG_E10value_typeEPNSM_ISH_E10value_typeEPSI_NS1_7vsmem_tEENKUlT_SG_SH_SI_E_clIS7_S7_SB_PlEESF_SV_SG_SH_SI_EUlSV_E1_NS1_11comp_targetILNS1_3genE3ELNS1_11target_archE908ELNS1_3gpuE7ELNS1_3repE0EEENS1_36merge_oddeven_config_static_selectorELNS0_4arch9wavefront6targetE1EEEvSH_,@function
_ZN7rocprim17ROCPRIM_400000_NS6detail17trampoline_kernelINS0_14default_configENS1_38merge_sort_block_merge_config_selectorIflEEZZNS1_27merge_sort_block_merge_implIS3_PfN6thrust23THRUST_200600_302600_NS10device_ptrIlEEjNS1_19radix_merge_compareILb0ELb0EfNS0_19identity_decomposerEEEEE10hipError_tT0_T1_T2_jT3_P12ihipStream_tbPNSt15iterator_traitsISG_E10value_typeEPNSM_ISH_E10value_typeEPSI_NS1_7vsmem_tEENKUlT_SG_SH_SI_E_clIS7_S7_SB_PlEESF_SV_SG_SH_SI_EUlSV_E1_NS1_11comp_targetILNS1_3genE3ELNS1_11target_archE908ELNS1_3gpuE7ELNS1_3repE0EEENS1_36merge_oddeven_config_static_selectorELNS0_4arch9wavefront6targetE1EEEvSH_: ; @_ZN7rocprim17ROCPRIM_400000_NS6detail17trampoline_kernelINS0_14default_configENS1_38merge_sort_block_merge_config_selectorIflEEZZNS1_27merge_sort_block_merge_implIS3_PfN6thrust23THRUST_200600_302600_NS10device_ptrIlEEjNS1_19radix_merge_compareILb0ELb0EfNS0_19identity_decomposerEEEEE10hipError_tT0_T1_T2_jT3_P12ihipStream_tbPNSt15iterator_traitsISG_E10value_typeEPNSM_ISH_E10value_typeEPSI_NS1_7vsmem_tEENKUlT_SG_SH_SI_E_clIS7_S7_SB_PlEESF_SV_SG_SH_SI_EUlSV_E1_NS1_11comp_targetILNS1_3genE3ELNS1_11target_archE908ELNS1_3gpuE7ELNS1_3repE0EEENS1_36merge_oddeven_config_static_selectorELNS0_4arch9wavefront6targetE1EEEvSH_
; %bb.0:
	.section	.rodata,"a",@progbits
	.p2align	6, 0x0
	.amdhsa_kernel _ZN7rocprim17ROCPRIM_400000_NS6detail17trampoline_kernelINS0_14default_configENS1_38merge_sort_block_merge_config_selectorIflEEZZNS1_27merge_sort_block_merge_implIS3_PfN6thrust23THRUST_200600_302600_NS10device_ptrIlEEjNS1_19radix_merge_compareILb0ELb0EfNS0_19identity_decomposerEEEEE10hipError_tT0_T1_T2_jT3_P12ihipStream_tbPNSt15iterator_traitsISG_E10value_typeEPNSM_ISH_E10value_typeEPSI_NS1_7vsmem_tEENKUlT_SG_SH_SI_E_clIS7_S7_SB_PlEESF_SV_SG_SH_SI_EUlSV_E1_NS1_11comp_targetILNS1_3genE3ELNS1_11target_archE908ELNS1_3gpuE7ELNS1_3repE0EEENS1_36merge_oddeven_config_static_selectorELNS0_4arch9wavefront6targetE1EEEvSH_
		.amdhsa_group_segment_fixed_size 0
		.amdhsa_private_segment_fixed_size 0
		.amdhsa_kernarg_size 48
		.amdhsa_user_sgpr_count 6
		.amdhsa_user_sgpr_private_segment_buffer 1
		.amdhsa_user_sgpr_dispatch_ptr 0
		.amdhsa_user_sgpr_queue_ptr 0
		.amdhsa_user_sgpr_kernarg_segment_ptr 1
		.amdhsa_user_sgpr_dispatch_id 0
		.amdhsa_user_sgpr_flat_scratch_init 0
		.amdhsa_user_sgpr_kernarg_preload_length 0
		.amdhsa_user_sgpr_kernarg_preload_offset 0
		.amdhsa_user_sgpr_private_segment_size 0
		.amdhsa_uses_dynamic_stack 0
		.amdhsa_system_sgpr_private_segment_wavefront_offset 0
		.amdhsa_system_sgpr_workgroup_id_x 1
		.amdhsa_system_sgpr_workgroup_id_y 0
		.amdhsa_system_sgpr_workgroup_id_z 0
		.amdhsa_system_sgpr_workgroup_info 0
		.amdhsa_system_vgpr_workitem_id 0
		.amdhsa_next_free_vgpr 1
		.amdhsa_next_free_sgpr 0
		.amdhsa_accum_offset 4
		.amdhsa_reserve_vcc 0
		.amdhsa_reserve_flat_scratch 0
		.amdhsa_float_round_mode_32 0
		.amdhsa_float_round_mode_16_64 0
		.amdhsa_float_denorm_mode_32 3
		.amdhsa_float_denorm_mode_16_64 3
		.amdhsa_dx10_clamp 1
		.amdhsa_ieee_mode 1
		.amdhsa_fp16_overflow 0
		.amdhsa_tg_split 0
		.amdhsa_exception_fp_ieee_invalid_op 0
		.amdhsa_exception_fp_denorm_src 0
		.amdhsa_exception_fp_ieee_div_zero 0
		.amdhsa_exception_fp_ieee_overflow 0
		.amdhsa_exception_fp_ieee_underflow 0
		.amdhsa_exception_fp_ieee_inexact 0
		.amdhsa_exception_int_div_zero 0
	.end_amdhsa_kernel
	.section	.text._ZN7rocprim17ROCPRIM_400000_NS6detail17trampoline_kernelINS0_14default_configENS1_38merge_sort_block_merge_config_selectorIflEEZZNS1_27merge_sort_block_merge_implIS3_PfN6thrust23THRUST_200600_302600_NS10device_ptrIlEEjNS1_19radix_merge_compareILb0ELb0EfNS0_19identity_decomposerEEEEE10hipError_tT0_T1_T2_jT3_P12ihipStream_tbPNSt15iterator_traitsISG_E10value_typeEPNSM_ISH_E10value_typeEPSI_NS1_7vsmem_tEENKUlT_SG_SH_SI_E_clIS7_S7_SB_PlEESF_SV_SG_SH_SI_EUlSV_E1_NS1_11comp_targetILNS1_3genE3ELNS1_11target_archE908ELNS1_3gpuE7ELNS1_3repE0EEENS1_36merge_oddeven_config_static_selectorELNS0_4arch9wavefront6targetE1EEEvSH_,"axG",@progbits,_ZN7rocprim17ROCPRIM_400000_NS6detail17trampoline_kernelINS0_14default_configENS1_38merge_sort_block_merge_config_selectorIflEEZZNS1_27merge_sort_block_merge_implIS3_PfN6thrust23THRUST_200600_302600_NS10device_ptrIlEEjNS1_19radix_merge_compareILb0ELb0EfNS0_19identity_decomposerEEEEE10hipError_tT0_T1_T2_jT3_P12ihipStream_tbPNSt15iterator_traitsISG_E10value_typeEPNSM_ISH_E10value_typeEPSI_NS1_7vsmem_tEENKUlT_SG_SH_SI_E_clIS7_S7_SB_PlEESF_SV_SG_SH_SI_EUlSV_E1_NS1_11comp_targetILNS1_3genE3ELNS1_11target_archE908ELNS1_3gpuE7ELNS1_3repE0EEENS1_36merge_oddeven_config_static_selectorELNS0_4arch9wavefront6targetE1EEEvSH_,comdat
.Lfunc_end1804:
	.size	_ZN7rocprim17ROCPRIM_400000_NS6detail17trampoline_kernelINS0_14default_configENS1_38merge_sort_block_merge_config_selectorIflEEZZNS1_27merge_sort_block_merge_implIS3_PfN6thrust23THRUST_200600_302600_NS10device_ptrIlEEjNS1_19radix_merge_compareILb0ELb0EfNS0_19identity_decomposerEEEEE10hipError_tT0_T1_T2_jT3_P12ihipStream_tbPNSt15iterator_traitsISG_E10value_typeEPNSM_ISH_E10value_typeEPSI_NS1_7vsmem_tEENKUlT_SG_SH_SI_E_clIS7_S7_SB_PlEESF_SV_SG_SH_SI_EUlSV_E1_NS1_11comp_targetILNS1_3genE3ELNS1_11target_archE908ELNS1_3gpuE7ELNS1_3repE0EEENS1_36merge_oddeven_config_static_selectorELNS0_4arch9wavefront6targetE1EEEvSH_, .Lfunc_end1804-_ZN7rocprim17ROCPRIM_400000_NS6detail17trampoline_kernelINS0_14default_configENS1_38merge_sort_block_merge_config_selectorIflEEZZNS1_27merge_sort_block_merge_implIS3_PfN6thrust23THRUST_200600_302600_NS10device_ptrIlEEjNS1_19radix_merge_compareILb0ELb0EfNS0_19identity_decomposerEEEEE10hipError_tT0_T1_T2_jT3_P12ihipStream_tbPNSt15iterator_traitsISG_E10value_typeEPNSM_ISH_E10value_typeEPSI_NS1_7vsmem_tEENKUlT_SG_SH_SI_E_clIS7_S7_SB_PlEESF_SV_SG_SH_SI_EUlSV_E1_NS1_11comp_targetILNS1_3genE3ELNS1_11target_archE908ELNS1_3gpuE7ELNS1_3repE0EEENS1_36merge_oddeven_config_static_selectorELNS0_4arch9wavefront6targetE1EEEvSH_
                                        ; -- End function
	.section	.AMDGPU.csdata,"",@progbits
; Kernel info:
; codeLenInByte = 0
; NumSgprs: 4
; NumVgprs: 0
; NumAgprs: 0
; TotalNumVgprs: 0
; ScratchSize: 0
; MemoryBound: 0
; FloatMode: 240
; IeeeMode: 1
; LDSByteSize: 0 bytes/workgroup (compile time only)
; SGPRBlocks: 0
; VGPRBlocks: 0
; NumSGPRsForWavesPerEU: 4
; NumVGPRsForWavesPerEU: 1
; AccumOffset: 4
; Occupancy: 8
; WaveLimiterHint : 0
; COMPUTE_PGM_RSRC2:SCRATCH_EN: 0
; COMPUTE_PGM_RSRC2:USER_SGPR: 6
; COMPUTE_PGM_RSRC2:TRAP_HANDLER: 0
; COMPUTE_PGM_RSRC2:TGID_X_EN: 1
; COMPUTE_PGM_RSRC2:TGID_Y_EN: 0
; COMPUTE_PGM_RSRC2:TGID_Z_EN: 0
; COMPUTE_PGM_RSRC2:TIDIG_COMP_CNT: 0
; COMPUTE_PGM_RSRC3_GFX90A:ACCUM_OFFSET: 0
; COMPUTE_PGM_RSRC3_GFX90A:TG_SPLIT: 0
	.section	.text._ZN7rocprim17ROCPRIM_400000_NS6detail17trampoline_kernelINS0_14default_configENS1_38merge_sort_block_merge_config_selectorIflEEZZNS1_27merge_sort_block_merge_implIS3_PfN6thrust23THRUST_200600_302600_NS10device_ptrIlEEjNS1_19radix_merge_compareILb0ELb0EfNS0_19identity_decomposerEEEEE10hipError_tT0_T1_T2_jT3_P12ihipStream_tbPNSt15iterator_traitsISG_E10value_typeEPNSM_ISH_E10value_typeEPSI_NS1_7vsmem_tEENKUlT_SG_SH_SI_E_clIS7_S7_SB_PlEESF_SV_SG_SH_SI_EUlSV_E1_NS1_11comp_targetILNS1_3genE2ELNS1_11target_archE906ELNS1_3gpuE6ELNS1_3repE0EEENS1_36merge_oddeven_config_static_selectorELNS0_4arch9wavefront6targetE1EEEvSH_,"axG",@progbits,_ZN7rocprim17ROCPRIM_400000_NS6detail17trampoline_kernelINS0_14default_configENS1_38merge_sort_block_merge_config_selectorIflEEZZNS1_27merge_sort_block_merge_implIS3_PfN6thrust23THRUST_200600_302600_NS10device_ptrIlEEjNS1_19radix_merge_compareILb0ELb0EfNS0_19identity_decomposerEEEEE10hipError_tT0_T1_T2_jT3_P12ihipStream_tbPNSt15iterator_traitsISG_E10value_typeEPNSM_ISH_E10value_typeEPSI_NS1_7vsmem_tEENKUlT_SG_SH_SI_E_clIS7_S7_SB_PlEESF_SV_SG_SH_SI_EUlSV_E1_NS1_11comp_targetILNS1_3genE2ELNS1_11target_archE906ELNS1_3gpuE6ELNS1_3repE0EEENS1_36merge_oddeven_config_static_selectorELNS0_4arch9wavefront6targetE1EEEvSH_,comdat
	.protected	_ZN7rocprim17ROCPRIM_400000_NS6detail17trampoline_kernelINS0_14default_configENS1_38merge_sort_block_merge_config_selectorIflEEZZNS1_27merge_sort_block_merge_implIS3_PfN6thrust23THRUST_200600_302600_NS10device_ptrIlEEjNS1_19radix_merge_compareILb0ELb0EfNS0_19identity_decomposerEEEEE10hipError_tT0_T1_T2_jT3_P12ihipStream_tbPNSt15iterator_traitsISG_E10value_typeEPNSM_ISH_E10value_typeEPSI_NS1_7vsmem_tEENKUlT_SG_SH_SI_E_clIS7_S7_SB_PlEESF_SV_SG_SH_SI_EUlSV_E1_NS1_11comp_targetILNS1_3genE2ELNS1_11target_archE906ELNS1_3gpuE6ELNS1_3repE0EEENS1_36merge_oddeven_config_static_selectorELNS0_4arch9wavefront6targetE1EEEvSH_ ; -- Begin function _ZN7rocprim17ROCPRIM_400000_NS6detail17trampoline_kernelINS0_14default_configENS1_38merge_sort_block_merge_config_selectorIflEEZZNS1_27merge_sort_block_merge_implIS3_PfN6thrust23THRUST_200600_302600_NS10device_ptrIlEEjNS1_19radix_merge_compareILb0ELb0EfNS0_19identity_decomposerEEEEE10hipError_tT0_T1_T2_jT3_P12ihipStream_tbPNSt15iterator_traitsISG_E10value_typeEPNSM_ISH_E10value_typeEPSI_NS1_7vsmem_tEENKUlT_SG_SH_SI_E_clIS7_S7_SB_PlEESF_SV_SG_SH_SI_EUlSV_E1_NS1_11comp_targetILNS1_3genE2ELNS1_11target_archE906ELNS1_3gpuE6ELNS1_3repE0EEENS1_36merge_oddeven_config_static_selectorELNS0_4arch9wavefront6targetE1EEEvSH_
	.globl	_ZN7rocprim17ROCPRIM_400000_NS6detail17trampoline_kernelINS0_14default_configENS1_38merge_sort_block_merge_config_selectorIflEEZZNS1_27merge_sort_block_merge_implIS3_PfN6thrust23THRUST_200600_302600_NS10device_ptrIlEEjNS1_19radix_merge_compareILb0ELb0EfNS0_19identity_decomposerEEEEE10hipError_tT0_T1_T2_jT3_P12ihipStream_tbPNSt15iterator_traitsISG_E10value_typeEPNSM_ISH_E10value_typeEPSI_NS1_7vsmem_tEENKUlT_SG_SH_SI_E_clIS7_S7_SB_PlEESF_SV_SG_SH_SI_EUlSV_E1_NS1_11comp_targetILNS1_3genE2ELNS1_11target_archE906ELNS1_3gpuE6ELNS1_3repE0EEENS1_36merge_oddeven_config_static_selectorELNS0_4arch9wavefront6targetE1EEEvSH_
	.p2align	8
	.type	_ZN7rocprim17ROCPRIM_400000_NS6detail17trampoline_kernelINS0_14default_configENS1_38merge_sort_block_merge_config_selectorIflEEZZNS1_27merge_sort_block_merge_implIS3_PfN6thrust23THRUST_200600_302600_NS10device_ptrIlEEjNS1_19radix_merge_compareILb0ELb0EfNS0_19identity_decomposerEEEEE10hipError_tT0_T1_T2_jT3_P12ihipStream_tbPNSt15iterator_traitsISG_E10value_typeEPNSM_ISH_E10value_typeEPSI_NS1_7vsmem_tEENKUlT_SG_SH_SI_E_clIS7_S7_SB_PlEESF_SV_SG_SH_SI_EUlSV_E1_NS1_11comp_targetILNS1_3genE2ELNS1_11target_archE906ELNS1_3gpuE6ELNS1_3repE0EEENS1_36merge_oddeven_config_static_selectorELNS0_4arch9wavefront6targetE1EEEvSH_,@function
_ZN7rocprim17ROCPRIM_400000_NS6detail17trampoline_kernelINS0_14default_configENS1_38merge_sort_block_merge_config_selectorIflEEZZNS1_27merge_sort_block_merge_implIS3_PfN6thrust23THRUST_200600_302600_NS10device_ptrIlEEjNS1_19radix_merge_compareILb0ELb0EfNS0_19identity_decomposerEEEEE10hipError_tT0_T1_T2_jT3_P12ihipStream_tbPNSt15iterator_traitsISG_E10value_typeEPNSM_ISH_E10value_typeEPSI_NS1_7vsmem_tEENKUlT_SG_SH_SI_E_clIS7_S7_SB_PlEESF_SV_SG_SH_SI_EUlSV_E1_NS1_11comp_targetILNS1_3genE2ELNS1_11target_archE906ELNS1_3gpuE6ELNS1_3repE0EEENS1_36merge_oddeven_config_static_selectorELNS0_4arch9wavefront6targetE1EEEvSH_: ; @_ZN7rocprim17ROCPRIM_400000_NS6detail17trampoline_kernelINS0_14default_configENS1_38merge_sort_block_merge_config_selectorIflEEZZNS1_27merge_sort_block_merge_implIS3_PfN6thrust23THRUST_200600_302600_NS10device_ptrIlEEjNS1_19radix_merge_compareILb0ELb0EfNS0_19identity_decomposerEEEEE10hipError_tT0_T1_T2_jT3_P12ihipStream_tbPNSt15iterator_traitsISG_E10value_typeEPNSM_ISH_E10value_typeEPSI_NS1_7vsmem_tEENKUlT_SG_SH_SI_E_clIS7_S7_SB_PlEESF_SV_SG_SH_SI_EUlSV_E1_NS1_11comp_targetILNS1_3genE2ELNS1_11target_archE906ELNS1_3gpuE6ELNS1_3repE0EEENS1_36merge_oddeven_config_static_selectorELNS0_4arch9wavefront6targetE1EEEvSH_
; %bb.0:
	.section	.rodata,"a",@progbits
	.p2align	6, 0x0
	.amdhsa_kernel _ZN7rocprim17ROCPRIM_400000_NS6detail17trampoline_kernelINS0_14default_configENS1_38merge_sort_block_merge_config_selectorIflEEZZNS1_27merge_sort_block_merge_implIS3_PfN6thrust23THRUST_200600_302600_NS10device_ptrIlEEjNS1_19radix_merge_compareILb0ELb0EfNS0_19identity_decomposerEEEEE10hipError_tT0_T1_T2_jT3_P12ihipStream_tbPNSt15iterator_traitsISG_E10value_typeEPNSM_ISH_E10value_typeEPSI_NS1_7vsmem_tEENKUlT_SG_SH_SI_E_clIS7_S7_SB_PlEESF_SV_SG_SH_SI_EUlSV_E1_NS1_11comp_targetILNS1_3genE2ELNS1_11target_archE906ELNS1_3gpuE6ELNS1_3repE0EEENS1_36merge_oddeven_config_static_selectorELNS0_4arch9wavefront6targetE1EEEvSH_
		.amdhsa_group_segment_fixed_size 0
		.amdhsa_private_segment_fixed_size 0
		.amdhsa_kernarg_size 48
		.amdhsa_user_sgpr_count 6
		.amdhsa_user_sgpr_private_segment_buffer 1
		.amdhsa_user_sgpr_dispatch_ptr 0
		.amdhsa_user_sgpr_queue_ptr 0
		.amdhsa_user_sgpr_kernarg_segment_ptr 1
		.amdhsa_user_sgpr_dispatch_id 0
		.amdhsa_user_sgpr_flat_scratch_init 0
		.amdhsa_user_sgpr_kernarg_preload_length 0
		.amdhsa_user_sgpr_kernarg_preload_offset 0
		.amdhsa_user_sgpr_private_segment_size 0
		.amdhsa_uses_dynamic_stack 0
		.amdhsa_system_sgpr_private_segment_wavefront_offset 0
		.amdhsa_system_sgpr_workgroup_id_x 1
		.amdhsa_system_sgpr_workgroup_id_y 0
		.amdhsa_system_sgpr_workgroup_id_z 0
		.amdhsa_system_sgpr_workgroup_info 0
		.amdhsa_system_vgpr_workitem_id 0
		.amdhsa_next_free_vgpr 1
		.amdhsa_next_free_sgpr 0
		.amdhsa_accum_offset 4
		.amdhsa_reserve_vcc 0
		.amdhsa_reserve_flat_scratch 0
		.amdhsa_float_round_mode_32 0
		.amdhsa_float_round_mode_16_64 0
		.amdhsa_float_denorm_mode_32 3
		.amdhsa_float_denorm_mode_16_64 3
		.amdhsa_dx10_clamp 1
		.amdhsa_ieee_mode 1
		.amdhsa_fp16_overflow 0
		.amdhsa_tg_split 0
		.amdhsa_exception_fp_ieee_invalid_op 0
		.amdhsa_exception_fp_denorm_src 0
		.amdhsa_exception_fp_ieee_div_zero 0
		.amdhsa_exception_fp_ieee_overflow 0
		.amdhsa_exception_fp_ieee_underflow 0
		.amdhsa_exception_fp_ieee_inexact 0
		.amdhsa_exception_int_div_zero 0
	.end_amdhsa_kernel
	.section	.text._ZN7rocprim17ROCPRIM_400000_NS6detail17trampoline_kernelINS0_14default_configENS1_38merge_sort_block_merge_config_selectorIflEEZZNS1_27merge_sort_block_merge_implIS3_PfN6thrust23THRUST_200600_302600_NS10device_ptrIlEEjNS1_19radix_merge_compareILb0ELb0EfNS0_19identity_decomposerEEEEE10hipError_tT0_T1_T2_jT3_P12ihipStream_tbPNSt15iterator_traitsISG_E10value_typeEPNSM_ISH_E10value_typeEPSI_NS1_7vsmem_tEENKUlT_SG_SH_SI_E_clIS7_S7_SB_PlEESF_SV_SG_SH_SI_EUlSV_E1_NS1_11comp_targetILNS1_3genE2ELNS1_11target_archE906ELNS1_3gpuE6ELNS1_3repE0EEENS1_36merge_oddeven_config_static_selectorELNS0_4arch9wavefront6targetE1EEEvSH_,"axG",@progbits,_ZN7rocprim17ROCPRIM_400000_NS6detail17trampoline_kernelINS0_14default_configENS1_38merge_sort_block_merge_config_selectorIflEEZZNS1_27merge_sort_block_merge_implIS3_PfN6thrust23THRUST_200600_302600_NS10device_ptrIlEEjNS1_19radix_merge_compareILb0ELb0EfNS0_19identity_decomposerEEEEE10hipError_tT0_T1_T2_jT3_P12ihipStream_tbPNSt15iterator_traitsISG_E10value_typeEPNSM_ISH_E10value_typeEPSI_NS1_7vsmem_tEENKUlT_SG_SH_SI_E_clIS7_S7_SB_PlEESF_SV_SG_SH_SI_EUlSV_E1_NS1_11comp_targetILNS1_3genE2ELNS1_11target_archE906ELNS1_3gpuE6ELNS1_3repE0EEENS1_36merge_oddeven_config_static_selectorELNS0_4arch9wavefront6targetE1EEEvSH_,comdat
.Lfunc_end1805:
	.size	_ZN7rocprim17ROCPRIM_400000_NS6detail17trampoline_kernelINS0_14default_configENS1_38merge_sort_block_merge_config_selectorIflEEZZNS1_27merge_sort_block_merge_implIS3_PfN6thrust23THRUST_200600_302600_NS10device_ptrIlEEjNS1_19radix_merge_compareILb0ELb0EfNS0_19identity_decomposerEEEEE10hipError_tT0_T1_T2_jT3_P12ihipStream_tbPNSt15iterator_traitsISG_E10value_typeEPNSM_ISH_E10value_typeEPSI_NS1_7vsmem_tEENKUlT_SG_SH_SI_E_clIS7_S7_SB_PlEESF_SV_SG_SH_SI_EUlSV_E1_NS1_11comp_targetILNS1_3genE2ELNS1_11target_archE906ELNS1_3gpuE6ELNS1_3repE0EEENS1_36merge_oddeven_config_static_selectorELNS0_4arch9wavefront6targetE1EEEvSH_, .Lfunc_end1805-_ZN7rocprim17ROCPRIM_400000_NS6detail17trampoline_kernelINS0_14default_configENS1_38merge_sort_block_merge_config_selectorIflEEZZNS1_27merge_sort_block_merge_implIS3_PfN6thrust23THRUST_200600_302600_NS10device_ptrIlEEjNS1_19radix_merge_compareILb0ELb0EfNS0_19identity_decomposerEEEEE10hipError_tT0_T1_T2_jT3_P12ihipStream_tbPNSt15iterator_traitsISG_E10value_typeEPNSM_ISH_E10value_typeEPSI_NS1_7vsmem_tEENKUlT_SG_SH_SI_E_clIS7_S7_SB_PlEESF_SV_SG_SH_SI_EUlSV_E1_NS1_11comp_targetILNS1_3genE2ELNS1_11target_archE906ELNS1_3gpuE6ELNS1_3repE0EEENS1_36merge_oddeven_config_static_selectorELNS0_4arch9wavefront6targetE1EEEvSH_
                                        ; -- End function
	.section	.AMDGPU.csdata,"",@progbits
; Kernel info:
; codeLenInByte = 0
; NumSgprs: 4
; NumVgprs: 0
; NumAgprs: 0
; TotalNumVgprs: 0
; ScratchSize: 0
; MemoryBound: 0
; FloatMode: 240
; IeeeMode: 1
; LDSByteSize: 0 bytes/workgroup (compile time only)
; SGPRBlocks: 0
; VGPRBlocks: 0
; NumSGPRsForWavesPerEU: 4
; NumVGPRsForWavesPerEU: 1
; AccumOffset: 4
; Occupancy: 8
; WaveLimiterHint : 0
; COMPUTE_PGM_RSRC2:SCRATCH_EN: 0
; COMPUTE_PGM_RSRC2:USER_SGPR: 6
; COMPUTE_PGM_RSRC2:TRAP_HANDLER: 0
; COMPUTE_PGM_RSRC2:TGID_X_EN: 1
; COMPUTE_PGM_RSRC2:TGID_Y_EN: 0
; COMPUTE_PGM_RSRC2:TGID_Z_EN: 0
; COMPUTE_PGM_RSRC2:TIDIG_COMP_CNT: 0
; COMPUTE_PGM_RSRC3_GFX90A:ACCUM_OFFSET: 0
; COMPUTE_PGM_RSRC3_GFX90A:TG_SPLIT: 0
	.section	.text._ZN7rocprim17ROCPRIM_400000_NS6detail17trampoline_kernelINS0_14default_configENS1_38merge_sort_block_merge_config_selectorIflEEZZNS1_27merge_sort_block_merge_implIS3_PfN6thrust23THRUST_200600_302600_NS10device_ptrIlEEjNS1_19radix_merge_compareILb0ELb0EfNS0_19identity_decomposerEEEEE10hipError_tT0_T1_T2_jT3_P12ihipStream_tbPNSt15iterator_traitsISG_E10value_typeEPNSM_ISH_E10value_typeEPSI_NS1_7vsmem_tEENKUlT_SG_SH_SI_E_clIS7_S7_SB_PlEESF_SV_SG_SH_SI_EUlSV_E1_NS1_11comp_targetILNS1_3genE9ELNS1_11target_archE1100ELNS1_3gpuE3ELNS1_3repE0EEENS1_36merge_oddeven_config_static_selectorELNS0_4arch9wavefront6targetE1EEEvSH_,"axG",@progbits,_ZN7rocprim17ROCPRIM_400000_NS6detail17trampoline_kernelINS0_14default_configENS1_38merge_sort_block_merge_config_selectorIflEEZZNS1_27merge_sort_block_merge_implIS3_PfN6thrust23THRUST_200600_302600_NS10device_ptrIlEEjNS1_19radix_merge_compareILb0ELb0EfNS0_19identity_decomposerEEEEE10hipError_tT0_T1_T2_jT3_P12ihipStream_tbPNSt15iterator_traitsISG_E10value_typeEPNSM_ISH_E10value_typeEPSI_NS1_7vsmem_tEENKUlT_SG_SH_SI_E_clIS7_S7_SB_PlEESF_SV_SG_SH_SI_EUlSV_E1_NS1_11comp_targetILNS1_3genE9ELNS1_11target_archE1100ELNS1_3gpuE3ELNS1_3repE0EEENS1_36merge_oddeven_config_static_selectorELNS0_4arch9wavefront6targetE1EEEvSH_,comdat
	.protected	_ZN7rocprim17ROCPRIM_400000_NS6detail17trampoline_kernelINS0_14default_configENS1_38merge_sort_block_merge_config_selectorIflEEZZNS1_27merge_sort_block_merge_implIS3_PfN6thrust23THRUST_200600_302600_NS10device_ptrIlEEjNS1_19radix_merge_compareILb0ELb0EfNS0_19identity_decomposerEEEEE10hipError_tT0_T1_T2_jT3_P12ihipStream_tbPNSt15iterator_traitsISG_E10value_typeEPNSM_ISH_E10value_typeEPSI_NS1_7vsmem_tEENKUlT_SG_SH_SI_E_clIS7_S7_SB_PlEESF_SV_SG_SH_SI_EUlSV_E1_NS1_11comp_targetILNS1_3genE9ELNS1_11target_archE1100ELNS1_3gpuE3ELNS1_3repE0EEENS1_36merge_oddeven_config_static_selectorELNS0_4arch9wavefront6targetE1EEEvSH_ ; -- Begin function _ZN7rocprim17ROCPRIM_400000_NS6detail17trampoline_kernelINS0_14default_configENS1_38merge_sort_block_merge_config_selectorIflEEZZNS1_27merge_sort_block_merge_implIS3_PfN6thrust23THRUST_200600_302600_NS10device_ptrIlEEjNS1_19radix_merge_compareILb0ELb0EfNS0_19identity_decomposerEEEEE10hipError_tT0_T1_T2_jT3_P12ihipStream_tbPNSt15iterator_traitsISG_E10value_typeEPNSM_ISH_E10value_typeEPSI_NS1_7vsmem_tEENKUlT_SG_SH_SI_E_clIS7_S7_SB_PlEESF_SV_SG_SH_SI_EUlSV_E1_NS1_11comp_targetILNS1_3genE9ELNS1_11target_archE1100ELNS1_3gpuE3ELNS1_3repE0EEENS1_36merge_oddeven_config_static_selectorELNS0_4arch9wavefront6targetE1EEEvSH_
	.globl	_ZN7rocprim17ROCPRIM_400000_NS6detail17trampoline_kernelINS0_14default_configENS1_38merge_sort_block_merge_config_selectorIflEEZZNS1_27merge_sort_block_merge_implIS3_PfN6thrust23THRUST_200600_302600_NS10device_ptrIlEEjNS1_19radix_merge_compareILb0ELb0EfNS0_19identity_decomposerEEEEE10hipError_tT0_T1_T2_jT3_P12ihipStream_tbPNSt15iterator_traitsISG_E10value_typeEPNSM_ISH_E10value_typeEPSI_NS1_7vsmem_tEENKUlT_SG_SH_SI_E_clIS7_S7_SB_PlEESF_SV_SG_SH_SI_EUlSV_E1_NS1_11comp_targetILNS1_3genE9ELNS1_11target_archE1100ELNS1_3gpuE3ELNS1_3repE0EEENS1_36merge_oddeven_config_static_selectorELNS0_4arch9wavefront6targetE1EEEvSH_
	.p2align	8
	.type	_ZN7rocprim17ROCPRIM_400000_NS6detail17trampoline_kernelINS0_14default_configENS1_38merge_sort_block_merge_config_selectorIflEEZZNS1_27merge_sort_block_merge_implIS3_PfN6thrust23THRUST_200600_302600_NS10device_ptrIlEEjNS1_19radix_merge_compareILb0ELb0EfNS0_19identity_decomposerEEEEE10hipError_tT0_T1_T2_jT3_P12ihipStream_tbPNSt15iterator_traitsISG_E10value_typeEPNSM_ISH_E10value_typeEPSI_NS1_7vsmem_tEENKUlT_SG_SH_SI_E_clIS7_S7_SB_PlEESF_SV_SG_SH_SI_EUlSV_E1_NS1_11comp_targetILNS1_3genE9ELNS1_11target_archE1100ELNS1_3gpuE3ELNS1_3repE0EEENS1_36merge_oddeven_config_static_selectorELNS0_4arch9wavefront6targetE1EEEvSH_,@function
_ZN7rocprim17ROCPRIM_400000_NS6detail17trampoline_kernelINS0_14default_configENS1_38merge_sort_block_merge_config_selectorIflEEZZNS1_27merge_sort_block_merge_implIS3_PfN6thrust23THRUST_200600_302600_NS10device_ptrIlEEjNS1_19radix_merge_compareILb0ELb0EfNS0_19identity_decomposerEEEEE10hipError_tT0_T1_T2_jT3_P12ihipStream_tbPNSt15iterator_traitsISG_E10value_typeEPNSM_ISH_E10value_typeEPSI_NS1_7vsmem_tEENKUlT_SG_SH_SI_E_clIS7_S7_SB_PlEESF_SV_SG_SH_SI_EUlSV_E1_NS1_11comp_targetILNS1_3genE9ELNS1_11target_archE1100ELNS1_3gpuE3ELNS1_3repE0EEENS1_36merge_oddeven_config_static_selectorELNS0_4arch9wavefront6targetE1EEEvSH_: ; @_ZN7rocprim17ROCPRIM_400000_NS6detail17trampoline_kernelINS0_14default_configENS1_38merge_sort_block_merge_config_selectorIflEEZZNS1_27merge_sort_block_merge_implIS3_PfN6thrust23THRUST_200600_302600_NS10device_ptrIlEEjNS1_19radix_merge_compareILb0ELb0EfNS0_19identity_decomposerEEEEE10hipError_tT0_T1_T2_jT3_P12ihipStream_tbPNSt15iterator_traitsISG_E10value_typeEPNSM_ISH_E10value_typeEPSI_NS1_7vsmem_tEENKUlT_SG_SH_SI_E_clIS7_S7_SB_PlEESF_SV_SG_SH_SI_EUlSV_E1_NS1_11comp_targetILNS1_3genE9ELNS1_11target_archE1100ELNS1_3gpuE3ELNS1_3repE0EEENS1_36merge_oddeven_config_static_selectorELNS0_4arch9wavefront6targetE1EEEvSH_
; %bb.0:
	.section	.rodata,"a",@progbits
	.p2align	6, 0x0
	.amdhsa_kernel _ZN7rocprim17ROCPRIM_400000_NS6detail17trampoline_kernelINS0_14default_configENS1_38merge_sort_block_merge_config_selectorIflEEZZNS1_27merge_sort_block_merge_implIS3_PfN6thrust23THRUST_200600_302600_NS10device_ptrIlEEjNS1_19radix_merge_compareILb0ELb0EfNS0_19identity_decomposerEEEEE10hipError_tT0_T1_T2_jT3_P12ihipStream_tbPNSt15iterator_traitsISG_E10value_typeEPNSM_ISH_E10value_typeEPSI_NS1_7vsmem_tEENKUlT_SG_SH_SI_E_clIS7_S7_SB_PlEESF_SV_SG_SH_SI_EUlSV_E1_NS1_11comp_targetILNS1_3genE9ELNS1_11target_archE1100ELNS1_3gpuE3ELNS1_3repE0EEENS1_36merge_oddeven_config_static_selectorELNS0_4arch9wavefront6targetE1EEEvSH_
		.amdhsa_group_segment_fixed_size 0
		.amdhsa_private_segment_fixed_size 0
		.amdhsa_kernarg_size 48
		.amdhsa_user_sgpr_count 6
		.amdhsa_user_sgpr_private_segment_buffer 1
		.amdhsa_user_sgpr_dispatch_ptr 0
		.amdhsa_user_sgpr_queue_ptr 0
		.amdhsa_user_sgpr_kernarg_segment_ptr 1
		.amdhsa_user_sgpr_dispatch_id 0
		.amdhsa_user_sgpr_flat_scratch_init 0
		.amdhsa_user_sgpr_kernarg_preload_length 0
		.amdhsa_user_sgpr_kernarg_preload_offset 0
		.amdhsa_user_sgpr_private_segment_size 0
		.amdhsa_uses_dynamic_stack 0
		.amdhsa_system_sgpr_private_segment_wavefront_offset 0
		.amdhsa_system_sgpr_workgroup_id_x 1
		.amdhsa_system_sgpr_workgroup_id_y 0
		.amdhsa_system_sgpr_workgroup_id_z 0
		.amdhsa_system_sgpr_workgroup_info 0
		.amdhsa_system_vgpr_workitem_id 0
		.amdhsa_next_free_vgpr 1
		.amdhsa_next_free_sgpr 0
		.amdhsa_accum_offset 4
		.amdhsa_reserve_vcc 0
		.amdhsa_reserve_flat_scratch 0
		.amdhsa_float_round_mode_32 0
		.amdhsa_float_round_mode_16_64 0
		.amdhsa_float_denorm_mode_32 3
		.amdhsa_float_denorm_mode_16_64 3
		.amdhsa_dx10_clamp 1
		.amdhsa_ieee_mode 1
		.amdhsa_fp16_overflow 0
		.amdhsa_tg_split 0
		.amdhsa_exception_fp_ieee_invalid_op 0
		.amdhsa_exception_fp_denorm_src 0
		.amdhsa_exception_fp_ieee_div_zero 0
		.amdhsa_exception_fp_ieee_overflow 0
		.amdhsa_exception_fp_ieee_underflow 0
		.amdhsa_exception_fp_ieee_inexact 0
		.amdhsa_exception_int_div_zero 0
	.end_amdhsa_kernel
	.section	.text._ZN7rocprim17ROCPRIM_400000_NS6detail17trampoline_kernelINS0_14default_configENS1_38merge_sort_block_merge_config_selectorIflEEZZNS1_27merge_sort_block_merge_implIS3_PfN6thrust23THRUST_200600_302600_NS10device_ptrIlEEjNS1_19radix_merge_compareILb0ELb0EfNS0_19identity_decomposerEEEEE10hipError_tT0_T1_T2_jT3_P12ihipStream_tbPNSt15iterator_traitsISG_E10value_typeEPNSM_ISH_E10value_typeEPSI_NS1_7vsmem_tEENKUlT_SG_SH_SI_E_clIS7_S7_SB_PlEESF_SV_SG_SH_SI_EUlSV_E1_NS1_11comp_targetILNS1_3genE9ELNS1_11target_archE1100ELNS1_3gpuE3ELNS1_3repE0EEENS1_36merge_oddeven_config_static_selectorELNS0_4arch9wavefront6targetE1EEEvSH_,"axG",@progbits,_ZN7rocprim17ROCPRIM_400000_NS6detail17trampoline_kernelINS0_14default_configENS1_38merge_sort_block_merge_config_selectorIflEEZZNS1_27merge_sort_block_merge_implIS3_PfN6thrust23THRUST_200600_302600_NS10device_ptrIlEEjNS1_19radix_merge_compareILb0ELb0EfNS0_19identity_decomposerEEEEE10hipError_tT0_T1_T2_jT3_P12ihipStream_tbPNSt15iterator_traitsISG_E10value_typeEPNSM_ISH_E10value_typeEPSI_NS1_7vsmem_tEENKUlT_SG_SH_SI_E_clIS7_S7_SB_PlEESF_SV_SG_SH_SI_EUlSV_E1_NS1_11comp_targetILNS1_3genE9ELNS1_11target_archE1100ELNS1_3gpuE3ELNS1_3repE0EEENS1_36merge_oddeven_config_static_selectorELNS0_4arch9wavefront6targetE1EEEvSH_,comdat
.Lfunc_end1806:
	.size	_ZN7rocprim17ROCPRIM_400000_NS6detail17trampoline_kernelINS0_14default_configENS1_38merge_sort_block_merge_config_selectorIflEEZZNS1_27merge_sort_block_merge_implIS3_PfN6thrust23THRUST_200600_302600_NS10device_ptrIlEEjNS1_19radix_merge_compareILb0ELb0EfNS0_19identity_decomposerEEEEE10hipError_tT0_T1_T2_jT3_P12ihipStream_tbPNSt15iterator_traitsISG_E10value_typeEPNSM_ISH_E10value_typeEPSI_NS1_7vsmem_tEENKUlT_SG_SH_SI_E_clIS7_S7_SB_PlEESF_SV_SG_SH_SI_EUlSV_E1_NS1_11comp_targetILNS1_3genE9ELNS1_11target_archE1100ELNS1_3gpuE3ELNS1_3repE0EEENS1_36merge_oddeven_config_static_selectorELNS0_4arch9wavefront6targetE1EEEvSH_, .Lfunc_end1806-_ZN7rocprim17ROCPRIM_400000_NS6detail17trampoline_kernelINS0_14default_configENS1_38merge_sort_block_merge_config_selectorIflEEZZNS1_27merge_sort_block_merge_implIS3_PfN6thrust23THRUST_200600_302600_NS10device_ptrIlEEjNS1_19radix_merge_compareILb0ELb0EfNS0_19identity_decomposerEEEEE10hipError_tT0_T1_T2_jT3_P12ihipStream_tbPNSt15iterator_traitsISG_E10value_typeEPNSM_ISH_E10value_typeEPSI_NS1_7vsmem_tEENKUlT_SG_SH_SI_E_clIS7_S7_SB_PlEESF_SV_SG_SH_SI_EUlSV_E1_NS1_11comp_targetILNS1_3genE9ELNS1_11target_archE1100ELNS1_3gpuE3ELNS1_3repE0EEENS1_36merge_oddeven_config_static_selectorELNS0_4arch9wavefront6targetE1EEEvSH_
                                        ; -- End function
	.section	.AMDGPU.csdata,"",@progbits
; Kernel info:
; codeLenInByte = 0
; NumSgprs: 4
; NumVgprs: 0
; NumAgprs: 0
; TotalNumVgprs: 0
; ScratchSize: 0
; MemoryBound: 0
; FloatMode: 240
; IeeeMode: 1
; LDSByteSize: 0 bytes/workgroup (compile time only)
; SGPRBlocks: 0
; VGPRBlocks: 0
; NumSGPRsForWavesPerEU: 4
; NumVGPRsForWavesPerEU: 1
; AccumOffset: 4
; Occupancy: 8
; WaveLimiterHint : 0
; COMPUTE_PGM_RSRC2:SCRATCH_EN: 0
; COMPUTE_PGM_RSRC2:USER_SGPR: 6
; COMPUTE_PGM_RSRC2:TRAP_HANDLER: 0
; COMPUTE_PGM_RSRC2:TGID_X_EN: 1
; COMPUTE_PGM_RSRC2:TGID_Y_EN: 0
; COMPUTE_PGM_RSRC2:TGID_Z_EN: 0
; COMPUTE_PGM_RSRC2:TIDIG_COMP_CNT: 0
; COMPUTE_PGM_RSRC3_GFX90A:ACCUM_OFFSET: 0
; COMPUTE_PGM_RSRC3_GFX90A:TG_SPLIT: 0
	.section	.text._ZN7rocprim17ROCPRIM_400000_NS6detail17trampoline_kernelINS0_14default_configENS1_38merge_sort_block_merge_config_selectorIflEEZZNS1_27merge_sort_block_merge_implIS3_PfN6thrust23THRUST_200600_302600_NS10device_ptrIlEEjNS1_19radix_merge_compareILb0ELb0EfNS0_19identity_decomposerEEEEE10hipError_tT0_T1_T2_jT3_P12ihipStream_tbPNSt15iterator_traitsISG_E10value_typeEPNSM_ISH_E10value_typeEPSI_NS1_7vsmem_tEENKUlT_SG_SH_SI_E_clIS7_S7_SB_PlEESF_SV_SG_SH_SI_EUlSV_E1_NS1_11comp_targetILNS1_3genE8ELNS1_11target_archE1030ELNS1_3gpuE2ELNS1_3repE0EEENS1_36merge_oddeven_config_static_selectorELNS0_4arch9wavefront6targetE1EEEvSH_,"axG",@progbits,_ZN7rocprim17ROCPRIM_400000_NS6detail17trampoline_kernelINS0_14default_configENS1_38merge_sort_block_merge_config_selectorIflEEZZNS1_27merge_sort_block_merge_implIS3_PfN6thrust23THRUST_200600_302600_NS10device_ptrIlEEjNS1_19radix_merge_compareILb0ELb0EfNS0_19identity_decomposerEEEEE10hipError_tT0_T1_T2_jT3_P12ihipStream_tbPNSt15iterator_traitsISG_E10value_typeEPNSM_ISH_E10value_typeEPSI_NS1_7vsmem_tEENKUlT_SG_SH_SI_E_clIS7_S7_SB_PlEESF_SV_SG_SH_SI_EUlSV_E1_NS1_11comp_targetILNS1_3genE8ELNS1_11target_archE1030ELNS1_3gpuE2ELNS1_3repE0EEENS1_36merge_oddeven_config_static_selectorELNS0_4arch9wavefront6targetE1EEEvSH_,comdat
	.protected	_ZN7rocprim17ROCPRIM_400000_NS6detail17trampoline_kernelINS0_14default_configENS1_38merge_sort_block_merge_config_selectorIflEEZZNS1_27merge_sort_block_merge_implIS3_PfN6thrust23THRUST_200600_302600_NS10device_ptrIlEEjNS1_19radix_merge_compareILb0ELb0EfNS0_19identity_decomposerEEEEE10hipError_tT0_T1_T2_jT3_P12ihipStream_tbPNSt15iterator_traitsISG_E10value_typeEPNSM_ISH_E10value_typeEPSI_NS1_7vsmem_tEENKUlT_SG_SH_SI_E_clIS7_S7_SB_PlEESF_SV_SG_SH_SI_EUlSV_E1_NS1_11comp_targetILNS1_3genE8ELNS1_11target_archE1030ELNS1_3gpuE2ELNS1_3repE0EEENS1_36merge_oddeven_config_static_selectorELNS0_4arch9wavefront6targetE1EEEvSH_ ; -- Begin function _ZN7rocprim17ROCPRIM_400000_NS6detail17trampoline_kernelINS0_14default_configENS1_38merge_sort_block_merge_config_selectorIflEEZZNS1_27merge_sort_block_merge_implIS3_PfN6thrust23THRUST_200600_302600_NS10device_ptrIlEEjNS1_19radix_merge_compareILb0ELb0EfNS0_19identity_decomposerEEEEE10hipError_tT0_T1_T2_jT3_P12ihipStream_tbPNSt15iterator_traitsISG_E10value_typeEPNSM_ISH_E10value_typeEPSI_NS1_7vsmem_tEENKUlT_SG_SH_SI_E_clIS7_S7_SB_PlEESF_SV_SG_SH_SI_EUlSV_E1_NS1_11comp_targetILNS1_3genE8ELNS1_11target_archE1030ELNS1_3gpuE2ELNS1_3repE0EEENS1_36merge_oddeven_config_static_selectorELNS0_4arch9wavefront6targetE1EEEvSH_
	.globl	_ZN7rocprim17ROCPRIM_400000_NS6detail17trampoline_kernelINS0_14default_configENS1_38merge_sort_block_merge_config_selectorIflEEZZNS1_27merge_sort_block_merge_implIS3_PfN6thrust23THRUST_200600_302600_NS10device_ptrIlEEjNS1_19radix_merge_compareILb0ELb0EfNS0_19identity_decomposerEEEEE10hipError_tT0_T1_T2_jT3_P12ihipStream_tbPNSt15iterator_traitsISG_E10value_typeEPNSM_ISH_E10value_typeEPSI_NS1_7vsmem_tEENKUlT_SG_SH_SI_E_clIS7_S7_SB_PlEESF_SV_SG_SH_SI_EUlSV_E1_NS1_11comp_targetILNS1_3genE8ELNS1_11target_archE1030ELNS1_3gpuE2ELNS1_3repE0EEENS1_36merge_oddeven_config_static_selectorELNS0_4arch9wavefront6targetE1EEEvSH_
	.p2align	8
	.type	_ZN7rocprim17ROCPRIM_400000_NS6detail17trampoline_kernelINS0_14default_configENS1_38merge_sort_block_merge_config_selectorIflEEZZNS1_27merge_sort_block_merge_implIS3_PfN6thrust23THRUST_200600_302600_NS10device_ptrIlEEjNS1_19radix_merge_compareILb0ELb0EfNS0_19identity_decomposerEEEEE10hipError_tT0_T1_T2_jT3_P12ihipStream_tbPNSt15iterator_traitsISG_E10value_typeEPNSM_ISH_E10value_typeEPSI_NS1_7vsmem_tEENKUlT_SG_SH_SI_E_clIS7_S7_SB_PlEESF_SV_SG_SH_SI_EUlSV_E1_NS1_11comp_targetILNS1_3genE8ELNS1_11target_archE1030ELNS1_3gpuE2ELNS1_3repE0EEENS1_36merge_oddeven_config_static_selectorELNS0_4arch9wavefront6targetE1EEEvSH_,@function
_ZN7rocprim17ROCPRIM_400000_NS6detail17trampoline_kernelINS0_14default_configENS1_38merge_sort_block_merge_config_selectorIflEEZZNS1_27merge_sort_block_merge_implIS3_PfN6thrust23THRUST_200600_302600_NS10device_ptrIlEEjNS1_19radix_merge_compareILb0ELb0EfNS0_19identity_decomposerEEEEE10hipError_tT0_T1_T2_jT3_P12ihipStream_tbPNSt15iterator_traitsISG_E10value_typeEPNSM_ISH_E10value_typeEPSI_NS1_7vsmem_tEENKUlT_SG_SH_SI_E_clIS7_S7_SB_PlEESF_SV_SG_SH_SI_EUlSV_E1_NS1_11comp_targetILNS1_3genE8ELNS1_11target_archE1030ELNS1_3gpuE2ELNS1_3repE0EEENS1_36merge_oddeven_config_static_selectorELNS0_4arch9wavefront6targetE1EEEvSH_: ; @_ZN7rocprim17ROCPRIM_400000_NS6detail17trampoline_kernelINS0_14default_configENS1_38merge_sort_block_merge_config_selectorIflEEZZNS1_27merge_sort_block_merge_implIS3_PfN6thrust23THRUST_200600_302600_NS10device_ptrIlEEjNS1_19radix_merge_compareILb0ELb0EfNS0_19identity_decomposerEEEEE10hipError_tT0_T1_T2_jT3_P12ihipStream_tbPNSt15iterator_traitsISG_E10value_typeEPNSM_ISH_E10value_typeEPSI_NS1_7vsmem_tEENKUlT_SG_SH_SI_E_clIS7_S7_SB_PlEESF_SV_SG_SH_SI_EUlSV_E1_NS1_11comp_targetILNS1_3genE8ELNS1_11target_archE1030ELNS1_3gpuE2ELNS1_3repE0EEENS1_36merge_oddeven_config_static_selectorELNS0_4arch9wavefront6targetE1EEEvSH_
; %bb.0:
	.section	.rodata,"a",@progbits
	.p2align	6, 0x0
	.amdhsa_kernel _ZN7rocprim17ROCPRIM_400000_NS6detail17trampoline_kernelINS0_14default_configENS1_38merge_sort_block_merge_config_selectorIflEEZZNS1_27merge_sort_block_merge_implIS3_PfN6thrust23THRUST_200600_302600_NS10device_ptrIlEEjNS1_19radix_merge_compareILb0ELb0EfNS0_19identity_decomposerEEEEE10hipError_tT0_T1_T2_jT3_P12ihipStream_tbPNSt15iterator_traitsISG_E10value_typeEPNSM_ISH_E10value_typeEPSI_NS1_7vsmem_tEENKUlT_SG_SH_SI_E_clIS7_S7_SB_PlEESF_SV_SG_SH_SI_EUlSV_E1_NS1_11comp_targetILNS1_3genE8ELNS1_11target_archE1030ELNS1_3gpuE2ELNS1_3repE0EEENS1_36merge_oddeven_config_static_selectorELNS0_4arch9wavefront6targetE1EEEvSH_
		.amdhsa_group_segment_fixed_size 0
		.amdhsa_private_segment_fixed_size 0
		.amdhsa_kernarg_size 48
		.amdhsa_user_sgpr_count 6
		.amdhsa_user_sgpr_private_segment_buffer 1
		.amdhsa_user_sgpr_dispatch_ptr 0
		.amdhsa_user_sgpr_queue_ptr 0
		.amdhsa_user_sgpr_kernarg_segment_ptr 1
		.amdhsa_user_sgpr_dispatch_id 0
		.amdhsa_user_sgpr_flat_scratch_init 0
		.amdhsa_user_sgpr_kernarg_preload_length 0
		.amdhsa_user_sgpr_kernarg_preload_offset 0
		.amdhsa_user_sgpr_private_segment_size 0
		.amdhsa_uses_dynamic_stack 0
		.amdhsa_system_sgpr_private_segment_wavefront_offset 0
		.amdhsa_system_sgpr_workgroup_id_x 1
		.amdhsa_system_sgpr_workgroup_id_y 0
		.amdhsa_system_sgpr_workgroup_id_z 0
		.amdhsa_system_sgpr_workgroup_info 0
		.amdhsa_system_vgpr_workitem_id 0
		.amdhsa_next_free_vgpr 1
		.amdhsa_next_free_sgpr 0
		.amdhsa_accum_offset 4
		.amdhsa_reserve_vcc 0
		.amdhsa_reserve_flat_scratch 0
		.amdhsa_float_round_mode_32 0
		.amdhsa_float_round_mode_16_64 0
		.amdhsa_float_denorm_mode_32 3
		.amdhsa_float_denorm_mode_16_64 3
		.amdhsa_dx10_clamp 1
		.amdhsa_ieee_mode 1
		.amdhsa_fp16_overflow 0
		.amdhsa_tg_split 0
		.amdhsa_exception_fp_ieee_invalid_op 0
		.amdhsa_exception_fp_denorm_src 0
		.amdhsa_exception_fp_ieee_div_zero 0
		.amdhsa_exception_fp_ieee_overflow 0
		.amdhsa_exception_fp_ieee_underflow 0
		.amdhsa_exception_fp_ieee_inexact 0
		.amdhsa_exception_int_div_zero 0
	.end_amdhsa_kernel
	.section	.text._ZN7rocprim17ROCPRIM_400000_NS6detail17trampoline_kernelINS0_14default_configENS1_38merge_sort_block_merge_config_selectorIflEEZZNS1_27merge_sort_block_merge_implIS3_PfN6thrust23THRUST_200600_302600_NS10device_ptrIlEEjNS1_19radix_merge_compareILb0ELb0EfNS0_19identity_decomposerEEEEE10hipError_tT0_T1_T2_jT3_P12ihipStream_tbPNSt15iterator_traitsISG_E10value_typeEPNSM_ISH_E10value_typeEPSI_NS1_7vsmem_tEENKUlT_SG_SH_SI_E_clIS7_S7_SB_PlEESF_SV_SG_SH_SI_EUlSV_E1_NS1_11comp_targetILNS1_3genE8ELNS1_11target_archE1030ELNS1_3gpuE2ELNS1_3repE0EEENS1_36merge_oddeven_config_static_selectorELNS0_4arch9wavefront6targetE1EEEvSH_,"axG",@progbits,_ZN7rocprim17ROCPRIM_400000_NS6detail17trampoline_kernelINS0_14default_configENS1_38merge_sort_block_merge_config_selectorIflEEZZNS1_27merge_sort_block_merge_implIS3_PfN6thrust23THRUST_200600_302600_NS10device_ptrIlEEjNS1_19radix_merge_compareILb0ELb0EfNS0_19identity_decomposerEEEEE10hipError_tT0_T1_T2_jT3_P12ihipStream_tbPNSt15iterator_traitsISG_E10value_typeEPNSM_ISH_E10value_typeEPSI_NS1_7vsmem_tEENKUlT_SG_SH_SI_E_clIS7_S7_SB_PlEESF_SV_SG_SH_SI_EUlSV_E1_NS1_11comp_targetILNS1_3genE8ELNS1_11target_archE1030ELNS1_3gpuE2ELNS1_3repE0EEENS1_36merge_oddeven_config_static_selectorELNS0_4arch9wavefront6targetE1EEEvSH_,comdat
.Lfunc_end1807:
	.size	_ZN7rocprim17ROCPRIM_400000_NS6detail17trampoline_kernelINS0_14default_configENS1_38merge_sort_block_merge_config_selectorIflEEZZNS1_27merge_sort_block_merge_implIS3_PfN6thrust23THRUST_200600_302600_NS10device_ptrIlEEjNS1_19radix_merge_compareILb0ELb0EfNS0_19identity_decomposerEEEEE10hipError_tT0_T1_T2_jT3_P12ihipStream_tbPNSt15iterator_traitsISG_E10value_typeEPNSM_ISH_E10value_typeEPSI_NS1_7vsmem_tEENKUlT_SG_SH_SI_E_clIS7_S7_SB_PlEESF_SV_SG_SH_SI_EUlSV_E1_NS1_11comp_targetILNS1_3genE8ELNS1_11target_archE1030ELNS1_3gpuE2ELNS1_3repE0EEENS1_36merge_oddeven_config_static_selectorELNS0_4arch9wavefront6targetE1EEEvSH_, .Lfunc_end1807-_ZN7rocprim17ROCPRIM_400000_NS6detail17trampoline_kernelINS0_14default_configENS1_38merge_sort_block_merge_config_selectorIflEEZZNS1_27merge_sort_block_merge_implIS3_PfN6thrust23THRUST_200600_302600_NS10device_ptrIlEEjNS1_19radix_merge_compareILb0ELb0EfNS0_19identity_decomposerEEEEE10hipError_tT0_T1_T2_jT3_P12ihipStream_tbPNSt15iterator_traitsISG_E10value_typeEPNSM_ISH_E10value_typeEPSI_NS1_7vsmem_tEENKUlT_SG_SH_SI_E_clIS7_S7_SB_PlEESF_SV_SG_SH_SI_EUlSV_E1_NS1_11comp_targetILNS1_3genE8ELNS1_11target_archE1030ELNS1_3gpuE2ELNS1_3repE0EEENS1_36merge_oddeven_config_static_selectorELNS0_4arch9wavefront6targetE1EEEvSH_
                                        ; -- End function
	.section	.AMDGPU.csdata,"",@progbits
; Kernel info:
; codeLenInByte = 0
; NumSgprs: 4
; NumVgprs: 0
; NumAgprs: 0
; TotalNumVgprs: 0
; ScratchSize: 0
; MemoryBound: 0
; FloatMode: 240
; IeeeMode: 1
; LDSByteSize: 0 bytes/workgroup (compile time only)
; SGPRBlocks: 0
; VGPRBlocks: 0
; NumSGPRsForWavesPerEU: 4
; NumVGPRsForWavesPerEU: 1
; AccumOffset: 4
; Occupancy: 8
; WaveLimiterHint : 0
; COMPUTE_PGM_RSRC2:SCRATCH_EN: 0
; COMPUTE_PGM_RSRC2:USER_SGPR: 6
; COMPUTE_PGM_RSRC2:TRAP_HANDLER: 0
; COMPUTE_PGM_RSRC2:TGID_X_EN: 1
; COMPUTE_PGM_RSRC2:TGID_Y_EN: 0
; COMPUTE_PGM_RSRC2:TGID_Z_EN: 0
; COMPUTE_PGM_RSRC2:TIDIG_COMP_CNT: 0
; COMPUTE_PGM_RSRC3_GFX90A:ACCUM_OFFSET: 0
; COMPUTE_PGM_RSRC3_GFX90A:TG_SPLIT: 0
	.section	.text._ZN7rocprim17ROCPRIM_400000_NS6detail17trampoline_kernelINS0_14default_configENS1_25transform_config_selectorIfLb1EEEZNS1_14transform_implILb1ES3_S5_PfS7_NS0_8identityIfEEEE10hipError_tT2_T3_mT4_P12ihipStream_tbEUlT_E_NS1_11comp_targetILNS1_3genE0ELNS1_11target_archE4294967295ELNS1_3gpuE0ELNS1_3repE0EEENS1_30default_config_static_selectorELNS0_4arch9wavefront6targetE1EEEvT1_,"axG",@progbits,_ZN7rocprim17ROCPRIM_400000_NS6detail17trampoline_kernelINS0_14default_configENS1_25transform_config_selectorIfLb1EEEZNS1_14transform_implILb1ES3_S5_PfS7_NS0_8identityIfEEEE10hipError_tT2_T3_mT4_P12ihipStream_tbEUlT_E_NS1_11comp_targetILNS1_3genE0ELNS1_11target_archE4294967295ELNS1_3gpuE0ELNS1_3repE0EEENS1_30default_config_static_selectorELNS0_4arch9wavefront6targetE1EEEvT1_,comdat
	.protected	_ZN7rocprim17ROCPRIM_400000_NS6detail17trampoline_kernelINS0_14default_configENS1_25transform_config_selectorIfLb1EEEZNS1_14transform_implILb1ES3_S5_PfS7_NS0_8identityIfEEEE10hipError_tT2_T3_mT4_P12ihipStream_tbEUlT_E_NS1_11comp_targetILNS1_3genE0ELNS1_11target_archE4294967295ELNS1_3gpuE0ELNS1_3repE0EEENS1_30default_config_static_selectorELNS0_4arch9wavefront6targetE1EEEvT1_ ; -- Begin function _ZN7rocprim17ROCPRIM_400000_NS6detail17trampoline_kernelINS0_14default_configENS1_25transform_config_selectorIfLb1EEEZNS1_14transform_implILb1ES3_S5_PfS7_NS0_8identityIfEEEE10hipError_tT2_T3_mT4_P12ihipStream_tbEUlT_E_NS1_11comp_targetILNS1_3genE0ELNS1_11target_archE4294967295ELNS1_3gpuE0ELNS1_3repE0EEENS1_30default_config_static_selectorELNS0_4arch9wavefront6targetE1EEEvT1_
	.globl	_ZN7rocprim17ROCPRIM_400000_NS6detail17trampoline_kernelINS0_14default_configENS1_25transform_config_selectorIfLb1EEEZNS1_14transform_implILb1ES3_S5_PfS7_NS0_8identityIfEEEE10hipError_tT2_T3_mT4_P12ihipStream_tbEUlT_E_NS1_11comp_targetILNS1_3genE0ELNS1_11target_archE4294967295ELNS1_3gpuE0ELNS1_3repE0EEENS1_30default_config_static_selectorELNS0_4arch9wavefront6targetE1EEEvT1_
	.p2align	8
	.type	_ZN7rocprim17ROCPRIM_400000_NS6detail17trampoline_kernelINS0_14default_configENS1_25transform_config_selectorIfLb1EEEZNS1_14transform_implILb1ES3_S5_PfS7_NS0_8identityIfEEEE10hipError_tT2_T3_mT4_P12ihipStream_tbEUlT_E_NS1_11comp_targetILNS1_3genE0ELNS1_11target_archE4294967295ELNS1_3gpuE0ELNS1_3repE0EEENS1_30default_config_static_selectorELNS0_4arch9wavefront6targetE1EEEvT1_,@function
_ZN7rocprim17ROCPRIM_400000_NS6detail17trampoline_kernelINS0_14default_configENS1_25transform_config_selectorIfLb1EEEZNS1_14transform_implILb1ES3_S5_PfS7_NS0_8identityIfEEEE10hipError_tT2_T3_mT4_P12ihipStream_tbEUlT_E_NS1_11comp_targetILNS1_3genE0ELNS1_11target_archE4294967295ELNS1_3gpuE0ELNS1_3repE0EEENS1_30default_config_static_selectorELNS0_4arch9wavefront6targetE1EEEvT1_: ; @_ZN7rocprim17ROCPRIM_400000_NS6detail17trampoline_kernelINS0_14default_configENS1_25transform_config_selectorIfLb1EEEZNS1_14transform_implILb1ES3_S5_PfS7_NS0_8identityIfEEEE10hipError_tT2_T3_mT4_P12ihipStream_tbEUlT_E_NS1_11comp_targetILNS1_3genE0ELNS1_11target_archE4294967295ELNS1_3gpuE0ELNS1_3repE0EEENS1_30default_config_static_selectorELNS0_4arch9wavefront6targetE1EEEvT1_
; %bb.0:
	.section	.rodata,"a",@progbits
	.p2align	6, 0x0
	.amdhsa_kernel _ZN7rocprim17ROCPRIM_400000_NS6detail17trampoline_kernelINS0_14default_configENS1_25transform_config_selectorIfLb1EEEZNS1_14transform_implILb1ES3_S5_PfS7_NS0_8identityIfEEEE10hipError_tT2_T3_mT4_P12ihipStream_tbEUlT_E_NS1_11comp_targetILNS1_3genE0ELNS1_11target_archE4294967295ELNS1_3gpuE0ELNS1_3repE0EEENS1_30default_config_static_selectorELNS0_4arch9wavefront6targetE1EEEvT1_
		.amdhsa_group_segment_fixed_size 0
		.amdhsa_private_segment_fixed_size 0
		.amdhsa_kernarg_size 40
		.amdhsa_user_sgpr_count 6
		.amdhsa_user_sgpr_private_segment_buffer 1
		.amdhsa_user_sgpr_dispatch_ptr 0
		.amdhsa_user_sgpr_queue_ptr 0
		.amdhsa_user_sgpr_kernarg_segment_ptr 1
		.amdhsa_user_sgpr_dispatch_id 0
		.amdhsa_user_sgpr_flat_scratch_init 0
		.amdhsa_user_sgpr_kernarg_preload_length 0
		.amdhsa_user_sgpr_kernarg_preload_offset 0
		.amdhsa_user_sgpr_private_segment_size 0
		.amdhsa_uses_dynamic_stack 0
		.amdhsa_system_sgpr_private_segment_wavefront_offset 0
		.amdhsa_system_sgpr_workgroup_id_x 1
		.amdhsa_system_sgpr_workgroup_id_y 0
		.amdhsa_system_sgpr_workgroup_id_z 0
		.amdhsa_system_sgpr_workgroup_info 0
		.amdhsa_system_vgpr_workitem_id 0
		.amdhsa_next_free_vgpr 1
		.amdhsa_next_free_sgpr 0
		.amdhsa_accum_offset 4
		.amdhsa_reserve_vcc 0
		.amdhsa_reserve_flat_scratch 0
		.amdhsa_float_round_mode_32 0
		.amdhsa_float_round_mode_16_64 0
		.amdhsa_float_denorm_mode_32 3
		.amdhsa_float_denorm_mode_16_64 3
		.amdhsa_dx10_clamp 1
		.amdhsa_ieee_mode 1
		.amdhsa_fp16_overflow 0
		.amdhsa_tg_split 0
		.amdhsa_exception_fp_ieee_invalid_op 0
		.amdhsa_exception_fp_denorm_src 0
		.amdhsa_exception_fp_ieee_div_zero 0
		.amdhsa_exception_fp_ieee_overflow 0
		.amdhsa_exception_fp_ieee_underflow 0
		.amdhsa_exception_fp_ieee_inexact 0
		.amdhsa_exception_int_div_zero 0
	.end_amdhsa_kernel
	.section	.text._ZN7rocprim17ROCPRIM_400000_NS6detail17trampoline_kernelINS0_14default_configENS1_25transform_config_selectorIfLb1EEEZNS1_14transform_implILb1ES3_S5_PfS7_NS0_8identityIfEEEE10hipError_tT2_T3_mT4_P12ihipStream_tbEUlT_E_NS1_11comp_targetILNS1_3genE0ELNS1_11target_archE4294967295ELNS1_3gpuE0ELNS1_3repE0EEENS1_30default_config_static_selectorELNS0_4arch9wavefront6targetE1EEEvT1_,"axG",@progbits,_ZN7rocprim17ROCPRIM_400000_NS6detail17trampoline_kernelINS0_14default_configENS1_25transform_config_selectorIfLb1EEEZNS1_14transform_implILb1ES3_S5_PfS7_NS0_8identityIfEEEE10hipError_tT2_T3_mT4_P12ihipStream_tbEUlT_E_NS1_11comp_targetILNS1_3genE0ELNS1_11target_archE4294967295ELNS1_3gpuE0ELNS1_3repE0EEENS1_30default_config_static_selectorELNS0_4arch9wavefront6targetE1EEEvT1_,comdat
.Lfunc_end1808:
	.size	_ZN7rocprim17ROCPRIM_400000_NS6detail17trampoline_kernelINS0_14default_configENS1_25transform_config_selectorIfLb1EEEZNS1_14transform_implILb1ES3_S5_PfS7_NS0_8identityIfEEEE10hipError_tT2_T3_mT4_P12ihipStream_tbEUlT_E_NS1_11comp_targetILNS1_3genE0ELNS1_11target_archE4294967295ELNS1_3gpuE0ELNS1_3repE0EEENS1_30default_config_static_selectorELNS0_4arch9wavefront6targetE1EEEvT1_, .Lfunc_end1808-_ZN7rocprim17ROCPRIM_400000_NS6detail17trampoline_kernelINS0_14default_configENS1_25transform_config_selectorIfLb1EEEZNS1_14transform_implILb1ES3_S5_PfS7_NS0_8identityIfEEEE10hipError_tT2_T3_mT4_P12ihipStream_tbEUlT_E_NS1_11comp_targetILNS1_3genE0ELNS1_11target_archE4294967295ELNS1_3gpuE0ELNS1_3repE0EEENS1_30default_config_static_selectorELNS0_4arch9wavefront6targetE1EEEvT1_
                                        ; -- End function
	.section	.AMDGPU.csdata,"",@progbits
; Kernel info:
; codeLenInByte = 0
; NumSgprs: 4
; NumVgprs: 0
; NumAgprs: 0
; TotalNumVgprs: 0
; ScratchSize: 0
; MemoryBound: 0
; FloatMode: 240
; IeeeMode: 1
; LDSByteSize: 0 bytes/workgroup (compile time only)
; SGPRBlocks: 0
; VGPRBlocks: 0
; NumSGPRsForWavesPerEU: 4
; NumVGPRsForWavesPerEU: 1
; AccumOffset: 4
; Occupancy: 8
; WaveLimiterHint : 0
; COMPUTE_PGM_RSRC2:SCRATCH_EN: 0
; COMPUTE_PGM_RSRC2:USER_SGPR: 6
; COMPUTE_PGM_RSRC2:TRAP_HANDLER: 0
; COMPUTE_PGM_RSRC2:TGID_X_EN: 1
; COMPUTE_PGM_RSRC2:TGID_Y_EN: 0
; COMPUTE_PGM_RSRC2:TGID_Z_EN: 0
; COMPUTE_PGM_RSRC2:TIDIG_COMP_CNT: 0
; COMPUTE_PGM_RSRC3_GFX90A:ACCUM_OFFSET: 0
; COMPUTE_PGM_RSRC3_GFX90A:TG_SPLIT: 0
	.section	.text._ZN7rocprim17ROCPRIM_400000_NS6detail17trampoline_kernelINS0_14default_configENS1_25transform_config_selectorIfLb1EEEZNS1_14transform_implILb1ES3_S5_PfS7_NS0_8identityIfEEEE10hipError_tT2_T3_mT4_P12ihipStream_tbEUlT_E_NS1_11comp_targetILNS1_3genE10ELNS1_11target_archE1201ELNS1_3gpuE5ELNS1_3repE0EEENS1_30default_config_static_selectorELNS0_4arch9wavefront6targetE1EEEvT1_,"axG",@progbits,_ZN7rocprim17ROCPRIM_400000_NS6detail17trampoline_kernelINS0_14default_configENS1_25transform_config_selectorIfLb1EEEZNS1_14transform_implILb1ES3_S5_PfS7_NS0_8identityIfEEEE10hipError_tT2_T3_mT4_P12ihipStream_tbEUlT_E_NS1_11comp_targetILNS1_3genE10ELNS1_11target_archE1201ELNS1_3gpuE5ELNS1_3repE0EEENS1_30default_config_static_selectorELNS0_4arch9wavefront6targetE1EEEvT1_,comdat
	.protected	_ZN7rocprim17ROCPRIM_400000_NS6detail17trampoline_kernelINS0_14default_configENS1_25transform_config_selectorIfLb1EEEZNS1_14transform_implILb1ES3_S5_PfS7_NS0_8identityIfEEEE10hipError_tT2_T3_mT4_P12ihipStream_tbEUlT_E_NS1_11comp_targetILNS1_3genE10ELNS1_11target_archE1201ELNS1_3gpuE5ELNS1_3repE0EEENS1_30default_config_static_selectorELNS0_4arch9wavefront6targetE1EEEvT1_ ; -- Begin function _ZN7rocprim17ROCPRIM_400000_NS6detail17trampoline_kernelINS0_14default_configENS1_25transform_config_selectorIfLb1EEEZNS1_14transform_implILb1ES3_S5_PfS7_NS0_8identityIfEEEE10hipError_tT2_T3_mT4_P12ihipStream_tbEUlT_E_NS1_11comp_targetILNS1_3genE10ELNS1_11target_archE1201ELNS1_3gpuE5ELNS1_3repE0EEENS1_30default_config_static_selectorELNS0_4arch9wavefront6targetE1EEEvT1_
	.globl	_ZN7rocprim17ROCPRIM_400000_NS6detail17trampoline_kernelINS0_14default_configENS1_25transform_config_selectorIfLb1EEEZNS1_14transform_implILb1ES3_S5_PfS7_NS0_8identityIfEEEE10hipError_tT2_T3_mT4_P12ihipStream_tbEUlT_E_NS1_11comp_targetILNS1_3genE10ELNS1_11target_archE1201ELNS1_3gpuE5ELNS1_3repE0EEENS1_30default_config_static_selectorELNS0_4arch9wavefront6targetE1EEEvT1_
	.p2align	8
	.type	_ZN7rocprim17ROCPRIM_400000_NS6detail17trampoline_kernelINS0_14default_configENS1_25transform_config_selectorIfLb1EEEZNS1_14transform_implILb1ES3_S5_PfS7_NS0_8identityIfEEEE10hipError_tT2_T3_mT4_P12ihipStream_tbEUlT_E_NS1_11comp_targetILNS1_3genE10ELNS1_11target_archE1201ELNS1_3gpuE5ELNS1_3repE0EEENS1_30default_config_static_selectorELNS0_4arch9wavefront6targetE1EEEvT1_,@function
_ZN7rocprim17ROCPRIM_400000_NS6detail17trampoline_kernelINS0_14default_configENS1_25transform_config_selectorIfLb1EEEZNS1_14transform_implILb1ES3_S5_PfS7_NS0_8identityIfEEEE10hipError_tT2_T3_mT4_P12ihipStream_tbEUlT_E_NS1_11comp_targetILNS1_3genE10ELNS1_11target_archE1201ELNS1_3gpuE5ELNS1_3repE0EEENS1_30default_config_static_selectorELNS0_4arch9wavefront6targetE1EEEvT1_: ; @_ZN7rocprim17ROCPRIM_400000_NS6detail17trampoline_kernelINS0_14default_configENS1_25transform_config_selectorIfLb1EEEZNS1_14transform_implILb1ES3_S5_PfS7_NS0_8identityIfEEEE10hipError_tT2_T3_mT4_P12ihipStream_tbEUlT_E_NS1_11comp_targetILNS1_3genE10ELNS1_11target_archE1201ELNS1_3gpuE5ELNS1_3repE0EEENS1_30default_config_static_selectorELNS0_4arch9wavefront6targetE1EEEvT1_
; %bb.0:
	.section	.rodata,"a",@progbits
	.p2align	6, 0x0
	.amdhsa_kernel _ZN7rocprim17ROCPRIM_400000_NS6detail17trampoline_kernelINS0_14default_configENS1_25transform_config_selectorIfLb1EEEZNS1_14transform_implILb1ES3_S5_PfS7_NS0_8identityIfEEEE10hipError_tT2_T3_mT4_P12ihipStream_tbEUlT_E_NS1_11comp_targetILNS1_3genE10ELNS1_11target_archE1201ELNS1_3gpuE5ELNS1_3repE0EEENS1_30default_config_static_selectorELNS0_4arch9wavefront6targetE1EEEvT1_
		.amdhsa_group_segment_fixed_size 0
		.amdhsa_private_segment_fixed_size 0
		.amdhsa_kernarg_size 40
		.amdhsa_user_sgpr_count 6
		.amdhsa_user_sgpr_private_segment_buffer 1
		.amdhsa_user_sgpr_dispatch_ptr 0
		.amdhsa_user_sgpr_queue_ptr 0
		.amdhsa_user_sgpr_kernarg_segment_ptr 1
		.amdhsa_user_sgpr_dispatch_id 0
		.amdhsa_user_sgpr_flat_scratch_init 0
		.amdhsa_user_sgpr_kernarg_preload_length 0
		.amdhsa_user_sgpr_kernarg_preload_offset 0
		.amdhsa_user_sgpr_private_segment_size 0
		.amdhsa_uses_dynamic_stack 0
		.amdhsa_system_sgpr_private_segment_wavefront_offset 0
		.amdhsa_system_sgpr_workgroup_id_x 1
		.amdhsa_system_sgpr_workgroup_id_y 0
		.amdhsa_system_sgpr_workgroup_id_z 0
		.amdhsa_system_sgpr_workgroup_info 0
		.amdhsa_system_vgpr_workitem_id 0
		.amdhsa_next_free_vgpr 1
		.amdhsa_next_free_sgpr 0
		.amdhsa_accum_offset 4
		.amdhsa_reserve_vcc 0
		.amdhsa_reserve_flat_scratch 0
		.amdhsa_float_round_mode_32 0
		.amdhsa_float_round_mode_16_64 0
		.amdhsa_float_denorm_mode_32 3
		.amdhsa_float_denorm_mode_16_64 3
		.amdhsa_dx10_clamp 1
		.amdhsa_ieee_mode 1
		.amdhsa_fp16_overflow 0
		.amdhsa_tg_split 0
		.amdhsa_exception_fp_ieee_invalid_op 0
		.amdhsa_exception_fp_denorm_src 0
		.amdhsa_exception_fp_ieee_div_zero 0
		.amdhsa_exception_fp_ieee_overflow 0
		.amdhsa_exception_fp_ieee_underflow 0
		.amdhsa_exception_fp_ieee_inexact 0
		.amdhsa_exception_int_div_zero 0
	.end_amdhsa_kernel
	.section	.text._ZN7rocprim17ROCPRIM_400000_NS6detail17trampoline_kernelINS0_14default_configENS1_25transform_config_selectorIfLb1EEEZNS1_14transform_implILb1ES3_S5_PfS7_NS0_8identityIfEEEE10hipError_tT2_T3_mT4_P12ihipStream_tbEUlT_E_NS1_11comp_targetILNS1_3genE10ELNS1_11target_archE1201ELNS1_3gpuE5ELNS1_3repE0EEENS1_30default_config_static_selectorELNS0_4arch9wavefront6targetE1EEEvT1_,"axG",@progbits,_ZN7rocprim17ROCPRIM_400000_NS6detail17trampoline_kernelINS0_14default_configENS1_25transform_config_selectorIfLb1EEEZNS1_14transform_implILb1ES3_S5_PfS7_NS0_8identityIfEEEE10hipError_tT2_T3_mT4_P12ihipStream_tbEUlT_E_NS1_11comp_targetILNS1_3genE10ELNS1_11target_archE1201ELNS1_3gpuE5ELNS1_3repE0EEENS1_30default_config_static_selectorELNS0_4arch9wavefront6targetE1EEEvT1_,comdat
.Lfunc_end1809:
	.size	_ZN7rocprim17ROCPRIM_400000_NS6detail17trampoline_kernelINS0_14default_configENS1_25transform_config_selectorIfLb1EEEZNS1_14transform_implILb1ES3_S5_PfS7_NS0_8identityIfEEEE10hipError_tT2_T3_mT4_P12ihipStream_tbEUlT_E_NS1_11comp_targetILNS1_3genE10ELNS1_11target_archE1201ELNS1_3gpuE5ELNS1_3repE0EEENS1_30default_config_static_selectorELNS0_4arch9wavefront6targetE1EEEvT1_, .Lfunc_end1809-_ZN7rocprim17ROCPRIM_400000_NS6detail17trampoline_kernelINS0_14default_configENS1_25transform_config_selectorIfLb1EEEZNS1_14transform_implILb1ES3_S5_PfS7_NS0_8identityIfEEEE10hipError_tT2_T3_mT4_P12ihipStream_tbEUlT_E_NS1_11comp_targetILNS1_3genE10ELNS1_11target_archE1201ELNS1_3gpuE5ELNS1_3repE0EEENS1_30default_config_static_selectorELNS0_4arch9wavefront6targetE1EEEvT1_
                                        ; -- End function
	.section	.AMDGPU.csdata,"",@progbits
; Kernel info:
; codeLenInByte = 0
; NumSgprs: 4
; NumVgprs: 0
; NumAgprs: 0
; TotalNumVgprs: 0
; ScratchSize: 0
; MemoryBound: 0
; FloatMode: 240
; IeeeMode: 1
; LDSByteSize: 0 bytes/workgroup (compile time only)
; SGPRBlocks: 0
; VGPRBlocks: 0
; NumSGPRsForWavesPerEU: 4
; NumVGPRsForWavesPerEU: 1
; AccumOffset: 4
; Occupancy: 8
; WaveLimiterHint : 0
; COMPUTE_PGM_RSRC2:SCRATCH_EN: 0
; COMPUTE_PGM_RSRC2:USER_SGPR: 6
; COMPUTE_PGM_RSRC2:TRAP_HANDLER: 0
; COMPUTE_PGM_RSRC2:TGID_X_EN: 1
; COMPUTE_PGM_RSRC2:TGID_Y_EN: 0
; COMPUTE_PGM_RSRC2:TGID_Z_EN: 0
; COMPUTE_PGM_RSRC2:TIDIG_COMP_CNT: 0
; COMPUTE_PGM_RSRC3_GFX90A:ACCUM_OFFSET: 0
; COMPUTE_PGM_RSRC3_GFX90A:TG_SPLIT: 0
	.section	.text._ZN7rocprim17ROCPRIM_400000_NS6detail17trampoline_kernelINS0_14default_configENS1_25transform_config_selectorIfLb1EEEZNS1_14transform_implILb1ES3_S5_PfS7_NS0_8identityIfEEEE10hipError_tT2_T3_mT4_P12ihipStream_tbEUlT_E_NS1_11comp_targetILNS1_3genE5ELNS1_11target_archE942ELNS1_3gpuE9ELNS1_3repE0EEENS1_30default_config_static_selectorELNS0_4arch9wavefront6targetE1EEEvT1_,"axG",@progbits,_ZN7rocprim17ROCPRIM_400000_NS6detail17trampoline_kernelINS0_14default_configENS1_25transform_config_selectorIfLb1EEEZNS1_14transform_implILb1ES3_S5_PfS7_NS0_8identityIfEEEE10hipError_tT2_T3_mT4_P12ihipStream_tbEUlT_E_NS1_11comp_targetILNS1_3genE5ELNS1_11target_archE942ELNS1_3gpuE9ELNS1_3repE0EEENS1_30default_config_static_selectorELNS0_4arch9wavefront6targetE1EEEvT1_,comdat
	.protected	_ZN7rocprim17ROCPRIM_400000_NS6detail17trampoline_kernelINS0_14default_configENS1_25transform_config_selectorIfLb1EEEZNS1_14transform_implILb1ES3_S5_PfS7_NS0_8identityIfEEEE10hipError_tT2_T3_mT4_P12ihipStream_tbEUlT_E_NS1_11comp_targetILNS1_3genE5ELNS1_11target_archE942ELNS1_3gpuE9ELNS1_3repE0EEENS1_30default_config_static_selectorELNS0_4arch9wavefront6targetE1EEEvT1_ ; -- Begin function _ZN7rocprim17ROCPRIM_400000_NS6detail17trampoline_kernelINS0_14default_configENS1_25transform_config_selectorIfLb1EEEZNS1_14transform_implILb1ES3_S5_PfS7_NS0_8identityIfEEEE10hipError_tT2_T3_mT4_P12ihipStream_tbEUlT_E_NS1_11comp_targetILNS1_3genE5ELNS1_11target_archE942ELNS1_3gpuE9ELNS1_3repE0EEENS1_30default_config_static_selectorELNS0_4arch9wavefront6targetE1EEEvT1_
	.globl	_ZN7rocprim17ROCPRIM_400000_NS6detail17trampoline_kernelINS0_14default_configENS1_25transform_config_selectorIfLb1EEEZNS1_14transform_implILb1ES3_S5_PfS7_NS0_8identityIfEEEE10hipError_tT2_T3_mT4_P12ihipStream_tbEUlT_E_NS1_11comp_targetILNS1_3genE5ELNS1_11target_archE942ELNS1_3gpuE9ELNS1_3repE0EEENS1_30default_config_static_selectorELNS0_4arch9wavefront6targetE1EEEvT1_
	.p2align	8
	.type	_ZN7rocprim17ROCPRIM_400000_NS6detail17trampoline_kernelINS0_14default_configENS1_25transform_config_selectorIfLb1EEEZNS1_14transform_implILb1ES3_S5_PfS7_NS0_8identityIfEEEE10hipError_tT2_T3_mT4_P12ihipStream_tbEUlT_E_NS1_11comp_targetILNS1_3genE5ELNS1_11target_archE942ELNS1_3gpuE9ELNS1_3repE0EEENS1_30default_config_static_selectorELNS0_4arch9wavefront6targetE1EEEvT1_,@function
_ZN7rocprim17ROCPRIM_400000_NS6detail17trampoline_kernelINS0_14default_configENS1_25transform_config_selectorIfLb1EEEZNS1_14transform_implILb1ES3_S5_PfS7_NS0_8identityIfEEEE10hipError_tT2_T3_mT4_P12ihipStream_tbEUlT_E_NS1_11comp_targetILNS1_3genE5ELNS1_11target_archE942ELNS1_3gpuE9ELNS1_3repE0EEENS1_30default_config_static_selectorELNS0_4arch9wavefront6targetE1EEEvT1_: ; @_ZN7rocprim17ROCPRIM_400000_NS6detail17trampoline_kernelINS0_14default_configENS1_25transform_config_selectorIfLb1EEEZNS1_14transform_implILb1ES3_S5_PfS7_NS0_8identityIfEEEE10hipError_tT2_T3_mT4_P12ihipStream_tbEUlT_E_NS1_11comp_targetILNS1_3genE5ELNS1_11target_archE942ELNS1_3gpuE9ELNS1_3repE0EEENS1_30default_config_static_selectorELNS0_4arch9wavefront6targetE1EEEvT1_
; %bb.0:
	.section	.rodata,"a",@progbits
	.p2align	6, 0x0
	.amdhsa_kernel _ZN7rocprim17ROCPRIM_400000_NS6detail17trampoline_kernelINS0_14default_configENS1_25transform_config_selectorIfLb1EEEZNS1_14transform_implILb1ES3_S5_PfS7_NS0_8identityIfEEEE10hipError_tT2_T3_mT4_P12ihipStream_tbEUlT_E_NS1_11comp_targetILNS1_3genE5ELNS1_11target_archE942ELNS1_3gpuE9ELNS1_3repE0EEENS1_30default_config_static_selectorELNS0_4arch9wavefront6targetE1EEEvT1_
		.amdhsa_group_segment_fixed_size 0
		.amdhsa_private_segment_fixed_size 0
		.amdhsa_kernarg_size 40
		.amdhsa_user_sgpr_count 6
		.amdhsa_user_sgpr_private_segment_buffer 1
		.amdhsa_user_sgpr_dispatch_ptr 0
		.amdhsa_user_sgpr_queue_ptr 0
		.amdhsa_user_sgpr_kernarg_segment_ptr 1
		.amdhsa_user_sgpr_dispatch_id 0
		.amdhsa_user_sgpr_flat_scratch_init 0
		.amdhsa_user_sgpr_kernarg_preload_length 0
		.amdhsa_user_sgpr_kernarg_preload_offset 0
		.amdhsa_user_sgpr_private_segment_size 0
		.amdhsa_uses_dynamic_stack 0
		.amdhsa_system_sgpr_private_segment_wavefront_offset 0
		.amdhsa_system_sgpr_workgroup_id_x 1
		.amdhsa_system_sgpr_workgroup_id_y 0
		.amdhsa_system_sgpr_workgroup_id_z 0
		.amdhsa_system_sgpr_workgroup_info 0
		.amdhsa_system_vgpr_workitem_id 0
		.amdhsa_next_free_vgpr 1
		.amdhsa_next_free_sgpr 0
		.amdhsa_accum_offset 4
		.amdhsa_reserve_vcc 0
		.amdhsa_reserve_flat_scratch 0
		.amdhsa_float_round_mode_32 0
		.amdhsa_float_round_mode_16_64 0
		.amdhsa_float_denorm_mode_32 3
		.amdhsa_float_denorm_mode_16_64 3
		.amdhsa_dx10_clamp 1
		.amdhsa_ieee_mode 1
		.amdhsa_fp16_overflow 0
		.amdhsa_tg_split 0
		.amdhsa_exception_fp_ieee_invalid_op 0
		.amdhsa_exception_fp_denorm_src 0
		.amdhsa_exception_fp_ieee_div_zero 0
		.amdhsa_exception_fp_ieee_overflow 0
		.amdhsa_exception_fp_ieee_underflow 0
		.amdhsa_exception_fp_ieee_inexact 0
		.amdhsa_exception_int_div_zero 0
	.end_amdhsa_kernel
	.section	.text._ZN7rocprim17ROCPRIM_400000_NS6detail17trampoline_kernelINS0_14default_configENS1_25transform_config_selectorIfLb1EEEZNS1_14transform_implILb1ES3_S5_PfS7_NS0_8identityIfEEEE10hipError_tT2_T3_mT4_P12ihipStream_tbEUlT_E_NS1_11comp_targetILNS1_3genE5ELNS1_11target_archE942ELNS1_3gpuE9ELNS1_3repE0EEENS1_30default_config_static_selectorELNS0_4arch9wavefront6targetE1EEEvT1_,"axG",@progbits,_ZN7rocprim17ROCPRIM_400000_NS6detail17trampoline_kernelINS0_14default_configENS1_25transform_config_selectorIfLb1EEEZNS1_14transform_implILb1ES3_S5_PfS7_NS0_8identityIfEEEE10hipError_tT2_T3_mT4_P12ihipStream_tbEUlT_E_NS1_11comp_targetILNS1_3genE5ELNS1_11target_archE942ELNS1_3gpuE9ELNS1_3repE0EEENS1_30default_config_static_selectorELNS0_4arch9wavefront6targetE1EEEvT1_,comdat
.Lfunc_end1810:
	.size	_ZN7rocprim17ROCPRIM_400000_NS6detail17trampoline_kernelINS0_14default_configENS1_25transform_config_selectorIfLb1EEEZNS1_14transform_implILb1ES3_S5_PfS7_NS0_8identityIfEEEE10hipError_tT2_T3_mT4_P12ihipStream_tbEUlT_E_NS1_11comp_targetILNS1_3genE5ELNS1_11target_archE942ELNS1_3gpuE9ELNS1_3repE0EEENS1_30default_config_static_selectorELNS0_4arch9wavefront6targetE1EEEvT1_, .Lfunc_end1810-_ZN7rocprim17ROCPRIM_400000_NS6detail17trampoline_kernelINS0_14default_configENS1_25transform_config_selectorIfLb1EEEZNS1_14transform_implILb1ES3_S5_PfS7_NS0_8identityIfEEEE10hipError_tT2_T3_mT4_P12ihipStream_tbEUlT_E_NS1_11comp_targetILNS1_3genE5ELNS1_11target_archE942ELNS1_3gpuE9ELNS1_3repE0EEENS1_30default_config_static_selectorELNS0_4arch9wavefront6targetE1EEEvT1_
                                        ; -- End function
	.section	.AMDGPU.csdata,"",@progbits
; Kernel info:
; codeLenInByte = 0
; NumSgprs: 4
; NumVgprs: 0
; NumAgprs: 0
; TotalNumVgprs: 0
; ScratchSize: 0
; MemoryBound: 0
; FloatMode: 240
; IeeeMode: 1
; LDSByteSize: 0 bytes/workgroup (compile time only)
; SGPRBlocks: 0
; VGPRBlocks: 0
; NumSGPRsForWavesPerEU: 4
; NumVGPRsForWavesPerEU: 1
; AccumOffset: 4
; Occupancy: 8
; WaveLimiterHint : 0
; COMPUTE_PGM_RSRC2:SCRATCH_EN: 0
; COMPUTE_PGM_RSRC2:USER_SGPR: 6
; COMPUTE_PGM_RSRC2:TRAP_HANDLER: 0
; COMPUTE_PGM_RSRC2:TGID_X_EN: 1
; COMPUTE_PGM_RSRC2:TGID_Y_EN: 0
; COMPUTE_PGM_RSRC2:TGID_Z_EN: 0
; COMPUTE_PGM_RSRC2:TIDIG_COMP_CNT: 0
; COMPUTE_PGM_RSRC3_GFX90A:ACCUM_OFFSET: 0
; COMPUTE_PGM_RSRC3_GFX90A:TG_SPLIT: 0
	.section	.text._ZN7rocprim17ROCPRIM_400000_NS6detail17trampoline_kernelINS0_14default_configENS1_25transform_config_selectorIfLb1EEEZNS1_14transform_implILb1ES3_S5_PfS7_NS0_8identityIfEEEE10hipError_tT2_T3_mT4_P12ihipStream_tbEUlT_E_NS1_11comp_targetILNS1_3genE4ELNS1_11target_archE910ELNS1_3gpuE8ELNS1_3repE0EEENS1_30default_config_static_selectorELNS0_4arch9wavefront6targetE1EEEvT1_,"axG",@progbits,_ZN7rocprim17ROCPRIM_400000_NS6detail17trampoline_kernelINS0_14default_configENS1_25transform_config_selectorIfLb1EEEZNS1_14transform_implILb1ES3_S5_PfS7_NS0_8identityIfEEEE10hipError_tT2_T3_mT4_P12ihipStream_tbEUlT_E_NS1_11comp_targetILNS1_3genE4ELNS1_11target_archE910ELNS1_3gpuE8ELNS1_3repE0EEENS1_30default_config_static_selectorELNS0_4arch9wavefront6targetE1EEEvT1_,comdat
	.protected	_ZN7rocprim17ROCPRIM_400000_NS6detail17trampoline_kernelINS0_14default_configENS1_25transform_config_selectorIfLb1EEEZNS1_14transform_implILb1ES3_S5_PfS7_NS0_8identityIfEEEE10hipError_tT2_T3_mT4_P12ihipStream_tbEUlT_E_NS1_11comp_targetILNS1_3genE4ELNS1_11target_archE910ELNS1_3gpuE8ELNS1_3repE0EEENS1_30default_config_static_selectorELNS0_4arch9wavefront6targetE1EEEvT1_ ; -- Begin function _ZN7rocprim17ROCPRIM_400000_NS6detail17trampoline_kernelINS0_14default_configENS1_25transform_config_selectorIfLb1EEEZNS1_14transform_implILb1ES3_S5_PfS7_NS0_8identityIfEEEE10hipError_tT2_T3_mT4_P12ihipStream_tbEUlT_E_NS1_11comp_targetILNS1_3genE4ELNS1_11target_archE910ELNS1_3gpuE8ELNS1_3repE0EEENS1_30default_config_static_selectorELNS0_4arch9wavefront6targetE1EEEvT1_
	.globl	_ZN7rocprim17ROCPRIM_400000_NS6detail17trampoline_kernelINS0_14default_configENS1_25transform_config_selectorIfLb1EEEZNS1_14transform_implILb1ES3_S5_PfS7_NS0_8identityIfEEEE10hipError_tT2_T3_mT4_P12ihipStream_tbEUlT_E_NS1_11comp_targetILNS1_3genE4ELNS1_11target_archE910ELNS1_3gpuE8ELNS1_3repE0EEENS1_30default_config_static_selectorELNS0_4arch9wavefront6targetE1EEEvT1_
	.p2align	8
	.type	_ZN7rocprim17ROCPRIM_400000_NS6detail17trampoline_kernelINS0_14default_configENS1_25transform_config_selectorIfLb1EEEZNS1_14transform_implILb1ES3_S5_PfS7_NS0_8identityIfEEEE10hipError_tT2_T3_mT4_P12ihipStream_tbEUlT_E_NS1_11comp_targetILNS1_3genE4ELNS1_11target_archE910ELNS1_3gpuE8ELNS1_3repE0EEENS1_30default_config_static_selectorELNS0_4arch9wavefront6targetE1EEEvT1_,@function
_ZN7rocprim17ROCPRIM_400000_NS6detail17trampoline_kernelINS0_14default_configENS1_25transform_config_selectorIfLb1EEEZNS1_14transform_implILb1ES3_S5_PfS7_NS0_8identityIfEEEE10hipError_tT2_T3_mT4_P12ihipStream_tbEUlT_E_NS1_11comp_targetILNS1_3genE4ELNS1_11target_archE910ELNS1_3gpuE8ELNS1_3repE0EEENS1_30default_config_static_selectorELNS0_4arch9wavefront6targetE1EEEvT1_: ; @_ZN7rocprim17ROCPRIM_400000_NS6detail17trampoline_kernelINS0_14default_configENS1_25transform_config_selectorIfLb1EEEZNS1_14transform_implILb1ES3_S5_PfS7_NS0_8identityIfEEEE10hipError_tT2_T3_mT4_P12ihipStream_tbEUlT_E_NS1_11comp_targetILNS1_3genE4ELNS1_11target_archE910ELNS1_3gpuE8ELNS1_3repE0EEENS1_30default_config_static_selectorELNS0_4arch9wavefront6targetE1EEEvT1_
; %bb.0:
	s_load_dwordx8 s[8:15], s[4:5], 0x0
	s_load_dword s2, s[4:5], 0x28
	s_waitcnt lgkmcnt(0)
	s_lshl_b64 s[0:1], s[10:11], 2
	s_add_u32 s3, s8, s0
	s_addc_u32 s4, s9, s1
	s_add_u32 s13, s14, s0
	s_addc_u32 s14, s15, s1
	s_lshl_b32 s0, s6, 12
	s_mov_b32 s1, 0
	s_add_i32 s2, s2, -1
	s_lshl_b64 s[8:9], s[0:1], 2
	s_add_u32 s10, s3, s8
	s_addc_u32 s11, s4, s9
	s_cmp_lg_u32 s6, s2
	s_mov_b64 s[2:3], -1
	s_cbranch_scc0 .LBB1811_2
; %bb.1:
	v_lshlrev_b32_e32 v1, 4, v0
	global_load_dwordx4 v[2:5], v1, s[10:11]
	s_add_u32 s2, s13, s8
	s_addc_u32 s3, s14, s9
	s_waitcnt vmcnt(0)
	global_store_dwordx4 v1, v[2:5], s[2:3]
	s_mov_b64 s[2:3], 0
.LBB1811_2:
	s_andn2_b64 vcc, exec, s[2:3]
	s_cbranch_vccnz .LBB1811_16
; %bb.3:
	s_sub_i32 s6, s12, s0
	v_cmp_gt_u32_e32 vcc, s6, v0
	v_lshlrev_b32_e32 v1, 2, v0
                                        ; implicit-def: $vgpr2_vgpr3_vgpr4_vgpr5
	s_and_saveexec_b64 s[0:1], vcc
	s_cbranch_execz .LBB1811_5
; %bb.4:
	global_load_dword v2, v1, s[10:11]
.LBB1811_5:
	s_or_b64 exec, exec, s[0:1]
	v_or_b32_e32 v6, 0x400, v0
	v_cmp_gt_u32_e64 s[4:5], s6, v6
	s_and_saveexec_b64 s[0:1], s[4:5]
	s_cbranch_execz .LBB1811_7
; %bb.6:
	v_lshlrev_b32_e32 v3, 2, v6
	global_load_dword v3, v3, s[10:11]
.LBB1811_7:
	s_or_b64 exec, exec, s[0:1]
	v_or_b32_e32 v6, 0x800, v0
	v_cmp_gt_u32_e64 s[0:1], s6, v6
	s_and_saveexec_b64 s[2:3], s[0:1]
	s_cbranch_execz .LBB1811_9
; %bb.8:
	v_lshlrev_b32_e32 v4, 2, v6
	global_load_dword v4, v4, s[10:11]
.LBB1811_9:
	;; [unrolled: 9-line block ×3, first 2 shown]
	s_or_b64 exec, exec, s[6:7]
	s_add_u32 s6, s13, s8
	s_addc_u32 s7, s14, s9
	v_mov_b32_e32 v6, s7
	v_add_co_u32_e64 v0, s[6:7], s6, v1
	v_addc_co_u32_e64 v1, s[6:7], 0, v6, s[6:7]
	s_and_saveexec_b64 s[6:7], vcc
	s_cbranch_execnz .LBB1811_17
; %bb.12:
	s_or_b64 exec, exec, s[6:7]
	s_and_saveexec_b64 s[6:7], s[4:5]
	s_cbranch_execnz .LBB1811_18
.LBB1811_13:
	s_or_b64 exec, exec, s[6:7]
	s_and_saveexec_b64 s[4:5], s[0:1]
	s_cbranch_execnz .LBB1811_19
.LBB1811_14:
	s_or_b64 exec, exec, s[4:5]
	s_and_saveexec_b64 s[0:1], s[2:3]
	s_cbranch_execz .LBB1811_16
.LBB1811_15:
	v_add_co_u32_e32 v0, vcc, 0x3000, v0
	s_waitcnt vmcnt(0)
	v_cndmask_b32_e64 v2, v5, v5, s[2:3]
	v_addc_co_u32_e32 v1, vcc, 0, v1, vcc
	global_store_dword v[0:1], v2, off
.LBB1811_16:
	s_endpgm
.LBB1811_17:
	s_waitcnt vmcnt(0)
	global_store_dword v[0:1], v2, off
	s_or_b64 exec, exec, s[6:7]
	s_and_saveexec_b64 s[6:7], s[4:5]
	s_cbranch_execz .LBB1811_13
.LBB1811_18:
	v_add_co_u32_e32 v6, vcc, 0x1000, v0
	v_addc_co_u32_e32 v7, vcc, 0, v1, vcc
	s_waitcnt vmcnt(0)
	global_store_dword v[6:7], v3, off
	s_or_b64 exec, exec, s[6:7]
	s_and_saveexec_b64 s[4:5], s[0:1]
	s_cbranch_execz .LBB1811_14
.LBB1811_19:
	s_waitcnt vmcnt(0)
	v_add_co_u32_e32 v2, vcc, 0x2000, v0
	v_cndmask_b32_e64 v4, v4, v4, s[0:1]
	v_addc_co_u32_e32 v3, vcc, 0, v1, vcc
	global_store_dword v[2:3], v4, off
	s_or_b64 exec, exec, s[4:5]
	s_and_saveexec_b64 s[0:1], s[2:3]
	s_cbranch_execnz .LBB1811_15
	s_branch .LBB1811_16
	.section	.rodata,"a",@progbits
	.p2align	6, 0x0
	.amdhsa_kernel _ZN7rocprim17ROCPRIM_400000_NS6detail17trampoline_kernelINS0_14default_configENS1_25transform_config_selectorIfLb1EEEZNS1_14transform_implILb1ES3_S5_PfS7_NS0_8identityIfEEEE10hipError_tT2_T3_mT4_P12ihipStream_tbEUlT_E_NS1_11comp_targetILNS1_3genE4ELNS1_11target_archE910ELNS1_3gpuE8ELNS1_3repE0EEENS1_30default_config_static_selectorELNS0_4arch9wavefront6targetE1EEEvT1_
		.amdhsa_group_segment_fixed_size 0
		.amdhsa_private_segment_fixed_size 0
		.amdhsa_kernarg_size 296
		.amdhsa_user_sgpr_count 6
		.amdhsa_user_sgpr_private_segment_buffer 1
		.amdhsa_user_sgpr_dispatch_ptr 0
		.amdhsa_user_sgpr_queue_ptr 0
		.amdhsa_user_sgpr_kernarg_segment_ptr 1
		.amdhsa_user_sgpr_dispatch_id 0
		.amdhsa_user_sgpr_flat_scratch_init 0
		.amdhsa_user_sgpr_kernarg_preload_length 0
		.amdhsa_user_sgpr_kernarg_preload_offset 0
		.amdhsa_user_sgpr_private_segment_size 0
		.amdhsa_uses_dynamic_stack 0
		.amdhsa_system_sgpr_private_segment_wavefront_offset 0
		.amdhsa_system_sgpr_workgroup_id_x 1
		.amdhsa_system_sgpr_workgroup_id_y 0
		.amdhsa_system_sgpr_workgroup_id_z 0
		.amdhsa_system_sgpr_workgroup_info 0
		.amdhsa_system_vgpr_workitem_id 0
		.amdhsa_next_free_vgpr 8
		.amdhsa_next_free_sgpr 16
		.amdhsa_accum_offset 8
		.amdhsa_reserve_vcc 1
		.amdhsa_reserve_flat_scratch 0
		.amdhsa_float_round_mode_32 0
		.amdhsa_float_round_mode_16_64 0
		.amdhsa_float_denorm_mode_32 3
		.amdhsa_float_denorm_mode_16_64 3
		.amdhsa_dx10_clamp 1
		.amdhsa_ieee_mode 1
		.amdhsa_fp16_overflow 0
		.amdhsa_tg_split 0
		.amdhsa_exception_fp_ieee_invalid_op 0
		.amdhsa_exception_fp_denorm_src 0
		.amdhsa_exception_fp_ieee_div_zero 0
		.amdhsa_exception_fp_ieee_overflow 0
		.amdhsa_exception_fp_ieee_underflow 0
		.amdhsa_exception_fp_ieee_inexact 0
		.amdhsa_exception_int_div_zero 0
	.end_amdhsa_kernel
	.section	.text._ZN7rocprim17ROCPRIM_400000_NS6detail17trampoline_kernelINS0_14default_configENS1_25transform_config_selectorIfLb1EEEZNS1_14transform_implILb1ES3_S5_PfS7_NS0_8identityIfEEEE10hipError_tT2_T3_mT4_P12ihipStream_tbEUlT_E_NS1_11comp_targetILNS1_3genE4ELNS1_11target_archE910ELNS1_3gpuE8ELNS1_3repE0EEENS1_30default_config_static_selectorELNS0_4arch9wavefront6targetE1EEEvT1_,"axG",@progbits,_ZN7rocprim17ROCPRIM_400000_NS6detail17trampoline_kernelINS0_14default_configENS1_25transform_config_selectorIfLb1EEEZNS1_14transform_implILb1ES3_S5_PfS7_NS0_8identityIfEEEE10hipError_tT2_T3_mT4_P12ihipStream_tbEUlT_E_NS1_11comp_targetILNS1_3genE4ELNS1_11target_archE910ELNS1_3gpuE8ELNS1_3repE0EEENS1_30default_config_static_selectorELNS0_4arch9wavefront6targetE1EEEvT1_,comdat
.Lfunc_end1811:
	.size	_ZN7rocprim17ROCPRIM_400000_NS6detail17trampoline_kernelINS0_14default_configENS1_25transform_config_selectorIfLb1EEEZNS1_14transform_implILb1ES3_S5_PfS7_NS0_8identityIfEEEE10hipError_tT2_T3_mT4_P12ihipStream_tbEUlT_E_NS1_11comp_targetILNS1_3genE4ELNS1_11target_archE910ELNS1_3gpuE8ELNS1_3repE0EEENS1_30default_config_static_selectorELNS0_4arch9wavefront6targetE1EEEvT1_, .Lfunc_end1811-_ZN7rocprim17ROCPRIM_400000_NS6detail17trampoline_kernelINS0_14default_configENS1_25transform_config_selectorIfLb1EEEZNS1_14transform_implILb1ES3_S5_PfS7_NS0_8identityIfEEEE10hipError_tT2_T3_mT4_P12ihipStream_tbEUlT_E_NS1_11comp_targetILNS1_3genE4ELNS1_11target_archE910ELNS1_3gpuE8ELNS1_3repE0EEENS1_30default_config_static_selectorELNS0_4arch9wavefront6targetE1EEEvT1_
                                        ; -- End function
	.section	.AMDGPU.csdata,"",@progbits
; Kernel info:
; codeLenInByte = 488
; NumSgprs: 20
; NumVgprs: 8
; NumAgprs: 0
; TotalNumVgprs: 8
; ScratchSize: 0
; MemoryBound: 1
; FloatMode: 240
; IeeeMode: 1
; LDSByteSize: 0 bytes/workgroup (compile time only)
; SGPRBlocks: 2
; VGPRBlocks: 0
; NumSGPRsForWavesPerEU: 20
; NumVGPRsForWavesPerEU: 8
; AccumOffset: 8
; Occupancy: 8
; WaveLimiterHint : 0
; COMPUTE_PGM_RSRC2:SCRATCH_EN: 0
; COMPUTE_PGM_RSRC2:USER_SGPR: 6
; COMPUTE_PGM_RSRC2:TRAP_HANDLER: 0
; COMPUTE_PGM_RSRC2:TGID_X_EN: 1
; COMPUTE_PGM_RSRC2:TGID_Y_EN: 0
; COMPUTE_PGM_RSRC2:TGID_Z_EN: 0
; COMPUTE_PGM_RSRC2:TIDIG_COMP_CNT: 0
; COMPUTE_PGM_RSRC3_GFX90A:ACCUM_OFFSET: 1
; COMPUTE_PGM_RSRC3_GFX90A:TG_SPLIT: 0
	.section	.text._ZN7rocprim17ROCPRIM_400000_NS6detail17trampoline_kernelINS0_14default_configENS1_25transform_config_selectorIfLb1EEEZNS1_14transform_implILb1ES3_S5_PfS7_NS0_8identityIfEEEE10hipError_tT2_T3_mT4_P12ihipStream_tbEUlT_E_NS1_11comp_targetILNS1_3genE3ELNS1_11target_archE908ELNS1_3gpuE7ELNS1_3repE0EEENS1_30default_config_static_selectorELNS0_4arch9wavefront6targetE1EEEvT1_,"axG",@progbits,_ZN7rocprim17ROCPRIM_400000_NS6detail17trampoline_kernelINS0_14default_configENS1_25transform_config_selectorIfLb1EEEZNS1_14transform_implILb1ES3_S5_PfS7_NS0_8identityIfEEEE10hipError_tT2_T3_mT4_P12ihipStream_tbEUlT_E_NS1_11comp_targetILNS1_3genE3ELNS1_11target_archE908ELNS1_3gpuE7ELNS1_3repE0EEENS1_30default_config_static_selectorELNS0_4arch9wavefront6targetE1EEEvT1_,comdat
	.protected	_ZN7rocprim17ROCPRIM_400000_NS6detail17trampoline_kernelINS0_14default_configENS1_25transform_config_selectorIfLb1EEEZNS1_14transform_implILb1ES3_S5_PfS7_NS0_8identityIfEEEE10hipError_tT2_T3_mT4_P12ihipStream_tbEUlT_E_NS1_11comp_targetILNS1_3genE3ELNS1_11target_archE908ELNS1_3gpuE7ELNS1_3repE0EEENS1_30default_config_static_selectorELNS0_4arch9wavefront6targetE1EEEvT1_ ; -- Begin function _ZN7rocprim17ROCPRIM_400000_NS6detail17trampoline_kernelINS0_14default_configENS1_25transform_config_selectorIfLb1EEEZNS1_14transform_implILb1ES3_S5_PfS7_NS0_8identityIfEEEE10hipError_tT2_T3_mT4_P12ihipStream_tbEUlT_E_NS1_11comp_targetILNS1_3genE3ELNS1_11target_archE908ELNS1_3gpuE7ELNS1_3repE0EEENS1_30default_config_static_selectorELNS0_4arch9wavefront6targetE1EEEvT1_
	.globl	_ZN7rocprim17ROCPRIM_400000_NS6detail17trampoline_kernelINS0_14default_configENS1_25transform_config_selectorIfLb1EEEZNS1_14transform_implILb1ES3_S5_PfS7_NS0_8identityIfEEEE10hipError_tT2_T3_mT4_P12ihipStream_tbEUlT_E_NS1_11comp_targetILNS1_3genE3ELNS1_11target_archE908ELNS1_3gpuE7ELNS1_3repE0EEENS1_30default_config_static_selectorELNS0_4arch9wavefront6targetE1EEEvT1_
	.p2align	8
	.type	_ZN7rocprim17ROCPRIM_400000_NS6detail17trampoline_kernelINS0_14default_configENS1_25transform_config_selectorIfLb1EEEZNS1_14transform_implILb1ES3_S5_PfS7_NS0_8identityIfEEEE10hipError_tT2_T3_mT4_P12ihipStream_tbEUlT_E_NS1_11comp_targetILNS1_3genE3ELNS1_11target_archE908ELNS1_3gpuE7ELNS1_3repE0EEENS1_30default_config_static_selectorELNS0_4arch9wavefront6targetE1EEEvT1_,@function
_ZN7rocprim17ROCPRIM_400000_NS6detail17trampoline_kernelINS0_14default_configENS1_25transform_config_selectorIfLb1EEEZNS1_14transform_implILb1ES3_S5_PfS7_NS0_8identityIfEEEE10hipError_tT2_T3_mT4_P12ihipStream_tbEUlT_E_NS1_11comp_targetILNS1_3genE3ELNS1_11target_archE908ELNS1_3gpuE7ELNS1_3repE0EEENS1_30default_config_static_selectorELNS0_4arch9wavefront6targetE1EEEvT1_: ; @_ZN7rocprim17ROCPRIM_400000_NS6detail17trampoline_kernelINS0_14default_configENS1_25transform_config_selectorIfLb1EEEZNS1_14transform_implILb1ES3_S5_PfS7_NS0_8identityIfEEEE10hipError_tT2_T3_mT4_P12ihipStream_tbEUlT_E_NS1_11comp_targetILNS1_3genE3ELNS1_11target_archE908ELNS1_3gpuE7ELNS1_3repE0EEENS1_30default_config_static_selectorELNS0_4arch9wavefront6targetE1EEEvT1_
; %bb.0:
	.section	.rodata,"a",@progbits
	.p2align	6, 0x0
	.amdhsa_kernel _ZN7rocprim17ROCPRIM_400000_NS6detail17trampoline_kernelINS0_14default_configENS1_25transform_config_selectorIfLb1EEEZNS1_14transform_implILb1ES3_S5_PfS7_NS0_8identityIfEEEE10hipError_tT2_T3_mT4_P12ihipStream_tbEUlT_E_NS1_11comp_targetILNS1_3genE3ELNS1_11target_archE908ELNS1_3gpuE7ELNS1_3repE0EEENS1_30default_config_static_selectorELNS0_4arch9wavefront6targetE1EEEvT1_
		.amdhsa_group_segment_fixed_size 0
		.amdhsa_private_segment_fixed_size 0
		.amdhsa_kernarg_size 40
		.amdhsa_user_sgpr_count 6
		.amdhsa_user_sgpr_private_segment_buffer 1
		.amdhsa_user_sgpr_dispatch_ptr 0
		.amdhsa_user_sgpr_queue_ptr 0
		.amdhsa_user_sgpr_kernarg_segment_ptr 1
		.amdhsa_user_sgpr_dispatch_id 0
		.amdhsa_user_sgpr_flat_scratch_init 0
		.amdhsa_user_sgpr_kernarg_preload_length 0
		.amdhsa_user_sgpr_kernarg_preload_offset 0
		.amdhsa_user_sgpr_private_segment_size 0
		.amdhsa_uses_dynamic_stack 0
		.amdhsa_system_sgpr_private_segment_wavefront_offset 0
		.amdhsa_system_sgpr_workgroup_id_x 1
		.amdhsa_system_sgpr_workgroup_id_y 0
		.amdhsa_system_sgpr_workgroup_id_z 0
		.amdhsa_system_sgpr_workgroup_info 0
		.amdhsa_system_vgpr_workitem_id 0
		.amdhsa_next_free_vgpr 1
		.amdhsa_next_free_sgpr 0
		.amdhsa_accum_offset 4
		.amdhsa_reserve_vcc 0
		.amdhsa_reserve_flat_scratch 0
		.amdhsa_float_round_mode_32 0
		.amdhsa_float_round_mode_16_64 0
		.amdhsa_float_denorm_mode_32 3
		.amdhsa_float_denorm_mode_16_64 3
		.amdhsa_dx10_clamp 1
		.amdhsa_ieee_mode 1
		.amdhsa_fp16_overflow 0
		.amdhsa_tg_split 0
		.amdhsa_exception_fp_ieee_invalid_op 0
		.amdhsa_exception_fp_denorm_src 0
		.amdhsa_exception_fp_ieee_div_zero 0
		.amdhsa_exception_fp_ieee_overflow 0
		.amdhsa_exception_fp_ieee_underflow 0
		.amdhsa_exception_fp_ieee_inexact 0
		.amdhsa_exception_int_div_zero 0
	.end_amdhsa_kernel
	.section	.text._ZN7rocprim17ROCPRIM_400000_NS6detail17trampoline_kernelINS0_14default_configENS1_25transform_config_selectorIfLb1EEEZNS1_14transform_implILb1ES3_S5_PfS7_NS0_8identityIfEEEE10hipError_tT2_T3_mT4_P12ihipStream_tbEUlT_E_NS1_11comp_targetILNS1_3genE3ELNS1_11target_archE908ELNS1_3gpuE7ELNS1_3repE0EEENS1_30default_config_static_selectorELNS0_4arch9wavefront6targetE1EEEvT1_,"axG",@progbits,_ZN7rocprim17ROCPRIM_400000_NS6detail17trampoline_kernelINS0_14default_configENS1_25transform_config_selectorIfLb1EEEZNS1_14transform_implILb1ES3_S5_PfS7_NS0_8identityIfEEEE10hipError_tT2_T3_mT4_P12ihipStream_tbEUlT_E_NS1_11comp_targetILNS1_3genE3ELNS1_11target_archE908ELNS1_3gpuE7ELNS1_3repE0EEENS1_30default_config_static_selectorELNS0_4arch9wavefront6targetE1EEEvT1_,comdat
.Lfunc_end1812:
	.size	_ZN7rocprim17ROCPRIM_400000_NS6detail17trampoline_kernelINS0_14default_configENS1_25transform_config_selectorIfLb1EEEZNS1_14transform_implILb1ES3_S5_PfS7_NS0_8identityIfEEEE10hipError_tT2_T3_mT4_P12ihipStream_tbEUlT_E_NS1_11comp_targetILNS1_3genE3ELNS1_11target_archE908ELNS1_3gpuE7ELNS1_3repE0EEENS1_30default_config_static_selectorELNS0_4arch9wavefront6targetE1EEEvT1_, .Lfunc_end1812-_ZN7rocprim17ROCPRIM_400000_NS6detail17trampoline_kernelINS0_14default_configENS1_25transform_config_selectorIfLb1EEEZNS1_14transform_implILb1ES3_S5_PfS7_NS0_8identityIfEEEE10hipError_tT2_T3_mT4_P12ihipStream_tbEUlT_E_NS1_11comp_targetILNS1_3genE3ELNS1_11target_archE908ELNS1_3gpuE7ELNS1_3repE0EEENS1_30default_config_static_selectorELNS0_4arch9wavefront6targetE1EEEvT1_
                                        ; -- End function
	.section	.AMDGPU.csdata,"",@progbits
; Kernel info:
; codeLenInByte = 0
; NumSgprs: 4
; NumVgprs: 0
; NumAgprs: 0
; TotalNumVgprs: 0
; ScratchSize: 0
; MemoryBound: 0
; FloatMode: 240
; IeeeMode: 1
; LDSByteSize: 0 bytes/workgroup (compile time only)
; SGPRBlocks: 0
; VGPRBlocks: 0
; NumSGPRsForWavesPerEU: 4
; NumVGPRsForWavesPerEU: 1
; AccumOffset: 4
; Occupancy: 8
; WaveLimiterHint : 0
; COMPUTE_PGM_RSRC2:SCRATCH_EN: 0
; COMPUTE_PGM_RSRC2:USER_SGPR: 6
; COMPUTE_PGM_RSRC2:TRAP_HANDLER: 0
; COMPUTE_PGM_RSRC2:TGID_X_EN: 1
; COMPUTE_PGM_RSRC2:TGID_Y_EN: 0
; COMPUTE_PGM_RSRC2:TGID_Z_EN: 0
; COMPUTE_PGM_RSRC2:TIDIG_COMP_CNT: 0
; COMPUTE_PGM_RSRC3_GFX90A:ACCUM_OFFSET: 0
; COMPUTE_PGM_RSRC3_GFX90A:TG_SPLIT: 0
	.section	.text._ZN7rocprim17ROCPRIM_400000_NS6detail17trampoline_kernelINS0_14default_configENS1_25transform_config_selectorIfLb1EEEZNS1_14transform_implILb1ES3_S5_PfS7_NS0_8identityIfEEEE10hipError_tT2_T3_mT4_P12ihipStream_tbEUlT_E_NS1_11comp_targetILNS1_3genE2ELNS1_11target_archE906ELNS1_3gpuE6ELNS1_3repE0EEENS1_30default_config_static_selectorELNS0_4arch9wavefront6targetE1EEEvT1_,"axG",@progbits,_ZN7rocprim17ROCPRIM_400000_NS6detail17trampoline_kernelINS0_14default_configENS1_25transform_config_selectorIfLb1EEEZNS1_14transform_implILb1ES3_S5_PfS7_NS0_8identityIfEEEE10hipError_tT2_T3_mT4_P12ihipStream_tbEUlT_E_NS1_11comp_targetILNS1_3genE2ELNS1_11target_archE906ELNS1_3gpuE6ELNS1_3repE0EEENS1_30default_config_static_selectorELNS0_4arch9wavefront6targetE1EEEvT1_,comdat
	.protected	_ZN7rocprim17ROCPRIM_400000_NS6detail17trampoline_kernelINS0_14default_configENS1_25transform_config_selectorIfLb1EEEZNS1_14transform_implILb1ES3_S5_PfS7_NS0_8identityIfEEEE10hipError_tT2_T3_mT4_P12ihipStream_tbEUlT_E_NS1_11comp_targetILNS1_3genE2ELNS1_11target_archE906ELNS1_3gpuE6ELNS1_3repE0EEENS1_30default_config_static_selectorELNS0_4arch9wavefront6targetE1EEEvT1_ ; -- Begin function _ZN7rocprim17ROCPRIM_400000_NS6detail17trampoline_kernelINS0_14default_configENS1_25transform_config_selectorIfLb1EEEZNS1_14transform_implILb1ES3_S5_PfS7_NS0_8identityIfEEEE10hipError_tT2_T3_mT4_P12ihipStream_tbEUlT_E_NS1_11comp_targetILNS1_3genE2ELNS1_11target_archE906ELNS1_3gpuE6ELNS1_3repE0EEENS1_30default_config_static_selectorELNS0_4arch9wavefront6targetE1EEEvT1_
	.globl	_ZN7rocprim17ROCPRIM_400000_NS6detail17trampoline_kernelINS0_14default_configENS1_25transform_config_selectorIfLb1EEEZNS1_14transform_implILb1ES3_S5_PfS7_NS0_8identityIfEEEE10hipError_tT2_T3_mT4_P12ihipStream_tbEUlT_E_NS1_11comp_targetILNS1_3genE2ELNS1_11target_archE906ELNS1_3gpuE6ELNS1_3repE0EEENS1_30default_config_static_selectorELNS0_4arch9wavefront6targetE1EEEvT1_
	.p2align	8
	.type	_ZN7rocprim17ROCPRIM_400000_NS6detail17trampoline_kernelINS0_14default_configENS1_25transform_config_selectorIfLb1EEEZNS1_14transform_implILb1ES3_S5_PfS7_NS0_8identityIfEEEE10hipError_tT2_T3_mT4_P12ihipStream_tbEUlT_E_NS1_11comp_targetILNS1_3genE2ELNS1_11target_archE906ELNS1_3gpuE6ELNS1_3repE0EEENS1_30default_config_static_selectorELNS0_4arch9wavefront6targetE1EEEvT1_,@function
_ZN7rocprim17ROCPRIM_400000_NS6detail17trampoline_kernelINS0_14default_configENS1_25transform_config_selectorIfLb1EEEZNS1_14transform_implILb1ES3_S5_PfS7_NS0_8identityIfEEEE10hipError_tT2_T3_mT4_P12ihipStream_tbEUlT_E_NS1_11comp_targetILNS1_3genE2ELNS1_11target_archE906ELNS1_3gpuE6ELNS1_3repE0EEENS1_30default_config_static_selectorELNS0_4arch9wavefront6targetE1EEEvT1_: ; @_ZN7rocprim17ROCPRIM_400000_NS6detail17trampoline_kernelINS0_14default_configENS1_25transform_config_selectorIfLb1EEEZNS1_14transform_implILb1ES3_S5_PfS7_NS0_8identityIfEEEE10hipError_tT2_T3_mT4_P12ihipStream_tbEUlT_E_NS1_11comp_targetILNS1_3genE2ELNS1_11target_archE906ELNS1_3gpuE6ELNS1_3repE0EEENS1_30default_config_static_selectorELNS0_4arch9wavefront6targetE1EEEvT1_
; %bb.0:
	.section	.rodata,"a",@progbits
	.p2align	6, 0x0
	.amdhsa_kernel _ZN7rocprim17ROCPRIM_400000_NS6detail17trampoline_kernelINS0_14default_configENS1_25transform_config_selectorIfLb1EEEZNS1_14transform_implILb1ES3_S5_PfS7_NS0_8identityIfEEEE10hipError_tT2_T3_mT4_P12ihipStream_tbEUlT_E_NS1_11comp_targetILNS1_3genE2ELNS1_11target_archE906ELNS1_3gpuE6ELNS1_3repE0EEENS1_30default_config_static_selectorELNS0_4arch9wavefront6targetE1EEEvT1_
		.amdhsa_group_segment_fixed_size 0
		.amdhsa_private_segment_fixed_size 0
		.amdhsa_kernarg_size 40
		.amdhsa_user_sgpr_count 6
		.amdhsa_user_sgpr_private_segment_buffer 1
		.amdhsa_user_sgpr_dispatch_ptr 0
		.amdhsa_user_sgpr_queue_ptr 0
		.amdhsa_user_sgpr_kernarg_segment_ptr 1
		.amdhsa_user_sgpr_dispatch_id 0
		.amdhsa_user_sgpr_flat_scratch_init 0
		.amdhsa_user_sgpr_kernarg_preload_length 0
		.amdhsa_user_sgpr_kernarg_preload_offset 0
		.amdhsa_user_sgpr_private_segment_size 0
		.amdhsa_uses_dynamic_stack 0
		.amdhsa_system_sgpr_private_segment_wavefront_offset 0
		.amdhsa_system_sgpr_workgroup_id_x 1
		.amdhsa_system_sgpr_workgroup_id_y 0
		.amdhsa_system_sgpr_workgroup_id_z 0
		.amdhsa_system_sgpr_workgroup_info 0
		.amdhsa_system_vgpr_workitem_id 0
		.amdhsa_next_free_vgpr 1
		.amdhsa_next_free_sgpr 0
		.amdhsa_accum_offset 4
		.amdhsa_reserve_vcc 0
		.amdhsa_reserve_flat_scratch 0
		.amdhsa_float_round_mode_32 0
		.amdhsa_float_round_mode_16_64 0
		.amdhsa_float_denorm_mode_32 3
		.amdhsa_float_denorm_mode_16_64 3
		.amdhsa_dx10_clamp 1
		.amdhsa_ieee_mode 1
		.amdhsa_fp16_overflow 0
		.amdhsa_tg_split 0
		.amdhsa_exception_fp_ieee_invalid_op 0
		.amdhsa_exception_fp_denorm_src 0
		.amdhsa_exception_fp_ieee_div_zero 0
		.amdhsa_exception_fp_ieee_overflow 0
		.amdhsa_exception_fp_ieee_underflow 0
		.amdhsa_exception_fp_ieee_inexact 0
		.amdhsa_exception_int_div_zero 0
	.end_amdhsa_kernel
	.section	.text._ZN7rocprim17ROCPRIM_400000_NS6detail17trampoline_kernelINS0_14default_configENS1_25transform_config_selectorIfLb1EEEZNS1_14transform_implILb1ES3_S5_PfS7_NS0_8identityIfEEEE10hipError_tT2_T3_mT4_P12ihipStream_tbEUlT_E_NS1_11comp_targetILNS1_3genE2ELNS1_11target_archE906ELNS1_3gpuE6ELNS1_3repE0EEENS1_30default_config_static_selectorELNS0_4arch9wavefront6targetE1EEEvT1_,"axG",@progbits,_ZN7rocprim17ROCPRIM_400000_NS6detail17trampoline_kernelINS0_14default_configENS1_25transform_config_selectorIfLb1EEEZNS1_14transform_implILb1ES3_S5_PfS7_NS0_8identityIfEEEE10hipError_tT2_T3_mT4_P12ihipStream_tbEUlT_E_NS1_11comp_targetILNS1_3genE2ELNS1_11target_archE906ELNS1_3gpuE6ELNS1_3repE0EEENS1_30default_config_static_selectorELNS0_4arch9wavefront6targetE1EEEvT1_,comdat
.Lfunc_end1813:
	.size	_ZN7rocprim17ROCPRIM_400000_NS6detail17trampoline_kernelINS0_14default_configENS1_25transform_config_selectorIfLb1EEEZNS1_14transform_implILb1ES3_S5_PfS7_NS0_8identityIfEEEE10hipError_tT2_T3_mT4_P12ihipStream_tbEUlT_E_NS1_11comp_targetILNS1_3genE2ELNS1_11target_archE906ELNS1_3gpuE6ELNS1_3repE0EEENS1_30default_config_static_selectorELNS0_4arch9wavefront6targetE1EEEvT1_, .Lfunc_end1813-_ZN7rocprim17ROCPRIM_400000_NS6detail17trampoline_kernelINS0_14default_configENS1_25transform_config_selectorIfLb1EEEZNS1_14transform_implILb1ES3_S5_PfS7_NS0_8identityIfEEEE10hipError_tT2_T3_mT4_P12ihipStream_tbEUlT_E_NS1_11comp_targetILNS1_3genE2ELNS1_11target_archE906ELNS1_3gpuE6ELNS1_3repE0EEENS1_30default_config_static_selectorELNS0_4arch9wavefront6targetE1EEEvT1_
                                        ; -- End function
	.section	.AMDGPU.csdata,"",@progbits
; Kernel info:
; codeLenInByte = 0
; NumSgprs: 4
; NumVgprs: 0
; NumAgprs: 0
; TotalNumVgprs: 0
; ScratchSize: 0
; MemoryBound: 0
; FloatMode: 240
; IeeeMode: 1
; LDSByteSize: 0 bytes/workgroup (compile time only)
; SGPRBlocks: 0
; VGPRBlocks: 0
; NumSGPRsForWavesPerEU: 4
; NumVGPRsForWavesPerEU: 1
; AccumOffset: 4
; Occupancy: 8
; WaveLimiterHint : 0
; COMPUTE_PGM_RSRC2:SCRATCH_EN: 0
; COMPUTE_PGM_RSRC2:USER_SGPR: 6
; COMPUTE_PGM_RSRC2:TRAP_HANDLER: 0
; COMPUTE_PGM_RSRC2:TGID_X_EN: 1
; COMPUTE_PGM_RSRC2:TGID_Y_EN: 0
; COMPUTE_PGM_RSRC2:TGID_Z_EN: 0
; COMPUTE_PGM_RSRC2:TIDIG_COMP_CNT: 0
; COMPUTE_PGM_RSRC3_GFX90A:ACCUM_OFFSET: 0
; COMPUTE_PGM_RSRC3_GFX90A:TG_SPLIT: 0
	.section	.text._ZN7rocprim17ROCPRIM_400000_NS6detail17trampoline_kernelINS0_14default_configENS1_25transform_config_selectorIfLb1EEEZNS1_14transform_implILb1ES3_S5_PfS7_NS0_8identityIfEEEE10hipError_tT2_T3_mT4_P12ihipStream_tbEUlT_E_NS1_11comp_targetILNS1_3genE9ELNS1_11target_archE1100ELNS1_3gpuE3ELNS1_3repE0EEENS1_30default_config_static_selectorELNS0_4arch9wavefront6targetE1EEEvT1_,"axG",@progbits,_ZN7rocprim17ROCPRIM_400000_NS6detail17trampoline_kernelINS0_14default_configENS1_25transform_config_selectorIfLb1EEEZNS1_14transform_implILb1ES3_S5_PfS7_NS0_8identityIfEEEE10hipError_tT2_T3_mT4_P12ihipStream_tbEUlT_E_NS1_11comp_targetILNS1_3genE9ELNS1_11target_archE1100ELNS1_3gpuE3ELNS1_3repE0EEENS1_30default_config_static_selectorELNS0_4arch9wavefront6targetE1EEEvT1_,comdat
	.protected	_ZN7rocprim17ROCPRIM_400000_NS6detail17trampoline_kernelINS0_14default_configENS1_25transform_config_selectorIfLb1EEEZNS1_14transform_implILb1ES3_S5_PfS7_NS0_8identityIfEEEE10hipError_tT2_T3_mT4_P12ihipStream_tbEUlT_E_NS1_11comp_targetILNS1_3genE9ELNS1_11target_archE1100ELNS1_3gpuE3ELNS1_3repE0EEENS1_30default_config_static_selectorELNS0_4arch9wavefront6targetE1EEEvT1_ ; -- Begin function _ZN7rocprim17ROCPRIM_400000_NS6detail17trampoline_kernelINS0_14default_configENS1_25transform_config_selectorIfLb1EEEZNS1_14transform_implILb1ES3_S5_PfS7_NS0_8identityIfEEEE10hipError_tT2_T3_mT4_P12ihipStream_tbEUlT_E_NS1_11comp_targetILNS1_3genE9ELNS1_11target_archE1100ELNS1_3gpuE3ELNS1_3repE0EEENS1_30default_config_static_selectorELNS0_4arch9wavefront6targetE1EEEvT1_
	.globl	_ZN7rocprim17ROCPRIM_400000_NS6detail17trampoline_kernelINS0_14default_configENS1_25transform_config_selectorIfLb1EEEZNS1_14transform_implILb1ES3_S5_PfS7_NS0_8identityIfEEEE10hipError_tT2_T3_mT4_P12ihipStream_tbEUlT_E_NS1_11comp_targetILNS1_3genE9ELNS1_11target_archE1100ELNS1_3gpuE3ELNS1_3repE0EEENS1_30default_config_static_selectorELNS0_4arch9wavefront6targetE1EEEvT1_
	.p2align	8
	.type	_ZN7rocprim17ROCPRIM_400000_NS6detail17trampoline_kernelINS0_14default_configENS1_25transform_config_selectorIfLb1EEEZNS1_14transform_implILb1ES3_S5_PfS7_NS0_8identityIfEEEE10hipError_tT2_T3_mT4_P12ihipStream_tbEUlT_E_NS1_11comp_targetILNS1_3genE9ELNS1_11target_archE1100ELNS1_3gpuE3ELNS1_3repE0EEENS1_30default_config_static_selectorELNS0_4arch9wavefront6targetE1EEEvT1_,@function
_ZN7rocprim17ROCPRIM_400000_NS6detail17trampoline_kernelINS0_14default_configENS1_25transform_config_selectorIfLb1EEEZNS1_14transform_implILb1ES3_S5_PfS7_NS0_8identityIfEEEE10hipError_tT2_T3_mT4_P12ihipStream_tbEUlT_E_NS1_11comp_targetILNS1_3genE9ELNS1_11target_archE1100ELNS1_3gpuE3ELNS1_3repE0EEENS1_30default_config_static_selectorELNS0_4arch9wavefront6targetE1EEEvT1_: ; @_ZN7rocprim17ROCPRIM_400000_NS6detail17trampoline_kernelINS0_14default_configENS1_25transform_config_selectorIfLb1EEEZNS1_14transform_implILb1ES3_S5_PfS7_NS0_8identityIfEEEE10hipError_tT2_T3_mT4_P12ihipStream_tbEUlT_E_NS1_11comp_targetILNS1_3genE9ELNS1_11target_archE1100ELNS1_3gpuE3ELNS1_3repE0EEENS1_30default_config_static_selectorELNS0_4arch9wavefront6targetE1EEEvT1_
; %bb.0:
	.section	.rodata,"a",@progbits
	.p2align	6, 0x0
	.amdhsa_kernel _ZN7rocprim17ROCPRIM_400000_NS6detail17trampoline_kernelINS0_14default_configENS1_25transform_config_selectorIfLb1EEEZNS1_14transform_implILb1ES3_S5_PfS7_NS0_8identityIfEEEE10hipError_tT2_T3_mT4_P12ihipStream_tbEUlT_E_NS1_11comp_targetILNS1_3genE9ELNS1_11target_archE1100ELNS1_3gpuE3ELNS1_3repE0EEENS1_30default_config_static_selectorELNS0_4arch9wavefront6targetE1EEEvT1_
		.amdhsa_group_segment_fixed_size 0
		.amdhsa_private_segment_fixed_size 0
		.amdhsa_kernarg_size 40
		.amdhsa_user_sgpr_count 6
		.amdhsa_user_sgpr_private_segment_buffer 1
		.amdhsa_user_sgpr_dispatch_ptr 0
		.amdhsa_user_sgpr_queue_ptr 0
		.amdhsa_user_sgpr_kernarg_segment_ptr 1
		.amdhsa_user_sgpr_dispatch_id 0
		.amdhsa_user_sgpr_flat_scratch_init 0
		.amdhsa_user_sgpr_kernarg_preload_length 0
		.amdhsa_user_sgpr_kernarg_preload_offset 0
		.amdhsa_user_sgpr_private_segment_size 0
		.amdhsa_uses_dynamic_stack 0
		.amdhsa_system_sgpr_private_segment_wavefront_offset 0
		.amdhsa_system_sgpr_workgroup_id_x 1
		.amdhsa_system_sgpr_workgroup_id_y 0
		.amdhsa_system_sgpr_workgroup_id_z 0
		.amdhsa_system_sgpr_workgroup_info 0
		.amdhsa_system_vgpr_workitem_id 0
		.amdhsa_next_free_vgpr 1
		.amdhsa_next_free_sgpr 0
		.amdhsa_accum_offset 4
		.amdhsa_reserve_vcc 0
		.amdhsa_reserve_flat_scratch 0
		.amdhsa_float_round_mode_32 0
		.amdhsa_float_round_mode_16_64 0
		.amdhsa_float_denorm_mode_32 3
		.amdhsa_float_denorm_mode_16_64 3
		.amdhsa_dx10_clamp 1
		.amdhsa_ieee_mode 1
		.amdhsa_fp16_overflow 0
		.amdhsa_tg_split 0
		.amdhsa_exception_fp_ieee_invalid_op 0
		.amdhsa_exception_fp_denorm_src 0
		.amdhsa_exception_fp_ieee_div_zero 0
		.amdhsa_exception_fp_ieee_overflow 0
		.amdhsa_exception_fp_ieee_underflow 0
		.amdhsa_exception_fp_ieee_inexact 0
		.amdhsa_exception_int_div_zero 0
	.end_amdhsa_kernel
	.section	.text._ZN7rocprim17ROCPRIM_400000_NS6detail17trampoline_kernelINS0_14default_configENS1_25transform_config_selectorIfLb1EEEZNS1_14transform_implILb1ES3_S5_PfS7_NS0_8identityIfEEEE10hipError_tT2_T3_mT4_P12ihipStream_tbEUlT_E_NS1_11comp_targetILNS1_3genE9ELNS1_11target_archE1100ELNS1_3gpuE3ELNS1_3repE0EEENS1_30default_config_static_selectorELNS0_4arch9wavefront6targetE1EEEvT1_,"axG",@progbits,_ZN7rocprim17ROCPRIM_400000_NS6detail17trampoline_kernelINS0_14default_configENS1_25transform_config_selectorIfLb1EEEZNS1_14transform_implILb1ES3_S5_PfS7_NS0_8identityIfEEEE10hipError_tT2_T3_mT4_P12ihipStream_tbEUlT_E_NS1_11comp_targetILNS1_3genE9ELNS1_11target_archE1100ELNS1_3gpuE3ELNS1_3repE0EEENS1_30default_config_static_selectorELNS0_4arch9wavefront6targetE1EEEvT1_,comdat
.Lfunc_end1814:
	.size	_ZN7rocprim17ROCPRIM_400000_NS6detail17trampoline_kernelINS0_14default_configENS1_25transform_config_selectorIfLb1EEEZNS1_14transform_implILb1ES3_S5_PfS7_NS0_8identityIfEEEE10hipError_tT2_T3_mT4_P12ihipStream_tbEUlT_E_NS1_11comp_targetILNS1_3genE9ELNS1_11target_archE1100ELNS1_3gpuE3ELNS1_3repE0EEENS1_30default_config_static_selectorELNS0_4arch9wavefront6targetE1EEEvT1_, .Lfunc_end1814-_ZN7rocprim17ROCPRIM_400000_NS6detail17trampoline_kernelINS0_14default_configENS1_25transform_config_selectorIfLb1EEEZNS1_14transform_implILb1ES3_S5_PfS7_NS0_8identityIfEEEE10hipError_tT2_T3_mT4_P12ihipStream_tbEUlT_E_NS1_11comp_targetILNS1_3genE9ELNS1_11target_archE1100ELNS1_3gpuE3ELNS1_3repE0EEENS1_30default_config_static_selectorELNS0_4arch9wavefront6targetE1EEEvT1_
                                        ; -- End function
	.section	.AMDGPU.csdata,"",@progbits
; Kernel info:
; codeLenInByte = 0
; NumSgprs: 4
; NumVgprs: 0
; NumAgprs: 0
; TotalNumVgprs: 0
; ScratchSize: 0
; MemoryBound: 0
; FloatMode: 240
; IeeeMode: 1
; LDSByteSize: 0 bytes/workgroup (compile time only)
; SGPRBlocks: 0
; VGPRBlocks: 0
; NumSGPRsForWavesPerEU: 4
; NumVGPRsForWavesPerEU: 1
; AccumOffset: 4
; Occupancy: 8
; WaveLimiterHint : 0
; COMPUTE_PGM_RSRC2:SCRATCH_EN: 0
; COMPUTE_PGM_RSRC2:USER_SGPR: 6
; COMPUTE_PGM_RSRC2:TRAP_HANDLER: 0
; COMPUTE_PGM_RSRC2:TGID_X_EN: 1
; COMPUTE_PGM_RSRC2:TGID_Y_EN: 0
; COMPUTE_PGM_RSRC2:TGID_Z_EN: 0
; COMPUTE_PGM_RSRC2:TIDIG_COMP_CNT: 0
; COMPUTE_PGM_RSRC3_GFX90A:ACCUM_OFFSET: 0
; COMPUTE_PGM_RSRC3_GFX90A:TG_SPLIT: 0
	.section	.text._ZN7rocprim17ROCPRIM_400000_NS6detail17trampoline_kernelINS0_14default_configENS1_25transform_config_selectorIfLb1EEEZNS1_14transform_implILb1ES3_S5_PfS7_NS0_8identityIfEEEE10hipError_tT2_T3_mT4_P12ihipStream_tbEUlT_E_NS1_11comp_targetILNS1_3genE8ELNS1_11target_archE1030ELNS1_3gpuE2ELNS1_3repE0EEENS1_30default_config_static_selectorELNS0_4arch9wavefront6targetE1EEEvT1_,"axG",@progbits,_ZN7rocprim17ROCPRIM_400000_NS6detail17trampoline_kernelINS0_14default_configENS1_25transform_config_selectorIfLb1EEEZNS1_14transform_implILb1ES3_S5_PfS7_NS0_8identityIfEEEE10hipError_tT2_T3_mT4_P12ihipStream_tbEUlT_E_NS1_11comp_targetILNS1_3genE8ELNS1_11target_archE1030ELNS1_3gpuE2ELNS1_3repE0EEENS1_30default_config_static_selectorELNS0_4arch9wavefront6targetE1EEEvT1_,comdat
	.protected	_ZN7rocprim17ROCPRIM_400000_NS6detail17trampoline_kernelINS0_14default_configENS1_25transform_config_selectorIfLb1EEEZNS1_14transform_implILb1ES3_S5_PfS7_NS0_8identityIfEEEE10hipError_tT2_T3_mT4_P12ihipStream_tbEUlT_E_NS1_11comp_targetILNS1_3genE8ELNS1_11target_archE1030ELNS1_3gpuE2ELNS1_3repE0EEENS1_30default_config_static_selectorELNS0_4arch9wavefront6targetE1EEEvT1_ ; -- Begin function _ZN7rocprim17ROCPRIM_400000_NS6detail17trampoline_kernelINS0_14default_configENS1_25transform_config_selectorIfLb1EEEZNS1_14transform_implILb1ES3_S5_PfS7_NS0_8identityIfEEEE10hipError_tT2_T3_mT4_P12ihipStream_tbEUlT_E_NS1_11comp_targetILNS1_3genE8ELNS1_11target_archE1030ELNS1_3gpuE2ELNS1_3repE0EEENS1_30default_config_static_selectorELNS0_4arch9wavefront6targetE1EEEvT1_
	.globl	_ZN7rocprim17ROCPRIM_400000_NS6detail17trampoline_kernelINS0_14default_configENS1_25transform_config_selectorIfLb1EEEZNS1_14transform_implILb1ES3_S5_PfS7_NS0_8identityIfEEEE10hipError_tT2_T3_mT4_P12ihipStream_tbEUlT_E_NS1_11comp_targetILNS1_3genE8ELNS1_11target_archE1030ELNS1_3gpuE2ELNS1_3repE0EEENS1_30default_config_static_selectorELNS0_4arch9wavefront6targetE1EEEvT1_
	.p2align	8
	.type	_ZN7rocprim17ROCPRIM_400000_NS6detail17trampoline_kernelINS0_14default_configENS1_25transform_config_selectorIfLb1EEEZNS1_14transform_implILb1ES3_S5_PfS7_NS0_8identityIfEEEE10hipError_tT2_T3_mT4_P12ihipStream_tbEUlT_E_NS1_11comp_targetILNS1_3genE8ELNS1_11target_archE1030ELNS1_3gpuE2ELNS1_3repE0EEENS1_30default_config_static_selectorELNS0_4arch9wavefront6targetE1EEEvT1_,@function
_ZN7rocprim17ROCPRIM_400000_NS6detail17trampoline_kernelINS0_14default_configENS1_25transform_config_selectorIfLb1EEEZNS1_14transform_implILb1ES3_S5_PfS7_NS0_8identityIfEEEE10hipError_tT2_T3_mT4_P12ihipStream_tbEUlT_E_NS1_11comp_targetILNS1_3genE8ELNS1_11target_archE1030ELNS1_3gpuE2ELNS1_3repE0EEENS1_30default_config_static_selectorELNS0_4arch9wavefront6targetE1EEEvT1_: ; @_ZN7rocprim17ROCPRIM_400000_NS6detail17trampoline_kernelINS0_14default_configENS1_25transform_config_selectorIfLb1EEEZNS1_14transform_implILb1ES3_S5_PfS7_NS0_8identityIfEEEE10hipError_tT2_T3_mT4_P12ihipStream_tbEUlT_E_NS1_11comp_targetILNS1_3genE8ELNS1_11target_archE1030ELNS1_3gpuE2ELNS1_3repE0EEENS1_30default_config_static_selectorELNS0_4arch9wavefront6targetE1EEEvT1_
; %bb.0:
	.section	.rodata,"a",@progbits
	.p2align	6, 0x0
	.amdhsa_kernel _ZN7rocprim17ROCPRIM_400000_NS6detail17trampoline_kernelINS0_14default_configENS1_25transform_config_selectorIfLb1EEEZNS1_14transform_implILb1ES3_S5_PfS7_NS0_8identityIfEEEE10hipError_tT2_T3_mT4_P12ihipStream_tbEUlT_E_NS1_11comp_targetILNS1_3genE8ELNS1_11target_archE1030ELNS1_3gpuE2ELNS1_3repE0EEENS1_30default_config_static_selectorELNS0_4arch9wavefront6targetE1EEEvT1_
		.amdhsa_group_segment_fixed_size 0
		.amdhsa_private_segment_fixed_size 0
		.amdhsa_kernarg_size 40
		.amdhsa_user_sgpr_count 6
		.amdhsa_user_sgpr_private_segment_buffer 1
		.amdhsa_user_sgpr_dispatch_ptr 0
		.amdhsa_user_sgpr_queue_ptr 0
		.amdhsa_user_sgpr_kernarg_segment_ptr 1
		.amdhsa_user_sgpr_dispatch_id 0
		.amdhsa_user_sgpr_flat_scratch_init 0
		.amdhsa_user_sgpr_kernarg_preload_length 0
		.amdhsa_user_sgpr_kernarg_preload_offset 0
		.amdhsa_user_sgpr_private_segment_size 0
		.amdhsa_uses_dynamic_stack 0
		.amdhsa_system_sgpr_private_segment_wavefront_offset 0
		.amdhsa_system_sgpr_workgroup_id_x 1
		.amdhsa_system_sgpr_workgroup_id_y 0
		.amdhsa_system_sgpr_workgroup_id_z 0
		.amdhsa_system_sgpr_workgroup_info 0
		.amdhsa_system_vgpr_workitem_id 0
		.amdhsa_next_free_vgpr 1
		.amdhsa_next_free_sgpr 0
		.amdhsa_accum_offset 4
		.amdhsa_reserve_vcc 0
		.amdhsa_reserve_flat_scratch 0
		.amdhsa_float_round_mode_32 0
		.amdhsa_float_round_mode_16_64 0
		.amdhsa_float_denorm_mode_32 3
		.amdhsa_float_denorm_mode_16_64 3
		.amdhsa_dx10_clamp 1
		.amdhsa_ieee_mode 1
		.amdhsa_fp16_overflow 0
		.amdhsa_tg_split 0
		.amdhsa_exception_fp_ieee_invalid_op 0
		.amdhsa_exception_fp_denorm_src 0
		.amdhsa_exception_fp_ieee_div_zero 0
		.amdhsa_exception_fp_ieee_overflow 0
		.amdhsa_exception_fp_ieee_underflow 0
		.amdhsa_exception_fp_ieee_inexact 0
		.amdhsa_exception_int_div_zero 0
	.end_amdhsa_kernel
	.section	.text._ZN7rocprim17ROCPRIM_400000_NS6detail17trampoline_kernelINS0_14default_configENS1_25transform_config_selectorIfLb1EEEZNS1_14transform_implILb1ES3_S5_PfS7_NS0_8identityIfEEEE10hipError_tT2_T3_mT4_P12ihipStream_tbEUlT_E_NS1_11comp_targetILNS1_3genE8ELNS1_11target_archE1030ELNS1_3gpuE2ELNS1_3repE0EEENS1_30default_config_static_selectorELNS0_4arch9wavefront6targetE1EEEvT1_,"axG",@progbits,_ZN7rocprim17ROCPRIM_400000_NS6detail17trampoline_kernelINS0_14default_configENS1_25transform_config_selectorIfLb1EEEZNS1_14transform_implILb1ES3_S5_PfS7_NS0_8identityIfEEEE10hipError_tT2_T3_mT4_P12ihipStream_tbEUlT_E_NS1_11comp_targetILNS1_3genE8ELNS1_11target_archE1030ELNS1_3gpuE2ELNS1_3repE0EEENS1_30default_config_static_selectorELNS0_4arch9wavefront6targetE1EEEvT1_,comdat
.Lfunc_end1815:
	.size	_ZN7rocprim17ROCPRIM_400000_NS6detail17trampoline_kernelINS0_14default_configENS1_25transform_config_selectorIfLb1EEEZNS1_14transform_implILb1ES3_S5_PfS7_NS0_8identityIfEEEE10hipError_tT2_T3_mT4_P12ihipStream_tbEUlT_E_NS1_11comp_targetILNS1_3genE8ELNS1_11target_archE1030ELNS1_3gpuE2ELNS1_3repE0EEENS1_30default_config_static_selectorELNS0_4arch9wavefront6targetE1EEEvT1_, .Lfunc_end1815-_ZN7rocprim17ROCPRIM_400000_NS6detail17trampoline_kernelINS0_14default_configENS1_25transform_config_selectorIfLb1EEEZNS1_14transform_implILb1ES3_S5_PfS7_NS0_8identityIfEEEE10hipError_tT2_T3_mT4_P12ihipStream_tbEUlT_E_NS1_11comp_targetILNS1_3genE8ELNS1_11target_archE1030ELNS1_3gpuE2ELNS1_3repE0EEENS1_30default_config_static_selectorELNS0_4arch9wavefront6targetE1EEEvT1_
                                        ; -- End function
	.section	.AMDGPU.csdata,"",@progbits
; Kernel info:
; codeLenInByte = 0
; NumSgprs: 4
; NumVgprs: 0
; NumAgprs: 0
; TotalNumVgprs: 0
; ScratchSize: 0
; MemoryBound: 0
; FloatMode: 240
; IeeeMode: 1
; LDSByteSize: 0 bytes/workgroup (compile time only)
; SGPRBlocks: 0
; VGPRBlocks: 0
; NumSGPRsForWavesPerEU: 4
; NumVGPRsForWavesPerEU: 1
; AccumOffset: 4
; Occupancy: 8
; WaveLimiterHint : 0
; COMPUTE_PGM_RSRC2:SCRATCH_EN: 0
; COMPUTE_PGM_RSRC2:USER_SGPR: 6
; COMPUTE_PGM_RSRC2:TRAP_HANDLER: 0
; COMPUTE_PGM_RSRC2:TGID_X_EN: 1
; COMPUTE_PGM_RSRC2:TGID_Y_EN: 0
; COMPUTE_PGM_RSRC2:TGID_Z_EN: 0
; COMPUTE_PGM_RSRC2:TIDIG_COMP_CNT: 0
; COMPUTE_PGM_RSRC3_GFX90A:ACCUM_OFFSET: 0
; COMPUTE_PGM_RSRC3_GFX90A:TG_SPLIT: 0
	.section	.text._ZN7rocprim17ROCPRIM_400000_NS6detail17trampoline_kernelINS0_14default_configENS1_35radix_sort_onesweep_config_selectorIflEEZNS1_34radix_sort_onesweep_global_offsetsIS3_Lb0EPfN6thrust23THRUST_200600_302600_NS10device_ptrIlEEjNS0_19identity_decomposerEEE10hipError_tT1_T2_PT3_SG_jT4_jjP12ihipStream_tbEUlT_E_NS1_11comp_targetILNS1_3genE0ELNS1_11target_archE4294967295ELNS1_3gpuE0ELNS1_3repE0EEENS1_52radix_sort_onesweep_histogram_config_static_selectorELNS0_4arch9wavefront6targetE1EEEvSE_,"axG",@progbits,_ZN7rocprim17ROCPRIM_400000_NS6detail17trampoline_kernelINS0_14default_configENS1_35radix_sort_onesweep_config_selectorIflEEZNS1_34radix_sort_onesweep_global_offsetsIS3_Lb0EPfN6thrust23THRUST_200600_302600_NS10device_ptrIlEEjNS0_19identity_decomposerEEE10hipError_tT1_T2_PT3_SG_jT4_jjP12ihipStream_tbEUlT_E_NS1_11comp_targetILNS1_3genE0ELNS1_11target_archE4294967295ELNS1_3gpuE0ELNS1_3repE0EEENS1_52radix_sort_onesweep_histogram_config_static_selectorELNS0_4arch9wavefront6targetE1EEEvSE_,comdat
	.protected	_ZN7rocprim17ROCPRIM_400000_NS6detail17trampoline_kernelINS0_14default_configENS1_35radix_sort_onesweep_config_selectorIflEEZNS1_34radix_sort_onesweep_global_offsetsIS3_Lb0EPfN6thrust23THRUST_200600_302600_NS10device_ptrIlEEjNS0_19identity_decomposerEEE10hipError_tT1_T2_PT3_SG_jT4_jjP12ihipStream_tbEUlT_E_NS1_11comp_targetILNS1_3genE0ELNS1_11target_archE4294967295ELNS1_3gpuE0ELNS1_3repE0EEENS1_52radix_sort_onesweep_histogram_config_static_selectorELNS0_4arch9wavefront6targetE1EEEvSE_ ; -- Begin function _ZN7rocprim17ROCPRIM_400000_NS6detail17trampoline_kernelINS0_14default_configENS1_35radix_sort_onesweep_config_selectorIflEEZNS1_34radix_sort_onesweep_global_offsetsIS3_Lb0EPfN6thrust23THRUST_200600_302600_NS10device_ptrIlEEjNS0_19identity_decomposerEEE10hipError_tT1_T2_PT3_SG_jT4_jjP12ihipStream_tbEUlT_E_NS1_11comp_targetILNS1_3genE0ELNS1_11target_archE4294967295ELNS1_3gpuE0ELNS1_3repE0EEENS1_52radix_sort_onesweep_histogram_config_static_selectorELNS0_4arch9wavefront6targetE1EEEvSE_
	.globl	_ZN7rocprim17ROCPRIM_400000_NS6detail17trampoline_kernelINS0_14default_configENS1_35radix_sort_onesweep_config_selectorIflEEZNS1_34radix_sort_onesweep_global_offsetsIS3_Lb0EPfN6thrust23THRUST_200600_302600_NS10device_ptrIlEEjNS0_19identity_decomposerEEE10hipError_tT1_T2_PT3_SG_jT4_jjP12ihipStream_tbEUlT_E_NS1_11comp_targetILNS1_3genE0ELNS1_11target_archE4294967295ELNS1_3gpuE0ELNS1_3repE0EEENS1_52radix_sort_onesweep_histogram_config_static_selectorELNS0_4arch9wavefront6targetE1EEEvSE_
	.p2align	8
	.type	_ZN7rocprim17ROCPRIM_400000_NS6detail17trampoline_kernelINS0_14default_configENS1_35radix_sort_onesweep_config_selectorIflEEZNS1_34radix_sort_onesweep_global_offsetsIS3_Lb0EPfN6thrust23THRUST_200600_302600_NS10device_ptrIlEEjNS0_19identity_decomposerEEE10hipError_tT1_T2_PT3_SG_jT4_jjP12ihipStream_tbEUlT_E_NS1_11comp_targetILNS1_3genE0ELNS1_11target_archE4294967295ELNS1_3gpuE0ELNS1_3repE0EEENS1_52radix_sort_onesweep_histogram_config_static_selectorELNS0_4arch9wavefront6targetE1EEEvSE_,@function
_ZN7rocprim17ROCPRIM_400000_NS6detail17trampoline_kernelINS0_14default_configENS1_35radix_sort_onesweep_config_selectorIflEEZNS1_34radix_sort_onesweep_global_offsetsIS3_Lb0EPfN6thrust23THRUST_200600_302600_NS10device_ptrIlEEjNS0_19identity_decomposerEEE10hipError_tT1_T2_PT3_SG_jT4_jjP12ihipStream_tbEUlT_E_NS1_11comp_targetILNS1_3genE0ELNS1_11target_archE4294967295ELNS1_3gpuE0ELNS1_3repE0EEENS1_52radix_sort_onesweep_histogram_config_static_selectorELNS0_4arch9wavefront6targetE1EEEvSE_: ; @_ZN7rocprim17ROCPRIM_400000_NS6detail17trampoline_kernelINS0_14default_configENS1_35radix_sort_onesweep_config_selectorIflEEZNS1_34radix_sort_onesweep_global_offsetsIS3_Lb0EPfN6thrust23THRUST_200600_302600_NS10device_ptrIlEEjNS0_19identity_decomposerEEE10hipError_tT1_T2_PT3_SG_jT4_jjP12ihipStream_tbEUlT_E_NS1_11comp_targetILNS1_3genE0ELNS1_11target_archE4294967295ELNS1_3gpuE0ELNS1_3repE0EEENS1_52radix_sort_onesweep_histogram_config_static_selectorELNS0_4arch9wavefront6targetE1EEEvSE_
; %bb.0:
	.section	.rodata,"a",@progbits
	.p2align	6, 0x0
	.amdhsa_kernel _ZN7rocprim17ROCPRIM_400000_NS6detail17trampoline_kernelINS0_14default_configENS1_35radix_sort_onesweep_config_selectorIflEEZNS1_34radix_sort_onesweep_global_offsetsIS3_Lb0EPfN6thrust23THRUST_200600_302600_NS10device_ptrIlEEjNS0_19identity_decomposerEEE10hipError_tT1_T2_PT3_SG_jT4_jjP12ihipStream_tbEUlT_E_NS1_11comp_targetILNS1_3genE0ELNS1_11target_archE4294967295ELNS1_3gpuE0ELNS1_3repE0EEENS1_52radix_sort_onesweep_histogram_config_static_selectorELNS0_4arch9wavefront6targetE1EEEvSE_
		.amdhsa_group_segment_fixed_size 0
		.amdhsa_private_segment_fixed_size 0
		.amdhsa_kernarg_size 40
		.amdhsa_user_sgpr_count 6
		.amdhsa_user_sgpr_private_segment_buffer 1
		.amdhsa_user_sgpr_dispatch_ptr 0
		.amdhsa_user_sgpr_queue_ptr 0
		.amdhsa_user_sgpr_kernarg_segment_ptr 1
		.amdhsa_user_sgpr_dispatch_id 0
		.amdhsa_user_sgpr_flat_scratch_init 0
		.amdhsa_user_sgpr_kernarg_preload_length 0
		.amdhsa_user_sgpr_kernarg_preload_offset 0
		.amdhsa_user_sgpr_private_segment_size 0
		.amdhsa_uses_dynamic_stack 0
		.amdhsa_system_sgpr_private_segment_wavefront_offset 0
		.amdhsa_system_sgpr_workgroup_id_x 1
		.amdhsa_system_sgpr_workgroup_id_y 0
		.amdhsa_system_sgpr_workgroup_id_z 0
		.amdhsa_system_sgpr_workgroup_info 0
		.amdhsa_system_vgpr_workitem_id 0
		.amdhsa_next_free_vgpr 1
		.amdhsa_next_free_sgpr 0
		.amdhsa_accum_offset 4
		.amdhsa_reserve_vcc 0
		.amdhsa_reserve_flat_scratch 0
		.amdhsa_float_round_mode_32 0
		.amdhsa_float_round_mode_16_64 0
		.amdhsa_float_denorm_mode_32 3
		.amdhsa_float_denorm_mode_16_64 3
		.amdhsa_dx10_clamp 1
		.amdhsa_ieee_mode 1
		.amdhsa_fp16_overflow 0
		.amdhsa_tg_split 0
		.amdhsa_exception_fp_ieee_invalid_op 0
		.amdhsa_exception_fp_denorm_src 0
		.amdhsa_exception_fp_ieee_div_zero 0
		.amdhsa_exception_fp_ieee_overflow 0
		.amdhsa_exception_fp_ieee_underflow 0
		.amdhsa_exception_fp_ieee_inexact 0
		.amdhsa_exception_int_div_zero 0
	.end_amdhsa_kernel
	.section	.text._ZN7rocprim17ROCPRIM_400000_NS6detail17trampoline_kernelINS0_14default_configENS1_35radix_sort_onesweep_config_selectorIflEEZNS1_34radix_sort_onesweep_global_offsetsIS3_Lb0EPfN6thrust23THRUST_200600_302600_NS10device_ptrIlEEjNS0_19identity_decomposerEEE10hipError_tT1_T2_PT3_SG_jT4_jjP12ihipStream_tbEUlT_E_NS1_11comp_targetILNS1_3genE0ELNS1_11target_archE4294967295ELNS1_3gpuE0ELNS1_3repE0EEENS1_52radix_sort_onesweep_histogram_config_static_selectorELNS0_4arch9wavefront6targetE1EEEvSE_,"axG",@progbits,_ZN7rocprim17ROCPRIM_400000_NS6detail17trampoline_kernelINS0_14default_configENS1_35radix_sort_onesweep_config_selectorIflEEZNS1_34radix_sort_onesweep_global_offsetsIS3_Lb0EPfN6thrust23THRUST_200600_302600_NS10device_ptrIlEEjNS0_19identity_decomposerEEE10hipError_tT1_T2_PT3_SG_jT4_jjP12ihipStream_tbEUlT_E_NS1_11comp_targetILNS1_3genE0ELNS1_11target_archE4294967295ELNS1_3gpuE0ELNS1_3repE0EEENS1_52radix_sort_onesweep_histogram_config_static_selectorELNS0_4arch9wavefront6targetE1EEEvSE_,comdat
.Lfunc_end1816:
	.size	_ZN7rocprim17ROCPRIM_400000_NS6detail17trampoline_kernelINS0_14default_configENS1_35radix_sort_onesweep_config_selectorIflEEZNS1_34radix_sort_onesweep_global_offsetsIS3_Lb0EPfN6thrust23THRUST_200600_302600_NS10device_ptrIlEEjNS0_19identity_decomposerEEE10hipError_tT1_T2_PT3_SG_jT4_jjP12ihipStream_tbEUlT_E_NS1_11comp_targetILNS1_3genE0ELNS1_11target_archE4294967295ELNS1_3gpuE0ELNS1_3repE0EEENS1_52radix_sort_onesweep_histogram_config_static_selectorELNS0_4arch9wavefront6targetE1EEEvSE_, .Lfunc_end1816-_ZN7rocprim17ROCPRIM_400000_NS6detail17trampoline_kernelINS0_14default_configENS1_35radix_sort_onesweep_config_selectorIflEEZNS1_34radix_sort_onesweep_global_offsetsIS3_Lb0EPfN6thrust23THRUST_200600_302600_NS10device_ptrIlEEjNS0_19identity_decomposerEEE10hipError_tT1_T2_PT3_SG_jT4_jjP12ihipStream_tbEUlT_E_NS1_11comp_targetILNS1_3genE0ELNS1_11target_archE4294967295ELNS1_3gpuE0ELNS1_3repE0EEENS1_52radix_sort_onesweep_histogram_config_static_selectorELNS0_4arch9wavefront6targetE1EEEvSE_
                                        ; -- End function
	.section	.AMDGPU.csdata,"",@progbits
; Kernel info:
; codeLenInByte = 0
; NumSgprs: 4
; NumVgprs: 0
; NumAgprs: 0
; TotalNumVgprs: 0
; ScratchSize: 0
; MemoryBound: 0
; FloatMode: 240
; IeeeMode: 1
; LDSByteSize: 0 bytes/workgroup (compile time only)
; SGPRBlocks: 0
; VGPRBlocks: 0
; NumSGPRsForWavesPerEU: 4
; NumVGPRsForWavesPerEU: 1
; AccumOffset: 4
; Occupancy: 8
; WaveLimiterHint : 0
; COMPUTE_PGM_RSRC2:SCRATCH_EN: 0
; COMPUTE_PGM_RSRC2:USER_SGPR: 6
; COMPUTE_PGM_RSRC2:TRAP_HANDLER: 0
; COMPUTE_PGM_RSRC2:TGID_X_EN: 1
; COMPUTE_PGM_RSRC2:TGID_Y_EN: 0
; COMPUTE_PGM_RSRC2:TGID_Z_EN: 0
; COMPUTE_PGM_RSRC2:TIDIG_COMP_CNT: 0
; COMPUTE_PGM_RSRC3_GFX90A:ACCUM_OFFSET: 0
; COMPUTE_PGM_RSRC3_GFX90A:TG_SPLIT: 0
	.section	.text._ZN7rocprim17ROCPRIM_400000_NS6detail17trampoline_kernelINS0_14default_configENS1_35radix_sort_onesweep_config_selectorIflEEZNS1_34radix_sort_onesweep_global_offsetsIS3_Lb0EPfN6thrust23THRUST_200600_302600_NS10device_ptrIlEEjNS0_19identity_decomposerEEE10hipError_tT1_T2_PT3_SG_jT4_jjP12ihipStream_tbEUlT_E_NS1_11comp_targetILNS1_3genE6ELNS1_11target_archE950ELNS1_3gpuE13ELNS1_3repE0EEENS1_52radix_sort_onesweep_histogram_config_static_selectorELNS0_4arch9wavefront6targetE1EEEvSE_,"axG",@progbits,_ZN7rocprim17ROCPRIM_400000_NS6detail17trampoline_kernelINS0_14default_configENS1_35radix_sort_onesweep_config_selectorIflEEZNS1_34radix_sort_onesweep_global_offsetsIS3_Lb0EPfN6thrust23THRUST_200600_302600_NS10device_ptrIlEEjNS0_19identity_decomposerEEE10hipError_tT1_T2_PT3_SG_jT4_jjP12ihipStream_tbEUlT_E_NS1_11comp_targetILNS1_3genE6ELNS1_11target_archE950ELNS1_3gpuE13ELNS1_3repE0EEENS1_52radix_sort_onesweep_histogram_config_static_selectorELNS0_4arch9wavefront6targetE1EEEvSE_,comdat
	.protected	_ZN7rocprim17ROCPRIM_400000_NS6detail17trampoline_kernelINS0_14default_configENS1_35radix_sort_onesweep_config_selectorIflEEZNS1_34radix_sort_onesweep_global_offsetsIS3_Lb0EPfN6thrust23THRUST_200600_302600_NS10device_ptrIlEEjNS0_19identity_decomposerEEE10hipError_tT1_T2_PT3_SG_jT4_jjP12ihipStream_tbEUlT_E_NS1_11comp_targetILNS1_3genE6ELNS1_11target_archE950ELNS1_3gpuE13ELNS1_3repE0EEENS1_52radix_sort_onesweep_histogram_config_static_selectorELNS0_4arch9wavefront6targetE1EEEvSE_ ; -- Begin function _ZN7rocprim17ROCPRIM_400000_NS6detail17trampoline_kernelINS0_14default_configENS1_35radix_sort_onesweep_config_selectorIflEEZNS1_34radix_sort_onesweep_global_offsetsIS3_Lb0EPfN6thrust23THRUST_200600_302600_NS10device_ptrIlEEjNS0_19identity_decomposerEEE10hipError_tT1_T2_PT3_SG_jT4_jjP12ihipStream_tbEUlT_E_NS1_11comp_targetILNS1_3genE6ELNS1_11target_archE950ELNS1_3gpuE13ELNS1_3repE0EEENS1_52radix_sort_onesweep_histogram_config_static_selectorELNS0_4arch9wavefront6targetE1EEEvSE_
	.globl	_ZN7rocprim17ROCPRIM_400000_NS6detail17trampoline_kernelINS0_14default_configENS1_35radix_sort_onesweep_config_selectorIflEEZNS1_34radix_sort_onesweep_global_offsetsIS3_Lb0EPfN6thrust23THRUST_200600_302600_NS10device_ptrIlEEjNS0_19identity_decomposerEEE10hipError_tT1_T2_PT3_SG_jT4_jjP12ihipStream_tbEUlT_E_NS1_11comp_targetILNS1_3genE6ELNS1_11target_archE950ELNS1_3gpuE13ELNS1_3repE0EEENS1_52radix_sort_onesweep_histogram_config_static_selectorELNS0_4arch9wavefront6targetE1EEEvSE_
	.p2align	8
	.type	_ZN7rocprim17ROCPRIM_400000_NS6detail17trampoline_kernelINS0_14default_configENS1_35radix_sort_onesweep_config_selectorIflEEZNS1_34radix_sort_onesweep_global_offsetsIS3_Lb0EPfN6thrust23THRUST_200600_302600_NS10device_ptrIlEEjNS0_19identity_decomposerEEE10hipError_tT1_T2_PT3_SG_jT4_jjP12ihipStream_tbEUlT_E_NS1_11comp_targetILNS1_3genE6ELNS1_11target_archE950ELNS1_3gpuE13ELNS1_3repE0EEENS1_52radix_sort_onesweep_histogram_config_static_selectorELNS0_4arch9wavefront6targetE1EEEvSE_,@function
_ZN7rocprim17ROCPRIM_400000_NS6detail17trampoline_kernelINS0_14default_configENS1_35radix_sort_onesweep_config_selectorIflEEZNS1_34radix_sort_onesweep_global_offsetsIS3_Lb0EPfN6thrust23THRUST_200600_302600_NS10device_ptrIlEEjNS0_19identity_decomposerEEE10hipError_tT1_T2_PT3_SG_jT4_jjP12ihipStream_tbEUlT_E_NS1_11comp_targetILNS1_3genE6ELNS1_11target_archE950ELNS1_3gpuE13ELNS1_3repE0EEENS1_52radix_sort_onesweep_histogram_config_static_selectorELNS0_4arch9wavefront6targetE1EEEvSE_: ; @_ZN7rocprim17ROCPRIM_400000_NS6detail17trampoline_kernelINS0_14default_configENS1_35radix_sort_onesweep_config_selectorIflEEZNS1_34radix_sort_onesweep_global_offsetsIS3_Lb0EPfN6thrust23THRUST_200600_302600_NS10device_ptrIlEEjNS0_19identity_decomposerEEE10hipError_tT1_T2_PT3_SG_jT4_jjP12ihipStream_tbEUlT_E_NS1_11comp_targetILNS1_3genE6ELNS1_11target_archE950ELNS1_3gpuE13ELNS1_3repE0EEENS1_52radix_sort_onesweep_histogram_config_static_selectorELNS0_4arch9wavefront6targetE1EEEvSE_
; %bb.0:
	.section	.rodata,"a",@progbits
	.p2align	6, 0x0
	.amdhsa_kernel _ZN7rocprim17ROCPRIM_400000_NS6detail17trampoline_kernelINS0_14default_configENS1_35radix_sort_onesweep_config_selectorIflEEZNS1_34radix_sort_onesweep_global_offsetsIS3_Lb0EPfN6thrust23THRUST_200600_302600_NS10device_ptrIlEEjNS0_19identity_decomposerEEE10hipError_tT1_T2_PT3_SG_jT4_jjP12ihipStream_tbEUlT_E_NS1_11comp_targetILNS1_3genE6ELNS1_11target_archE950ELNS1_3gpuE13ELNS1_3repE0EEENS1_52radix_sort_onesweep_histogram_config_static_selectorELNS0_4arch9wavefront6targetE1EEEvSE_
		.amdhsa_group_segment_fixed_size 0
		.amdhsa_private_segment_fixed_size 0
		.amdhsa_kernarg_size 40
		.amdhsa_user_sgpr_count 6
		.amdhsa_user_sgpr_private_segment_buffer 1
		.amdhsa_user_sgpr_dispatch_ptr 0
		.amdhsa_user_sgpr_queue_ptr 0
		.amdhsa_user_sgpr_kernarg_segment_ptr 1
		.amdhsa_user_sgpr_dispatch_id 0
		.amdhsa_user_sgpr_flat_scratch_init 0
		.amdhsa_user_sgpr_kernarg_preload_length 0
		.amdhsa_user_sgpr_kernarg_preload_offset 0
		.amdhsa_user_sgpr_private_segment_size 0
		.amdhsa_uses_dynamic_stack 0
		.amdhsa_system_sgpr_private_segment_wavefront_offset 0
		.amdhsa_system_sgpr_workgroup_id_x 1
		.amdhsa_system_sgpr_workgroup_id_y 0
		.amdhsa_system_sgpr_workgroup_id_z 0
		.amdhsa_system_sgpr_workgroup_info 0
		.amdhsa_system_vgpr_workitem_id 0
		.amdhsa_next_free_vgpr 1
		.amdhsa_next_free_sgpr 0
		.amdhsa_accum_offset 4
		.amdhsa_reserve_vcc 0
		.amdhsa_reserve_flat_scratch 0
		.amdhsa_float_round_mode_32 0
		.amdhsa_float_round_mode_16_64 0
		.amdhsa_float_denorm_mode_32 3
		.amdhsa_float_denorm_mode_16_64 3
		.amdhsa_dx10_clamp 1
		.amdhsa_ieee_mode 1
		.amdhsa_fp16_overflow 0
		.amdhsa_tg_split 0
		.amdhsa_exception_fp_ieee_invalid_op 0
		.amdhsa_exception_fp_denorm_src 0
		.amdhsa_exception_fp_ieee_div_zero 0
		.amdhsa_exception_fp_ieee_overflow 0
		.amdhsa_exception_fp_ieee_underflow 0
		.amdhsa_exception_fp_ieee_inexact 0
		.amdhsa_exception_int_div_zero 0
	.end_amdhsa_kernel
	.section	.text._ZN7rocprim17ROCPRIM_400000_NS6detail17trampoline_kernelINS0_14default_configENS1_35radix_sort_onesweep_config_selectorIflEEZNS1_34radix_sort_onesweep_global_offsetsIS3_Lb0EPfN6thrust23THRUST_200600_302600_NS10device_ptrIlEEjNS0_19identity_decomposerEEE10hipError_tT1_T2_PT3_SG_jT4_jjP12ihipStream_tbEUlT_E_NS1_11comp_targetILNS1_3genE6ELNS1_11target_archE950ELNS1_3gpuE13ELNS1_3repE0EEENS1_52radix_sort_onesweep_histogram_config_static_selectorELNS0_4arch9wavefront6targetE1EEEvSE_,"axG",@progbits,_ZN7rocprim17ROCPRIM_400000_NS6detail17trampoline_kernelINS0_14default_configENS1_35radix_sort_onesweep_config_selectorIflEEZNS1_34radix_sort_onesweep_global_offsetsIS3_Lb0EPfN6thrust23THRUST_200600_302600_NS10device_ptrIlEEjNS0_19identity_decomposerEEE10hipError_tT1_T2_PT3_SG_jT4_jjP12ihipStream_tbEUlT_E_NS1_11comp_targetILNS1_3genE6ELNS1_11target_archE950ELNS1_3gpuE13ELNS1_3repE0EEENS1_52radix_sort_onesweep_histogram_config_static_selectorELNS0_4arch9wavefront6targetE1EEEvSE_,comdat
.Lfunc_end1817:
	.size	_ZN7rocprim17ROCPRIM_400000_NS6detail17trampoline_kernelINS0_14default_configENS1_35radix_sort_onesweep_config_selectorIflEEZNS1_34radix_sort_onesweep_global_offsetsIS3_Lb0EPfN6thrust23THRUST_200600_302600_NS10device_ptrIlEEjNS0_19identity_decomposerEEE10hipError_tT1_T2_PT3_SG_jT4_jjP12ihipStream_tbEUlT_E_NS1_11comp_targetILNS1_3genE6ELNS1_11target_archE950ELNS1_3gpuE13ELNS1_3repE0EEENS1_52radix_sort_onesweep_histogram_config_static_selectorELNS0_4arch9wavefront6targetE1EEEvSE_, .Lfunc_end1817-_ZN7rocprim17ROCPRIM_400000_NS6detail17trampoline_kernelINS0_14default_configENS1_35radix_sort_onesweep_config_selectorIflEEZNS1_34radix_sort_onesweep_global_offsetsIS3_Lb0EPfN6thrust23THRUST_200600_302600_NS10device_ptrIlEEjNS0_19identity_decomposerEEE10hipError_tT1_T2_PT3_SG_jT4_jjP12ihipStream_tbEUlT_E_NS1_11comp_targetILNS1_3genE6ELNS1_11target_archE950ELNS1_3gpuE13ELNS1_3repE0EEENS1_52radix_sort_onesweep_histogram_config_static_selectorELNS0_4arch9wavefront6targetE1EEEvSE_
                                        ; -- End function
	.section	.AMDGPU.csdata,"",@progbits
; Kernel info:
; codeLenInByte = 0
; NumSgprs: 4
; NumVgprs: 0
; NumAgprs: 0
; TotalNumVgprs: 0
; ScratchSize: 0
; MemoryBound: 0
; FloatMode: 240
; IeeeMode: 1
; LDSByteSize: 0 bytes/workgroup (compile time only)
; SGPRBlocks: 0
; VGPRBlocks: 0
; NumSGPRsForWavesPerEU: 4
; NumVGPRsForWavesPerEU: 1
; AccumOffset: 4
; Occupancy: 8
; WaveLimiterHint : 0
; COMPUTE_PGM_RSRC2:SCRATCH_EN: 0
; COMPUTE_PGM_RSRC2:USER_SGPR: 6
; COMPUTE_PGM_RSRC2:TRAP_HANDLER: 0
; COMPUTE_PGM_RSRC2:TGID_X_EN: 1
; COMPUTE_PGM_RSRC2:TGID_Y_EN: 0
; COMPUTE_PGM_RSRC2:TGID_Z_EN: 0
; COMPUTE_PGM_RSRC2:TIDIG_COMP_CNT: 0
; COMPUTE_PGM_RSRC3_GFX90A:ACCUM_OFFSET: 0
; COMPUTE_PGM_RSRC3_GFX90A:TG_SPLIT: 0
	.section	.text._ZN7rocprim17ROCPRIM_400000_NS6detail17trampoline_kernelINS0_14default_configENS1_35radix_sort_onesweep_config_selectorIflEEZNS1_34radix_sort_onesweep_global_offsetsIS3_Lb0EPfN6thrust23THRUST_200600_302600_NS10device_ptrIlEEjNS0_19identity_decomposerEEE10hipError_tT1_T2_PT3_SG_jT4_jjP12ihipStream_tbEUlT_E_NS1_11comp_targetILNS1_3genE5ELNS1_11target_archE942ELNS1_3gpuE9ELNS1_3repE0EEENS1_52radix_sort_onesweep_histogram_config_static_selectorELNS0_4arch9wavefront6targetE1EEEvSE_,"axG",@progbits,_ZN7rocprim17ROCPRIM_400000_NS6detail17trampoline_kernelINS0_14default_configENS1_35radix_sort_onesweep_config_selectorIflEEZNS1_34radix_sort_onesweep_global_offsetsIS3_Lb0EPfN6thrust23THRUST_200600_302600_NS10device_ptrIlEEjNS0_19identity_decomposerEEE10hipError_tT1_T2_PT3_SG_jT4_jjP12ihipStream_tbEUlT_E_NS1_11comp_targetILNS1_3genE5ELNS1_11target_archE942ELNS1_3gpuE9ELNS1_3repE0EEENS1_52radix_sort_onesweep_histogram_config_static_selectorELNS0_4arch9wavefront6targetE1EEEvSE_,comdat
	.protected	_ZN7rocprim17ROCPRIM_400000_NS6detail17trampoline_kernelINS0_14default_configENS1_35radix_sort_onesweep_config_selectorIflEEZNS1_34radix_sort_onesweep_global_offsetsIS3_Lb0EPfN6thrust23THRUST_200600_302600_NS10device_ptrIlEEjNS0_19identity_decomposerEEE10hipError_tT1_T2_PT3_SG_jT4_jjP12ihipStream_tbEUlT_E_NS1_11comp_targetILNS1_3genE5ELNS1_11target_archE942ELNS1_3gpuE9ELNS1_3repE0EEENS1_52radix_sort_onesweep_histogram_config_static_selectorELNS0_4arch9wavefront6targetE1EEEvSE_ ; -- Begin function _ZN7rocprim17ROCPRIM_400000_NS6detail17trampoline_kernelINS0_14default_configENS1_35radix_sort_onesweep_config_selectorIflEEZNS1_34radix_sort_onesweep_global_offsetsIS3_Lb0EPfN6thrust23THRUST_200600_302600_NS10device_ptrIlEEjNS0_19identity_decomposerEEE10hipError_tT1_T2_PT3_SG_jT4_jjP12ihipStream_tbEUlT_E_NS1_11comp_targetILNS1_3genE5ELNS1_11target_archE942ELNS1_3gpuE9ELNS1_3repE0EEENS1_52radix_sort_onesweep_histogram_config_static_selectorELNS0_4arch9wavefront6targetE1EEEvSE_
	.globl	_ZN7rocprim17ROCPRIM_400000_NS6detail17trampoline_kernelINS0_14default_configENS1_35radix_sort_onesweep_config_selectorIflEEZNS1_34radix_sort_onesweep_global_offsetsIS3_Lb0EPfN6thrust23THRUST_200600_302600_NS10device_ptrIlEEjNS0_19identity_decomposerEEE10hipError_tT1_T2_PT3_SG_jT4_jjP12ihipStream_tbEUlT_E_NS1_11comp_targetILNS1_3genE5ELNS1_11target_archE942ELNS1_3gpuE9ELNS1_3repE0EEENS1_52radix_sort_onesweep_histogram_config_static_selectorELNS0_4arch9wavefront6targetE1EEEvSE_
	.p2align	8
	.type	_ZN7rocprim17ROCPRIM_400000_NS6detail17trampoline_kernelINS0_14default_configENS1_35radix_sort_onesweep_config_selectorIflEEZNS1_34radix_sort_onesweep_global_offsetsIS3_Lb0EPfN6thrust23THRUST_200600_302600_NS10device_ptrIlEEjNS0_19identity_decomposerEEE10hipError_tT1_T2_PT3_SG_jT4_jjP12ihipStream_tbEUlT_E_NS1_11comp_targetILNS1_3genE5ELNS1_11target_archE942ELNS1_3gpuE9ELNS1_3repE0EEENS1_52radix_sort_onesweep_histogram_config_static_selectorELNS0_4arch9wavefront6targetE1EEEvSE_,@function
_ZN7rocprim17ROCPRIM_400000_NS6detail17trampoline_kernelINS0_14default_configENS1_35radix_sort_onesweep_config_selectorIflEEZNS1_34radix_sort_onesweep_global_offsetsIS3_Lb0EPfN6thrust23THRUST_200600_302600_NS10device_ptrIlEEjNS0_19identity_decomposerEEE10hipError_tT1_T2_PT3_SG_jT4_jjP12ihipStream_tbEUlT_E_NS1_11comp_targetILNS1_3genE5ELNS1_11target_archE942ELNS1_3gpuE9ELNS1_3repE0EEENS1_52radix_sort_onesweep_histogram_config_static_selectorELNS0_4arch9wavefront6targetE1EEEvSE_: ; @_ZN7rocprim17ROCPRIM_400000_NS6detail17trampoline_kernelINS0_14default_configENS1_35radix_sort_onesweep_config_selectorIflEEZNS1_34radix_sort_onesweep_global_offsetsIS3_Lb0EPfN6thrust23THRUST_200600_302600_NS10device_ptrIlEEjNS0_19identity_decomposerEEE10hipError_tT1_T2_PT3_SG_jT4_jjP12ihipStream_tbEUlT_E_NS1_11comp_targetILNS1_3genE5ELNS1_11target_archE942ELNS1_3gpuE9ELNS1_3repE0EEENS1_52radix_sort_onesweep_histogram_config_static_selectorELNS0_4arch9wavefront6targetE1EEEvSE_
; %bb.0:
	.section	.rodata,"a",@progbits
	.p2align	6, 0x0
	.amdhsa_kernel _ZN7rocprim17ROCPRIM_400000_NS6detail17trampoline_kernelINS0_14default_configENS1_35radix_sort_onesweep_config_selectorIflEEZNS1_34radix_sort_onesweep_global_offsetsIS3_Lb0EPfN6thrust23THRUST_200600_302600_NS10device_ptrIlEEjNS0_19identity_decomposerEEE10hipError_tT1_T2_PT3_SG_jT4_jjP12ihipStream_tbEUlT_E_NS1_11comp_targetILNS1_3genE5ELNS1_11target_archE942ELNS1_3gpuE9ELNS1_3repE0EEENS1_52radix_sort_onesweep_histogram_config_static_selectorELNS0_4arch9wavefront6targetE1EEEvSE_
		.amdhsa_group_segment_fixed_size 0
		.amdhsa_private_segment_fixed_size 0
		.amdhsa_kernarg_size 40
		.amdhsa_user_sgpr_count 6
		.amdhsa_user_sgpr_private_segment_buffer 1
		.amdhsa_user_sgpr_dispatch_ptr 0
		.amdhsa_user_sgpr_queue_ptr 0
		.amdhsa_user_sgpr_kernarg_segment_ptr 1
		.amdhsa_user_sgpr_dispatch_id 0
		.amdhsa_user_sgpr_flat_scratch_init 0
		.amdhsa_user_sgpr_kernarg_preload_length 0
		.amdhsa_user_sgpr_kernarg_preload_offset 0
		.amdhsa_user_sgpr_private_segment_size 0
		.amdhsa_uses_dynamic_stack 0
		.amdhsa_system_sgpr_private_segment_wavefront_offset 0
		.amdhsa_system_sgpr_workgroup_id_x 1
		.amdhsa_system_sgpr_workgroup_id_y 0
		.amdhsa_system_sgpr_workgroup_id_z 0
		.amdhsa_system_sgpr_workgroup_info 0
		.amdhsa_system_vgpr_workitem_id 0
		.amdhsa_next_free_vgpr 1
		.amdhsa_next_free_sgpr 0
		.amdhsa_accum_offset 4
		.amdhsa_reserve_vcc 0
		.amdhsa_reserve_flat_scratch 0
		.amdhsa_float_round_mode_32 0
		.amdhsa_float_round_mode_16_64 0
		.amdhsa_float_denorm_mode_32 3
		.amdhsa_float_denorm_mode_16_64 3
		.amdhsa_dx10_clamp 1
		.amdhsa_ieee_mode 1
		.amdhsa_fp16_overflow 0
		.amdhsa_tg_split 0
		.amdhsa_exception_fp_ieee_invalid_op 0
		.amdhsa_exception_fp_denorm_src 0
		.amdhsa_exception_fp_ieee_div_zero 0
		.amdhsa_exception_fp_ieee_overflow 0
		.amdhsa_exception_fp_ieee_underflow 0
		.amdhsa_exception_fp_ieee_inexact 0
		.amdhsa_exception_int_div_zero 0
	.end_amdhsa_kernel
	.section	.text._ZN7rocprim17ROCPRIM_400000_NS6detail17trampoline_kernelINS0_14default_configENS1_35radix_sort_onesweep_config_selectorIflEEZNS1_34radix_sort_onesweep_global_offsetsIS3_Lb0EPfN6thrust23THRUST_200600_302600_NS10device_ptrIlEEjNS0_19identity_decomposerEEE10hipError_tT1_T2_PT3_SG_jT4_jjP12ihipStream_tbEUlT_E_NS1_11comp_targetILNS1_3genE5ELNS1_11target_archE942ELNS1_3gpuE9ELNS1_3repE0EEENS1_52radix_sort_onesweep_histogram_config_static_selectorELNS0_4arch9wavefront6targetE1EEEvSE_,"axG",@progbits,_ZN7rocprim17ROCPRIM_400000_NS6detail17trampoline_kernelINS0_14default_configENS1_35radix_sort_onesweep_config_selectorIflEEZNS1_34radix_sort_onesweep_global_offsetsIS3_Lb0EPfN6thrust23THRUST_200600_302600_NS10device_ptrIlEEjNS0_19identity_decomposerEEE10hipError_tT1_T2_PT3_SG_jT4_jjP12ihipStream_tbEUlT_E_NS1_11comp_targetILNS1_3genE5ELNS1_11target_archE942ELNS1_3gpuE9ELNS1_3repE0EEENS1_52radix_sort_onesweep_histogram_config_static_selectorELNS0_4arch9wavefront6targetE1EEEvSE_,comdat
.Lfunc_end1818:
	.size	_ZN7rocprim17ROCPRIM_400000_NS6detail17trampoline_kernelINS0_14default_configENS1_35radix_sort_onesweep_config_selectorIflEEZNS1_34radix_sort_onesweep_global_offsetsIS3_Lb0EPfN6thrust23THRUST_200600_302600_NS10device_ptrIlEEjNS0_19identity_decomposerEEE10hipError_tT1_T2_PT3_SG_jT4_jjP12ihipStream_tbEUlT_E_NS1_11comp_targetILNS1_3genE5ELNS1_11target_archE942ELNS1_3gpuE9ELNS1_3repE0EEENS1_52radix_sort_onesweep_histogram_config_static_selectorELNS0_4arch9wavefront6targetE1EEEvSE_, .Lfunc_end1818-_ZN7rocprim17ROCPRIM_400000_NS6detail17trampoline_kernelINS0_14default_configENS1_35radix_sort_onesweep_config_selectorIflEEZNS1_34radix_sort_onesweep_global_offsetsIS3_Lb0EPfN6thrust23THRUST_200600_302600_NS10device_ptrIlEEjNS0_19identity_decomposerEEE10hipError_tT1_T2_PT3_SG_jT4_jjP12ihipStream_tbEUlT_E_NS1_11comp_targetILNS1_3genE5ELNS1_11target_archE942ELNS1_3gpuE9ELNS1_3repE0EEENS1_52radix_sort_onesweep_histogram_config_static_selectorELNS0_4arch9wavefront6targetE1EEEvSE_
                                        ; -- End function
	.section	.AMDGPU.csdata,"",@progbits
; Kernel info:
; codeLenInByte = 0
; NumSgprs: 4
; NumVgprs: 0
; NumAgprs: 0
; TotalNumVgprs: 0
; ScratchSize: 0
; MemoryBound: 0
; FloatMode: 240
; IeeeMode: 1
; LDSByteSize: 0 bytes/workgroup (compile time only)
; SGPRBlocks: 0
; VGPRBlocks: 0
; NumSGPRsForWavesPerEU: 4
; NumVGPRsForWavesPerEU: 1
; AccumOffset: 4
; Occupancy: 8
; WaveLimiterHint : 0
; COMPUTE_PGM_RSRC2:SCRATCH_EN: 0
; COMPUTE_PGM_RSRC2:USER_SGPR: 6
; COMPUTE_PGM_RSRC2:TRAP_HANDLER: 0
; COMPUTE_PGM_RSRC2:TGID_X_EN: 1
; COMPUTE_PGM_RSRC2:TGID_Y_EN: 0
; COMPUTE_PGM_RSRC2:TGID_Z_EN: 0
; COMPUTE_PGM_RSRC2:TIDIG_COMP_CNT: 0
; COMPUTE_PGM_RSRC3_GFX90A:ACCUM_OFFSET: 0
; COMPUTE_PGM_RSRC3_GFX90A:TG_SPLIT: 0
	.section	.text._ZN7rocprim17ROCPRIM_400000_NS6detail17trampoline_kernelINS0_14default_configENS1_35radix_sort_onesweep_config_selectorIflEEZNS1_34radix_sort_onesweep_global_offsetsIS3_Lb0EPfN6thrust23THRUST_200600_302600_NS10device_ptrIlEEjNS0_19identity_decomposerEEE10hipError_tT1_T2_PT3_SG_jT4_jjP12ihipStream_tbEUlT_E_NS1_11comp_targetILNS1_3genE2ELNS1_11target_archE906ELNS1_3gpuE6ELNS1_3repE0EEENS1_52radix_sort_onesweep_histogram_config_static_selectorELNS0_4arch9wavefront6targetE1EEEvSE_,"axG",@progbits,_ZN7rocprim17ROCPRIM_400000_NS6detail17trampoline_kernelINS0_14default_configENS1_35radix_sort_onesweep_config_selectorIflEEZNS1_34radix_sort_onesweep_global_offsetsIS3_Lb0EPfN6thrust23THRUST_200600_302600_NS10device_ptrIlEEjNS0_19identity_decomposerEEE10hipError_tT1_T2_PT3_SG_jT4_jjP12ihipStream_tbEUlT_E_NS1_11comp_targetILNS1_3genE2ELNS1_11target_archE906ELNS1_3gpuE6ELNS1_3repE0EEENS1_52radix_sort_onesweep_histogram_config_static_selectorELNS0_4arch9wavefront6targetE1EEEvSE_,comdat
	.protected	_ZN7rocprim17ROCPRIM_400000_NS6detail17trampoline_kernelINS0_14default_configENS1_35radix_sort_onesweep_config_selectorIflEEZNS1_34radix_sort_onesweep_global_offsetsIS3_Lb0EPfN6thrust23THRUST_200600_302600_NS10device_ptrIlEEjNS0_19identity_decomposerEEE10hipError_tT1_T2_PT3_SG_jT4_jjP12ihipStream_tbEUlT_E_NS1_11comp_targetILNS1_3genE2ELNS1_11target_archE906ELNS1_3gpuE6ELNS1_3repE0EEENS1_52radix_sort_onesweep_histogram_config_static_selectorELNS0_4arch9wavefront6targetE1EEEvSE_ ; -- Begin function _ZN7rocprim17ROCPRIM_400000_NS6detail17trampoline_kernelINS0_14default_configENS1_35radix_sort_onesweep_config_selectorIflEEZNS1_34radix_sort_onesweep_global_offsetsIS3_Lb0EPfN6thrust23THRUST_200600_302600_NS10device_ptrIlEEjNS0_19identity_decomposerEEE10hipError_tT1_T2_PT3_SG_jT4_jjP12ihipStream_tbEUlT_E_NS1_11comp_targetILNS1_3genE2ELNS1_11target_archE906ELNS1_3gpuE6ELNS1_3repE0EEENS1_52radix_sort_onesweep_histogram_config_static_selectorELNS0_4arch9wavefront6targetE1EEEvSE_
	.globl	_ZN7rocprim17ROCPRIM_400000_NS6detail17trampoline_kernelINS0_14default_configENS1_35radix_sort_onesweep_config_selectorIflEEZNS1_34radix_sort_onesweep_global_offsetsIS3_Lb0EPfN6thrust23THRUST_200600_302600_NS10device_ptrIlEEjNS0_19identity_decomposerEEE10hipError_tT1_T2_PT3_SG_jT4_jjP12ihipStream_tbEUlT_E_NS1_11comp_targetILNS1_3genE2ELNS1_11target_archE906ELNS1_3gpuE6ELNS1_3repE0EEENS1_52radix_sort_onesweep_histogram_config_static_selectorELNS0_4arch9wavefront6targetE1EEEvSE_
	.p2align	8
	.type	_ZN7rocprim17ROCPRIM_400000_NS6detail17trampoline_kernelINS0_14default_configENS1_35radix_sort_onesweep_config_selectorIflEEZNS1_34radix_sort_onesweep_global_offsetsIS3_Lb0EPfN6thrust23THRUST_200600_302600_NS10device_ptrIlEEjNS0_19identity_decomposerEEE10hipError_tT1_T2_PT3_SG_jT4_jjP12ihipStream_tbEUlT_E_NS1_11comp_targetILNS1_3genE2ELNS1_11target_archE906ELNS1_3gpuE6ELNS1_3repE0EEENS1_52radix_sort_onesweep_histogram_config_static_selectorELNS0_4arch9wavefront6targetE1EEEvSE_,@function
_ZN7rocprim17ROCPRIM_400000_NS6detail17trampoline_kernelINS0_14default_configENS1_35radix_sort_onesweep_config_selectorIflEEZNS1_34radix_sort_onesweep_global_offsetsIS3_Lb0EPfN6thrust23THRUST_200600_302600_NS10device_ptrIlEEjNS0_19identity_decomposerEEE10hipError_tT1_T2_PT3_SG_jT4_jjP12ihipStream_tbEUlT_E_NS1_11comp_targetILNS1_3genE2ELNS1_11target_archE906ELNS1_3gpuE6ELNS1_3repE0EEENS1_52radix_sort_onesweep_histogram_config_static_selectorELNS0_4arch9wavefront6targetE1EEEvSE_: ; @_ZN7rocprim17ROCPRIM_400000_NS6detail17trampoline_kernelINS0_14default_configENS1_35radix_sort_onesweep_config_selectorIflEEZNS1_34radix_sort_onesweep_global_offsetsIS3_Lb0EPfN6thrust23THRUST_200600_302600_NS10device_ptrIlEEjNS0_19identity_decomposerEEE10hipError_tT1_T2_PT3_SG_jT4_jjP12ihipStream_tbEUlT_E_NS1_11comp_targetILNS1_3genE2ELNS1_11target_archE906ELNS1_3gpuE6ELNS1_3repE0EEENS1_52radix_sort_onesweep_histogram_config_static_selectorELNS0_4arch9wavefront6targetE1EEEvSE_
; %bb.0:
	.section	.rodata,"a",@progbits
	.p2align	6, 0x0
	.amdhsa_kernel _ZN7rocprim17ROCPRIM_400000_NS6detail17trampoline_kernelINS0_14default_configENS1_35radix_sort_onesweep_config_selectorIflEEZNS1_34radix_sort_onesweep_global_offsetsIS3_Lb0EPfN6thrust23THRUST_200600_302600_NS10device_ptrIlEEjNS0_19identity_decomposerEEE10hipError_tT1_T2_PT3_SG_jT4_jjP12ihipStream_tbEUlT_E_NS1_11comp_targetILNS1_3genE2ELNS1_11target_archE906ELNS1_3gpuE6ELNS1_3repE0EEENS1_52radix_sort_onesweep_histogram_config_static_selectorELNS0_4arch9wavefront6targetE1EEEvSE_
		.amdhsa_group_segment_fixed_size 0
		.amdhsa_private_segment_fixed_size 0
		.amdhsa_kernarg_size 40
		.amdhsa_user_sgpr_count 6
		.amdhsa_user_sgpr_private_segment_buffer 1
		.amdhsa_user_sgpr_dispatch_ptr 0
		.amdhsa_user_sgpr_queue_ptr 0
		.amdhsa_user_sgpr_kernarg_segment_ptr 1
		.amdhsa_user_sgpr_dispatch_id 0
		.amdhsa_user_sgpr_flat_scratch_init 0
		.amdhsa_user_sgpr_kernarg_preload_length 0
		.amdhsa_user_sgpr_kernarg_preload_offset 0
		.amdhsa_user_sgpr_private_segment_size 0
		.amdhsa_uses_dynamic_stack 0
		.amdhsa_system_sgpr_private_segment_wavefront_offset 0
		.amdhsa_system_sgpr_workgroup_id_x 1
		.amdhsa_system_sgpr_workgroup_id_y 0
		.amdhsa_system_sgpr_workgroup_id_z 0
		.amdhsa_system_sgpr_workgroup_info 0
		.amdhsa_system_vgpr_workitem_id 0
		.amdhsa_next_free_vgpr 1
		.amdhsa_next_free_sgpr 0
		.amdhsa_accum_offset 4
		.amdhsa_reserve_vcc 0
		.amdhsa_reserve_flat_scratch 0
		.amdhsa_float_round_mode_32 0
		.amdhsa_float_round_mode_16_64 0
		.amdhsa_float_denorm_mode_32 3
		.amdhsa_float_denorm_mode_16_64 3
		.amdhsa_dx10_clamp 1
		.amdhsa_ieee_mode 1
		.amdhsa_fp16_overflow 0
		.amdhsa_tg_split 0
		.amdhsa_exception_fp_ieee_invalid_op 0
		.amdhsa_exception_fp_denorm_src 0
		.amdhsa_exception_fp_ieee_div_zero 0
		.amdhsa_exception_fp_ieee_overflow 0
		.amdhsa_exception_fp_ieee_underflow 0
		.amdhsa_exception_fp_ieee_inexact 0
		.amdhsa_exception_int_div_zero 0
	.end_amdhsa_kernel
	.section	.text._ZN7rocprim17ROCPRIM_400000_NS6detail17trampoline_kernelINS0_14default_configENS1_35radix_sort_onesweep_config_selectorIflEEZNS1_34radix_sort_onesweep_global_offsetsIS3_Lb0EPfN6thrust23THRUST_200600_302600_NS10device_ptrIlEEjNS0_19identity_decomposerEEE10hipError_tT1_T2_PT3_SG_jT4_jjP12ihipStream_tbEUlT_E_NS1_11comp_targetILNS1_3genE2ELNS1_11target_archE906ELNS1_3gpuE6ELNS1_3repE0EEENS1_52radix_sort_onesweep_histogram_config_static_selectorELNS0_4arch9wavefront6targetE1EEEvSE_,"axG",@progbits,_ZN7rocprim17ROCPRIM_400000_NS6detail17trampoline_kernelINS0_14default_configENS1_35radix_sort_onesweep_config_selectorIflEEZNS1_34radix_sort_onesweep_global_offsetsIS3_Lb0EPfN6thrust23THRUST_200600_302600_NS10device_ptrIlEEjNS0_19identity_decomposerEEE10hipError_tT1_T2_PT3_SG_jT4_jjP12ihipStream_tbEUlT_E_NS1_11comp_targetILNS1_3genE2ELNS1_11target_archE906ELNS1_3gpuE6ELNS1_3repE0EEENS1_52radix_sort_onesweep_histogram_config_static_selectorELNS0_4arch9wavefront6targetE1EEEvSE_,comdat
.Lfunc_end1819:
	.size	_ZN7rocprim17ROCPRIM_400000_NS6detail17trampoline_kernelINS0_14default_configENS1_35radix_sort_onesweep_config_selectorIflEEZNS1_34radix_sort_onesweep_global_offsetsIS3_Lb0EPfN6thrust23THRUST_200600_302600_NS10device_ptrIlEEjNS0_19identity_decomposerEEE10hipError_tT1_T2_PT3_SG_jT4_jjP12ihipStream_tbEUlT_E_NS1_11comp_targetILNS1_3genE2ELNS1_11target_archE906ELNS1_3gpuE6ELNS1_3repE0EEENS1_52radix_sort_onesweep_histogram_config_static_selectorELNS0_4arch9wavefront6targetE1EEEvSE_, .Lfunc_end1819-_ZN7rocprim17ROCPRIM_400000_NS6detail17trampoline_kernelINS0_14default_configENS1_35radix_sort_onesweep_config_selectorIflEEZNS1_34radix_sort_onesweep_global_offsetsIS3_Lb0EPfN6thrust23THRUST_200600_302600_NS10device_ptrIlEEjNS0_19identity_decomposerEEE10hipError_tT1_T2_PT3_SG_jT4_jjP12ihipStream_tbEUlT_E_NS1_11comp_targetILNS1_3genE2ELNS1_11target_archE906ELNS1_3gpuE6ELNS1_3repE0EEENS1_52radix_sort_onesweep_histogram_config_static_selectorELNS0_4arch9wavefront6targetE1EEEvSE_
                                        ; -- End function
	.section	.AMDGPU.csdata,"",@progbits
; Kernel info:
; codeLenInByte = 0
; NumSgprs: 4
; NumVgprs: 0
; NumAgprs: 0
; TotalNumVgprs: 0
; ScratchSize: 0
; MemoryBound: 0
; FloatMode: 240
; IeeeMode: 1
; LDSByteSize: 0 bytes/workgroup (compile time only)
; SGPRBlocks: 0
; VGPRBlocks: 0
; NumSGPRsForWavesPerEU: 4
; NumVGPRsForWavesPerEU: 1
; AccumOffset: 4
; Occupancy: 8
; WaveLimiterHint : 0
; COMPUTE_PGM_RSRC2:SCRATCH_EN: 0
; COMPUTE_PGM_RSRC2:USER_SGPR: 6
; COMPUTE_PGM_RSRC2:TRAP_HANDLER: 0
; COMPUTE_PGM_RSRC2:TGID_X_EN: 1
; COMPUTE_PGM_RSRC2:TGID_Y_EN: 0
; COMPUTE_PGM_RSRC2:TGID_Z_EN: 0
; COMPUTE_PGM_RSRC2:TIDIG_COMP_CNT: 0
; COMPUTE_PGM_RSRC3_GFX90A:ACCUM_OFFSET: 0
; COMPUTE_PGM_RSRC3_GFX90A:TG_SPLIT: 0
	.section	.text._ZN7rocprim17ROCPRIM_400000_NS6detail17trampoline_kernelINS0_14default_configENS1_35radix_sort_onesweep_config_selectorIflEEZNS1_34radix_sort_onesweep_global_offsetsIS3_Lb0EPfN6thrust23THRUST_200600_302600_NS10device_ptrIlEEjNS0_19identity_decomposerEEE10hipError_tT1_T2_PT3_SG_jT4_jjP12ihipStream_tbEUlT_E_NS1_11comp_targetILNS1_3genE4ELNS1_11target_archE910ELNS1_3gpuE8ELNS1_3repE0EEENS1_52radix_sort_onesweep_histogram_config_static_selectorELNS0_4arch9wavefront6targetE1EEEvSE_,"axG",@progbits,_ZN7rocprim17ROCPRIM_400000_NS6detail17trampoline_kernelINS0_14default_configENS1_35radix_sort_onesweep_config_selectorIflEEZNS1_34radix_sort_onesweep_global_offsetsIS3_Lb0EPfN6thrust23THRUST_200600_302600_NS10device_ptrIlEEjNS0_19identity_decomposerEEE10hipError_tT1_T2_PT3_SG_jT4_jjP12ihipStream_tbEUlT_E_NS1_11comp_targetILNS1_3genE4ELNS1_11target_archE910ELNS1_3gpuE8ELNS1_3repE0EEENS1_52radix_sort_onesweep_histogram_config_static_selectorELNS0_4arch9wavefront6targetE1EEEvSE_,comdat
	.protected	_ZN7rocprim17ROCPRIM_400000_NS6detail17trampoline_kernelINS0_14default_configENS1_35radix_sort_onesweep_config_selectorIflEEZNS1_34radix_sort_onesweep_global_offsetsIS3_Lb0EPfN6thrust23THRUST_200600_302600_NS10device_ptrIlEEjNS0_19identity_decomposerEEE10hipError_tT1_T2_PT3_SG_jT4_jjP12ihipStream_tbEUlT_E_NS1_11comp_targetILNS1_3genE4ELNS1_11target_archE910ELNS1_3gpuE8ELNS1_3repE0EEENS1_52radix_sort_onesweep_histogram_config_static_selectorELNS0_4arch9wavefront6targetE1EEEvSE_ ; -- Begin function _ZN7rocprim17ROCPRIM_400000_NS6detail17trampoline_kernelINS0_14default_configENS1_35radix_sort_onesweep_config_selectorIflEEZNS1_34radix_sort_onesweep_global_offsetsIS3_Lb0EPfN6thrust23THRUST_200600_302600_NS10device_ptrIlEEjNS0_19identity_decomposerEEE10hipError_tT1_T2_PT3_SG_jT4_jjP12ihipStream_tbEUlT_E_NS1_11comp_targetILNS1_3genE4ELNS1_11target_archE910ELNS1_3gpuE8ELNS1_3repE0EEENS1_52radix_sort_onesweep_histogram_config_static_selectorELNS0_4arch9wavefront6targetE1EEEvSE_
	.globl	_ZN7rocprim17ROCPRIM_400000_NS6detail17trampoline_kernelINS0_14default_configENS1_35radix_sort_onesweep_config_selectorIflEEZNS1_34radix_sort_onesweep_global_offsetsIS3_Lb0EPfN6thrust23THRUST_200600_302600_NS10device_ptrIlEEjNS0_19identity_decomposerEEE10hipError_tT1_T2_PT3_SG_jT4_jjP12ihipStream_tbEUlT_E_NS1_11comp_targetILNS1_3genE4ELNS1_11target_archE910ELNS1_3gpuE8ELNS1_3repE0EEENS1_52radix_sort_onesweep_histogram_config_static_selectorELNS0_4arch9wavefront6targetE1EEEvSE_
	.p2align	8
	.type	_ZN7rocprim17ROCPRIM_400000_NS6detail17trampoline_kernelINS0_14default_configENS1_35radix_sort_onesweep_config_selectorIflEEZNS1_34radix_sort_onesweep_global_offsetsIS3_Lb0EPfN6thrust23THRUST_200600_302600_NS10device_ptrIlEEjNS0_19identity_decomposerEEE10hipError_tT1_T2_PT3_SG_jT4_jjP12ihipStream_tbEUlT_E_NS1_11comp_targetILNS1_3genE4ELNS1_11target_archE910ELNS1_3gpuE8ELNS1_3repE0EEENS1_52radix_sort_onesweep_histogram_config_static_selectorELNS0_4arch9wavefront6targetE1EEEvSE_,@function
_ZN7rocprim17ROCPRIM_400000_NS6detail17trampoline_kernelINS0_14default_configENS1_35radix_sort_onesweep_config_selectorIflEEZNS1_34radix_sort_onesweep_global_offsetsIS3_Lb0EPfN6thrust23THRUST_200600_302600_NS10device_ptrIlEEjNS0_19identity_decomposerEEE10hipError_tT1_T2_PT3_SG_jT4_jjP12ihipStream_tbEUlT_E_NS1_11comp_targetILNS1_3genE4ELNS1_11target_archE910ELNS1_3gpuE8ELNS1_3repE0EEENS1_52radix_sort_onesweep_histogram_config_static_selectorELNS0_4arch9wavefront6targetE1EEEvSE_: ; @_ZN7rocprim17ROCPRIM_400000_NS6detail17trampoline_kernelINS0_14default_configENS1_35radix_sort_onesweep_config_selectorIflEEZNS1_34radix_sort_onesweep_global_offsetsIS3_Lb0EPfN6thrust23THRUST_200600_302600_NS10device_ptrIlEEjNS0_19identity_decomposerEEE10hipError_tT1_T2_PT3_SG_jT4_jjP12ihipStream_tbEUlT_E_NS1_11comp_targetILNS1_3genE4ELNS1_11target_archE910ELNS1_3gpuE8ELNS1_3repE0EEENS1_52radix_sort_onesweep_histogram_config_static_selectorELNS0_4arch9wavefront6targetE1EEEvSE_
; %bb.0:
	s_load_dword s7, s[4:5], 0x14
	s_load_dwordx4 s[8:11], s[4:5], 0x0
	s_load_dwordx2 s[2:3], s[4:5], 0x1c
	s_lshl_b32 s12, s6, 13
	s_mov_b64 s[0:1], -1
	s_waitcnt lgkmcnt(0)
	s_cmp_ge_u32 s6, s7
	s_cbranch_scc0 .LBB1820_159
; %bb.1:
	s_load_dword s4, s[4:5], 0x10
	s_lshl_b32 s5, s7, 13
	s_mov_b32 s13, 0
	s_lshl_b64 s[0:1], s[12:13], 2
                                        ; implicit-def: $vgpr2_vgpr3_vgpr4_vgpr5_vgpr6_vgpr7_vgpr8_vgpr9
	s_waitcnt lgkmcnt(0)
	s_sub_i32 s13, s4, s5
	s_add_u32 s0, s8, s0
	s_addc_u32 s1, s9, s1
	v_cmp_gt_u32_e32 vcc, s13, v0
	s_and_saveexec_b64 s[4:5], vcc
	s_cbranch_execz .LBB1820_3
; %bb.2:
	v_lshlrev_b32_e32 v1, 2, v0
	global_load_dword v2, v1, s[0:1]
.LBB1820_3:
	s_or_b64 exec, exec, s[4:5]
	v_or_b32_e32 v16, 0x400, v0
	v_cmp_gt_u32_e32 vcc, s13, v16
	s_and_saveexec_b64 s[4:5], vcc
	s_cbranch_execz .LBB1820_5
; %bb.4:
	v_lshlrev_b32_e32 v1, 2, v16
	global_load_dword v3, v1, s[0:1]
.LBB1820_5:
	s_or_b64 exec, exec, s[4:5]
	v_or_b32_e32 v15, 0x800, v0
	;; [unrolled: 9-line block ×7, first 2 shown]
	v_cmp_gt_u32_e32 vcc, s13, v10
	s_and_saveexec_b64 s[4:5], vcc
	s_cbranch_execz .LBB1820_17
; %bb.16:
	v_lshlrev_b32_e32 v1, 2, v10
	global_load_dword v9, v1, s[0:1]
.LBB1820_17:
	s_or_b64 exec, exec, s[4:5]
	v_lshlrev_b32_e32 v17, 2, v0
	v_mov_b32_e32 v18, 0
	ds_write2st64_b32 v17, v18, v18 offset1:16
	ds_write2st64_b32 v17, v18, v18 offset0:32 offset1:48
	v_bfrev_b32_e32 v17, 1
	s_waitcnt vmcnt(0)
	v_cmp_lt_i32_e32 vcc, -1, v2
	v_cndmask_b32_e32 v18, -1, v17, vcc
	v_xor_b32_e32 v2, v18, v2
	s_brev_b32 s0, -2
	s_cmp_le_u32 s3, s2
	v_cmp_ne_u32_e64 s[0:1], s0, v2
	s_cselect_b64 s[4:5], -1, 0
	v_cmp_le_u32_e32 vcc, s13, v0
	v_cndmask_b32_e64 v2, v17, v2, s[0:1]
	s_and_b64 s[0:1], s[4:5], exec
	s_cselect_b32 s18, 8, 10
	s_or_b64 s[0:1], s[4:5], vcc
	v_and_b32_e32 v1, 3, v0
	s_xor_b64 s[6:7], s[0:1], -1
	v_mov_b32_e32 v17, s18
	s_waitcnt lgkmcnt(0)
	s_barrier
	s_and_saveexec_b64 s[0:1], s[6:7]
	s_cbranch_execz .LBB1820_19
; %bb.18:
	s_sub_i32 s6, s3, s2
	s_min_u32 s6, s6, 8
	v_lshrrev_b32_e32 v17, s2, v2
	v_bfe_u32 v17, v17, 0, s6
	v_lshlrev_b32_e32 v18, 2, v1
	v_lshl_or_b32 v17, v17, 4, v18
	v_mov_b32_e32 v18, 1
	ds_add_u32 v17, v18
	v_mov_b32_e32 v17, 0
.LBB1820_19:
	s_or_b64 exec, exec, s[0:1]
	v_cmp_gt_i32_e64 s[0:1], 10, v17
	s_mov_b64 s[14:15], -1
	s_and_saveexec_b64 s[6:7], s[0:1]
; %bb.20:
	v_cmp_eq_u32_e64 s[0:1], 0, v17
	s_orn2_b64 s[14:15], s[0:1], exec
; %bb.21:
	s_or_b64 exec, exec, s[6:7]
	s_and_saveexec_b64 s[6:7], s[14:15]
	s_cbranch_execz .LBB1820_34
; %bb.22:
	s_add_i32 s14, s2, 8
	s_cmp_le_u32 s3, s14
	s_cselect_b64 s[0:1], -1, 0
	s_and_b64 s[16:17], s[0:1], exec
	s_cselect_b32 s15, 8, 10
	s_or_b64 s[0:1], s[0:1], vcc
	s_xor_b64 s[16:17], s[0:1], -1
	v_mov_b32_e32 v17, s15
	s_and_saveexec_b64 s[0:1], s[16:17]
	s_cbranch_execz .LBB1820_24
; %bb.23:
	s_sub_i32 s15, s3, s14
	s_min_u32 s15, s15, 8
	v_lshrrev_b32_e32 v17, s14, v2
	v_bfe_u32 v17, v17, 0, s15
	v_lshlrev_b32_e32 v18, 2, v1
	v_lshl_or_b32 v17, v17, 4, v18
	v_mov_b32_e32 v18, 1
	ds_add_u32 v17, v18 offset:4096
	v_mov_b32_e32 v17, 0
.LBB1820_24:
	s_or_b64 exec, exec, s[0:1]
	v_cmp_gt_i32_e64 s[0:1], 10, v17
	s_mov_b64 s[14:15], -1
	s_and_saveexec_b64 s[16:17], s[0:1]
; %bb.25:
	v_cmp_eq_u32_e64 s[0:1], 0, v17
	s_orn2_b64 s[14:15], s[0:1], exec
; %bb.26:
	s_or_b64 exec, exec, s[16:17]
	s_and_b64 exec, exec, s[14:15]
	s_cbranch_execz .LBB1820_34
; %bb.27:
	s_add_i32 s14, s2, 16
	s_cmp_le_u32 s3, s14
	s_cselect_b64 s[0:1], -1, 0
	s_and_b64 s[16:17], s[0:1], exec
	s_cselect_b32 s15, 8, 10
	s_or_b64 s[0:1], s[0:1], vcc
	s_xor_b64 s[16:17], s[0:1], -1
	v_mov_b32_e32 v17, s15
	s_and_saveexec_b64 s[0:1], s[16:17]
	s_cbranch_execz .LBB1820_29
; %bb.28:
	s_sub_i32 s15, s3, s14
	s_min_u32 s15, s15, 8
	v_lshrrev_b32_e32 v17, s14, v2
	v_bfe_u32 v17, v17, 0, s15
	v_lshlrev_b32_e32 v18, 2, v1
	v_lshl_or_b32 v17, v17, 4, v18
	v_mov_b32_e32 v18, 1
	ds_add_u32 v17, v18 offset:8192
	v_mov_b32_e32 v17, 0
.LBB1820_29:
	s_or_b64 exec, exec, s[0:1]
	v_cmp_gt_i32_e64 s[0:1], 10, v17
	s_mov_b64 s[14:15], -1
	s_and_saveexec_b64 s[16:17], s[0:1]
; %bb.30:
	v_cmp_eq_u32_e64 s[0:1], 0, v17
	s_orn2_b64 s[14:15], s[0:1], exec
; %bb.31:
	s_or_b64 exec, exec, s[16:17]
	s_and_b64 exec, exec, s[14:15]
	s_cbranch_execz .LBB1820_34
; %bb.32:
	s_add_i32 s0, s2, 24
	s_cmp_gt_u32 s3, s0
	s_cselect_b64 s[14:15], -1, 0
	s_xor_b64 s[16:17], vcc, -1
	s_and_b64 s[14:15], s[14:15], s[16:17]
	s_and_b64 exec, exec, s[14:15]
	s_cbranch_execz .LBB1820_34
; %bb.33:
	s_sub_i32 s1, s3, s0
	s_min_u32 s1, s1, 8
	v_lshrrev_b32_e32 v2, s0, v2
	v_bfe_u32 v2, v2, 0, s1
	v_lshlrev_b32_e32 v17, 2, v1
	v_lshl_or_b32 v2, v2, 4, v17
	v_mov_b32_e32 v17, 1
	ds_add_u32 v2, v17 offset:12288
.LBB1820_34:
	s_or_b64 exec, exec, s[6:7]
	v_bfrev_b32_e32 v2, 1
	v_cmp_lt_i32_e32 vcc, -1, v3
	v_cndmask_b32_e32 v17, -1, v2, vcc
	v_xor_b32_e32 v3, v17, v3
	s_brev_b32 s0, -2
	v_cmp_le_u32_e32 vcc, s13, v16
	v_cmp_ne_u32_e64 s[0:1], s0, v3
	v_cndmask_b32_e64 v2, v2, v3, s[0:1]
	s_or_b64 s[0:1], s[4:5], vcc
	s_xor_b64 s[6:7], s[0:1], -1
	v_mov_b32_e32 v3, s18
	s_and_saveexec_b64 s[0:1], s[6:7]
	s_cbranch_execz .LBB1820_36
; %bb.35:
	s_sub_i32 s6, s3, s2
	s_min_u32 s6, s6, 8
	v_lshrrev_b32_e32 v3, s2, v2
	v_bfe_u32 v3, v3, 0, s6
	v_lshlrev_b32_e32 v16, 2, v1
	v_lshl_or_b32 v3, v3, 4, v16
	v_mov_b32_e32 v16, 1
	ds_add_u32 v3, v16
	v_mov_b32_e32 v3, 0
.LBB1820_36:
	s_or_b64 exec, exec, s[0:1]
	v_cmp_gt_i32_e64 s[0:1], 10, v3
	s_mov_b64 s[14:15], -1
	s_and_saveexec_b64 s[6:7], s[0:1]
; %bb.37:
	v_cmp_eq_u32_e64 s[0:1], 0, v3
	s_orn2_b64 s[14:15], s[0:1], exec
; %bb.38:
	s_or_b64 exec, exec, s[6:7]
	s_and_saveexec_b64 s[6:7], s[14:15]
	s_cbranch_execz .LBB1820_51
; %bb.39:
	s_add_i32 s14, s2, 8
	s_cmp_le_u32 s3, s14
	s_cselect_b64 s[0:1], -1, 0
	s_and_b64 s[16:17], s[0:1], exec
	s_cselect_b32 s15, 8, 10
	s_or_b64 s[0:1], s[0:1], vcc
	s_xor_b64 s[16:17], s[0:1], -1
	v_mov_b32_e32 v3, s15
	s_and_saveexec_b64 s[0:1], s[16:17]
	s_cbranch_execz .LBB1820_41
; %bb.40:
	s_sub_i32 s15, s3, s14
	s_min_u32 s15, s15, 8
	v_lshrrev_b32_e32 v3, s14, v2
	v_bfe_u32 v3, v3, 0, s15
	v_lshlrev_b32_e32 v16, 2, v1
	v_lshl_or_b32 v3, v3, 4, v16
	v_mov_b32_e32 v16, 1
	ds_add_u32 v3, v16 offset:4096
	v_mov_b32_e32 v3, 0
.LBB1820_41:
	s_or_b64 exec, exec, s[0:1]
	v_cmp_gt_i32_e64 s[0:1], 10, v3
	s_mov_b64 s[14:15], -1
	s_and_saveexec_b64 s[16:17], s[0:1]
; %bb.42:
	v_cmp_eq_u32_e64 s[0:1], 0, v3
	s_orn2_b64 s[14:15], s[0:1], exec
; %bb.43:
	s_or_b64 exec, exec, s[16:17]
	s_and_b64 exec, exec, s[14:15]
	s_cbranch_execz .LBB1820_51
; %bb.44:
	s_add_i32 s14, s2, 16
	s_cmp_le_u32 s3, s14
	s_cselect_b64 s[0:1], -1, 0
	s_and_b64 s[16:17], s[0:1], exec
	s_cselect_b32 s15, 8, 10
	s_or_b64 s[0:1], s[0:1], vcc
	s_xor_b64 s[16:17], s[0:1], -1
	v_mov_b32_e32 v3, s15
	s_and_saveexec_b64 s[0:1], s[16:17]
	s_cbranch_execz .LBB1820_46
; %bb.45:
	s_sub_i32 s15, s3, s14
	s_min_u32 s15, s15, 8
	v_lshrrev_b32_e32 v3, s14, v2
	v_bfe_u32 v3, v3, 0, s15
	v_lshlrev_b32_e32 v16, 2, v1
	v_lshl_or_b32 v3, v3, 4, v16
	v_mov_b32_e32 v16, 1
	ds_add_u32 v3, v16 offset:8192
	v_mov_b32_e32 v3, 0
.LBB1820_46:
	s_or_b64 exec, exec, s[0:1]
	v_cmp_gt_i32_e64 s[0:1], 10, v3
	s_mov_b64 s[14:15], -1
	s_and_saveexec_b64 s[16:17], s[0:1]
; %bb.47:
	v_cmp_eq_u32_e64 s[0:1], 0, v3
	s_orn2_b64 s[14:15], s[0:1], exec
; %bb.48:
	s_or_b64 exec, exec, s[16:17]
	s_and_b64 exec, exec, s[14:15]
	s_cbranch_execz .LBB1820_51
; %bb.49:
	s_add_i32 s0, s2, 24
	s_cmp_gt_u32 s3, s0
	s_cselect_b64 s[14:15], -1, 0
	s_xor_b64 s[16:17], vcc, -1
	s_and_b64 s[14:15], s[14:15], s[16:17]
	s_and_b64 exec, exec, s[14:15]
	s_cbranch_execz .LBB1820_51
; %bb.50:
	s_sub_i32 s1, s3, s0
	s_min_u32 s1, s1, 8
	v_lshrrev_b32_e32 v2, s0, v2
	v_bfe_u32 v2, v2, 0, s1
	v_lshlrev_b32_e32 v3, 2, v1
	v_lshl_or_b32 v2, v2, 4, v3
	v_mov_b32_e32 v3, 1
	ds_add_u32 v2, v3 offset:12288
.LBB1820_51:
	s_or_b64 exec, exec, s[6:7]
	v_bfrev_b32_e32 v2, 1
	v_cmp_lt_i32_e32 vcc, -1, v4
	v_cndmask_b32_e32 v3, -1, v2, vcc
	v_xor_b32_e32 v3, v3, v4
	s_brev_b32 s0, -2
	v_cmp_le_u32_e32 vcc, s13, v15
	v_cmp_ne_u32_e64 s[0:1], s0, v3
	v_cndmask_b32_e64 v2, v2, v3, s[0:1]
	s_or_b64 s[0:1], s[4:5], vcc
	s_xor_b64 s[6:7], s[0:1], -1
	v_mov_b32_e32 v3, s18
	s_and_saveexec_b64 s[0:1], s[6:7]
	s_cbranch_execz .LBB1820_53
; %bb.52:
	s_sub_i32 s6, s3, s2
	s_min_u32 s6, s6, 8
	v_lshrrev_b32_e32 v3, s2, v2
	v_bfe_u32 v3, v3, 0, s6
	v_lshlrev_b32_e32 v4, 2, v1
	v_lshl_or_b32 v3, v3, 4, v4
	v_mov_b32_e32 v4, 1
	ds_add_u32 v3, v4
	v_mov_b32_e32 v3, 0
.LBB1820_53:
	s_or_b64 exec, exec, s[0:1]
	v_cmp_gt_i32_e64 s[0:1], 10, v3
	s_mov_b64 s[14:15], -1
	s_and_saveexec_b64 s[6:7], s[0:1]
; %bb.54:
	v_cmp_eq_u32_e64 s[0:1], 0, v3
	s_orn2_b64 s[14:15], s[0:1], exec
; %bb.55:
	s_or_b64 exec, exec, s[6:7]
	s_and_saveexec_b64 s[6:7], s[14:15]
	s_cbranch_execz .LBB1820_68
; %bb.56:
	s_add_i32 s14, s2, 8
	s_cmp_le_u32 s3, s14
	s_cselect_b64 s[0:1], -1, 0
	s_and_b64 s[16:17], s[0:1], exec
	s_cselect_b32 s15, 8, 10
	s_or_b64 s[0:1], s[0:1], vcc
	s_xor_b64 s[16:17], s[0:1], -1
	v_mov_b32_e32 v3, s15
	s_and_saveexec_b64 s[0:1], s[16:17]
	s_cbranch_execz .LBB1820_58
; %bb.57:
	s_sub_i32 s15, s3, s14
	s_min_u32 s15, s15, 8
	v_lshrrev_b32_e32 v3, s14, v2
	v_bfe_u32 v3, v3, 0, s15
	v_lshlrev_b32_e32 v4, 2, v1
	v_lshl_or_b32 v3, v3, 4, v4
	v_mov_b32_e32 v4, 1
	ds_add_u32 v3, v4 offset:4096
	v_mov_b32_e32 v3, 0
.LBB1820_58:
	s_or_b64 exec, exec, s[0:1]
	v_cmp_gt_i32_e64 s[0:1], 10, v3
	s_mov_b64 s[14:15], -1
	s_and_saveexec_b64 s[16:17], s[0:1]
; %bb.59:
	v_cmp_eq_u32_e64 s[0:1], 0, v3
	s_orn2_b64 s[14:15], s[0:1], exec
; %bb.60:
	s_or_b64 exec, exec, s[16:17]
	s_and_b64 exec, exec, s[14:15]
	s_cbranch_execz .LBB1820_68
; %bb.61:
	s_add_i32 s14, s2, 16
	s_cmp_le_u32 s3, s14
	s_cselect_b64 s[0:1], -1, 0
	s_and_b64 s[16:17], s[0:1], exec
	s_cselect_b32 s15, 8, 10
	s_or_b64 s[0:1], s[0:1], vcc
	s_xor_b64 s[16:17], s[0:1], -1
	v_mov_b32_e32 v3, s15
	s_and_saveexec_b64 s[0:1], s[16:17]
	s_cbranch_execz .LBB1820_63
; %bb.62:
	s_sub_i32 s15, s3, s14
	s_min_u32 s15, s15, 8
	v_lshrrev_b32_e32 v3, s14, v2
	v_bfe_u32 v3, v3, 0, s15
	v_lshlrev_b32_e32 v4, 2, v1
	v_lshl_or_b32 v3, v3, 4, v4
	v_mov_b32_e32 v4, 1
	ds_add_u32 v3, v4 offset:8192
	v_mov_b32_e32 v3, 0
.LBB1820_63:
	s_or_b64 exec, exec, s[0:1]
	v_cmp_gt_i32_e64 s[0:1], 10, v3
	s_mov_b64 s[14:15], -1
	s_and_saveexec_b64 s[16:17], s[0:1]
; %bb.64:
	v_cmp_eq_u32_e64 s[0:1], 0, v3
	s_orn2_b64 s[14:15], s[0:1], exec
; %bb.65:
	s_or_b64 exec, exec, s[16:17]
	s_and_b64 exec, exec, s[14:15]
	s_cbranch_execz .LBB1820_68
; %bb.66:
	s_add_i32 s0, s2, 24
	s_cmp_gt_u32 s3, s0
	s_cselect_b64 s[14:15], -1, 0
	s_xor_b64 s[16:17], vcc, -1
	s_and_b64 s[14:15], s[14:15], s[16:17]
	s_and_b64 exec, exec, s[14:15]
	s_cbranch_execz .LBB1820_68
; %bb.67:
	s_sub_i32 s1, s3, s0
	s_min_u32 s1, s1, 8
	v_lshrrev_b32_e32 v2, s0, v2
	v_bfe_u32 v2, v2, 0, s1
	v_lshlrev_b32_e32 v3, 2, v1
	v_lshl_or_b32 v2, v2, 4, v3
	v_mov_b32_e32 v3, 1
	ds_add_u32 v2, v3 offset:12288
.LBB1820_68:
	s_or_b64 exec, exec, s[6:7]
	v_bfrev_b32_e32 v2, 1
	v_cmp_lt_i32_e32 vcc, -1, v5
	v_cndmask_b32_e32 v3, -1, v2, vcc
	v_xor_b32_e32 v3, v3, v5
	s_brev_b32 s0, -2
	v_cmp_le_u32_e32 vcc, s13, v14
	v_cmp_ne_u32_e64 s[0:1], s0, v3
	v_cndmask_b32_e64 v2, v2, v3, s[0:1]
	s_or_b64 s[0:1], s[4:5], vcc
	s_xor_b64 s[6:7], s[0:1], -1
	v_mov_b32_e32 v3, s18
	s_and_saveexec_b64 s[0:1], s[6:7]
	s_cbranch_execz .LBB1820_70
; %bb.69:
	s_sub_i32 s6, s3, s2
	s_min_u32 s6, s6, 8
	v_lshrrev_b32_e32 v3, s2, v2
	v_bfe_u32 v3, v3, 0, s6
	v_lshlrev_b32_e32 v4, 2, v1
	v_lshl_or_b32 v3, v3, 4, v4
	v_mov_b32_e32 v4, 1
	ds_add_u32 v3, v4
	v_mov_b32_e32 v3, 0
.LBB1820_70:
	s_or_b64 exec, exec, s[0:1]
	v_cmp_gt_i32_e64 s[0:1], 10, v3
	s_mov_b64 s[14:15], -1
	s_and_saveexec_b64 s[6:7], s[0:1]
; %bb.71:
	v_cmp_eq_u32_e64 s[0:1], 0, v3
	s_orn2_b64 s[14:15], s[0:1], exec
; %bb.72:
	s_or_b64 exec, exec, s[6:7]
	s_and_saveexec_b64 s[6:7], s[14:15]
	s_cbranch_execz .LBB1820_85
; %bb.73:
	s_add_i32 s14, s2, 8
	s_cmp_le_u32 s3, s14
	s_cselect_b64 s[0:1], -1, 0
	s_and_b64 s[16:17], s[0:1], exec
	s_cselect_b32 s15, 8, 10
	s_or_b64 s[0:1], s[0:1], vcc
	s_xor_b64 s[16:17], s[0:1], -1
	v_mov_b32_e32 v3, s15
	s_and_saveexec_b64 s[0:1], s[16:17]
	s_cbranch_execz .LBB1820_75
; %bb.74:
	s_sub_i32 s15, s3, s14
	s_min_u32 s15, s15, 8
	v_lshrrev_b32_e32 v3, s14, v2
	v_bfe_u32 v3, v3, 0, s15
	v_lshlrev_b32_e32 v4, 2, v1
	v_lshl_or_b32 v3, v3, 4, v4
	v_mov_b32_e32 v4, 1
	ds_add_u32 v3, v4 offset:4096
	v_mov_b32_e32 v3, 0
.LBB1820_75:
	s_or_b64 exec, exec, s[0:1]
	v_cmp_gt_i32_e64 s[0:1], 10, v3
	s_mov_b64 s[14:15], -1
	s_and_saveexec_b64 s[16:17], s[0:1]
; %bb.76:
	v_cmp_eq_u32_e64 s[0:1], 0, v3
	s_orn2_b64 s[14:15], s[0:1], exec
; %bb.77:
	s_or_b64 exec, exec, s[16:17]
	s_and_b64 exec, exec, s[14:15]
	s_cbranch_execz .LBB1820_85
; %bb.78:
	s_add_i32 s14, s2, 16
	s_cmp_le_u32 s3, s14
	s_cselect_b64 s[0:1], -1, 0
	s_and_b64 s[16:17], s[0:1], exec
	s_cselect_b32 s15, 8, 10
	s_or_b64 s[0:1], s[0:1], vcc
	s_xor_b64 s[16:17], s[0:1], -1
	v_mov_b32_e32 v3, s15
	s_and_saveexec_b64 s[0:1], s[16:17]
	s_cbranch_execz .LBB1820_80
; %bb.79:
	s_sub_i32 s15, s3, s14
	s_min_u32 s15, s15, 8
	v_lshrrev_b32_e32 v3, s14, v2
	v_bfe_u32 v3, v3, 0, s15
	v_lshlrev_b32_e32 v4, 2, v1
	v_lshl_or_b32 v3, v3, 4, v4
	v_mov_b32_e32 v4, 1
	ds_add_u32 v3, v4 offset:8192
	v_mov_b32_e32 v3, 0
.LBB1820_80:
	s_or_b64 exec, exec, s[0:1]
	v_cmp_gt_i32_e64 s[0:1], 10, v3
	s_mov_b64 s[14:15], -1
	s_and_saveexec_b64 s[16:17], s[0:1]
; %bb.81:
	v_cmp_eq_u32_e64 s[0:1], 0, v3
	s_orn2_b64 s[14:15], s[0:1], exec
; %bb.82:
	s_or_b64 exec, exec, s[16:17]
	s_and_b64 exec, exec, s[14:15]
	s_cbranch_execz .LBB1820_85
; %bb.83:
	s_add_i32 s0, s2, 24
	s_cmp_gt_u32 s3, s0
	s_cselect_b64 s[14:15], -1, 0
	s_xor_b64 s[16:17], vcc, -1
	s_and_b64 s[14:15], s[14:15], s[16:17]
	s_and_b64 exec, exec, s[14:15]
	s_cbranch_execz .LBB1820_85
; %bb.84:
	s_sub_i32 s1, s3, s0
	s_min_u32 s1, s1, 8
	v_lshrrev_b32_e32 v2, s0, v2
	v_bfe_u32 v2, v2, 0, s1
	v_lshlrev_b32_e32 v3, 2, v1
	v_lshl_or_b32 v2, v2, 4, v3
	v_mov_b32_e32 v3, 1
	ds_add_u32 v2, v3 offset:12288
.LBB1820_85:
	s_or_b64 exec, exec, s[6:7]
	v_bfrev_b32_e32 v2, 1
	v_cmp_lt_i32_e32 vcc, -1, v6
	v_cndmask_b32_e32 v3, -1, v2, vcc
	v_xor_b32_e32 v3, v3, v6
	s_brev_b32 s0, -2
	v_cmp_le_u32_e32 vcc, s13, v13
	v_cmp_ne_u32_e64 s[0:1], s0, v3
	v_cndmask_b32_e64 v2, v2, v3, s[0:1]
	s_or_b64 s[0:1], s[4:5], vcc
	s_xor_b64 s[6:7], s[0:1], -1
	v_mov_b32_e32 v3, s18
	s_and_saveexec_b64 s[0:1], s[6:7]
	s_cbranch_execz .LBB1820_87
; %bb.86:
	s_sub_i32 s6, s3, s2
	s_min_u32 s6, s6, 8
	v_lshrrev_b32_e32 v3, s2, v2
	v_bfe_u32 v3, v3, 0, s6
	v_lshlrev_b32_e32 v4, 2, v1
	v_lshl_or_b32 v3, v3, 4, v4
	v_mov_b32_e32 v4, 1
	ds_add_u32 v3, v4
	v_mov_b32_e32 v3, 0
.LBB1820_87:
	s_or_b64 exec, exec, s[0:1]
	v_cmp_gt_i32_e64 s[0:1], 10, v3
	s_mov_b64 s[14:15], -1
	s_and_saveexec_b64 s[6:7], s[0:1]
; %bb.88:
	v_cmp_eq_u32_e64 s[0:1], 0, v3
	s_orn2_b64 s[14:15], s[0:1], exec
; %bb.89:
	s_or_b64 exec, exec, s[6:7]
	s_and_saveexec_b64 s[6:7], s[14:15]
	s_cbranch_execz .LBB1820_102
; %bb.90:
	s_add_i32 s14, s2, 8
	s_cmp_le_u32 s3, s14
	s_cselect_b64 s[0:1], -1, 0
	s_and_b64 s[16:17], s[0:1], exec
	s_cselect_b32 s15, 8, 10
	s_or_b64 s[0:1], s[0:1], vcc
	s_xor_b64 s[16:17], s[0:1], -1
	v_mov_b32_e32 v3, s15
	s_and_saveexec_b64 s[0:1], s[16:17]
	s_cbranch_execz .LBB1820_92
; %bb.91:
	s_sub_i32 s15, s3, s14
	s_min_u32 s15, s15, 8
	v_lshrrev_b32_e32 v3, s14, v2
	v_bfe_u32 v3, v3, 0, s15
	v_lshlrev_b32_e32 v4, 2, v1
	v_lshl_or_b32 v3, v3, 4, v4
	v_mov_b32_e32 v4, 1
	ds_add_u32 v3, v4 offset:4096
	v_mov_b32_e32 v3, 0
.LBB1820_92:
	s_or_b64 exec, exec, s[0:1]
	v_cmp_gt_i32_e64 s[0:1], 10, v3
	s_mov_b64 s[14:15], -1
	s_and_saveexec_b64 s[16:17], s[0:1]
; %bb.93:
	v_cmp_eq_u32_e64 s[0:1], 0, v3
	s_orn2_b64 s[14:15], s[0:1], exec
; %bb.94:
	s_or_b64 exec, exec, s[16:17]
	s_and_b64 exec, exec, s[14:15]
	s_cbranch_execz .LBB1820_102
; %bb.95:
	s_add_i32 s14, s2, 16
	s_cmp_le_u32 s3, s14
	s_cselect_b64 s[0:1], -1, 0
	s_and_b64 s[16:17], s[0:1], exec
	s_cselect_b32 s15, 8, 10
	s_or_b64 s[0:1], s[0:1], vcc
	s_xor_b64 s[16:17], s[0:1], -1
	v_mov_b32_e32 v3, s15
	s_and_saveexec_b64 s[0:1], s[16:17]
	s_cbranch_execz .LBB1820_97
; %bb.96:
	s_sub_i32 s15, s3, s14
	s_min_u32 s15, s15, 8
	v_lshrrev_b32_e32 v3, s14, v2
	v_bfe_u32 v3, v3, 0, s15
	v_lshlrev_b32_e32 v4, 2, v1
	v_lshl_or_b32 v3, v3, 4, v4
	v_mov_b32_e32 v4, 1
	ds_add_u32 v3, v4 offset:8192
	v_mov_b32_e32 v3, 0
.LBB1820_97:
	s_or_b64 exec, exec, s[0:1]
	v_cmp_gt_i32_e64 s[0:1], 10, v3
	s_mov_b64 s[14:15], -1
	s_and_saveexec_b64 s[16:17], s[0:1]
; %bb.98:
	v_cmp_eq_u32_e64 s[0:1], 0, v3
	s_orn2_b64 s[14:15], s[0:1], exec
; %bb.99:
	s_or_b64 exec, exec, s[16:17]
	s_and_b64 exec, exec, s[14:15]
	s_cbranch_execz .LBB1820_102
; %bb.100:
	s_add_i32 s0, s2, 24
	s_cmp_gt_u32 s3, s0
	s_cselect_b64 s[14:15], -1, 0
	s_xor_b64 s[16:17], vcc, -1
	s_and_b64 s[14:15], s[14:15], s[16:17]
	s_and_b64 exec, exec, s[14:15]
	s_cbranch_execz .LBB1820_102
; %bb.101:
	s_sub_i32 s1, s3, s0
	s_min_u32 s1, s1, 8
	v_lshrrev_b32_e32 v2, s0, v2
	v_bfe_u32 v2, v2, 0, s1
	v_lshlrev_b32_e32 v3, 2, v1
	v_lshl_or_b32 v2, v2, 4, v3
	v_mov_b32_e32 v3, 1
	ds_add_u32 v2, v3 offset:12288
.LBB1820_102:
	s_or_b64 exec, exec, s[6:7]
	v_bfrev_b32_e32 v2, 1
	v_cmp_lt_i32_e32 vcc, -1, v7
	v_cndmask_b32_e32 v3, -1, v2, vcc
	v_xor_b32_e32 v3, v3, v7
	s_brev_b32 s0, -2
	v_cmp_le_u32_e32 vcc, s13, v12
	v_cmp_ne_u32_e64 s[0:1], s0, v3
	v_cndmask_b32_e64 v2, v2, v3, s[0:1]
	s_or_b64 s[0:1], s[4:5], vcc
	s_xor_b64 s[6:7], s[0:1], -1
	v_mov_b32_e32 v3, s18
	s_and_saveexec_b64 s[0:1], s[6:7]
	s_cbranch_execz .LBB1820_104
; %bb.103:
	s_sub_i32 s6, s3, s2
	s_min_u32 s6, s6, 8
	v_lshrrev_b32_e32 v3, s2, v2
	v_bfe_u32 v3, v3, 0, s6
	v_lshlrev_b32_e32 v4, 2, v1
	v_lshl_or_b32 v3, v3, 4, v4
	v_mov_b32_e32 v4, 1
	ds_add_u32 v3, v4
	v_mov_b32_e32 v3, 0
.LBB1820_104:
	s_or_b64 exec, exec, s[0:1]
	v_cmp_gt_i32_e64 s[0:1], 10, v3
	s_mov_b64 s[14:15], -1
	s_and_saveexec_b64 s[6:7], s[0:1]
; %bb.105:
	v_cmp_eq_u32_e64 s[0:1], 0, v3
	s_orn2_b64 s[14:15], s[0:1], exec
; %bb.106:
	s_or_b64 exec, exec, s[6:7]
	s_and_saveexec_b64 s[6:7], s[14:15]
	s_cbranch_execz .LBB1820_119
; %bb.107:
	s_add_i32 s14, s2, 8
	s_cmp_le_u32 s3, s14
	s_cselect_b64 s[0:1], -1, 0
	s_and_b64 s[16:17], s[0:1], exec
	s_cselect_b32 s15, 8, 10
	s_or_b64 s[0:1], s[0:1], vcc
	s_xor_b64 s[16:17], s[0:1], -1
	v_mov_b32_e32 v3, s15
	s_and_saveexec_b64 s[0:1], s[16:17]
	s_cbranch_execz .LBB1820_109
; %bb.108:
	s_sub_i32 s15, s3, s14
	s_min_u32 s15, s15, 8
	v_lshrrev_b32_e32 v3, s14, v2
	v_bfe_u32 v3, v3, 0, s15
	v_lshlrev_b32_e32 v4, 2, v1
	v_lshl_or_b32 v3, v3, 4, v4
	v_mov_b32_e32 v4, 1
	ds_add_u32 v3, v4 offset:4096
	v_mov_b32_e32 v3, 0
.LBB1820_109:
	s_or_b64 exec, exec, s[0:1]
	v_cmp_gt_i32_e64 s[0:1], 10, v3
	s_mov_b64 s[14:15], -1
	s_and_saveexec_b64 s[16:17], s[0:1]
; %bb.110:
	v_cmp_eq_u32_e64 s[0:1], 0, v3
	s_orn2_b64 s[14:15], s[0:1], exec
; %bb.111:
	s_or_b64 exec, exec, s[16:17]
	s_and_b64 exec, exec, s[14:15]
	s_cbranch_execz .LBB1820_119
; %bb.112:
	s_add_i32 s14, s2, 16
	s_cmp_le_u32 s3, s14
	s_cselect_b64 s[0:1], -1, 0
	s_and_b64 s[16:17], s[0:1], exec
	s_cselect_b32 s15, 8, 10
	s_or_b64 s[0:1], s[0:1], vcc
	s_xor_b64 s[16:17], s[0:1], -1
	v_mov_b32_e32 v3, s15
	s_and_saveexec_b64 s[0:1], s[16:17]
	s_cbranch_execz .LBB1820_114
; %bb.113:
	s_sub_i32 s15, s3, s14
	s_min_u32 s15, s15, 8
	v_lshrrev_b32_e32 v3, s14, v2
	v_bfe_u32 v3, v3, 0, s15
	v_lshlrev_b32_e32 v4, 2, v1
	v_lshl_or_b32 v3, v3, 4, v4
	v_mov_b32_e32 v4, 1
	ds_add_u32 v3, v4 offset:8192
	v_mov_b32_e32 v3, 0
.LBB1820_114:
	s_or_b64 exec, exec, s[0:1]
	v_cmp_gt_i32_e64 s[0:1], 10, v3
	s_mov_b64 s[14:15], -1
	s_and_saveexec_b64 s[16:17], s[0:1]
; %bb.115:
	v_cmp_eq_u32_e64 s[0:1], 0, v3
	s_orn2_b64 s[14:15], s[0:1], exec
; %bb.116:
	s_or_b64 exec, exec, s[16:17]
	s_and_b64 exec, exec, s[14:15]
	s_cbranch_execz .LBB1820_119
; %bb.117:
	s_add_i32 s0, s2, 24
	s_cmp_gt_u32 s3, s0
	s_cselect_b64 s[14:15], -1, 0
	s_xor_b64 s[16:17], vcc, -1
	s_and_b64 s[14:15], s[14:15], s[16:17]
	s_and_b64 exec, exec, s[14:15]
	s_cbranch_execz .LBB1820_119
; %bb.118:
	s_sub_i32 s1, s3, s0
	s_min_u32 s1, s1, 8
	v_lshrrev_b32_e32 v2, s0, v2
	v_bfe_u32 v2, v2, 0, s1
	v_lshlrev_b32_e32 v3, 2, v1
	v_lshl_or_b32 v2, v2, 4, v3
	v_mov_b32_e32 v3, 1
	ds_add_u32 v2, v3 offset:12288
.LBB1820_119:
	s_or_b64 exec, exec, s[6:7]
	v_bfrev_b32_e32 v2, 1
	v_cmp_lt_i32_e32 vcc, -1, v8
	v_cndmask_b32_e32 v3, -1, v2, vcc
	v_xor_b32_e32 v3, v3, v8
	s_brev_b32 s0, -2
	v_cmp_le_u32_e32 vcc, s13, v11
	v_cmp_ne_u32_e64 s[0:1], s0, v3
	v_cndmask_b32_e64 v2, v2, v3, s[0:1]
	s_or_b64 s[0:1], s[4:5], vcc
	s_xor_b64 s[6:7], s[0:1], -1
	v_mov_b32_e32 v3, s18
	s_and_saveexec_b64 s[0:1], s[6:7]
	s_cbranch_execz .LBB1820_121
; %bb.120:
	s_sub_i32 s6, s3, s2
	s_min_u32 s6, s6, 8
	v_lshrrev_b32_e32 v3, s2, v2
	v_bfe_u32 v3, v3, 0, s6
	v_lshlrev_b32_e32 v4, 2, v1
	v_lshl_or_b32 v3, v3, 4, v4
	v_mov_b32_e32 v4, 1
	ds_add_u32 v3, v4
	v_mov_b32_e32 v3, 0
.LBB1820_121:
	s_or_b64 exec, exec, s[0:1]
	v_cmp_gt_i32_e64 s[0:1], 10, v3
	s_mov_b64 s[14:15], -1
	s_and_saveexec_b64 s[6:7], s[0:1]
; %bb.122:
	v_cmp_eq_u32_e64 s[0:1], 0, v3
	s_orn2_b64 s[14:15], s[0:1], exec
; %bb.123:
	s_or_b64 exec, exec, s[6:7]
	s_and_saveexec_b64 s[6:7], s[14:15]
	s_cbranch_execz .LBB1820_136
; %bb.124:
	s_add_i32 s14, s2, 8
	s_cmp_le_u32 s3, s14
	s_cselect_b64 s[0:1], -1, 0
	s_and_b64 s[16:17], s[0:1], exec
	s_cselect_b32 s15, 8, 10
	s_or_b64 s[0:1], s[0:1], vcc
	s_xor_b64 s[16:17], s[0:1], -1
	v_mov_b32_e32 v3, s15
	s_and_saveexec_b64 s[0:1], s[16:17]
	s_cbranch_execz .LBB1820_126
; %bb.125:
	s_sub_i32 s15, s3, s14
	s_min_u32 s15, s15, 8
	v_lshrrev_b32_e32 v3, s14, v2
	v_bfe_u32 v3, v3, 0, s15
	v_lshlrev_b32_e32 v4, 2, v1
	v_lshl_or_b32 v3, v3, 4, v4
	v_mov_b32_e32 v4, 1
	ds_add_u32 v3, v4 offset:4096
	v_mov_b32_e32 v3, 0
.LBB1820_126:
	s_or_b64 exec, exec, s[0:1]
	v_cmp_gt_i32_e64 s[0:1], 10, v3
	s_mov_b64 s[14:15], -1
	s_and_saveexec_b64 s[16:17], s[0:1]
; %bb.127:
	v_cmp_eq_u32_e64 s[0:1], 0, v3
	s_orn2_b64 s[14:15], s[0:1], exec
; %bb.128:
	s_or_b64 exec, exec, s[16:17]
	s_and_b64 exec, exec, s[14:15]
	s_cbranch_execz .LBB1820_136
; %bb.129:
	s_add_i32 s14, s2, 16
	s_cmp_le_u32 s3, s14
	s_cselect_b64 s[0:1], -1, 0
	s_and_b64 s[16:17], s[0:1], exec
	s_cselect_b32 s15, 8, 10
	s_or_b64 s[0:1], s[0:1], vcc
	s_xor_b64 s[16:17], s[0:1], -1
	v_mov_b32_e32 v3, s15
	s_and_saveexec_b64 s[0:1], s[16:17]
	s_cbranch_execz .LBB1820_131
; %bb.130:
	s_sub_i32 s15, s3, s14
	s_min_u32 s15, s15, 8
	v_lshrrev_b32_e32 v3, s14, v2
	v_bfe_u32 v3, v3, 0, s15
	v_lshlrev_b32_e32 v4, 2, v1
	v_lshl_or_b32 v3, v3, 4, v4
	v_mov_b32_e32 v4, 1
	ds_add_u32 v3, v4 offset:8192
	v_mov_b32_e32 v3, 0
.LBB1820_131:
	s_or_b64 exec, exec, s[0:1]
	v_cmp_gt_i32_e64 s[0:1], 10, v3
	s_mov_b64 s[14:15], -1
	s_and_saveexec_b64 s[16:17], s[0:1]
; %bb.132:
	v_cmp_eq_u32_e64 s[0:1], 0, v3
	s_orn2_b64 s[14:15], s[0:1], exec
; %bb.133:
	s_or_b64 exec, exec, s[16:17]
	s_and_b64 exec, exec, s[14:15]
	s_cbranch_execz .LBB1820_136
; %bb.134:
	s_add_i32 s0, s2, 24
	s_cmp_gt_u32 s3, s0
	s_cselect_b64 s[14:15], -1, 0
	s_xor_b64 s[16:17], vcc, -1
	s_and_b64 s[14:15], s[14:15], s[16:17]
	s_and_b64 exec, exec, s[14:15]
	s_cbranch_execz .LBB1820_136
; %bb.135:
	s_sub_i32 s1, s3, s0
	s_min_u32 s1, s1, 8
	v_lshrrev_b32_e32 v2, s0, v2
	v_bfe_u32 v2, v2, 0, s1
	v_lshlrev_b32_e32 v3, 2, v1
	v_lshl_or_b32 v2, v2, 4, v3
	v_mov_b32_e32 v3, 1
	ds_add_u32 v2, v3 offset:12288
.LBB1820_136:
	s_or_b64 exec, exec, s[6:7]
	v_bfrev_b32_e32 v2, 1
	v_cmp_lt_i32_e32 vcc, -1, v9
	v_cndmask_b32_e32 v3, -1, v2, vcc
	v_xor_b32_e32 v3, v3, v9
	s_brev_b32 s0, -2
	v_cmp_le_u32_e32 vcc, s13, v10
	v_cmp_ne_u32_e64 s[0:1], s0, v3
	v_cndmask_b32_e64 v2, v2, v3, s[0:1]
	s_or_b64 s[0:1], s[4:5], vcc
	s_xor_b64 s[4:5], s[0:1], -1
	v_mov_b32_e32 v3, s18
	s_and_saveexec_b64 s[0:1], s[4:5]
	s_cbranch_execz .LBB1820_138
; %bb.137:
	s_sub_i32 s4, s3, s2
	s_min_u32 s4, s4, 8
	v_lshrrev_b32_e32 v3, s2, v2
	v_bfe_u32 v3, v3, 0, s4
	v_lshlrev_b32_e32 v4, 2, v1
	v_lshl_or_b32 v3, v3, 4, v4
	v_mov_b32_e32 v4, 1
	ds_add_u32 v3, v4
	v_mov_b32_e32 v3, 0
.LBB1820_138:
	s_or_b64 exec, exec, s[0:1]
	v_cmp_gt_i32_e64 s[0:1], 10, v3
	s_mov_b64 s[6:7], -1
	s_and_saveexec_b64 s[4:5], s[0:1]
; %bb.139:
	v_cmp_eq_u32_e64 s[0:1], 0, v3
	s_orn2_b64 s[6:7], s[0:1], exec
; %bb.140:
	s_or_b64 exec, exec, s[4:5]
	s_and_saveexec_b64 s[4:5], s[6:7]
	s_cbranch_execz .LBB1820_153
; %bb.141:
	s_add_i32 s6, s2, 8
	s_cmp_le_u32 s3, s6
	s_cselect_b64 s[0:1], -1, 0
	s_and_b64 s[14:15], s[0:1], exec
	s_cselect_b32 s7, 8, 10
	s_or_b64 s[0:1], s[0:1], vcc
	s_xor_b64 s[14:15], s[0:1], -1
	v_mov_b32_e32 v3, s7
	s_and_saveexec_b64 s[0:1], s[14:15]
	s_cbranch_execz .LBB1820_143
; %bb.142:
	s_sub_i32 s7, s3, s6
	s_min_u32 s7, s7, 8
	v_lshrrev_b32_e32 v3, s6, v2
	v_bfe_u32 v3, v3, 0, s7
	v_lshlrev_b32_e32 v4, 2, v1
	v_lshl_or_b32 v3, v3, 4, v4
	v_mov_b32_e32 v4, 1
	ds_add_u32 v3, v4 offset:4096
	v_mov_b32_e32 v3, 0
.LBB1820_143:
	s_or_b64 exec, exec, s[0:1]
	v_cmp_gt_i32_e64 s[0:1], 10, v3
	s_mov_b64 s[6:7], -1
	s_and_saveexec_b64 s[14:15], s[0:1]
; %bb.144:
	v_cmp_eq_u32_e64 s[0:1], 0, v3
	s_orn2_b64 s[6:7], s[0:1], exec
; %bb.145:
	s_or_b64 exec, exec, s[14:15]
	s_and_b64 exec, exec, s[6:7]
	s_cbranch_execz .LBB1820_153
; %bb.146:
	s_add_i32 s6, s2, 16
	s_cmp_le_u32 s3, s6
	s_cselect_b64 s[0:1], -1, 0
	s_and_b64 s[14:15], s[0:1], exec
	s_cselect_b32 s7, 8, 10
	s_or_b64 s[0:1], s[0:1], vcc
	s_xor_b64 s[14:15], s[0:1], -1
	v_mov_b32_e32 v3, s7
	s_and_saveexec_b64 s[0:1], s[14:15]
	s_cbranch_execz .LBB1820_148
; %bb.147:
	s_sub_i32 s7, s3, s6
	s_min_u32 s7, s7, 8
	v_lshrrev_b32_e32 v3, s6, v2
	v_bfe_u32 v3, v3, 0, s7
	v_lshlrev_b32_e32 v4, 2, v1
	v_lshl_or_b32 v3, v3, 4, v4
	v_mov_b32_e32 v4, 1
	ds_add_u32 v3, v4 offset:8192
	v_mov_b32_e32 v3, 0
.LBB1820_148:
	s_or_b64 exec, exec, s[0:1]
	v_cmp_gt_i32_e64 s[0:1], 10, v3
	s_mov_b64 s[6:7], -1
	s_and_saveexec_b64 s[14:15], s[0:1]
; %bb.149:
	v_cmp_eq_u32_e64 s[0:1], 0, v3
	s_orn2_b64 s[6:7], s[0:1], exec
; %bb.150:
	s_or_b64 exec, exec, s[14:15]
	s_and_b64 exec, exec, s[6:7]
	s_cbranch_execz .LBB1820_153
; %bb.151:
	s_add_i32 s0, s2, 24
	s_cmp_gt_u32 s3, s0
	s_cselect_b64 s[6:7], -1, 0
	s_xor_b64 s[14:15], vcc, -1
	s_and_b64 s[6:7], s[6:7], s[14:15]
	s_and_b64 exec, exec, s[6:7]
	s_cbranch_execz .LBB1820_153
; %bb.152:
	s_sub_i32 s1, s3, s0
	s_min_u32 s1, s1, 8
	v_lshrrev_b32_e32 v2, s0, v2
	v_bfe_u32 v2, v2, 0, s1
	v_lshlrev_b32_e32 v1, 2, v1
	v_lshl_or_b32 v1, v2, 4, v1
	v_mov_b32_e32 v2, 1
	ds_add_u32 v1, v2 offset:12288
.LBB1820_153:
	s_or_b64 exec, exec, s[4:5]
	s_cmp_gt_u32 s3, s2
	s_waitcnt lgkmcnt(0)
	s_barrier
	s_cbranch_scc0 .LBB1820_158
; %bb.154:
	s_movk_i32 s0, 0x100
	v_cmp_gt_u32_e32 vcc, s0, v0
	v_lshlrev_b32_e32 v1, 4, v0
	v_mov_b32_e32 v3, 0
	v_mov_b32_e32 v2, v0
	s_mov_b32 s6, s2
	s_branch .LBB1820_156
.LBB1820_155:                           ;   in Loop: Header=BB1820_156 Depth=1
	s_or_b64 exec, exec, s[4:5]
	s_add_i32 s6, s6, 8
	v_add_u32_e32 v2, 0x100, v2
	s_cmp_lt_u32 s6, s3
	v_add_u32_e32 v1, 0x1000, v1
	s_cbranch_scc0 .LBB1820_158
.LBB1820_156:                           ; =>This Inner Loop Header: Depth=1
	s_and_saveexec_b64 s[4:5], vcc
	s_cbranch_execz .LBB1820_155
; %bb.157:                              ;   in Loop: Header=BB1820_156 Depth=1
	ds_read2_b32 v[4:5], v1 offset1:1
	ds_read2_b32 v[6:7], v1 offset0:2 offset1:3
	v_lshlrev_b64 v[8:9], 2, v[2:3]
	v_mov_b32_e32 v10, s11
	s_waitcnt lgkmcnt(1)
	v_add_u32_e32 v4, v5, v4
	s_waitcnt lgkmcnt(0)
	v_add3_u32 v6, v4, v6, v7
	v_add_co_u32_e64 v4, s[0:1], s10, v8
	v_addc_co_u32_e64 v5, s[0:1], v10, v9, s[0:1]
	global_atomic_add v[4:5], v6, off
	s_branch .LBB1820_155
.LBB1820_158:
	s_mov_b64 s[0:1], 0
.LBB1820_159:
	s_and_b64 vcc, exec, s[0:1]
	s_cbranch_vccz .LBB1820_210
; %bb.160:
	s_cmp_eq_u32 s2, 0
	s_cselect_b64 s[0:1], -1, 0
	s_cmp_eq_u32 s3, 32
	s_mov_b32 s13, 0
	s_cselect_b64 s[4:5], -1, 0
	s_and_b64 s[4:5], s[0:1], s[4:5]
	s_lshl_b64 s[0:1], s[12:13], 2
	s_add_u32 s0, s8, s0
	s_addc_u32 s1, s9, s1
	v_lshlrev_b32_e32 v1, 2, v0
	v_mov_b32_e32 v2, s1
	v_add_co_u32_e32 v4, vcc, s0, v1
	v_addc_co_u32_e32 v10, vcc, 0, v2, vcc
	s_movk_i32 s6, 0x2000
	v_add_co_u32_e32 v2, vcc, s6, v4
	v_addc_co_u32_e32 v3, vcc, 0, v10, vcc
	s_movk_i32 s6, 0x4000
	;; [unrolled: 3-line block ×3, first 2 shown]
	v_add_co_u32_e32 v12, vcc, s6, v4
	v_addc_co_u32_e32 v13, vcc, 0, v10, vcc
	v_add_co_u32_e32 v14, vcc, 0x6000, v4
	v_addc_co_u32_e32 v15, vcc, 0, v10, vcc
	global_load_dword v6, v[2:3], off
	global_load_dword v7, v[8:9], off offset:-4096
	global_load_dword v5, v[8:9], off
	global_load_dword v11, v1, s[0:1]
	s_nop 0
	global_load_dword v8, v[12:13], off
	global_load_dword v9, v[14:15], off
	v_add_co_u32_e32 v14, vcc, 0x7000, v4
	v_addc_co_u32_e32 v15, vcc, 0, v10, vcc
	global_load_dword v12, v[2:3], off offset:-4096
	global_load_dword v10, v[14:15], off
	s_mov_b64 s[0:1], -1
	s_and_b64 vcc, exec, s[4:5]
	v_and_b32_e32 v4, 3, v0
	s_cbranch_vccnz .LBB1820_207
; %bb.161:
	s_cmp_gt_u32 s3, s2
	v_mov_b32_e32 v2, 0
	s_cselect_b64 s[4:5], -1, 0
	ds_write2st64_b32 v1, v2, v2 offset1:16
	ds_write2st64_b32 v1, v2, v2 offset0:32 offset1:48
	s_and_b64 vcc, exec, s[4:5]
	v_lshlrev_b32_e32 v2, 2, v4
	s_waitcnt lgkmcnt(0)
	s_barrier
	s_cbranch_vccz .LBB1820_166
; %bb.162:
	v_bfrev_b32_e32 v3, 1
	s_waitcnt vmcnt(4)
	v_cmp_lt_i32_e32 vcc, -1, v11
	v_cndmask_b32_e32 v13, -1, v3, vcc
	v_xor_b32_e32 v13, v13, v11
	s_brev_b32 s0, -2
	v_cmp_ne_u32_e32 vcc, s0, v13
	v_cndmask_b32_e32 v3, v3, v13, vcc
	s_sub_i32 s0, s3, s2
	s_min_u32 s0, s0, 8
	v_lshrrev_b32_e32 v13, s2, v3
	v_bfe_u32 v13, v13, 0, s0
	v_lshl_or_b32 v14, v13, 4, v2
	v_mov_b32_e32 v13, 1
	ds_add_u32 v14, v13
	s_add_i32 s0, s2, 8
	s_cmp_le_u32 s3, s0
	s_cbranch_scc1 .LBB1820_166
; %bb.163:
	s_sub_i32 s1, s3, s0
	s_min_u32 s1, s1, 8
	v_lshrrev_b32_e32 v14, s0, v3
	v_bfe_u32 v14, v14, 0, s1
	v_lshl_or_b32 v14, v14, 4, v2
	ds_add_u32 v14, v13 offset:4096
	s_add_i32 s0, s2, 16
	s_cmp_le_u32 s3, s0
	s_cbranch_scc1 .LBB1820_166
; %bb.164:
	s_sub_i32 s1, s3, s0
	s_min_u32 s1, s1, 8
	v_lshrrev_b32_e32 v13, s0, v3
	v_bfe_u32 v13, v13, 0, s1
	v_lshl_or_b32 v14, v13, 4, v2
	v_mov_b32_e32 v13, 1
	ds_add_u32 v14, v13 offset:8192
	s_add_i32 s0, s2, 24
	s_cmp_le_u32 s3, s0
	s_cbranch_scc1 .LBB1820_166
; %bb.165:
	s_sub_i32 s1, s3, s0
	s_min_u32 s1, s1, 8
	v_lshrrev_b32_e32 v3, s0, v3
	v_bfe_u32 v3, v3, 0, s1
	v_lshl_or_b32 v3, v3, 4, v2
	ds_add_u32 v3, v13 offset:12288
.LBB1820_166:
	v_cndmask_b32_e64 v3, 0, 1, s[4:5]
	v_cmp_ne_u32_e64 s[0:1], 1, v3
	s_andn2_b64 vcc, exec, s[4:5]
	s_cbranch_vccnz .LBB1820_171
; %bb.167:
	v_bfrev_b32_e32 v3, 1
	s_waitcnt vmcnt(1)
	v_cmp_lt_i32_e32 vcc, -1, v12
	v_cndmask_b32_e32 v13, -1, v3, vcc
	v_xor_b32_e32 v13, v13, v12
	s_brev_b32 s6, -2
	v_cmp_ne_u32_e32 vcc, s6, v13
	v_cndmask_b32_e32 v3, v3, v13, vcc
	s_sub_i32 s6, s3, s2
	s_min_u32 s6, s6, 8
	v_lshrrev_b32_e32 v13, s2, v3
	v_bfe_u32 v13, v13, 0, s6
	v_lshl_or_b32 v14, v13, 4, v2
	v_mov_b32_e32 v13, 1
	ds_add_u32 v14, v13
	s_add_i32 s6, s2, 8
	s_cmp_le_u32 s3, s6
	s_cbranch_scc1 .LBB1820_171
; %bb.168:
	s_sub_i32 s7, s3, s6
	s_min_u32 s7, s7, 8
	v_lshrrev_b32_e32 v14, s6, v3
	v_bfe_u32 v14, v14, 0, s7
	v_lshl_or_b32 v14, v14, 4, v2
	ds_add_u32 v14, v13 offset:4096
	s_add_i32 s6, s2, 16
	s_cmp_le_u32 s3, s6
	s_cbranch_scc1 .LBB1820_171
; %bb.169:
	s_sub_i32 s7, s3, s6
	s_min_u32 s7, s7, 8
	v_lshrrev_b32_e32 v13, s6, v3
	v_bfe_u32 v13, v13, 0, s7
	v_lshl_or_b32 v14, v13, 4, v2
	v_mov_b32_e32 v13, 1
	ds_add_u32 v14, v13 offset:8192
	s_add_i32 s6, s2, 24
	s_cmp_le_u32 s3, s6
	s_cbranch_scc1 .LBB1820_171
; %bb.170:
	s_sub_i32 s7, s3, s6
	s_min_u32 s7, s7, 8
	v_lshrrev_b32_e32 v3, s6, v3
	v_bfe_u32 v3, v3, 0, s7
	v_lshl_or_b32 v3, v3, 4, v2
	ds_add_u32 v3, v13 offset:12288
.LBB1820_171:
	s_and_b64 vcc, exec, s[0:1]
	s_cbranch_vccnz .LBB1820_176
; %bb.172:
	v_bfrev_b32_e32 v3, 1
	s_waitcnt vmcnt(7)
	v_cmp_lt_i32_e32 vcc, -1, v6
	v_cndmask_b32_e32 v13, -1, v3, vcc
	v_xor_b32_e32 v13, v13, v6
	s_brev_b32 s6, -2
	v_cmp_ne_u32_e32 vcc, s6, v13
	v_cndmask_b32_e32 v3, v3, v13, vcc
	s_sub_i32 s6, s3, s2
	s_min_u32 s6, s6, 8
	v_lshrrev_b32_e32 v13, s2, v3
	v_bfe_u32 v13, v13, 0, s6
	v_lshl_or_b32 v14, v13, 4, v2
	v_mov_b32_e32 v13, 1
	ds_add_u32 v14, v13
	s_add_i32 s6, s2, 8
	s_cmp_le_u32 s3, s6
	s_cbranch_scc1 .LBB1820_176
; %bb.173:
	s_sub_i32 s7, s3, s6
	s_min_u32 s7, s7, 8
	v_lshrrev_b32_e32 v14, s6, v3
	v_bfe_u32 v14, v14, 0, s7
	v_lshl_or_b32 v14, v14, 4, v2
	ds_add_u32 v14, v13 offset:4096
	s_add_i32 s6, s2, 16
	s_cmp_le_u32 s3, s6
	s_cbranch_scc1 .LBB1820_176
; %bb.174:
	s_sub_i32 s7, s3, s6
	s_min_u32 s7, s7, 8
	v_lshrrev_b32_e32 v13, s6, v3
	v_bfe_u32 v13, v13, 0, s7
	v_lshl_or_b32 v14, v13, 4, v2
	v_mov_b32_e32 v13, 1
	ds_add_u32 v14, v13 offset:8192
	s_add_i32 s6, s2, 24
	s_cmp_le_u32 s3, s6
	s_cbranch_scc1 .LBB1820_176
; %bb.175:
	s_sub_i32 s7, s3, s6
	s_min_u32 s7, s7, 8
	v_lshrrev_b32_e32 v3, s6, v3
	v_bfe_u32 v3, v3, 0, s7
	v_lshl_or_b32 v3, v3, 4, v2
	ds_add_u32 v3, v13 offset:12288
.LBB1820_176:
	s_and_b64 vcc, exec, s[0:1]
	s_cbranch_vccnz .LBB1820_181
; %bb.177:
	v_bfrev_b32_e32 v3, 1
	s_waitcnt vmcnt(6)
	v_cmp_lt_i32_e32 vcc, -1, v7
	v_cndmask_b32_e32 v13, -1, v3, vcc
	v_xor_b32_e32 v13, v13, v7
	s_brev_b32 s6, -2
	v_cmp_ne_u32_e32 vcc, s6, v13
	v_cndmask_b32_e32 v3, v3, v13, vcc
	s_sub_i32 s6, s3, s2
	s_min_u32 s6, s6, 8
	v_lshrrev_b32_e32 v13, s2, v3
	v_bfe_u32 v13, v13, 0, s6
	v_lshl_or_b32 v14, v13, 4, v2
	v_mov_b32_e32 v13, 1
	ds_add_u32 v14, v13
	s_add_i32 s6, s2, 8
	s_cmp_le_u32 s3, s6
	s_cbranch_scc1 .LBB1820_181
; %bb.178:
	s_sub_i32 s7, s3, s6
	s_min_u32 s7, s7, 8
	v_lshrrev_b32_e32 v14, s6, v3
	v_bfe_u32 v14, v14, 0, s7
	v_lshl_or_b32 v14, v14, 4, v2
	ds_add_u32 v14, v13 offset:4096
	s_add_i32 s6, s2, 16
	s_cmp_le_u32 s3, s6
	s_cbranch_scc1 .LBB1820_181
; %bb.179:
	s_sub_i32 s7, s3, s6
	s_min_u32 s7, s7, 8
	v_lshrrev_b32_e32 v13, s6, v3
	v_bfe_u32 v13, v13, 0, s7
	v_lshl_or_b32 v14, v13, 4, v2
	v_mov_b32_e32 v13, 1
	ds_add_u32 v14, v13 offset:8192
	s_add_i32 s6, s2, 24
	s_cmp_le_u32 s3, s6
	s_cbranch_scc1 .LBB1820_181
; %bb.180:
	s_sub_i32 s7, s3, s6
	s_min_u32 s7, s7, 8
	v_lshrrev_b32_e32 v3, s6, v3
	v_bfe_u32 v3, v3, 0, s7
	v_lshl_or_b32 v3, v3, 4, v2
	ds_add_u32 v3, v13 offset:12288
.LBB1820_181:
	s_and_b64 vcc, exec, s[0:1]
	s_cbranch_vccnz .LBB1820_186
; %bb.182:
	v_bfrev_b32_e32 v3, 1
	s_waitcnt vmcnt(5)
	v_cmp_lt_i32_e32 vcc, -1, v5
	v_cndmask_b32_e32 v13, -1, v3, vcc
	v_xor_b32_e32 v13, v13, v5
	s_brev_b32 s6, -2
	v_cmp_ne_u32_e32 vcc, s6, v13
	v_cndmask_b32_e32 v3, v3, v13, vcc
	s_sub_i32 s6, s3, s2
	s_min_u32 s6, s6, 8
	v_lshrrev_b32_e32 v13, s2, v3
	v_bfe_u32 v13, v13, 0, s6
	v_lshl_or_b32 v14, v13, 4, v2
	v_mov_b32_e32 v13, 1
	ds_add_u32 v14, v13
	s_add_i32 s6, s2, 8
	s_cmp_le_u32 s3, s6
	s_cbranch_scc1 .LBB1820_186
; %bb.183:
	s_sub_i32 s7, s3, s6
	s_min_u32 s7, s7, 8
	v_lshrrev_b32_e32 v14, s6, v3
	v_bfe_u32 v14, v14, 0, s7
	v_lshl_or_b32 v14, v14, 4, v2
	ds_add_u32 v14, v13 offset:4096
	s_add_i32 s6, s2, 16
	s_cmp_le_u32 s3, s6
	s_cbranch_scc1 .LBB1820_186
; %bb.184:
	s_sub_i32 s7, s3, s6
	s_min_u32 s7, s7, 8
	v_lshrrev_b32_e32 v13, s6, v3
	v_bfe_u32 v13, v13, 0, s7
	v_lshl_or_b32 v14, v13, 4, v2
	v_mov_b32_e32 v13, 1
	ds_add_u32 v14, v13 offset:8192
	s_add_i32 s6, s2, 24
	s_cmp_le_u32 s3, s6
	s_cbranch_scc1 .LBB1820_186
; %bb.185:
	s_sub_i32 s7, s3, s6
	s_min_u32 s7, s7, 8
	v_lshrrev_b32_e32 v3, s6, v3
	v_bfe_u32 v3, v3, 0, s7
	v_lshl_or_b32 v3, v3, 4, v2
	ds_add_u32 v3, v13 offset:12288
.LBB1820_186:
	s_and_b64 vcc, exec, s[0:1]
	s_cbranch_vccnz .LBB1820_191
; %bb.187:
	v_bfrev_b32_e32 v3, 1
	s_waitcnt vmcnt(3)
	v_cmp_lt_i32_e32 vcc, -1, v8
	v_cndmask_b32_e32 v13, -1, v3, vcc
	v_xor_b32_e32 v13, v13, v8
	s_brev_b32 s6, -2
	v_cmp_ne_u32_e32 vcc, s6, v13
	v_cndmask_b32_e32 v3, v3, v13, vcc
	s_sub_i32 s6, s3, s2
	s_min_u32 s6, s6, 8
	v_lshrrev_b32_e32 v13, s2, v3
	v_bfe_u32 v13, v13, 0, s6
	v_lshl_or_b32 v14, v13, 4, v2
	v_mov_b32_e32 v13, 1
	ds_add_u32 v14, v13
	s_add_i32 s6, s2, 8
	s_cmp_le_u32 s3, s6
	s_cbranch_scc1 .LBB1820_191
; %bb.188:
	s_sub_i32 s7, s3, s6
	s_min_u32 s7, s7, 8
	v_lshrrev_b32_e32 v14, s6, v3
	v_bfe_u32 v14, v14, 0, s7
	v_lshl_or_b32 v14, v14, 4, v2
	ds_add_u32 v14, v13 offset:4096
	s_add_i32 s6, s2, 16
	s_cmp_le_u32 s3, s6
	s_cbranch_scc1 .LBB1820_191
; %bb.189:
	s_sub_i32 s7, s3, s6
	s_min_u32 s7, s7, 8
	v_lshrrev_b32_e32 v13, s6, v3
	v_bfe_u32 v13, v13, 0, s7
	v_lshl_or_b32 v14, v13, 4, v2
	v_mov_b32_e32 v13, 1
	ds_add_u32 v14, v13 offset:8192
	s_add_i32 s6, s2, 24
	s_cmp_le_u32 s3, s6
	s_cbranch_scc1 .LBB1820_191
; %bb.190:
	s_sub_i32 s7, s3, s6
	s_min_u32 s7, s7, 8
	v_lshrrev_b32_e32 v3, s6, v3
	v_bfe_u32 v3, v3, 0, s7
	v_lshl_or_b32 v3, v3, 4, v2
	ds_add_u32 v3, v13 offset:12288
.LBB1820_191:
	s_and_b64 vcc, exec, s[0:1]
	s_cbranch_vccnz .LBB1820_196
; %bb.192:
	v_bfrev_b32_e32 v3, 1
	s_waitcnt vmcnt(2)
	v_cmp_lt_i32_e32 vcc, -1, v9
	v_cndmask_b32_e32 v13, -1, v3, vcc
	v_xor_b32_e32 v13, v13, v9
	s_brev_b32 s6, -2
	v_cmp_ne_u32_e32 vcc, s6, v13
	v_cndmask_b32_e32 v3, v3, v13, vcc
	s_sub_i32 s6, s3, s2
	s_min_u32 s6, s6, 8
	v_lshrrev_b32_e32 v13, s2, v3
	v_bfe_u32 v13, v13, 0, s6
	v_lshl_or_b32 v14, v13, 4, v2
	v_mov_b32_e32 v13, 1
	ds_add_u32 v14, v13
	s_add_i32 s6, s2, 8
	s_cmp_le_u32 s3, s6
	s_cbranch_scc1 .LBB1820_196
; %bb.193:
	s_sub_i32 s7, s3, s6
	s_min_u32 s7, s7, 8
	v_lshrrev_b32_e32 v14, s6, v3
	v_bfe_u32 v14, v14, 0, s7
	v_lshl_or_b32 v14, v14, 4, v2
	ds_add_u32 v14, v13 offset:4096
	s_add_i32 s6, s2, 16
	s_cmp_le_u32 s3, s6
	s_cbranch_scc1 .LBB1820_196
; %bb.194:
	s_sub_i32 s7, s3, s6
	s_min_u32 s7, s7, 8
	v_lshrrev_b32_e32 v13, s6, v3
	v_bfe_u32 v13, v13, 0, s7
	v_lshl_or_b32 v14, v13, 4, v2
	v_mov_b32_e32 v13, 1
	ds_add_u32 v14, v13 offset:8192
	s_add_i32 s6, s2, 24
	s_cmp_le_u32 s3, s6
	s_cbranch_scc1 .LBB1820_196
; %bb.195:
	s_sub_i32 s7, s3, s6
	s_min_u32 s7, s7, 8
	v_lshrrev_b32_e32 v3, s6, v3
	v_bfe_u32 v3, v3, 0, s7
	v_lshl_or_b32 v3, v3, 4, v2
	ds_add_u32 v3, v13 offset:12288
.LBB1820_196:
	s_and_b64 vcc, exec, s[0:1]
	s_cbranch_vccnz .LBB1820_201
; %bb.197:
	v_bfrev_b32_e32 v3, 1
	s_waitcnt vmcnt(0)
	v_cmp_lt_i32_e32 vcc, -1, v10
	v_cndmask_b32_e32 v13, -1, v3, vcc
	v_xor_b32_e32 v13, v13, v10
	s_brev_b32 s0, -2
	v_cmp_ne_u32_e32 vcc, s0, v13
	v_cndmask_b32_e32 v3, v3, v13, vcc
	s_sub_i32 s0, s3, s2
	s_min_u32 s0, s0, 8
	v_lshrrev_b32_e32 v13, s2, v3
	v_bfe_u32 v13, v13, 0, s0
	v_lshl_or_b32 v14, v13, 4, v2
	v_mov_b32_e32 v13, 1
	ds_add_u32 v14, v13
	s_add_i32 s0, s2, 8
	s_cmp_le_u32 s3, s0
	s_cbranch_scc1 .LBB1820_201
; %bb.198:
	s_sub_i32 s1, s3, s0
	s_min_u32 s1, s1, 8
	v_lshrrev_b32_e32 v14, s0, v3
	v_bfe_u32 v14, v14, 0, s1
	v_lshl_or_b32 v14, v14, 4, v2
	ds_add_u32 v14, v13 offset:4096
	s_add_i32 s0, s2, 16
	s_cmp_le_u32 s3, s0
	s_cbranch_scc1 .LBB1820_201
; %bb.199:
	s_sub_i32 s1, s3, s0
	s_min_u32 s1, s1, 8
	v_lshrrev_b32_e32 v13, s0, v3
	v_bfe_u32 v13, v13, 0, s1
	v_lshl_or_b32 v14, v13, 4, v2
	v_mov_b32_e32 v13, 1
	ds_add_u32 v14, v13 offset:8192
	s_add_i32 s0, s2, 24
	s_cmp_le_u32 s3, s0
	s_cbranch_scc1 .LBB1820_201
; %bb.200:
	s_sub_i32 s1, s3, s0
	s_min_u32 s1, s1, 8
	v_lshrrev_b32_e32 v3, s0, v3
	v_bfe_u32 v3, v3, 0, s1
	v_lshl_or_b32 v2, v3, 4, v2
	ds_add_u32 v2, v13 offset:12288
.LBB1820_201:
	s_and_b64 vcc, exec, s[4:5]
	s_waitcnt lgkmcnt(0)
	s_barrier
	s_cbranch_vccz .LBB1820_206
; %bb.202:
	s_movk_i32 s0, 0x100
	v_cmp_gt_u32_e32 vcc, s0, v0
	v_lshlrev_b32_e32 v13, 4, v0
	v_mov_b32_e32 v3, 0
	v_mov_b32_e32 v2, v0
	s_branch .LBB1820_204
.LBB1820_203:                           ;   in Loop: Header=BB1820_204 Depth=1
	s_or_b64 exec, exec, s[4:5]
	s_add_i32 s2, s2, 8
	v_add_u32_e32 v2, 0x100, v2
	s_cmp_ge_u32 s2, s3
	v_add_u32_e32 v13, 0x1000, v13
	s_cbranch_scc1 .LBB1820_206
.LBB1820_204:                           ; =>This Inner Loop Header: Depth=1
	s_and_saveexec_b64 s[4:5], vcc
	s_cbranch_execz .LBB1820_203
; %bb.205:                              ;   in Loop: Header=BB1820_204 Depth=1
	ds_read2_b32 v[14:15], v13 offset1:1
	ds_read2_b32 v[16:17], v13 offset0:2 offset1:3
	v_lshlrev_b64 v[18:19], 2, v[2:3]
	v_mov_b32_e32 v20, s11
	s_waitcnt lgkmcnt(1)
	v_add_u32_e32 v14, v15, v14
	s_waitcnt lgkmcnt(0)
	v_add3_u32 v16, v14, v16, v17
	v_add_co_u32_e64 v14, s[0:1], s10, v18
	v_addc_co_u32_e64 v15, s[0:1], v20, v19, s[0:1]
	global_atomic_add v[14:15], v16, off
	s_branch .LBB1820_203
.LBB1820_206:
	s_mov_b64 s[0:1], 0
.LBB1820_207:
	s_and_b64 vcc, exec, s[0:1]
	s_cbranch_vccz .LBB1820_210
; %bb.208:
	v_mov_b32_e32 v2, 0
	ds_write2st64_b32 v1, v2, v2 offset1:16
	ds_write2st64_b32 v1, v2, v2 offset0:32 offset1:48
	v_bfrev_b32_e32 v2, 1
	s_waitcnt vmcnt(4)
	v_cmp_lt_i32_e32 vcc, -1, v11
	v_cndmask_b32_e32 v3, -1, v2, vcc
	s_waitcnt vmcnt(1)
	v_cmp_lt_i32_e32 vcc, -1, v12
	v_xor_b32_e32 v3, v3, v11
	v_cndmask_b32_e32 v11, -1, v2, vcc
	v_cmp_lt_i32_e32 vcc, -1, v6
	v_xor_b32_e32 v11, v11, v12
	v_cndmask_b32_e32 v12, -1, v2, vcc
	;; [unrolled: 3-line block ×6, first 2 shown]
	s_waitcnt vmcnt(0)
	v_cmp_lt_i32_e32 vcc, -1, v10
	s_brev_b32 s0, -2
	v_xor_b32_e32 v9, v12, v9
	v_cndmask_b32_e32 v12, -1, v2, vcc
	v_cmp_ne_u32_e32 vcc, s0, v3
	v_cndmask_b32_e32 v3, v2, v3, vcc
	v_xor_b32_e32 v10, v12, v10
	v_lshlrev_b32_e32 v12, 2, v3
	s_movk_i32 s1, 0x3fc
	v_and_or_b32 v12, v12, s1, v4
	v_lshlrev_b32_e32 v12, 2, v12
	v_mov_b32_e32 v13, 1
	s_waitcnt lgkmcnt(0)
	s_barrier
	ds_add_u32 v12, v13
	v_bfe_u32 v12, v3, 8, 8
	v_lshl_or_b32 v12, v12, 2, v4
	v_lshlrev_b32_e32 v12, 2, v12
	ds_add_u32 v12, v13 offset:4096
	v_bfe_u32 v12, v3, 16, 8
	v_lshl_or_b32 v12, v12, 2, v4
	v_lshrrev_b32_e32 v3, 24, v3
	v_lshlrev_b32_e32 v12, 2, v12
	v_lshl_or_b32 v3, v3, 2, v4
	ds_add_u32 v12, v13 offset:8192
	v_lshlrev_b32_e32 v3, 2, v3
	v_cmp_ne_u32_e32 vcc, s0, v11
	ds_add_u32 v3, v13 offset:12288
	v_cndmask_b32_e32 v3, v2, v11, vcc
	v_lshlrev_b32_e32 v11, 2, v3
	v_and_or_b32 v11, v11, s1, v4
	v_lshlrev_b32_e32 v11, 2, v11
	ds_add_u32 v11, v13
	v_bfe_u32 v11, v3, 8, 8
	v_lshl_or_b32 v11, v11, 2, v4
	v_lshlrev_b32_e32 v11, 2, v11
	ds_add_u32 v11, v13 offset:4096
	v_bfe_u32 v11, v3, 16, 8
	v_lshl_or_b32 v11, v11, 2, v4
	v_lshrrev_b32_e32 v3, 24, v3
	v_lshlrev_b32_e32 v11, 2, v11
	v_lshl_or_b32 v3, v3, 2, v4
	ds_add_u32 v11, v13 offset:8192
	v_lshlrev_b32_e32 v3, 2, v3
	v_cmp_ne_u32_e32 vcc, s0, v6
	ds_add_u32 v3, v13 offset:12288
	v_cndmask_b32_e32 v3, v2, v6, vcc
	v_lshlrev_b32_e32 v6, 2, v3
	v_and_or_b32 v6, v6, s1, v4
	v_lshlrev_b32_e32 v6, 2, v6
	;; [unrolled: 18-line block ×6, first 2 shown]
	ds_add_u32 v5, v13
	v_bfe_u32 v5, v3, 8, 8
	v_lshl_or_b32 v5, v5, 2, v4
	v_lshlrev_b32_e32 v5, 2, v5
	ds_add_u32 v5, v13 offset:4096
	v_bfe_u32 v5, v3, 16, 8
	v_lshl_or_b32 v5, v5, 2, v4
	v_lshrrev_b32_e32 v3, 24, v3
	v_lshlrev_b32_e32 v5, 2, v5
	v_lshl_or_b32 v3, v3, 2, v4
	v_cmp_ne_u32_e32 vcc, s0, v10
	ds_add_u32 v5, v13 offset:8192
	v_lshlrev_b32_e32 v3, 2, v3
	v_cndmask_b32_e32 v2, v2, v10, vcc
	ds_add_u32 v3, v13 offset:12288
	v_lshlrev_b32_e32 v3, 2, v2
	v_and_or_b32 v3, v3, s1, v4
	v_lshlrev_b32_e32 v3, 2, v3
	ds_add_u32 v3, v13
	v_bfe_u32 v3, v2, 8, 8
	v_lshl_or_b32 v3, v3, 2, v4
	v_lshlrev_b32_e32 v3, 2, v3
	ds_add_u32 v3, v13 offset:4096
	v_bfe_u32 v3, v2, 16, 8
	v_lshl_or_b32 v3, v3, 2, v4
	v_lshrrev_b32_e32 v2, 24, v2
	v_lshlrev_b32_e32 v3, 2, v3
	v_lshl_or_b32 v2, v2, 2, v4
	ds_add_u32 v3, v13 offset:8192
	v_lshlrev_b32_e32 v2, 2, v2
	ds_add_u32 v2, v13 offset:12288
	s_movk_i32 s0, 0x100
	v_cmp_gt_u32_e32 vcc, s0, v0
	s_waitcnt lgkmcnt(0)
	s_barrier
	s_and_saveexec_b64 s[0:1], vcc
	s_cbranch_execz .LBB1820_210
; %bb.209:
	v_lshlrev_b32_e32 v0, 4, v0
	ds_read2_b32 v[2:3], v0 offset1:1
	ds_read2_b32 v[4:5], v0 offset0:2 offset1:3
	v_add_u32_e32 v6, 0x1000, v0
	v_add_u32_e32 v7, 0x1008, v0
	s_waitcnt lgkmcnt(1)
	v_add_u32_e32 v2, v3, v2
	s_waitcnt lgkmcnt(0)
	v_add3_u32 v2, v2, v4, v5
	global_atomic_add v1, v2, s[10:11]
	ds_read2_b32 v[2:3], v6 offset1:1
	ds_read2_b32 v[4:5], v7 offset1:1
	v_add_u32_e32 v6, 0x2000, v0
	v_add_u32_e32 v7, 0x2008, v0
	s_waitcnt lgkmcnt(1)
	v_add_u32_e32 v2, v3, v2
	s_waitcnt lgkmcnt(0)
	v_add3_u32 v2, v2, v4, v5
	global_atomic_add v1, v2, s[10:11] offset:1024
	ds_read2_b32 v[2:3], v6 offset1:1
	ds_read2_b32 v[4:5], v7 offset1:1
	v_add_u32_e32 v6, 0x3000, v0
	v_add_u32_e32 v0, 0x3008, v0
	s_waitcnt lgkmcnt(1)
	v_add_u32_e32 v2, v3, v2
	s_waitcnt lgkmcnt(0)
	v_add3_u32 v2, v2, v4, v5
	global_atomic_add v1, v2, s[10:11] offset:2048
	ds_read2_b32 v[2:3], v6 offset1:1
	ds_read2_b32 v[4:5], v0 offset1:1
	s_waitcnt lgkmcnt(1)
	v_add_u32_e32 v0, v3, v2
	s_waitcnt lgkmcnt(0)
	v_add3_u32 v0, v0, v4, v5
	global_atomic_add v1, v0, s[10:11] offset:3072
.LBB1820_210:
	s_endpgm
	.section	.rodata,"a",@progbits
	.p2align	6, 0x0
	.amdhsa_kernel _ZN7rocprim17ROCPRIM_400000_NS6detail17trampoline_kernelINS0_14default_configENS1_35radix_sort_onesweep_config_selectorIflEEZNS1_34radix_sort_onesweep_global_offsetsIS3_Lb0EPfN6thrust23THRUST_200600_302600_NS10device_ptrIlEEjNS0_19identity_decomposerEEE10hipError_tT1_T2_PT3_SG_jT4_jjP12ihipStream_tbEUlT_E_NS1_11comp_targetILNS1_3genE4ELNS1_11target_archE910ELNS1_3gpuE8ELNS1_3repE0EEENS1_52radix_sort_onesweep_histogram_config_static_selectorELNS0_4arch9wavefront6targetE1EEEvSE_
		.amdhsa_group_segment_fixed_size 16384
		.amdhsa_private_segment_fixed_size 0
		.amdhsa_kernarg_size 40
		.amdhsa_user_sgpr_count 6
		.amdhsa_user_sgpr_private_segment_buffer 1
		.amdhsa_user_sgpr_dispatch_ptr 0
		.amdhsa_user_sgpr_queue_ptr 0
		.amdhsa_user_sgpr_kernarg_segment_ptr 1
		.amdhsa_user_sgpr_dispatch_id 0
		.amdhsa_user_sgpr_flat_scratch_init 0
		.amdhsa_user_sgpr_kernarg_preload_length 0
		.amdhsa_user_sgpr_kernarg_preload_offset 0
		.amdhsa_user_sgpr_private_segment_size 0
		.amdhsa_uses_dynamic_stack 0
		.amdhsa_system_sgpr_private_segment_wavefront_offset 0
		.amdhsa_system_sgpr_workgroup_id_x 1
		.amdhsa_system_sgpr_workgroup_id_y 0
		.amdhsa_system_sgpr_workgroup_id_z 0
		.amdhsa_system_sgpr_workgroup_info 0
		.amdhsa_system_vgpr_workitem_id 0
		.amdhsa_next_free_vgpr 21
		.amdhsa_next_free_sgpr 19
		.amdhsa_accum_offset 24
		.amdhsa_reserve_vcc 1
		.amdhsa_reserve_flat_scratch 0
		.amdhsa_float_round_mode_32 0
		.amdhsa_float_round_mode_16_64 0
		.amdhsa_float_denorm_mode_32 3
		.amdhsa_float_denorm_mode_16_64 3
		.amdhsa_dx10_clamp 1
		.amdhsa_ieee_mode 1
		.amdhsa_fp16_overflow 0
		.amdhsa_tg_split 0
		.amdhsa_exception_fp_ieee_invalid_op 0
		.amdhsa_exception_fp_denorm_src 0
		.amdhsa_exception_fp_ieee_div_zero 0
		.amdhsa_exception_fp_ieee_overflow 0
		.amdhsa_exception_fp_ieee_underflow 0
		.amdhsa_exception_fp_ieee_inexact 0
		.amdhsa_exception_int_div_zero 0
	.end_amdhsa_kernel
	.section	.text._ZN7rocprim17ROCPRIM_400000_NS6detail17trampoline_kernelINS0_14default_configENS1_35radix_sort_onesweep_config_selectorIflEEZNS1_34radix_sort_onesweep_global_offsetsIS3_Lb0EPfN6thrust23THRUST_200600_302600_NS10device_ptrIlEEjNS0_19identity_decomposerEEE10hipError_tT1_T2_PT3_SG_jT4_jjP12ihipStream_tbEUlT_E_NS1_11comp_targetILNS1_3genE4ELNS1_11target_archE910ELNS1_3gpuE8ELNS1_3repE0EEENS1_52radix_sort_onesweep_histogram_config_static_selectorELNS0_4arch9wavefront6targetE1EEEvSE_,"axG",@progbits,_ZN7rocprim17ROCPRIM_400000_NS6detail17trampoline_kernelINS0_14default_configENS1_35radix_sort_onesweep_config_selectorIflEEZNS1_34radix_sort_onesweep_global_offsetsIS3_Lb0EPfN6thrust23THRUST_200600_302600_NS10device_ptrIlEEjNS0_19identity_decomposerEEE10hipError_tT1_T2_PT3_SG_jT4_jjP12ihipStream_tbEUlT_E_NS1_11comp_targetILNS1_3genE4ELNS1_11target_archE910ELNS1_3gpuE8ELNS1_3repE0EEENS1_52radix_sort_onesweep_histogram_config_static_selectorELNS0_4arch9wavefront6targetE1EEEvSE_,comdat
.Lfunc_end1820:
	.size	_ZN7rocprim17ROCPRIM_400000_NS6detail17trampoline_kernelINS0_14default_configENS1_35radix_sort_onesweep_config_selectorIflEEZNS1_34radix_sort_onesweep_global_offsetsIS3_Lb0EPfN6thrust23THRUST_200600_302600_NS10device_ptrIlEEjNS0_19identity_decomposerEEE10hipError_tT1_T2_PT3_SG_jT4_jjP12ihipStream_tbEUlT_E_NS1_11comp_targetILNS1_3genE4ELNS1_11target_archE910ELNS1_3gpuE8ELNS1_3repE0EEENS1_52radix_sort_onesweep_histogram_config_static_selectorELNS0_4arch9wavefront6targetE1EEEvSE_, .Lfunc_end1820-_ZN7rocprim17ROCPRIM_400000_NS6detail17trampoline_kernelINS0_14default_configENS1_35radix_sort_onesweep_config_selectorIflEEZNS1_34radix_sort_onesweep_global_offsetsIS3_Lb0EPfN6thrust23THRUST_200600_302600_NS10device_ptrIlEEjNS0_19identity_decomposerEEE10hipError_tT1_T2_PT3_SG_jT4_jjP12ihipStream_tbEUlT_E_NS1_11comp_targetILNS1_3genE4ELNS1_11target_archE910ELNS1_3gpuE8ELNS1_3repE0EEENS1_52radix_sort_onesweep_histogram_config_static_selectorELNS0_4arch9wavefront6targetE1EEEvSE_
                                        ; -- End function
	.section	.AMDGPU.csdata,"",@progbits
; Kernel info:
; codeLenInByte = 8072
; NumSgprs: 23
; NumVgprs: 21
; NumAgprs: 0
; TotalNumVgprs: 21
; ScratchSize: 0
; MemoryBound: 0
; FloatMode: 240
; IeeeMode: 1
; LDSByteSize: 16384 bytes/workgroup (compile time only)
; SGPRBlocks: 2
; VGPRBlocks: 2
; NumSGPRsForWavesPerEU: 23
; NumVGPRsForWavesPerEU: 21
; AccumOffset: 24
; Occupancy: 8
; WaveLimiterHint : 1
; COMPUTE_PGM_RSRC2:SCRATCH_EN: 0
; COMPUTE_PGM_RSRC2:USER_SGPR: 6
; COMPUTE_PGM_RSRC2:TRAP_HANDLER: 0
; COMPUTE_PGM_RSRC2:TGID_X_EN: 1
; COMPUTE_PGM_RSRC2:TGID_Y_EN: 0
; COMPUTE_PGM_RSRC2:TGID_Z_EN: 0
; COMPUTE_PGM_RSRC2:TIDIG_COMP_CNT: 0
; COMPUTE_PGM_RSRC3_GFX90A:ACCUM_OFFSET: 5
; COMPUTE_PGM_RSRC3_GFX90A:TG_SPLIT: 0
	.section	.text._ZN7rocprim17ROCPRIM_400000_NS6detail17trampoline_kernelINS0_14default_configENS1_35radix_sort_onesweep_config_selectorIflEEZNS1_34radix_sort_onesweep_global_offsetsIS3_Lb0EPfN6thrust23THRUST_200600_302600_NS10device_ptrIlEEjNS0_19identity_decomposerEEE10hipError_tT1_T2_PT3_SG_jT4_jjP12ihipStream_tbEUlT_E_NS1_11comp_targetILNS1_3genE3ELNS1_11target_archE908ELNS1_3gpuE7ELNS1_3repE0EEENS1_52radix_sort_onesweep_histogram_config_static_selectorELNS0_4arch9wavefront6targetE1EEEvSE_,"axG",@progbits,_ZN7rocprim17ROCPRIM_400000_NS6detail17trampoline_kernelINS0_14default_configENS1_35radix_sort_onesweep_config_selectorIflEEZNS1_34radix_sort_onesweep_global_offsetsIS3_Lb0EPfN6thrust23THRUST_200600_302600_NS10device_ptrIlEEjNS0_19identity_decomposerEEE10hipError_tT1_T2_PT3_SG_jT4_jjP12ihipStream_tbEUlT_E_NS1_11comp_targetILNS1_3genE3ELNS1_11target_archE908ELNS1_3gpuE7ELNS1_3repE0EEENS1_52radix_sort_onesweep_histogram_config_static_selectorELNS0_4arch9wavefront6targetE1EEEvSE_,comdat
	.protected	_ZN7rocprim17ROCPRIM_400000_NS6detail17trampoline_kernelINS0_14default_configENS1_35radix_sort_onesweep_config_selectorIflEEZNS1_34radix_sort_onesweep_global_offsetsIS3_Lb0EPfN6thrust23THRUST_200600_302600_NS10device_ptrIlEEjNS0_19identity_decomposerEEE10hipError_tT1_T2_PT3_SG_jT4_jjP12ihipStream_tbEUlT_E_NS1_11comp_targetILNS1_3genE3ELNS1_11target_archE908ELNS1_3gpuE7ELNS1_3repE0EEENS1_52radix_sort_onesweep_histogram_config_static_selectorELNS0_4arch9wavefront6targetE1EEEvSE_ ; -- Begin function _ZN7rocprim17ROCPRIM_400000_NS6detail17trampoline_kernelINS0_14default_configENS1_35radix_sort_onesweep_config_selectorIflEEZNS1_34radix_sort_onesweep_global_offsetsIS3_Lb0EPfN6thrust23THRUST_200600_302600_NS10device_ptrIlEEjNS0_19identity_decomposerEEE10hipError_tT1_T2_PT3_SG_jT4_jjP12ihipStream_tbEUlT_E_NS1_11comp_targetILNS1_3genE3ELNS1_11target_archE908ELNS1_3gpuE7ELNS1_3repE0EEENS1_52radix_sort_onesweep_histogram_config_static_selectorELNS0_4arch9wavefront6targetE1EEEvSE_
	.globl	_ZN7rocprim17ROCPRIM_400000_NS6detail17trampoline_kernelINS0_14default_configENS1_35radix_sort_onesweep_config_selectorIflEEZNS1_34radix_sort_onesweep_global_offsetsIS3_Lb0EPfN6thrust23THRUST_200600_302600_NS10device_ptrIlEEjNS0_19identity_decomposerEEE10hipError_tT1_T2_PT3_SG_jT4_jjP12ihipStream_tbEUlT_E_NS1_11comp_targetILNS1_3genE3ELNS1_11target_archE908ELNS1_3gpuE7ELNS1_3repE0EEENS1_52radix_sort_onesweep_histogram_config_static_selectorELNS0_4arch9wavefront6targetE1EEEvSE_
	.p2align	8
	.type	_ZN7rocprim17ROCPRIM_400000_NS6detail17trampoline_kernelINS0_14default_configENS1_35radix_sort_onesweep_config_selectorIflEEZNS1_34radix_sort_onesweep_global_offsetsIS3_Lb0EPfN6thrust23THRUST_200600_302600_NS10device_ptrIlEEjNS0_19identity_decomposerEEE10hipError_tT1_T2_PT3_SG_jT4_jjP12ihipStream_tbEUlT_E_NS1_11comp_targetILNS1_3genE3ELNS1_11target_archE908ELNS1_3gpuE7ELNS1_3repE0EEENS1_52radix_sort_onesweep_histogram_config_static_selectorELNS0_4arch9wavefront6targetE1EEEvSE_,@function
_ZN7rocprim17ROCPRIM_400000_NS6detail17trampoline_kernelINS0_14default_configENS1_35radix_sort_onesweep_config_selectorIflEEZNS1_34radix_sort_onesweep_global_offsetsIS3_Lb0EPfN6thrust23THRUST_200600_302600_NS10device_ptrIlEEjNS0_19identity_decomposerEEE10hipError_tT1_T2_PT3_SG_jT4_jjP12ihipStream_tbEUlT_E_NS1_11comp_targetILNS1_3genE3ELNS1_11target_archE908ELNS1_3gpuE7ELNS1_3repE0EEENS1_52radix_sort_onesweep_histogram_config_static_selectorELNS0_4arch9wavefront6targetE1EEEvSE_: ; @_ZN7rocprim17ROCPRIM_400000_NS6detail17trampoline_kernelINS0_14default_configENS1_35radix_sort_onesweep_config_selectorIflEEZNS1_34radix_sort_onesweep_global_offsetsIS3_Lb0EPfN6thrust23THRUST_200600_302600_NS10device_ptrIlEEjNS0_19identity_decomposerEEE10hipError_tT1_T2_PT3_SG_jT4_jjP12ihipStream_tbEUlT_E_NS1_11comp_targetILNS1_3genE3ELNS1_11target_archE908ELNS1_3gpuE7ELNS1_3repE0EEENS1_52radix_sort_onesweep_histogram_config_static_selectorELNS0_4arch9wavefront6targetE1EEEvSE_
; %bb.0:
	.section	.rodata,"a",@progbits
	.p2align	6, 0x0
	.amdhsa_kernel _ZN7rocprim17ROCPRIM_400000_NS6detail17trampoline_kernelINS0_14default_configENS1_35radix_sort_onesweep_config_selectorIflEEZNS1_34radix_sort_onesweep_global_offsetsIS3_Lb0EPfN6thrust23THRUST_200600_302600_NS10device_ptrIlEEjNS0_19identity_decomposerEEE10hipError_tT1_T2_PT3_SG_jT4_jjP12ihipStream_tbEUlT_E_NS1_11comp_targetILNS1_3genE3ELNS1_11target_archE908ELNS1_3gpuE7ELNS1_3repE0EEENS1_52radix_sort_onesweep_histogram_config_static_selectorELNS0_4arch9wavefront6targetE1EEEvSE_
		.amdhsa_group_segment_fixed_size 0
		.amdhsa_private_segment_fixed_size 0
		.amdhsa_kernarg_size 40
		.amdhsa_user_sgpr_count 6
		.amdhsa_user_sgpr_private_segment_buffer 1
		.amdhsa_user_sgpr_dispatch_ptr 0
		.amdhsa_user_sgpr_queue_ptr 0
		.amdhsa_user_sgpr_kernarg_segment_ptr 1
		.amdhsa_user_sgpr_dispatch_id 0
		.amdhsa_user_sgpr_flat_scratch_init 0
		.amdhsa_user_sgpr_kernarg_preload_length 0
		.amdhsa_user_sgpr_kernarg_preload_offset 0
		.amdhsa_user_sgpr_private_segment_size 0
		.amdhsa_uses_dynamic_stack 0
		.amdhsa_system_sgpr_private_segment_wavefront_offset 0
		.amdhsa_system_sgpr_workgroup_id_x 1
		.amdhsa_system_sgpr_workgroup_id_y 0
		.amdhsa_system_sgpr_workgroup_id_z 0
		.amdhsa_system_sgpr_workgroup_info 0
		.amdhsa_system_vgpr_workitem_id 0
		.amdhsa_next_free_vgpr 1
		.amdhsa_next_free_sgpr 0
		.amdhsa_accum_offset 4
		.amdhsa_reserve_vcc 0
		.amdhsa_reserve_flat_scratch 0
		.amdhsa_float_round_mode_32 0
		.amdhsa_float_round_mode_16_64 0
		.amdhsa_float_denorm_mode_32 3
		.amdhsa_float_denorm_mode_16_64 3
		.amdhsa_dx10_clamp 1
		.amdhsa_ieee_mode 1
		.amdhsa_fp16_overflow 0
		.amdhsa_tg_split 0
		.amdhsa_exception_fp_ieee_invalid_op 0
		.amdhsa_exception_fp_denorm_src 0
		.amdhsa_exception_fp_ieee_div_zero 0
		.amdhsa_exception_fp_ieee_overflow 0
		.amdhsa_exception_fp_ieee_underflow 0
		.amdhsa_exception_fp_ieee_inexact 0
		.amdhsa_exception_int_div_zero 0
	.end_amdhsa_kernel
	.section	.text._ZN7rocprim17ROCPRIM_400000_NS6detail17trampoline_kernelINS0_14default_configENS1_35radix_sort_onesweep_config_selectorIflEEZNS1_34radix_sort_onesweep_global_offsetsIS3_Lb0EPfN6thrust23THRUST_200600_302600_NS10device_ptrIlEEjNS0_19identity_decomposerEEE10hipError_tT1_T2_PT3_SG_jT4_jjP12ihipStream_tbEUlT_E_NS1_11comp_targetILNS1_3genE3ELNS1_11target_archE908ELNS1_3gpuE7ELNS1_3repE0EEENS1_52radix_sort_onesweep_histogram_config_static_selectorELNS0_4arch9wavefront6targetE1EEEvSE_,"axG",@progbits,_ZN7rocprim17ROCPRIM_400000_NS6detail17trampoline_kernelINS0_14default_configENS1_35radix_sort_onesweep_config_selectorIflEEZNS1_34radix_sort_onesweep_global_offsetsIS3_Lb0EPfN6thrust23THRUST_200600_302600_NS10device_ptrIlEEjNS0_19identity_decomposerEEE10hipError_tT1_T2_PT3_SG_jT4_jjP12ihipStream_tbEUlT_E_NS1_11comp_targetILNS1_3genE3ELNS1_11target_archE908ELNS1_3gpuE7ELNS1_3repE0EEENS1_52radix_sort_onesweep_histogram_config_static_selectorELNS0_4arch9wavefront6targetE1EEEvSE_,comdat
.Lfunc_end1821:
	.size	_ZN7rocprim17ROCPRIM_400000_NS6detail17trampoline_kernelINS0_14default_configENS1_35radix_sort_onesweep_config_selectorIflEEZNS1_34radix_sort_onesweep_global_offsetsIS3_Lb0EPfN6thrust23THRUST_200600_302600_NS10device_ptrIlEEjNS0_19identity_decomposerEEE10hipError_tT1_T2_PT3_SG_jT4_jjP12ihipStream_tbEUlT_E_NS1_11comp_targetILNS1_3genE3ELNS1_11target_archE908ELNS1_3gpuE7ELNS1_3repE0EEENS1_52radix_sort_onesweep_histogram_config_static_selectorELNS0_4arch9wavefront6targetE1EEEvSE_, .Lfunc_end1821-_ZN7rocprim17ROCPRIM_400000_NS6detail17trampoline_kernelINS0_14default_configENS1_35radix_sort_onesweep_config_selectorIflEEZNS1_34radix_sort_onesweep_global_offsetsIS3_Lb0EPfN6thrust23THRUST_200600_302600_NS10device_ptrIlEEjNS0_19identity_decomposerEEE10hipError_tT1_T2_PT3_SG_jT4_jjP12ihipStream_tbEUlT_E_NS1_11comp_targetILNS1_3genE3ELNS1_11target_archE908ELNS1_3gpuE7ELNS1_3repE0EEENS1_52radix_sort_onesweep_histogram_config_static_selectorELNS0_4arch9wavefront6targetE1EEEvSE_
                                        ; -- End function
	.section	.AMDGPU.csdata,"",@progbits
; Kernel info:
; codeLenInByte = 0
; NumSgprs: 4
; NumVgprs: 0
; NumAgprs: 0
; TotalNumVgprs: 0
; ScratchSize: 0
; MemoryBound: 0
; FloatMode: 240
; IeeeMode: 1
; LDSByteSize: 0 bytes/workgroup (compile time only)
; SGPRBlocks: 0
; VGPRBlocks: 0
; NumSGPRsForWavesPerEU: 4
; NumVGPRsForWavesPerEU: 1
; AccumOffset: 4
; Occupancy: 8
; WaveLimiterHint : 0
; COMPUTE_PGM_RSRC2:SCRATCH_EN: 0
; COMPUTE_PGM_RSRC2:USER_SGPR: 6
; COMPUTE_PGM_RSRC2:TRAP_HANDLER: 0
; COMPUTE_PGM_RSRC2:TGID_X_EN: 1
; COMPUTE_PGM_RSRC2:TGID_Y_EN: 0
; COMPUTE_PGM_RSRC2:TGID_Z_EN: 0
; COMPUTE_PGM_RSRC2:TIDIG_COMP_CNT: 0
; COMPUTE_PGM_RSRC3_GFX90A:ACCUM_OFFSET: 0
; COMPUTE_PGM_RSRC3_GFX90A:TG_SPLIT: 0
	.section	.text._ZN7rocprim17ROCPRIM_400000_NS6detail17trampoline_kernelINS0_14default_configENS1_35radix_sort_onesweep_config_selectorIflEEZNS1_34radix_sort_onesweep_global_offsetsIS3_Lb0EPfN6thrust23THRUST_200600_302600_NS10device_ptrIlEEjNS0_19identity_decomposerEEE10hipError_tT1_T2_PT3_SG_jT4_jjP12ihipStream_tbEUlT_E_NS1_11comp_targetILNS1_3genE10ELNS1_11target_archE1201ELNS1_3gpuE5ELNS1_3repE0EEENS1_52radix_sort_onesweep_histogram_config_static_selectorELNS0_4arch9wavefront6targetE1EEEvSE_,"axG",@progbits,_ZN7rocprim17ROCPRIM_400000_NS6detail17trampoline_kernelINS0_14default_configENS1_35radix_sort_onesweep_config_selectorIflEEZNS1_34radix_sort_onesweep_global_offsetsIS3_Lb0EPfN6thrust23THRUST_200600_302600_NS10device_ptrIlEEjNS0_19identity_decomposerEEE10hipError_tT1_T2_PT3_SG_jT4_jjP12ihipStream_tbEUlT_E_NS1_11comp_targetILNS1_3genE10ELNS1_11target_archE1201ELNS1_3gpuE5ELNS1_3repE0EEENS1_52radix_sort_onesweep_histogram_config_static_selectorELNS0_4arch9wavefront6targetE1EEEvSE_,comdat
	.protected	_ZN7rocprim17ROCPRIM_400000_NS6detail17trampoline_kernelINS0_14default_configENS1_35radix_sort_onesweep_config_selectorIflEEZNS1_34radix_sort_onesweep_global_offsetsIS3_Lb0EPfN6thrust23THRUST_200600_302600_NS10device_ptrIlEEjNS0_19identity_decomposerEEE10hipError_tT1_T2_PT3_SG_jT4_jjP12ihipStream_tbEUlT_E_NS1_11comp_targetILNS1_3genE10ELNS1_11target_archE1201ELNS1_3gpuE5ELNS1_3repE0EEENS1_52radix_sort_onesweep_histogram_config_static_selectorELNS0_4arch9wavefront6targetE1EEEvSE_ ; -- Begin function _ZN7rocprim17ROCPRIM_400000_NS6detail17trampoline_kernelINS0_14default_configENS1_35radix_sort_onesweep_config_selectorIflEEZNS1_34radix_sort_onesweep_global_offsetsIS3_Lb0EPfN6thrust23THRUST_200600_302600_NS10device_ptrIlEEjNS0_19identity_decomposerEEE10hipError_tT1_T2_PT3_SG_jT4_jjP12ihipStream_tbEUlT_E_NS1_11comp_targetILNS1_3genE10ELNS1_11target_archE1201ELNS1_3gpuE5ELNS1_3repE0EEENS1_52radix_sort_onesweep_histogram_config_static_selectorELNS0_4arch9wavefront6targetE1EEEvSE_
	.globl	_ZN7rocprim17ROCPRIM_400000_NS6detail17trampoline_kernelINS0_14default_configENS1_35radix_sort_onesweep_config_selectorIflEEZNS1_34radix_sort_onesweep_global_offsetsIS3_Lb0EPfN6thrust23THRUST_200600_302600_NS10device_ptrIlEEjNS0_19identity_decomposerEEE10hipError_tT1_T2_PT3_SG_jT4_jjP12ihipStream_tbEUlT_E_NS1_11comp_targetILNS1_3genE10ELNS1_11target_archE1201ELNS1_3gpuE5ELNS1_3repE0EEENS1_52radix_sort_onesweep_histogram_config_static_selectorELNS0_4arch9wavefront6targetE1EEEvSE_
	.p2align	8
	.type	_ZN7rocprim17ROCPRIM_400000_NS6detail17trampoline_kernelINS0_14default_configENS1_35radix_sort_onesweep_config_selectorIflEEZNS1_34radix_sort_onesweep_global_offsetsIS3_Lb0EPfN6thrust23THRUST_200600_302600_NS10device_ptrIlEEjNS0_19identity_decomposerEEE10hipError_tT1_T2_PT3_SG_jT4_jjP12ihipStream_tbEUlT_E_NS1_11comp_targetILNS1_3genE10ELNS1_11target_archE1201ELNS1_3gpuE5ELNS1_3repE0EEENS1_52radix_sort_onesweep_histogram_config_static_selectorELNS0_4arch9wavefront6targetE1EEEvSE_,@function
_ZN7rocprim17ROCPRIM_400000_NS6detail17trampoline_kernelINS0_14default_configENS1_35radix_sort_onesweep_config_selectorIflEEZNS1_34radix_sort_onesweep_global_offsetsIS3_Lb0EPfN6thrust23THRUST_200600_302600_NS10device_ptrIlEEjNS0_19identity_decomposerEEE10hipError_tT1_T2_PT3_SG_jT4_jjP12ihipStream_tbEUlT_E_NS1_11comp_targetILNS1_3genE10ELNS1_11target_archE1201ELNS1_3gpuE5ELNS1_3repE0EEENS1_52radix_sort_onesweep_histogram_config_static_selectorELNS0_4arch9wavefront6targetE1EEEvSE_: ; @_ZN7rocprim17ROCPRIM_400000_NS6detail17trampoline_kernelINS0_14default_configENS1_35radix_sort_onesweep_config_selectorIflEEZNS1_34radix_sort_onesweep_global_offsetsIS3_Lb0EPfN6thrust23THRUST_200600_302600_NS10device_ptrIlEEjNS0_19identity_decomposerEEE10hipError_tT1_T2_PT3_SG_jT4_jjP12ihipStream_tbEUlT_E_NS1_11comp_targetILNS1_3genE10ELNS1_11target_archE1201ELNS1_3gpuE5ELNS1_3repE0EEENS1_52radix_sort_onesweep_histogram_config_static_selectorELNS0_4arch9wavefront6targetE1EEEvSE_
; %bb.0:
	.section	.rodata,"a",@progbits
	.p2align	6, 0x0
	.amdhsa_kernel _ZN7rocprim17ROCPRIM_400000_NS6detail17trampoline_kernelINS0_14default_configENS1_35radix_sort_onesweep_config_selectorIflEEZNS1_34radix_sort_onesweep_global_offsetsIS3_Lb0EPfN6thrust23THRUST_200600_302600_NS10device_ptrIlEEjNS0_19identity_decomposerEEE10hipError_tT1_T2_PT3_SG_jT4_jjP12ihipStream_tbEUlT_E_NS1_11comp_targetILNS1_3genE10ELNS1_11target_archE1201ELNS1_3gpuE5ELNS1_3repE0EEENS1_52radix_sort_onesweep_histogram_config_static_selectorELNS0_4arch9wavefront6targetE1EEEvSE_
		.amdhsa_group_segment_fixed_size 0
		.amdhsa_private_segment_fixed_size 0
		.amdhsa_kernarg_size 40
		.amdhsa_user_sgpr_count 6
		.amdhsa_user_sgpr_private_segment_buffer 1
		.amdhsa_user_sgpr_dispatch_ptr 0
		.amdhsa_user_sgpr_queue_ptr 0
		.amdhsa_user_sgpr_kernarg_segment_ptr 1
		.amdhsa_user_sgpr_dispatch_id 0
		.amdhsa_user_sgpr_flat_scratch_init 0
		.amdhsa_user_sgpr_kernarg_preload_length 0
		.amdhsa_user_sgpr_kernarg_preload_offset 0
		.amdhsa_user_sgpr_private_segment_size 0
		.amdhsa_uses_dynamic_stack 0
		.amdhsa_system_sgpr_private_segment_wavefront_offset 0
		.amdhsa_system_sgpr_workgroup_id_x 1
		.amdhsa_system_sgpr_workgroup_id_y 0
		.amdhsa_system_sgpr_workgroup_id_z 0
		.amdhsa_system_sgpr_workgroup_info 0
		.amdhsa_system_vgpr_workitem_id 0
		.amdhsa_next_free_vgpr 1
		.amdhsa_next_free_sgpr 0
		.amdhsa_accum_offset 4
		.amdhsa_reserve_vcc 0
		.amdhsa_reserve_flat_scratch 0
		.amdhsa_float_round_mode_32 0
		.amdhsa_float_round_mode_16_64 0
		.amdhsa_float_denorm_mode_32 3
		.amdhsa_float_denorm_mode_16_64 3
		.amdhsa_dx10_clamp 1
		.amdhsa_ieee_mode 1
		.amdhsa_fp16_overflow 0
		.amdhsa_tg_split 0
		.amdhsa_exception_fp_ieee_invalid_op 0
		.amdhsa_exception_fp_denorm_src 0
		.amdhsa_exception_fp_ieee_div_zero 0
		.amdhsa_exception_fp_ieee_overflow 0
		.amdhsa_exception_fp_ieee_underflow 0
		.amdhsa_exception_fp_ieee_inexact 0
		.amdhsa_exception_int_div_zero 0
	.end_amdhsa_kernel
	.section	.text._ZN7rocprim17ROCPRIM_400000_NS6detail17trampoline_kernelINS0_14default_configENS1_35radix_sort_onesweep_config_selectorIflEEZNS1_34radix_sort_onesweep_global_offsetsIS3_Lb0EPfN6thrust23THRUST_200600_302600_NS10device_ptrIlEEjNS0_19identity_decomposerEEE10hipError_tT1_T2_PT3_SG_jT4_jjP12ihipStream_tbEUlT_E_NS1_11comp_targetILNS1_3genE10ELNS1_11target_archE1201ELNS1_3gpuE5ELNS1_3repE0EEENS1_52radix_sort_onesweep_histogram_config_static_selectorELNS0_4arch9wavefront6targetE1EEEvSE_,"axG",@progbits,_ZN7rocprim17ROCPRIM_400000_NS6detail17trampoline_kernelINS0_14default_configENS1_35radix_sort_onesweep_config_selectorIflEEZNS1_34radix_sort_onesweep_global_offsetsIS3_Lb0EPfN6thrust23THRUST_200600_302600_NS10device_ptrIlEEjNS0_19identity_decomposerEEE10hipError_tT1_T2_PT3_SG_jT4_jjP12ihipStream_tbEUlT_E_NS1_11comp_targetILNS1_3genE10ELNS1_11target_archE1201ELNS1_3gpuE5ELNS1_3repE0EEENS1_52radix_sort_onesweep_histogram_config_static_selectorELNS0_4arch9wavefront6targetE1EEEvSE_,comdat
.Lfunc_end1822:
	.size	_ZN7rocprim17ROCPRIM_400000_NS6detail17trampoline_kernelINS0_14default_configENS1_35radix_sort_onesweep_config_selectorIflEEZNS1_34radix_sort_onesweep_global_offsetsIS3_Lb0EPfN6thrust23THRUST_200600_302600_NS10device_ptrIlEEjNS0_19identity_decomposerEEE10hipError_tT1_T2_PT3_SG_jT4_jjP12ihipStream_tbEUlT_E_NS1_11comp_targetILNS1_3genE10ELNS1_11target_archE1201ELNS1_3gpuE5ELNS1_3repE0EEENS1_52radix_sort_onesweep_histogram_config_static_selectorELNS0_4arch9wavefront6targetE1EEEvSE_, .Lfunc_end1822-_ZN7rocprim17ROCPRIM_400000_NS6detail17trampoline_kernelINS0_14default_configENS1_35radix_sort_onesweep_config_selectorIflEEZNS1_34radix_sort_onesweep_global_offsetsIS3_Lb0EPfN6thrust23THRUST_200600_302600_NS10device_ptrIlEEjNS0_19identity_decomposerEEE10hipError_tT1_T2_PT3_SG_jT4_jjP12ihipStream_tbEUlT_E_NS1_11comp_targetILNS1_3genE10ELNS1_11target_archE1201ELNS1_3gpuE5ELNS1_3repE0EEENS1_52radix_sort_onesweep_histogram_config_static_selectorELNS0_4arch9wavefront6targetE1EEEvSE_
                                        ; -- End function
	.section	.AMDGPU.csdata,"",@progbits
; Kernel info:
; codeLenInByte = 0
; NumSgprs: 4
; NumVgprs: 0
; NumAgprs: 0
; TotalNumVgprs: 0
; ScratchSize: 0
; MemoryBound: 0
; FloatMode: 240
; IeeeMode: 1
; LDSByteSize: 0 bytes/workgroup (compile time only)
; SGPRBlocks: 0
; VGPRBlocks: 0
; NumSGPRsForWavesPerEU: 4
; NumVGPRsForWavesPerEU: 1
; AccumOffset: 4
; Occupancy: 8
; WaveLimiterHint : 0
; COMPUTE_PGM_RSRC2:SCRATCH_EN: 0
; COMPUTE_PGM_RSRC2:USER_SGPR: 6
; COMPUTE_PGM_RSRC2:TRAP_HANDLER: 0
; COMPUTE_PGM_RSRC2:TGID_X_EN: 1
; COMPUTE_PGM_RSRC2:TGID_Y_EN: 0
; COMPUTE_PGM_RSRC2:TGID_Z_EN: 0
; COMPUTE_PGM_RSRC2:TIDIG_COMP_CNT: 0
; COMPUTE_PGM_RSRC3_GFX90A:ACCUM_OFFSET: 0
; COMPUTE_PGM_RSRC3_GFX90A:TG_SPLIT: 0
	.section	.text._ZN7rocprim17ROCPRIM_400000_NS6detail17trampoline_kernelINS0_14default_configENS1_35radix_sort_onesweep_config_selectorIflEEZNS1_34radix_sort_onesweep_global_offsetsIS3_Lb0EPfN6thrust23THRUST_200600_302600_NS10device_ptrIlEEjNS0_19identity_decomposerEEE10hipError_tT1_T2_PT3_SG_jT4_jjP12ihipStream_tbEUlT_E_NS1_11comp_targetILNS1_3genE9ELNS1_11target_archE1100ELNS1_3gpuE3ELNS1_3repE0EEENS1_52radix_sort_onesweep_histogram_config_static_selectorELNS0_4arch9wavefront6targetE1EEEvSE_,"axG",@progbits,_ZN7rocprim17ROCPRIM_400000_NS6detail17trampoline_kernelINS0_14default_configENS1_35radix_sort_onesweep_config_selectorIflEEZNS1_34radix_sort_onesweep_global_offsetsIS3_Lb0EPfN6thrust23THRUST_200600_302600_NS10device_ptrIlEEjNS0_19identity_decomposerEEE10hipError_tT1_T2_PT3_SG_jT4_jjP12ihipStream_tbEUlT_E_NS1_11comp_targetILNS1_3genE9ELNS1_11target_archE1100ELNS1_3gpuE3ELNS1_3repE0EEENS1_52radix_sort_onesweep_histogram_config_static_selectorELNS0_4arch9wavefront6targetE1EEEvSE_,comdat
	.protected	_ZN7rocprim17ROCPRIM_400000_NS6detail17trampoline_kernelINS0_14default_configENS1_35radix_sort_onesweep_config_selectorIflEEZNS1_34radix_sort_onesweep_global_offsetsIS3_Lb0EPfN6thrust23THRUST_200600_302600_NS10device_ptrIlEEjNS0_19identity_decomposerEEE10hipError_tT1_T2_PT3_SG_jT4_jjP12ihipStream_tbEUlT_E_NS1_11comp_targetILNS1_3genE9ELNS1_11target_archE1100ELNS1_3gpuE3ELNS1_3repE0EEENS1_52radix_sort_onesweep_histogram_config_static_selectorELNS0_4arch9wavefront6targetE1EEEvSE_ ; -- Begin function _ZN7rocprim17ROCPRIM_400000_NS6detail17trampoline_kernelINS0_14default_configENS1_35radix_sort_onesweep_config_selectorIflEEZNS1_34radix_sort_onesweep_global_offsetsIS3_Lb0EPfN6thrust23THRUST_200600_302600_NS10device_ptrIlEEjNS0_19identity_decomposerEEE10hipError_tT1_T2_PT3_SG_jT4_jjP12ihipStream_tbEUlT_E_NS1_11comp_targetILNS1_3genE9ELNS1_11target_archE1100ELNS1_3gpuE3ELNS1_3repE0EEENS1_52radix_sort_onesweep_histogram_config_static_selectorELNS0_4arch9wavefront6targetE1EEEvSE_
	.globl	_ZN7rocprim17ROCPRIM_400000_NS6detail17trampoline_kernelINS0_14default_configENS1_35radix_sort_onesweep_config_selectorIflEEZNS1_34radix_sort_onesweep_global_offsetsIS3_Lb0EPfN6thrust23THRUST_200600_302600_NS10device_ptrIlEEjNS0_19identity_decomposerEEE10hipError_tT1_T2_PT3_SG_jT4_jjP12ihipStream_tbEUlT_E_NS1_11comp_targetILNS1_3genE9ELNS1_11target_archE1100ELNS1_3gpuE3ELNS1_3repE0EEENS1_52radix_sort_onesweep_histogram_config_static_selectorELNS0_4arch9wavefront6targetE1EEEvSE_
	.p2align	8
	.type	_ZN7rocprim17ROCPRIM_400000_NS6detail17trampoline_kernelINS0_14default_configENS1_35radix_sort_onesweep_config_selectorIflEEZNS1_34radix_sort_onesweep_global_offsetsIS3_Lb0EPfN6thrust23THRUST_200600_302600_NS10device_ptrIlEEjNS0_19identity_decomposerEEE10hipError_tT1_T2_PT3_SG_jT4_jjP12ihipStream_tbEUlT_E_NS1_11comp_targetILNS1_3genE9ELNS1_11target_archE1100ELNS1_3gpuE3ELNS1_3repE0EEENS1_52radix_sort_onesweep_histogram_config_static_selectorELNS0_4arch9wavefront6targetE1EEEvSE_,@function
_ZN7rocprim17ROCPRIM_400000_NS6detail17trampoline_kernelINS0_14default_configENS1_35radix_sort_onesweep_config_selectorIflEEZNS1_34radix_sort_onesweep_global_offsetsIS3_Lb0EPfN6thrust23THRUST_200600_302600_NS10device_ptrIlEEjNS0_19identity_decomposerEEE10hipError_tT1_T2_PT3_SG_jT4_jjP12ihipStream_tbEUlT_E_NS1_11comp_targetILNS1_3genE9ELNS1_11target_archE1100ELNS1_3gpuE3ELNS1_3repE0EEENS1_52radix_sort_onesweep_histogram_config_static_selectorELNS0_4arch9wavefront6targetE1EEEvSE_: ; @_ZN7rocprim17ROCPRIM_400000_NS6detail17trampoline_kernelINS0_14default_configENS1_35radix_sort_onesweep_config_selectorIflEEZNS1_34radix_sort_onesweep_global_offsetsIS3_Lb0EPfN6thrust23THRUST_200600_302600_NS10device_ptrIlEEjNS0_19identity_decomposerEEE10hipError_tT1_T2_PT3_SG_jT4_jjP12ihipStream_tbEUlT_E_NS1_11comp_targetILNS1_3genE9ELNS1_11target_archE1100ELNS1_3gpuE3ELNS1_3repE0EEENS1_52radix_sort_onesweep_histogram_config_static_selectorELNS0_4arch9wavefront6targetE1EEEvSE_
; %bb.0:
	.section	.rodata,"a",@progbits
	.p2align	6, 0x0
	.amdhsa_kernel _ZN7rocprim17ROCPRIM_400000_NS6detail17trampoline_kernelINS0_14default_configENS1_35radix_sort_onesweep_config_selectorIflEEZNS1_34radix_sort_onesweep_global_offsetsIS3_Lb0EPfN6thrust23THRUST_200600_302600_NS10device_ptrIlEEjNS0_19identity_decomposerEEE10hipError_tT1_T2_PT3_SG_jT4_jjP12ihipStream_tbEUlT_E_NS1_11comp_targetILNS1_3genE9ELNS1_11target_archE1100ELNS1_3gpuE3ELNS1_3repE0EEENS1_52radix_sort_onesweep_histogram_config_static_selectorELNS0_4arch9wavefront6targetE1EEEvSE_
		.amdhsa_group_segment_fixed_size 0
		.amdhsa_private_segment_fixed_size 0
		.amdhsa_kernarg_size 40
		.amdhsa_user_sgpr_count 6
		.amdhsa_user_sgpr_private_segment_buffer 1
		.amdhsa_user_sgpr_dispatch_ptr 0
		.amdhsa_user_sgpr_queue_ptr 0
		.amdhsa_user_sgpr_kernarg_segment_ptr 1
		.amdhsa_user_sgpr_dispatch_id 0
		.amdhsa_user_sgpr_flat_scratch_init 0
		.amdhsa_user_sgpr_kernarg_preload_length 0
		.amdhsa_user_sgpr_kernarg_preload_offset 0
		.amdhsa_user_sgpr_private_segment_size 0
		.amdhsa_uses_dynamic_stack 0
		.amdhsa_system_sgpr_private_segment_wavefront_offset 0
		.amdhsa_system_sgpr_workgroup_id_x 1
		.amdhsa_system_sgpr_workgroup_id_y 0
		.amdhsa_system_sgpr_workgroup_id_z 0
		.amdhsa_system_sgpr_workgroup_info 0
		.amdhsa_system_vgpr_workitem_id 0
		.amdhsa_next_free_vgpr 1
		.amdhsa_next_free_sgpr 0
		.amdhsa_accum_offset 4
		.amdhsa_reserve_vcc 0
		.amdhsa_reserve_flat_scratch 0
		.amdhsa_float_round_mode_32 0
		.amdhsa_float_round_mode_16_64 0
		.amdhsa_float_denorm_mode_32 3
		.amdhsa_float_denorm_mode_16_64 3
		.amdhsa_dx10_clamp 1
		.amdhsa_ieee_mode 1
		.amdhsa_fp16_overflow 0
		.amdhsa_tg_split 0
		.amdhsa_exception_fp_ieee_invalid_op 0
		.amdhsa_exception_fp_denorm_src 0
		.amdhsa_exception_fp_ieee_div_zero 0
		.amdhsa_exception_fp_ieee_overflow 0
		.amdhsa_exception_fp_ieee_underflow 0
		.amdhsa_exception_fp_ieee_inexact 0
		.amdhsa_exception_int_div_zero 0
	.end_amdhsa_kernel
	.section	.text._ZN7rocprim17ROCPRIM_400000_NS6detail17trampoline_kernelINS0_14default_configENS1_35radix_sort_onesweep_config_selectorIflEEZNS1_34radix_sort_onesweep_global_offsetsIS3_Lb0EPfN6thrust23THRUST_200600_302600_NS10device_ptrIlEEjNS0_19identity_decomposerEEE10hipError_tT1_T2_PT3_SG_jT4_jjP12ihipStream_tbEUlT_E_NS1_11comp_targetILNS1_3genE9ELNS1_11target_archE1100ELNS1_3gpuE3ELNS1_3repE0EEENS1_52radix_sort_onesweep_histogram_config_static_selectorELNS0_4arch9wavefront6targetE1EEEvSE_,"axG",@progbits,_ZN7rocprim17ROCPRIM_400000_NS6detail17trampoline_kernelINS0_14default_configENS1_35radix_sort_onesweep_config_selectorIflEEZNS1_34radix_sort_onesweep_global_offsetsIS3_Lb0EPfN6thrust23THRUST_200600_302600_NS10device_ptrIlEEjNS0_19identity_decomposerEEE10hipError_tT1_T2_PT3_SG_jT4_jjP12ihipStream_tbEUlT_E_NS1_11comp_targetILNS1_3genE9ELNS1_11target_archE1100ELNS1_3gpuE3ELNS1_3repE0EEENS1_52radix_sort_onesweep_histogram_config_static_selectorELNS0_4arch9wavefront6targetE1EEEvSE_,comdat
.Lfunc_end1823:
	.size	_ZN7rocprim17ROCPRIM_400000_NS6detail17trampoline_kernelINS0_14default_configENS1_35radix_sort_onesweep_config_selectorIflEEZNS1_34radix_sort_onesweep_global_offsetsIS3_Lb0EPfN6thrust23THRUST_200600_302600_NS10device_ptrIlEEjNS0_19identity_decomposerEEE10hipError_tT1_T2_PT3_SG_jT4_jjP12ihipStream_tbEUlT_E_NS1_11comp_targetILNS1_3genE9ELNS1_11target_archE1100ELNS1_3gpuE3ELNS1_3repE0EEENS1_52radix_sort_onesweep_histogram_config_static_selectorELNS0_4arch9wavefront6targetE1EEEvSE_, .Lfunc_end1823-_ZN7rocprim17ROCPRIM_400000_NS6detail17trampoline_kernelINS0_14default_configENS1_35radix_sort_onesweep_config_selectorIflEEZNS1_34radix_sort_onesweep_global_offsetsIS3_Lb0EPfN6thrust23THRUST_200600_302600_NS10device_ptrIlEEjNS0_19identity_decomposerEEE10hipError_tT1_T2_PT3_SG_jT4_jjP12ihipStream_tbEUlT_E_NS1_11comp_targetILNS1_3genE9ELNS1_11target_archE1100ELNS1_3gpuE3ELNS1_3repE0EEENS1_52radix_sort_onesweep_histogram_config_static_selectorELNS0_4arch9wavefront6targetE1EEEvSE_
                                        ; -- End function
	.section	.AMDGPU.csdata,"",@progbits
; Kernel info:
; codeLenInByte = 0
; NumSgprs: 4
; NumVgprs: 0
; NumAgprs: 0
; TotalNumVgprs: 0
; ScratchSize: 0
; MemoryBound: 0
; FloatMode: 240
; IeeeMode: 1
; LDSByteSize: 0 bytes/workgroup (compile time only)
; SGPRBlocks: 0
; VGPRBlocks: 0
; NumSGPRsForWavesPerEU: 4
; NumVGPRsForWavesPerEU: 1
; AccumOffset: 4
; Occupancy: 8
; WaveLimiterHint : 0
; COMPUTE_PGM_RSRC2:SCRATCH_EN: 0
; COMPUTE_PGM_RSRC2:USER_SGPR: 6
; COMPUTE_PGM_RSRC2:TRAP_HANDLER: 0
; COMPUTE_PGM_RSRC2:TGID_X_EN: 1
; COMPUTE_PGM_RSRC2:TGID_Y_EN: 0
; COMPUTE_PGM_RSRC2:TGID_Z_EN: 0
; COMPUTE_PGM_RSRC2:TIDIG_COMP_CNT: 0
; COMPUTE_PGM_RSRC3_GFX90A:ACCUM_OFFSET: 0
; COMPUTE_PGM_RSRC3_GFX90A:TG_SPLIT: 0
	.section	.text._ZN7rocprim17ROCPRIM_400000_NS6detail17trampoline_kernelINS0_14default_configENS1_35radix_sort_onesweep_config_selectorIflEEZNS1_34radix_sort_onesweep_global_offsetsIS3_Lb0EPfN6thrust23THRUST_200600_302600_NS10device_ptrIlEEjNS0_19identity_decomposerEEE10hipError_tT1_T2_PT3_SG_jT4_jjP12ihipStream_tbEUlT_E_NS1_11comp_targetILNS1_3genE8ELNS1_11target_archE1030ELNS1_3gpuE2ELNS1_3repE0EEENS1_52radix_sort_onesweep_histogram_config_static_selectorELNS0_4arch9wavefront6targetE1EEEvSE_,"axG",@progbits,_ZN7rocprim17ROCPRIM_400000_NS6detail17trampoline_kernelINS0_14default_configENS1_35radix_sort_onesweep_config_selectorIflEEZNS1_34radix_sort_onesweep_global_offsetsIS3_Lb0EPfN6thrust23THRUST_200600_302600_NS10device_ptrIlEEjNS0_19identity_decomposerEEE10hipError_tT1_T2_PT3_SG_jT4_jjP12ihipStream_tbEUlT_E_NS1_11comp_targetILNS1_3genE8ELNS1_11target_archE1030ELNS1_3gpuE2ELNS1_3repE0EEENS1_52radix_sort_onesweep_histogram_config_static_selectorELNS0_4arch9wavefront6targetE1EEEvSE_,comdat
	.protected	_ZN7rocprim17ROCPRIM_400000_NS6detail17trampoline_kernelINS0_14default_configENS1_35radix_sort_onesweep_config_selectorIflEEZNS1_34radix_sort_onesweep_global_offsetsIS3_Lb0EPfN6thrust23THRUST_200600_302600_NS10device_ptrIlEEjNS0_19identity_decomposerEEE10hipError_tT1_T2_PT3_SG_jT4_jjP12ihipStream_tbEUlT_E_NS1_11comp_targetILNS1_3genE8ELNS1_11target_archE1030ELNS1_3gpuE2ELNS1_3repE0EEENS1_52radix_sort_onesweep_histogram_config_static_selectorELNS0_4arch9wavefront6targetE1EEEvSE_ ; -- Begin function _ZN7rocprim17ROCPRIM_400000_NS6detail17trampoline_kernelINS0_14default_configENS1_35radix_sort_onesweep_config_selectorIflEEZNS1_34radix_sort_onesweep_global_offsetsIS3_Lb0EPfN6thrust23THRUST_200600_302600_NS10device_ptrIlEEjNS0_19identity_decomposerEEE10hipError_tT1_T2_PT3_SG_jT4_jjP12ihipStream_tbEUlT_E_NS1_11comp_targetILNS1_3genE8ELNS1_11target_archE1030ELNS1_3gpuE2ELNS1_3repE0EEENS1_52radix_sort_onesweep_histogram_config_static_selectorELNS0_4arch9wavefront6targetE1EEEvSE_
	.globl	_ZN7rocprim17ROCPRIM_400000_NS6detail17trampoline_kernelINS0_14default_configENS1_35radix_sort_onesweep_config_selectorIflEEZNS1_34radix_sort_onesweep_global_offsetsIS3_Lb0EPfN6thrust23THRUST_200600_302600_NS10device_ptrIlEEjNS0_19identity_decomposerEEE10hipError_tT1_T2_PT3_SG_jT4_jjP12ihipStream_tbEUlT_E_NS1_11comp_targetILNS1_3genE8ELNS1_11target_archE1030ELNS1_3gpuE2ELNS1_3repE0EEENS1_52radix_sort_onesweep_histogram_config_static_selectorELNS0_4arch9wavefront6targetE1EEEvSE_
	.p2align	8
	.type	_ZN7rocprim17ROCPRIM_400000_NS6detail17trampoline_kernelINS0_14default_configENS1_35radix_sort_onesweep_config_selectorIflEEZNS1_34radix_sort_onesweep_global_offsetsIS3_Lb0EPfN6thrust23THRUST_200600_302600_NS10device_ptrIlEEjNS0_19identity_decomposerEEE10hipError_tT1_T2_PT3_SG_jT4_jjP12ihipStream_tbEUlT_E_NS1_11comp_targetILNS1_3genE8ELNS1_11target_archE1030ELNS1_3gpuE2ELNS1_3repE0EEENS1_52radix_sort_onesweep_histogram_config_static_selectorELNS0_4arch9wavefront6targetE1EEEvSE_,@function
_ZN7rocprim17ROCPRIM_400000_NS6detail17trampoline_kernelINS0_14default_configENS1_35radix_sort_onesweep_config_selectorIflEEZNS1_34radix_sort_onesweep_global_offsetsIS3_Lb0EPfN6thrust23THRUST_200600_302600_NS10device_ptrIlEEjNS0_19identity_decomposerEEE10hipError_tT1_T2_PT3_SG_jT4_jjP12ihipStream_tbEUlT_E_NS1_11comp_targetILNS1_3genE8ELNS1_11target_archE1030ELNS1_3gpuE2ELNS1_3repE0EEENS1_52radix_sort_onesweep_histogram_config_static_selectorELNS0_4arch9wavefront6targetE1EEEvSE_: ; @_ZN7rocprim17ROCPRIM_400000_NS6detail17trampoline_kernelINS0_14default_configENS1_35radix_sort_onesweep_config_selectorIflEEZNS1_34radix_sort_onesweep_global_offsetsIS3_Lb0EPfN6thrust23THRUST_200600_302600_NS10device_ptrIlEEjNS0_19identity_decomposerEEE10hipError_tT1_T2_PT3_SG_jT4_jjP12ihipStream_tbEUlT_E_NS1_11comp_targetILNS1_3genE8ELNS1_11target_archE1030ELNS1_3gpuE2ELNS1_3repE0EEENS1_52radix_sort_onesweep_histogram_config_static_selectorELNS0_4arch9wavefront6targetE1EEEvSE_
; %bb.0:
	.section	.rodata,"a",@progbits
	.p2align	6, 0x0
	.amdhsa_kernel _ZN7rocprim17ROCPRIM_400000_NS6detail17trampoline_kernelINS0_14default_configENS1_35radix_sort_onesweep_config_selectorIflEEZNS1_34radix_sort_onesweep_global_offsetsIS3_Lb0EPfN6thrust23THRUST_200600_302600_NS10device_ptrIlEEjNS0_19identity_decomposerEEE10hipError_tT1_T2_PT3_SG_jT4_jjP12ihipStream_tbEUlT_E_NS1_11comp_targetILNS1_3genE8ELNS1_11target_archE1030ELNS1_3gpuE2ELNS1_3repE0EEENS1_52radix_sort_onesweep_histogram_config_static_selectorELNS0_4arch9wavefront6targetE1EEEvSE_
		.amdhsa_group_segment_fixed_size 0
		.amdhsa_private_segment_fixed_size 0
		.amdhsa_kernarg_size 40
		.amdhsa_user_sgpr_count 6
		.amdhsa_user_sgpr_private_segment_buffer 1
		.amdhsa_user_sgpr_dispatch_ptr 0
		.amdhsa_user_sgpr_queue_ptr 0
		.amdhsa_user_sgpr_kernarg_segment_ptr 1
		.amdhsa_user_sgpr_dispatch_id 0
		.amdhsa_user_sgpr_flat_scratch_init 0
		.amdhsa_user_sgpr_kernarg_preload_length 0
		.amdhsa_user_sgpr_kernarg_preload_offset 0
		.amdhsa_user_sgpr_private_segment_size 0
		.amdhsa_uses_dynamic_stack 0
		.amdhsa_system_sgpr_private_segment_wavefront_offset 0
		.amdhsa_system_sgpr_workgroup_id_x 1
		.amdhsa_system_sgpr_workgroup_id_y 0
		.amdhsa_system_sgpr_workgroup_id_z 0
		.amdhsa_system_sgpr_workgroup_info 0
		.amdhsa_system_vgpr_workitem_id 0
		.amdhsa_next_free_vgpr 1
		.amdhsa_next_free_sgpr 0
		.amdhsa_accum_offset 4
		.amdhsa_reserve_vcc 0
		.amdhsa_reserve_flat_scratch 0
		.amdhsa_float_round_mode_32 0
		.amdhsa_float_round_mode_16_64 0
		.amdhsa_float_denorm_mode_32 3
		.amdhsa_float_denorm_mode_16_64 3
		.amdhsa_dx10_clamp 1
		.amdhsa_ieee_mode 1
		.amdhsa_fp16_overflow 0
		.amdhsa_tg_split 0
		.amdhsa_exception_fp_ieee_invalid_op 0
		.amdhsa_exception_fp_denorm_src 0
		.amdhsa_exception_fp_ieee_div_zero 0
		.amdhsa_exception_fp_ieee_overflow 0
		.amdhsa_exception_fp_ieee_underflow 0
		.amdhsa_exception_fp_ieee_inexact 0
		.amdhsa_exception_int_div_zero 0
	.end_amdhsa_kernel
	.section	.text._ZN7rocprim17ROCPRIM_400000_NS6detail17trampoline_kernelINS0_14default_configENS1_35radix_sort_onesweep_config_selectorIflEEZNS1_34radix_sort_onesweep_global_offsetsIS3_Lb0EPfN6thrust23THRUST_200600_302600_NS10device_ptrIlEEjNS0_19identity_decomposerEEE10hipError_tT1_T2_PT3_SG_jT4_jjP12ihipStream_tbEUlT_E_NS1_11comp_targetILNS1_3genE8ELNS1_11target_archE1030ELNS1_3gpuE2ELNS1_3repE0EEENS1_52radix_sort_onesweep_histogram_config_static_selectorELNS0_4arch9wavefront6targetE1EEEvSE_,"axG",@progbits,_ZN7rocprim17ROCPRIM_400000_NS6detail17trampoline_kernelINS0_14default_configENS1_35radix_sort_onesweep_config_selectorIflEEZNS1_34radix_sort_onesweep_global_offsetsIS3_Lb0EPfN6thrust23THRUST_200600_302600_NS10device_ptrIlEEjNS0_19identity_decomposerEEE10hipError_tT1_T2_PT3_SG_jT4_jjP12ihipStream_tbEUlT_E_NS1_11comp_targetILNS1_3genE8ELNS1_11target_archE1030ELNS1_3gpuE2ELNS1_3repE0EEENS1_52radix_sort_onesweep_histogram_config_static_selectorELNS0_4arch9wavefront6targetE1EEEvSE_,comdat
.Lfunc_end1824:
	.size	_ZN7rocprim17ROCPRIM_400000_NS6detail17trampoline_kernelINS0_14default_configENS1_35radix_sort_onesweep_config_selectorIflEEZNS1_34radix_sort_onesweep_global_offsetsIS3_Lb0EPfN6thrust23THRUST_200600_302600_NS10device_ptrIlEEjNS0_19identity_decomposerEEE10hipError_tT1_T2_PT3_SG_jT4_jjP12ihipStream_tbEUlT_E_NS1_11comp_targetILNS1_3genE8ELNS1_11target_archE1030ELNS1_3gpuE2ELNS1_3repE0EEENS1_52radix_sort_onesweep_histogram_config_static_selectorELNS0_4arch9wavefront6targetE1EEEvSE_, .Lfunc_end1824-_ZN7rocprim17ROCPRIM_400000_NS6detail17trampoline_kernelINS0_14default_configENS1_35radix_sort_onesweep_config_selectorIflEEZNS1_34radix_sort_onesweep_global_offsetsIS3_Lb0EPfN6thrust23THRUST_200600_302600_NS10device_ptrIlEEjNS0_19identity_decomposerEEE10hipError_tT1_T2_PT3_SG_jT4_jjP12ihipStream_tbEUlT_E_NS1_11comp_targetILNS1_3genE8ELNS1_11target_archE1030ELNS1_3gpuE2ELNS1_3repE0EEENS1_52radix_sort_onesweep_histogram_config_static_selectorELNS0_4arch9wavefront6targetE1EEEvSE_
                                        ; -- End function
	.section	.AMDGPU.csdata,"",@progbits
; Kernel info:
; codeLenInByte = 0
; NumSgprs: 4
; NumVgprs: 0
; NumAgprs: 0
; TotalNumVgprs: 0
; ScratchSize: 0
; MemoryBound: 0
; FloatMode: 240
; IeeeMode: 1
; LDSByteSize: 0 bytes/workgroup (compile time only)
; SGPRBlocks: 0
; VGPRBlocks: 0
; NumSGPRsForWavesPerEU: 4
; NumVGPRsForWavesPerEU: 1
; AccumOffset: 4
; Occupancy: 8
; WaveLimiterHint : 0
; COMPUTE_PGM_RSRC2:SCRATCH_EN: 0
; COMPUTE_PGM_RSRC2:USER_SGPR: 6
; COMPUTE_PGM_RSRC2:TRAP_HANDLER: 0
; COMPUTE_PGM_RSRC2:TGID_X_EN: 1
; COMPUTE_PGM_RSRC2:TGID_Y_EN: 0
; COMPUTE_PGM_RSRC2:TGID_Z_EN: 0
; COMPUTE_PGM_RSRC2:TIDIG_COMP_CNT: 0
; COMPUTE_PGM_RSRC3_GFX90A:ACCUM_OFFSET: 0
; COMPUTE_PGM_RSRC3_GFX90A:TG_SPLIT: 0
	.section	.text._ZN7rocprim17ROCPRIM_400000_NS6detail17trampoline_kernelINS0_14default_configENS1_35radix_sort_onesweep_config_selectorIflEEZNS1_34radix_sort_onesweep_global_offsetsIS3_Lb0EPfN6thrust23THRUST_200600_302600_NS10device_ptrIlEEjNS0_19identity_decomposerEEE10hipError_tT1_T2_PT3_SG_jT4_jjP12ihipStream_tbEUlT_E0_NS1_11comp_targetILNS1_3genE0ELNS1_11target_archE4294967295ELNS1_3gpuE0ELNS1_3repE0EEENS1_52radix_sort_onesweep_histogram_config_static_selectorELNS0_4arch9wavefront6targetE1EEEvSE_,"axG",@progbits,_ZN7rocprim17ROCPRIM_400000_NS6detail17trampoline_kernelINS0_14default_configENS1_35radix_sort_onesweep_config_selectorIflEEZNS1_34radix_sort_onesweep_global_offsetsIS3_Lb0EPfN6thrust23THRUST_200600_302600_NS10device_ptrIlEEjNS0_19identity_decomposerEEE10hipError_tT1_T2_PT3_SG_jT4_jjP12ihipStream_tbEUlT_E0_NS1_11comp_targetILNS1_3genE0ELNS1_11target_archE4294967295ELNS1_3gpuE0ELNS1_3repE0EEENS1_52radix_sort_onesweep_histogram_config_static_selectorELNS0_4arch9wavefront6targetE1EEEvSE_,comdat
	.protected	_ZN7rocprim17ROCPRIM_400000_NS6detail17trampoline_kernelINS0_14default_configENS1_35radix_sort_onesweep_config_selectorIflEEZNS1_34radix_sort_onesweep_global_offsetsIS3_Lb0EPfN6thrust23THRUST_200600_302600_NS10device_ptrIlEEjNS0_19identity_decomposerEEE10hipError_tT1_T2_PT3_SG_jT4_jjP12ihipStream_tbEUlT_E0_NS1_11comp_targetILNS1_3genE0ELNS1_11target_archE4294967295ELNS1_3gpuE0ELNS1_3repE0EEENS1_52radix_sort_onesweep_histogram_config_static_selectorELNS0_4arch9wavefront6targetE1EEEvSE_ ; -- Begin function _ZN7rocprim17ROCPRIM_400000_NS6detail17trampoline_kernelINS0_14default_configENS1_35radix_sort_onesweep_config_selectorIflEEZNS1_34radix_sort_onesweep_global_offsetsIS3_Lb0EPfN6thrust23THRUST_200600_302600_NS10device_ptrIlEEjNS0_19identity_decomposerEEE10hipError_tT1_T2_PT3_SG_jT4_jjP12ihipStream_tbEUlT_E0_NS1_11comp_targetILNS1_3genE0ELNS1_11target_archE4294967295ELNS1_3gpuE0ELNS1_3repE0EEENS1_52radix_sort_onesweep_histogram_config_static_selectorELNS0_4arch9wavefront6targetE1EEEvSE_
	.globl	_ZN7rocprim17ROCPRIM_400000_NS6detail17trampoline_kernelINS0_14default_configENS1_35radix_sort_onesweep_config_selectorIflEEZNS1_34radix_sort_onesweep_global_offsetsIS3_Lb0EPfN6thrust23THRUST_200600_302600_NS10device_ptrIlEEjNS0_19identity_decomposerEEE10hipError_tT1_T2_PT3_SG_jT4_jjP12ihipStream_tbEUlT_E0_NS1_11comp_targetILNS1_3genE0ELNS1_11target_archE4294967295ELNS1_3gpuE0ELNS1_3repE0EEENS1_52radix_sort_onesweep_histogram_config_static_selectorELNS0_4arch9wavefront6targetE1EEEvSE_
	.p2align	8
	.type	_ZN7rocprim17ROCPRIM_400000_NS6detail17trampoline_kernelINS0_14default_configENS1_35radix_sort_onesweep_config_selectorIflEEZNS1_34radix_sort_onesweep_global_offsetsIS3_Lb0EPfN6thrust23THRUST_200600_302600_NS10device_ptrIlEEjNS0_19identity_decomposerEEE10hipError_tT1_T2_PT3_SG_jT4_jjP12ihipStream_tbEUlT_E0_NS1_11comp_targetILNS1_3genE0ELNS1_11target_archE4294967295ELNS1_3gpuE0ELNS1_3repE0EEENS1_52radix_sort_onesweep_histogram_config_static_selectorELNS0_4arch9wavefront6targetE1EEEvSE_,@function
_ZN7rocprim17ROCPRIM_400000_NS6detail17trampoline_kernelINS0_14default_configENS1_35radix_sort_onesweep_config_selectorIflEEZNS1_34radix_sort_onesweep_global_offsetsIS3_Lb0EPfN6thrust23THRUST_200600_302600_NS10device_ptrIlEEjNS0_19identity_decomposerEEE10hipError_tT1_T2_PT3_SG_jT4_jjP12ihipStream_tbEUlT_E0_NS1_11comp_targetILNS1_3genE0ELNS1_11target_archE4294967295ELNS1_3gpuE0ELNS1_3repE0EEENS1_52radix_sort_onesweep_histogram_config_static_selectorELNS0_4arch9wavefront6targetE1EEEvSE_: ; @_ZN7rocprim17ROCPRIM_400000_NS6detail17trampoline_kernelINS0_14default_configENS1_35radix_sort_onesweep_config_selectorIflEEZNS1_34radix_sort_onesweep_global_offsetsIS3_Lb0EPfN6thrust23THRUST_200600_302600_NS10device_ptrIlEEjNS0_19identity_decomposerEEE10hipError_tT1_T2_PT3_SG_jT4_jjP12ihipStream_tbEUlT_E0_NS1_11comp_targetILNS1_3genE0ELNS1_11target_archE4294967295ELNS1_3gpuE0ELNS1_3repE0EEENS1_52radix_sort_onesweep_histogram_config_static_selectorELNS0_4arch9wavefront6targetE1EEEvSE_
; %bb.0:
	.section	.rodata,"a",@progbits
	.p2align	6, 0x0
	.amdhsa_kernel _ZN7rocprim17ROCPRIM_400000_NS6detail17trampoline_kernelINS0_14default_configENS1_35radix_sort_onesweep_config_selectorIflEEZNS1_34radix_sort_onesweep_global_offsetsIS3_Lb0EPfN6thrust23THRUST_200600_302600_NS10device_ptrIlEEjNS0_19identity_decomposerEEE10hipError_tT1_T2_PT3_SG_jT4_jjP12ihipStream_tbEUlT_E0_NS1_11comp_targetILNS1_3genE0ELNS1_11target_archE4294967295ELNS1_3gpuE0ELNS1_3repE0EEENS1_52radix_sort_onesweep_histogram_config_static_selectorELNS0_4arch9wavefront6targetE1EEEvSE_
		.amdhsa_group_segment_fixed_size 0
		.amdhsa_private_segment_fixed_size 0
		.amdhsa_kernarg_size 8
		.amdhsa_user_sgpr_count 6
		.amdhsa_user_sgpr_private_segment_buffer 1
		.amdhsa_user_sgpr_dispatch_ptr 0
		.amdhsa_user_sgpr_queue_ptr 0
		.amdhsa_user_sgpr_kernarg_segment_ptr 1
		.amdhsa_user_sgpr_dispatch_id 0
		.amdhsa_user_sgpr_flat_scratch_init 0
		.amdhsa_user_sgpr_kernarg_preload_length 0
		.amdhsa_user_sgpr_kernarg_preload_offset 0
		.amdhsa_user_sgpr_private_segment_size 0
		.amdhsa_uses_dynamic_stack 0
		.amdhsa_system_sgpr_private_segment_wavefront_offset 0
		.amdhsa_system_sgpr_workgroup_id_x 1
		.amdhsa_system_sgpr_workgroup_id_y 0
		.amdhsa_system_sgpr_workgroup_id_z 0
		.amdhsa_system_sgpr_workgroup_info 0
		.amdhsa_system_vgpr_workitem_id 0
		.amdhsa_next_free_vgpr 1
		.amdhsa_next_free_sgpr 0
		.amdhsa_accum_offset 4
		.amdhsa_reserve_vcc 0
		.amdhsa_reserve_flat_scratch 0
		.amdhsa_float_round_mode_32 0
		.amdhsa_float_round_mode_16_64 0
		.amdhsa_float_denorm_mode_32 3
		.amdhsa_float_denorm_mode_16_64 3
		.amdhsa_dx10_clamp 1
		.amdhsa_ieee_mode 1
		.amdhsa_fp16_overflow 0
		.amdhsa_tg_split 0
		.amdhsa_exception_fp_ieee_invalid_op 0
		.amdhsa_exception_fp_denorm_src 0
		.amdhsa_exception_fp_ieee_div_zero 0
		.amdhsa_exception_fp_ieee_overflow 0
		.amdhsa_exception_fp_ieee_underflow 0
		.amdhsa_exception_fp_ieee_inexact 0
		.amdhsa_exception_int_div_zero 0
	.end_amdhsa_kernel
	.section	.text._ZN7rocprim17ROCPRIM_400000_NS6detail17trampoline_kernelINS0_14default_configENS1_35radix_sort_onesweep_config_selectorIflEEZNS1_34radix_sort_onesweep_global_offsetsIS3_Lb0EPfN6thrust23THRUST_200600_302600_NS10device_ptrIlEEjNS0_19identity_decomposerEEE10hipError_tT1_T2_PT3_SG_jT4_jjP12ihipStream_tbEUlT_E0_NS1_11comp_targetILNS1_3genE0ELNS1_11target_archE4294967295ELNS1_3gpuE0ELNS1_3repE0EEENS1_52radix_sort_onesweep_histogram_config_static_selectorELNS0_4arch9wavefront6targetE1EEEvSE_,"axG",@progbits,_ZN7rocprim17ROCPRIM_400000_NS6detail17trampoline_kernelINS0_14default_configENS1_35radix_sort_onesweep_config_selectorIflEEZNS1_34radix_sort_onesweep_global_offsetsIS3_Lb0EPfN6thrust23THRUST_200600_302600_NS10device_ptrIlEEjNS0_19identity_decomposerEEE10hipError_tT1_T2_PT3_SG_jT4_jjP12ihipStream_tbEUlT_E0_NS1_11comp_targetILNS1_3genE0ELNS1_11target_archE4294967295ELNS1_3gpuE0ELNS1_3repE0EEENS1_52radix_sort_onesweep_histogram_config_static_selectorELNS0_4arch9wavefront6targetE1EEEvSE_,comdat
.Lfunc_end1825:
	.size	_ZN7rocprim17ROCPRIM_400000_NS6detail17trampoline_kernelINS0_14default_configENS1_35radix_sort_onesweep_config_selectorIflEEZNS1_34radix_sort_onesweep_global_offsetsIS3_Lb0EPfN6thrust23THRUST_200600_302600_NS10device_ptrIlEEjNS0_19identity_decomposerEEE10hipError_tT1_T2_PT3_SG_jT4_jjP12ihipStream_tbEUlT_E0_NS1_11comp_targetILNS1_3genE0ELNS1_11target_archE4294967295ELNS1_3gpuE0ELNS1_3repE0EEENS1_52radix_sort_onesweep_histogram_config_static_selectorELNS0_4arch9wavefront6targetE1EEEvSE_, .Lfunc_end1825-_ZN7rocprim17ROCPRIM_400000_NS6detail17trampoline_kernelINS0_14default_configENS1_35radix_sort_onesweep_config_selectorIflEEZNS1_34radix_sort_onesweep_global_offsetsIS3_Lb0EPfN6thrust23THRUST_200600_302600_NS10device_ptrIlEEjNS0_19identity_decomposerEEE10hipError_tT1_T2_PT3_SG_jT4_jjP12ihipStream_tbEUlT_E0_NS1_11comp_targetILNS1_3genE0ELNS1_11target_archE4294967295ELNS1_3gpuE0ELNS1_3repE0EEENS1_52radix_sort_onesweep_histogram_config_static_selectorELNS0_4arch9wavefront6targetE1EEEvSE_
                                        ; -- End function
	.section	.AMDGPU.csdata,"",@progbits
; Kernel info:
; codeLenInByte = 0
; NumSgprs: 4
; NumVgprs: 0
; NumAgprs: 0
; TotalNumVgprs: 0
; ScratchSize: 0
; MemoryBound: 0
; FloatMode: 240
; IeeeMode: 1
; LDSByteSize: 0 bytes/workgroup (compile time only)
; SGPRBlocks: 0
; VGPRBlocks: 0
; NumSGPRsForWavesPerEU: 4
; NumVGPRsForWavesPerEU: 1
; AccumOffset: 4
; Occupancy: 8
; WaveLimiterHint : 0
; COMPUTE_PGM_RSRC2:SCRATCH_EN: 0
; COMPUTE_PGM_RSRC2:USER_SGPR: 6
; COMPUTE_PGM_RSRC2:TRAP_HANDLER: 0
; COMPUTE_PGM_RSRC2:TGID_X_EN: 1
; COMPUTE_PGM_RSRC2:TGID_Y_EN: 0
; COMPUTE_PGM_RSRC2:TGID_Z_EN: 0
; COMPUTE_PGM_RSRC2:TIDIG_COMP_CNT: 0
; COMPUTE_PGM_RSRC3_GFX90A:ACCUM_OFFSET: 0
; COMPUTE_PGM_RSRC3_GFX90A:TG_SPLIT: 0
	.section	.text._ZN7rocprim17ROCPRIM_400000_NS6detail17trampoline_kernelINS0_14default_configENS1_35radix_sort_onesweep_config_selectorIflEEZNS1_34radix_sort_onesweep_global_offsetsIS3_Lb0EPfN6thrust23THRUST_200600_302600_NS10device_ptrIlEEjNS0_19identity_decomposerEEE10hipError_tT1_T2_PT3_SG_jT4_jjP12ihipStream_tbEUlT_E0_NS1_11comp_targetILNS1_3genE6ELNS1_11target_archE950ELNS1_3gpuE13ELNS1_3repE0EEENS1_52radix_sort_onesweep_histogram_config_static_selectorELNS0_4arch9wavefront6targetE1EEEvSE_,"axG",@progbits,_ZN7rocprim17ROCPRIM_400000_NS6detail17trampoline_kernelINS0_14default_configENS1_35radix_sort_onesweep_config_selectorIflEEZNS1_34radix_sort_onesweep_global_offsetsIS3_Lb0EPfN6thrust23THRUST_200600_302600_NS10device_ptrIlEEjNS0_19identity_decomposerEEE10hipError_tT1_T2_PT3_SG_jT4_jjP12ihipStream_tbEUlT_E0_NS1_11comp_targetILNS1_3genE6ELNS1_11target_archE950ELNS1_3gpuE13ELNS1_3repE0EEENS1_52radix_sort_onesweep_histogram_config_static_selectorELNS0_4arch9wavefront6targetE1EEEvSE_,comdat
	.protected	_ZN7rocprim17ROCPRIM_400000_NS6detail17trampoline_kernelINS0_14default_configENS1_35radix_sort_onesweep_config_selectorIflEEZNS1_34radix_sort_onesweep_global_offsetsIS3_Lb0EPfN6thrust23THRUST_200600_302600_NS10device_ptrIlEEjNS0_19identity_decomposerEEE10hipError_tT1_T2_PT3_SG_jT4_jjP12ihipStream_tbEUlT_E0_NS1_11comp_targetILNS1_3genE6ELNS1_11target_archE950ELNS1_3gpuE13ELNS1_3repE0EEENS1_52radix_sort_onesweep_histogram_config_static_selectorELNS0_4arch9wavefront6targetE1EEEvSE_ ; -- Begin function _ZN7rocprim17ROCPRIM_400000_NS6detail17trampoline_kernelINS0_14default_configENS1_35radix_sort_onesweep_config_selectorIflEEZNS1_34radix_sort_onesweep_global_offsetsIS3_Lb0EPfN6thrust23THRUST_200600_302600_NS10device_ptrIlEEjNS0_19identity_decomposerEEE10hipError_tT1_T2_PT3_SG_jT4_jjP12ihipStream_tbEUlT_E0_NS1_11comp_targetILNS1_3genE6ELNS1_11target_archE950ELNS1_3gpuE13ELNS1_3repE0EEENS1_52radix_sort_onesweep_histogram_config_static_selectorELNS0_4arch9wavefront6targetE1EEEvSE_
	.globl	_ZN7rocprim17ROCPRIM_400000_NS6detail17trampoline_kernelINS0_14default_configENS1_35radix_sort_onesweep_config_selectorIflEEZNS1_34radix_sort_onesweep_global_offsetsIS3_Lb0EPfN6thrust23THRUST_200600_302600_NS10device_ptrIlEEjNS0_19identity_decomposerEEE10hipError_tT1_T2_PT3_SG_jT4_jjP12ihipStream_tbEUlT_E0_NS1_11comp_targetILNS1_3genE6ELNS1_11target_archE950ELNS1_3gpuE13ELNS1_3repE0EEENS1_52radix_sort_onesweep_histogram_config_static_selectorELNS0_4arch9wavefront6targetE1EEEvSE_
	.p2align	8
	.type	_ZN7rocprim17ROCPRIM_400000_NS6detail17trampoline_kernelINS0_14default_configENS1_35radix_sort_onesweep_config_selectorIflEEZNS1_34radix_sort_onesweep_global_offsetsIS3_Lb0EPfN6thrust23THRUST_200600_302600_NS10device_ptrIlEEjNS0_19identity_decomposerEEE10hipError_tT1_T2_PT3_SG_jT4_jjP12ihipStream_tbEUlT_E0_NS1_11comp_targetILNS1_3genE6ELNS1_11target_archE950ELNS1_3gpuE13ELNS1_3repE0EEENS1_52radix_sort_onesweep_histogram_config_static_selectorELNS0_4arch9wavefront6targetE1EEEvSE_,@function
_ZN7rocprim17ROCPRIM_400000_NS6detail17trampoline_kernelINS0_14default_configENS1_35radix_sort_onesweep_config_selectorIflEEZNS1_34radix_sort_onesweep_global_offsetsIS3_Lb0EPfN6thrust23THRUST_200600_302600_NS10device_ptrIlEEjNS0_19identity_decomposerEEE10hipError_tT1_T2_PT3_SG_jT4_jjP12ihipStream_tbEUlT_E0_NS1_11comp_targetILNS1_3genE6ELNS1_11target_archE950ELNS1_3gpuE13ELNS1_3repE0EEENS1_52radix_sort_onesweep_histogram_config_static_selectorELNS0_4arch9wavefront6targetE1EEEvSE_: ; @_ZN7rocprim17ROCPRIM_400000_NS6detail17trampoline_kernelINS0_14default_configENS1_35radix_sort_onesweep_config_selectorIflEEZNS1_34radix_sort_onesweep_global_offsetsIS3_Lb0EPfN6thrust23THRUST_200600_302600_NS10device_ptrIlEEjNS0_19identity_decomposerEEE10hipError_tT1_T2_PT3_SG_jT4_jjP12ihipStream_tbEUlT_E0_NS1_11comp_targetILNS1_3genE6ELNS1_11target_archE950ELNS1_3gpuE13ELNS1_3repE0EEENS1_52radix_sort_onesweep_histogram_config_static_selectorELNS0_4arch9wavefront6targetE1EEEvSE_
; %bb.0:
	.section	.rodata,"a",@progbits
	.p2align	6, 0x0
	.amdhsa_kernel _ZN7rocprim17ROCPRIM_400000_NS6detail17trampoline_kernelINS0_14default_configENS1_35radix_sort_onesweep_config_selectorIflEEZNS1_34radix_sort_onesweep_global_offsetsIS3_Lb0EPfN6thrust23THRUST_200600_302600_NS10device_ptrIlEEjNS0_19identity_decomposerEEE10hipError_tT1_T2_PT3_SG_jT4_jjP12ihipStream_tbEUlT_E0_NS1_11comp_targetILNS1_3genE6ELNS1_11target_archE950ELNS1_3gpuE13ELNS1_3repE0EEENS1_52radix_sort_onesweep_histogram_config_static_selectorELNS0_4arch9wavefront6targetE1EEEvSE_
		.amdhsa_group_segment_fixed_size 0
		.amdhsa_private_segment_fixed_size 0
		.amdhsa_kernarg_size 8
		.amdhsa_user_sgpr_count 6
		.amdhsa_user_sgpr_private_segment_buffer 1
		.amdhsa_user_sgpr_dispatch_ptr 0
		.amdhsa_user_sgpr_queue_ptr 0
		.amdhsa_user_sgpr_kernarg_segment_ptr 1
		.amdhsa_user_sgpr_dispatch_id 0
		.amdhsa_user_sgpr_flat_scratch_init 0
		.amdhsa_user_sgpr_kernarg_preload_length 0
		.amdhsa_user_sgpr_kernarg_preload_offset 0
		.amdhsa_user_sgpr_private_segment_size 0
		.amdhsa_uses_dynamic_stack 0
		.amdhsa_system_sgpr_private_segment_wavefront_offset 0
		.amdhsa_system_sgpr_workgroup_id_x 1
		.amdhsa_system_sgpr_workgroup_id_y 0
		.amdhsa_system_sgpr_workgroup_id_z 0
		.amdhsa_system_sgpr_workgroup_info 0
		.amdhsa_system_vgpr_workitem_id 0
		.amdhsa_next_free_vgpr 1
		.amdhsa_next_free_sgpr 0
		.amdhsa_accum_offset 4
		.amdhsa_reserve_vcc 0
		.amdhsa_reserve_flat_scratch 0
		.amdhsa_float_round_mode_32 0
		.amdhsa_float_round_mode_16_64 0
		.amdhsa_float_denorm_mode_32 3
		.amdhsa_float_denorm_mode_16_64 3
		.amdhsa_dx10_clamp 1
		.amdhsa_ieee_mode 1
		.amdhsa_fp16_overflow 0
		.amdhsa_tg_split 0
		.amdhsa_exception_fp_ieee_invalid_op 0
		.amdhsa_exception_fp_denorm_src 0
		.amdhsa_exception_fp_ieee_div_zero 0
		.amdhsa_exception_fp_ieee_overflow 0
		.amdhsa_exception_fp_ieee_underflow 0
		.amdhsa_exception_fp_ieee_inexact 0
		.amdhsa_exception_int_div_zero 0
	.end_amdhsa_kernel
	.section	.text._ZN7rocprim17ROCPRIM_400000_NS6detail17trampoline_kernelINS0_14default_configENS1_35radix_sort_onesweep_config_selectorIflEEZNS1_34radix_sort_onesweep_global_offsetsIS3_Lb0EPfN6thrust23THRUST_200600_302600_NS10device_ptrIlEEjNS0_19identity_decomposerEEE10hipError_tT1_T2_PT3_SG_jT4_jjP12ihipStream_tbEUlT_E0_NS1_11comp_targetILNS1_3genE6ELNS1_11target_archE950ELNS1_3gpuE13ELNS1_3repE0EEENS1_52radix_sort_onesweep_histogram_config_static_selectorELNS0_4arch9wavefront6targetE1EEEvSE_,"axG",@progbits,_ZN7rocprim17ROCPRIM_400000_NS6detail17trampoline_kernelINS0_14default_configENS1_35radix_sort_onesweep_config_selectorIflEEZNS1_34radix_sort_onesweep_global_offsetsIS3_Lb0EPfN6thrust23THRUST_200600_302600_NS10device_ptrIlEEjNS0_19identity_decomposerEEE10hipError_tT1_T2_PT3_SG_jT4_jjP12ihipStream_tbEUlT_E0_NS1_11comp_targetILNS1_3genE6ELNS1_11target_archE950ELNS1_3gpuE13ELNS1_3repE0EEENS1_52radix_sort_onesweep_histogram_config_static_selectorELNS0_4arch9wavefront6targetE1EEEvSE_,comdat
.Lfunc_end1826:
	.size	_ZN7rocprim17ROCPRIM_400000_NS6detail17trampoline_kernelINS0_14default_configENS1_35radix_sort_onesweep_config_selectorIflEEZNS1_34radix_sort_onesweep_global_offsetsIS3_Lb0EPfN6thrust23THRUST_200600_302600_NS10device_ptrIlEEjNS0_19identity_decomposerEEE10hipError_tT1_T2_PT3_SG_jT4_jjP12ihipStream_tbEUlT_E0_NS1_11comp_targetILNS1_3genE6ELNS1_11target_archE950ELNS1_3gpuE13ELNS1_3repE0EEENS1_52radix_sort_onesweep_histogram_config_static_selectorELNS0_4arch9wavefront6targetE1EEEvSE_, .Lfunc_end1826-_ZN7rocprim17ROCPRIM_400000_NS6detail17trampoline_kernelINS0_14default_configENS1_35radix_sort_onesweep_config_selectorIflEEZNS1_34radix_sort_onesweep_global_offsetsIS3_Lb0EPfN6thrust23THRUST_200600_302600_NS10device_ptrIlEEjNS0_19identity_decomposerEEE10hipError_tT1_T2_PT3_SG_jT4_jjP12ihipStream_tbEUlT_E0_NS1_11comp_targetILNS1_3genE6ELNS1_11target_archE950ELNS1_3gpuE13ELNS1_3repE0EEENS1_52radix_sort_onesweep_histogram_config_static_selectorELNS0_4arch9wavefront6targetE1EEEvSE_
                                        ; -- End function
	.section	.AMDGPU.csdata,"",@progbits
; Kernel info:
; codeLenInByte = 0
; NumSgprs: 4
; NumVgprs: 0
; NumAgprs: 0
; TotalNumVgprs: 0
; ScratchSize: 0
; MemoryBound: 0
; FloatMode: 240
; IeeeMode: 1
; LDSByteSize: 0 bytes/workgroup (compile time only)
; SGPRBlocks: 0
; VGPRBlocks: 0
; NumSGPRsForWavesPerEU: 4
; NumVGPRsForWavesPerEU: 1
; AccumOffset: 4
; Occupancy: 8
; WaveLimiterHint : 0
; COMPUTE_PGM_RSRC2:SCRATCH_EN: 0
; COMPUTE_PGM_RSRC2:USER_SGPR: 6
; COMPUTE_PGM_RSRC2:TRAP_HANDLER: 0
; COMPUTE_PGM_RSRC2:TGID_X_EN: 1
; COMPUTE_PGM_RSRC2:TGID_Y_EN: 0
; COMPUTE_PGM_RSRC2:TGID_Z_EN: 0
; COMPUTE_PGM_RSRC2:TIDIG_COMP_CNT: 0
; COMPUTE_PGM_RSRC3_GFX90A:ACCUM_OFFSET: 0
; COMPUTE_PGM_RSRC3_GFX90A:TG_SPLIT: 0
	.section	.text._ZN7rocprim17ROCPRIM_400000_NS6detail17trampoline_kernelINS0_14default_configENS1_35radix_sort_onesweep_config_selectorIflEEZNS1_34radix_sort_onesweep_global_offsetsIS3_Lb0EPfN6thrust23THRUST_200600_302600_NS10device_ptrIlEEjNS0_19identity_decomposerEEE10hipError_tT1_T2_PT3_SG_jT4_jjP12ihipStream_tbEUlT_E0_NS1_11comp_targetILNS1_3genE5ELNS1_11target_archE942ELNS1_3gpuE9ELNS1_3repE0EEENS1_52radix_sort_onesweep_histogram_config_static_selectorELNS0_4arch9wavefront6targetE1EEEvSE_,"axG",@progbits,_ZN7rocprim17ROCPRIM_400000_NS6detail17trampoline_kernelINS0_14default_configENS1_35radix_sort_onesweep_config_selectorIflEEZNS1_34radix_sort_onesweep_global_offsetsIS3_Lb0EPfN6thrust23THRUST_200600_302600_NS10device_ptrIlEEjNS0_19identity_decomposerEEE10hipError_tT1_T2_PT3_SG_jT4_jjP12ihipStream_tbEUlT_E0_NS1_11comp_targetILNS1_3genE5ELNS1_11target_archE942ELNS1_3gpuE9ELNS1_3repE0EEENS1_52radix_sort_onesweep_histogram_config_static_selectorELNS0_4arch9wavefront6targetE1EEEvSE_,comdat
	.protected	_ZN7rocprim17ROCPRIM_400000_NS6detail17trampoline_kernelINS0_14default_configENS1_35radix_sort_onesweep_config_selectorIflEEZNS1_34radix_sort_onesweep_global_offsetsIS3_Lb0EPfN6thrust23THRUST_200600_302600_NS10device_ptrIlEEjNS0_19identity_decomposerEEE10hipError_tT1_T2_PT3_SG_jT4_jjP12ihipStream_tbEUlT_E0_NS1_11comp_targetILNS1_3genE5ELNS1_11target_archE942ELNS1_3gpuE9ELNS1_3repE0EEENS1_52radix_sort_onesweep_histogram_config_static_selectorELNS0_4arch9wavefront6targetE1EEEvSE_ ; -- Begin function _ZN7rocprim17ROCPRIM_400000_NS6detail17trampoline_kernelINS0_14default_configENS1_35radix_sort_onesweep_config_selectorIflEEZNS1_34radix_sort_onesweep_global_offsetsIS3_Lb0EPfN6thrust23THRUST_200600_302600_NS10device_ptrIlEEjNS0_19identity_decomposerEEE10hipError_tT1_T2_PT3_SG_jT4_jjP12ihipStream_tbEUlT_E0_NS1_11comp_targetILNS1_3genE5ELNS1_11target_archE942ELNS1_3gpuE9ELNS1_3repE0EEENS1_52radix_sort_onesweep_histogram_config_static_selectorELNS0_4arch9wavefront6targetE1EEEvSE_
	.globl	_ZN7rocprim17ROCPRIM_400000_NS6detail17trampoline_kernelINS0_14default_configENS1_35radix_sort_onesweep_config_selectorIflEEZNS1_34radix_sort_onesweep_global_offsetsIS3_Lb0EPfN6thrust23THRUST_200600_302600_NS10device_ptrIlEEjNS0_19identity_decomposerEEE10hipError_tT1_T2_PT3_SG_jT4_jjP12ihipStream_tbEUlT_E0_NS1_11comp_targetILNS1_3genE5ELNS1_11target_archE942ELNS1_3gpuE9ELNS1_3repE0EEENS1_52radix_sort_onesweep_histogram_config_static_selectorELNS0_4arch9wavefront6targetE1EEEvSE_
	.p2align	8
	.type	_ZN7rocprim17ROCPRIM_400000_NS6detail17trampoline_kernelINS0_14default_configENS1_35radix_sort_onesweep_config_selectorIflEEZNS1_34radix_sort_onesweep_global_offsetsIS3_Lb0EPfN6thrust23THRUST_200600_302600_NS10device_ptrIlEEjNS0_19identity_decomposerEEE10hipError_tT1_T2_PT3_SG_jT4_jjP12ihipStream_tbEUlT_E0_NS1_11comp_targetILNS1_3genE5ELNS1_11target_archE942ELNS1_3gpuE9ELNS1_3repE0EEENS1_52radix_sort_onesweep_histogram_config_static_selectorELNS0_4arch9wavefront6targetE1EEEvSE_,@function
_ZN7rocprim17ROCPRIM_400000_NS6detail17trampoline_kernelINS0_14default_configENS1_35radix_sort_onesweep_config_selectorIflEEZNS1_34radix_sort_onesweep_global_offsetsIS3_Lb0EPfN6thrust23THRUST_200600_302600_NS10device_ptrIlEEjNS0_19identity_decomposerEEE10hipError_tT1_T2_PT3_SG_jT4_jjP12ihipStream_tbEUlT_E0_NS1_11comp_targetILNS1_3genE5ELNS1_11target_archE942ELNS1_3gpuE9ELNS1_3repE0EEENS1_52radix_sort_onesweep_histogram_config_static_selectorELNS0_4arch9wavefront6targetE1EEEvSE_: ; @_ZN7rocprim17ROCPRIM_400000_NS6detail17trampoline_kernelINS0_14default_configENS1_35radix_sort_onesweep_config_selectorIflEEZNS1_34radix_sort_onesweep_global_offsetsIS3_Lb0EPfN6thrust23THRUST_200600_302600_NS10device_ptrIlEEjNS0_19identity_decomposerEEE10hipError_tT1_T2_PT3_SG_jT4_jjP12ihipStream_tbEUlT_E0_NS1_11comp_targetILNS1_3genE5ELNS1_11target_archE942ELNS1_3gpuE9ELNS1_3repE0EEENS1_52radix_sort_onesweep_histogram_config_static_selectorELNS0_4arch9wavefront6targetE1EEEvSE_
; %bb.0:
	.section	.rodata,"a",@progbits
	.p2align	6, 0x0
	.amdhsa_kernel _ZN7rocprim17ROCPRIM_400000_NS6detail17trampoline_kernelINS0_14default_configENS1_35radix_sort_onesweep_config_selectorIflEEZNS1_34radix_sort_onesweep_global_offsetsIS3_Lb0EPfN6thrust23THRUST_200600_302600_NS10device_ptrIlEEjNS0_19identity_decomposerEEE10hipError_tT1_T2_PT3_SG_jT4_jjP12ihipStream_tbEUlT_E0_NS1_11comp_targetILNS1_3genE5ELNS1_11target_archE942ELNS1_3gpuE9ELNS1_3repE0EEENS1_52radix_sort_onesweep_histogram_config_static_selectorELNS0_4arch9wavefront6targetE1EEEvSE_
		.amdhsa_group_segment_fixed_size 0
		.amdhsa_private_segment_fixed_size 0
		.amdhsa_kernarg_size 8
		.amdhsa_user_sgpr_count 6
		.amdhsa_user_sgpr_private_segment_buffer 1
		.amdhsa_user_sgpr_dispatch_ptr 0
		.amdhsa_user_sgpr_queue_ptr 0
		.amdhsa_user_sgpr_kernarg_segment_ptr 1
		.amdhsa_user_sgpr_dispatch_id 0
		.amdhsa_user_sgpr_flat_scratch_init 0
		.amdhsa_user_sgpr_kernarg_preload_length 0
		.amdhsa_user_sgpr_kernarg_preload_offset 0
		.amdhsa_user_sgpr_private_segment_size 0
		.amdhsa_uses_dynamic_stack 0
		.amdhsa_system_sgpr_private_segment_wavefront_offset 0
		.amdhsa_system_sgpr_workgroup_id_x 1
		.amdhsa_system_sgpr_workgroup_id_y 0
		.amdhsa_system_sgpr_workgroup_id_z 0
		.amdhsa_system_sgpr_workgroup_info 0
		.amdhsa_system_vgpr_workitem_id 0
		.amdhsa_next_free_vgpr 1
		.amdhsa_next_free_sgpr 0
		.amdhsa_accum_offset 4
		.amdhsa_reserve_vcc 0
		.amdhsa_reserve_flat_scratch 0
		.amdhsa_float_round_mode_32 0
		.amdhsa_float_round_mode_16_64 0
		.amdhsa_float_denorm_mode_32 3
		.amdhsa_float_denorm_mode_16_64 3
		.amdhsa_dx10_clamp 1
		.amdhsa_ieee_mode 1
		.amdhsa_fp16_overflow 0
		.amdhsa_tg_split 0
		.amdhsa_exception_fp_ieee_invalid_op 0
		.amdhsa_exception_fp_denorm_src 0
		.amdhsa_exception_fp_ieee_div_zero 0
		.amdhsa_exception_fp_ieee_overflow 0
		.amdhsa_exception_fp_ieee_underflow 0
		.amdhsa_exception_fp_ieee_inexact 0
		.amdhsa_exception_int_div_zero 0
	.end_amdhsa_kernel
	.section	.text._ZN7rocprim17ROCPRIM_400000_NS6detail17trampoline_kernelINS0_14default_configENS1_35radix_sort_onesweep_config_selectorIflEEZNS1_34radix_sort_onesweep_global_offsetsIS3_Lb0EPfN6thrust23THRUST_200600_302600_NS10device_ptrIlEEjNS0_19identity_decomposerEEE10hipError_tT1_T2_PT3_SG_jT4_jjP12ihipStream_tbEUlT_E0_NS1_11comp_targetILNS1_3genE5ELNS1_11target_archE942ELNS1_3gpuE9ELNS1_3repE0EEENS1_52radix_sort_onesweep_histogram_config_static_selectorELNS0_4arch9wavefront6targetE1EEEvSE_,"axG",@progbits,_ZN7rocprim17ROCPRIM_400000_NS6detail17trampoline_kernelINS0_14default_configENS1_35radix_sort_onesweep_config_selectorIflEEZNS1_34radix_sort_onesweep_global_offsetsIS3_Lb0EPfN6thrust23THRUST_200600_302600_NS10device_ptrIlEEjNS0_19identity_decomposerEEE10hipError_tT1_T2_PT3_SG_jT4_jjP12ihipStream_tbEUlT_E0_NS1_11comp_targetILNS1_3genE5ELNS1_11target_archE942ELNS1_3gpuE9ELNS1_3repE0EEENS1_52radix_sort_onesweep_histogram_config_static_selectorELNS0_4arch9wavefront6targetE1EEEvSE_,comdat
.Lfunc_end1827:
	.size	_ZN7rocprim17ROCPRIM_400000_NS6detail17trampoline_kernelINS0_14default_configENS1_35radix_sort_onesweep_config_selectorIflEEZNS1_34radix_sort_onesweep_global_offsetsIS3_Lb0EPfN6thrust23THRUST_200600_302600_NS10device_ptrIlEEjNS0_19identity_decomposerEEE10hipError_tT1_T2_PT3_SG_jT4_jjP12ihipStream_tbEUlT_E0_NS1_11comp_targetILNS1_3genE5ELNS1_11target_archE942ELNS1_3gpuE9ELNS1_3repE0EEENS1_52radix_sort_onesweep_histogram_config_static_selectorELNS0_4arch9wavefront6targetE1EEEvSE_, .Lfunc_end1827-_ZN7rocprim17ROCPRIM_400000_NS6detail17trampoline_kernelINS0_14default_configENS1_35radix_sort_onesweep_config_selectorIflEEZNS1_34radix_sort_onesweep_global_offsetsIS3_Lb0EPfN6thrust23THRUST_200600_302600_NS10device_ptrIlEEjNS0_19identity_decomposerEEE10hipError_tT1_T2_PT3_SG_jT4_jjP12ihipStream_tbEUlT_E0_NS1_11comp_targetILNS1_3genE5ELNS1_11target_archE942ELNS1_3gpuE9ELNS1_3repE0EEENS1_52radix_sort_onesweep_histogram_config_static_selectorELNS0_4arch9wavefront6targetE1EEEvSE_
                                        ; -- End function
	.section	.AMDGPU.csdata,"",@progbits
; Kernel info:
; codeLenInByte = 0
; NumSgprs: 4
; NumVgprs: 0
; NumAgprs: 0
; TotalNumVgprs: 0
; ScratchSize: 0
; MemoryBound: 0
; FloatMode: 240
; IeeeMode: 1
; LDSByteSize: 0 bytes/workgroup (compile time only)
; SGPRBlocks: 0
; VGPRBlocks: 0
; NumSGPRsForWavesPerEU: 4
; NumVGPRsForWavesPerEU: 1
; AccumOffset: 4
; Occupancy: 8
; WaveLimiterHint : 0
; COMPUTE_PGM_RSRC2:SCRATCH_EN: 0
; COMPUTE_PGM_RSRC2:USER_SGPR: 6
; COMPUTE_PGM_RSRC2:TRAP_HANDLER: 0
; COMPUTE_PGM_RSRC2:TGID_X_EN: 1
; COMPUTE_PGM_RSRC2:TGID_Y_EN: 0
; COMPUTE_PGM_RSRC2:TGID_Z_EN: 0
; COMPUTE_PGM_RSRC2:TIDIG_COMP_CNT: 0
; COMPUTE_PGM_RSRC3_GFX90A:ACCUM_OFFSET: 0
; COMPUTE_PGM_RSRC3_GFX90A:TG_SPLIT: 0
	.section	.text._ZN7rocprim17ROCPRIM_400000_NS6detail17trampoline_kernelINS0_14default_configENS1_35radix_sort_onesweep_config_selectorIflEEZNS1_34radix_sort_onesweep_global_offsetsIS3_Lb0EPfN6thrust23THRUST_200600_302600_NS10device_ptrIlEEjNS0_19identity_decomposerEEE10hipError_tT1_T2_PT3_SG_jT4_jjP12ihipStream_tbEUlT_E0_NS1_11comp_targetILNS1_3genE2ELNS1_11target_archE906ELNS1_3gpuE6ELNS1_3repE0EEENS1_52radix_sort_onesweep_histogram_config_static_selectorELNS0_4arch9wavefront6targetE1EEEvSE_,"axG",@progbits,_ZN7rocprim17ROCPRIM_400000_NS6detail17trampoline_kernelINS0_14default_configENS1_35radix_sort_onesweep_config_selectorIflEEZNS1_34radix_sort_onesweep_global_offsetsIS3_Lb0EPfN6thrust23THRUST_200600_302600_NS10device_ptrIlEEjNS0_19identity_decomposerEEE10hipError_tT1_T2_PT3_SG_jT4_jjP12ihipStream_tbEUlT_E0_NS1_11comp_targetILNS1_3genE2ELNS1_11target_archE906ELNS1_3gpuE6ELNS1_3repE0EEENS1_52radix_sort_onesweep_histogram_config_static_selectorELNS0_4arch9wavefront6targetE1EEEvSE_,comdat
	.protected	_ZN7rocprim17ROCPRIM_400000_NS6detail17trampoline_kernelINS0_14default_configENS1_35radix_sort_onesweep_config_selectorIflEEZNS1_34radix_sort_onesweep_global_offsetsIS3_Lb0EPfN6thrust23THRUST_200600_302600_NS10device_ptrIlEEjNS0_19identity_decomposerEEE10hipError_tT1_T2_PT3_SG_jT4_jjP12ihipStream_tbEUlT_E0_NS1_11comp_targetILNS1_3genE2ELNS1_11target_archE906ELNS1_3gpuE6ELNS1_3repE0EEENS1_52radix_sort_onesweep_histogram_config_static_selectorELNS0_4arch9wavefront6targetE1EEEvSE_ ; -- Begin function _ZN7rocprim17ROCPRIM_400000_NS6detail17trampoline_kernelINS0_14default_configENS1_35radix_sort_onesweep_config_selectorIflEEZNS1_34radix_sort_onesweep_global_offsetsIS3_Lb0EPfN6thrust23THRUST_200600_302600_NS10device_ptrIlEEjNS0_19identity_decomposerEEE10hipError_tT1_T2_PT3_SG_jT4_jjP12ihipStream_tbEUlT_E0_NS1_11comp_targetILNS1_3genE2ELNS1_11target_archE906ELNS1_3gpuE6ELNS1_3repE0EEENS1_52radix_sort_onesweep_histogram_config_static_selectorELNS0_4arch9wavefront6targetE1EEEvSE_
	.globl	_ZN7rocprim17ROCPRIM_400000_NS6detail17trampoline_kernelINS0_14default_configENS1_35radix_sort_onesweep_config_selectorIflEEZNS1_34radix_sort_onesweep_global_offsetsIS3_Lb0EPfN6thrust23THRUST_200600_302600_NS10device_ptrIlEEjNS0_19identity_decomposerEEE10hipError_tT1_T2_PT3_SG_jT4_jjP12ihipStream_tbEUlT_E0_NS1_11comp_targetILNS1_3genE2ELNS1_11target_archE906ELNS1_3gpuE6ELNS1_3repE0EEENS1_52radix_sort_onesweep_histogram_config_static_selectorELNS0_4arch9wavefront6targetE1EEEvSE_
	.p2align	8
	.type	_ZN7rocprim17ROCPRIM_400000_NS6detail17trampoline_kernelINS0_14default_configENS1_35radix_sort_onesweep_config_selectorIflEEZNS1_34radix_sort_onesweep_global_offsetsIS3_Lb0EPfN6thrust23THRUST_200600_302600_NS10device_ptrIlEEjNS0_19identity_decomposerEEE10hipError_tT1_T2_PT3_SG_jT4_jjP12ihipStream_tbEUlT_E0_NS1_11comp_targetILNS1_3genE2ELNS1_11target_archE906ELNS1_3gpuE6ELNS1_3repE0EEENS1_52radix_sort_onesweep_histogram_config_static_selectorELNS0_4arch9wavefront6targetE1EEEvSE_,@function
_ZN7rocprim17ROCPRIM_400000_NS6detail17trampoline_kernelINS0_14default_configENS1_35radix_sort_onesweep_config_selectorIflEEZNS1_34radix_sort_onesweep_global_offsetsIS3_Lb0EPfN6thrust23THRUST_200600_302600_NS10device_ptrIlEEjNS0_19identity_decomposerEEE10hipError_tT1_T2_PT3_SG_jT4_jjP12ihipStream_tbEUlT_E0_NS1_11comp_targetILNS1_3genE2ELNS1_11target_archE906ELNS1_3gpuE6ELNS1_3repE0EEENS1_52radix_sort_onesweep_histogram_config_static_selectorELNS0_4arch9wavefront6targetE1EEEvSE_: ; @_ZN7rocprim17ROCPRIM_400000_NS6detail17trampoline_kernelINS0_14default_configENS1_35radix_sort_onesweep_config_selectorIflEEZNS1_34radix_sort_onesweep_global_offsetsIS3_Lb0EPfN6thrust23THRUST_200600_302600_NS10device_ptrIlEEjNS0_19identity_decomposerEEE10hipError_tT1_T2_PT3_SG_jT4_jjP12ihipStream_tbEUlT_E0_NS1_11comp_targetILNS1_3genE2ELNS1_11target_archE906ELNS1_3gpuE6ELNS1_3repE0EEENS1_52radix_sort_onesweep_histogram_config_static_selectorELNS0_4arch9wavefront6targetE1EEEvSE_
; %bb.0:
	.section	.rodata,"a",@progbits
	.p2align	6, 0x0
	.amdhsa_kernel _ZN7rocprim17ROCPRIM_400000_NS6detail17trampoline_kernelINS0_14default_configENS1_35radix_sort_onesweep_config_selectorIflEEZNS1_34radix_sort_onesweep_global_offsetsIS3_Lb0EPfN6thrust23THRUST_200600_302600_NS10device_ptrIlEEjNS0_19identity_decomposerEEE10hipError_tT1_T2_PT3_SG_jT4_jjP12ihipStream_tbEUlT_E0_NS1_11comp_targetILNS1_3genE2ELNS1_11target_archE906ELNS1_3gpuE6ELNS1_3repE0EEENS1_52radix_sort_onesweep_histogram_config_static_selectorELNS0_4arch9wavefront6targetE1EEEvSE_
		.amdhsa_group_segment_fixed_size 0
		.amdhsa_private_segment_fixed_size 0
		.amdhsa_kernarg_size 8
		.amdhsa_user_sgpr_count 6
		.amdhsa_user_sgpr_private_segment_buffer 1
		.amdhsa_user_sgpr_dispatch_ptr 0
		.amdhsa_user_sgpr_queue_ptr 0
		.amdhsa_user_sgpr_kernarg_segment_ptr 1
		.amdhsa_user_sgpr_dispatch_id 0
		.amdhsa_user_sgpr_flat_scratch_init 0
		.amdhsa_user_sgpr_kernarg_preload_length 0
		.amdhsa_user_sgpr_kernarg_preload_offset 0
		.amdhsa_user_sgpr_private_segment_size 0
		.amdhsa_uses_dynamic_stack 0
		.amdhsa_system_sgpr_private_segment_wavefront_offset 0
		.amdhsa_system_sgpr_workgroup_id_x 1
		.amdhsa_system_sgpr_workgroup_id_y 0
		.amdhsa_system_sgpr_workgroup_id_z 0
		.amdhsa_system_sgpr_workgroup_info 0
		.amdhsa_system_vgpr_workitem_id 0
		.amdhsa_next_free_vgpr 1
		.amdhsa_next_free_sgpr 0
		.amdhsa_accum_offset 4
		.amdhsa_reserve_vcc 0
		.amdhsa_reserve_flat_scratch 0
		.amdhsa_float_round_mode_32 0
		.amdhsa_float_round_mode_16_64 0
		.amdhsa_float_denorm_mode_32 3
		.amdhsa_float_denorm_mode_16_64 3
		.amdhsa_dx10_clamp 1
		.amdhsa_ieee_mode 1
		.amdhsa_fp16_overflow 0
		.amdhsa_tg_split 0
		.amdhsa_exception_fp_ieee_invalid_op 0
		.amdhsa_exception_fp_denorm_src 0
		.amdhsa_exception_fp_ieee_div_zero 0
		.amdhsa_exception_fp_ieee_overflow 0
		.amdhsa_exception_fp_ieee_underflow 0
		.amdhsa_exception_fp_ieee_inexact 0
		.amdhsa_exception_int_div_zero 0
	.end_amdhsa_kernel
	.section	.text._ZN7rocprim17ROCPRIM_400000_NS6detail17trampoline_kernelINS0_14default_configENS1_35radix_sort_onesweep_config_selectorIflEEZNS1_34radix_sort_onesweep_global_offsetsIS3_Lb0EPfN6thrust23THRUST_200600_302600_NS10device_ptrIlEEjNS0_19identity_decomposerEEE10hipError_tT1_T2_PT3_SG_jT4_jjP12ihipStream_tbEUlT_E0_NS1_11comp_targetILNS1_3genE2ELNS1_11target_archE906ELNS1_3gpuE6ELNS1_3repE0EEENS1_52radix_sort_onesweep_histogram_config_static_selectorELNS0_4arch9wavefront6targetE1EEEvSE_,"axG",@progbits,_ZN7rocprim17ROCPRIM_400000_NS6detail17trampoline_kernelINS0_14default_configENS1_35radix_sort_onesweep_config_selectorIflEEZNS1_34radix_sort_onesweep_global_offsetsIS3_Lb0EPfN6thrust23THRUST_200600_302600_NS10device_ptrIlEEjNS0_19identity_decomposerEEE10hipError_tT1_T2_PT3_SG_jT4_jjP12ihipStream_tbEUlT_E0_NS1_11comp_targetILNS1_3genE2ELNS1_11target_archE906ELNS1_3gpuE6ELNS1_3repE0EEENS1_52radix_sort_onesweep_histogram_config_static_selectorELNS0_4arch9wavefront6targetE1EEEvSE_,comdat
.Lfunc_end1828:
	.size	_ZN7rocprim17ROCPRIM_400000_NS6detail17trampoline_kernelINS0_14default_configENS1_35radix_sort_onesweep_config_selectorIflEEZNS1_34radix_sort_onesweep_global_offsetsIS3_Lb0EPfN6thrust23THRUST_200600_302600_NS10device_ptrIlEEjNS0_19identity_decomposerEEE10hipError_tT1_T2_PT3_SG_jT4_jjP12ihipStream_tbEUlT_E0_NS1_11comp_targetILNS1_3genE2ELNS1_11target_archE906ELNS1_3gpuE6ELNS1_3repE0EEENS1_52radix_sort_onesweep_histogram_config_static_selectorELNS0_4arch9wavefront6targetE1EEEvSE_, .Lfunc_end1828-_ZN7rocprim17ROCPRIM_400000_NS6detail17trampoline_kernelINS0_14default_configENS1_35radix_sort_onesweep_config_selectorIflEEZNS1_34radix_sort_onesweep_global_offsetsIS3_Lb0EPfN6thrust23THRUST_200600_302600_NS10device_ptrIlEEjNS0_19identity_decomposerEEE10hipError_tT1_T2_PT3_SG_jT4_jjP12ihipStream_tbEUlT_E0_NS1_11comp_targetILNS1_3genE2ELNS1_11target_archE906ELNS1_3gpuE6ELNS1_3repE0EEENS1_52radix_sort_onesweep_histogram_config_static_selectorELNS0_4arch9wavefront6targetE1EEEvSE_
                                        ; -- End function
	.section	.AMDGPU.csdata,"",@progbits
; Kernel info:
; codeLenInByte = 0
; NumSgprs: 4
; NumVgprs: 0
; NumAgprs: 0
; TotalNumVgprs: 0
; ScratchSize: 0
; MemoryBound: 0
; FloatMode: 240
; IeeeMode: 1
; LDSByteSize: 0 bytes/workgroup (compile time only)
; SGPRBlocks: 0
; VGPRBlocks: 0
; NumSGPRsForWavesPerEU: 4
; NumVGPRsForWavesPerEU: 1
; AccumOffset: 4
; Occupancy: 8
; WaveLimiterHint : 0
; COMPUTE_PGM_RSRC2:SCRATCH_EN: 0
; COMPUTE_PGM_RSRC2:USER_SGPR: 6
; COMPUTE_PGM_RSRC2:TRAP_HANDLER: 0
; COMPUTE_PGM_RSRC2:TGID_X_EN: 1
; COMPUTE_PGM_RSRC2:TGID_Y_EN: 0
; COMPUTE_PGM_RSRC2:TGID_Z_EN: 0
; COMPUTE_PGM_RSRC2:TIDIG_COMP_CNT: 0
; COMPUTE_PGM_RSRC3_GFX90A:ACCUM_OFFSET: 0
; COMPUTE_PGM_RSRC3_GFX90A:TG_SPLIT: 0
	.section	.text._ZN7rocprim17ROCPRIM_400000_NS6detail17trampoline_kernelINS0_14default_configENS1_35radix_sort_onesweep_config_selectorIflEEZNS1_34radix_sort_onesweep_global_offsetsIS3_Lb0EPfN6thrust23THRUST_200600_302600_NS10device_ptrIlEEjNS0_19identity_decomposerEEE10hipError_tT1_T2_PT3_SG_jT4_jjP12ihipStream_tbEUlT_E0_NS1_11comp_targetILNS1_3genE4ELNS1_11target_archE910ELNS1_3gpuE8ELNS1_3repE0EEENS1_52radix_sort_onesweep_histogram_config_static_selectorELNS0_4arch9wavefront6targetE1EEEvSE_,"axG",@progbits,_ZN7rocprim17ROCPRIM_400000_NS6detail17trampoline_kernelINS0_14default_configENS1_35radix_sort_onesweep_config_selectorIflEEZNS1_34radix_sort_onesweep_global_offsetsIS3_Lb0EPfN6thrust23THRUST_200600_302600_NS10device_ptrIlEEjNS0_19identity_decomposerEEE10hipError_tT1_T2_PT3_SG_jT4_jjP12ihipStream_tbEUlT_E0_NS1_11comp_targetILNS1_3genE4ELNS1_11target_archE910ELNS1_3gpuE8ELNS1_3repE0EEENS1_52radix_sort_onesweep_histogram_config_static_selectorELNS0_4arch9wavefront6targetE1EEEvSE_,comdat
	.protected	_ZN7rocprim17ROCPRIM_400000_NS6detail17trampoline_kernelINS0_14default_configENS1_35radix_sort_onesweep_config_selectorIflEEZNS1_34radix_sort_onesweep_global_offsetsIS3_Lb0EPfN6thrust23THRUST_200600_302600_NS10device_ptrIlEEjNS0_19identity_decomposerEEE10hipError_tT1_T2_PT3_SG_jT4_jjP12ihipStream_tbEUlT_E0_NS1_11comp_targetILNS1_3genE4ELNS1_11target_archE910ELNS1_3gpuE8ELNS1_3repE0EEENS1_52radix_sort_onesweep_histogram_config_static_selectorELNS0_4arch9wavefront6targetE1EEEvSE_ ; -- Begin function _ZN7rocprim17ROCPRIM_400000_NS6detail17trampoline_kernelINS0_14default_configENS1_35radix_sort_onesweep_config_selectorIflEEZNS1_34radix_sort_onesweep_global_offsetsIS3_Lb0EPfN6thrust23THRUST_200600_302600_NS10device_ptrIlEEjNS0_19identity_decomposerEEE10hipError_tT1_T2_PT3_SG_jT4_jjP12ihipStream_tbEUlT_E0_NS1_11comp_targetILNS1_3genE4ELNS1_11target_archE910ELNS1_3gpuE8ELNS1_3repE0EEENS1_52radix_sort_onesweep_histogram_config_static_selectorELNS0_4arch9wavefront6targetE1EEEvSE_
	.globl	_ZN7rocprim17ROCPRIM_400000_NS6detail17trampoline_kernelINS0_14default_configENS1_35radix_sort_onesweep_config_selectorIflEEZNS1_34radix_sort_onesweep_global_offsetsIS3_Lb0EPfN6thrust23THRUST_200600_302600_NS10device_ptrIlEEjNS0_19identity_decomposerEEE10hipError_tT1_T2_PT3_SG_jT4_jjP12ihipStream_tbEUlT_E0_NS1_11comp_targetILNS1_3genE4ELNS1_11target_archE910ELNS1_3gpuE8ELNS1_3repE0EEENS1_52radix_sort_onesweep_histogram_config_static_selectorELNS0_4arch9wavefront6targetE1EEEvSE_
	.p2align	8
	.type	_ZN7rocprim17ROCPRIM_400000_NS6detail17trampoline_kernelINS0_14default_configENS1_35radix_sort_onesweep_config_selectorIflEEZNS1_34radix_sort_onesweep_global_offsetsIS3_Lb0EPfN6thrust23THRUST_200600_302600_NS10device_ptrIlEEjNS0_19identity_decomposerEEE10hipError_tT1_T2_PT3_SG_jT4_jjP12ihipStream_tbEUlT_E0_NS1_11comp_targetILNS1_3genE4ELNS1_11target_archE910ELNS1_3gpuE8ELNS1_3repE0EEENS1_52radix_sort_onesweep_histogram_config_static_selectorELNS0_4arch9wavefront6targetE1EEEvSE_,@function
_ZN7rocprim17ROCPRIM_400000_NS6detail17trampoline_kernelINS0_14default_configENS1_35radix_sort_onesweep_config_selectorIflEEZNS1_34radix_sort_onesweep_global_offsetsIS3_Lb0EPfN6thrust23THRUST_200600_302600_NS10device_ptrIlEEjNS0_19identity_decomposerEEE10hipError_tT1_T2_PT3_SG_jT4_jjP12ihipStream_tbEUlT_E0_NS1_11comp_targetILNS1_3genE4ELNS1_11target_archE910ELNS1_3gpuE8ELNS1_3repE0EEENS1_52radix_sort_onesweep_histogram_config_static_selectorELNS0_4arch9wavefront6targetE1EEEvSE_: ; @_ZN7rocprim17ROCPRIM_400000_NS6detail17trampoline_kernelINS0_14default_configENS1_35radix_sort_onesweep_config_selectorIflEEZNS1_34radix_sort_onesweep_global_offsetsIS3_Lb0EPfN6thrust23THRUST_200600_302600_NS10device_ptrIlEEjNS0_19identity_decomposerEEE10hipError_tT1_T2_PT3_SG_jT4_jjP12ihipStream_tbEUlT_E0_NS1_11comp_targetILNS1_3genE4ELNS1_11target_archE910ELNS1_3gpuE8ELNS1_3repE0EEENS1_52radix_sort_onesweep_histogram_config_static_selectorELNS0_4arch9wavefront6targetE1EEEvSE_
; %bb.0:
	s_load_dwordx2 s[0:1], s[4:5], 0x0
	s_lshl_b32 s2, s6, 8
	s_mov_b32 s3, 0
	s_lshl_b64 s[2:3], s[2:3], 2
	v_lshlrev_b32_e32 v1, 2, v0
	s_waitcnt lgkmcnt(0)
	s_add_u32 s10, s0, s2
	s_movk_i32 s0, 0x100
	s_addc_u32 s11, s1, s3
	v_cmp_gt_u32_e32 vcc, s0, v0
                                        ; implicit-def: $vgpr3
	s_and_saveexec_b64 s[0:1], vcc
	s_cbranch_execz .LBB1829_2
; %bb.1:
	global_load_dword v3, v1, s[10:11]
.LBB1829_2:
	s_or_b64 exec, exec, s[0:1]
	v_mbcnt_lo_u32_b32 v2, -1, 0
	v_mbcnt_hi_u32_b32 v2, -1, v2
	v_and_b32_e32 v4, 15, v2
	s_waitcnt vmcnt(0)
	v_mov_b32_dpp v5, v3 row_shr:1 row_mask:0xf bank_mask:0xf
	v_cmp_eq_u32_e64 s[0:1], 0, v4
	v_cndmask_b32_e64 v5, v5, 0, s[0:1]
	v_add_u32_e32 v3, v5, v3
	v_cmp_lt_u32_e64 s[2:3], 1, v4
	v_cmp_lt_u32_e64 s[4:5], 3, v4
	v_mov_b32_dpp v5, v3 row_shr:2 row_mask:0xf bank_mask:0xf
	v_cndmask_b32_e64 v5, 0, v5, s[2:3]
	v_add_u32_e32 v3, v3, v5
	v_cmp_lt_u32_e64 s[6:7], 7, v4
	v_cmp_lt_u32_e64 s[8:9], 31, v2
	v_mov_b32_dpp v5, v3 row_shr:4 row_mask:0xf bank_mask:0xf
	v_cndmask_b32_e64 v5, 0, v5, s[4:5]
	v_add_u32_e32 v3, v3, v5
	s_nop 1
	v_mov_b32_dpp v5, v3 row_shr:8 row_mask:0xf bank_mask:0xf
	v_cndmask_b32_e64 v4, 0, v5, s[6:7]
	v_add_u32_e32 v3, v3, v4
	v_bfe_i32 v5, v2, 4, 1
	s_nop 0
	v_mov_b32_dpp v4, v3 row_bcast:15 row_mask:0xf bank_mask:0xf
	v_and_b32_e32 v4, v5, v4
	v_add_u32_e32 v3, v3, v4
	v_and_b32_e32 v5, 63, v0
	s_nop 0
	v_mov_b32_dpp v4, v3 row_bcast:31 row_mask:0xf bank_mask:0xf
	v_cndmask_b32_e64 v4, 0, v4, s[8:9]
	v_add_u32_e32 v3, v3, v4
	v_lshrrev_b32_e32 v4, 6, v0
	v_cmp_eq_u32_e64 s[8:9], 63, v5
	s_and_saveexec_b64 s[12:13], s[8:9]
	s_cbranch_execz .LBB1829_4
; %bb.3:
	v_lshlrev_b32_e32 v5, 2, v4
	ds_write_b32 v5, v3
.LBB1829_4:
	s_or_b64 exec, exec, s[12:13]
	v_cmp_gt_u32_e64 s[8:9], 16, v0
	s_waitcnt lgkmcnt(0)
	s_barrier
	s_and_saveexec_b64 s[12:13], s[8:9]
	s_cbranch_execz .LBB1829_6
; %bb.5:
	ds_read_b32 v5, v1
	s_waitcnt lgkmcnt(0)
	s_nop 0
	v_mov_b32_dpp v6, v5 row_shr:1 row_mask:0xf bank_mask:0xf
	v_cndmask_b32_e64 v6, v6, 0, s[0:1]
	v_add_u32_e32 v5, v6, v5
	s_nop 1
	v_mov_b32_dpp v6, v5 row_shr:2 row_mask:0xf bank_mask:0xf
	v_cndmask_b32_e64 v6, 0, v6, s[2:3]
	v_add_u32_e32 v5, v5, v6
	;; [unrolled: 4-line block ×4, first 2 shown]
	ds_write_b32 v1, v5
.LBB1829_6:
	s_or_b64 exec, exec, s[12:13]
	v_cmp_lt_u32_e64 s[0:1], 63, v0
	v_mov_b32_e32 v0, 0
	s_waitcnt lgkmcnt(0)
	s_barrier
	s_and_saveexec_b64 s[2:3], s[0:1]
	s_cbranch_execz .LBB1829_8
; %bb.7:
	v_lshl_add_u32 v0, v4, 2, -4
	ds_read_b32 v0, v0
.LBB1829_8:
	s_or_b64 exec, exec, s[2:3]
	v_add_u32_e32 v4, -1, v2
	v_and_b32_e32 v5, 64, v2
	v_cmp_lt_i32_e64 s[0:1], v4, v5
	v_cndmask_b32_e64 v4, v4, v2, s[0:1]
	s_waitcnt lgkmcnt(0)
	v_add_u32_e32 v3, v0, v3
	v_lshlrev_b32_e32 v4, 2, v4
	ds_bpermute_b32 v3, v4, v3
	s_and_saveexec_b64 s[0:1], vcc
	s_cbranch_execz .LBB1829_10
; %bb.9:
	v_cmp_eq_u32_e32 vcc, 0, v2
	s_waitcnt lgkmcnt(0)
	v_cndmask_b32_e32 v0, v3, v0, vcc
	global_store_dword v1, v0, s[10:11]
.LBB1829_10:
	s_endpgm
	.section	.rodata,"a",@progbits
	.p2align	6, 0x0
	.amdhsa_kernel _ZN7rocprim17ROCPRIM_400000_NS6detail17trampoline_kernelINS0_14default_configENS1_35radix_sort_onesweep_config_selectorIflEEZNS1_34radix_sort_onesweep_global_offsetsIS3_Lb0EPfN6thrust23THRUST_200600_302600_NS10device_ptrIlEEjNS0_19identity_decomposerEEE10hipError_tT1_T2_PT3_SG_jT4_jjP12ihipStream_tbEUlT_E0_NS1_11comp_targetILNS1_3genE4ELNS1_11target_archE910ELNS1_3gpuE8ELNS1_3repE0EEENS1_52radix_sort_onesweep_histogram_config_static_selectorELNS0_4arch9wavefront6targetE1EEEvSE_
		.amdhsa_group_segment_fixed_size 64
		.amdhsa_private_segment_fixed_size 0
		.amdhsa_kernarg_size 8
		.amdhsa_user_sgpr_count 6
		.amdhsa_user_sgpr_private_segment_buffer 1
		.amdhsa_user_sgpr_dispatch_ptr 0
		.amdhsa_user_sgpr_queue_ptr 0
		.amdhsa_user_sgpr_kernarg_segment_ptr 1
		.amdhsa_user_sgpr_dispatch_id 0
		.amdhsa_user_sgpr_flat_scratch_init 0
		.amdhsa_user_sgpr_kernarg_preload_length 0
		.amdhsa_user_sgpr_kernarg_preload_offset 0
		.amdhsa_user_sgpr_private_segment_size 0
		.amdhsa_uses_dynamic_stack 0
		.amdhsa_system_sgpr_private_segment_wavefront_offset 0
		.amdhsa_system_sgpr_workgroup_id_x 1
		.amdhsa_system_sgpr_workgroup_id_y 0
		.amdhsa_system_sgpr_workgroup_id_z 0
		.amdhsa_system_sgpr_workgroup_info 0
		.amdhsa_system_vgpr_workitem_id 0
		.amdhsa_next_free_vgpr 7
		.amdhsa_next_free_sgpr 14
		.amdhsa_accum_offset 8
		.amdhsa_reserve_vcc 1
		.amdhsa_reserve_flat_scratch 0
		.amdhsa_float_round_mode_32 0
		.amdhsa_float_round_mode_16_64 0
		.amdhsa_float_denorm_mode_32 3
		.amdhsa_float_denorm_mode_16_64 3
		.amdhsa_dx10_clamp 1
		.amdhsa_ieee_mode 1
		.amdhsa_fp16_overflow 0
		.amdhsa_tg_split 0
		.amdhsa_exception_fp_ieee_invalid_op 0
		.amdhsa_exception_fp_denorm_src 0
		.amdhsa_exception_fp_ieee_div_zero 0
		.amdhsa_exception_fp_ieee_overflow 0
		.amdhsa_exception_fp_ieee_underflow 0
		.amdhsa_exception_fp_ieee_inexact 0
		.amdhsa_exception_int_div_zero 0
	.end_amdhsa_kernel
	.section	.text._ZN7rocprim17ROCPRIM_400000_NS6detail17trampoline_kernelINS0_14default_configENS1_35radix_sort_onesweep_config_selectorIflEEZNS1_34radix_sort_onesweep_global_offsetsIS3_Lb0EPfN6thrust23THRUST_200600_302600_NS10device_ptrIlEEjNS0_19identity_decomposerEEE10hipError_tT1_T2_PT3_SG_jT4_jjP12ihipStream_tbEUlT_E0_NS1_11comp_targetILNS1_3genE4ELNS1_11target_archE910ELNS1_3gpuE8ELNS1_3repE0EEENS1_52radix_sort_onesweep_histogram_config_static_selectorELNS0_4arch9wavefront6targetE1EEEvSE_,"axG",@progbits,_ZN7rocprim17ROCPRIM_400000_NS6detail17trampoline_kernelINS0_14default_configENS1_35radix_sort_onesweep_config_selectorIflEEZNS1_34radix_sort_onesweep_global_offsetsIS3_Lb0EPfN6thrust23THRUST_200600_302600_NS10device_ptrIlEEjNS0_19identity_decomposerEEE10hipError_tT1_T2_PT3_SG_jT4_jjP12ihipStream_tbEUlT_E0_NS1_11comp_targetILNS1_3genE4ELNS1_11target_archE910ELNS1_3gpuE8ELNS1_3repE0EEENS1_52radix_sort_onesweep_histogram_config_static_selectorELNS0_4arch9wavefront6targetE1EEEvSE_,comdat
.Lfunc_end1829:
	.size	_ZN7rocprim17ROCPRIM_400000_NS6detail17trampoline_kernelINS0_14default_configENS1_35radix_sort_onesweep_config_selectorIflEEZNS1_34radix_sort_onesweep_global_offsetsIS3_Lb0EPfN6thrust23THRUST_200600_302600_NS10device_ptrIlEEjNS0_19identity_decomposerEEE10hipError_tT1_T2_PT3_SG_jT4_jjP12ihipStream_tbEUlT_E0_NS1_11comp_targetILNS1_3genE4ELNS1_11target_archE910ELNS1_3gpuE8ELNS1_3repE0EEENS1_52radix_sort_onesweep_histogram_config_static_selectorELNS0_4arch9wavefront6targetE1EEEvSE_, .Lfunc_end1829-_ZN7rocprim17ROCPRIM_400000_NS6detail17trampoline_kernelINS0_14default_configENS1_35radix_sort_onesweep_config_selectorIflEEZNS1_34radix_sort_onesweep_global_offsetsIS3_Lb0EPfN6thrust23THRUST_200600_302600_NS10device_ptrIlEEjNS0_19identity_decomposerEEE10hipError_tT1_T2_PT3_SG_jT4_jjP12ihipStream_tbEUlT_E0_NS1_11comp_targetILNS1_3genE4ELNS1_11target_archE910ELNS1_3gpuE8ELNS1_3repE0EEENS1_52radix_sort_onesweep_histogram_config_static_selectorELNS0_4arch9wavefront6targetE1EEEvSE_
                                        ; -- End function
	.section	.AMDGPU.csdata,"",@progbits
; Kernel info:
; codeLenInByte = 572
; NumSgprs: 18
; NumVgprs: 7
; NumAgprs: 0
; TotalNumVgprs: 7
; ScratchSize: 0
; MemoryBound: 0
; FloatMode: 240
; IeeeMode: 1
; LDSByteSize: 64 bytes/workgroup (compile time only)
; SGPRBlocks: 2
; VGPRBlocks: 0
; NumSGPRsForWavesPerEU: 18
; NumVGPRsForWavesPerEU: 7
; AccumOffset: 8
; Occupancy: 8
; WaveLimiterHint : 0
; COMPUTE_PGM_RSRC2:SCRATCH_EN: 0
; COMPUTE_PGM_RSRC2:USER_SGPR: 6
; COMPUTE_PGM_RSRC2:TRAP_HANDLER: 0
; COMPUTE_PGM_RSRC2:TGID_X_EN: 1
; COMPUTE_PGM_RSRC2:TGID_Y_EN: 0
; COMPUTE_PGM_RSRC2:TGID_Z_EN: 0
; COMPUTE_PGM_RSRC2:TIDIG_COMP_CNT: 0
; COMPUTE_PGM_RSRC3_GFX90A:ACCUM_OFFSET: 1
; COMPUTE_PGM_RSRC3_GFX90A:TG_SPLIT: 0
	.section	.text._ZN7rocprim17ROCPRIM_400000_NS6detail17trampoline_kernelINS0_14default_configENS1_35radix_sort_onesweep_config_selectorIflEEZNS1_34radix_sort_onesweep_global_offsetsIS3_Lb0EPfN6thrust23THRUST_200600_302600_NS10device_ptrIlEEjNS0_19identity_decomposerEEE10hipError_tT1_T2_PT3_SG_jT4_jjP12ihipStream_tbEUlT_E0_NS1_11comp_targetILNS1_3genE3ELNS1_11target_archE908ELNS1_3gpuE7ELNS1_3repE0EEENS1_52radix_sort_onesweep_histogram_config_static_selectorELNS0_4arch9wavefront6targetE1EEEvSE_,"axG",@progbits,_ZN7rocprim17ROCPRIM_400000_NS6detail17trampoline_kernelINS0_14default_configENS1_35radix_sort_onesweep_config_selectorIflEEZNS1_34radix_sort_onesweep_global_offsetsIS3_Lb0EPfN6thrust23THRUST_200600_302600_NS10device_ptrIlEEjNS0_19identity_decomposerEEE10hipError_tT1_T2_PT3_SG_jT4_jjP12ihipStream_tbEUlT_E0_NS1_11comp_targetILNS1_3genE3ELNS1_11target_archE908ELNS1_3gpuE7ELNS1_3repE0EEENS1_52radix_sort_onesweep_histogram_config_static_selectorELNS0_4arch9wavefront6targetE1EEEvSE_,comdat
	.protected	_ZN7rocprim17ROCPRIM_400000_NS6detail17trampoline_kernelINS0_14default_configENS1_35radix_sort_onesweep_config_selectorIflEEZNS1_34radix_sort_onesweep_global_offsetsIS3_Lb0EPfN6thrust23THRUST_200600_302600_NS10device_ptrIlEEjNS0_19identity_decomposerEEE10hipError_tT1_T2_PT3_SG_jT4_jjP12ihipStream_tbEUlT_E0_NS1_11comp_targetILNS1_3genE3ELNS1_11target_archE908ELNS1_3gpuE7ELNS1_3repE0EEENS1_52radix_sort_onesweep_histogram_config_static_selectorELNS0_4arch9wavefront6targetE1EEEvSE_ ; -- Begin function _ZN7rocprim17ROCPRIM_400000_NS6detail17trampoline_kernelINS0_14default_configENS1_35radix_sort_onesweep_config_selectorIflEEZNS1_34radix_sort_onesweep_global_offsetsIS3_Lb0EPfN6thrust23THRUST_200600_302600_NS10device_ptrIlEEjNS0_19identity_decomposerEEE10hipError_tT1_T2_PT3_SG_jT4_jjP12ihipStream_tbEUlT_E0_NS1_11comp_targetILNS1_3genE3ELNS1_11target_archE908ELNS1_3gpuE7ELNS1_3repE0EEENS1_52radix_sort_onesweep_histogram_config_static_selectorELNS0_4arch9wavefront6targetE1EEEvSE_
	.globl	_ZN7rocprim17ROCPRIM_400000_NS6detail17trampoline_kernelINS0_14default_configENS1_35radix_sort_onesweep_config_selectorIflEEZNS1_34radix_sort_onesweep_global_offsetsIS3_Lb0EPfN6thrust23THRUST_200600_302600_NS10device_ptrIlEEjNS0_19identity_decomposerEEE10hipError_tT1_T2_PT3_SG_jT4_jjP12ihipStream_tbEUlT_E0_NS1_11comp_targetILNS1_3genE3ELNS1_11target_archE908ELNS1_3gpuE7ELNS1_3repE0EEENS1_52radix_sort_onesweep_histogram_config_static_selectorELNS0_4arch9wavefront6targetE1EEEvSE_
	.p2align	8
	.type	_ZN7rocprim17ROCPRIM_400000_NS6detail17trampoline_kernelINS0_14default_configENS1_35radix_sort_onesweep_config_selectorIflEEZNS1_34radix_sort_onesweep_global_offsetsIS3_Lb0EPfN6thrust23THRUST_200600_302600_NS10device_ptrIlEEjNS0_19identity_decomposerEEE10hipError_tT1_T2_PT3_SG_jT4_jjP12ihipStream_tbEUlT_E0_NS1_11comp_targetILNS1_3genE3ELNS1_11target_archE908ELNS1_3gpuE7ELNS1_3repE0EEENS1_52radix_sort_onesweep_histogram_config_static_selectorELNS0_4arch9wavefront6targetE1EEEvSE_,@function
_ZN7rocprim17ROCPRIM_400000_NS6detail17trampoline_kernelINS0_14default_configENS1_35radix_sort_onesweep_config_selectorIflEEZNS1_34radix_sort_onesweep_global_offsetsIS3_Lb0EPfN6thrust23THRUST_200600_302600_NS10device_ptrIlEEjNS0_19identity_decomposerEEE10hipError_tT1_T2_PT3_SG_jT4_jjP12ihipStream_tbEUlT_E0_NS1_11comp_targetILNS1_3genE3ELNS1_11target_archE908ELNS1_3gpuE7ELNS1_3repE0EEENS1_52radix_sort_onesweep_histogram_config_static_selectorELNS0_4arch9wavefront6targetE1EEEvSE_: ; @_ZN7rocprim17ROCPRIM_400000_NS6detail17trampoline_kernelINS0_14default_configENS1_35radix_sort_onesweep_config_selectorIflEEZNS1_34radix_sort_onesweep_global_offsetsIS3_Lb0EPfN6thrust23THRUST_200600_302600_NS10device_ptrIlEEjNS0_19identity_decomposerEEE10hipError_tT1_T2_PT3_SG_jT4_jjP12ihipStream_tbEUlT_E0_NS1_11comp_targetILNS1_3genE3ELNS1_11target_archE908ELNS1_3gpuE7ELNS1_3repE0EEENS1_52radix_sort_onesweep_histogram_config_static_selectorELNS0_4arch9wavefront6targetE1EEEvSE_
; %bb.0:
	.section	.rodata,"a",@progbits
	.p2align	6, 0x0
	.amdhsa_kernel _ZN7rocprim17ROCPRIM_400000_NS6detail17trampoline_kernelINS0_14default_configENS1_35radix_sort_onesweep_config_selectorIflEEZNS1_34radix_sort_onesweep_global_offsetsIS3_Lb0EPfN6thrust23THRUST_200600_302600_NS10device_ptrIlEEjNS0_19identity_decomposerEEE10hipError_tT1_T2_PT3_SG_jT4_jjP12ihipStream_tbEUlT_E0_NS1_11comp_targetILNS1_3genE3ELNS1_11target_archE908ELNS1_3gpuE7ELNS1_3repE0EEENS1_52radix_sort_onesweep_histogram_config_static_selectorELNS0_4arch9wavefront6targetE1EEEvSE_
		.amdhsa_group_segment_fixed_size 0
		.amdhsa_private_segment_fixed_size 0
		.amdhsa_kernarg_size 8
		.amdhsa_user_sgpr_count 6
		.amdhsa_user_sgpr_private_segment_buffer 1
		.amdhsa_user_sgpr_dispatch_ptr 0
		.amdhsa_user_sgpr_queue_ptr 0
		.amdhsa_user_sgpr_kernarg_segment_ptr 1
		.amdhsa_user_sgpr_dispatch_id 0
		.amdhsa_user_sgpr_flat_scratch_init 0
		.amdhsa_user_sgpr_kernarg_preload_length 0
		.amdhsa_user_sgpr_kernarg_preload_offset 0
		.amdhsa_user_sgpr_private_segment_size 0
		.amdhsa_uses_dynamic_stack 0
		.amdhsa_system_sgpr_private_segment_wavefront_offset 0
		.amdhsa_system_sgpr_workgroup_id_x 1
		.amdhsa_system_sgpr_workgroup_id_y 0
		.amdhsa_system_sgpr_workgroup_id_z 0
		.amdhsa_system_sgpr_workgroup_info 0
		.amdhsa_system_vgpr_workitem_id 0
		.amdhsa_next_free_vgpr 1
		.amdhsa_next_free_sgpr 0
		.amdhsa_accum_offset 4
		.amdhsa_reserve_vcc 0
		.amdhsa_reserve_flat_scratch 0
		.amdhsa_float_round_mode_32 0
		.amdhsa_float_round_mode_16_64 0
		.amdhsa_float_denorm_mode_32 3
		.amdhsa_float_denorm_mode_16_64 3
		.amdhsa_dx10_clamp 1
		.amdhsa_ieee_mode 1
		.amdhsa_fp16_overflow 0
		.amdhsa_tg_split 0
		.amdhsa_exception_fp_ieee_invalid_op 0
		.amdhsa_exception_fp_denorm_src 0
		.amdhsa_exception_fp_ieee_div_zero 0
		.amdhsa_exception_fp_ieee_overflow 0
		.amdhsa_exception_fp_ieee_underflow 0
		.amdhsa_exception_fp_ieee_inexact 0
		.amdhsa_exception_int_div_zero 0
	.end_amdhsa_kernel
	.section	.text._ZN7rocprim17ROCPRIM_400000_NS6detail17trampoline_kernelINS0_14default_configENS1_35radix_sort_onesweep_config_selectorIflEEZNS1_34radix_sort_onesweep_global_offsetsIS3_Lb0EPfN6thrust23THRUST_200600_302600_NS10device_ptrIlEEjNS0_19identity_decomposerEEE10hipError_tT1_T2_PT3_SG_jT4_jjP12ihipStream_tbEUlT_E0_NS1_11comp_targetILNS1_3genE3ELNS1_11target_archE908ELNS1_3gpuE7ELNS1_3repE0EEENS1_52radix_sort_onesweep_histogram_config_static_selectorELNS0_4arch9wavefront6targetE1EEEvSE_,"axG",@progbits,_ZN7rocprim17ROCPRIM_400000_NS6detail17trampoline_kernelINS0_14default_configENS1_35radix_sort_onesweep_config_selectorIflEEZNS1_34radix_sort_onesweep_global_offsetsIS3_Lb0EPfN6thrust23THRUST_200600_302600_NS10device_ptrIlEEjNS0_19identity_decomposerEEE10hipError_tT1_T2_PT3_SG_jT4_jjP12ihipStream_tbEUlT_E0_NS1_11comp_targetILNS1_3genE3ELNS1_11target_archE908ELNS1_3gpuE7ELNS1_3repE0EEENS1_52radix_sort_onesweep_histogram_config_static_selectorELNS0_4arch9wavefront6targetE1EEEvSE_,comdat
.Lfunc_end1830:
	.size	_ZN7rocprim17ROCPRIM_400000_NS6detail17trampoline_kernelINS0_14default_configENS1_35radix_sort_onesweep_config_selectorIflEEZNS1_34radix_sort_onesweep_global_offsetsIS3_Lb0EPfN6thrust23THRUST_200600_302600_NS10device_ptrIlEEjNS0_19identity_decomposerEEE10hipError_tT1_T2_PT3_SG_jT4_jjP12ihipStream_tbEUlT_E0_NS1_11comp_targetILNS1_3genE3ELNS1_11target_archE908ELNS1_3gpuE7ELNS1_3repE0EEENS1_52radix_sort_onesweep_histogram_config_static_selectorELNS0_4arch9wavefront6targetE1EEEvSE_, .Lfunc_end1830-_ZN7rocprim17ROCPRIM_400000_NS6detail17trampoline_kernelINS0_14default_configENS1_35radix_sort_onesweep_config_selectorIflEEZNS1_34radix_sort_onesweep_global_offsetsIS3_Lb0EPfN6thrust23THRUST_200600_302600_NS10device_ptrIlEEjNS0_19identity_decomposerEEE10hipError_tT1_T2_PT3_SG_jT4_jjP12ihipStream_tbEUlT_E0_NS1_11comp_targetILNS1_3genE3ELNS1_11target_archE908ELNS1_3gpuE7ELNS1_3repE0EEENS1_52radix_sort_onesweep_histogram_config_static_selectorELNS0_4arch9wavefront6targetE1EEEvSE_
                                        ; -- End function
	.section	.AMDGPU.csdata,"",@progbits
; Kernel info:
; codeLenInByte = 0
; NumSgprs: 4
; NumVgprs: 0
; NumAgprs: 0
; TotalNumVgprs: 0
; ScratchSize: 0
; MemoryBound: 0
; FloatMode: 240
; IeeeMode: 1
; LDSByteSize: 0 bytes/workgroup (compile time only)
; SGPRBlocks: 0
; VGPRBlocks: 0
; NumSGPRsForWavesPerEU: 4
; NumVGPRsForWavesPerEU: 1
; AccumOffset: 4
; Occupancy: 8
; WaveLimiterHint : 0
; COMPUTE_PGM_RSRC2:SCRATCH_EN: 0
; COMPUTE_PGM_RSRC2:USER_SGPR: 6
; COMPUTE_PGM_RSRC2:TRAP_HANDLER: 0
; COMPUTE_PGM_RSRC2:TGID_X_EN: 1
; COMPUTE_PGM_RSRC2:TGID_Y_EN: 0
; COMPUTE_PGM_RSRC2:TGID_Z_EN: 0
; COMPUTE_PGM_RSRC2:TIDIG_COMP_CNT: 0
; COMPUTE_PGM_RSRC3_GFX90A:ACCUM_OFFSET: 0
; COMPUTE_PGM_RSRC3_GFX90A:TG_SPLIT: 0
	.section	.text._ZN7rocprim17ROCPRIM_400000_NS6detail17trampoline_kernelINS0_14default_configENS1_35radix_sort_onesweep_config_selectorIflEEZNS1_34radix_sort_onesweep_global_offsetsIS3_Lb0EPfN6thrust23THRUST_200600_302600_NS10device_ptrIlEEjNS0_19identity_decomposerEEE10hipError_tT1_T2_PT3_SG_jT4_jjP12ihipStream_tbEUlT_E0_NS1_11comp_targetILNS1_3genE10ELNS1_11target_archE1201ELNS1_3gpuE5ELNS1_3repE0EEENS1_52radix_sort_onesweep_histogram_config_static_selectorELNS0_4arch9wavefront6targetE1EEEvSE_,"axG",@progbits,_ZN7rocprim17ROCPRIM_400000_NS6detail17trampoline_kernelINS0_14default_configENS1_35radix_sort_onesweep_config_selectorIflEEZNS1_34radix_sort_onesweep_global_offsetsIS3_Lb0EPfN6thrust23THRUST_200600_302600_NS10device_ptrIlEEjNS0_19identity_decomposerEEE10hipError_tT1_T2_PT3_SG_jT4_jjP12ihipStream_tbEUlT_E0_NS1_11comp_targetILNS1_3genE10ELNS1_11target_archE1201ELNS1_3gpuE5ELNS1_3repE0EEENS1_52radix_sort_onesweep_histogram_config_static_selectorELNS0_4arch9wavefront6targetE1EEEvSE_,comdat
	.protected	_ZN7rocprim17ROCPRIM_400000_NS6detail17trampoline_kernelINS0_14default_configENS1_35radix_sort_onesweep_config_selectorIflEEZNS1_34radix_sort_onesweep_global_offsetsIS3_Lb0EPfN6thrust23THRUST_200600_302600_NS10device_ptrIlEEjNS0_19identity_decomposerEEE10hipError_tT1_T2_PT3_SG_jT4_jjP12ihipStream_tbEUlT_E0_NS1_11comp_targetILNS1_3genE10ELNS1_11target_archE1201ELNS1_3gpuE5ELNS1_3repE0EEENS1_52radix_sort_onesweep_histogram_config_static_selectorELNS0_4arch9wavefront6targetE1EEEvSE_ ; -- Begin function _ZN7rocprim17ROCPRIM_400000_NS6detail17trampoline_kernelINS0_14default_configENS1_35radix_sort_onesweep_config_selectorIflEEZNS1_34radix_sort_onesweep_global_offsetsIS3_Lb0EPfN6thrust23THRUST_200600_302600_NS10device_ptrIlEEjNS0_19identity_decomposerEEE10hipError_tT1_T2_PT3_SG_jT4_jjP12ihipStream_tbEUlT_E0_NS1_11comp_targetILNS1_3genE10ELNS1_11target_archE1201ELNS1_3gpuE5ELNS1_3repE0EEENS1_52radix_sort_onesweep_histogram_config_static_selectorELNS0_4arch9wavefront6targetE1EEEvSE_
	.globl	_ZN7rocprim17ROCPRIM_400000_NS6detail17trampoline_kernelINS0_14default_configENS1_35radix_sort_onesweep_config_selectorIflEEZNS1_34radix_sort_onesweep_global_offsetsIS3_Lb0EPfN6thrust23THRUST_200600_302600_NS10device_ptrIlEEjNS0_19identity_decomposerEEE10hipError_tT1_T2_PT3_SG_jT4_jjP12ihipStream_tbEUlT_E0_NS1_11comp_targetILNS1_3genE10ELNS1_11target_archE1201ELNS1_3gpuE5ELNS1_3repE0EEENS1_52radix_sort_onesweep_histogram_config_static_selectorELNS0_4arch9wavefront6targetE1EEEvSE_
	.p2align	8
	.type	_ZN7rocprim17ROCPRIM_400000_NS6detail17trampoline_kernelINS0_14default_configENS1_35radix_sort_onesweep_config_selectorIflEEZNS1_34radix_sort_onesweep_global_offsetsIS3_Lb0EPfN6thrust23THRUST_200600_302600_NS10device_ptrIlEEjNS0_19identity_decomposerEEE10hipError_tT1_T2_PT3_SG_jT4_jjP12ihipStream_tbEUlT_E0_NS1_11comp_targetILNS1_3genE10ELNS1_11target_archE1201ELNS1_3gpuE5ELNS1_3repE0EEENS1_52radix_sort_onesweep_histogram_config_static_selectorELNS0_4arch9wavefront6targetE1EEEvSE_,@function
_ZN7rocprim17ROCPRIM_400000_NS6detail17trampoline_kernelINS0_14default_configENS1_35radix_sort_onesweep_config_selectorIflEEZNS1_34radix_sort_onesweep_global_offsetsIS3_Lb0EPfN6thrust23THRUST_200600_302600_NS10device_ptrIlEEjNS0_19identity_decomposerEEE10hipError_tT1_T2_PT3_SG_jT4_jjP12ihipStream_tbEUlT_E0_NS1_11comp_targetILNS1_3genE10ELNS1_11target_archE1201ELNS1_3gpuE5ELNS1_3repE0EEENS1_52radix_sort_onesweep_histogram_config_static_selectorELNS0_4arch9wavefront6targetE1EEEvSE_: ; @_ZN7rocprim17ROCPRIM_400000_NS6detail17trampoline_kernelINS0_14default_configENS1_35radix_sort_onesweep_config_selectorIflEEZNS1_34radix_sort_onesweep_global_offsetsIS3_Lb0EPfN6thrust23THRUST_200600_302600_NS10device_ptrIlEEjNS0_19identity_decomposerEEE10hipError_tT1_T2_PT3_SG_jT4_jjP12ihipStream_tbEUlT_E0_NS1_11comp_targetILNS1_3genE10ELNS1_11target_archE1201ELNS1_3gpuE5ELNS1_3repE0EEENS1_52radix_sort_onesweep_histogram_config_static_selectorELNS0_4arch9wavefront6targetE1EEEvSE_
; %bb.0:
	.section	.rodata,"a",@progbits
	.p2align	6, 0x0
	.amdhsa_kernel _ZN7rocprim17ROCPRIM_400000_NS6detail17trampoline_kernelINS0_14default_configENS1_35radix_sort_onesweep_config_selectorIflEEZNS1_34radix_sort_onesweep_global_offsetsIS3_Lb0EPfN6thrust23THRUST_200600_302600_NS10device_ptrIlEEjNS0_19identity_decomposerEEE10hipError_tT1_T2_PT3_SG_jT4_jjP12ihipStream_tbEUlT_E0_NS1_11comp_targetILNS1_3genE10ELNS1_11target_archE1201ELNS1_3gpuE5ELNS1_3repE0EEENS1_52radix_sort_onesweep_histogram_config_static_selectorELNS0_4arch9wavefront6targetE1EEEvSE_
		.amdhsa_group_segment_fixed_size 0
		.amdhsa_private_segment_fixed_size 0
		.amdhsa_kernarg_size 8
		.amdhsa_user_sgpr_count 6
		.amdhsa_user_sgpr_private_segment_buffer 1
		.amdhsa_user_sgpr_dispatch_ptr 0
		.amdhsa_user_sgpr_queue_ptr 0
		.amdhsa_user_sgpr_kernarg_segment_ptr 1
		.amdhsa_user_sgpr_dispatch_id 0
		.amdhsa_user_sgpr_flat_scratch_init 0
		.amdhsa_user_sgpr_kernarg_preload_length 0
		.amdhsa_user_sgpr_kernarg_preload_offset 0
		.amdhsa_user_sgpr_private_segment_size 0
		.amdhsa_uses_dynamic_stack 0
		.amdhsa_system_sgpr_private_segment_wavefront_offset 0
		.amdhsa_system_sgpr_workgroup_id_x 1
		.amdhsa_system_sgpr_workgroup_id_y 0
		.amdhsa_system_sgpr_workgroup_id_z 0
		.amdhsa_system_sgpr_workgroup_info 0
		.amdhsa_system_vgpr_workitem_id 0
		.amdhsa_next_free_vgpr 1
		.amdhsa_next_free_sgpr 0
		.amdhsa_accum_offset 4
		.amdhsa_reserve_vcc 0
		.amdhsa_reserve_flat_scratch 0
		.amdhsa_float_round_mode_32 0
		.amdhsa_float_round_mode_16_64 0
		.amdhsa_float_denorm_mode_32 3
		.amdhsa_float_denorm_mode_16_64 3
		.amdhsa_dx10_clamp 1
		.amdhsa_ieee_mode 1
		.amdhsa_fp16_overflow 0
		.amdhsa_tg_split 0
		.amdhsa_exception_fp_ieee_invalid_op 0
		.amdhsa_exception_fp_denorm_src 0
		.amdhsa_exception_fp_ieee_div_zero 0
		.amdhsa_exception_fp_ieee_overflow 0
		.amdhsa_exception_fp_ieee_underflow 0
		.amdhsa_exception_fp_ieee_inexact 0
		.amdhsa_exception_int_div_zero 0
	.end_amdhsa_kernel
	.section	.text._ZN7rocprim17ROCPRIM_400000_NS6detail17trampoline_kernelINS0_14default_configENS1_35radix_sort_onesweep_config_selectorIflEEZNS1_34radix_sort_onesweep_global_offsetsIS3_Lb0EPfN6thrust23THRUST_200600_302600_NS10device_ptrIlEEjNS0_19identity_decomposerEEE10hipError_tT1_T2_PT3_SG_jT4_jjP12ihipStream_tbEUlT_E0_NS1_11comp_targetILNS1_3genE10ELNS1_11target_archE1201ELNS1_3gpuE5ELNS1_3repE0EEENS1_52radix_sort_onesweep_histogram_config_static_selectorELNS0_4arch9wavefront6targetE1EEEvSE_,"axG",@progbits,_ZN7rocprim17ROCPRIM_400000_NS6detail17trampoline_kernelINS0_14default_configENS1_35radix_sort_onesweep_config_selectorIflEEZNS1_34radix_sort_onesweep_global_offsetsIS3_Lb0EPfN6thrust23THRUST_200600_302600_NS10device_ptrIlEEjNS0_19identity_decomposerEEE10hipError_tT1_T2_PT3_SG_jT4_jjP12ihipStream_tbEUlT_E0_NS1_11comp_targetILNS1_3genE10ELNS1_11target_archE1201ELNS1_3gpuE5ELNS1_3repE0EEENS1_52radix_sort_onesweep_histogram_config_static_selectorELNS0_4arch9wavefront6targetE1EEEvSE_,comdat
.Lfunc_end1831:
	.size	_ZN7rocprim17ROCPRIM_400000_NS6detail17trampoline_kernelINS0_14default_configENS1_35radix_sort_onesweep_config_selectorIflEEZNS1_34radix_sort_onesweep_global_offsetsIS3_Lb0EPfN6thrust23THRUST_200600_302600_NS10device_ptrIlEEjNS0_19identity_decomposerEEE10hipError_tT1_T2_PT3_SG_jT4_jjP12ihipStream_tbEUlT_E0_NS1_11comp_targetILNS1_3genE10ELNS1_11target_archE1201ELNS1_3gpuE5ELNS1_3repE0EEENS1_52radix_sort_onesweep_histogram_config_static_selectorELNS0_4arch9wavefront6targetE1EEEvSE_, .Lfunc_end1831-_ZN7rocprim17ROCPRIM_400000_NS6detail17trampoline_kernelINS0_14default_configENS1_35radix_sort_onesweep_config_selectorIflEEZNS1_34radix_sort_onesweep_global_offsetsIS3_Lb0EPfN6thrust23THRUST_200600_302600_NS10device_ptrIlEEjNS0_19identity_decomposerEEE10hipError_tT1_T2_PT3_SG_jT4_jjP12ihipStream_tbEUlT_E0_NS1_11comp_targetILNS1_3genE10ELNS1_11target_archE1201ELNS1_3gpuE5ELNS1_3repE0EEENS1_52radix_sort_onesweep_histogram_config_static_selectorELNS0_4arch9wavefront6targetE1EEEvSE_
                                        ; -- End function
	.section	.AMDGPU.csdata,"",@progbits
; Kernel info:
; codeLenInByte = 0
; NumSgprs: 4
; NumVgprs: 0
; NumAgprs: 0
; TotalNumVgprs: 0
; ScratchSize: 0
; MemoryBound: 0
; FloatMode: 240
; IeeeMode: 1
; LDSByteSize: 0 bytes/workgroup (compile time only)
; SGPRBlocks: 0
; VGPRBlocks: 0
; NumSGPRsForWavesPerEU: 4
; NumVGPRsForWavesPerEU: 1
; AccumOffset: 4
; Occupancy: 8
; WaveLimiterHint : 0
; COMPUTE_PGM_RSRC2:SCRATCH_EN: 0
; COMPUTE_PGM_RSRC2:USER_SGPR: 6
; COMPUTE_PGM_RSRC2:TRAP_HANDLER: 0
; COMPUTE_PGM_RSRC2:TGID_X_EN: 1
; COMPUTE_PGM_RSRC2:TGID_Y_EN: 0
; COMPUTE_PGM_RSRC2:TGID_Z_EN: 0
; COMPUTE_PGM_RSRC2:TIDIG_COMP_CNT: 0
; COMPUTE_PGM_RSRC3_GFX90A:ACCUM_OFFSET: 0
; COMPUTE_PGM_RSRC3_GFX90A:TG_SPLIT: 0
	.section	.text._ZN7rocprim17ROCPRIM_400000_NS6detail17trampoline_kernelINS0_14default_configENS1_35radix_sort_onesweep_config_selectorIflEEZNS1_34radix_sort_onesweep_global_offsetsIS3_Lb0EPfN6thrust23THRUST_200600_302600_NS10device_ptrIlEEjNS0_19identity_decomposerEEE10hipError_tT1_T2_PT3_SG_jT4_jjP12ihipStream_tbEUlT_E0_NS1_11comp_targetILNS1_3genE9ELNS1_11target_archE1100ELNS1_3gpuE3ELNS1_3repE0EEENS1_52radix_sort_onesweep_histogram_config_static_selectorELNS0_4arch9wavefront6targetE1EEEvSE_,"axG",@progbits,_ZN7rocprim17ROCPRIM_400000_NS6detail17trampoline_kernelINS0_14default_configENS1_35radix_sort_onesweep_config_selectorIflEEZNS1_34radix_sort_onesweep_global_offsetsIS3_Lb0EPfN6thrust23THRUST_200600_302600_NS10device_ptrIlEEjNS0_19identity_decomposerEEE10hipError_tT1_T2_PT3_SG_jT4_jjP12ihipStream_tbEUlT_E0_NS1_11comp_targetILNS1_3genE9ELNS1_11target_archE1100ELNS1_3gpuE3ELNS1_3repE0EEENS1_52radix_sort_onesweep_histogram_config_static_selectorELNS0_4arch9wavefront6targetE1EEEvSE_,comdat
	.protected	_ZN7rocprim17ROCPRIM_400000_NS6detail17trampoline_kernelINS0_14default_configENS1_35radix_sort_onesweep_config_selectorIflEEZNS1_34radix_sort_onesweep_global_offsetsIS3_Lb0EPfN6thrust23THRUST_200600_302600_NS10device_ptrIlEEjNS0_19identity_decomposerEEE10hipError_tT1_T2_PT3_SG_jT4_jjP12ihipStream_tbEUlT_E0_NS1_11comp_targetILNS1_3genE9ELNS1_11target_archE1100ELNS1_3gpuE3ELNS1_3repE0EEENS1_52radix_sort_onesweep_histogram_config_static_selectorELNS0_4arch9wavefront6targetE1EEEvSE_ ; -- Begin function _ZN7rocprim17ROCPRIM_400000_NS6detail17trampoline_kernelINS0_14default_configENS1_35radix_sort_onesweep_config_selectorIflEEZNS1_34radix_sort_onesweep_global_offsetsIS3_Lb0EPfN6thrust23THRUST_200600_302600_NS10device_ptrIlEEjNS0_19identity_decomposerEEE10hipError_tT1_T2_PT3_SG_jT4_jjP12ihipStream_tbEUlT_E0_NS1_11comp_targetILNS1_3genE9ELNS1_11target_archE1100ELNS1_3gpuE3ELNS1_3repE0EEENS1_52radix_sort_onesweep_histogram_config_static_selectorELNS0_4arch9wavefront6targetE1EEEvSE_
	.globl	_ZN7rocprim17ROCPRIM_400000_NS6detail17trampoline_kernelINS0_14default_configENS1_35radix_sort_onesweep_config_selectorIflEEZNS1_34radix_sort_onesweep_global_offsetsIS3_Lb0EPfN6thrust23THRUST_200600_302600_NS10device_ptrIlEEjNS0_19identity_decomposerEEE10hipError_tT1_T2_PT3_SG_jT4_jjP12ihipStream_tbEUlT_E0_NS1_11comp_targetILNS1_3genE9ELNS1_11target_archE1100ELNS1_3gpuE3ELNS1_3repE0EEENS1_52radix_sort_onesweep_histogram_config_static_selectorELNS0_4arch9wavefront6targetE1EEEvSE_
	.p2align	8
	.type	_ZN7rocprim17ROCPRIM_400000_NS6detail17trampoline_kernelINS0_14default_configENS1_35radix_sort_onesweep_config_selectorIflEEZNS1_34radix_sort_onesweep_global_offsetsIS3_Lb0EPfN6thrust23THRUST_200600_302600_NS10device_ptrIlEEjNS0_19identity_decomposerEEE10hipError_tT1_T2_PT3_SG_jT4_jjP12ihipStream_tbEUlT_E0_NS1_11comp_targetILNS1_3genE9ELNS1_11target_archE1100ELNS1_3gpuE3ELNS1_3repE0EEENS1_52radix_sort_onesweep_histogram_config_static_selectorELNS0_4arch9wavefront6targetE1EEEvSE_,@function
_ZN7rocprim17ROCPRIM_400000_NS6detail17trampoline_kernelINS0_14default_configENS1_35radix_sort_onesweep_config_selectorIflEEZNS1_34radix_sort_onesweep_global_offsetsIS3_Lb0EPfN6thrust23THRUST_200600_302600_NS10device_ptrIlEEjNS0_19identity_decomposerEEE10hipError_tT1_T2_PT3_SG_jT4_jjP12ihipStream_tbEUlT_E0_NS1_11comp_targetILNS1_3genE9ELNS1_11target_archE1100ELNS1_3gpuE3ELNS1_3repE0EEENS1_52radix_sort_onesweep_histogram_config_static_selectorELNS0_4arch9wavefront6targetE1EEEvSE_: ; @_ZN7rocprim17ROCPRIM_400000_NS6detail17trampoline_kernelINS0_14default_configENS1_35radix_sort_onesweep_config_selectorIflEEZNS1_34radix_sort_onesweep_global_offsetsIS3_Lb0EPfN6thrust23THRUST_200600_302600_NS10device_ptrIlEEjNS0_19identity_decomposerEEE10hipError_tT1_T2_PT3_SG_jT4_jjP12ihipStream_tbEUlT_E0_NS1_11comp_targetILNS1_3genE9ELNS1_11target_archE1100ELNS1_3gpuE3ELNS1_3repE0EEENS1_52radix_sort_onesweep_histogram_config_static_selectorELNS0_4arch9wavefront6targetE1EEEvSE_
; %bb.0:
	.section	.rodata,"a",@progbits
	.p2align	6, 0x0
	.amdhsa_kernel _ZN7rocprim17ROCPRIM_400000_NS6detail17trampoline_kernelINS0_14default_configENS1_35radix_sort_onesweep_config_selectorIflEEZNS1_34radix_sort_onesweep_global_offsetsIS3_Lb0EPfN6thrust23THRUST_200600_302600_NS10device_ptrIlEEjNS0_19identity_decomposerEEE10hipError_tT1_T2_PT3_SG_jT4_jjP12ihipStream_tbEUlT_E0_NS1_11comp_targetILNS1_3genE9ELNS1_11target_archE1100ELNS1_3gpuE3ELNS1_3repE0EEENS1_52radix_sort_onesweep_histogram_config_static_selectorELNS0_4arch9wavefront6targetE1EEEvSE_
		.amdhsa_group_segment_fixed_size 0
		.amdhsa_private_segment_fixed_size 0
		.amdhsa_kernarg_size 8
		.amdhsa_user_sgpr_count 6
		.amdhsa_user_sgpr_private_segment_buffer 1
		.amdhsa_user_sgpr_dispatch_ptr 0
		.amdhsa_user_sgpr_queue_ptr 0
		.amdhsa_user_sgpr_kernarg_segment_ptr 1
		.amdhsa_user_sgpr_dispatch_id 0
		.amdhsa_user_sgpr_flat_scratch_init 0
		.amdhsa_user_sgpr_kernarg_preload_length 0
		.amdhsa_user_sgpr_kernarg_preload_offset 0
		.amdhsa_user_sgpr_private_segment_size 0
		.amdhsa_uses_dynamic_stack 0
		.amdhsa_system_sgpr_private_segment_wavefront_offset 0
		.amdhsa_system_sgpr_workgroup_id_x 1
		.amdhsa_system_sgpr_workgroup_id_y 0
		.amdhsa_system_sgpr_workgroup_id_z 0
		.amdhsa_system_sgpr_workgroup_info 0
		.amdhsa_system_vgpr_workitem_id 0
		.amdhsa_next_free_vgpr 1
		.amdhsa_next_free_sgpr 0
		.amdhsa_accum_offset 4
		.amdhsa_reserve_vcc 0
		.amdhsa_reserve_flat_scratch 0
		.amdhsa_float_round_mode_32 0
		.amdhsa_float_round_mode_16_64 0
		.amdhsa_float_denorm_mode_32 3
		.amdhsa_float_denorm_mode_16_64 3
		.amdhsa_dx10_clamp 1
		.amdhsa_ieee_mode 1
		.amdhsa_fp16_overflow 0
		.amdhsa_tg_split 0
		.amdhsa_exception_fp_ieee_invalid_op 0
		.amdhsa_exception_fp_denorm_src 0
		.amdhsa_exception_fp_ieee_div_zero 0
		.amdhsa_exception_fp_ieee_overflow 0
		.amdhsa_exception_fp_ieee_underflow 0
		.amdhsa_exception_fp_ieee_inexact 0
		.amdhsa_exception_int_div_zero 0
	.end_amdhsa_kernel
	.section	.text._ZN7rocprim17ROCPRIM_400000_NS6detail17trampoline_kernelINS0_14default_configENS1_35radix_sort_onesweep_config_selectorIflEEZNS1_34radix_sort_onesweep_global_offsetsIS3_Lb0EPfN6thrust23THRUST_200600_302600_NS10device_ptrIlEEjNS0_19identity_decomposerEEE10hipError_tT1_T2_PT3_SG_jT4_jjP12ihipStream_tbEUlT_E0_NS1_11comp_targetILNS1_3genE9ELNS1_11target_archE1100ELNS1_3gpuE3ELNS1_3repE0EEENS1_52radix_sort_onesweep_histogram_config_static_selectorELNS0_4arch9wavefront6targetE1EEEvSE_,"axG",@progbits,_ZN7rocprim17ROCPRIM_400000_NS6detail17trampoline_kernelINS0_14default_configENS1_35radix_sort_onesweep_config_selectorIflEEZNS1_34radix_sort_onesweep_global_offsetsIS3_Lb0EPfN6thrust23THRUST_200600_302600_NS10device_ptrIlEEjNS0_19identity_decomposerEEE10hipError_tT1_T2_PT3_SG_jT4_jjP12ihipStream_tbEUlT_E0_NS1_11comp_targetILNS1_3genE9ELNS1_11target_archE1100ELNS1_3gpuE3ELNS1_3repE0EEENS1_52radix_sort_onesweep_histogram_config_static_selectorELNS0_4arch9wavefront6targetE1EEEvSE_,comdat
.Lfunc_end1832:
	.size	_ZN7rocprim17ROCPRIM_400000_NS6detail17trampoline_kernelINS0_14default_configENS1_35radix_sort_onesweep_config_selectorIflEEZNS1_34radix_sort_onesweep_global_offsetsIS3_Lb0EPfN6thrust23THRUST_200600_302600_NS10device_ptrIlEEjNS0_19identity_decomposerEEE10hipError_tT1_T2_PT3_SG_jT4_jjP12ihipStream_tbEUlT_E0_NS1_11comp_targetILNS1_3genE9ELNS1_11target_archE1100ELNS1_3gpuE3ELNS1_3repE0EEENS1_52radix_sort_onesweep_histogram_config_static_selectorELNS0_4arch9wavefront6targetE1EEEvSE_, .Lfunc_end1832-_ZN7rocprim17ROCPRIM_400000_NS6detail17trampoline_kernelINS0_14default_configENS1_35radix_sort_onesweep_config_selectorIflEEZNS1_34radix_sort_onesweep_global_offsetsIS3_Lb0EPfN6thrust23THRUST_200600_302600_NS10device_ptrIlEEjNS0_19identity_decomposerEEE10hipError_tT1_T2_PT3_SG_jT4_jjP12ihipStream_tbEUlT_E0_NS1_11comp_targetILNS1_3genE9ELNS1_11target_archE1100ELNS1_3gpuE3ELNS1_3repE0EEENS1_52radix_sort_onesweep_histogram_config_static_selectorELNS0_4arch9wavefront6targetE1EEEvSE_
                                        ; -- End function
	.section	.AMDGPU.csdata,"",@progbits
; Kernel info:
; codeLenInByte = 0
; NumSgprs: 4
; NumVgprs: 0
; NumAgprs: 0
; TotalNumVgprs: 0
; ScratchSize: 0
; MemoryBound: 0
; FloatMode: 240
; IeeeMode: 1
; LDSByteSize: 0 bytes/workgroup (compile time only)
; SGPRBlocks: 0
; VGPRBlocks: 0
; NumSGPRsForWavesPerEU: 4
; NumVGPRsForWavesPerEU: 1
; AccumOffset: 4
; Occupancy: 8
; WaveLimiterHint : 0
; COMPUTE_PGM_RSRC2:SCRATCH_EN: 0
; COMPUTE_PGM_RSRC2:USER_SGPR: 6
; COMPUTE_PGM_RSRC2:TRAP_HANDLER: 0
; COMPUTE_PGM_RSRC2:TGID_X_EN: 1
; COMPUTE_PGM_RSRC2:TGID_Y_EN: 0
; COMPUTE_PGM_RSRC2:TGID_Z_EN: 0
; COMPUTE_PGM_RSRC2:TIDIG_COMP_CNT: 0
; COMPUTE_PGM_RSRC3_GFX90A:ACCUM_OFFSET: 0
; COMPUTE_PGM_RSRC3_GFX90A:TG_SPLIT: 0
	.section	.text._ZN7rocprim17ROCPRIM_400000_NS6detail17trampoline_kernelINS0_14default_configENS1_35radix_sort_onesweep_config_selectorIflEEZNS1_34radix_sort_onesweep_global_offsetsIS3_Lb0EPfN6thrust23THRUST_200600_302600_NS10device_ptrIlEEjNS0_19identity_decomposerEEE10hipError_tT1_T2_PT3_SG_jT4_jjP12ihipStream_tbEUlT_E0_NS1_11comp_targetILNS1_3genE8ELNS1_11target_archE1030ELNS1_3gpuE2ELNS1_3repE0EEENS1_52radix_sort_onesweep_histogram_config_static_selectorELNS0_4arch9wavefront6targetE1EEEvSE_,"axG",@progbits,_ZN7rocprim17ROCPRIM_400000_NS6detail17trampoline_kernelINS0_14default_configENS1_35radix_sort_onesweep_config_selectorIflEEZNS1_34radix_sort_onesweep_global_offsetsIS3_Lb0EPfN6thrust23THRUST_200600_302600_NS10device_ptrIlEEjNS0_19identity_decomposerEEE10hipError_tT1_T2_PT3_SG_jT4_jjP12ihipStream_tbEUlT_E0_NS1_11comp_targetILNS1_3genE8ELNS1_11target_archE1030ELNS1_3gpuE2ELNS1_3repE0EEENS1_52radix_sort_onesweep_histogram_config_static_selectorELNS0_4arch9wavefront6targetE1EEEvSE_,comdat
	.protected	_ZN7rocprim17ROCPRIM_400000_NS6detail17trampoline_kernelINS0_14default_configENS1_35radix_sort_onesweep_config_selectorIflEEZNS1_34radix_sort_onesweep_global_offsetsIS3_Lb0EPfN6thrust23THRUST_200600_302600_NS10device_ptrIlEEjNS0_19identity_decomposerEEE10hipError_tT1_T2_PT3_SG_jT4_jjP12ihipStream_tbEUlT_E0_NS1_11comp_targetILNS1_3genE8ELNS1_11target_archE1030ELNS1_3gpuE2ELNS1_3repE0EEENS1_52radix_sort_onesweep_histogram_config_static_selectorELNS0_4arch9wavefront6targetE1EEEvSE_ ; -- Begin function _ZN7rocprim17ROCPRIM_400000_NS6detail17trampoline_kernelINS0_14default_configENS1_35radix_sort_onesweep_config_selectorIflEEZNS1_34radix_sort_onesweep_global_offsetsIS3_Lb0EPfN6thrust23THRUST_200600_302600_NS10device_ptrIlEEjNS0_19identity_decomposerEEE10hipError_tT1_T2_PT3_SG_jT4_jjP12ihipStream_tbEUlT_E0_NS1_11comp_targetILNS1_3genE8ELNS1_11target_archE1030ELNS1_3gpuE2ELNS1_3repE0EEENS1_52radix_sort_onesweep_histogram_config_static_selectorELNS0_4arch9wavefront6targetE1EEEvSE_
	.globl	_ZN7rocprim17ROCPRIM_400000_NS6detail17trampoline_kernelINS0_14default_configENS1_35radix_sort_onesweep_config_selectorIflEEZNS1_34radix_sort_onesweep_global_offsetsIS3_Lb0EPfN6thrust23THRUST_200600_302600_NS10device_ptrIlEEjNS0_19identity_decomposerEEE10hipError_tT1_T2_PT3_SG_jT4_jjP12ihipStream_tbEUlT_E0_NS1_11comp_targetILNS1_3genE8ELNS1_11target_archE1030ELNS1_3gpuE2ELNS1_3repE0EEENS1_52radix_sort_onesweep_histogram_config_static_selectorELNS0_4arch9wavefront6targetE1EEEvSE_
	.p2align	8
	.type	_ZN7rocprim17ROCPRIM_400000_NS6detail17trampoline_kernelINS0_14default_configENS1_35radix_sort_onesweep_config_selectorIflEEZNS1_34radix_sort_onesweep_global_offsetsIS3_Lb0EPfN6thrust23THRUST_200600_302600_NS10device_ptrIlEEjNS0_19identity_decomposerEEE10hipError_tT1_T2_PT3_SG_jT4_jjP12ihipStream_tbEUlT_E0_NS1_11comp_targetILNS1_3genE8ELNS1_11target_archE1030ELNS1_3gpuE2ELNS1_3repE0EEENS1_52radix_sort_onesweep_histogram_config_static_selectorELNS0_4arch9wavefront6targetE1EEEvSE_,@function
_ZN7rocprim17ROCPRIM_400000_NS6detail17trampoline_kernelINS0_14default_configENS1_35radix_sort_onesweep_config_selectorIflEEZNS1_34radix_sort_onesweep_global_offsetsIS3_Lb0EPfN6thrust23THRUST_200600_302600_NS10device_ptrIlEEjNS0_19identity_decomposerEEE10hipError_tT1_T2_PT3_SG_jT4_jjP12ihipStream_tbEUlT_E0_NS1_11comp_targetILNS1_3genE8ELNS1_11target_archE1030ELNS1_3gpuE2ELNS1_3repE0EEENS1_52radix_sort_onesweep_histogram_config_static_selectorELNS0_4arch9wavefront6targetE1EEEvSE_: ; @_ZN7rocprim17ROCPRIM_400000_NS6detail17trampoline_kernelINS0_14default_configENS1_35radix_sort_onesweep_config_selectorIflEEZNS1_34radix_sort_onesweep_global_offsetsIS3_Lb0EPfN6thrust23THRUST_200600_302600_NS10device_ptrIlEEjNS0_19identity_decomposerEEE10hipError_tT1_T2_PT3_SG_jT4_jjP12ihipStream_tbEUlT_E0_NS1_11comp_targetILNS1_3genE8ELNS1_11target_archE1030ELNS1_3gpuE2ELNS1_3repE0EEENS1_52radix_sort_onesweep_histogram_config_static_selectorELNS0_4arch9wavefront6targetE1EEEvSE_
; %bb.0:
	.section	.rodata,"a",@progbits
	.p2align	6, 0x0
	.amdhsa_kernel _ZN7rocprim17ROCPRIM_400000_NS6detail17trampoline_kernelINS0_14default_configENS1_35radix_sort_onesweep_config_selectorIflEEZNS1_34radix_sort_onesweep_global_offsetsIS3_Lb0EPfN6thrust23THRUST_200600_302600_NS10device_ptrIlEEjNS0_19identity_decomposerEEE10hipError_tT1_T2_PT3_SG_jT4_jjP12ihipStream_tbEUlT_E0_NS1_11comp_targetILNS1_3genE8ELNS1_11target_archE1030ELNS1_3gpuE2ELNS1_3repE0EEENS1_52radix_sort_onesweep_histogram_config_static_selectorELNS0_4arch9wavefront6targetE1EEEvSE_
		.amdhsa_group_segment_fixed_size 0
		.amdhsa_private_segment_fixed_size 0
		.amdhsa_kernarg_size 8
		.amdhsa_user_sgpr_count 6
		.amdhsa_user_sgpr_private_segment_buffer 1
		.amdhsa_user_sgpr_dispatch_ptr 0
		.amdhsa_user_sgpr_queue_ptr 0
		.amdhsa_user_sgpr_kernarg_segment_ptr 1
		.amdhsa_user_sgpr_dispatch_id 0
		.amdhsa_user_sgpr_flat_scratch_init 0
		.amdhsa_user_sgpr_kernarg_preload_length 0
		.amdhsa_user_sgpr_kernarg_preload_offset 0
		.amdhsa_user_sgpr_private_segment_size 0
		.amdhsa_uses_dynamic_stack 0
		.amdhsa_system_sgpr_private_segment_wavefront_offset 0
		.amdhsa_system_sgpr_workgroup_id_x 1
		.amdhsa_system_sgpr_workgroup_id_y 0
		.amdhsa_system_sgpr_workgroup_id_z 0
		.amdhsa_system_sgpr_workgroup_info 0
		.amdhsa_system_vgpr_workitem_id 0
		.amdhsa_next_free_vgpr 1
		.amdhsa_next_free_sgpr 0
		.amdhsa_accum_offset 4
		.amdhsa_reserve_vcc 0
		.amdhsa_reserve_flat_scratch 0
		.amdhsa_float_round_mode_32 0
		.amdhsa_float_round_mode_16_64 0
		.amdhsa_float_denorm_mode_32 3
		.amdhsa_float_denorm_mode_16_64 3
		.amdhsa_dx10_clamp 1
		.amdhsa_ieee_mode 1
		.amdhsa_fp16_overflow 0
		.amdhsa_tg_split 0
		.amdhsa_exception_fp_ieee_invalid_op 0
		.amdhsa_exception_fp_denorm_src 0
		.amdhsa_exception_fp_ieee_div_zero 0
		.amdhsa_exception_fp_ieee_overflow 0
		.amdhsa_exception_fp_ieee_underflow 0
		.amdhsa_exception_fp_ieee_inexact 0
		.amdhsa_exception_int_div_zero 0
	.end_amdhsa_kernel
	.section	.text._ZN7rocprim17ROCPRIM_400000_NS6detail17trampoline_kernelINS0_14default_configENS1_35radix_sort_onesweep_config_selectorIflEEZNS1_34radix_sort_onesweep_global_offsetsIS3_Lb0EPfN6thrust23THRUST_200600_302600_NS10device_ptrIlEEjNS0_19identity_decomposerEEE10hipError_tT1_T2_PT3_SG_jT4_jjP12ihipStream_tbEUlT_E0_NS1_11comp_targetILNS1_3genE8ELNS1_11target_archE1030ELNS1_3gpuE2ELNS1_3repE0EEENS1_52radix_sort_onesweep_histogram_config_static_selectorELNS0_4arch9wavefront6targetE1EEEvSE_,"axG",@progbits,_ZN7rocprim17ROCPRIM_400000_NS6detail17trampoline_kernelINS0_14default_configENS1_35radix_sort_onesweep_config_selectorIflEEZNS1_34radix_sort_onesweep_global_offsetsIS3_Lb0EPfN6thrust23THRUST_200600_302600_NS10device_ptrIlEEjNS0_19identity_decomposerEEE10hipError_tT1_T2_PT3_SG_jT4_jjP12ihipStream_tbEUlT_E0_NS1_11comp_targetILNS1_3genE8ELNS1_11target_archE1030ELNS1_3gpuE2ELNS1_3repE0EEENS1_52radix_sort_onesweep_histogram_config_static_selectorELNS0_4arch9wavefront6targetE1EEEvSE_,comdat
.Lfunc_end1833:
	.size	_ZN7rocprim17ROCPRIM_400000_NS6detail17trampoline_kernelINS0_14default_configENS1_35radix_sort_onesweep_config_selectorIflEEZNS1_34radix_sort_onesweep_global_offsetsIS3_Lb0EPfN6thrust23THRUST_200600_302600_NS10device_ptrIlEEjNS0_19identity_decomposerEEE10hipError_tT1_T2_PT3_SG_jT4_jjP12ihipStream_tbEUlT_E0_NS1_11comp_targetILNS1_3genE8ELNS1_11target_archE1030ELNS1_3gpuE2ELNS1_3repE0EEENS1_52radix_sort_onesweep_histogram_config_static_selectorELNS0_4arch9wavefront6targetE1EEEvSE_, .Lfunc_end1833-_ZN7rocprim17ROCPRIM_400000_NS6detail17trampoline_kernelINS0_14default_configENS1_35radix_sort_onesweep_config_selectorIflEEZNS1_34radix_sort_onesweep_global_offsetsIS3_Lb0EPfN6thrust23THRUST_200600_302600_NS10device_ptrIlEEjNS0_19identity_decomposerEEE10hipError_tT1_T2_PT3_SG_jT4_jjP12ihipStream_tbEUlT_E0_NS1_11comp_targetILNS1_3genE8ELNS1_11target_archE1030ELNS1_3gpuE2ELNS1_3repE0EEENS1_52radix_sort_onesweep_histogram_config_static_selectorELNS0_4arch9wavefront6targetE1EEEvSE_
                                        ; -- End function
	.section	.AMDGPU.csdata,"",@progbits
; Kernel info:
; codeLenInByte = 0
; NumSgprs: 4
; NumVgprs: 0
; NumAgprs: 0
; TotalNumVgprs: 0
; ScratchSize: 0
; MemoryBound: 0
; FloatMode: 240
; IeeeMode: 1
; LDSByteSize: 0 bytes/workgroup (compile time only)
; SGPRBlocks: 0
; VGPRBlocks: 0
; NumSGPRsForWavesPerEU: 4
; NumVGPRsForWavesPerEU: 1
; AccumOffset: 4
; Occupancy: 8
; WaveLimiterHint : 0
; COMPUTE_PGM_RSRC2:SCRATCH_EN: 0
; COMPUTE_PGM_RSRC2:USER_SGPR: 6
; COMPUTE_PGM_RSRC2:TRAP_HANDLER: 0
; COMPUTE_PGM_RSRC2:TGID_X_EN: 1
; COMPUTE_PGM_RSRC2:TGID_Y_EN: 0
; COMPUTE_PGM_RSRC2:TGID_Z_EN: 0
; COMPUTE_PGM_RSRC2:TIDIG_COMP_CNT: 0
; COMPUTE_PGM_RSRC3_GFX90A:ACCUM_OFFSET: 0
; COMPUTE_PGM_RSRC3_GFX90A:TG_SPLIT: 0
	.section	.text._ZN7rocprim17ROCPRIM_400000_NS6detail17trampoline_kernelINS0_14default_configENS1_35radix_sort_onesweep_config_selectorIflEEZZNS1_29radix_sort_onesweep_iterationIS3_Lb0EPfS7_N6thrust23THRUST_200600_302600_NS10device_ptrIlEESB_jNS0_19identity_decomposerENS1_16block_id_wrapperIjLb1EEEEE10hipError_tT1_PNSt15iterator_traitsISG_E10value_typeET2_T3_PNSH_ISM_E10value_typeET4_T5_PSR_SS_PNS1_23onesweep_lookback_stateEbbT6_jjT7_P12ihipStream_tbENKUlT_T0_SG_SL_E_clIS7_S7_SB_SB_EEDaSZ_S10_SG_SL_EUlSZ_E_NS1_11comp_targetILNS1_3genE0ELNS1_11target_archE4294967295ELNS1_3gpuE0ELNS1_3repE0EEENS1_47radix_sort_onesweep_sort_config_static_selectorELNS0_4arch9wavefront6targetE1EEEvSG_,"axG",@progbits,_ZN7rocprim17ROCPRIM_400000_NS6detail17trampoline_kernelINS0_14default_configENS1_35radix_sort_onesweep_config_selectorIflEEZZNS1_29radix_sort_onesweep_iterationIS3_Lb0EPfS7_N6thrust23THRUST_200600_302600_NS10device_ptrIlEESB_jNS0_19identity_decomposerENS1_16block_id_wrapperIjLb1EEEEE10hipError_tT1_PNSt15iterator_traitsISG_E10value_typeET2_T3_PNSH_ISM_E10value_typeET4_T5_PSR_SS_PNS1_23onesweep_lookback_stateEbbT6_jjT7_P12ihipStream_tbENKUlT_T0_SG_SL_E_clIS7_S7_SB_SB_EEDaSZ_S10_SG_SL_EUlSZ_E_NS1_11comp_targetILNS1_3genE0ELNS1_11target_archE4294967295ELNS1_3gpuE0ELNS1_3repE0EEENS1_47radix_sort_onesweep_sort_config_static_selectorELNS0_4arch9wavefront6targetE1EEEvSG_,comdat
	.protected	_ZN7rocprim17ROCPRIM_400000_NS6detail17trampoline_kernelINS0_14default_configENS1_35radix_sort_onesweep_config_selectorIflEEZZNS1_29radix_sort_onesweep_iterationIS3_Lb0EPfS7_N6thrust23THRUST_200600_302600_NS10device_ptrIlEESB_jNS0_19identity_decomposerENS1_16block_id_wrapperIjLb1EEEEE10hipError_tT1_PNSt15iterator_traitsISG_E10value_typeET2_T3_PNSH_ISM_E10value_typeET4_T5_PSR_SS_PNS1_23onesweep_lookback_stateEbbT6_jjT7_P12ihipStream_tbENKUlT_T0_SG_SL_E_clIS7_S7_SB_SB_EEDaSZ_S10_SG_SL_EUlSZ_E_NS1_11comp_targetILNS1_3genE0ELNS1_11target_archE4294967295ELNS1_3gpuE0ELNS1_3repE0EEENS1_47radix_sort_onesweep_sort_config_static_selectorELNS0_4arch9wavefront6targetE1EEEvSG_ ; -- Begin function _ZN7rocprim17ROCPRIM_400000_NS6detail17trampoline_kernelINS0_14default_configENS1_35radix_sort_onesweep_config_selectorIflEEZZNS1_29radix_sort_onesweep_iterationIS3_Lb0EPfS7_N6thrust23THRUST_200600_302600_NS10device_ptrIlEESB_jNS0_19identity_decomposerENS1_16block_id_wrapperIjLb1EEEEE10hipError_tT1_PNSt15iterator_traitsISG_E10value_typeET2_T3_PNSH_ISM_E10value_typeET4_T5_PSR_SS_PNS1_23onesweep_lookback_stateEbbT6_jjT7_P12ihipStream_tbENKUlT_T0_SG_SL_E_clIS7_S7_SB_SB_EEDaSZ_S10_SG_SL_EUlSZ_E_NS1_11comp_targetILNS1_3genE0ELNS1_11target_archE4294967295ELNS1_3gpuE0ELNS1_3repE0EEENS1_47radix_sort_onesweep_sort_config_static_selectorELNS0_4arch9wavefront6targetE1EEEvSG_
	.globl	_ZN7rocprim17ROCPRIM_400000_NS6detail17trampoline_kernelINS0_14default_configENS1_35radix_sort_onesweep_config_selectorIflEEZZNS1_29radix_sort_onesweep_iterationIS3_Lb0EPfS7_N6thrust23THRUST_200600_302600_NS10device_ptrIlEESB_jNS0_19identity_decomposerENS1_16block_id_wrapperIjLb1EEEEE10hipError_tT1_PNSt15iterator_traitsISG_E10value_typeET2_T3_PNSH_ISM_E10value_typeET4_T5_PSR_SS_PNS1_23onesweep_lookback_stateEbbT6_jjT7_P12ihipStream_tbENKUlT_T0_SG_SL_E_clIS7_S7_SB_SB_EEDaSZ_S10_SG_SL_EUlSZ_E_NS1_11comp_targetILNS1_3genE0ELNS1_11target_archE4294967295ELNS1_3gpuE0ELNS1_3repE0EEENS1_47radix_sort_onesweep_sort_config_static_selectorELNS0_4arch9wavefront6targetE1EEEvSG_
	.p2align	8
	.type	_ZN7rocprim17ROCPRIM_400000_NS6detail17trampoline_kernelINS0_14default_configENS1_35radix_sort_onesweep_config_selectorIflEEZZNS1_29radix_sort_onesweep_iterationIS3_Lb0EPfS7_N6thrust23THRUST_200600_302600_NS10device_ptrIlEESB_jNS0_19identity_decomposerENS1_16block_id_wrapperIjLb1EEEEE10hipError_tT1_PNSt15iterator_traitsISG_E10value_typeET2_T3_PNSH_ISM_E10value_typeET4_T5_PSR_SS_PNS1_23onesweep_lookback_stateEbbT6_jjT7_P12ihipStream_tbENKUlT_T0_SG_SL_E_clIS7_S7_SB_SB_EEDaSZ_S10_SG_SL_EUlSZ_E_NS1_11comp_targetILNS1_3genE0ELNS1_11target_archE4294967295ELNS1_3gpuE0ELNS1_3repE0EEENS1_47radix_sort_onesweep_sort_config_static_selectorELNS0_4arch9wavefront6targetE1EEEvSG_,@function
_ZN7rocprim17ROCPRIM_400000_NS6detail17trampoline_kernelINS0_14default_configENS1_35radix_sort_onesweep_config_selectorIflEEZZNS1_29radix_sort_onesweep_iterationIS3_Lb0EPfS7_N6thrust23THRUST_200600_302600_NS10device_ptrIlEESB_jNS0_19identity_decomposerENS1_16block_id_wrapperIjLb1EEEEE10hipError_tT1_PNSt15iterator_traitsISG_E10value_typeET2_T3_PNSH_ISM_E10value_typeET4_T5_PSR_SS_PNS1_23onesweep_lookback_stateEbbT6_jjT7_P12ihipStream_tbENKUlT_T0_SG_SL_E_clIS7_S7_SB_SB_EEDaSZ_S10_SG_SL_EUlSZ_E_NS1_11comp_targetILNS1_3genE0ELNS1_11target_archE4294967295ELNS1_3gpuE0ELNS1_3repE0EEENS1_47radix_sort_onesweep_sort_config_static_selectorELNS0_4arch9wavefront6targetE1EEEvSG_: ; @_ZN7rocprim17ROCPRIM_400000_NS6detail17trampoline_kernelINS0_14default_configENS1_35radix_sort_onesweep_config_selectorIflEEZZNS1_29radix_sort_onesweep_iterationIS3_Lb0EPfS7_N6thrust23THRUST_200600_302600_NS10device_ptrIlEESB_jNS0_19identity_decomposerENS1_16block_id_wrapperIjLb1EEEEE10hipError_tT1_PNSt15iterator_traitsISG_E10value_typeET2_T3_PNSH_ISM_E10value_typeET4_T5_PSR_SS_PNS1_23onesweep_lookback_stateEbbT6_jjT7_P12ihipStream_tbENKUlT_T0_SG_SL_E_clIS7_S7_SB_SB_EEDaSZ_S10_SG_SL_EUlSZ_E_NS1_11comp_targetILNS1_3genE0ELNS1_11target_archE4294967295ELNS1_3gpuE0ELNS1_3repE0EEENS1_47radix_sort_onesweep_sort_config_static_selectorELNS0_4arch9wavefront6targetE1EEEvSG_
; %bb.0:
	.section	.rodata,"a",@progbits
	.p2align	6, 0x0
	.amdhsa_kernel _ZN7rocprim17ROCPRIM_400000_NS6detail17trampoline_kernelINS0_14default_configENS1_35radix_sort_onesweep_config_selectorIflEEZZNS1_29radix_sort_onesweep_iterationIS3_Lb0EPfS7_N6thrust23THRUST_200600_302600_NS10device_ptrIlEESB_jNS0_19identity_decomposerENS1_16block_id_wrapperIjLb1EEEEE10hipError_tT1_PNSt15iterator_traitsISG_E10value_typeET2_T3_PNSH_ISM_E10value_typeET4_T5_PSR_SS_PNS1_23onesweep_lookback_stateEbbT6_jjT7_P12ihipStream_tbENKUlT_T0_SG_SL_E_clIS7_S7_SB_SB_EEDaSZ_S10_SG_SL_EUlSZ_E_NS1_11comp_targetILNS1_3genE0ELNS1_11target_archE4294967295ELNS1_3gpuE0ELNS1_3repE0EEENS1_47radix_sort_onesweep_sort_config_static_selectorELNS0_4arch9wavefront6targetE1EEEvSG_
		.amdhsa_group_segment_fixed_size 0
		.amdhsa_private_segment_fixed_size 0
		.amdhsa_kernarg_size 88
		.amdhsa_user_sgpr_count 6
		.amdhsa_user_sgpr_private_segment_buffer 1
		.amdhsa_user_sgpr_dispatch_ptr 0
		.amdhsa_user_sgpr_queue_ptr 0
		.amdhsa_user_sgpr_kernarg_segment_ptr 1
		.amdhsa_user_sgpr_dispatch_id 0
		.amdhsa_user_sgpr_flat_scratch_init 0
		.amdhsa_user_sgpr_kernarg_preload_length 0
		.amdhsa_user_sgpr_kernarg_preload_offset 0
		.amdhsa_user_sgpr_private_segment_size 0
		.amdhsa_uses_dynamic_stack 0
		.amdhsa_system_sgpr_private_segment_wavefront_offset 0
		.amdhsa_system_sgpr_workgroup_id_x 1
		.amdhsa_system_sgpr_workgroup_id_y 0
		.amdhsa_system_sgpr_workgroup_id_z 0
		.amdhsa_system_sgpr_workgroup_info 0
		.amdhsa_system_vgpr_workitem_id 0
		.amdhsa_next_free_vgpr 1
		.amdhsa_next_free_sgpr 0
		.amdhsa_accum_offset 4
		.amdhsa_reserve_vcc 0
		.amdhsa_reserve_flat_scratch 0
		.amdhsa_float_round_mode_32 0
		.amdhsa_float_round_mode_16_64 0
		.amdhsa_float_denorm_mode_32 3
		.amdhsa_float_denorm_mode_16_64 3
		.amdhsa_dx10_clamp 1
		.amdhsa_ieee_mode 1
		.amdhsa_fp16_overflow 0
		.amdhsa_tg_split 0
		.amdhsa_exception_fp_ieee_invalid_op 0
		.amdhsa_exception_fp_denorm_src 0
		.amdhsa_exception_fp_ieee_div_zero 0
		.amdhsa_exception_fp_ieee_overflow 0
		.amdhsa_exception_fp_ieee_underflow 0
		.amdhsa_exception_fp_ieee_inexact 0
		.amdhsa_exception_int_div_zero 0
	.end_amdhsa_kernel
	.section	.text._ZN7rocprim17ROCPRIM_400000_NS6detail17trampoline_kernelINS0_14default_configENS1_35radix_sort_onesweep_config_selectorIflEEZZNS1_29radix_sort_onesweep_iterationIS3_Lb0EPfS7_N6thrust23THRUST_200600_302600_NS10device_ptrIlEESB_jNS0_19identity_decomposerENS1_16block_id_wrapperIjLb1EEEEE10hipError_tT1_PNSt15iterator_traitsISG_E10value_typeET2_T3_PNSH_ISM_E10value_typeET4_T5_PSR_SS_PNS1_23onesweep_lookback_stateEbbT6_jjT7_P12ihipStream_tbENKUlT_T0_SG_SL_E_clIS7_S7_SB_SB_EEDaSZ_S10_SG_SL_EUlSZ_E_NS1_11comp_targetILNS1_3genE0ELNS1_11target_archE4294967295ELNS1_3gpuE0ELNS1_3repE0EEENS1_47radix_sort_onesweep_sort_config_static_selectorELNS0_4arch9wavefront6targetE1EEEvSG_,"axG",@progbits,_ZN7rocprim17ROCPRIM_400000_NS6detail17trampoline_kernelINS0_14default_configENS1_35radix_sort_onesweep_config_selectorIflEEZZNS1_29radix_sort_onesweep_iterationIS3_Lb0EPfS7_N6thrust23THRUST_200600_302600_NS10device_ptrIlEESB_jNS0_19identity_decomposerENS1_16block_id_wrapperIjLb1EEEEE10hipError_tT1_PNSt15iterator_traitsISG_E10value_typeET2_T3_PNSH_ISM_E10value_typeET4_T5_PSR_SS_PNS1_23onesweep_lookback_stateEbbT6_jjT7_P12ihipStream_tbENKUlT_T0_SG_SL_E_clIS7_S7_SB_SB_EEDaSZ_S10_SG_SL_EUlSZ_E_NS1_11comp_targetILNS1_3genE0ELNS1_11target_archE4294967295ELNS1_3gpuE0ELNS1_3repE0EEENS1_47radix_sort_onesweep_sort_config_static_selectorELNS0_4arch9wavefront6targetE1EEEvSG_,comdat
.Lfunc_end1834:
	.size	_ZN7rocprim17ROCPRIM_400000_NS6detail17trampoline_kernelINS0_14default_configENS1_35radix_sort_onesweep_config_selectorIflEEZZNS1_29radix_sort_onesweep_iterationIS3_Lb0EPfS7_N6thrust23THRUST_200600_302600_NS10device_ptrIlEESB_jNS0_19identity_decomposerENS1_16block_id_wrapperIjLb1EEEEE10hipError_tT1_PNSt15iterator_traitsISG_E10value_typeET2_T3_PNSH_ISM_E10value_typeET4_T5_PSR_SS_PNS1_23onesweep_lookback_stateEbbT6_jjT7_P12ihipStream_tbENKUlT_T0_SG_SL_E_clIS7_S7_SB_SB_EEDaSZ_S10_SG_SL_EUlSZ_E_NS1_11comp_targetILNS1_3genE0ELNS1_11target_archE4294967295ELNS1_3gpuE0ELNS1_3repE0EEENS1_47radix_sort_onesweep_sort_config_static_selectorELNS0_4arch9wavefront6targetE1EEEvSG_, .Lfunc_end1834-_ZN7rocprim17ROCPRIM_400000_NS6detail17trampoline_kernelINS0_14default_configENS1_35radix_sort_onesweep_config_selectorIflEEZZNS1_29radix_sort_onesweep_iterationIS3_Lb0EPfS7_N6thrust23THRUST_200600_302600_NS10device_ptrIlEESB_jNS0_19identity_decomposerENS1_16block_id_wrapperIjLb1EEEEE10hipError_tT1_PNSt15iterator_traitsISG_E10value_typeET2_T3_PNSH_ISM_E10value_typeET4_T5_PSR_SS_PNS1_23onesweep_lookback_stateEbbT6_jjT7_P12ihipStream_tbENKUlT_T0_SG_SL_E_clIS7_S7_SB_SB_EEDaSZ_S10_SG_SL_EUlSZ_E_NS1_11comp_targetILNS1_3genE0ELNS1_11target_archE4294967295ELNS1_3gpuE0ELNS1_3repE0EEENS1_47radix_sort_onesweep_sort_config_static_selectorELNS0_4arch9wavefront6targetE1EEEvSG_
                                        ; -- End function
	.section	.AMDGPU.csdata,"",@progbits
; Kernel info:
; codeLenInByte = 0
; NumSgprs: 4
; NumVgprs: 0
; NumAgprs: 0
; TotalNumVgprs: 0
; ScratchSize: 0
; MemoryBound: 0
; FloatMode: 240
; IeeeMode: 1
; LDSByteSize: 0 bytes/workgroup (compile time only)
; SGPRBlocks: 0
; VGPRBlocks: 0
; NumSGPRsForWavesPerEU: 4
; NumVGPRsForWavesPerEU: 1
; AccumOffset: 4
; Occupancy: 8
; WaveLimiterHint : 0
; COMPUTE_PGM_RSRC2:SCRATCH_EN: 0
; COMPUTE_PGM_RSRC2:USER_SGPR: 6
; COMPUTE_PGM_RSRC2:TRAP_HANDLER: 0
; COMPUTE_PGM_RSRC2:TGID_X_EN: 1
; COMPUTE_PGM_RSRC2:TGID_Y_EN: 0
; COMPUTE_PGM_RSRC2:TGID_Z_EN: 0
; COMPUTE_PGM_RSRC2:TIDIG_COMP_CNT: 0
; COMPUTE_PGM_RSRC3_GFX90A:ACCUM_OFFSET: 0
; COMPUTE_PGM_RSRC3_GFX90A:TG_SPLIT: 0
	.section	.text._ZN7rocprim17ROCPRIM_400000_NS6detail17trampoline_kernelINS0_14default_configENS1_35radix_sort_onesweep_config_selectorIflEEZZNS1_29radix_sort_onesweep_iterationIS3_Lb0EPfS7_N6thrust23THRUST_200600_302600_NS10device_ptrIlEESB_jNS0_19identity_decomposerENS1_16block_id_wrapperIjLb1EEEEE10hipError_tT1_PNSt15iterator_traitsISG_E10value_typeET2_T3_PNSH_ISM_E10value_typeET4_T5_PSR_SS_PNS1_23onesweep_lookback_stateEbbT6_jjT7_P12ihipStream_tbENKUlT_T0_SG_SL_E_clIS7_S7_SB_SB_EEDaSZ_S10_SG_SL_EUlSZ_E_NS1_11comp_targetILNS1_3genE6ELNS1_11target_archE950ELNS1_3gpuE13ELNS1_3repE0EEENS1_47radix_sort_onesweep_sort_config_static_selectorELNS0_4arch9wavefront6targetE1EEEvSG_,"axG",@progbits,_ZN7rocprim17ROCPRIM_400000_NS6detail17trampoline_kernelINS0_14default_configENS1_35radix_sort_onesweep_config_selectorIflEEZZNS1_29radix_sort_onesweep_iterationIS3_Lb0EPfS7_N6thrust23THRUST_200600_302600_NS10device_ptrIlEESB_jNS0_19identity_decomposerENS1_16block_id_wrapperIjLb1EEEEE10hipError_tT1_PNSt15iterator_traitsISG_E10value_typeET2_T3_PNSH_ISM_E10value_typeET4_T5_PSR_SS_PNS1_23onesweep_lookback_stateEbbT6_jjT7_P12ihipStream_tbENKUlT_T0_SG_SL_E_clIS7_S7_SB_SB_EEDaSZ_S10_SG_SL_EUlSZ_E_NS1_11comp_targetILNS1_3genE6ELNS1_11target_archE950ELNS1_3gpuE13ELNS1_3repE0EEENS1_47radix_sort_onesweep_sort_config_static_selectorELNS0_4arch9wavefront6targetE1EEEvSG_,comdat
	.protected	_ZN7rocprim17ROCPRIM_400000_NS6detail17trampoline_kernelINS0_14default_configENS1_35radix_sort_onesweep_config_selectorIflEEZZNS1_29radix_sort_onesweep_iterationIS3_Lb0EPfS7_N6thrust23THRUST_200600_302600_NS10device_ptrIlEESB_jNS0_19identity_decomposerENS1_16block_id_wrapperIjLb1EEEEE10hipError_tT1_PNSt15iterator_traitsISG_E10value_typeET2_T3_PNSH_ISM_E10value_typeET4_T5_PSR_SS_PNS1_23onesweep_lookback_stateEbbT6_jjT7_P12ihipStream_tbENKUlT_T0_SG_SL_E_clIS7_S7_SB_SB_EEDaSZ_S10_SG_SL_EUlSZ_E_NS1_11comp_targetILNS1_3genE6ELNS1_11target_archE950ELNS1_3gpuE13ELNS1_3repE0EEENS1_47radix_sort_onesweep_sort_config_static_selectorELNS0_4arch9wavefront6targetE1EEEvSG_ ; -- Begin function _ZN7rocprim17ROCPRIM_400000_NS6detail17trampoline_kernelINS0_14default_configENS1_35radix_sort_onesweep_config_selectorIflEEZZNS1_29radix_sort_onesweep_iterationIS3_Lb0EPfS7_N6thrust23THRUST_200600_302600_NS10device_ptrIlEESB_jNS0_19identity_decomposerENS1_16block_id_wrapperIjLb1EEEEE10hipError_tT1_PNSt15iterator_traitsISG_E10value_typeET2_T3_PNSH_ISM_E10value_typeET4_T5_PSR_SS_PNS1_23onesweep_lookback_stateEbbT6_jjT7_P12ihipStream_tbENKUlT_T0_SG_SL_E_clIS7_S7_SB_SB_EEDaSZ_S10_SG_SL_EUlSZ_E_NS1_11comp_targetILNS1_3genE6ELNS1_11target_archE950ELNS1_3gpuE13ELNS1_3repE0EEENS1_47radix_sort_onesweep_sort_config_static_selectorELNS0_4arch9wavefront6targetE1EEEvSG_
	.globl	_ZN7rocprim17ROCPRIM_400000_NS6detail17trampoline_kernelINS0_14default_configENS1_35radix_sort_onesweep_config_selectorIflEEZZNS1_29radix_sort_onesweep_iterationIS3_Lb0EPfS7_N6thrust23THRUST_200600_302600_NS10device_ptrIlEESB_jNS0_19identity_decomposerENS1_16block_id_wrapperIjLb1EEEEE10hipError_tT1_PNSt15iterator_traitsISG_E10value_typeET2_T3_PNSH_ISM_E10value_typeET4_T5_PSR_SS_PNS1_23onesweep_lookback_stateEbbT6_jjT7_P12ihipStream_tbENKUlT_T0_SG_SL_E_clIS7_S7_SB_SB_EEDaSZ_S10_SG_SL_EUlSZ_E_NS1_11comp_targetILNS1_3genE6ELNS1_11target_archE950ELNS1_3gpuE13ELNS1_3repE0EEENS1_47radix_sort_onesweep_sort_config_static_selectorELNS0_4arch9wavefront6targetE1EEEvSG_
	.p2align	8
	.type	_ZN7rocprim17ROCPRIM_400000_NS6detail17trampoline_kernelINS0_14default_configENS1_35radix_sort_onesweep_config_selectorIflEEZZNS1_29radix_sort_onesweep_iterationIS3_Lb0EPfS7_N6thrust23THRUST_200600_302600_NS10device_ptrIlEESB_jNS0_19identity_decomposerENS1_16block_id_wrapperIjLb1EEEEE10hipError_tT1_PNSt15iterator_traitsISG_E10value_typeET2_T3_PNSH_ISM_E10value_typeET4_T5_PSR_SS_PNS1_23onesweep_lookback_stateEbbT6_jjT7_P12ihipStream_tbENKUlT_T0_SG_SL_E_clIS7_S7_SB_SB_EEDaSZ_S10_SG_SL_EUlSZ_E_NS1_11comp_targetILNS1_3genE6ELNS1_11target_archE950ELNS1_3gpuE13ELNS1_3repE0EEENS1_47radix_sort_onesweep_sort_config_static_selectorELNS0_4arch9wavefront6targetE1EEEvSG_,@function
_ZN7rocprim17ROCPRIM_400000_NS6detail17trampoline_kernelINS0_14default_configENS1_35radix_sort_onesweep_config_selectorIflEEZZNS1_29radix_sort_onesweep_iterationIS3_Lb0EPfS7_N6thrust23THRUST_200600_302600_NS10device_ptrIlEESB_jNS0_19identity_decomposerENS1_16block_id_wrapperIjLb1EEEEE10hipError_tT1_PNSt15iterator_traitsISG_E10value_typeET2_T3_PNSH_ISM_E10value_typeET4_T5_PSR_SS_PNS1_23onesweep_lookback_stateEbbT6_jjT7_P12ihipStream_tbENKUlT_T0_SG_SL_E_clIS7_S7_SB_SB_EEDaSZ_S10_SG_SL_EUlSZ_E_NS1_11comp_targetILNS1_3genE6ELNS1_11target_archE950ELNS1_3gpuE13ELNS1_3repE0EEENS1_47radix_sort_onesweep_sort_config_static_selectorELNS0_4arch9wavefront6targetE1EEEvSG_: ; @_ZN7rocprim17ROCPRIM_400000_NS6detail17trampoline_kernelINS0_14default_configENS1_35radix_sort_onesweep_config_selectorIflEEZZNS1_29radix_sort_onesweep_iterationIS3_Lb0EPfS7_N6thrust23THRUST_200600_302600_NS10device_ptrIlEESB_jNS0_19identity_decomposerENS1_16block_id_wrapperIjLb1EEEEE10hipError_tT1_PNSt15iterator_traitsISG_E10value_typeET2_T3_PNSH_ISM_E10value_typeET4_T5_PSR_SS_PNS1_23onesweep_lookback_stateEbbT6_jjT7_P12ihipStream_tbENKUlT_T0_SG_SL_E_clIS7_S7_SB_SB_EEDaSZ_S10_SG_SL_EUlSZ_E_NS1_11comp_targetILNS1_3genE6ELNS1_11target_archE950ELNS1_3gpuE13ELNS1_3repE0EEENS1_47radix_sort_onesweep_sort_config_static_selectorELNS0_4arch9wavefront6targetE1EEEvSG_
; %bb.0:
	.section	.rodata,"a",@progbits
	.p2align	6, 0x0
	.amdhsa_kernel _ZN7rocprim17ROCPRIM_400000_NS6detail17trampoline_kernelINS0_14default_configENS1_35radix_sort_onesweep_config_selectorIflEEZZNS1_29radix_sort_onesweep_iterationIS3_Lb0EPfS7_N6thrust23THRUST_200600_302600_NS10device_ptrIlEESB_jNS0_19identity_decomposerENS1_16block_id_wrapperIjLb1EEEEE10hipError_tT1_PNSt15iterator_traitsISG_E10value_typeET2_T3_PNSH_ISM_E10value_typeET4_T5_PSR_SS_PNS1_23onesweep_lookback_stateEbbT6_jjT7_P12ihipStream_tbENKUlT_T0_SG_SL_E_clIS7_S7_SB_SB_EEDaSZ_S10_SG_SL_EUlSZ_E_NS1_11comp_targetILNS1_3genE6ELNS1_11target_archE950ELNS1_3gpuE13ELNS1_3repE0EEENS1_47radix_sort_onesweep_sort_config_static_selectorELNS0_4arch9wavefront6targetE1EEEvSG_
		.amdhsa_group_segment_fixed_size 0
		.amdhsa_private_segment_fixed_size 0
		.amdhsa_kernarg_size 88
		.amdhsa_user_sgpr_count 6
		.amdhsa_user_sgpr_private_segment_buffer 1
		.amdhsa_user_sgpr_dispatch_ptr 0
		.amdhsa_user_sgpr_queue_ptr 0
		.amdhsa_user_sgpr_kernarg_segment_ptr 1
		.amdhsa_user_sgpr_dispatch_id 0
		.amdhsa_user_sgpr_flat_scratch_init 0
		.amdhsa_user_sgpr_kernarg_preload_length 0
		.amdhsa_user_sgpr_kernarg_preload_offset 0
		.amdhsa_user_sgpr_private_segment_size 0
		.amdhsa_uses_dynamic_stack 0
		.amdhsa_system_sgpr_private_segment_wavefront_offset 0
		.amdhsa_system_sgpr_workgroup_id_x 1
		.amdhsa_system_sgpr_workgroup_id_y 0
		.amdhsa_system_sgpr_workgroup_id_z 0
		.amdhsa_system_sgpr_workgroup_info 0
		.amdhsa_system_vgpr_workitem_id 0
		.amdhsa_next_free_vgpr 1
		.amdhsa_next_free_sgpr 0
		.amdhsa_accum_offset 4
		.amdhsa_reserve_vcc 0
		.amdhsa_reserve_flat_scratch 0
		.amdhsa_float_round_mode_32 0
		.amdhsa_float_round_mode_16_64 0
		.amdhsa_float_denorm_mode_32 3
		.amdhsa_float_denorm_mode_16_64 3
		.amdhsa_dx10_clamp 1
		.amdhsa_ieee_mode 1
		.amdhsa_fp16_overflow 0
		.amdhsa_tg_split 0
		.amdhsa_exception_fp_ieee_invalid_op 0
		.amdhsa_exception_fp_denorm_src 0
		.amdhsa_exception_fp_ieee_div_zero 0
		.amdhsa_exception_fp_ieee_overflow 0
		.amdhsa_exception_fp_ieee_underflow 0
		.amdhsa_exception_fp_ieee_inexact 0
		.amdhsa_exception_int_div_zero 0
	.end_amdhsa_kernel
	.section	.text._ZN7rocprim17ROCPRIM_400000_NS6detail17trampoline_kernelINS0_14default_configENS1_35radix_sort_onesweep_config_selectorIflEEZZNS1_29radix_sort_onesweep_iterationIS3_Lb0EPfS7_N6thrust23THRUST_200600_302600_NS10device_ptrIlEESB_jNS0_19identity_decomposerENS1_16block_id_wrapperIjLb1EEEEE10hipError_tT1_PNSt15iterator_traitsISG_E10value_typeET2_T3_PNSH_ISM_E10value_typeET4_T5_PSR_SS_PNS1_23onesweep_lookback_stateEbbT6_jjT7_P12ihipStream_tbENKUlT_T0_SG_SL_E_clIS7_S7_SB_SB_EEDaSZ_S10_SG_SL_EUlSZ_E_NS1_11comp_targetILNS1_3genE6ELNS1_11target_archE950ELNS1_3gpuE13ELNS1_3repE0EEENS1_47radix_sort_onesweep_sort_config_static_selectorELNS0_4arch9wavefront6targetE1EEEvSG_,"axG",@progbits,_ZN7rocprim17ROCPRIM_400000_NS6detail17trampoline_kernelINS0_14default_configENS1_35radix_sort_onesweep_config_selectorIflEEZZNS1_29radix_sort_onesweep_iterationIS3_Lb0EPfS7_N6thrust23THRUST_200600_302600_NS10device_ptrIlEESB_jNS0_19identity_decomposerENS1_16block_id_wrapperIjLb1EEEEE10hipError_tT1_PNSt15iterator_traitsISG_E10value_typeET2_T3_PNSH_ISM_E10value_typeET4_T5_PSR_SS_PNS1_23onesweep_lookback_stateEbbT6_jjT7_P12ihipStream_tbENKUlT_T0_SG_SL_E_clIS7_S7_SB_SB_EEDaSZ_S10_SG_SL_EUlSZ_E_NS1_11comp_targetILNS1_3genE6ELNS1_11target_archE950ELNS1_3gpuE13ELNS1_3repE0EEENS1_47radix_sort_onesweep_sort_config_static_selectorELNS0_4arch9wavefront6targetE1EEEvSG_,comdat
.Lfunc_end1835:
	.size	_ZN7rocprim17ROCPRIM_400000_NS6detail17trampoline_kernelINS0_14default_configENS1_35radix_sort_onesweep_config_selectorIflEEZZNS1_29radix_sort_onesweep_iterationIS3_Lb0EPfS7_N6thrust23THRUST_200600_302600_NS10device_ptrIlEESB_jNS0_19identity_decomposerENS1_16block_id_wrapperIjLb1EEEEE10hipError_tT1_PNSt15iterator_traitsISG_E10value_typeET2_T3_PNSH_ISM_E10value_typeET4_T5_PSR_SS_PNS1_23onesweep_lookback_stateEbbT6_jjT7_P12ihipStream_tbENKUlT_T0_SG_SL_E_clIS7_S7_SB_SB_EEDaSZ_S10_SG_SL_EUlSZ_E_NS1_11comp_targetILNS1_3genE6ELNS1_11target_archE950ELNS1_3gpuE13ELNS1_3repE0EEENS1_47radix_sort_onesweep_sort_config_static_selectorELNS0_4arch9wavefront6targetE1EEEvSG_, .Lfunc_end1835-_ZN7rocprim17ROCPRIM_400000_NS6detail17trampoline_kernelINS0_14default_configENS1_35radix_sort_onesweep_config_selectorIflEEZZNS1_29radix_sort_onesweep_iterationIS3_Lb0EPfS7_N6thrust23THRUST_200600_302600_NS10device_ptrIlEESB_jNS0_19identity_decomposerENS1_16block_id_wrapperIjLb1EEEEE10hipError_tT1_PNSt15iterator_traitsISG_E10value_typeET2_T3_PNSH_ISM_E10value_typeET4_T5_PSR_SS_PNS1_23onesweep_lookback_stateEbbT6_jjT7_P12ihipStream_tbENKUlT_T0_SG_SL_E_clIS7_S7_SB_SB_EEDaSZ_S10_SG_SL_EUlSZ_E_NS1_11comp_targetILNS1_3genE6ELNS1_11target_archE950ELNS1_3gpuE13ELNS1_3repE0EEENS1_47radix_sort_onesweep_sort_config_static_selectorELNS0_4arch9wavefront6targetE1EEEvSG_
                                        ; -- End function
	.section	.AMDGPU.csdata,"",@progbits
; Kernel info:
; codeLenInByte = 0
; NumSgprs: 4
; NumVgprs: 0
; NumAgprs: 0
; TotalNumVgprs: 0
; ScratchSize: 0
; MemoryBound: 0
; FloatMode: 240
; IeeeMode: 1
; LDSByteSize: 0 bytes/workgroup (compile time only)
; SGPRBlocks: 0
; VGPRBlocks: 0
; NumSGPRsForWavesPerEU: 4
; NumVGPRsForWavesPerEU: 1
; AccumOffset: 4
; Occupancy: 8
; WaveLimiterHint : 0
; COMPUTE_PGM_RSRC2:SCRATCH_EN: 0
; COMPUTE_PGM_RSRC2:USER_SGPR: 6
; COMPUTE_PGM_RSRC2:TRAP_HANDLER: 0
; COMPUTE_PGM_RSRC2:TGID_X_EN: 1
; COMPUTE_PGM_RSRC2:TGID_Y_EN: 0
; COMPUTE_PGM_RSRC2:TGID_Z_EN: 0
; COMPUTE_PGM_RSRC2:TIDIG_COMP_CNT: 0
; COMPUTE_PGM_RSRC3_GFX90A:ACCUM_OFFSET: 0
; COMPUTE_PGM_RSRC3_GFX90A:TG_SPLIT: 0
	.section	.text._ZN7rocprim17ROCPRIM_400000_NS6detail17trampoline_kernelINS0_14default_configENS1_35radix_sort_onesweep_config_selectorIflEEZZNS1_29radix_sort_onesweep_iterationIS3_Lb0EPfS7_N6thrust23THRUST_200600_302600_NS10device_ptrIlEESB_jNS0_19identity_decomposerENS1_16block_id_wrapperIjLb1EEEEE10hipError_tT1_PNSt15iterator_traitsISG_E10value_typeET2_T3_PNSH_ISM_E10value_typeET4_T5_PSR_SS_PNS1_23onesweep_lookback_stateEbbT6_jjT7_P12ihipStream_tbENKUlT_T0_SG_SL_E_clIS7_S7_SB_SB_EEDaSZ_S10_SG_SL_EUlSZ_E_NS1_11comp_targetILNS1_3genE5ELNS1_11target_archE942ELNS1_3gpuE9ELNS1_3repE0EEENS1_47radix_sort_onesweep_sort_config_static_selectorELNS0_4arch9wavefront6targetE1EEEvSG_,"axG",@progbits,_ZN7rocprim17ROCPRIM_400000_NS6detail17trampoline_kernelINS0_14default_configENS1_35radix_sort_onesweep_config_selectorIflEEZZNS1_29radix_sort_onesweep_iterationIS3_Lb0EPfS7_N6thrust23THRUST_200600_302600_NS10device_ptrIlEESB_jNS0_19identity_decomposerENS1_16block_id_wrapperIjLb1EEEEE10hipError_tT1_PNSt15iterator_traitsISG_E10value_typeET2_T3_PNSH_ISM_E10value_typeET4_T5_PSR_SS_PNS1_23onesweep_lookback_stateEbbT6_jjT7_P12ihipStream_tbENKUlT_T0_SG_SL_E_clIS7_S7_SB_SB_EEDaSZ_S10_SG_SL_EUlSZ_E_NS1_11comp_targetILNS1_3genE5ELNS1_11target_archE942ELNS1_3gpuE9ELNS1_3repE0EEENS1_47radix_sort_onesweep_sort_config_static_selectorELNS0_4arch9wavefront6targetE1EEEvSG_,comdat
	.protected	_ZN7rocprim17ROCPRIM_400000_NS6detail17trampoline_kernelINS0_14default_configENS1_35radix_sort_onesweep_config_selectorIflEEZZNS1_29radix_sort_onesweep_iterationIS3_Lb0EPfS7_N6thrust23THRUST_200600_302600_NS10device_ptrIlEESB_jNS0_19identity_decomposerENS1_16block_id_wrapperIjLb1EEEEE10hipError_tT1_PNSt15iterator_traitsISG_E10value_typeET2_T3_PNSH_ISM_E10value_typeET4_T5_PSR_SS_PNS1_23onesweep_lookback_stateEbbT6_jjT7_P12ihipStream_tbENKUlT_T0_SG_SL_E_clIS7_S7_SB_SB_EEDaSZ_S10_SG_SL_EUlSZ_E_NS1_11comp_targetILNS1_3genE5ELNS1_11target_archE942ELNS1_3gpuE9ELNS1_3repE0EEENS1_47radix_sort_onesweep_sort_config_static_selectorELNS0_4arch9wavefront6targetE1EEEvSG_ ; -- Begin function _ZN7rocprim17ROCPRIM_400000_NS6detail17trampoline_kernelINS0_14default_configENS1_35radix_sort_onesweep_config_selectorIflEEZZNS1_29radix_sort_onesweep_iterationIS3_Lb0EPfS7_N6thrust23THRUST_200600_302600_NS10device_ptrIlEESB_jNS0_19identity_decomposerENS1_16block_id_wrapperIjLb1EEEEE10hipError_tT1_PNSt15iterator_traitsISG_E10value_typeET2_T3_PNSH_ISM_E10value_typeET4_T5_PSR_SS_PNS1_23onesweep_lookback_stateEbbT6_jjT7_P12ihipStream_tbENKUlT_T0_SG_SL_E_clIS7_S7_SB_SB_EEDaSZ_S10_SG_SL_EUlSZ_E_NS1_11comp_targetILNS1_3genE5ELNS1_11target_archE942ELNS1_3gpuE9ELNS1_3repE0EEENS1_47radix_sort_onesweep_sort_config_static_selectorELNS0_4arch9wavefront6targetE1EEEvSG_
	.globl	_ZN7rocprim17ROCPRIM_400000_NS6detail17trampoline_kernelINS0_14default_configENS1_35radix_sort_onesweep_config_selectorIflEEZZNS1_29radix_sort_onesweep_iterationIS3_Lb0EPfS7_N6thrust23THRUST_200600_302600_NS10device_ptrIlEESB_jNS0_19identity_decomposerENS1_16block_id_wrapperIjLb1EEEEE10hipError_tT1_PNSt15iterator_traitsISG_E10value_typeET2_T3_PNSH_ISM_E10value_typeET4_T5_PSR_SS_PNS1_23onesweep_lookback_stateEbbT6_jjT7_P12ihipStream_tbENKUlT_T0_SG_SL_E_clIS7_S7_SB_SB_EEDaSZ_S10_SG_SL_EUlSZ_E_NS1_11comp_targetILNS1_3genE5ELNS1_11target_archE942ELNS1_3gpuE9ELNS1_3repE0EEENS1_47radix_sort_onesweep_sort_config_static_selectorELNS0_4arch9wavefront6targetE1EEEvSG_
	.p2align	8
	.type	_ZN7rocprim17ROCPRIM_400000_NS6detail17trampoline_kernelINS0_14default_configENS1_35radix_sort_onesweep_config_selectorIflEEZZNS1_29radix_sort_onesweep_iterationIS3_Lb0EPfS7_N6thrust23THRUST_200600_302600_NS10device_ptrIlEESB_jNS0_19identity_decomposerENS1_16block_id_wrapperIjLb1EEEEE10hipError_tT1_PNSt15iterator_traitsISG_E10value_typeET2_T3_PNSH_ISM_E10value_typeET4_T5_PSR_SS_PNS1_23onesweep_lookback_stateEbbT6_jjT7_P12ihipStream_tbENKUlT_T0_SG_SL_E_clIS7_S7_SB_SB_EEDaSZ_S10_SG_SL_EUlSZ_E_NS1_11comp_targetILNS1_3genE5ELNS1_11target_archE942ELNS1_3gpuE9ELNS1_3repE0EEENS1_47radix_sort_onesweep_sort_config_static_selectorELNS0_4arch9wavefront6targetE1EEEvSG_,@function
_ZN7rocprim17ROCPRIM_400000_NS6detail17trampoline_kernelINS0_14default_configENS1_35radix_sort_onesweep_config_selectorIflEEZZNS1_29radix_sort_onesweep_iterationIS3_Lb0EPfS7_N6thrust23THRUST_200600_302600_NS10device_ptrIlEESB_jNS0_19identity_decomposerENS1_16block_id_wrapperIjLb1EEEEE10hipError_tT1_PNSt15iterator_traitsISG_E10value_typeET2_T3_PNSH_ISM_E10value_typeET4_T5_PSR_SS_PNS1_23onesweep_lookback_stateEbbT6_jjT7_P12ihipStream_tbENKUlT_T0_SG_SL_E_clIS7_S7_SB_SB_EEDaSZ_S10_SG_SL_EUlSZ_E_NS1_11comp_targetILNS1_3genE5ELNS1_11target_archE942ELNS1_3gpuE9ELNS1_3repE0EEENS1_47radix_sort_onesweep_sort_config_static_selectorELNS0_4arch9wavefront6targetE1EEEvSG_: ; @_ZN7rocprim17ROCPRIM_400000_NS6detail17trampoline_kernelINS0_14default_configENS1_35radix_sort_onesweep_config_selectorIflEEZZNS1_29radix_sort_onesweep_iterationIS3_Lb0EPfS7_N6thrust23THRUST_200600_302600_NS10device_ptrIlEESB_jNS0_19identity_decomposerENS1_16block_id_wrapperIjLb1EEEEE10hipError_tT1_PNSt15iterator_traitsISG_E10value_typeET2_T3_PNSH_ISM_E10value_typeET4_T5_PSR_SS_PNS1_23onesweep_lookback_stateEbbT6_jjT7_P12ihipStream_tbENKUlT_T0_SG_SL_E_clIS7_S7_SB_SB_EEDaSZ_S10_SG_SL_EUlSZ_E_NS1_11comp_targetILNS1_3genE5ELNS1_11target_archE942ELNS1_3gpuE9ELNS1_3repE0EEENS1_47radix_sort_onesweep_sort_config_static_selectorELNS0_4arch9wavefront6targetE1EEEvSG_
; %bb.0:
	.section	.rodata,"a",@progbits
	.p2align	6, 0x0
	.amdhsa_kernel _ZN7rocprim17ROCPRIM_400000_NS6detail17trampoline_kernelINS0_14default_configENS1_35radix_sort_onesweep_config_selectorIflEEZZNS1_29radix_sort_onesweep_iterationIS3_Lb0EPfS7_N6thrust23THRUST_200600_302600_NS10device_ptrIlEESB_jNS0_19identity_decomposerENS1_16block_id_wrapperIjLb1EEEEE10hipError_tT1_PNSt15iterator_traitsISG_E10value_typeET2_T3_PNSH_ISM_E10value_typeET4_T5_PSR_SS_PNS1_23onesweep_lookback_stateEbbT6_jjT7_P12ihipStream_tbENKUlT_T0_SG_SL_E_clIS7_S7_SB_SB_EEDaSZ_S10_SG_SL_EUlSZ_E_NS1_11comp_targetILNS1_3genE5ELNS1_11target_archE942ELNS1_3gpuE9ELNS1_3repE0EEENS1_47radix_sort_onesweep_sort_config_static_selectorELNS0_4arch9wavefront6targetE1EEEvSG_
		.amdhsa_group_segment_fixed_size 0
		.amdhsa_private_segment_fixed_size 0
		.amdhsa_kernarg_size 88
		.amdhsa_user_sgpr_count 6
		.amdhsa_user_sgpr_private_segment_buffer 1
		.amdhsa_user_sgpr_dispatch_ptr 0
		.amdhsa_user_sgpr_queue_ptr 0
		.amdhsa_user_sgpr_kernarg_segment_ptr 1
		.amdhsa_user_sgpr_dispatch_id 0
		.amdhsa_user_sgpr_flat_scratch_init 0
		.amdhsa_user_sgpr_kernarg_preload_length 0
		.amdhsa_user_sgpr_kernarg_preload_offset 0
		.amdhsa_user_sgpr_private_segment_size 0
		.amdhsa_uses_dynamic_stack 0
		.amdhsa_system_sgpr_private_segment_wavefront_offset 0
		.amdhsa_system_sgpr_workgroup_id_x 1
		.amdhsa_system_sgpr_workgroup_id_y 0
		.amdhsa_system_sgpr_workgroup_id_z 0
		.amdhsa_system_sgpr_workgroup_info 0
		.amdhsa_system_vgpr_workitem_id 0
		.amdhsa_next_free_vgpr 1
		.amdhsa_next_free_sgpr 0
		.amdhsa_accum_offset 4
		.amdhsa_reserve_vcc 0
		.amdhsa_reserve_flat_scratch 0
		.amdhsa_float_round_mode_32 0
		.amdhsa_float_round_mode_16_64 0
		.amdhsa_float_denorm_mode_32 3
		.amdhsa_float_denorm_mode_16_64 3
		.amdhsa_dx10_clamp 1
		.amdhsa_ieee_mode 1
		.amdhsa_fp16_overflow 0
		.amdhsa_tg_split 0
		.amdhsa_exception_fp_ieee_invalid_op 0
		.amdhsa_exception_fp_denorm_src 0
		.amdhsa_exception_fp_ieee_div_zero 0
		.amdhsa_exception_fp_ieee_overflow 0
		.amdhsa_exception_fp_ieee_underflow 0
		.amdhsa_exception_fp_ieee_inexact 0
		.amdhsa_exception_int_div_zero 0
	.end_amdhsa_kernel
	.section	.text._ZN7rocprim17ROCPRIM_400000_NS6detail17trampoline_kernelINS0_14default_configENS1_35radix_sort_onesweep_config_selectorIflEEZZNS1_29radix_sort_onesweep_iterationIS3_Lb0EPfS7_N6thrust23THRUST_200600_302600_NS10device_ptrIlEESB_jNS0_19identity_decomposerENS1_16block_id_wrapperIjLb1EEEEE10hipError_tT1_PNSt15iterator_traitsISG_E10value_typeET2_T3_PNSH_ISM_E10value_typeET4_T5_PSR_SS_PNS1_23onesweep_lookback_stateEbbT6_jjT7_P12ihipStream_tbENKUlT_T0_SG_SL_E_clIS7_S7_SB_SB_EEDaSZ_S10_SG_SL_EUlSZ_E_NS1_11comp_targetILNS1_3genE5ELNS1_11target_archE942ELNS1_3gpuE9ELNS1_3repE0EEENS1_47radix_sort_onesweep_sort_config_static_selectorELNS0_4arch9wavefront6targetE1EEEvSG_,"axG",@progbits,_ZN7rocprim17ROCPRIM_400000_NS6detail17trampoline_kernelINS0_14default_configENS1_35radix_sort_onesweep_config_selectorIflEEZZNS1_29radix_sort_onesweep_iterationIS3_Lb0EPfS7_N6thrust23THRUST_200600_302600_NS10device_ptrIlEESB_jNS0_19identity_decomposerENS1_16block_id_wrapperIjLb1EEEEE10hipError_tT1_PNSt15iterator_traitsISG_E10value_typeET2_T3_PNSH_ISM_E10value_typeET4_T5_PSR_SS_PNS1_23onesweep_lookback_stateEbbT6_jjT7_P12ihipStream_tbENKUlT_T0_SG_SL_E_clIS7_S7_SB_SB_EEDaSZ_S10_SG_SL_EUlSZ_E_NS1_11comp_targetILNS1_3genE5ELNS1_11target_archE942ELNS1_3gpuE9ELNS1_3repE0EEENS1_47radix_sort_onesweep_sort_config_static_selectorELNS0_4arch9wavefront6targetE1EEEvSG_,comdat
.Lfunc_end1836:
	.size	_ZN7rocprim17ROCPRIM_400000_NS6detail17trampoline_kernelINS0_14default_configENS1_35radix_sort_onesweep_config_selectorIflEEZZNS1_29radix_sort_onesweep_iterationIS3_Lb0EPfS7_N6thrust23THRUST_200600_302600_NS10device_ptrIlEESB_jNS0_19identity_decomposerENS1_16block_id_wrapperIjLb1EEEEE10hipError_tT1_PNSt15iterator_traitsISG_E10value_typeET2_T3_PNSH_ISM_E10value_typeET4_T5_PSR_SS_PNS1_23onesweep_lookback_stateEbbT6_jjT7_P12ihipStream_tbENKUlT_T0_SG_SL_E_clIS7_S7_SB_SB_EEDaSZ_S10_SG_SL_EUlSZ_E_NS1_11comp_targetILNS1_3genE5ELNS1_11target_archE942ELNS1_3gpuE9ELNS1_3repE0EEENS1_47radix_sort_onesweep_sort_config_static_selectorELNS0_4arch9wavefront6targetE1EEEvSG_, .Lfunc_end1836-_ZN7rocprim17ROCPRIM_400000_NS6detail17trampoline_kernelINS0_14default_configENS1_35radix_sort_onesweep_config_selectorIflEEZZNS1_29radix_sort_onesweep_iterationIS3_Lb0EPfS7_N6thrust23THRUST_200600_302600_NS10device_ptrIlEESB_jNS0_19identity_decomposerENS1_16block_id_wrapperIjLb1EEEEE10hipError_tT1_PNSt15iterator_traitsISG_E10value_typeET2_T3_PNSH_ISM_E10value_typeET4_T5_PSR_SS_PNS1_23onesweep_lookback_stateEbbT6_jjT7_P12ihipStream_tbENKUlT_T0_SG_SL_E_clIS7_S7_SB_SB_EEDaSZ_S10_SG_SL_EUlSZ_E_NS1_11comp_targetILNS1_3genE5ELNS1_11target_archE942ELNS1_3gpuE9ELNS1_3repE0EEENS1_47radix_sort_onesweep_sort_config_static_selectorELNS0_4arch9wavefront6targetE1EEEvSG_
                                        ; -- End function
	.section	.AMDGPU.csdata,"",@progbits
; Kernel info:
; codeLenInByte = 0
; NumSgprs: 4
; NumVgprs: 0
; NumAgprs: 0
; TotalNumVgprs: 0
; ScratchSize: 0
; MemoryBound: 0
; FloatMode: 240
; IeeeMode: 1
; LDSByteSize: 0 bytes/workgroup (compile time only)
; SGPRBlocks: 0
; VGPRBlocks: 0
; NumSGPRsForWavesPerEU: 4
; NumVGPRsForWavesPerEU: 1
; AccumOffset: 4
; Occupancy: 8
; WaveLimiterHint : 0
; COMPUTE_PGM_RSRC2:SCRATCH_EN: 0
; COMPUTE_PGM_RSRC2:USER_SGPR: 6
; COMPUTE_PGM_RSRC2:TRAP_HANDLER: 0
; COMPUTE_PGM_RSRC2:TGID_X_EN: 1
; COMPUTE_PGM_RSRC2:TGID_Y_EN: 0
; COMPUTE_PGM_RSRC2:TGID_Z_EN: 0
; COMPUTE_PGM_RSRC2:TIDIG_COMP_CNT: 0
; COMPUTE_PGM_RSRC3_GFX90A:ACCUM_OFFSET: 0
; COMPUTE_PGM_RSRC3_GFX90A:TG_SPLIT: 0
	.section	.text._ZN7rocprim17ROCPRIM_400000_NS6detail17trampoline_kernelINS0_14default_configENS1_35radix_sort_onesweep_config_selectorIflEEZZNS1_29radix_sort_onesweep_iterationIS3_Lb0EPfS7_N6thrust23THRUST_200600_302600_NS10device_ptrIlEESB_jNS0_19identity_decomposerENS1_16block_id_wrapperIjLb1EEEEE10hipError_tT1_PNSt15iterator_traitsISG_E10value_typeET2_T3_PNSH_ISM_E10value_typeET4_T5_PSR_SS_PNS1_23onesweep_lookback_stateEbbT6_jjT7_P12ihipStream_tbENKUlT_T0_SG_SL_E_clIS7_S7_SB_SB_EEDaSZ_S10_SG_SL_EUlSZ_E_NS1_11comp_targetILNS1_3genE2ELNS1_11target_archE906ELNS1_3gpuE6ELNS1_3repE0EEENS1_47radix_sort_onesweep_sort_config_static_selectorELNS0_4arch9wavefront6targetE1EEEvSG_,"axG",@progbits,_ZN7rocprim17ROCPRIM_400000_NS6detail17trampoline_kernelINS0_14default_configENS1_35radix_sort_onesweep_config_selectorIflEEZZNS1_29radix_sort_onesweep_iterationIS3_Lb0EPfS7_N6thrust23THRUST_200600_302600_NS10device_ptrIlEESB_jNS0_19identity_decomposerENS1_16block_id_wrapperIjLb1EEEEE10hipError_tT1_PNSt15iterator_traitsISG_E10value_typeET2_T3_PNSH_ISM_E10value_typeET4_T5_PSR_SS_PNS1_23onesweep_lookback_stateEbbT6_jjT7_P12ihipStream_tbENKUlT_T0_SG_SL_E_clIS7_S7_SB_SB_EEDaSZ_S10_SG_SL_EUlSZ_E_NS1_11comp_targetILNS1_3genE2ELNS1_11target_archE906ELNS1_3gpuE6ELNS1_3repE0EEENS1_47radix_sort_onesweep_sort_config_static_selectorELNS0_4arch9wavefront6targetE1EEEvSG_,comdat
	.protected	_ZN7rocprim17ROCPRIM_400000_NS6detail17trampoline_kernelINS0_14default_configENS1_35radix_sort_onesweep_config_selectorIflEEZZNS1_29radix_sort_onesweep_iterationIS3_Lb0EPfS7_N6thrust23THRUST_200600_302600_NS10device_ptrIlEESB_jNS0_19identity_decomposerENS1_16block_id_wrapperIjLb1EEEEE10hipError_tT1_PNSt15iterator_traitsISG_E10value_typeET2_T3_PNSH_ISM_E10value_typeET4_T5_PSR_SS_PNS1_23onesweep_lookback_stateEbbT6_jjT7_P12ihipStream_tbENKUlT_T0_SG_SL_E_clIS7_S7_SB_SB_EEDaSZ_S10_SG_SL_EUlSZ_E_NS1_11comp_targetILNS1_3genE2ELNS1_11target_archE906ELNS1_3gpuE6ELNS1_3repE0EEENS1_47radix_sort_onesweep_sort_config_static_selectorELNS0_4arch9wavefront6targetE1EEEvSG_ ; -- Begin function _ZN7rocprim17ROCPRIM_400000_NS6detail17trampoline_kernelINS0_14default_configENS1_35radix_sort_onesweep_config_selectorIflEEZZNS1_29radix_sort_onesweep_iterationIS3_Lb0EPfS7_N6thrust23THRUST_200600_302600_NS10device_ptrIlEESB_jNS0_19identity_decomposerENS1_16block_id_wrapperIjLb1EEEEE10hipError_tT1_PNSt15iterator_traitsISG_E10value_typeET2_T3_PNSH_ISM_E10value_typeET4_T5_PSR_SS_PNS1_23onesweep_lookback_stateEbbT6_jjT7_P12ihipStream_tbENKUlT_T0_SG_SL_E_clIS7_S7_SB_SB_EEDaSZ_S10_SG_SL_EUlSZ_E_NS1_11comp_targetILNS1_3genE2ELNS1_11target_archE906ELNS1_3gpuE6ELNS1_3repE0EEENS1_47radix_sort_onesweep_sort_config_static_selectorELNS0_4arch9wavefront6targetE1EEEvSG_
	.globl	_ZN7rocprim17ROCPRIM_400000_NS6detail17trampoline_kernelINS0_14default_configENS1_35radix_sort_onesweep_config_selectorIflEEZZNS1_29radix_sort_onesweep_iterationIS3_Lb0EPfS7_N6thrust23THRUST_200600_302600_NS10device_ptrIlEESB_jNS0_19identity_decomposerENS1_16block_id_wrapperIjLb1EEEEE10hipError_tT1_PNSt15iterator_traitsISG_E10value_typeET2_T3_PNSH_ISM_E10value_typeET4_T5_PSR_SS_PNS1_23onesweep_lookback_stateEbbT6_jjT7_P12ihipStream_tbENKUlT_T0_SG_SL_E_clIS7_S7_SB_SB_EEDaSZ_S10_SG_SL_EUlSZ_E_NS1_11comp_targetILNS1_3genE2ELNS1_11target_archE906ELNS1_3gpuE6ELNS1_3repE0EEENS1_47radix_sort_onesweep_sort_config_static_selectorELNS0_4arch9wavefront6targetE1EEEvSG_
	.p2align	8
	.type	_ZN7rocprim17ROCPRIM_400000_NS6detail17trampoline_kernelINS0_14default_configENS1_35radix_sort_onesweep_config_selectorIflEEZZNS1_29radix_sort_onesweep_iterationIS3_Lb0EPfS7_N6thrust23THRUST_200600_302600_NS10device_ptrIlEESB_jNS0_19identity_decomposerENS1_16block_id_wrapperIjLb1EEEEE10hipError_tT1_PNSt15iterator_traitsISG_E10value_typeET2_T3_PNSH_ISM_E10value_typeET4_T5_PSR_SS_PNS1_23onesweep_lookback_stateEbbT6_jjT7_P12ihipStream_tbENKUlT_T0_SG_SL_E_clIS7_S7_SB_SB_EEDaSZ_S10_SG_SL_EUlSZ_E_NS1_11comp_targetILNS1_3genE2ELNS1_11target_archE906ELNS1_3gpuE6ELNS1_3repE0EEENS1_47radix_sort_onesweep_sort_config_static_selectorELNS0_4arch9wavefront6targetE1EEEvSG_,@function
_ZN7rocprim17ROCPRIM_400000_NS6detail17trampoline_kernelINS0_14default_configENS1_35radix_sort_onesweep_config_selectorIflEEZZNS1_29radix_sort_onesweep_iterationIS3_Lb0EPfS7_N6thrust23THRUST_200600_302600_NS10device_ptrIlEESB_jNS0_19identity_decomposerENS1_16block_id_wrapperIjLb1EEEEE10hipError_tT1_PNSt15iterator_traitsISG_E10value_typeET2_T3_PNSH_ISM_E10value_typeET4_T5_PSR_SS_PNS1_23onesweep_lookback_stateEbbT6_jjT7_P12ihipStream_tbENKUlT_T0_SG_SL_E_clIS7_S7_SB_SB_EEDaSZ_S10_SG_SL_EUlSZ_E_NS1_11comp_targetILNS1_3genE2ELNS1_11target_archE906ELNS1_3gpuE6ELNS1_3repE0EEENS1_47radix_sort_onesweep_sort_config_static_selectorELNS0_4arch9wavefront6targetE1EEEvSG_: ; @_ZN7rocprim17ROCPRIM_400000_NS6detail17trampoline_kernelINS0_14default_configENS1_35radix_sort_onesweep_config_selectorIflEEZZNS1_29radix_sort_onesweep_iterationIS3_Lb0EPfS7_N6thrust23THRUST_200600_302600_NS10device_ptrIlEESB_jNS0_19identity_decomposerENS1_16block_id_wrapperIjLb1EEEEE10hipError_tT1_PNSt15iterator_traitsISG_E10value_typeET2_T3_PNSH_ISM_E10value_typeET4_T5_PSR_SS_PNS1_23onesweep_lookback_stateEbbT6_jjT7_P12ihipStream_tbENKUlT_T0_SG_SL_E_clIS7_S7_SB_SB_EEDaSZ_S10_SG_SL_EUlSZ_E_NS1_11comp_targetILNS1_3genE2ELNS1_11target_archE906ELNS1_3gpuE6ELNS1_3repE0EEENS1_47radix_sort_onesweep_sort_config_static_selectorELNS0_4arch9wavefront6targetE1EEEvSG_
; %bb.0:
	.section	.rodata,"a",@progbits
	.p2align	6, 0x0
	.amdhsa_kernel _ZN7rocprim17ROCPRIM_400000_NS6detail17trampoline_kernelINS0_14default_configENS1_35radix_sort_onesweep_config_selectorIflEEZZNS1_29radix_sort_onesweep_iterationIS3_Lb0EPfS7_N6thrust23THRUST_200600_302600_NS10device_ptrIlEESB_jNS0_19identity_decomposerENS1_16block_id_wrapperIjLb1EEEEE10hipError_tT1_PNSt15iterator_traitsISG_E10value_typeET2_T3_PNSH_ISM_E10value_typeET4_T5_PSR_SS_PNS1_23onesweep_lookback_stateEbbT6_jjT7_P12ihipStream_tbENKUlT_T0_SG_SL_E_clIS7_S7_SB_SB_EEDaSZ_S10_SG_SL_EUlSZ_E_NS1_11comp_targetILNS1_3genE2ELNS1_11target_archE906ELNS1_3gpuE6ELNS1_3repE0EEENS1_47radix_sort_onesweep_sort_config_static_selectorELNS0_4arch9wavefront6targetE1EEEvSG_
		.amdhsa_group_segment_fixed_size 0
		.amdhsa_private_segment_fixed_size 0
		.amdhsa_kernarg_size 88
		.amdhsa_user_sgpr_count 6
		.amdhsa_user_sgpr_private_segment_buffer 1
		.amdhsa_user_sgpr_dispatch_ptr 0
		.amdhsa_user_sgpr_queue_ptr 0
		.amdhsa_user_sgpr_kernarg_segment_ptr 1
		.amdhsa_user_sgpr_dispatch_id 0
		.amdhsa_user_sgpr_flat_scratch_init 0
		.amdhsa_user_sgpr_kernarg_preload_length 0
		.amdhsa_user_sgpr_kernarg_preload_offset 0
		.amdhsa_user_sgpr_private_segment_size 0
		.amdhsa_uses_dynamic_stack 0
		.amdhsa_system_sgpr_private_segment_wavefront_offset 0
		.amdhsa_system_sgpr_workgroup_id_x 1
		.amdhsa_system_sgpr_workgroup_id_y 0
		.amdhsa_system_sgpr_workgroup_id_z 0
		.amdhsa_system_sgpr_workgroup_info 0
		.amdhsa_system_vgpr_workitem_id 0
		.amdhsa_next_free_vgpr 1
		.amdhsa_next_free_sgpr 0
		.amdhsa_accum_offset 4
		.amdhsa_reserve_vcc 0
		.amdhsa_reserve_flat_scratch 0
		.amdhsa_float_round_mode_32 0
		.amdhsa_float_round_mode_16_64 0
		.amdhsa_float_denorm_mode_32 3
		.amdhsa_float_denorm_mode_16_64 3
		.amdhsa_dx10_clamp 1
		.amdhsa_ieee_mode 1
		.amdhsa_fp16_overflow 0
		.amdhsa_tg_split 0
		.amdhsa_exception_fp_ieee_invalid_op 0
		.amdhsa_exception_fp_denorm_src 0
		.amdhsa_exception_fp_ieee_div_zero 0
		.amdhsa_exception_fp_ieee_overflow 0
		.amdhsa_exception_fp_ieee_underflow 0
		.amdhsa_exception_fp_ieee_inexact 0
		.amdhsa_exception_int_div_zero 0
	.end_amdhsa_kernel
	.section	.text._ZN7rocprim17ROCPRIM_400000_NS6detail17trampoline_kernelINS0_14default_configENS1_35radix_sort_onesweep_config_selectorIflEEZZNS1_29radix_sort_onesweep_iterationIS3_Lb0EPfS7_N6thrust23THRUST_200600_302600_NS10device_ptrIlEESB_jNS0_19identity_decomposerENS1_16block_id_wrapperIjLb1EEEEE10hipError_tT1_PNSt15iterator_traitsISG_E10value_typeET2_T3_PNSH_ISM_E10value_typeET4_T5_PSR_SS_PNS1_23onesweep_lookback_stateEbbT6_jjT7_P12ihipStream_tbENKUlT_T0_SG_SL_E_clIS7_S7_SB_SB_EEDaSZ_S10_SG_SL_EUlSZ_E_NS1_11comp_targetILNS1_3genE2ELNS1_11target_archE906ELNS1_3gpuE6ELNS1_3repE0EEENS1_47radix_sort_onesweep_sort_config_static_selectorELNS0_4arch9wavefront6targetE1EEEvSG_,"axG",@progbits,_ZN7rocprim17ROCPRIM_400000_NS6detail17trampoline_kernelINS0_14default_configENS1_35radix_sort_onesweep_config_selectorIflEEZZNS1_29radix_sort_onesweep_iterationIS3_Lb0EPfS7_N6thrust23THRUST_200600_302600_NS10device_ptrIlEESB_jNS0_19identity_decomposerENS1_16block_id_wrapperIjLb1EEEEE10hipError_tT1_PNSt15iterator_traitsISG_E10value_typeET2_T3_PNSH_ISM_E10value_typeET4_T5_PSR_SS_PNS1_23onesweep_lookback_stateEbbT6_jjT7_P12ihipStream_tbENKUlT_T0_SG_SL_E_clIS7_S7_SB_SB_EEDaSZ_S10_SG_SL_EUlSZ_E_NS1_11comp_targetILNS1_3genE2ELNS1_11target_archE906ELNS1_3gpuE6ELNS1_3repE0EEENS1_47radix_sort_onesweep_sort_config_static_selectorELNS0_4arch9wavefront6targetE1EEEvSG_,comdat
.Lfunc_end1837:
	.size	_ZN7rocprim17ROCPRIM_400000_NS6detail17trampoline_kernelINS0_14default_configENS1_35radix_sort_onesweep_config_selectorIflEEZZNS1_29radix_sort_onesweep_iterationIS3_Lb0EPfS7_N6thrust23THRUST_200600_302600_NS10device_ptrIlEESB_jNS0_19identity_decomposerENS1_16block_id_wrapperIjLb1EEEEE10hipError_tT1_PNSt15iterator_traitsISG_E10value_typeET2_T3_PNSH_ISM_E10value_typeET4_T5_PSR_SS_PNS1_23onesweep_lookback_stateEbbT6_jjT7_P12ihipStream_tbENKUlT_T0_SG_SL_E_clIS7_S7_SB_SB_EEDaSZ_S10_SG_SL_EUlSZ_E_NS1_11comp_targetILNS1_3genE2ELNS1_11target_archE906ELNS1_3gpuE6ELNS1_3repE0EEENS1_47radix_sort_onesweep_sort_config_static_selectorELNS0_4arch9wavefront6targetE1EEEvSG_, .Lfunc_end1837-_ZN7rocprim17ROCPRIM_400000_NS6detail17trampoline_kernelINS0_14default_configENS1_35radix_sort_onesweep_config_selectorIflEEZZNS1_29radix_sort_onesweep_iterationIS3_Lb0EPfS7_N6thrust23THRUST_200600_302600_NS10device_ptrIlEESB_jNS0_19identity_decomposerENS1_16block_id_wrapperIjLb1EEEEE10hipError_tT1_PNSt15iterator_traitsISG_E10value_typeET2_T3_PNSH_ISM_E10value_typeET4_T5_PSR_SS_PNS1_23onesweep_lookback_stateEbbT6_jjT7_P12ihipStream_tbENKUlT_T0_SG_SL_E_clIS7_S7_SB_SB_EEDaSZ_S10_SG_SL_EUlSZ_E_NS1_11comp_targetILNS1_3genE2ELNS1_11target_archE906ELNS1_3gpuE6ELNS1_3repE0EEENS1_47radix_sort_onesweep_sort_config_static_selectorELNS0_4arch9wavefront6targetE1EEEvSG_
                                        ; -- End function
	.section	.AMDGPU.csdata,"",@progbits
; Kernel info:
; codeLenInByte = 0
; NumSgprs: 4
; NumVgprs: 0
; NumAgprs: 0
; TotalNumVgprs: 0
; ScratchSize: 0
; MemoryBound: 0
; FloatMode: 240
; IeeeMode: 1
; LDSByteSize: 0 bytes/workgroup (compile time only)
; SGPRBlocks: 0
; VGPRBlocks: 0
; NumSGPRsForWavesPerEU: 4
; NumVGPRsForWavesPerEU: 1
; AccumOffset: 4
; Occupancy: 8
; WaveLimiterHint : 0
; COMPUTE_PGM_RSRC2:SCRATCH_EN: 0
; COMPUTE_PGM_RSRC2:USER_SGPR: 6
; COMPUTE_PGM_RSRC2:TRAP_HANDLER: 0
; COMPUTE_PGM_RSRC2:TGID_X_EN: 1
; COMPUTE_PGM_RSRC2:TGID_Y_EN: 0
; COMPUTE_PGM_RSRC2:TGID_Z_EN: 0
; COMPUTE_PGM_RSRC2:TIDIG_COMP_CNT: 0
; COMPUTE_PGM_RSRC3_GFX90A:ACCUM_OFFSET: 0
; COMPUTE_PGM_RSRC3_GFX90A:TG_SPLIT: 0
	.section	.text._ZN7rocprim17ROCPRIM_400000_NS6detail17trampoline_kernelINS0_14default_configENS1_35radix_sort_onesweep_config_selectorIflEEZZNS1_29radix_sort_onesweep_iterationIS3_Lb0EPfS7_N6thrust23THRUST_200600_302600_NS10device_ptrIlEESB_jNS0_19identity_decomposerENS1_16block_id_wrapperIjLb1EEEEE10hipError_tT1_PNSt15iterator_traitsISG_E10value_typeET2_T3_PNSH_ISM_E10value_typeET4_T5_PSR_SS_PNS1_23onesweep_lookback_stateEbbT6_jjT7_P12ihipStream_tbENKUlT_T0_SG_SL_E_clIS7_S7_SB_SB_EEDaSZ_S10_SG_SL_EUlSZ_E_NS1_11comp_targetILNS1_3genE4ELNS1_11target_archE910ELNS1_3gpuE8ELNS1_3repE0EEENS1_47radix_sort_onesweep_sort_config_static_selectorELNS0_4arch9wavefront6targetE1EEEvSG_,"axG",@progbits,_ZN7rocprim17ROCPRIM_400000_NS6detail17trampoline_kernelINS0_14default_configENS1_35radix_sort_onesweep_config_selectorIflEEZZNS1_29radix_sort_onesweep_iterationIS3_Lb0EPfS7_N6thrust23THRUST_200600_302600_NS10device_ptrIlEESB_jNS0_19identity_decomposerENS1_16block_id_wrapperIjLb1EEEEE10hipError_tT1_PNSt15iterator_traitsISG_E10value_typeET2_T3_PNSH_ISM_E10value_typeET4_T5_PSR_SS_PNS1_23onesweep_lookback_stateEbbT6_jjT7_P12ihipStream_tbENKUlT_T0_SG_SL_E_clIS7_S7_SB_SB_EEDaSZ_S10_SG_SL_EUlSZ_E_NS1_11comp_targetILNS1_3genE4ELNS1_11target_archE910ELNS1_3gpuE8ELNS1_3repE0EEENS1_47radix_sort_onesweep_sort_config_static_selectorELNS0_4arch9wavefront6targetE1EEEvSG_,comdat
	.protected	_ZN7rocprim17ROCPRIM_400000_NS6detail17trampoline_kernelINS0_14default_configENS1_35radix_sort_onesweep_config_selectorIflEEZZNS1_29radix_sort_onesweep_iterationIS3_Lb0EPfS7_N6thrust23THRUST_200600_302600_NS10device_ptrIlEESB_jNS0_19identity_decomposerENS1_16block_id_wrapperIjLb1EEEEE10hipError_tT1_PNSt15iterator_traitsISG_E10value_typeET2_T3_PNSH_ISM_E10value_typeET4_T5_PSR_SS_PNS1_23onesweep_lookback_stateEbbT6_jjT7_P12ihipStream_tbENKUlT_T0_SG_SL_E_clIS7_S7_SB_SB_EEDaSZ_S10_SG_SL_EUlSZ_E_NS1_11comp_targetILNS1_3genE4ELNS1_11target_archE910ELNS1_3gpuE8ELNS1_3repE0EEENS1_47radix_sort_onesweep_sort_config_static_selectorELNS0_4arch9wavefront6targetE1EEEvSG_ ; -- Begin function _ZN7rocprim17ROCPRIM_400000_NS6detail17trampoline_kernelINS0_14default_configENS1_35radix_sort_onesweep_config_selectorIflEEZZNS1_29radix_sort_onesweep_iterationIS3_Lb0EPfS7_N6thrust23THRUST_200600_302600_NS10device_ptrIlEESB_jNS0_19identity_decomposerENS1_16block_id_wrapperIjLb1EEEEE10hipError_tT1_PNSt15iterator_traitsISG_E10value_typeET2_T3_PNSH_ISM_E10value_typeET4_T5_PSR_SS_PNS1_23onesweep_lookback_stateEbbT6_jjT7_P12ihipStream_tbENKUlT_T0_SG_SL_E_clIS7_S7_SB_SB_EEDaSZ_S10_SG_SL_EUlSZ_E_NS1_11comp_targetILNS1_3genE4ELNS1_11target_archE910ELNS1_3gpuE8ELNS1_3repE0EEENS1_47radix_sort_onesweep_sort_config_static_selectorELNS0_4arch9wavefront6targetE1EEEvSG_
	.globl	_ZN7rocprim17ROCPRIM_400000_NS6detail17trampoline_kernelINS0_14default_configENS1_35radix_sort_onesweep_config_selectorIflEEZZNS1_29radix_sort_onesweep_iterationIS3_Lb0EPfS7_N6thrust23THRUST_200600_302600_NS10device_ptrIlEESB_jNS0_19identity_decomposerENS1_16block_id_wrapperIjLb1EEEEE10hipError_tT1_PNSt15iterator_traitsISG_E10value_typeET2_T3_PNSH_ISM_E10value_typeET4_T5_PSR_SS_PNS1_23onesweep_lookback_stateEbbT6_jjT7_P12ihipStream_tbENKUlT_T0_SG_SL_E_clIS7_S7_SB_SB_EEDaSZ_S10_SG_SL_EUlSZ_E_NS1_11comp_targetILNS1_3genE4ELNS1_11target_archE910ELNS1_3gpuE8ELNS1_3repE0EEENS1_47radix_sort_onesweep_sort_config_static_selectorELNS0_4arch9wavefront6targetE1EEEvSG_
	.p2align	8
	.type	_ZN7rocprim17ROCPRIM_400000_NS6detail17trampoline_kernelINS0_14default_configENS1_35radix_sort_onesweep_config_selectorIflEEZZNS1_29radix_sort_onesweep_iterationIS3_Lb0EPfS7_N6thrust23THRUST_200600_302600_NS10device_ptrIlEESB_jNS0_19identity_decomposerENS1_16block_id_wrapperIjLb1EEEEE10hipError_tT1_PNSt15iterator_traitsISG_E10value_typeET2_T3_PNSH_ISM_E10value_typeET4_T5_PSR_SS_PNS1_23onesweep_lookback_stateEbbT6_jjT7_P12ihipStream_tbENKUlT_T0_SG_SL_E_clIS7_S7_SB_SB_EEDaSZ_S10_SG_SL_EUlSZ_E_NS1_11comp_targetILNS1_3genE4ELNS1_11target_archE910ELNS1_3gpuE8ELNS1_3repE0EEENS1_47radix_sort_onesweep_sort_config_static_selectorELNS0_4arch9wavefront6targetE1EEEvSG_,@function
_ZN7rocprim17ROCPRIM_400000_NS6detail17trampoline_kernelINS0_14default_configENS1_35radix_sort_onesweep_config_selectorIflEEZZNS1_29radix_sort_onesweep_iterationIS3_Lb0EPfS7_N6thrust23THRUST_200600_302600_NS10device_ptrIlEESB_jNS0_19identity_decomposerENS1_16block_id_wrapperIjLb1EEEEE10hipError_tT1_PNSt15iterator_traitsISG_E10value_typeET2_T3_PNSH_ISM_E10value_typeET4_T5_PSR_SS_PNS1_23onesweep_lookback_stateEbbT6_jjT7_P12ihipStream_tbENKUlT_T0_SG_SL_E_clIS7_S7_SB_SB_EEDaSZ_S10_SG_SL_EUlSZ_E_NS1_11comp_targetILNS1_3genE4ELNS1_11target_archE910ELNS1_3gpuE8ELNS1_3repE0EEENS1_47radix_sort_onesweep_sort_config_static_selectorELNS0_4arch9wavefront6targetE1EEEvSG_: ; @_ZN7rocprim17ROCPRIM_400000_NS6detail17trampoline_kernelINS0_14default_configENS1_35radix_sort_onesweep_config_selectorIflEEZZNS1_29radix_sort_onesweep_iterationIS3_Lb0EPfS7_N6thrust23THRUST_200600_302600_NS10device_ptrIlEESB_jNS0_19identity_decomposerENS1_16block_id_wrapperIjLb1EEEEE10hipError_tT1_PNSt15iterator_traitsISG_E10value_typeET2_T3_PNSH_ISM_E10value_typeET4_T5_PSR_SS_PNS1_23onesweep_lookback_stateEbbT6_jjT7_P12ihipStream_tbENKUlT_T0_SG_SL_E_clIS7_S7_SB_SB_EEDaSZ_S10_SG_SL_EUlSZ_E_NS1_11comp_targetILNS1_3genE4ELNS1_11target_archE910ELNS1_3gpuE8ELNS1_3repE0EEENS1_47radix_sort_onesweep_sort_config_static_selectorELNS0_4arch9wavefront6targetE1EEEvSG_
; %bb.0:
	s_load_dwordx4 s[44:47], s[4:5], 0x28
	s_load_dwordx2 s[30:31], s[4:5], 0x38
	s_load_dwordx4 s[48:51], s[4:5], 0x44
	v_and_b32_e32 v10, 0x3ff, v0
	v_cmp_eq_u32_e64 s[0:1], 0, v10
	s_and_saveexec_b64 s[2:3], s[0:1]
	s_cbranch_execz .LBB1838_4
; %bb.1:
	s_mov_b64 s[10:11], exec
	v_mbcnt_lo_u32_b32 v1, s10, 0
	v_mbcnt_hi_u32_b32 v1, s11, v1
	v_cmp_eq_u32_e32 vcc, 0, v1
                                        ; implicit-def: $vgpr2
	s_and_saveexec_b64 s[8:9], vcc
	s_cbranch_execz .LBB1838_3
; %bb.2:
	s_load_dwordx2 s[12:13], s[4:5], 0x50
	s_bcnt1_i32_b64 s7, s[10:11]
	v_mov_b32_e32 v2, 0
	v_mov_b32_e32 v3, s7
	s_waitcnt lgkmcnt(0)
	global_atomic_add v2, v2, v3, s[12:13] glc
.LBB1838_3:
	s_or_b64 exec, exec, s[8:9]
	s_waitcnt vmcnt(0)
	v_readfirstlane_b32 s7, v2
	v_add_u32_e32 v1, s7, v1
	v_mov_b32_e32 v2, 0
	ds_write_b32 v2, v1 offset:20544
.LBB1838_4:
	s_or_b64 exec, exec, s[2:3]
	v_mov_b32_e32 v1, 0
	s_load_dwordx8 s[36:43], s[4:5], 0x0
	s_load_dword s2, s[4:5], 0x20
	s_waitcnt lgkmcnt(0)
	s_barrier
	ds_read_b32 v1, v1 offset:20544
	v_lshlrev_b32_e32 v11, 3, v10
	s_waitcnt lgkmcnt(0)
	s_barrier
	v_cmp_le_u32_e32 vcc, s50, v1
	v_readfirstlane_b32 s33, v1
	v_mbcnt_lo_u32_b32 v1, -1, 0
	s_cbranch_vccz .LBB1838_67
; %bb.5:
	s_lshl_b32 s3, s50, 13
	s_lshl_b32 s34, s33, 13
	s_mov_b32 s35, 0
	s_sub_i32 s7, s2, s3
	s_lshl_b64 s[2:3], s[34:35], 2
	v_mbcnt_hi_u32_b32 v19, -1, v1
	s_add_u32 s2, s36, s2
	v_and_b32_e32 v17, 63, v19
	s_addc_u32 s3, s37, s3
	v_lshlrev_b32_e32 v2, 2, v17
	v_and_b32_e32 v16, 0x1e00, v11
	v_mov_b32_e32 v3, s3
	v_add_co_u32_e32 v2, vcc, s2, v2
	v_addc_co_u32_e32 v3, vcc, 0, v3, vcc
	v_lshlrev_b32_e32 v4, 2, v16
	s_brev_b32 s8, -2
	v_add_co_u32_e32 v12, vcc, v2, v4
	s_mov_b32 s9, s8
	v_addc_co_u32_e32 v13, vcc, 0, v3, vcc
	v_or_b32_e32 v14, v17, v16
	s_mov_b32 s10, s8
	s_mov_b32 s11, s8
	;; [unrolled: 1-line block ×6, first 2 shown]
	v_pk_mov_b32 v[2:3], s[8:9], s[8:9] op_sel:[0,1]
	v_cmp_gt_u32_e64 s[2:3], s7, v14
	v_pk_mov_b32 v[4:5], s[10:11], s[10:11] op_sel:[0,1]
	v_pk_mov_b32 v[6:7], s[12:13], s[12:13] op_sel:[0,1]
	;; [unrolled: 1-line block ×3, first 2 shown]
	s_and_saveexec_b64 s[8:9], s[2:3]
	s_cbranch_execz .LBB1838_7
; %bb.6:
	global_load_dword v2, v[12:13], off
	v_bfrev_b32_e32 v3, -2
	v_mov_b32_e32 v4, v3
	v_mov_b32_e32 v5, v3
	;; [unrolled: 1-line block ×6, first 2 shown]
.LBB1838_7:
	s_or_b64 exec, exec, s[8:9]
	v_or_b32_e32 v15, 64, v14
	v_cmp_gt_u32_e64 s[26:27], s7, v15
	s_and_saveexec_b64 s[8:9], s[26:27]
	s_cbranch_execz .LBB1838_9
; %bb.8:
	global_load_dword v3, v[12:13], off offset:256
.LBB1838_9:
	s_or_b64 exec, exec, s[8:9]
	v_or_b32_e32 v15, 0x80, v14
	v_cmp_gt_u32_e64 s[8:9], s7, v15
	s_and_saveexec_b64 s[10:11], s[8:9]
	s_cbranch_execz .LBB1838_11
; %bb.10:
	global_load_dword v4, v[12:13], off offset:512
.LBB1838_11:
	;; [unrolled: 8-line block ×7, first 2 shown]
	s_or_b64 exec, exec, s[20:21]
	s_load_dword s20, s[4:5], 0x64
	s_load_dword s52, s[4:5], 0x58
	s_add_u32 s21, s4, 0x58
	s_addc_u32 s22, s5, 0
	v_mov_b32_e32 v12, 0
	s_waitcnt lgkmcnt(0)
	s_lshr_b32 s23, s20, 16
	s_cmp_lt_u32 s6, s52
	s_cselect_b32 s20, 12, 18
	s_add_u32 s20, s21, s20
	s_addc_u32 s21, s22, 0
	global_load_ushort v14, v12, s[20:21]
	v_bfrev_b32_e32 v20, 1
	s_waitcnt vmcnt(1)
	v_cmp_lt_i32_e32 vcc, -1, v2
	v_mul_u32_u24_e32 v18, 5, v10
	v_cndmask_b32_e32 v21, -1, v20, vcc
	s_brev_b32 s22, -2
	v_lshlrev_b32_e32 v23, 2, v18
	v_xor_b32_e32 v18, v21, v2
	v_cmp_ne_u32_e32 vcc, s22, v18
	v_cndmask_b32_e32 v2, v20, v18, vcc
	s_lshl_b32 s20, -1, s49
	v_lshrrev_b32_e32 v2, s48, v2
	s_not_b32 s53, s20
	v_and_b32_e32 v2, s53, v2
	v_and_b32_e32 v22, 1, v2
	v_bfe_u32 v13, v0, 10, 10
	v_bfe_u32 v15, v0, 20, 10
	v_add_co_u32_e32 v24, vcc, -1, v22
	v_mad_u32_u24 v15, v15, s23, v13
	v_lshlrev_b32_e32 v13, 30, v2
	v_addc_co_u32_e64 v25, s[20:21], 0, -1, vcc
	v_cmp_ne_u32_e32 vcc, 0, v22
	v_cmp_gt_i64_e64 s[20:21], 0, v[12:13]
	v_not_b32_e32 v22, v13
	v_lshlrev_b32_e32 v13, 29, v2
	v_xor_b32_e32 v25, vcc_hi, v25
	v_xor_b32_e32 v24, vcc_lo, v24
	v_ashrrev_i32_e32 v22, 31, v22
	v_cmp_gt_i64_e32 vcc, 0, v[12:13]
	v_not_b32_e32 v26, v13
	v_lshlrev_b32_e32 v13, 28, v2
	v_and_b32_e32 v25, exec_hi, v25
	v_and_b32_e32 v24, exec_lo, v24
	v_xor_b32_e32 v27, s21, v22
	v_xor_b32_e32 v22, s20, v22
	v_ashrrev_i32_e32 v26, 31, v26
	v_cmp_gt_i64_e64 s[20:21], 0, v[12:13]
	v_not_b32_e32 v28, v13
	v_lshlrev_b32_e32 v13, 27, v2
	v_and_b32_e32 v25, v25, v27
	v_and_b32_e32 v22, v24, v22
	v_xor_b32_e32 v24, vcc_hi, v26
	v_xor_b32_e32 v26, vcc_lo, v26
	v_ashrrev_i32_e32 v27, 31, v28
	v_cmp_gt_i64_e32 vcc, 0, v[12:13]
	v_not_b32_e32 v28, v13
	v_lshlrev_b32_e32 v13, 26, v2
	v_and_b32_e32 v24, v25, v24
	v_and_b32_e32 v22, v22, v26
	v_xor_b32_e32 v25, s21, v27
	v_xor_b32_e32 v26, s20, v27
	v_ashrrev_i32_e32 v27, 31, v28
	v_cmp_gt_i64_e64 s[20:21], 0, v[12:13]
	v_not_b32_e32 v28, v13
	v_lshlrev_b32_e32 v13, 25, v2
	v_and_b32_e32 v24, v24, v25
	v_and_b32_e32 v22, v22, v26
	v_xor_b32_e32 v25, vcc_hi, v27
	v_xor_b32_e32 v26, vcc_lo, v27
	v_ashrrev_i32_e32 v27, 31, v28
	v_cmp_gt_i64_e32 vcc, 0, v[12:13]
	v_not_b32_e32 v13, v13
	v_and_b32_e32 v24, v24, v25
	v_and_b32_e32 v22, v22, v26
	v_xor_b32_e32 v25, s21, v27
	v_xor_b32_e32 v26, s20, v27
	v_ashrrev_i32_e32 v13, 31, v13
	v_lshl_add_u32 v21, v2, 4, v2
	v_and_b32_e32 v22, v22, v26
	v_xor_b32_e32 v26, vcc_hi, v13
	v_xor_b32_e32 v13, vcc_lo, v13
	v_and_b32_e32 v24, v24, v25
	ds_write2_b32 v23, v12, v12 offset0:16 offset1:17
	ds_write2_b32 v23, v12, v12 offset0:18 offset1:19
	ds_write_b32 v23, v12 offset:80
	s_waitcnt lgkmcnt(0)
	s_barrier
	s_waitcnt lgkmcnt(0)
	; wave barrier
	s_waitcnt vmcnt(0)
	v_mad_u64_u32 v[14:15], s[20:21], v15, v14, v[10:11]
	v_lshrrev_b32_e32 v42, 6, v14
	v_add_lshl_u32 v25, v21, v42, 2
	v_and_b32_e32 v21, v22, v13
	v_lshlrev_b32_e32 v13, 24, v2
	v_not_b32_e32 v2, v13
	v_cmp_gt_i64_e32 vcc, 0, v[12:13]
	v_ashrrev_i32_e32 v2, 31, v2
	v_and_b32_e32 v14, v24, v26
	v_xor_b32_e32 v13, vcc_hi, v2
	v_xor_b32_e32 v2, vcc_lo, v2
	v_and_b32_e32 v15, v14, v13
	v_and_b32_e32 v14, v21, v2
	v_mbcnt_lo_u32_b32 v2, v14, 0
	v_mbcnt_hi_u32_b32 v22, v15, v2
	v_cmp_eq_u32_e32 vcc, 0, v22
	v_cmp_ne_u64_e64 s[20:21], 0, v[14:15]
	s_and_b64 s[24:25], s[20:21], vcc
	s_and_saveexec_b64 s[20:21], s[24:25]
	s_cbranch_execz .LBB1838_23
; %bb.22:
	v_bcnt_u32_b32 v2, v14, 0
	v_bcnt_u32_b32 v2, v15, v2
	ds_write_b32 v25, v2 offset:64
.LBB1838_23:
	s_or_b64 exec, exec, s[20:21]
	v_cmp_lt_i32_e32 vcc, -1, v3
	v_cndmask_b32_e32 v2, -1, v20, vcc
	v_xor_b32_e32 v14, v2, v3
	v_cmp_ne_u32_e32 vcc, s22, v14
	v_cndmask_b32_e32 v2, v20, v14, vcc
	v_lshrrev_b32_e32 v2, s48, v2
	v_and_b32_e32 v2, s53, v2
	v_lshl_add_u32 v3, v2, 4, v2
	v_add_lshl_u32 v26, v3, v42, 2
	v_and_b32_e32 v3, 1, v2
	v_add_co_u32_e32 v13, vcc, -1, v3
	v_addc_co_u32_e64 v15, s[20:21], 0, -1, vcc
	v_cmp_ne_u32_e32 vcc, 0, v3
	v_xor_b32_e32 v13, vcc_lo, v13
	v_xor_b32_e32 v3, vcc_hi, v15
	v_and_b32_e32 v15, exec_lo, v13
	v_lshlrev_b32_e32 v13, 30, v2
	v_cmp_gt_i64_e32 vcc, 0, v[12:13]
	v_not_b32_e32 v13, v13
	v_ashrrev_i32_e32 v13, 31, v13
	v_xor_b32_e32 v20, vcc_hi, v13
	v_xor_b32_e32 v13, vcc_lo, v13
	v_and_b32_e32 v15, v15, v13
	v_lshlrev_b32_e32 v13, 29, v2
	v_cmp_gt_i64_e32 vcc, 0, v[12:13]
	v_not_b32_e32 v13, v13
	v_and_b32_e32 v3, exec_hi, v3
	v_ashrrev_i32_e32 v13, 31, v13
	v_and_b32_e32 v3, v3, v20
	v_xor_b32_e32 v20, vcc_hi, v13
	v_xor_b32_e32 v13, vcc_lo, v13
	v_and_b32_e32 v15, v15, v13
	v_lshlrev_b32_e32 v13, 28, v2
	v_cmp_gt_i64_e32 vcc, 0, v[12:13]
	v_not_b32_e32 v13, v13
	v_ashrrev_i32_e32 v13, 31, v13
	v_and_b32_e32 v3, v3, v20
	v_xor_b32_e32 v20, vcc_hi, v13
	v_xor_b32_e32 v13, vcc_lo, v13
	v_and_b32_e32 v15, v15, v13
	v_lshlrev_b32_e32 v13, 27, v2
	v_cmp_gt_i64_e32 vcc, 0, v[12:13]
	v_not_b32_e32 v13, v13
	;; [unrolled: 8-line block ×4, first 2 shown]
	v_ashrrev_i32_e32 v13, 31, v13
	v_and_b32_e32 v3, v3, v20
	v_xor_b32_e32 v20, vcc_hi, v13
	v_xor_b32_e32 v13, vcc_lo, v13
	v_and_b32_e32 v15, v15, v13
	v_lshlrev_b32_e32 v13, 24, v2
	v_not_b32_e32 v2, v13
	v_cmp_gt_i64_e32 vcc, 0, v[12:13]
	v_ashrrev_i32_e32 v2, 31, v2
	v_xor_b32_e32 v12, vcc_hi, v2
	v_xor_b32_e32 v2, vcc_lo, v2
	; wave barrier
	ds_read_b32 v30, v26 offset:64
	v_and_b32_e32 v3, v3, v20
	v_and_b32_e32 v2, v15, v2
	;; [unrolled: 1-line block ×3, first 2 shown]
	v_mbcnt_lo_u32_b32 v12, v2, 0
	v_mbcnt_hi_u32_b32 v31, v3, v12
	v_cmp_eq_u32_e32 vcc, 0, v31
	v_cmp_ne_u64_e64 s[20:21], 0, v[2:3]
	s_and_b64 s[22:23], s[20:21], vcc
	; wave barrier
	s_and_saveexec_b64 s[20:21], s[22:23]
	s_cbranch_execz .LBB1838_25
; %bb.24:
	v_bcnt_u32_b32 v2, v2, 0
	v_bcnt_u32_b32 v2, v3, v2
	s_waitcnt lgkmcnt(0)
	v_add_u32_e32 v2, v30, v2
	ds_write_b32 v26, v2 offset:64
.LBB1838_25:
	s_or_b64 exec, exec, s[20:21]
	v_bfrev_b32_e32 v21, 1
	v_cmp_lt_i32_e32 vcc, -1, v4
	v_cndmask_b32_e32 v2, -1, v21, vcc
	v_xor_b32_e32 v15, v2, v4
	s_brev_b32 s22, -2
	v_cmp_ne_u32_e32 vcc, s22, v15
	v_cndmask_b32_e32 v2, v21, v15, vcc
	v_lshrrev_b32_e32 v2, s48, v2
	v_and_b32_e32 v4, s53, v2
	v_and_b32_e32 v3, 1, v4
	v_add_co_u32_e32 v12, vcc, -1, v3
	v_addc_co_u32_e64 v13, s[20:21], 0, -1, vcc
	v_cmp_ne_u32_e32 vcc, 0, v3
	v_lshl_add_u32 v2, v4, 4, v4
	v_xor_b32_e32 v3, vcc_hi, v13
	v_add_lshl_u32 v28, v2, v42, 2
	v_mov_b32_e32 v2, 0
	v_and_b32_e32 v13, exec_hi, v3
	v_lshlrev_b32_e32 v3, 30, v4
	v_xor_b32_e32 v12, vcc_lo, v12
	v_cmp_gt_i64_e32 vcc, 0, v[2:3]
	v_not_b32_e32 v3, v3
	v_ashrrev_i32_e32 v3, 31, v3
	v_and_b32_e32 v12, exec_lo, v12
	v_xor_b32_e32 v20, vcc_hi, v3
	v_xor_b32_e32 v3, vcc_lo, v3
	v_and_b32_e32 v12, v12, v3
	v_lshlrev_b32_e32 v3, 29, v4
	v_cmp_gt_i64_e32 vcc, 0, v[2:3]
	v_not_b32_e32 v3, v3
	v_ashrrev_i32_e32 v3, 31, v3
	v_and_b32_e32 v13, v13, v20
	v_xor_b32_e32 v20, vcc_hi, v3
	v_xor_b32_e32 v3, vcc_lo, v3
	v_and_b32_e32 v12, v12, v3
	v_lshlrev_b32_e32 v3, 28, v4
	v_cmp_gt_i64_e32 vcc, 0, v[2:3]
	v_not_b32_e32 v3, v3
	v_ashrrev_i32_e32 v3, 31, v3
	v_and_b32_e32 v13, v13, v20
	;; [unrolled: 8-line block ×5, first 2 shown]
	v_xor_b32_e32 v20, vcc_hi, v3
	v_xor_b32_e32 v3, vcc_lo, v3
	v_and_b32_e32 v12, v12, v3
	v_lshlrev_b32_e32 v3, 24, v4
	v_cmp_gt_i64_e32 vcc, 0, v[2:3]
	v_not_b32_e32 v3, v3
	v_ashrrev_i32_e32 v3, 31, v3
	v_xor_b32_e32 v4, vcc_hi, v3
	v_xor_b32_e32 v3, vcc_lo, v3
	; wave barrier
	ds_read_b32 v32, v28 offset:64
	v_and_b32_e32 v13, v13, v20
	v_and_b32_e32 v12, v12, v3
	;; [unrolled: 1-line block ×3, first 2 shown]
	v_mbcnt_lo_u32_b32 v3, v12, 0
	v_mbcnt_hi_u32_b32 v33, v13, v3
	v_cmp_eq_u32_e32 vcc, 0, v33
	v_cmp_ne_u64_e64 s[20:21], 0, v[12:13]
	s_and_b64 s[24:25], s[20:21], vcc
	; wave barrier
	s_and_saveexec_b64 s[20:21], s[24:25]
	s_cbranch_execz .LBB1838_27
; %bb.26:
	v_bcnt_u32_b32 v3, v12, 0
	v_bcnt_u32_b32 v3, v13, v3
	s_waitcnt lgkmcnt(0)
	v_add_u32_e32 v3, v32, v3
	ds_write_b32 v28, v3 offset:64
.LBB1838_27:
	s_or_b64 exec, exec, s[20:21]
	v_cmp_lt_i32_e32 vcc, -1, v5
	v_cndmask_b32_e32 v3, -1, v21, vcc
	v_xor_b32_e32 v20, v3, v5
	v_cmp_ne_u32_e32 vcc, s22, v20
	v_cndmask_b32_e32 v3, v21, v20, vcc
	v_lshrrev_b32_e32 v3, s48, v3
	v_and_b32_e32 v4, s53, v3
	v_lshl_add_u32 v3, v4, 4, v4
	v_add_lshl_u32 v12, v3, v42, 2
	v_and_b32_e32 v3, 1, v4
	v_add_co_u32_e32 v5, vcc, -1, v3
	v_addc_co_u32_e64 v13, s[20:21], 0, -1, vcc
	v_cmp_ne_u32_e32 vcc, 0, v3
	v_xor_b32_e32 v3, vcc_hi, v13
	v_and_b32_e32 v13, exec_hi, v3
	v_lshlrev_b32_e32 v3, 30, v4
	v_xor_b32_e32 v5, vcc_lo, v5
	v_cmp_gt_i64_e32 vcc, 0, v[2:3]
	v_not_b32_e32 v3, v3
	v_ashrrev_i32_e32 v3, 31, v3
	v_and_b32_e32 v5, exec_lo, v5
	v_xor_b32_e32 v21, vcc_hi, v3
	v_xor_b32_e32 v3, vcc_lo, v3
	v_and_b32_e32 v5, v5, v3
	v_lshlrev_b32_e32 v3, 29, v4
	v_cmp_gt_i64_e32 vcc, 0, v[2:3]
	v_not_b32_e32 v3, v3
	v_ashrrev_i32_e32 v3, 31, v3
	v_and_b32_e32 v13, v13, v21
	v_xor_b32_e32 v21, vcc_hi, v3
	v_xor_b32_e32 v3, vcc_lo, v3
	v_and_b32_e32 v5, v5, v3
	v_lshlrev_b32_e32 v3, 28, v4
	v_cmp_gt_i64_e32 vcc, 0, v[2:3]
	v_not_b32_e32 v3, v3
	v_ashrrev_i32_e32 v3, 31, v3
	v_and_b32_e32 v13, v13, v21
	;; [unrolled: 8-line block ×5, first 2 shown]
	v_xor_b32_e32 v21, vcc_hi, v3
	v_xor_b32_e32 v3, vcc_lo, v3
	v_and_b32_e32 v5, v5, v3
	v_lshlrev_b32_e32 v3, 24, v4
	v_cmp_gt_i64_e32 vcc, 0, v[2:3]
	v_not_b32_e32 v2, v3
	v_ashrrev_i32_e32 v2, 31, v2
	v_xor_b32_e32 v3, vcc_hi, v2
	v_xor_b32_e32 v2, vcc_lo, v2
	; wave barrier
	ds_read_b32 v34, v12 offset:64
	v_and_b32_e32 v13, v13, v21
	v_and_b32_e32 v2, v5, v2
	;; [unrolled: 1-line block ×3, first 2 shown]
	v_mbcnt_lo_u32_b32 v4, v2, 0
	v_mbcnt_hi_u32_b32 v35, v3, v4
	v_cmp_eq_u32_e32 vcc, 0, v35
	v_cmp_ne_u64_e64 s[20:21], 0, v[2:3]
	s_and_b64 s[22:23], s[20:21], vcc
	; wave barrier
	s_and_saveexec_b64 s[20:21], s[22:23]
	s_cbranch_execz .LBB1838_29
; %bb.28:
	v_bcnt_u32_b32 v2, v2, 0
	v_bcnt_u32_b32 v2, v3, v2
	s_waitcnt lgkmcnt(0)
	v_add_u32_e32 v2, v34, v2
	ds_write_b32 v12, v2 offset:64
.LBB1838_29:
	s_or_b64 exec, exec, s[20:21]
	v_bfrev_b32_e32 v13, 1
	v_cmp_lt_i32_e32 vcc, -1, v6
	v_cndmask_b32_e32 v2, -1, v13, vcc
	v_xor_b32_e32 v21, v2, v6
	s_brev_b32 s22, -2
	v_cmp_ne_u32_e32 vcc, s22, v21
	v_cndmask_b32_e32 v2, v13, v21, vcc
	v_lshrrev_b32_e32 v2, s48, v2
	v_and_b32_e32 v4, s53, v2
	v_and_b32_e32 v3, 1, v4
	v_add_co_u32_e32 v5, vcc, -1, v3
	v_addc_co_u32_e64 v24, s[20:21], 0, -1, vcc
	v_cmp_ne_u32_e32 vcc, 0, v3
	v_lshl_add_u32 v2, v4, 4, v4
	v_xor_b32_e32 v3, vcc_hi, v24
	v_add_lshl_u32 v6, v2, v42, 2
	v_mov_b32_e32 v2, 0
	v_and_b32_e32 v24, exec_hi, v3
	v_lshlrev_b32_e32 v3, 30, v4
	v_xor_b32_e32 v5, vcc_lo, v5
	v_cmp_gt_i64_e32 vcc, 0, v[2:3]
	v_not_b32_e32 v3, v3
	v_ashrrev_i32_e32 v3, 31, v3
	v_and_b32_e32 v5, exec_lo, v5
	v_xor_b32_e32 v27, vcc_hi, v3
	v_xor_b32_e32 v3, vcc_lo, v3
	v_and_b32_e32 v5, v5, v3
	v_lshlrev_b32_e32 v3, 29, v4
	v_cmp_gt_i64_e32 vcc, 0, v[2:3]
	v_not_b32_e32 v3, v3
	v_ashrrev_i32_e32 v3, 31, v3
	v_and_b32_e32 v24, v24, v27
	v_xor_b32_e32 v27, vcc_hi, v3
	v_xor_b32_e32 v3, vcc_lo, v3
	v_and_b32_e32 v5, v5, v3
	v_lshlrev_b32_e32 v3, 28, v4
	v_cmp_gt_i64_e32 vcc, 0, v[2:3]
	v_not_b32_e32 v3, v3
	v_ashrrev_i32_e32 v3, 31, v3
	v_and_b32_e32 v24, v24, v27
	;; [unrolled: 8-line block ×5, first 2 shown]
	v_xor_b32_e32 v27, vcc_hi, v3
	v_xor_b32_e32 v3, vcc_lo, v3
	v_and_b32_e32 v24, v24, v27
	v_and_b32_e32 v27, v5, v3
	v_lshlrev_b32_e32 v3, 24, v4
	v_cmp_gt_i64_e32 vcc, 0, v[2:3]
	v_not_b32_e32 v3, v3
	v_ashrrev_i32_e32 v3, 31, v3
	v_xor_b32_e32 v4, vcc_hi, v3
	v_xor_b32_e32 v3, vcc_lo, v3
	; wave barrier
	ds_read_b32 v36, v6 offset:64
	v_and_b32_e32 v5, v24, v4
	v_and_b32_e32 v4, v27, v3
	v_mbcnt_lo_u32_b32 v3, v4, 0
	v_mbcnt_hi_u32_b32 v37, v5, v3
	v_cmp_eq_u32_e32 vcc, 0, v37
	v_cmp_ne_u64_e64 s[20:21], 0, v[4:5]
	s_and_b64 s[24:25], s[20:21], vcc
	; wave barrier
	s_and_saveexec_b64 s[20:21], s[24:25]
	s_cbranch_execz .LBB1838_31
; %bb.30:
	v_bcnt_u32_b32 v3, v4, 0
	v_bcnt_u32_b32 v3, v5, v3
	s_waitcnt lgkmcnt(0)
	v_add_u32_e32 v3, v36, v3
	ds_write_b32 v6, v3 offset:64
.LBB1838_31:
	s_or_b64 exec, exec, s[20:21]
	v_cmp_lt_i32_e32 vcc, -1, v7
	v_cndmask_b32_e32 v3, -1, v13, vcc
	v_xor_b32_e32 v24, v3, v7
	v_cmp_ne_u32_e32 vcc, s22, v24
	v_cndmask_b32_e32 v3, v13, v24, vcc
	v_lshrrev_b32_e32 v3, s48, v3
	v_and_b32_e32 v4, s53, v3
	v_lshl_add_u32 v3, v4, 4, v4
	v_add_lshl_u32 v7, v3, v42, 2
	v_and_b32_e32 v3, 1, v4
	v_add_co_u32_e32 v5, vcc, -1, v3
	v_addc_co_u32_e64 v13, s[20:21], 0, -1, vcc
	v_cmp_ne_u32_e32 vcc, 0, v3
	v_xor_b32_e32 v3, vcc_hi, v13
	v_and_b32_e32 v13, exec_hi, v3
	v_lshlrev_b32_e32 v3, 30, v4
	v_xor_b32_e32 v5, vcc_lo, v5
	v_cmp_gt_i64_e32 vcc, 0, v[2:3]
	v_not_b32_e32 v3, v3
	v_ashrrev_i32_e32 v3, 31, v3
	v_and_b32_e32 v5, exec_lo, v5
	v_xor_b32_e32 v27, vcc_hi, v3
	v_xor_b32_e32 v3, vcc_lo, v3
	v_and_b32_e32 v5, v5, v3
	v_lshlrev_b32_e32 v3, 29, v4
	v_cmp_gt_i64_e32 vcc, 0, v[2:3]
	v_not_b32_e32 v3, v3
	v_ashrrev_i32_e32 v3, 31, v3
	v_and_b32_e32 v13, v13, v27
	v_xor_b32_e32 v27, vcc_hi, v3
	v_xor_b32_e32 v3, vcc_lo, v3
	v_and_b32_e32 v5, v5, v3
	v_lshlrev_b32_e32 v3, 28, v4
	v_cmp_gt_i64_e32 vcc, 0, v[2:3]
	v_not_b32_e32 v3, v3
	v_ashrrev_i32_e32 v3, 31, v3
	v_and_b32_e32 v13, v13, v27
	v_xor_b32_e32 v27, vcc_hi, v3
	v_xor_b32_e32 v3, vcc_lo, v3
	v_and_b32_e32 v5, v5, v3
	v_lshlrev_b32_e32 v3, 27, v4
	v_cmp_gt_i64_e32 vcc, 0, v[2:3]
	v_not_b32_e32 v3, v3
	v_ashrrev_i32_e32 v3, 31, v3
	v_and_b32_e32 v13, v13, v27
	v_xor_b32_e32 v27, vcc_hi, v3
	v_xor_b32_e32 v3, vcc_lo, v3
	v_and_b32_e32 v5, v5, v3
	v_lshlrev_b32_e32 v3, 26, v4
	v_cmp_gt_i64_e32 vcc, 0, v[2:3]
	v_not_b32_e32 v3, v3
	v_ashrrev_i32_e32 v3, 31, v3
	v_and_b32_e32 v13, v13, v27
	v_xor_b32_e32 v27, vcc_hi, v3
	v_xor_b32_e32 v3, vcc_lo, v3
	v_and_b32_e32 v5, v5, v3
	v_lshlrev_b32_e32 v3, 25, v4
	v_cmp_gt_i64_e32 vcc, 0, v[2:3]
	v_not_b32_e32 v3, v3
	v_ashrrev_i32_e32 v3, 31, v3
	v_and_b32_e32 v13, v13, v27
	v_xor_b32_e32 v27, vcc_hi, v3
	v_xor_b32_e32 v3, vcc_lo, v3
	v_and_b32_e32 v5, v5, v3
	v_lshlrev_b32_e32 v3, 24, v4
	v_cmp_gt_i64_e32 vcc, 0, v[2:3]
	v_not_b32_e32 v2, v3
	v_ashrrev_i32_e32 v2, 31, v2
	v_xor_b32_e32 v3, vcc_hi, v2
	v_xor_b32_e32 v2, vcc_lo, v2
	; wave barrier
	ds_read_b32 v38, v7 offset:64
	v_and_b32_e32 v13, v13, v27
	v_and_b32_e32 v2, v5, v2
	;; [unrolled: 1-line block ×3, first 2 shown]
	v_mbcnt_lo_u32_b32 v4, v2, 0
	v_mbcnt_hi_u32_b32 v39, v3, v4
	v_cmp_eq_u32_e32 vcc, 0, v39
	v_cmp_ne_u64_e64 s[20:21], 0, v[2:3]
	s_and_b64 s[22:23], s[20:21], vcc
	; wave barrier
	s_and_saveexec_b64 s[20:21], s[22:23]
	s_cbranch_execz .LBB1838_33
; %bb.32:
	v_bcnt_u32_b32 v2, v2, 0
	v_bcnt_u32_b32 v2, v3, v2
	s_waitcnt lgkmcnt(0)
	v_add_u32_e32 v2, v38, v2
	ds_write_b32 v7, v2 offset:64
.LBB1838_33:
	s_or_b64 exec, exec, s[20:21]
	v_bfrev_b32_e32 v43, 1
	v_cmp_lt_i32_e32 vcc, -1, v8
	v_cndmask_b32_e32 v2, -1, v43, vcc
	v_xor_b32_e32 v27, v2, v8
	s_brev_b32 s22, -2
	v_cmp_ne_u32_e32 vcc, s22, v27
	v_cndmask_b32_e32 v2, v43, v27, vcc
	v_lshrrev_b32_e32 v2, s48, v2
	v_and_b32_e32 v4, s53, v2
	v_and_b32_e32 v3, 1, v4
	v_add_co_u32_e32 v5, vcc, -1, v3
	v_addc_co_u32_e64 v13, s[20:21], 0, -1, vcc
	v_cmp_ne_u32_e32 vcc, 0, v3
	v_lshl_add_u32 v2, v4, 4, v4
	v_xor_b32_e32 v3, vcc_hi, v13
	v_add_lshl_u32 v8, v2, v42, 2
	v_mov_b32_e32 v2, 0
	v_and_b32_e32 v13, exec_hi, v3
	v_lshlrev_b32_e32 v3, 30, v4
	v_xor_b32_e32 v5, vcc_lo, v5
	v_cmp_gt_i64_e32 vcc, 0, v[2:3]
	v_not_b32_e32 v3, v3
	v_ashrrev_i32_e32 v3, 31, v3
	v_and_b32_e32 v5, exec_lo, v5
	v_xor_b32_e32 v29, vcc_hi, v3
	v_xor_b32_e32 v3, vcc_lo, v3
	v_and_b32_e32 v5, v5, v3
	v_lshlrev_b32_e32 v3, 29, v4
	v_cmp_gt_i64_e32 vcc, 0, v[2:3]
	v_not_b32_e32 v3, v3
	v_ashrrev_i32_e32 v3, 31, v3
	v_and_b32_e32 v13, v13, v29
	v_xor_b32_e32 v29, vcc_hi, v3
	v_xor_b32_e32 v3, vcc_lo, v3
	v_and_b32_e32 v5, v5, v3
	v_lshlrev_b32_e32 v3, 28, v4
	v_cmp_gt_i64_e32 vcc, 0, v[2:3]
	v_not_b32_e32 v3, v3
	v_ashrrev_i32_e32 v3, 31, v3
	v_and_b32_e32 v13, v13, v29
	;; [unrolled: 8-line block ×5, first 2 shown]
	v_xor_b32_e32 v29, vcc_hi, v3
	v_xor_b32_e32 v3, vcc_lo, v3
	v_and_b32_e32 v13, v13, v29
	v_and_b32_e32 v29, v5, v3
	v_lshlrev_b32_e32 v3, 24, v4
	v_cmp_gt_i64_e32 vcc, 0, v[2:3]
	v_not_b32_e32 v3, v3
	v_ashrrev_i32_e32 v3, 31, v3
	v_xor_b32_e32 v4, vcc_hi, v3
	v_xor_b32_e32 v3, vcc_lo, v3
	; wave barrier
	ds_read_b32 v40, v8 offset:64
	v_and_b32_e32 v5, v13, v4
	v_and_b32_e32 v4, v29, v3
	v_mbcnt_lo_u32_b32 v3, v4, 0
	v_mbcnt_hi_u32_b32 v41, v5, v3
	v_cmp_eq_u32_e32 vcc, 0, v41
	v_cmp_ne_u64_e64 s[20:21], 0, v[4:5]
	s_and_b64 s[24:25], s[20:21], vcc
	; wave barrier
	s_and_saveexec_b64 s[20:21], s[24:25]
	s_cbranch_execz .LBB1838_35
; %bb.34:
	v_bcnt_u32_b32 v3, v4, 0
	v_bcnt_u32_b32 v3, v5, v3
	s_waitcnt lgkmcnt(0)
	v_add_u32_e32 v3, v40, v3
	ds_write_b32 v8, v3 offset:64
.LBB1838_35:
	s_or_b64 exec, exec, s[20:21]
	v_cmp_lt_i32_e32 vcc, -1, v9
	v_cndmask_b32_e32 v3, -1, v43, vcc
	v_xor_b32_e32 v29, v3, v9
	v_cmp_ne_u32_e32 vcc, s22, v29
	v_cndmask_b32_e32 v3, v43, v29, vcc
	v_lshrrev_b32_e32 v3, s48, v3
	v_and_b32_e32 v4, s53, v3
	v_lshl_add_u32 v3, v4, 4, v4
	v_add_lshl_u32 v9, v3, v42, 2
	v_and_b32_e32 v3, 1, v4
	v_add_co_u32_e32 v5, vcc, -1, v3
	v_addc_co_u32_e64 v43, s[20:21], 0, -1, vcc
	v_cmp_ne_u32_e32 vcc, 0, v3
	v_xor_b32_e32 v3, vcc_hi, v43
	v_and_b32_e32 v43, exec_hi, v3
	v_lshlrev_b32_e32 v3, 30, v4
	v_xor_b32_e32 v5, vcc_lo, v5
	v_cmp_gt_i64_e32 vcc, 0, v[2:3]
	v_not_b32_e32 v3, v3
	v_ashrrev_i32_e32 v3, 31, v3
	v_and_b32_e32 v5, exec_lo, v5
	v_xor_b32_e32 v44, vcc_hi, v3
	v_xor_b32_e32 v3, vcc_lo, v3
	v_and_b32_e32 v5, v5, v3
	v_lshlrev_b32_e32 v3, 29, v4
	v_cmp_gt_i64_e32 vcc, 0, v[2:3]
	v_not_b32_e32 v3, v3
	v_ashrrev_i32_e32 v3, 31, v3
	v_and_b32_e32 v43, v43, v44
	v_xor_b32_e32 v44, vcc_hi, v3
	v_xor_b32_e32 v3, vcc_lo, v3
	v_and_b32_e32 v5, v5, v3
	v_lshlrev_b32_e32 v3, 28, v4
	v_cmp_gt_i64_e32 vcc, 0, v[2:3]
	v_not_b32_e32 v3, v3
	v_ashrrev_i32_e32 v3, 31, v3
	v_and_b32_e32 v43, v43, v44
	;; [unrolled: 8-line block ×5, first 2 shown]
	v_xor_b32_e32 v44, vcc_hi, v3
	v_xor_b32_e32 v3, vcc_lo, v3
	v_and_b32_e32 v5, v5, v3
	v_lshlrev_b32_e32 v3, 24, v4
	v_cmp_gt_i64_e32 vcc, 0, v[2:3]
	v_not_b32_e32 v2, v3
	v_ashrrev_i32_e32 v2, 31, v2
	v_xor_b32_e32 v3, vcc_hi, v2
	v_xor_b32_e32 v2, vcc_lo, v2
	; wave barrier
	ds_read_b32 v42, v9 offset:64
	v_and_b32_e32 v43, v43, v44
	v_and_b32_e32 v2, v5, v2
	;; [unrolled: 1-line block ×3, first 2 shown]
	v_mbcnt_lo_u32_b32 v4, v2, 0
	v_mbcnt_hi_u32_b32 v45, v3, v4
	v_cmp_eq_u32_e32 vcc, 0, v45
	v_cmp_ne_u64_e64 s[20:21], 0, v[2:3]
	v_add_u32_e32 v13, 64, v23
	s_and_b64 s[22:23], s[20:21], vcc
	; wave barrier
	s_and_saveexec_b64 s[20:21], s[22:23]
	s_cbranch_execz .LBB1838_37
; %bb.36:
	v_bcnt_u32_b32 v2, v2, 0
	v_bcnt_u32_b32 v2, v3, v2
	s_waitcnt lgkmcnt(0)
	v_add_u32_e32 v2, v42, v2
	ds_write_b32 v9, v2 offset:64
.LBB1838_37:
	s_or_b64 exec, exec, s[20:21]
	; wave barrier
	s_waitcnt lgkmcnt(0)
	s_barrier
	ds_read2_b32 v[4:5], v23 offset0:16 offset1:17
	ds_read2_b32 v[2:3], v13 offset0:2 offset1:3
	ds_read_b32 v43, v13 offset:16
	v_cmp_lt_u32_e64 s[28:29], 31, v19
	s_waitcnt lgkmcnt(1)
	v_add3_u32 v44, v5, v4, v2
	s_waitcnt lgkmcnt(0)
	v_add3_u32 v43, v44, v3, v43
	v_and_b32_e32 v44, 15, v19
	v_cmp_eq_u32_e32 vcc, 0, v44
	v_mov_b32_dpp v46, v43 row_shr:1 row_mask:0xf bank_mask:0xf
	v_cndmask_b32_e64 v46, v46, 0, vcc
	v_add_u32_e32 v43, v46, v43
	v_cmp_lt_u32_e64 s[20:21], 1, v44
	v_cmp_lt_u32_e64 s[22:23], 3, v44
	v_mov_b32_dpp v46, v43 row_shr:2 row_mask:0xf bank_mask:0xf
	v_cndmask_b32_e64 v46, 0, v46, s[20:21]
	v_add_u32_e32 v43, v43, v46
	v_cmp_lt_u32_e64 s[24:25], 7, v44
	s_nop 0
	v_mov_b32_dpp v46, v43 row_shr:4 row_mask:0xf bank_mask:0xf
	v_cndmask_b32_e64 v46, 0, v46, s[22:23]
	v_add_u32_e32 v43, v43, v46
	s_nop 1
	v_mov_b32_dpp v46, v43 row_shr:8 row_mask:0xf bank_mask:0xf
	v_cndmask_b32_e64 v44, 0, v46, s[24:25]
	v_add_u32_e32 v43, v43, v44
	v_bfe_i32 v46, v19, 4, 1
	s_nop 0
	v_mov_b32_dpp v44, v43 row_bcast:15 row_mask:0xf bank_mask:0xf
	v_and_b32_e32 v44, v46, v44
	v_add_u32_e32 v43, v43, v44
	v_and_b32_e32 v46, 63, v10
	s_nop 0
	v_mov_b32_dpp v44, v43 row_bcast:31 row_mask:0xf bank_mask:0xf
	v_cndmask_b32_e64 v44, 0, v44, s[28:29]
	v_add_u32_e32 v43, v43, v44
	v_lshrrev_b32_e32 v44, 6, v10
	v_cmp_eq_u32_e64 s[28:29], 63, v46
	s_and_saveexec_b64 s[50:51], s[28:29]
	s_cbranch_execz .LBB1838_39
; %bb.38:
	v_lshlrev_b32_e32 v46, 2, v44
	ds_write_b32 v46, v43
.LBB1838_39:
	s_or_b64 exec, exec, s[50:51]
	v_cmp_gt_u32_e64 s[28:29], 16, v10
	s_waitcnt lgkmcnt(0)
	s_barrier
	s_and_saveexec_b64 s[50:51], s[28:29]
	s_cbranch_execz .LBB1838_41
; %bb.40:
	v_lshlrev_b32_e32 v46, 2, v10
	ds_read_b32 v47, v46
	s_waitcnt lgkmcnt(0)
	s_nop 0
	v_mov_b32_dpp v48, v47 row_shr:1 row_mask:0xf bank_mask:0xf
	v_cndmask_b32_e64 v48, v48, 0, vcc
	v_add_u32_e32 v47, v48, v47
	s_nop 1
	v_mov_b32_dpp v48, v47 row_shr:2 row_mask:0xf bank_mask:0xf
	v_cndmask_b32_e64 v48, 0, v48, s[20:21]
	v_add_u32_e32 v47, v47, v48
	s_nop 1
	v_mov_b32_dpp v48, v47 row_shr:4 row_mask:0xf bank_mask:0xf
	v_cndmask_b32_e64 v48, 0, v48, s[22:23]
	v_add_u32_e32 v47, v47, v48
	s_nop 1
	v_mov_b32_dpp v48, v47 row_shr:8 row_mask:0xf bank_mask:0xf
	v_cndmask_b32_e64 v48, 0, v48, s[24:25]
	v_add_u32_e32 v47, v47, v48
	ds_write_b32 v46, v47
.LBB1838_41:
	s_or_b64 exec, exec, s[50:51]
	v_cmp_lt_u32_e32 vcc, 63, v10
	v_mov_b32_e32 v46, 0
	s_waitcnt lgkmcnt(0)
	s_barrier
	s_and_saveexec_b64 s[20:21], vcc
	s_cbranch_execz .LBB1838_43
; %bb.42:
	v_lshl_add_u32 v44, v44, 2, -4
	ds_read_b32 v46, v44
.LBB1838_43:
	s_or_b64 exec, exec, s[20:21]
	v_add_u32_e32 v44, -1, v19
	v_and_b32_e32 v47, 64, v19
	v_cmp_lt_i32_e32 vcc, v44, v47
	v_cndmask_b32_e32 v44, v44, v19, vcc
	s_waitcnt lgkmcnt(0)
	v_add_u32_e32 v43, v46, v43
	v_lshlrev_b32_e32 v44, 2, v44
	ds_bpermute_b32 v43, v44, v43
	v_cmp_eq_u32_e32 vcc, 0, v19
	s_movk_i32 s20, 0x100
	v_cmp_gt_u32_e64 s[20:21], s20, v10
                                        ; implicit-def: $vgpr44
	s_waitcnt lgkmcnt(0)
	v_cndmask_b32_e32 v19, v43, v46, vcc
	v_cndmask_b32_e64 v19, v19, 0, s[0:1]
	v_add_u32_e32 v4, v19, v4
	v_add_u32_e32 v5, v4, v5
	;; [unrolled: 1-line block ×4, first 2 shown]
	ds_write2_b32 v23, v19, v4 offset0:16 offset1:17
	ds_write2_b32 v13, v5, v2 offset0:2 offset1:3
	ds_write_b32 v13, v3 offset:16
	s_waitcnt lgkmcnt(0)
	s_barrier
	ds_read_b32 v13, v25 offset:64
	ds_read_b32 v46, v26 offset:64
	;; [unrolled: 1-line block ×8, first 2 shown]
                                        ; implicit-def: $vgpr43
	s_and_saveexec_b64 s[22:23], s[20:21]
	s_cbranch_execz .LBB1838_47
; %bb.44:
	v_mul_u32_u24_e32 v2, 17, v10
	v_lshlrev_b32_e32 v3, 2, v2
	ds_read_b32 v43, v3 offset:64
	s_movk_i32 s24, 0xff
	v_cmp_ne_u32_e32 vcc, s24, v10
	v_mov_b32_e32 v2, 0x2000
	s_and_saveexec_b64 s[24:25], vcc
	s_cbranch_execz .LBB1838_46
; %bb.45:
	ds_read_b32 v2, v3 offset:132
.LBB1838_46:
	s_or_b64 exec, exec, s[24:25]
	s_waitcnt lgkmcnt(0)
	v_sub_u32_e32 v44, v2, v43
.LBB1838_47:
	s_or_b64 exec, exec, s[22:23]
	s_waitcnt lgkmcnt(0)
	s_barrier
	s_and_saveexec_b64 s[22:23], s[20:21]
	s_cbranch_execz .LBB1838_57
; %bb.48:
	v_lshl_or_b32 v2, s33, 8, v10
	v_mov_b32_e32 v3, 0
	v_lshlrev_b64 v[4:5], 2, v[2:3]
	v_mov_b32_e32 v8, s31
	v_add_co_u32_e32 v4, vcc, s30, v4
	v_addc_co_u32_e32 v5, vcc, v8, v5, vcc
	v_or_b32_e32 v2, 2.0, v44
	s_mov_b64 s[24:25], 0
	s_brev_b32 s54, 1
	s_mov_b32 s55, s33
	v_mov_b32_e32 v9, 0
	global_store_dword v[4:5], v2, off
                                        ; implicit-def: $sgpr28_sgpr29
	s_branch .LBB1838_50
.LBB1838_49:                            ;   in Loop: Header=BB1838_50 Depth=1
	s_or_b64 exec, exec, s[28:29]
	v_and_b32_e32 v6, 0x3fffffff, v12
	v_add_u32_e32 v9, v6, v9
	v_cmp_eq_u32_e64 s[28:29], s54, v2
	s_and_b64 s[50:51], exec, s[28:29]
	s_or_b64 s[24:25], s[50:51], s[24:25]
	s_andn2_b64 exec, exec, s[24:25]
	s_cbranch_execz .LBB1838_56
.LBB1838_50:                            ; =>This Loop Header: Depth=1
                                        ;     Child Loop BB1838_53 Depth 2
	s_or_b64 s[28:29], s[28:29], exec
	s_cmp_eq_u32 s55, 0
	s_cbranch_scc1 .LBB1838_55
; %bb.51:                               ;   in Loop: Header=BB1838_50 Depth=1
	s_add_i32 s55, s55, -1
	v_lshl_or_b32 v2, s55, 8, v10
	v_lshlrev_b64 v[6:7], 2, v[2:3]
	v_add_co_u32_e32 v6, vcc, s30, v6
	v_addc_co_u32_e32 v7, vcc, v8, v7, vcc
	global_load_dword v12, v[6:7], off glc
	s_waitcnt vmcnt(0)
	v_and_b32_e32 v2, -2.0, v12
	v_cmp_eq_u32_e32 vcc, 0, v2
	s_and_saveexec_b64 s[28:29], vcc
	s_cbranch_execz .LBB1838_49
; %bb.52:                               ;   in Loop: Header=BB1838_50 Depth=1
	s_mov_b64 s[50:51], 0
.LBB1838_53:                            ;   Parent Loop BB1838_50 Depth=1
                                        ; =>  This Inner Loop Header: Depth=2
	global_load_dword v12, v[6:7], off glc
	s_waitcnt vmcnt(0)
	v_and_b32_e32 v2, -2.0, v12
	v_cmp_ne_u32_e32 vcc, 0, v2
	s_or_b64 s[50:51], vcc, s[50:51]
	s_andn2_b64 exec, exec, s[50:51]
	s_cbranch_execnz .LBB1838_53
; %bb.54:                               ;   in Loop: Header=BB1838_50 Depth=1
	s_or_b64 exec, exec, s[50:51]
	s_branch .LBB1838_49
.LBB1838_55:                            ;   in Loop: Header=BB1838_50 Depth=1
                                        ; implicit-def: $sgpr55
	s_and_b64 s[50:51], exec, s[28:29]
	s_or_b64 s[24:25], s[50:51], s[24:25]
	s_andn2_b64 exec, exec, s[24:25]
	s_cbranch_execnz .LBB1838_50
.LBB1838_56:
	s_or_b64 exec, exec, s[24:25]
	v_add_u32_e32 v2, v9, v44
	v_or_b32_e32 v2, 0x80000000, v2
	global_store_dword v[4:5], v2, off
	v_lshlrev_b32_e32 v2, 2, v10
	global_load_dword v3, v2, s[44:45]
	v_sub_u32_e32 v4, v9, v43
	s_waitcnt vmcnt(0)
	v_add_u32_e32 v3, v4, v3
	ds_write_b32 v2, v3
.LBB1838_57:
	s_or_b64 exec, exec, s[22:23]
	v_add_u32_e32 v53, v13, v22
	v_lshlrev_b32_e32 v55, 2, v10
	v_add3_u32 v19, v31, v30, v46
	v_add3_u32 v22, v33, v32, v47
	;; [unrolled: 1-line block ×7, first 2 shown]
	s_movk_i32 s28, 0x400
	v_add_u32_e32 v56, 0x400, v55
	s_mov_b32 s54, 0
	s_mov_b64 s[22:23], -1
	s_brev_b32 s29, -2
	v_mov_b32_e32 v13, 0
	s_movk_i32 s50, 0x800
	s_movk_i32 s51, 0xc00
	v_bfrev_b32_e32 v57, 1
	v_mov_b32_e32 v58, v53
	v_mov_b32_e32 v59, v10
                                        ; implicit-def: $vgpr2_vgpr3_vgpr4_vgpr5_vgpr6_vgpr7_vgpr8_vgpr9
	s_branch .LBB1838_59
.LBB1838_58:                            ;   in Loop: Header=BB1838_59 Depth=1
	s_or_b64 exec, exec, s[24:25]
	s_xor_b64 s[24:25], s[22:23], -1
	v_add_u32_e32 v59, 0x1000, v59
	v_add_u32_e32 v54, 0xfffff000, v54
	v_add_u32_e32 v28, 0xfffff000, v28
	v_add_u32_e32 v26, 0xfffff000, v26
	v_add_u32_e32 v25, 0xfffff000, v25
	v_add_u32_e32 v23, 0xfffff000, v23
	v_add_u32_e32 v22, 0xfffff000, v22
	v_add_u32_e32 v19, 0xfffff000, v19
	v_add_u32_e32 v58, 0xfffff000, v58
	s_mov_b32 s54, 4
	s_mov_b64 s[22:23], 0
	s_and_b64 vcc, exec, s[24:25]
	s_barrier
	s_cbranch_vccnz .LBB1838_68
.LBB1838_59:                            ; =>This Inner Loop Header: Depth=1
	v_min_u32_e32 v12, 0x1000, v58
	v_lshlrev_b32_e32 v12, 2, v12
	ds_write_b32 v12, v18 offset:1024
	v_min_u32_e32 v12, 0x1000, v19
	v_lshlrev_b32_e32 v12, 2, v12
	ds_write_b32 v12, v14 offset:1024
	v_min_u32_e32 v12, 0x1000, v22
	v_lshlrev_b32_e32 v12, 2, v12
	ds_write_b32 v12, v15 offset:1024
	v_min_u32_e32 v12, 0x1000, v23
	v_lshlrev_b32_e32 v12, 2, v12
	ds_write_b32 v12, v20 offset:1024
	v_min_u32_e32 v12, 0x1000, v25
	v_lshlrev_b32_e32 v12, 2, v12
	ds_write_b32 v12, v21 offset:1024
	v_min_u32_e32 v12, 0x1000, v26
	v_lshlrev_b32_e32 v12, 2, v12
	ds_write_b32 v12, v24 offset:1024
	v_min_u32_e32 v12, 0x1000, v28
	v_lshlrev_b32_e32 v12, 2, v12
	ds_write_b32 v12, v27 offset:1024
	v_min_u32_e32 v12, 0x1000, v54
	v_lshlrev_b32_e32 v12, 2, v12
	v_cmp_gt_u32_e32 vcc, s7, v59
	ds_write_b32 v12, v29 offset:1024
	s_waitcnt lgkmcnt(0)
	s_barrier
	s_and_saveexec_b64 s[24:25], vcc
	s_cbranch_execz .LBB1838_61
; %bb.60:                               ;   in Loop: Header=BB1838_59 Depth=1
	ds_read_b32 v12, v55 offset:1024
	v_mov_b32_e32 v63, s39
	s_cmp_eq_u32 s54, 7
	s_waitcnt lgkmcnt(0)
	v_cmp_ne_u32_e32 vcc, s29, v12
	v_cndmask_b32_e32 v60, v57, v12, vcc
	v_lshrrev_b32_e32 v60, s48, v60
	v_and_b32_e32 v62, s53, v60
	v_lshlrev_b32_e32 v60, 2, v62
	ds_read_b32 v60, v60
	v_cmp_lt_i32_e32 vcc, -1, v12
	v_cndmask_b32_e64 v61, v57, -1, vcc
	v_xor_b32_e32 v64, v61, v12
	s_waitcnt lgkmcnt(0)
	v_add_u32_e32 v12, v59, v60
	v_lshlrev_b64 v[60:61], 2, v[12:13]
	v_add_co_u32_e32 v60, vcc, s38, v60
	v_addc_co_u32_e32 v61, vcc, v63, v61, vcc
	s_cselect_b64 vcc, -1, 0
	s_cmp_eq_u32 s54, 6
	v_cndmask_b32_e32 v9, v9, v62, vcc
	s_cselect_b64 vcc, -1, 0
	s_cmp_eq_u32 s54, 5
	v_cndmask_b32_e32 v8, v8, v62, vcc
	;; [unrolled: 3-line block ×7, first 2 shown]
	s_cselect_b64 vcc, -1, 0
	v_cndmask_b32_e32 v2, v2, v62, vcc
	global_store_dword v[60:61], v64, off
.LBB1838_61:                            ;   in Loop: Header=BB1838_59 Depth=1
	s_or_b64 exec, exec, s[24:25]
	v_add_u32_e32 v12, 0x400, v59
	v_cmp_gt_u32_e32 vcc, s7, v12
	s_and_saveexec_b64 s[24:25], vcc
	s_cbranch_execz .LBB1838_63
; %bb.62:                               ;   in Loop: Header=BB1838_59 Depth=1
	ds_read_b32 v12, v56 offset:4096
	v_mov_b32_e32 v63, s39
	s_or_b32 s55, s54, 1
	s_cmp_eq_u32 s55, 7
	s_waitcnt lgkmcnt(0)
	v_cmp_ne_u32_e32 vcc, s29, v12
	v_cndmask_b32_e32 v60, v57, v12, vcc
	v_lshrrev_b32_e32 v60, s48, v60
	v_and_b32_e32 v62, s53, v60
	v_lshlrev_b32_e32 v60, 2, v62
	ds_read_b32 v60, v60
	v_cmp_lt_i32_e32 vcc, -1, v12
	v_cndmask_b32_e64 v61, v57, -1, vcc
	v_xor_b32_e32 v64, v61, v12
	s_waitcnt lgkmcnt(0)
	v_add3_u32 v12, v59, v60, s28
	v_lshlrev_b64 v[60:61], 2, v[12:13]
	v_add_co_u32_e32 v60, vcc, s38, v60
	v_addc_co_u32_e32 v61, vcc, v63, v61, vcc
	s_cselect_b64 vcc, -1, 0
	s_cmp_eq_u32 s55, 6
	v_cndmask_b32_e32 v9, v9, v62, vcc
	s_cselect_b64 vcc, -1, 0
	s_cmp_eq_u32 s55, 5
	v_cndmask_b32_e32 v8, v8, v62, vcc
	;; [unrolled: 3-line block ×7, first 2 shown]
	s_cselect_b64 vcc, -1, 0
	v_cndmask_b32_e32 v2, v2, v62, vcc
	global_store_dword v[60:61], v64, off
.LBB1838_63:                            ;   in Loop: Header=BB1838_59 Depth=1
	s_or_b64 exec, exec, s[24:25]
	v_add_u32_e32 v12, 0x800, v59
	v_cmp_gt_u32_e32 vcc, s7, v12
	s_and_saveexec_b64 s[24:25], vcc
	s_cbranch_execz .LBB1838_65
; %bb.64:                               ;   in Loop: Header=BB1838_59 Depth=1
	ds_read_b32 v12, v56 offset:8192
	v_mov_b32_e32 v63, s39
	s_or_b32 s55, s54, 2
	s_cmp_eq_u32 s55, 7
	s_waitcnt lgkmcnt(0)
	v_cmp_ne_u32_e32 vcc, s29, v12
	v_cndmask_b32_e32 v60, v57, v12, vcc
	v_lshrrev_b32_e32 v60, s48, v60
	v_and_b32_e32 v62, s53, v60
	v_lshlrev_b32_e32 v60, 2, v62
	ds_read_b32 v60, v60
	v_cmp_lt_i32_e32 vcc, -1, v12
	v_cndmask_b32_e64 v61, v57, -1, vcc
	v_xor_b32_e32 v64, v61, v12
	s_waitcnt lgkmcnt(0)
	v_add3_u32 v12, v59, v60, s50
	v_lshlrev_b64 v[60:61], 2, v[12:13]
	v_add_co_u32_e32 v60, vcc, s38, v60
	v_addc_co_u32_e32 v61, vcc, v63, v61, vcc
	s_cselect_b64 vcc, -1, 0
	s_cmp_eq_u32 s55, 6
	v_cndmask_b32_e32 v9, v9, v62, vcc
	s_cselect_b64 vcc, -1, 0
	s_cmp_eq_u32 s55, 5
	v_cndmask_b32_e32 v8, v8, v62, vcc
	;; [unrolled: 3-line block ×7, first 2 shown]
	s_cselect_b64 vcc, -1, 0
	v_cndmask_b32_e32 v2, v2, v62, vcc
	global_store_dword v[60:61], v64, off
.LBB1838_65:                            ;   in Loop: Header=BB1838_59 Depth=1
	s_or_b64 exec, exec, s[24:25]
	v_add_u32_e32 v12, 0xc00, v59
	v_cmp_gt_u32_e32 vcc, s7, v12
	s_and_saveexec_b64 s[24:25], vcc
	s_cbranch_execz .LBB1838_58
; %bb.66:                               ;   in Loop: Header=BB1838_59 Depth=1
	ds_read_b32 v12, v56 offset:12288
	v_mov_b32_e32 v63, s39
	s_or_b32 s54, s54, 3
	s_cmp_eq_u32 s54, 7
	s_waitcnt lgkmcnt(0)
	v_cmp_ne_u32_e32 vcc, s29, v12
	v_cndmask_b32_e32 v60, v57, v12, vcc
	v_lshrrev_b32_e32 v60, s48, v60
	v_and_b32_e32 v62, s53, v60
	v_lshlrev_b32_e32 v60, 2, v62
	ds_read_b32 v60, v60
	v_cmp_lt_i32_e32 vcc, -1, v12
	v_cndmask_b32_e64 v61, v57, -1, vcc
	v_xor_b32_e32 v64, v61, v12
	s_waitcnt lgkmcnt(0)
	v_add3_u32 v12, v59, v60, s51
	v_lshlrev_b64 v[60:61], 2, v[12:13]
	v_add_co_u32_e32 v60, vcc, s38, v60
	v_addc_co_u32_e32 v61, vcc, v63, v61, vcc
	s_cselect_b64 vcc, -1, 0
	s_cmp_eq_u32 s54, 6
	v_cndmask_b32_e32 v9, v9, v62, vcc
	s_cselect_b64 vcc, -1, 0
	s_cmp_eq_u32 s54, 5
	v_cndmask_b32_e32 v8, v8, v62, vcc
	;; [unrolled: 3-line block ×7, first 2 shown]
	s_cselect_b64 vcc, -1, 0
	v_cndmask_b32_e32 v2, v2, v62, vcc
	global_store_dword v[60:61], v64, off
	s_branch .LBB1838_58
.LBB1838_67:
	s_mov_b64 s[10:11], 0
                                        ; implicit-def: $vgpr2
	s_cbranch_execnz .LBB1838_86
	s_branch .LBB1838_129
.LBB1838_68:
	s_lshl_b64 s[22:23], s[34:35], 3
	s_add_u32 s22, s40, s22
	s_addc_u32 s23, s41, s23
	v_lshlrev_b32_e32 v12, 3, v17
	v_mov_b32_e32 v13, s23
	v_add_co_u32_e32 v12, vcc, s22, v12
	v_addc_co_u32_e32 v13, vcc, 0, v13, vcc
	v_lshlrev_b32_e32 v14, 3, v16
	v_add_co_u32_e32 v28, vcc, v12, v14
	v_addc_co_u32_e32 v29, vcc, 0, v13, vcc
                                        ; implicit-def: $vgpr12_vgpr13
	s_and_saveexec_b64 s[22:23], s[2:3]
	s_cbranch_execnz .LBB1838_132
; %bb.69:
	s_or_b64 exec, exec, s[22:23]
                                        ; implicit-def: $vgpr14_vgpr15
	s_and_saveexec_b64 s[2:3], s[26:27]
	s_cbranch_execnz .LBB1838_133
.LBB1838_70:
	s_or_b64 exec, exec, s[2:3]
                                        ; implicit-def: $vgpr16_vgpr17
	s_and_saveexec_b64 s[2:3], s[8:9]
	s_cbranch_execnz .LBB1838_134
.LBB1838_71:
	s_or_b64 exec, exec, s[2:3]
                                        ; implicit-def: $vgpr18_vgpr19
	s_and_saveexec_b64 s[2:3], s[10:11]
	s_cbranch_execnz .LBB1838_135
.LBB1838_72:
	s_or_b64 exec, exec, s[2:3]
                                        ; implicit-def: $vgpr20_vgpr21
	s_and_saveexec_b64 s[2:3], s[12:13]
	s_cbranch_execnz .LBB1838_136
.LBB1838_73:
	s_or_b64 exec, exec, s[2:3]
                                        ; implicit-def: $vgpr22_vgpr23
	s_and_saveexec_b64 s[2:3], s[14:15]
	s_cbranch_execnz .LBB1838_137
.LBB1838_74:
	s_or_b64 exec, exec, s[2:3]
                                        ; implicit-def: $vgpr24_vgpr25
	s_and_saveexec_b64 s[2:3], s[16:17]
	s_cbranch_execnz .LBB1838_138
.LBB1838_75:
	s_or_b64 exec, exec, s[2:3]
                                        ; implicit-def: $vgpr26_vgpr27
	s_and_saveexec_b64 s[2:3], s[18:19]
	s_cbranch_execz .LBB1838_77
.LBB1838_76:
	global_load_dwordx2 v[26:27], v[28:29], off offset:3584
.LBB1838_77:
	s_or_b64 exec, exec, s[2:3]
	s_movk_i32 s8, 0x400
	v_add_u32_e32 v54, 0x400, v11
	v_add3_u32 v42, v45, v52, v42
	v_add3_u32 v40, v41, v51, v40
	v_add3_u32 v38, v39, v50, v38
	v_add3_u32 v36, v37, v49, v36
	v_add3_u32 v34, v35, v48, v34
	v_add3_u32 v32, v33, v47, v32
	v_add3_u32 v30, v31, v46, v30
	s_mov_b32 s9, 0
	v_mov_b32_e32 v29, 0
	s_mov_b32 s10, 0
	v_mov_b32_e32 v31, v10
	s_waitcnt vmcnt(0)
	s_branch .LBB1838_79
.LBB1838_78:                            ;   in Loop: Header=BB1838_79 Depth=1
	s_or_b64 exec, exec, s[2:3]
	s_addk_i32 s10, 0xf800
	s_add_i32 s9, s9, 2
	s_cmpk_eq_i32 s10, 0xe000
	v_add_u32_e32 v31, 0x800, v31
	s_barrier
	s_cbranch_scc1 .LBB1838_83
.LBB1838_79:                            ; =>This Inner Loop Header: Depth=1
	v_add_u32_e32 v28, s10, v53
	v_min_u32_e32 v28, 0x800, v28
	v_lshlrev_b32_e32 v28, 3, v28
	ds_write_b64 v28, v[12:13] offset:1024
	v_add_u32_e32 v28, s10, v30
	v_min_u32_e32 v28, 0x800, v28
	v_lshlrev_b32_e32 v28, 3, v28
	ds_write_b64 v28, v[14:15] offset:1024
	;; [unrolled: 4-line block ×7, first 2 shown]
	v_add_u32_e32 v28, s10, v42
	v_min_u32_e32 v28, 0x800, v28
	v_lshlrev_b32_e32 v28, 3, v28
	v_cmp_gt_u32_e32 vcc, s7, v31
	ds_write_b64 v28, v[26:27] offset:1024
	s_waitcnt lgkmcnt(0)
	s_barrier
	s_and_saveexec_b64 s[2:3], vcc
	s_cbranch_execz .LBB1838_81
; %bb.80:                               ;   in Loop: Header=BB1838_79 Depth=1
	s_cmp_eq_u32 s9, 1
	s_cselect_b64 vcc, -1, 0
	s_cmp_eq_u32 s9, 2
	v_cndmask_b32_e32 v28, v2, v3, vcc
	s_cselect_b64 vcc, -1, 0
	s_cmp_eq_u32 s9, 3
	v_cndmask_b32_e32 v28, v28, v4, vcc
	;; [unrolled: 3-line block ×6, first 2 shown]
	s_cselect_b64 vcc, -1, 0
	v_cndmask_b32_e32 v28, v28, v9, vcc
	v_lshlrev_b32_e32 v28, 2, v28
	ds_read_b32 v28, v28
	ds_read_b64 v[46:47], v11 offset:1024
	s_waitcnt lgkmcnt(1)
	v_add_u32_e32 v28, v31, v28
	v_lshlrev_b64 v[48:49], 3, v[28:29]
	v_mov_b32_e32 v28, s43
	v_add_co_u32_e32 v48, vcc, s42, v48
	v_addc_co_u32_e32 v49, vcc, v28, v49, vcc
	s_waitcnt lgkmcnt(0)
	global_store_dwordx2 v[48:49], v[46:47], off
.LBB1838_81:                            ;   in Loop: Header=BB1838_79 Depth=1
	s_or_b64 exec, exec, s[2:3]
	v_add_u32_e32 v28, 0x400, v31
	v_cmp_gt_u32_e32 vcc, s7, v28
	s_and_saveexec_b64 s[2:3], vcc
	s_cbranch_execz .LBB1838_78
; %bb.82:                               ;   in Loop: Header=BB1838_79 Depth=1
	s_add_i32 s11, s9, 1
	s_cmp_eq_u32 s11, 1
	s_cselect_b64 vcc, -1, 0
	s_cmp_eq_u32 s11, 2
	v_cndmask_b32_e32 v28, v2, v3, vcc
	s_cselect_b64 vcc, -1, 0
	s_cmp_eq_u32 s11, 3
	v_cndmask_b32_e32 v28, v28, v4, vcc
	;; [unrolled: 3-line block ×6, first 2 shown]
	s_cselect_b64 vcc, -1, 0
	v_cndmask_b32_e32 v28, v28, v9, vcc
	v_lshlrev_b32_e32 v28, 2, v28
	ds_read_b32 v28, v28
	ds_read_b64 v[46:47], v54 offset:8192
	s_waitcnt lgkmcnt(1)
	v_add3_u32 v28, v31, v28, s8
	v_lshlrev_b64 v[48:49], 3, v[28:29]
	v_mov_b32_e32 v28, s43
	v_add_co_u32_e32 v48, vcc, s42, v48
	v_addc_co_u32_e32 v49, vcc, v28, v49, vcc
	s_waitcnt lgkmcnt(0)
	global_store_dwordx2 v[48:49], v[46:47], off
	s_branch .LBB1838_78
.LBB1838_83:
	s_add_i32 s52, s52, -1
	s_cmp_eq_u32 s52, s33
	s_cselect_b64 s[2:3], -1, 0
	s_and_b64 s[8:9], s[20:21], s[2:3]
	s_mov_b64 s[2:3], 0
	s_mov_b64 s[10:11], 0
                                        ; implicit-def: $vgpr2
	s_and_saveexec_b64 s[12:13], s[8:9]
	s_xor_b64 s[8:9], exec, s[12:13]
; %bb.84:
	s_mov_b64 s[10:11], exec
	v_add_u32_e32 v2, v43, v44
; %bb.85:
	s_or_b64 exec, exec, s[8:9]
	s_and_b64 vcc, exec, s[2:3]
	s_cbranch_vccz .LBB1838_129
.LBB1838_86:
	s_lshl_b32 s12, s33, 13
	s_mov_b32 s13, 0
	v_mbcnt_hi_u32_b32 v4, -1, v1
	s_lshl_b64 s[2:3], s[12:13], 2
	v_and_b32_e32 v7, 63, v4
	s_add_u32 s2, s36, s2
	v_lshlrev_b32_e32 v1, 2, v7
	v_add_co_u32_e32 v1, vcc, s2, v1
	s_load_dword s16, s[4:5], 0x58
	s_load_dword s2, s[4:5], 0x64
	s_addc_u32 s3, s37, s3
	v_and_b32_e32 v6, 0x1e00, v11
	v_mov_b32_e32 v3, s3
	v_addc_co_u32_e32 v3, vcc, 0, v3, vcc
	v_lshlrev_b32_e32 v5, 2, v6
	v_add_co_u32_e32 v18, vcc, v1, v5
	s_add_u32 s3, s4, 0x58
	v_addc_co_u32_e32 v19, vcc, 0, v3, vcc
	s_addc_u32 s4, s5, 0
	s_waitcnt lgkmcnt(0)
	s_lshr_b32 s5, s2, 16
	global_load_dword v1, v[18:19], off
	s_cmp_lt_u32 s6, s16
	s_cselect_b32 s2, 12, 18
	s_add_u32 s2, s3, s2
	v_mov_b32_e32 v2, 0
	s_addc_u32 s3, s4, 0
	global_load_ushort v3, v2, s[2:3]
	v_mul_u32_u24_e32 v5, 5, v10
	v_lshlrev_b32_e32 v5, 2, v5
	ds_write2_b32 v5, v2, v2 offset0:16 offset1:17
	ds_write2_b32 v5, v2, v2 offset0:18 offset1:19
	ds_write_b32 v5, v2 offset:80
	global_load_dword v9, v[18:19], off offset:256
	global_load_dword v12, v[18:19], off offset:512
	;; [unrolled: 1-line block ×7, first 2 shown]
	v_bfrev_b32_e32 v16, 1
	v_bfe_u32 v8, v0, 10, 10
	v_bfe_u32 v0, v0, 20, 10
	v_mad_u32_u24 v0, v0, s5, v8
	s_brev_b32 s4, -2
	s_lshl_b32 s2, -1, s49
	s_not_b32 s17, s2
	s_waitcnt lgkmcnt(0)
	s_barrier
	s_waitcnt lgkmcnt(0)
	; wave barrier
	s_waitcnt vmcnt(8)
	v_cmp_lt_i32_e32 vcc, -1, v1
	v_cndmask_b32_e32 v8, -1, v16, vcc
	v_xor_b32_e32 v8, v8, v1
	v_cmp_ne_u32_e32 vcc, s4, v8
	v_cndmask_b32_e32 v15, v16, v8, vcc
	s_waitcnt vmcnt(7)
	v_mad_u64_u32 v[0:1], s[2:3], v0, v3, v[10:11]
	v_lshrrev_b32_e32 v1, s48, v15
	v_lshrrev_b32_e32 v26, 6, v0
	v_and_b32_e32 v0, s17, v1
	v_lshl_add_u32 v1, v0, 4, v0
	v_and_b32_e32 v15, 1, v0
	v_add_lshl_u32 v18, v26, v1, 2
	v_add_co_u32_e32 v1, vcc, -1, v15
	v_lshlrev_b32_e32 v3, 30, v0
	v_addc_co_u32_e64 v19, s[2:3], 0, -1, vcc
	v_cmp_ne_u32_e32 vcc, 0, v15
	v_cmp_gt_i64_e64 s[2:3], 0, v[2:3]
	v_not_b32_e32 v15, v3
	v_lshlrev_b32_e32 v3, 29, v0
	v_xor_b32_e32 v19, vcc_hi, v19
	v_xor_b32_e32 v1, vcc_lo, v1
	v_ashrrev_i32_e32 v15, 31, v15
	v_cmp_gt_i64_e32 vcc, 0, v[2:3]
	v_not_b32_e32 v20, v3
	v_lshlrev_b32_e32 v3, 28, v0
	v_and_b32_e32 v19, exec_hi, v19
	v_and_b32_e32 v1, exec_lo, v1
	v_xor_b32_e32 v22, s3, v15
	v_xor_b32_e32 v15, s2, v15
	v_ashrrev_i32_e32 v20, 31, v20
	v_cmp_gt_i64_e64 s[2:3], 0, v[2:3]
	v_not_b32_e32 v3, v3
	v_and_b32_e32 v19, v19, v22
	v_and_b32_e32 v1, v1, v15
	v_xor_b32_e32 v15, vcc_hi, v20
	v_xor_b32_e32 v20, vcc_lo, v20
	v_ashrrev_i32_e32 v3, 31, v3
	v_and_b32_e32 v15, v19, v15
	v_and_b32_e32 v1, v1, v20
	v_xor_b32_e32 v19, s3, v3
	v_xor_b32_e32 v3, s2, v3
	v_and_b32_e32 v1, v1, v3
	v_lshlrev_b32_e32 v3, 27, v0
	v_cmp_gt_i64_e32 vcc, 0, v[2:3]
	v_not_b32_e32 v3, v3
	v_ashrrev_i32_e32 v3, 31, v3
	v_and_b32_e32 v15, v15, v19
	v_xor_b32_e32 v19, vcc_hi, v3
	v_xor_b32_e32 v3, vcc_lo, v3
	v_and_b32_e32 v1, v1, v3
	v_lshlrev_b32_e32 v3, 26, v0
	v_cmp_gt_i64_e32 vcc, 0, v[2:3]
	v_not_b32_e32 v3, v3
	v_ashrrev_i32_e32 v3, 31, v3
	v_and_b32_e32 v15, v15, v19
	v_xor_b32_e32 v19, vcc_hi, v3
	v_xor_b32_e32 v3, vcc_lo, v3
	;; [unrolled: 8-line block ×3, first 2 shown]
	v_and_b32_e32 v15, v15, v19
	v_and_b32_e32 v19, v1, v3
	v_lshlrev_b32_e32 v3, 24, v0
	v_not_b32_e32 v0, v3
	v_cmp_gt_i64_e32 vcc, 0, v[2:3]
	v_ashrrev_i32_e32 v0, 31, v0
	v_xor_b32_e32 v1, vcc_hi, v0
	v_xor_b32_e32 v0, vcc_lo, v0
	v_and_b32_e32 v0, v19, v0
	v_and_b32_e32 v1, v15, v1
	v_mbcnt_lo_u32_b32 v3, v0, 0
	v_mbcnt_hi_u32_b32 v15, v1, v3
	v_cmp_eq_u32_e32 vcc, 0, v15
	v_cmp_ne_u64_e64 s[2:3], 0, v[0:1]
	s_and_b64 s[6:7], s[2:3], vcc
	s_and_saveexec_b64 s[2:3], s[6:7]
	s_cbranch_execz .LBB1838_88
; %bb.87:
	v_bcnt_u32_b32 v0, v0, 0
	v_bcnt_u32_b32 v0, v1, v0
	ds_write_b32 v18, v0 offset:64
.LBB1838_88:
	s_or_b64 exec, exec, s[2:3]
	s_waitcnt vmcnt(6)
	v_cmp_lt_i32_e32 vcc, -1, v9
	v_cndmask_b32_e32 v0, -1, v16, vcc
	v_xor_b32_e32 v9, v0, v9
	v_cmp_ne_u32_e32 vcc, s4, v9
	v_cndmask_b32_e32 v0, v16, v9, vcc
	v_lshrrev_b32_e32 v0, s48, v0
	v_and_b32_e32 v0, s17, v0
	v_lshl_add_u32 v1, v0, 4, v0
	v_add_lshl_u32 v22, v26, v1, 2
	v_and_b32_e32 v1, 1, v0
	v_add_co_u32_e32 v3, vcc, -1, v1
	v_addc_co_u32_e64 v19, s[2:3], 0, -1, vcc
	v_cmp_ne_u32_e32 vcc, 0, v1
	v_xor_b32_e32 v3, vcc_lo, v3
	v_xor_b32_e32 v1, vcc_hi, v19
	v_and_b32_e32 v19, exec_lo, v3
	v_lshlrev_b32_e32 v3, 30, v0
	v_cmp_gt_i64_e32 vcc, 0, v[2:3]
	v_not_b32_e32 v3, v3
	v_ashrrev_i32_e32 v3, 31, v3
	v_xor_b32_e32 v20, vcc_hi, v3
	v_xor_b32_e32 v3, vcc_lo, v3
	v_and_b32_e32 v19, v19, v3
	v_lshlrev_b32_e32 v3, 29, v0
	v_cmp_gt_i64_e32 vcc, 0, v[2:3]
	v_not_b32_e32 v3, v3
	v_and_b32_e32 v1, exec_hi, v1
	v_ashrrev_i32_e32 v3, 31, v3
	v_and_b32_e32 v1, v1, v20
	v_xor_b32_e32 v20, vcc_hi, v3
	v_xor_b32_e32 v3, vcc_lo, v3
	v_and_b32_e32 v19, v19, v3
	v_lshlrev_b32_e32 v3, 28, v0
	v_cmp_gt_i64_e32 vcc, 0, v[2:3]
	v_not_b32_e32 v3, v3
	v_ashrrev_i32_e32 v3, 31, v3
	v_and_b32_e32 v1, v1, v20
	v_xor_b32_e32 v20, vcc_hi, v3
	v_xor_b32_e32 v3, vcc_lo, v3
	v_and_b32_e32 v19, v19, v3
	v_lshlrev_b32_e32 v3, 27, v0
	v_cmp_gt_i64_e32 vcc, 0, v[2:3]
	v_not_b32_e32 v3, v3
	;; [unrolled: 8-line block ×4, first 2 shown]
	v_ashrrev_i32_e32 v3, 31, v3
	v_and_b32_e32 v1, v1, v20
	v_xor_b32_e32 v20, vcc_hi, v3
	v_xor_b32_e32 v3, vcc_lo, v3
	v_and_b32_e32 v19, v19, v3
	v_lshlrev_b32_e32 v3, 24, v0
	v_not_b32_e32 v0, v3
	v_cmp_gt_i64_e32 vcc, 0, v[2:3]
	v_ashrrev_i32_e32 v0, 31, v0
	v_xor_b32_e32 v2, vcc_hi, v0
	v_xor_b32_e32 v0, vcc_lo, v0
	; wave barrier
	ds_read_b32 v16, v22 offset:64
	v_and_b32_e32 v1, v1, v20
	v_and_b32_e32 v0, v19, v0
	;; [unrolled: 1-line block ×3, first 2 shown]
	v_mbcnt_lo_u32_b32 v2, v0, 0
	v_mbcnt_hi_u32_b32 v19, v1, v2
	v_cmp_eq_u32_e32 vcc, 0, v19
	v_cmp_ne_u64_e64 s[2:3], 0, v[0:1]
	s_and_b64 s[4:5], s[2:3], vcc
	; wave barrier
	s_and_saveexec_b64 s[2:3], s[4:5]
	s_cbranch_execz .LBB1838_90
; %bb.89:
	v_bcnt_u32_b32 v0, v0, 0
	v_bcnt_u32_b32 v0, v1, v0
	s_waitcnt lgkmcnt(0)
	v_add_u32_e32 v0, v16, v0
	ds_write_b32 v22, v0 offset:64
.LBB1838_90:
	s_or_b64 exec, exec, s[2:3]
	v_bfrev_b32_e32 v24, 1
	s_waitcnt vmcnt(5)
	v_cmp_lt_i32_e32 vcc, -1, v12
	v_cndmask_b32_e32 v0, -1, v24, vcc
	v_xor_b32_e32 v12, v0, v12
	s_brev_b32 s4, -2
	v_cmp_ne_u32_e32 vcc, s4, v12
	v_cndmask_b32_e32 v0, v24, v12, vcc
	v_lshrrev_b32_e32 v0, s48, v0
	v_and_b32_e32 v2, s17, v0
	v_and_b32_e32 v1, 1, v2
	v_add_co_u32_e32 v3, vcc, -1, v1
	v_addc_co_u32_e64 v23, s[2:3], 0, -1, vcc
	v_cmp_ne_u32_e32 vcc, 0, v1
	v_lshl_add_u32 v0, v2, 4, v2
	v_xor_b32_e32 v1, vcc_hi, v23
	v_add_lshl_u32 v27, v26, v0, 2
	v_mov_b32_e32 v0, 0
	v_and_b32_e32 v23, exec_hi, v1
	v_lshlrev_b32_e32 v1, 30, v2
	v_xor_b32_e32 v3, vcc_lo, v3
	v_cmp_gt_i64_e32 vcc, 0, v[0:1]
	v_not_b32_e32 v1, v1
	v_ashrrev_i32_e32 v1, 31, v1
	v_and_b32_e32 v3, exec_lo, v3
	v_xor_b32_e32 v28, vcc_hi, v1
	v_xor_b32_e32 v1, vcc_lo, v1
	v_and_b32_e32 v3, v3, v1
	v_lshlrev_b32_e32 v1, 29, v2
	v_cmp_gt_i64_e32 vcc, 0, v[0:1]
	v_not_b32_e32 v1, v1
	v_ashrrev_i32_e32 v1, 31, v1
	v_and_b32_e32 v23, v23, v28
	v_xor_b32_e32 v28, vcc_hi, v1
	v_xor_b32_e32 v1, vcc_lo, v1
	v_and_b32_e32 v3, v3, v1
	v_lshlrev_b32_e32 v1, 28, v2
	v_cmp_gt_i64_e32 vcc, 0, v[0:1]
	v_not_b32_e32 v1, v1
	v_ashrrev_i32_e32 v1, 31, v1
	v_and_b32_e32 v23, v23, v28
	;; [unrolled: 8-line block ×5, first 2 shown]
	v_xor_b32_e32 v28, vcc_hi, v1
	v_xor_b32_e32 v1, vcc_lo, v1
	v_and_b32_e32 v23, v23, v28
	v_and_b32_e32 v28, v3, v1
	v_lshlrev_b32_e32 v1, 24, v2
	v_cmp_gt_i64_e32 vcc, 0, v[0:1]
	v_not_b32_e32 v1, v1
	v_ashrrev_i32_e32 v1, 31, v1
	v_xor_b32_e32 v2, vcc_hi, v1
	v_xor_b32_e32 v1, vcc_lo, v1
	; wave barrier
	ds_read_b32 v20, v27 offset:64
	v_and_b32_e32 v3, v23, v2
	v_and_b32_e32 v2, v28, v1
	v_mbcnt_lo_u32_b32 v1, v2, 0
	v_mbcnt_hi_u32_b32 v23, v3, v1
	v_cmp_eq_u32_e32 vcc, 0, v23
	v_cmp_ne_u64_e64 s[2:3], 0, v[2:3]
	s_and_b64 s[6:7], s[2:3], vcc
	; wave barrier
	s_and_saveexec_b64 s[2:3], s[6:7]
	s_cbranch_execz .LBB1838_92
; %bb.91:
	v_bcnt_u32_b32 v1, v2, 0
	v_bcnt_u32_b32 v1, v3, v1
	s_waitcnt lgkmcnt(0)
	v_add_u32_e32 v1, v20, v1
	ds_write_b32 v27, v1 offset:64
.LBB1838_92:
	s_or_b64 exec, exec, s[2:3]
	s_waitcnt vmcnt(4)
	v_cmp_lt_i32_e32 vcc, -1, v13
	v_cndmask_b32_e32 v1, -1, v24, vcc
	v_xor_b32_e32 v13, v1, v13
	v_cmp_ne_u32_e32 vcc, s4, v13
	v_cndmask_b32_e32 v1, v24, v13, vcc
	v_lshrrev_b32_e32 v1, s48, v1
	v_and_b32_e32 v2, s17, v1
	v_lshl_add_u32 v1, v2, 4, v2
	v_add_lshl_u32 v30, v26, v1, 2
	v_and_b32_e32 v1, 1, v2
	v_add_co_u32_e32 v3, vcc, -1, v1
	v_addc_co_u32_e64 v28, s[2:3], 0, -1, vcc
	v_cmp_ne_u32_e32 vcc, 0, v1
	v_xor_b32_e32 v1, vcc_hi, v28
	v_and_b32_e32 v28, exec_hi, v1
	v_lshlrev_b32_e32 v1, 30, v2
	v_xor_b32_e32 v3, vcc_lo, v3
	v_cmp_gt_i64_e32 vcc, 0, v[0:1]
	v_not_b32_e32 v1, v1
	v_ashrrev_i32_e32 v1, 31, v1
	v_and_b32_e32 v3, exec_lo, v3
	v_xor_b32_e32 v29, vcc_hi, v1
	v_xor_b32_e32 v1, vcc_lo, v1
	v_and_b32_e32 v3, v3, v1
	v_lshlrev_b32_e32 v1, 29, v2
	v_cmp_gt_i64_e32 vcc, 0, v[0:1]
	v_not_b32_e32 v1, v1
	v_ashrrev_i32_e32 v1, 31, v1
	v_and_b32_e32 v28, v28, v29
	v_xor_b32_e32 v29, vcc_hi, v1
	v_xor_b32_e32 v1, vcc_lo, v1
	v_and_b32_e32 v3, v3, v1
	v_lshlrev_b32_e32 v1, 28, v2
	v_cmp_gt_i64_e32 vcc, 0, v[0:1]
	v_not_b32_e32 v1, v1
	v_ashrrev_i32_e32 v1, 31, v1
	v_and_b32_e32 v28, v28, v29
	;; [unrolled: 8-line block ×5, first 2 shown]
	v_xor_b32_e32 v29, vcc_hi, v1
	v_xor_b32_e32 v1, vcc_lo, v1
	v_and_b32_e32 v3, v3, v1
	v_lshlrev_b32_e32 v1, 24, v2
	v_cmp_gt_i64_e32 vcc, 0, v[0:1]
	v_not_b32_e32 v0, v1
	v_ashrrev_i32_e32 v0, 31, v0
	v_xor_b32_e32 v1, vcc_hi, v0
	v_xor_b32_e32 v0, vcc_lo, v0
	; wave barrier
	ds_read_b32 v24, v30 offset:64
	v_and_b32_e32 v28, v28, v29
	v_and_b32_e32 v0, v3, v0
	;; [unrolled: 1-line block ×3, first 2 shown]
	v_mbcnt_lo_u32_b32 v2, v0, 0
	v_mbcnt_hi_u32_b32 v28, v1, v2
	v_cmp_eq_u32_e32 vcc, 0, v28
	v_cmp_ne_u64_e64 s[2:3], 0, v[0:1]
	s_and_b64 s[4:5], s[2:3], vcc
	; wave barrier
	s_and_saveexec_b64 s[2:3], s[4:5]
	s_cbranch_execz .LBB1838_94
; %bb.93:
	v_bcnt_u32_b32 v0, v0, 0
	v_bcnt_u32_b32 v0, v1, v0
	s_waitcnt lgkmcnt(0)
	v_add_u32_e32 v0, v24, v0
	ds_write_b32 v30, v0 offset:64
.LBB1838_94:
	s_or_b64 exec, exec, s[2:3]
	v_bfrev_b32_e32 v32, 1
	s_waitcnt vmcnt(3)
	v_cmp_lt_i32_e32 vcc, -1, v14
	v_cndmask_b32_e32 v0, -1, v32, vcc
	v_xor_b32_e32 v14, v0, v14
	s_brev_b32 s4, -2
	v_cmp_ne_u32_e32 vcc, s4, v14
	v_cndmask_b32_e32 v0, v32, v14, vcc
	v_lshrrev_b32_e32 v0, s48, v0
	v_and_b32_e32 v2, s17, v0
	v_and_b32_e32 v1, 1, v2
	v_add_co_u32_e32 v3, vcc, -1, v1
	v_addc_co_u32_e64 v33, s[2:3], 0, -1, vcc
	v_cmp_ne_u32_e32 vcc, 0, v1
	v_lshl_add_u32 v0, v2, 4, v2
	v_xor_b32_e32 v1, vcc_hi, v33
	v_add_lshl_u32 v31, v26, v0, 2
	v_mov_b32_e32 v0, 0
	v_and_b32_e32 v33, exec_hi, v1
	v_lshlrev_b32_e32 v1, 30, v2
	v_xor_b32_e32 v3, vcc_lo, v3
	v_cmp_gt_i64_e32 vcc, 0, v[0:1]
	v_not_b32_e32 v1, v1
	v_ashrrev_i32_e32 v1, 31, v1
	v_and_b32_e32 v3, exec_lo, v3
	v_xor_b32_e32 v34, vcc_hi, v1
	v_xor_b32_e32 v1, vcc_lo, v1
	v_and_b32_e32 v3, v3, v1
	v_lshlrev_b32_e32 v1, 29, v2
	v_cmp_gt_i64_e32 vcc, 0, v[0:1]
	v_not_b32_e32 v1, v1
	v_ashrrev_i32_e32 v1, 31, v1
	v_and_b32_e32 v33, v33, v34
	v_xor_b32_e32 v34, vcc_hi, v1
	v_xor_b32_e32 v1, vcc_lo, v1
	v_and_b32_e32 v3, v3, v1
	v_lshlrev_b32_e32 v1, 28, v2
	v_cmp_gt_i64_e32 vcc, 0, v[0:1]
	v_not_b32_e32 v1, v1
	v_ashrrev_i32_e32 v1, 31, v1
	v_and_b32_e32 v33, v33, v34
	;; [unrolled: 8-line block ×5, first 2 shown]
	v_xor_b32_e32 v34, vcc_hi, v1
	v_xor_b32_e32 v1, vcc_lo, v1
	v_and_b32_e32 v33, v33, v34
	v_and_b32_e32 v34, v3, v1
	v_lshlrev_b32_e32 v1, 24, v2
	v_cmp_gt_i64_e32 vcc, 0, v[0:1]
	v_not_b32_e32 v1, v1
	v_ashrrev_i32_e32 v1, 31, v1
	v_xor_b32_e32 v2, vcc_hi, v1
	v_xor_b32_e32 v1, vcc_lo, v1
	; wave barrier
	ds_read_b32 v29, v31 offset:64
	v_and_b32_e32 v3, v33, v2
	v_and_b32_e32 v2, v34, v1
	v_mbcnt_lo_u32_b32 v1, v2, 0
	v_mbcnt_hi_u32_b32 v33, v3, v1
	v_cmp_eq_u32_e32 vcc, 0, v33
	v_cmp_ne_u64_e64 s[2:3], 0, v[2:3]
	s_and_b64 s[6:7], s[2:3], vcc
	; wave barrier
	s_and_saveexec_b64 s[2:3], s[6:7]
	s_cbranch_execz .LBB1838_96
; %bb.95:
	v_bcnt_u32_b32 v1, v2, 0
	v_bcnt_u32_b32 v1, v3, v1
	s_waitcnt lgkmcnt(0)
	v_add_u32_e32 v1, v29, v1
	ds_write_b32 v31, v1 offset:64
.LBB1838_96:
	s_or_b64 exec, exec, s[2:3]
	s_waitcnt vmcnt(2)
	v_cmp_lt_i32_e32 vcc, -1, v17
	v_cndmask_b32_e32 v1, -1, v32, vcc
	v_xor_b32_e32 v17, v1, v17
	v_cmp_ne_u32_e32 vcc, s4, v17
	v_cndmask_b32_e32 v1, v32, v17, vcc
	v_lshrrev_b32_e32 v1, s48, v1
	v_and_b32_e32 v2, s17, v1
	v_lshl_add_u32 v1, v2, 4, v2
	v_add_lshl_u32 v36, v26, v1, 2
	v_and_b32_e32 v1, 1, v2
	v_add_co_u32_e32 v3, vcc, -1, v1
	v_addc_co_u32_e64 v34, s[2:3], 0, -1, vcc
	v_cmp_ne_u32_e32 vcc, 0, v1
	v_xor_b32_e32 v1, vcc_hi, v34
	v_and_b32_e32 v34, exec_hi, v1
	v_lshlrev_b32_e32 v1, 30, v2
	v_xor_b32_e32 v3, vcc_lo, v3
	v_cmp_gt_i64_e32 vcc, 0, v[0:1]
	v_not_b32_e32 v1, v1
	v_ashrrev_i32_e32 v1, 31, v1
	v_and_b32_e32 v3, exec_lo, v3
	v_xor_b32_e32 v35, vcc_hi, v1
	v_xor_b32_e32 v1, vcc_lo, v1
	v_and_b32_e32 v3, v3, v1
	v_lshlrev_b32_e32 v1, 29, v2
	v_cmp_gt_i64_e32 vcc, 0, v[0:1]
	v_not_b32_e32 v1, v1
	v_ashrrev_i32_e32 v1, 31, v1
	v_and_b32_e32 v34, v34, v35
	v_xor_b32_e32 v35, vcc_hi, v1
	v_xor_b32_e32 v1, vcc_lo, v1
	v_and_b32_e32 v3, v3, v1
	v_lshlrev_b32_e32 v1, 28, v2
	v_cmp_gt_i64_e32 vcc, 0, v[0:1]
	v_not_b32_e32 v1, v1
	v_ashrrev_i32_e32 v1, 31, v1
	v_and_b32_e32 v34, v34, v35
	;; [unrolled: 8-line block ×5, first 2 shown]
	v_xor_b32_e32 v35, vcc_hi, v1
	v_xor_b32_e32 v1, vcc_lo, v1
	v_and_b32_e32 v3, v3, v1
	v_lshlrev_b32_e32 v1, 24, v2
	v_cmp_gt_i64_e32 vcc, 0, v[0:1]
	v_not_b32_e32 v0, v1
	v_ashrrev_i32_e32 v0, 31, v0
	v_xor_b32_e32 v1, vcc_hi, v0
	v_xor_b32_e32 v0, vcc_lo, v0
	; wave barrier
	ds_read_b32 v32, v36 offset:64
	v_and_b32_e32 v34, v34, v35
	v_and_b32_e32 v0, v3, v0
	;; [unrolled: 1-line block ×3, first 2 shown]
	v_mbcnt_lo_u32_b32 v2, v0, 0
	v_mbcnt_hi_u32_b32 v34, v1, v2
	v_cmp_eq_u32_e32 vcc, 0, v34
	v_cmp_ne_u64_e64 s[2:3], 0, v[0:1]
	s_and_b64 s[4:5], s[2:3], vcc
	; wave barrier
	s_and_saveexec_b64 s[2:3], s[4:5]
	s_cbranch_execz .LBB1838_98
; %bb.97:
	v_bcnt_u32_b32 v0, v0, 0
	v_bcnt_u32_b32 v0, v1, v0
	s_waitcnt lgkmcnt(0)
	v_add_u32_e32 v0, v32, v0
	ds_write_b32 v36, v0 offset:64
.LBB1838_98:
	s_or_b64 exec, exec, s[2:3]
	v_bfrev_b32_e32 v38, 1
	s_waitcnt vmcnt(1)
	v_cmp_lt_i32_e32 vcc, -1, v21
	v_cndmask_b32_e32 v0, -1, v38, vcc
	v_xor_b32_e32 v21, v0, v21
	s_brev_b32 s4, -2
	v_cmp_ne_u32_e32 vcc, s4, v21
	v_cndmask_b32_e32 v0, v38, v21, vcc
	v_lshrrev_b32_e32 v0, s48, v0
	v_and_b32_e32 v2, s17, v0
	v_and_b32_e32 v1, 1, v2
	v_add_co_u32_e32 v3, vcc, -1, v1
	v_addc_co_u32_e64 v37, s[2:3], 0, -1, vcc
	v_cmp_ne_u32_e32 vcc, 0, v1
	v_lshl_add_u32 v0, v2, 4, v2
	v_xor_b32_e32 v1, vcc_hi, v37
	v_add_lshl_u32 v39, v26, v0, 2
	v_mov_b32_e32 v0, 0
	v_and_b32_e32 v37, exec_hi, v1
	v_lshlrev_b32_e32 v1, 30, v2
	v_xor_b32_e32 v3, vcc_lo, v3
	v_cmp_gt_i64_e32 vcc, 0, v[0:1]
	v_not_b32_e32 v1, v1
	v_ashrrev_i32_e32 v1, 31, v1
	v_and_b32_e32 v3, exec_lo, v3
	v_xor_b32_e32 v40, vcc_hi, v1
	v_xor_b32_e32 v1, vcc_lo, v1
	v_and_b32_e32 v3, v3, v1
	v_lshlrev_b32_e32 v1, 29, v2
	v_cmp_gt_i64_e32 vcc, 0, v[0:1]
	v_not_b32_e32 v1, v1
	v_ashrrev_i32_e32 v1, 31, v1
	v_and_b32_e32 v37, v37, v40
	v_xor_b32_e32 v40, vcc_hi, v1
	v_xor_b32_e32 v1, vcc_lo, v1
	v_and_b32_e32 v3, v3, v1
	v_lshlrev_b32_e32 v1, 28, v2
	v_cmp_gt_i64_e32 vcc, 0, v[0:1]
	v_not_b32_e32 v1, v1
	v_ashrrev_i32_e32 v1, 31, v1
	v_and_b32_e32 v37, v37, v40
	;; [unrolled: 8-line block ×5, first 2 shown]
	v_xor_b32_e32 v40, vcc_hi, v1
	v_xor_b32_e32 v1, vcc_lo, v1
	v_and_b32_e32 v37, v37, v40
	v_and_b32_e32 v40, v3, v1
	v_lshlrev_b32_e32 v1, 24, v2
	v_cmp_gt_i64_e32 vcc, 0, v[0:1]
	v_not_b32_e32 v1, v1
	v_ashrrev_i32_e32 v1, 31, v1
	v_xor_b32_e32 v2, vcc_hi, v1
	v_xor_b32_e32 v1, vcc_lo, v1
	; wave barrier
	ds_read_b32 v35, v39 offset:64
	v_and_b32_e32 v3, v37, v2
	v_and_b32_e32 v2, v40, v1
	v_mbcnt_lo_u32_b32 v1, v2, 0
	v_mbcnt_hi_u32_b32 v37, v3, v1
	v_cmp_eq_u32_e32 vcc, 0, v37
	v_cmp_ne_u64_e64 s[2:3], 0, v[2:3]
	s_and_b64 s[6:7], s[2:3], vcc
	; wave barrier
	s_and_saveexec_b64 s[2:3], s[6:7]
	s_cbranch_execz .LBB1838_100
; %bb.99:
	v_bcnt_u32_b32 v1, v2, 0
	v_bcnt_u32_b32 v1, v3, v1
	s_waitcnt lgkmcnt(0)
	v_add_u32_e32 v1, v35, v1
	ds_write_b32 v39, v1 offset:64
.LBB1838_100:
	s_or_b64 exec, exec, s[2:3]
	s_waitcnt vmcnt(0)
	v_cmp_lt_i32_e32 vcc, -1, v25
	v_cndmask_b32_e32 v1, -1, v38, vcc
	v_xor_b32_e32 v25, v1, v25
	v_cmp_ne_u32_e32 vcc, s4, v25
	v_cndmask_b32_e32 v1, v38, v25, vcc
	v_lshrrev_b32_e32 v1, s48, v1
	v_and_b32_e32 v2, s17, v1
	v_lshl_add_u32 v1, v2, 4, v2
	v_add_lshl_u32 v26, v1, v26, 2
	v_and_b32_e32 v1, 1, v2
	v_add_co_u32_e32 v3, vcc, -1, v1
	v_addc_co_u32_e64 v40, s[2:3], 0, -1, vcc
	v_cmp_ne_u32_e32 vcc, 0, v1
	v_xor_b32_e32 v1, vcc_hi, v40
	v_and_b32_e32 v40, exec_hi, v1
	v_lshlrev_b32_e32 v1, 30, v2
	v_xor_b32_e32 v3, vcc_lo, v3
	v_cmp_gt_i64_e32 vcc, 0, v[0:1]
	v_not_b32_e32 v1, v1
	v_ashrrev_i32_e32 v1, 31, v1
	v_and_b32_e32 v3, exec_lo, v3
	v_xor_b32_e32 v42, vcc_hi, v1
	v_xor_b32_e32 v1, vcc_lo, v1
	v_and_b32_e32 v3, v3, v1
	v_lshlrev_b32_e32 v1, 29, v2
	v_cmp_gt_i64_e32 vcc, 0, v[0:1]
	v_not_b32_e32 v1, v1
	v_ashrrev_i32_e32 v1, 31, v1
	v_and_b32_e32 v40, v40, v42
	v_xor_b32_e32 v42, vcc_hi, v1
	v_xor_b32_e32 v1, vcc_lo, v1
	v_and_b32_e32 v3, v3, v1
	v_lshlrev_b32_e32 v1, 28, v2
	v_cmp_gt_i64_e32 vcc, 0, v[0:1]
	v_not_b32_e32 v1, v1
	v_ashrrev_i32_e32 v1, 31, v1
	v_and_b32_e32 v40, v40, v42
	;; [unrolled: 8-line block ×5, first 2 shown]
	v_xor_b32_e32 v42, vcc_hi, v1
	v_xor_b32_e32 v1, vcc_lo, v1
	v_and_b32_e32 v3, v3, v1
	v_lshlrev_b32_e32 v1, 24, v2
	v_cmp_gt_i64_e32 vcc, 0, v[0:1]
	v_not_b32_e32 v0, v1
	v_ashrrev_i32_e32 v0, 31, v0
	v_xor_b32_e32 v1, vcc_hi, v0
	v_xor_b32_e32 v0, vcc_lo, v0
	; wave barrier
	ds_read_b32 v38, v26 offset:64
	v_and_b32_e32 v40, v40, v42
	v_and_b32_e32 v0, v3, v0
	;; [unrolled: 1-line block ×3, first 2 shown]
	v_mbcnt_lo_u32_b32 v2, v0, 0
	v_mbcnt_hi_u32_b32 v40, v1, v2
	v_cmp_eq_u32_e32 vcc, 0, v40
	v_cmp_ne_u64_e64 s[2:3], 0, v[0:1]
	v_add_u32_e32 v41, 64, v5
	s_and_b64 s[4:5], s[2:3], vcc
	; wave barrier
	s_and_saveexec_b64 s[2:3], s[4:5]
	s_cbranch_execz .LBB1838_102
; %bb.101:
	v_bcnt_u32_b32 v0, v0, 0
	v_bcnt_u32_b32 v0, v1, v0
	s_waitcnt lgkmcnt(0)
	v_add_u32_e32 v0, v38, v0
	ds_write_b32 v26, v0 offset:64
.LBB1838_102:
	s_or_b64 exec, exec, s[2:3]
	; wave barrier
	s_waitcnt lgkmcnt(0)
	s_barrier
	ds_read2_b32 v[2:3], v5 offset0:16 offset1:17
	ds_read2_b32 v[0:1], v41 offset0:2 offset1:3
	ds_read_b32 v42, v41 offset:16
	v_cmp_lt_u32_e64 s[8:9], 31, v4
	s_waitcnt lgkmcnt(1)
	v_add3_u32 v43, v3, v2, v0
	s_waitcnt lgkmcnt(0)
	v_add3_u32 v42, v43, v1, v42
	v_and_b32_e32 v43, 15, v4
	v_cmp_eq_u32_e32 vcc, 0, v43
	v_mov_b32_dpp v44, v42 row_shr:1 row_mask:0xf bank_mask:0xf
	v_cndmask_b32_e64 v44, v44, 0, vcc
	v_add_u32_e32 v42, v44, v42
	v_cmp_lt_u32_e64 s[2:3], 1, v43
	v_cmp_lt_u32_e64 s[4:5], 3, v43
	v_mov_b32_dpp v44, v42 row_shr:2 row_mask:0xf bank_mask:0xf
	v_cndmask_b32_e64 v44, 0, v44, s[2:3]
	v_add_u32_e32 v42, v42, v44
	v_cmp_lt_u32_e64 s[6:7], 7, v43
	s_nop 0
	v_mov_b32_dpp v44, v42 row_shr:4 row_mask:0xf bank_mask:0xf
	v_cndmask_b32_e64 v44, 0, v44, s[4:5]
	v_add_u32_e32 v42, v42, v44
	s_nop 1
	v_mov_b32_dpp v44, v42 row_shr:8 row_mask:0xf bank_mask:0xf
	v_cndmask_b32_e64 v43, 0, v44, s[6:7]
	v_add_u32_e32 v42, v42, v43
	v_bfe_i32 v44, v4, 4, 1
	s_nop 0
	v_mov_b32_dpp v43, v42 row_bcast:15 row_mask:0xf bank_mask:0xf
	v_and_b32_e32 v43, v44, v43
	v_add_u32_e32 v42, v42, v43
	v_and_b32_e32 v44, 63, v10
	s_nop 0
	v_mov_b32_dpp v43, v42 row_bcast:31 row_mask:0xf bank_mask:0xf
	v_cndmask_b32_e64 v43, 0, v43, s[8:9]
	v_add_u32_e32 v42, v42, v43
	v_lshrrev_b32_e32 v43, 6, v10
	v_cmp_eq_u32_e64 s[8:9], 63, v44
	s_and_saveexec_b64 s[14:15], s[8:9]
	s_cbranch_execz .LBB1838_104
; %bb.103:
	v_lshlrev_b32_e32 v44, 2, v43
	ds_write_b32 v44, v42
.LBB1838_104:
	s_or_b64 exec, exec, s[14:15]
	v_cmp_gt_u32_e64 s[8:9], 16, v10
	s_waitcnt lgkmcnt(0)
	s_barrier
	s_and_saveexec_b64 s[14:15], s[8:9]
	s_cbranch_execz .LBB1838_106
; %bb.105:
	v_lshlrev_b32_e32 v44, 2, v10
	ds_read_b32 v45, v44
	s_waitcnt lgkmcnt(0)
	s_nop 0
	v_mov_b32_dpp v46, v45 row_shr:1 row_mask:0xf bank_mask:0xf
	v_cndmask_b32_e64 v46, v46, 0, vcc
	v_add_u32_e32 v45, v46, v45
	s_nop 1
	v_mov_b32_dpp v46, v45 row_shr:2 row_mask:0xf bank_mask:0xf
	v_cndmask_b32_e64 v46, 0, v46, s[2:3]
	v_add_u32_e32 v45, v45, v46
	s_nop 1
	v_mov_b32_dpp v46, v45 row_shr:4 row_mask:0xf bank_mask:0xf
	v_cndmask_b32_e64 v46, 0, v46, s[4:5]
	;; [unrolled: 4-line block ×3, first 2 shown]
	v_add_u32_e32 v45, v45, v46
	ds_write_b32 v44, v45
.LBB1838_106:
	s_or_b64 exec, exec, s[14:15]
	v_cmp_lt_u32_e32 vcc, 63, v10
	v_mov_b32_e32 v44, 0
	s_waitcnt lgkmcnt(0)
	s_barrier
	s_and_saveexec_b64 s[2:3], vcc
	s_cbranch_execz .LBB1838_108
; %bb.107:
	v_lshl_add_u32 v43, v43, 2, -4
	ds_read_b32 v44, v43
.LBB1838_108:
	s_or_b64 exec, exec, s[2:3]
	v_add_u32_e32 v43, -1, v4
	v_and_b32_e32 v45, 64, v4
	v_cmp_lt_i32_e32 vcc, v43, v45
	v_cndmask_b32_e32 v43, v43, v4, vcc
	s_waitcnt lgkmcnt(0)
	v_add_u32_e32 v42, v44, v42
	v_lshlrev_b32_e32 v43, 2, v43
	ds_bpermute_b32 v42, v43, v42
	v_cmp_eq_u32_e32 vcc, 0, v4
	s_waitcnt lgkmcnt(0)
	v_cndmask_b32_e32 v4, v42, v44, vcc
	v_cndmask_b32_e64 v4, v4, 0, s[0:1]
	v_add_u32_e32 v2, v4, v2
	v_add_u32_e32 v3, v2, v3
	;; [unrolled: 1-line block ×4, first 2 shown]
	ds_write2_b32 v5, v4, v2 offset0:16 offset1:17
	ds_write2_b32 v41, v3, v0 offset0:2 offset1:3
	ds_write_b32 v41, v1 offset:16
	s_waitcnt lgkmcnt(0)
	s_barrier
	ds_read_b32 v44, v18 offset:64
	ds_read_b32 v18, v22 offset:64
	;; [unrolled: 1-line block ×8, first 2 shown]
	s_movk_i32 s0, 0x100
	v_cmp_gt_u32_e64 s[0:1], s0, v10
                                        ; implicit-def: $vgpr22
                                        ; implicit-def: $vgpr26
	s_and_saveexec_b64 s[2:3], s[0:1]
	s_cbranch_execz .LBB1838_112
; %bb.109:
	v_mul_u32_u24_e32 v0, 17, v10
	v_lshlrev_b32_e32 v1, 2, v0
	ds_read_b32 v22, v1 offset:64
	s_movk_i32 s4, 0xff
	v_cmp_ne_u32_e32 vcc, s4, v10
	v_mov_b32_e32 v0, 0x2000
	s_and_saveexec_b64 s[4:5], vcc
	s_cbranch_execz .LBB1838_111
; %bb.110:
	ds_read_b32 v0, v1 offset:132
.LBB1838_111:
	s_or_b64 exec, exec, s[4:5]
	s_waitcnt lgkmcnt(0)
	v_sub_u32_e32 v26, v0, v22
.LBB1838_112:
	s_or_b64 exec, exec, s[2:3]
	s_waitcnt lgkmcnt(0)
	s_barrier
	s_and_saveexec_b64 s[2:3], s[0:1]
	s_cbranch_execz .LBB1838_122
; %bb.113:
	v_lshl_or_b32 v0, s33, 8, v10
	v_mov_b32_e32 v1, 0
	v_lshlrev_b64 v[2:3], 2, v[0:1]
	v_mov_b32_e32 v27, s31
	v_add_co_u32_e32 v2, vcc, s30, v2
	v_addc_co_u32_e32 v3, vcc, v27, v3, vcc
	v_or_b32_e32 v0, 2.0, v26
	s_mov_b64 s[4:5], 0
	s_brev_b32 s14, 1
	s_mov_b32 s15, s33
	v_mov_b32_e32 v39, 0
	global_store_dword v[2:3], v0, off
                                        ; implicit-def: $sgpr6_sgpr7
	s_branch .LBB1838_116
.LBB1838_114:                           ;   in Loop: Header=BB1838_116 Depth=1
	s_or_b64 exec, exec, s[8:9]
.LBB1838_115:                           ;   in Loop: Header=BB1838_116 Depth=1
	s_or_b64 exec, exec, s[6:7]
	v_and_b32_e32 v4, 0x3fffffff, v45
	v_add_u32_e32 v39, v4, v39
	v_cmp_eq_u32_e64 s[6:7], s14, v0
	s_and_b64 s[8:9], exec, s[6:7]
	s_or_b64 s[4:5], s[8:9], s[4:5]
	s_andn2_b64 exec, exec, s[4:5]
	s_cbranch_execz .LBB1838_121
.LBB1838_116:                           ; =>This Loop Header: Depth=1
                                        ;     Child Loop BB1838_119 Depth 2
	s_or_b64 s[6:7], s[6:7], exec
	s_cmp_eq_u32 s15, 0
	s_cbranch_scc1 .LBB1838_120
; %bb.117:                              ;   in Loop: Header=BB1838_116 Depth=1
	s_add_i32 s15, s15, -1
	v_lshl_or_b32 v0, s15, 8, v10
	v_lshlrev_b64 v[4:5], 2, v[0:1]
	v_add_co_u32_e32 v4, vcc, s30, v4
	v_addc_co_u32_e32 v5, vcc, v27, v5, vcc
	global_load_dword v45, v[4:5], off glc
	s_waitcnt vmcnt(0)
	v_and_b32_e32 v0, -2.0, v45
	v_cmp_eq_u32_e32 vcc, 0, v0
	s_and_saveexec_b64 s[6:7], vcc
	s_cbranch_execz .LBB1838_115
; %bb.118:                              ;   in Loop: Header=BB1838_116 Depth=1
	s_mov_b64 s[8:9], 0
.LBB1838_119:                           ;   Parent Loop BB1838_116 Depth=1
                                        ; =>  This Inner Loop Header: Depth=2
	global_load_dword v45, v[4:5], off glc
	s_waitcnt vmcnt(0)
	v_and_b32_e32 v0, -2.0, v45
	v_cmp_ne_u32_e32 vcc, 0, v0
	s_or_b64 s[8:9], vcc, s[8:9]
	s_andn2_b64 exec, exec, s[8:9]
	s_cbranch_execnz .LBB1838_119
	s_branch .LBB1838_114
.LBB1838_120:                           ;   in Loop: Header=BB1838_116 Depth=1
                                        ; implicit-def: $sgpr15
	s_and_b64 s[8:9], exec, s[6:7]
	s_or_b64 s[4:5], s[8:9], s[4:5]
	s_andn2_b64 exec, exec, s[4:5]
	s_cbranch_execnz .LBB1838_116
.LBB1838_121:
	s_or_b64 exec, exec, s[4:5]
	v_add_u32_e32 v0, v39, v26
	v_or_b32_e32 v0, 0x80000000, v0
	global_store_dword v[2:3], v0, off
	v_lshlrev_b32_e32 v0, 2, v10
	global_load_dword v1, v0, s[44:45]
	v_sub_u32_e32 v2, v39, v22
	s_waitcnt vmcnt(0)
	v_add_u32_e32 v1, v2, v1
	ds_write_b32 v0, v1
.LBB1838_122:
	s_or_b64 exec, exec, s[2:3]
	v_lshlrev_b32_e32 v2, 2, v10
	v_add_u32_e32 v27, v44, v15
	s_movk_i32 s4, 0x400
	v_add_u32_e32 v3, 0x400, v2
	v_add3_u32 v30, v40, v30, v38
	v_add3_u32 v31, v37, v31, v35
	;; [unrolled: 1-line block ×7, first 2 shown]
	s_mov_b64 s[2:3], -1
	s_mov_b32 s5, 0
	s_brev_b32 s6, -2
	v_bfrev_b32_e32 v4, 1
	v_mov_b32_e32 v5, s39
	s_movk_i32 s7, 0x800
	s_movk_i32 s8, 0xc00
	v_mov_b32_e32 v1, 0
	v_mov_b32_e32 v15, v10
	s_mov_b32 s9, 0
                                        ; implicit-def: $vgpr39
                                        ; implicit-def: $vgpr38
                                        ; implicit-def: $vgpr37
                                        ; implicit-def: $vgpr36
                                        ; implicit-def: $vgpr35
                                        ; implicit-def: $vgpr34
                                        ; implicit-def: $vgpr33
                                        ; implicit-def: $vgpr28
.LBB1838_123:                           ; =>This Inner Loop Header: Depth=1
	v_add_u32_e32 v0, s5, v27
	v_add_u32_e32 v18, s5, v20
	v_add_u32_e32 v19, s5, v24
	v_add_u32_e32 v16, s5, v23
	v_add_u32_e32 v40, s5, v29
	v_add_u32_e32 v41, s5, v32
	v_add_u32_e32 v42, s5, v31
	v_add_u32_e32 v43, s5, v30
	v_min_u32_e32 v0, 0x1000, v0
	v_min_u32_e32 v18, 0x1000, v18
	;; [unrolled: 1-line block ×8, first 2 shown]
	v_lshlrev_b32_e32 v0, 2, v0
	v_lshlrev_b32_e32 v18, 2, v18
	;; [unrolled: 1-line block ×8, first 2 shown]
	ds_write_b32 v0, v8 offset:1024
	ds_write_b32 v16, v9 offset:1024
	;; [unrolled: 1-line block ×8, first 2 shown]
	s_waitcnt lgkmcnt(0)
	s_barrier
	ds_read2st64_b32 v[18:19], v3 offset0:16 offset1:32
	ds_read_b32 v0, v2 offset:1024
	s_cmp_eq_u32 s9, 0
	s_waitcnt lgkmcnt(1)
	v_cmp_ne_u32_e32 vcc, s6, v18
	v_cndmask_b32_e32 v16, v4, v18, vcc
	v_cmp_lt_i32_e32 vcc, -1, v18
	v_cndmask_b32_e64 v40, v4, -1, vcc
	v_cmp_ne_u32_e32 vcc, s6, v19
	v_cndmask_b32_e32 v41, v4, v19, vcc
	v_cmp_lt_i32_e32 vcc, -1, v19
	v_lshrrev_b32_e32 v16, s48, v16
	v_cndmask_b32_e64 v42, v4, -1, vcc
	v_xor_b32_e32 v40, v40, v18
	v_lshrrev_b32_e32 v18, s48, v41
	v_and_b32_e32 v16, s17, v16
	s_waitcnt lgkmcnt(0)
	v_cmp_ne_u32_e32 vcc, s6, v0
	v_xor_b32_e32 v41, v42, v19
	v_and_b32_e32 v42, s17, v18
	v_lshlrev_b32_e32 v18, 2, v16
	v_cndmask_b32_e32 v44, v4, v0, vcc
	ds_read_b32 v43, v18
	ds_read_b32 v18, v3 offset:12288
	v_cmp_lt_i32_e32 vcc, -1, v0
	v_lshrrev_b32_e32 v44, s48, v44
	v_cndmask_b32_e64 v45, v4, -1, vcc
	v_and_b32_e32 v44, s17, v44
	s_cselect_b64 vcc, -1, 0
	s_cmp_eq_u32 s9, 1
	v_cndmask_b32_e32 v39, v39, v44, vcc
	s_cselect_b64 vcc, -1, 0
	s_cmp_eq_u32 s9, 2
	v_cndmask_b32_e32 v38, v38, v44, vcc
	s_cselect_b64 vcc, -1, 0
	s_cmp_eq_u32 s9, 3
	v_xor_b32_e32 v45, v45, v0
	v_lshlrev_b32_e32 v0, 2, v44
	v_cndmask_b32_e32 v37, v37, v44, vcc
	s_cselect_b64 vcc, -1, 0
	v_lshlrev_b32_e32 v19, 2, v42
	ds_read_b32 v0, v0
	ds_read_b32 v46, v19
	v_cndmask_b32_e32 v36, v36, v44, vcc
	s_waitcnt lgkmcnt(2)
	v_cmp_ne_u32_e32 vcc, s6, v18
	s_cmp_eq_u32 s9, 4
	v_cndmask_b32_e32 v19, v4, v18, vcc
	v_cmp_lt_i32_e32 vcc, -1, v18
	v_cndmask_b32_e64 v47, v4, -1, vcc
	s_cselect_b64 vcc, -1, 0
	s_cmp_eq_u32 s9, 5
	v_lshrrev_b32_e32 v19, s48, v19
	v_cndmask_b32_e32 v48, v35, v44, vcc
	s_cselect_b64 vcc, -1, 0
	s_cmp_eq_u32 s9, 6
	v_and_b32_e32 v50, s17, v19
	v_xor_b32_e32 v47, v47, v18
	v_cndmask_b32_e32 v49, v34, v44, vcc
	s_cselect_b64 vcc, -1, 0
	s_cmp_eq_u32 s9, 7
	v_lshlrev_b32_e32 v18, 2, v50
	s_waitcnt lgkmcnt(1)
	v_add_u32_e32 v0, v15, v0
	v_cndmask_b32_e32 v33, v33, v44, vcc
	ds_read_b32 v51, v18
	s_cselect_b64 vcc, -1, 0
	v_lshlrev_b64 v[18:19], 2, v[0:1]
	v_cndmask_b32_e32 v28, v28, v44, vcc
	s_or_b32 s14, s9, 1
	v_add_co_u32_e32 v18, vcc, s38, v18
	v_add3_u32 v0, v15, v43, s4
	s_cmp_eq_u32 s14, 7
	v_addc_co_u32_e32 v19, vcc, v5, v19, vcc
	v_lshlrev_b64 v[34:35], 2, v[0:1]
	s_cselect_b64 vcc, -1, 0
	v_cndmask_b32_e32 v28, v28, v16, vcc
	global_store_dword v[18:19], v45, off
	v_add_co_u32_e32 v18, vcc, s38, v34
	s_cmp_eq_u32 s14, 6
	v_addc_co_u32_e32 v19, vcc, v5, v35, vcc
	s_waitcnt lgkmcnt(1)
	v_add3_u32 v0, v15, v46, s7
	s_cselect_b64 vcc, -1, 0
	s_cmp_eq_u32 s14, 5
	v_cndmask_b32_e32 v33, v33, v16, vcc
	v_lshlrev_b64 v[34:35], 2, v[0:1]
	s_cselect_b64 vcc, -1, 0
	global_store_dword v[18:19], v40, off
	v_cndmask_b32_e32 v40, v49, v16, vcc
	v_add_co_u32_e32 v18, vcc, s38, v34
	s_cmp_eq_u32 s14, 4
	v_addc_co_u32_e32 v19, vcc, v5, v35, vcc
	s_cselect_b64 vcc, -1, 0
	s_cmp_eq_u32 s14, 3
	v_cndmask_b32_e32 v34, v48, v16, vcc
	s_waitcnt lgkmcnt(0)
	v_add3_u32 v0, v15, v51, s8
	s_cselect_b64 vcc, -1, 0
	s_cmp_eq_u32 s14, 2
	global_store_dword v[18:19], v41, off
	v_cndmask_b32_e32 v35, v36, v16, vcc
	v_lshlrev_b64 v[18:19], 2, v[0:1]
	s_cselect_b64 vcc, -1, 0
	v_cndmask_b32_e32 v0, v37, v16, vcc
	v_add_co_u32_e32 v18, vcc, s38, v18
	s_cmp_eq_u32 s14, 1
	v_addc_co_u32_e32 v19, vcc, v5, v19, vcc
	s_cselect_b64 vcc, -1, 0
	s_cmp_eq_u32 s14, 0
	v_cndmask_b32_e32 v36, v38, v16, vcc
	s_cselect_b64 vcc, -1, 0
	s_or_b32 s14, s9, 2
	s_cmp_eq_u32 s14, 0
	v_cndmask_b32_e32 v16, v39, v16, vcc
	s_cselect_b64 vcc, -1, 0
	s_cmp_eq_u32 s14, 1
	v_cndmask_b32_e32 v16, v16, v42, vcc
	s_cselect_b64 vcc, -1, 0
	s_cmp_eq_u32 s14, 2
	global_store_dword v[18:19], v47, off
	v_cndmask_b32_e32 v18, v36, v42, vcc
	s_cselect_b64 vcc, -1, 0
	s_cmp_eq_u32 s14, 3
	v_cndmask_b32_e32 v0, v0, v42, vcc
	s_cselect_b64 vcc, -1, 0
	s_cmp_eq_u32 s14, 4
	;; [unrolled: 3-line block ×5, first 2 shown]
	v_cndmask_b32_e32 v33, v33, v42, vcc
	s_cselect_b64 vcc, -1, 0
	s_or_b32 s14, s9, 3
	s_cmp_eq_u32 s14, 7
	v_cndmask_b32_e32 v28, v28, v42, vcc
	s_cselect_b64 vcc, -1, 0
	s_cmp_eq_u32 s14, 6
	v_cndmask_b32_e32 v28, v28, v50, vcc
	s_cselect_b64 vcc, -1, 0
	;; [unrolled: 3-line block ×8, first 2 shown]
	v_add_u32_e32 v15, 0x1000, v15
	s_mov_b32 s9, 4
	v_cndmask_b32_e32 v39, v16, v50, vcc
	s_addk_i32 s5, 0xf000
	s_and_b64 vcc, exec, s[2:3]
	s_mov_b64 s[2:3], 0
	s_barrier
	s_cbranch_vccnz .LBB1838_123
; %bb.124:
	s_lshl_b64 s[2:3], s[12:13], 3
	s_add_u32 s2, s40, s2
	s_addc_u32 s3, s41, s3
	v_lshlrev_b32_e32 v0, 3, v7
	v_mov_b32_e32 v1, s3
	v_add_co_u32_e32 v0, vcc, s2, v0
	v_addc_co_u32_e32 v1, vcc, 0, v1, vcc
	v_lshlrev_b32_e32 v2, 3, v6
	v_add_co_u32_e32 v18, vcc, v0, v2
	v_addc_co_u32_e32 v19, vcc, 0, v1, vcc
	global_load_dwordx2 v[0:1], v[18:19], off
	global_load_dwordx2 v[2:3], v[18:19], off offset:512
	global_load_dwordx2 v[4:5], v[18:19], off offset:1024
	;; [unrolled: 1-line block ×7, first 2 shown]
	s_mov_b32 s2, 0
	s_movk_i32 s3, 0x400
	v_add_u32_e32 v21, 0x400, v11
	s_mov_b32 s4, 1
	v_mov_b32_e32 v19, 0
	v_mov_b32_e32 v25, v10
	s_waitcnt vmcnt(0)
.LBB1838_125:                           ; =>This Inner Loop Header: Depth=1
	s_add_i32 s5, s4, -1
	v_add_u32_e32 v18, s2, v27
	s_cmp_eq_u32 s5, 1
	v_add_u32_e32 v40, s2, v23
	v_add_u32_e32 v41, s2, v20
	;; [unrolled: 1-line block ×7, first 2 shown]
	v_min_u32_e32 v18, 0x800, v18
	s_cselect_b64 vcc, -1, 0
	s_cmp_eq_u32 s5, 2
	v_min_u32_e32 v40, 0x800, v40
	v_min_u32_e32 v41, 0x800, v41
	;; [unrolled: 1-line block ×7, first 2 shown]
	v_lshlrev_b32_e32 v18, 3, v18
	v_cndmask_b32_e32 v48, v39, v38, vcc
	s_cselect_b64 vcc, -1, 0
	s_cmp_eq_u32 s5, 3
	v_lshlrev_b32_e32 v40, 3, v40
	v_lshlrev_b32_e32 v41, 3, v41
	;; [unrolled: 1-line block ×7, first 2 shown]
	ds_write_b64 v18, v[0:1] offset:1024
	ds_write_b64 v40, v[2:3] offset:1024
	;; [unrolled: 1-line block ×8, first 2 shown]
	v_cndmask_b32_e32 v18, v48, v37, vcc
	s_cselect_b64 vcc, -1, 0
	s_cmp_eq_u32 s5, 4
	v_cndmask_b32_e32 v18, v18, v36, vcc
	s_cselect_b64 vcc, -1, 0
	s_cmp_eq_u32 s5, 5
	;; [unrolled: 3-line block ×9, first 2 shown]
	v_lshlrev_b32_e32 v18, 2, v18
	v_cndmask_b32_e32 v42, v42, v35, vcc
	s_cselect_b64 vcc, -1, 0
	s_cmp_eq_u32 s4, 6
	s_waitcnt lgkmcnt(0)
	s_barrier
	ds_read_b64 v[40:41], v11 offset:1024
	ds_read_b32 v18, v18
	v_cndmask_b32_e32 v42, v42, v34, vcc
	s_cselect_b64 vcc, -1, 0
	s_cmp_eq_u32 s4, 7
	v_cndmask_b32_e32 v42, v42, v33, vcc
	s_cselect_b64 vcc, -1, 0
	v_cndmask_b32_e32 v42, v42, v28, vcc
	v_lshlrev_b32_e32 v42, 2, v42
	ds_read_b32 v46, v42
	ds_read_b64 v[42:43], v21 offset:8192
	s_waitcnt lgkmcnt(2)
	v_add_u32_e32 v18, v25, v18
	v_lshlrev_b64 v[44:45], 3, v[18:19]
	v_mov_b32_e32 v47, s43
	v_add_co_u32_e32 v44, vcc, s42, v44
	v_addc_co_u32_e32 v45, vcc, v47, v45, vcc
	s_waitcnt lgkmcnt(1)
	v_add3_u32 v18, v25, v46, s3
	global_store_dwordx2 v[44:45], v[40:41], off
	v_lshlrev_b64 v[40:41], 3, v[18:19]
	s_addk_i32 s2, 0xf800
	s_add_i32 s4, s4, 2
	v_add_co_u32_e32 v40, vcc, s42, v40
	s_cmpk_lg_i32 s2, 0xe000
	v_add_u32_e32 v25, 0x800, v25
	v_addc_co_u32_e32 v41, vcc, v47, v41, vcc
	s_waitcnt lgkmcnt(0)
	global_store_dwordx2 v[40:41], v[42:43], off
	s_barrier
	s_cbranch_scc1 .LBB1838_125
; %bb.126:
	s_add_i32 s16, s16, -1
	s_cmp_eq_u32 s16, s33
	s_cselect_b64 s[2:3], -1, 0
	s_and_b64 s[2:3], s[0:1], s[2:3]
                                        ; implicit-def: $vgpr2
	s_and_saveexec_b64 s[0:1], s[2:3]
; %bb.127:
	v_add_u32_e32 v2, v22, v26
	s_or_b64 s[10:11], s[10:11], exec
; %bb.128:
	s_or_b64 exec, exec, s[0:1]
.LBB1838_129:
	s_and_saveexec_b64 s[0:1], s[10:11]
	s_cbranch_execnz .LBB1838_131
; %bb.130:
	s_endpgm
.LBB1838_131:
	v_lshlrev_b32_e32 v0, 2, v10
	ds_read_b32 v1, v0
	s_waitcnt lgkmcnt(0)
	v_add_u32_e32 v1, v1, v2
	global_store_dword v0, v1, s[46:47]
	s_endpgm
.LBB1838_132:
	global_load_dwordx2 v[12:13], v[28:29], off
	s_or_b64 exec, exec, s[22:23]
                                        ; implicit-def: $vgpr14_vgpr15
	s_and_saveexec_b64 s[2:3], s[26:27]
	s_cbranch_execz .LBB1838_70
.LBB1838_133:
	global_load_dwordx2 v[14:15], v[28:29], off offset:512
	s_or_b64 exec, exec, s[2:3]
                                        ; implicit-def: $vgpr16_vgpr17
	s_and_saveexec_b64 s[2:3], s[8:9]
	s_cbranch_execz .LBB1838_71
.LBB1838_134:
	global_load_dwordx2 v[16:17], v[28:29], off offset:1024
	s_or_b64 exec, exec, s[2:3]
                                        ; implicit-def: $vgpr18_vgpr19
	s_and_saveexec_b64 s[2:3], s[10:11]
	s_cbranch_execz .LBB1838_72
.LBB1838_135:
	global_load_dwordx2 v[18:19], v[28:29], off offset:1536
	s_or_b64 exec, exec, s[2:3]
                                        ; implicit-def: $vgpr20_vgpr21
	s_and_saveexec_b64 s[2:3], s[12:13]
	s_cbranch_execz .LBB1838_73
.LBB1838_136:
	global_load_dwordx2 v[20:21], v[28:29], off offset:2048
	s_or_b64 exec, exec, s[2:3]
                                        ; implicit-def: $vgpr22_vgpr23
	s_and_saveexec_b64 s[2:3], s[14:15]
	s_cbranch_execz .LBB1838_74
.LBB1838_137:
	global_load_dwordx2 v[22:23], v[28:29], off offset:2560
	s_or_b64 exec, exec, s[2:3]
                                        ; implicit-def: $vgpr24_vgpr25
	s_and_saveexec_b64 s[2:3], s[16:17]
	s_cbranch_execz .LBB1838_75
.LBB1838_138:
	global_load_dwordx2 v[24:25], v[28:29], off offset:3072
	s_or_b64 exec, exec, s[2:3]
                                        ; implicit-def: $vgpr26_vgpr27
	s_and_saveexec_b64 s[2:3], s[18:19]
	s_cbranch_execnz .LBB1838_76
	s_branch .LBB1838_77
	.section	.rodata,"a",@progbits
	.p2align	6, 0x0
	.amdhsa_kernel _ZN7rocprim17ROCPRIM_400000_NS6detail17trampoline_kernelINS0_14default_configENS1_35radix_sort_onesweep_config_selectorIflEEZZNS1_29radix_sort_onesweep_iterationIS3_Lb0EPfS7_N6thrust23THRUST_200600_302600_NS10device_ptrIlEESB_jNS0_19identity_decomposerENS1_16block_id_wrapperIjLb1EEEEE10hipError_tT1_PNSt15iterator_traitsISG_E10value_typeET2_T3_PNSH_ISM_E10value_typeET4_T5_PSR_SS_PNS1_23onesweep_lookback_stateEbbT6_jjT7_P12ihipStream_tbENKUlT_T0_SG_SL_E_clIS7_S7_SB_SB_EEDaSZ_S10_SG_SL_EUlSZ_E_NS1_11comp_targetILNS1_3genE4ELNS1_11target_archE910ELNS1_3gpuE8ELNS1_3repE0EEENS1_47radix_sort_onesweep_sort_config_static_selectorELNS0_4arch9wavefront6targetE1EEEvSG_
		.amdhsa_group_segment_fixed_size 20552
		.amdhsa_private_segment_fixed_size 0
		.amdhsa_kernarg_size 344
		.amdhsa_user_sgpr_count 6
		.amdhsa_user_sgpr_private_segment_buffer 1
		.amdhsa_user_sgpr_dispatch_ptr 0
		.amdhsa_user_sgpr_queue_ptr 0
		.amdhsa_user_sgpr_kernarg_segment_ptr 1
		.amdhsa_user_sgpr_dispatch_id 0
		.amdhsa_user_sgpr_flat_scratch_init 0
		.amdhsa_user_sgpr_kernarg_preload_length 0
		.amdhsa_user_sgpr_kernarg_preload_offset 0
		.amdhsa_user_sgpr_private_segment_size 0
		.amdhsa_uses_dynamic_stack 0
		.amdhsa_system_sgpr_private_segment_wavefront_offset 0
		.amdhsa_system_sgpr_workgroup_id_x 1
		.amdhsa_system_sgpr_workgroup_id_y 0
		.amdhsa_system_sgpr_workgroup_id_z 0
		.amdhsa_system_sgpr_workgroup_info 0
		.amdhsa_system_vgpr_workitem_id 2
		.amdhsa_next_free_vgpr 65
		.amdhsa_next_free_sgpr 56
		.amdhsa_accum_offset 68
		.amdhsa_reserve_vcc 1
		.amdhsa_reserve_flat_scratch 0
		.amdhsa_float_round_mode_32 0
		.amdhsa_float_round_mode_16_64 0
		.amdhsa_float_denorm_mode_32 3
		.amdhsa_float_denorm_mode_16_64 3
		.amdhsa_dx10_clamp 1
		.amdhsa_ieee_mode 1
		.amdhsa_fp16_overflow 0
		.amdhsa_tg_split 0
		.amdhsa_exception_fp_ieee_invalid_op 0
		.amdhsa_exception_fp_denorm_src 0
		.amdhsa_exception_fp_ieee_div_zero 0
		.amdhsa_exception_fp_ieee_overflow 0
		.amdhsa_exception_fp_ieee_underflow 0
		.amdhsa_exception_fp_ieee_inexact 0
		.amdhsa_exception_int_div_zero 0
	.end_amdhsa_kernel
	.section	.text._ZN7rocprim17ROCPRIM_400000_NS6detail17trampoline_kernelINS0_14default_configENS1_35radix_sort_onesweep_config_selectorIflEEZZNS1_29radix_sort_onesweep_iterationIS3_Lb0EPfS7_N6thrust23THRUST_200600_302600_NS10device_ptrIlEESB_jNS0_19identity_decomposerENS1_16block_id_wrapperIjLb1EEEEE10hipError_tT1_PNSt15iterator_traitsISG_E10value_typeET2_T3_PNSH_ISM_E10value_typeET4_T5_PSR_SS_PNS1_23onesweep_lookback_stateEbbT6_jjT7_P12ihipStream_tbENKUlT_T0_SG_SL_E_clIS7_S7_SB_SB_EEDaSZ_S10_SG_SL_EUlSZ_E_NS1_11comp_targetILNS1_3genE4ELNS1_11target_archE910ELNS1_3gpuE8ELNS1_3repE0EEENS1_47radix_sort_onesweep_sort_config_static_selectorELNS0_4arch9wavefront6targetE1EEEvSG_,"axG",@progbits,_ZN7rocprim17ROCPRIM_400000_NS6detail17trampoline_kernelINS0_14default_configENS1_35radix_sort_onesweep_config_selectorIflEEZZNS1_29radix_sort_onesweep_iterationIS3_Lb0EPfS7_N6thrust23THRUST_200600_302600_NS10device_ptrIlEESB_jNS0_19identity_decomposerENS1_16block_id_wrapperIjLb1EEEEE10hipError_tT1_PNSt15iterator_traitsISG_E10value_typeET2_T3_PNSH_ISM_E10value_typeET4_T5_PSR_SS_PNS1_23onesweep_lookback_stateEbbT6_jjT7_P12ihipStream_tbENKUlT_T0_SG_SL_E_clIS7_S7_SB_SB_EEDaSZ_S10_SG_SL_EUlSZ_E_NS1_11comp_targetILNS1_3genE4ELNS1_11target_archE910ELNS1_3gpuE8ELNS1_3repE0EEENS1_47radix_sort_onesweep_sort_config_static_selectorELNS0_4arch9wavefront6targetE1EEEvSG_,comdat
.Lfunc_end1838:
	.size	_ZN7rocprim17ROCPRIM_400000_NS6detail17trampoline_kernelINS0_14default_configENS1_35radix_sort_onesweep_config_selectorIflEEZZNS1_29radix_sort_onesweep_iterationIS3_Lb0EPfS7_N6thrust23THRUST_200600_302600_NS10device_ptrIlEESB_jNS0_19identity_decomposerENS1_16block_id_wrapperIjLb1EEEEE10hipError_tT1_PNSt15iterator_traitsISG_E10value_typeET2_T3_PNSH_ISM_E10value_typeET4_T5_PSR_SS_PNS1_23onesweep_lookback_stateEbbT6_jjT7_P12ihipStream_tbENKUlT_T0_SG_SL_E_clIS7_S7_SB_SB_EEDaSZ_S10_SG_SL_EUlSZ_E_NS1_11comp_targetILNS1_3genE4ELNS1_11target_archE910ELNS1_3gpuE8ELNS1_3repE0EEENS1_47radix_sort_onesweep_sort_config_static_selectorELNS0_4arch9wavefront6targetE1EEEvSG_, .Lfunc_end1838-_ZN7rocprim17ROCPRIM_400000_NS6detail17trampoline_kernelINS0_14default_configENS1_35radix_sort_onesweep_config_selectorIflEEZZNS1_29radix_sort_onesweep_iterationIS3_Lb0EPfS7_N6thrust23THRUST_200600_302600_NS10device_ptrIlEESB_jNS0_19identity_decomposerENS1_16block_id_wrapperIjLb1EEEEE10hipError_tT1_PNSt15iterator_traitsISG_E10value_typeET2_T3_PNSH_ISM_E10value_typeET4_T5_PSR_SS_PNS1_23onesweep_lookback_stateEbbT6_jjT7_P12ihipStream_tbENKUlT_T0_SG_SL_E_clIS7_S7_SB_SB_EEDaSZ_S10_SG_SL_EUlSZ_E_NS1_11comp_targetILNS1_3genE4ELNS1_11target_archE910ELNS1_3gpuE8ELNS1_3repE0EEENS1_47radix_sort_onesweep_sort_config_static_selectorELNS0_4arch9wavefront6targetE1EEEvSG_
                                        ; -- End function
	.section	.AMDGPU.csdata,"",@progbits
; Kernel info:
; codeLenInByte = 13568
; NumSgprs: 60
; NumVgprs: 65
; NumAgprs: 0
; TotalNumVgprs: 65
; ScratchSize: 0
; MemoryBound: 0
; FloatMode: 240
; IeeeMode: 1
; LDSByteSize: 20552 bytes/workgroup (compile time only)
; SGPRBlocks: 7
; VGPRBlocks: 8
; NumSGPRsForWavesPerEU: 60
; NumVGPRsForWavesPerEU: 65
; AccumOffset: 68
; Occupancy: 7
; WaveLimiterHint : 1
; COMPUTE_PGM_RSRC2:SCRATCH_EN: 0
; COMPUTE_PGM_RSRC2:USER_SGPR: 6
; COMPUTE_PGM_RSRC2:TRAP_HANDLER: 0
; COMPUTE_PGM_RSRC2:TGID_X_EN: 1
; COMPUTE_PGM_RSRC2:TGID_Y_EN: 0
; COMPUTE_PGM_RSRC2:TGID_Z_EN: 0
; COMPUTE_PGM_RSRC2:TIDIG_COMP_CNT: 2
; COMPUTE_PGM_RSRC3_GFX90A:ACCUM_OFFSET: 16
; COMPUTE_PGM_RSRC3_GFX90A:TG_SPLIT: 0
	.section	.text._ZN7rocprim17ROCPRIM_400000_NS6detail17trampoline_kernelINS0_14default_configENS1_35radix_sort_onesweep_config_selectorIflEEZZNS1_29radix_sort_onesweep_iterationIS3_Lb0EPfS7_N6thrust23THRUST_200600_302600_NS10device_ptrIlEESB_jNS0_19identity_decomposerENS1_16block_id_wrapperIjLb1EEEEE10hipError_tT1_PNSt15iterator_traitsISG_E10value_typeET2_T3_PNSH_ISM_E10value_typeET4_T5_PSR_SS_PNS1_23onesweep_lookback_stateEbbT6_jjT7_P12ihipStream_tbENKUlT_T0_SG_SL_E_clIS7_S7_SB_SB_EEDaSZ_S10_SG_SL_EUlSZ_E_NS1_11comp_targetILNS1_3genE3ELNS1_11target_archE908ELNS1_3gpuE7ELNS1_3repE0EEENS1_47radix_sort_onesweep_sort_config_static_selectorELNS0_4arch9wavefront6targetE1EEEvSG_,"axG",@progbits,_ZN7rocprim17ROCPRIM_400000_NS6detail17trampoline_kernelINS0_14default_configENS1_35radix_sort_onesweep_config_selectorIflEEZZNS1_29radix_sort_onesweep_iterationIS3_Lb0EPfS7_N6thrust23THRUST_200600_302600_NS10device_ptrIlEESB_jNS0_19identity_decomposerENS1_16block_id_wrapperIjLb1EEEEE10hipError_tT1_PNSt15iterator_traitsISG_E10value_typeET2_T3_PNSH_ISM_E10value_typeET4_T5_PSR_SS_PNS1_23onesweep_lookback_stateEbbT6_jjT7_P12ihipStream_tbENKUlT_T0_SG_SL_E_clIS7_S7_SB_SB_EEDaSZ_S10_SG_SL_EUlSZ_E_NS1_11comp_targetILNS1_3genE3ELNS1_11target_archE908ELNS1_3gpuE7ELNS1_3repE0EEENS1_47radix_sort_onesweep_sort_config_static_selectorELNS0_4arch9wavefront6targetE1EEEvSG_,comdat
	.protected	_ZN7rocprim17ROCPRIM_400000_NS6detail17trampoline_kernelINS0_14default_configENS1_35radix_sort_onesweep_config_selectorIflEEZZNS1_29radix_sort_onesweep_iterationIS3_Lb0EPfS7_N6thrust23THRUST_200600_302600_NS10device_ptrIlEESB_jNS0_19identity_decomposerENS1_16block_id_wrapperIjLb1EEEEE10hipError_tT1_PNSt15iterator_traitsISG_E10value_typeET2_T3_PNSH_ISM_E10value_typeET4_T5_PSR_SS_PNS1_23onesweep_lookback_stateEbbT6_jjT7_P12ihipStream_tbENKUlT_T0_SG_SL_E_clIS7_S7_SB_SB_EEDaSZ_S10_SG_SL_EUlSZ_E_NS1_11comp_targetILNS1_3genE3ELNS1_11target_archE908ELNS1_3gpuE7ELNS1_3repE0EEENS1_47radix_sort_onesweep_sort_config_static_selectorELNS0_4arch9wavefront6targetE1EEEvSG_ ; -- Begin function _ZN7rocprim17ROCPRIM_400000_NS6detail17trampoline_kernelINS0_14default_configENS1_35radix_sort_onesweep_config_selectorIflEEZZNS1_29radix_sort_onesweep_iterationIS3_Lb0EPfS7_N6thrust23THRUST_200600_302600_NS10device_ptrIlEESB_jNS0_19identity_decomposerENS1_16block_id_wrapperIjLb1EEEEE10hipError_tT1_PNSt15iterator_traitsISG_E10value_typeET2_T3_PNSH_ISM_E10value_typeET4_T5_PSR_SS_PNS1_23onesweep_lookback_stateEbbT6_jjT7_P12ihipStream_tbENKUlT_T0_SG_SL_E_clIS7_S7_SB_SB_EEDaSZ_S10_SG_SL_EUlSZ_E_NS1_11comp_targetILNS1_3genE3ELNS1_11target_archE908ELNS1_3gpuE7ELNS1_3repE0EEENS1_47radix_sort_onesweep_sort_config_static_selectorELNS0_4arch9wavefront6targetE1EEEvSG_
	.globl	_ZN7rocprim17ROCPRIM_400000_NS6detail17trampoline_kernelINS0_14default_configENS1_35radix_sort_onesweep_config_selectorIflEEZZNS1_29radix_sort_onesweep_iterationIS3_Lb0EPfS7_N6thrust23THRUST_200600_302600_NS10device_ptrIlEESB_jNS0_19identity_decomposerENS1_16block_id_wrapperIjLb1EEEEE10hipError_tT1_PNSt15iterator_traitsISG_E10value_typeET2_T3_PNSH_ISM_E10value_typeET4_T5_PSR_SS_PNS1_23onesweep_lookback_stateEbbT6_jjT7_P12ihipStream_tbENKUlT_T0_SG_SL_E_clIS7_S7_SB_SB_EEDaSZ_S10_SG_SL_EUlSZ_E_NS1_11comp_targetILNS1_3genE3ELNS1_11target_archE908ELNS1_3gpuE7ELNS1_3repE0EEENS1_47radix_sort_onesweep_sort_config_static_selectorELNS0_4arch9wavefront6targetE1EEEvSG_
	.p2align	8
	.type	_ZN7rocprim17ROCPRIM_400000_NS6detail17trampoline_kernelINS0_14default_configENS1_35radix_sort_onesweep_config_selectorIflEEZZNS1_29radix_sort_onesweep_iterationIS3_Lb0EPfS7_N6thrust23THRUST_200600_302600_NS10device_ptrIlEESB_jNS0_19identity_decomposerENS1_16block_id_wrapperIjLb1EEEEE10hipError_tT1_PNSt15iterator_traitsISG_E10value_typeET2_T3_PNSH_ISM_E10value_typeET4_T5_PSR_SS_PNS1_23onesweep_lookback_stateEbbT6_jjT7_P12ihipStream_tbENKUlT_T0_SG_SL_E_clIS7_S7_SB_SB_EEDaSZ_S10_SG_SL_EUlSZ_E_NS1_11comp_targetILNS1_3genE3ELNS1_11target_archE908ELNS1_3gpuE7ELNS1_3repE0EEENS1_47radix_sort_onesweep_sort_config_static_selectorELNS0_4arch9wavefront6targetE1EEEvSG_,@function
_ZN7rocprim17ROCPRIM_400000_NS6detail17trampoline_kernelINS0_14default_configENS1_35radix_sort_onesweep_config_selectorIflEEZZNS1_29radix_sort_onesweep_iterationIS3_Lb0EPfS7_N6thrust23THRUST_200600_302600_NS10device_ptrIlEESB_jNS0_19identity_decomposerENS1_16block_id_wrapperIjLb1EEEEE10hipError_tT1_PNSt15iterator_traitsISG_E10value_typeET2_T3_PNSH_ISM_E10value_typeET4_T5_PSR_SS_PNS1_23onesweep_lookback_stateEbbT6_jjT7_P12ihipStream_tbENKUlT_T0_SG_SL_E_clIS7_S7_SB_SB_EEDaSZ_S10_SG_SL_EUlSZ_E_NS1_11comp_targetILNS1_3genE3ELNS1_11target_archE908ELNS1_3gpuE7ELNS1_3repE0EEENS1_47radix_sort_onesweep_sort_config_static_selectorELNS0_4arch9wavefront6targetE1EEEvSG_: ; @_ZN7rocprim17ROCPRIM_400000_NS6detail17trampoline_kernelINS0_14default_configENS1_35radix_sort_onesweep_config_selectorIflEEZZNS1_29radix_sort_onesweep_iterationIS3_Lb0EPfS7_N6thrust23THRUST_200600_302600_NS10device_ptrIlEESB_jNS0_19identity_decomposerENS1_16block_id_wrapperIjLb1EEEEE10hipError_tT1_PNSt15iterator_traitsISG_E10value_typeET2_T3_PNSH_ISM_E10value_typeET4_T5_PSR_SS_PNS1_23onesweep_lookback_stateEbbT6_jjT7_P12ihipStream_tbENKUlT_T0_SG_SL_E_clIS7_S7_SB_SB_EEDaSZ_S10_SG_SL_EUlSZ_E_NS1_11comp_targetILNS1_3genE3ELNS1_11target_archE908ELNS1_3gpuE7ELNS1_3repE0EEENS1_47radix_sort_onesweep_sort_config_static_selectorELNS0_4arch9wavefront6targetE1EEEvSG_
; %bb.0:
	.section	.rodata,"a",@progbits
	.p2align	6, 0x0
	.amdhsa_kernel _ZN7rocprim17ROCPRIM_400000_NS6detail17trampoline_kernelINS0_14default_configENS1_35radix_sort_onesweep_config_selectorIflEEZZNS1_29radix_sort_onesweep_iterationIS3_Lb0EPfS7_N6thrust23THRUST_200600_302600_NS10device_ptrIlEESB_jNS0_19identity_decomposerENS1_16block_id_wrapperIjLb1EEEEE10hipError_tT1_PNSt15iterator_traitsISG_E10value_typeET2_T3_PNSH_ISM_E10value_typeET4_T5_PSR_SS_PNS1_23onesweep_lookback_stateEbbT6_jjT7_P12ihipStream_tbENKUlT_T0_SG_SL_E_clIS7_S7_SB_SB_EEDaSZ_S10_SG_SL_EUlSZ_E_NS1_11comp_targetILNS1_3genE3ELNS1_11target_archE908ELNS1_3gpuE7ELNS1_3repE0EEENS1_47radix_sort_onesweep_sort_config_static_selectorELNS0_4arch9wavefront6targetE1EEEvSG_
		.amdhsa_group_segment_fixed_size 0
		.amdhsa_private_segment_fixed_size 0
		.amdhsa_kernarg_size 88
		.amdhsa_user_sgpr_count 6
		.amdhsa_user_sgpr_private_segment_buffer 1
		.amdhsa_user_sgpr_dispatch_ptr 0
		.amdhsa_user_sgpr_queue_ptr 0
		.amdhsa_user_sgpr_kernarg_segment_ptr 1
		.amdhsa_user_sgpr_dispatch_id 0
		.amdhsa_user_sgpr_flat_scratch_init 0
		.amdhsa_user_sgpr_kernarg_preload_length 0
		.amdhsa_user_sgpr_kernarg_preload_offset 0
		.amdhsa_user_sgpr_private_segment_size 0
		.amdhsa_uses_dynamic_stack 0
		.amdhsa_system_sgpr_private_segment_wavefront_offset 0
		.amdhsa_system_sgpr_workgroup_id_x 1
		.amdhsa_system_sgpr_workgroup_id_y 0
		.amdhsa_system_sgpr_workgroup_id_z 0
		.amdhsa_system_sgpr_workgroup_info 0
		.amdhsa_system_vgpr_workitem_id 0
		.amdhsa_next_free_vgpr 1
		.amdhsa_next_free_sgpr 0
		.amdhsa_accum_offset 4
		.amdhsa_reserve_vcc 0
		.amdhsa_reserve_flat_scratch 0
		.amdhsa_float_round_mode_32 0
		.amdhsa_float_round_mode_16_64 0
		.amdhsa_float_denorm_mode_32 3
		.amdhsa_float_denorm_mode_16_64 3
		.amdhsa_dx10_clamp 1
		.amdhsa_ieee_mode 1
		.amdhsa_fp16_overflow 0
		.amdhsa_tg_split 0
		.amdhsa_exception_fp_ieee_invalid_op 0
		.amdhsa_exception_fp_denorm_src 0
		.amdhsa_exception_fp_ieee_div_zero 0
		.amdhsa_exception_fp_ieee_overflow 0
		.amdhsa_exception_fp_ieee_underflow 0
		.amdhsa_exception_fp_ieee_inexact 0
		.amdhsa_exception_int_div_zero 0
	.end_amdhsa_kernel
	.section	.text._ZN7rocprim17ROCPRIM_400000_NS6detail17trampoline_kernelINS0_14default_configENS1_35radix_sort_onesweep_config_selectorIflEEZZNS1_29radix_sort_onesweep_iterationIS3_Lb0EPfS7_N6thrust23THRUST_200600_302600_NS10device_ptrIlEESB_jNS0_19identity_decomposerENS1_16block_id_wrapperIjLb1EEEEE10hipError_tT1_PNSt15iterator_traitsISG_E10value_typeET2_T3_PNSH_ISM_E10value_typeET4_T5_PSR_SS_PNS1_23onesweep_lookback_stateEbbT6_jjT7_P12ihipStream_tbENKUlT_T0_SG_SL_E_clIS7_S7_SB_SB_EEDaSZ_S10_SG_SL_EUlSZ_E_NS1_11comp_targetILNS1_3genE3ELNS1_11target_archE908ELNS1_3gpuE7ELNS1_3repE0EEENS1_47radix_sort_onesweep_sort_config_static_selectorELNS0_4arch9wavefront6targetE1EEEvSG_,"axG",@progbits,_ZN7rocprim17ROCPRIM_400000_NS6detail17trampoline_kernelINS0_14default_configENS1_35radix_sort_onesweep_config_selectorIflEEZZNS1_29radix_sort_onesweep_iterationIS3_Lb0EPfS7_N6thrust23THRUST_200600_302600_NS10device_ptrIlEESB_jNS0_19identity_decomposerENS1_16block_id_wrapperIjLb1EEEEE10hipError_tT1_PNSt15iterator_traitsISG_E10value_typeET2_T3_PNSH_ISM_E10value_typeET4_T5_PSR_SS_PNS1_23onesweep_lookback_stateEbbT6_jjT7_P12ihipStream_tbENKUlT_T0_SG_SL_E_clIS7_S7_SB_SB_EEDaSZ_S10_SG_SL_EUlSZ_E_NS1_11comp_targetILNS1_3genE3ELNS1_11target_archE908ELNS1_3gpuE7ELNS1_3repE0EEENS1_47radix_sort_onesweep_sort_config_static_selectorELNS0_4arch9wavefront6targetE1EEEvSG_,comdat
.Lfunc_end1839:
	.size	_ZN7rocprim17ROCPRIM_400000_NS6detail17trampoline_kernelINS0_14default_configENS1_35radix_sort_onesweep_config_selectorIflEEZZNS1_29radix_sort_onesweep_iterationIS3_Lb0EPfS7_N6thrust23THRUST_200600_302600_NS10device_ptrIlEESB_jNS0_19identity_decomposerENS1_16block_id_wrapperIjLb1EEEEE10hipError_tT1_PNSt15iterator_traitsISG_E10value_typeET2_T3_PNSH_ISM_E10value_typeET4_T5_PSR_SS_PNS1_23onesweep_lookback_stateEbbT6_jjT7_P12ihipStream_tbENKUlT_T0_SG_SL_E_clIS7_S7_SB_SB_EEDaSZ_S10_SG_SL_EUlSZ_E_NS1_11comp_targetILNS1_3genE3ELNS1_11target_archE908ELNS1_3gpuE7ELNS1_3repE0EEENS1_47radix_sort_onesweep_sort_config_static_selectorELNS0_4arch9wavefront6targetE1EEEvSG_, .Lfunc_end1839-_ZN7rocprim17ROCPRIM_400000_NS6detail17trampoline_kernelINS0_14default_configENS1_35radix_sort_onesweep_config_selectorIflEEZZNS1_29radix_sort_onesweep_iterationIS3_Lb0EPfS7_N6thrust23THRUST_200600_302600_NS10device_ptrIlEESB_jNS0_19identity_decomposerENS1_16block_id_wrapperIjLb1EEEEE10hipError_tT1_PNSt15iterator_traitsISG_E10value_typeET2_T3_PNSH_ISM_E10value_typeET4_T5_PSR_SS_PNS1_23onesweep_lookback_stateEbbT6_jjT7_P12ihipStream_tbENKUlT_T0_SG_SL_E_clIS7_S7_SB_SB_EEDaSZ_S10_SG_SL_EUlSZ_E_NS1_11comp_targetILNS1_3genE3ELNS1_11target_archE908ELNS1_3gpuE7ELNS1_3repE0EEENS1_47radix_sort_onesweep_sort_config_static_selectorELNS0_4arch9wavefront6targetE1EEEvSG_
                                        ; -- End function
	.section	.AMDGPU.csdata,"",@progbits
; Kernel info:
; codeLenInByte = 0
; NumSgprs: 4
; NumVgprs: 0
; NumAgprs: 0
; TotalNumVgprs: 0
; ScratchSize: 0
; MemoryBound: 0
; FloatMode: 240
; IeeeMode: 1
; LDSByteSize: 0 bytes/workgroup (compile time only)
; SGPRBlocks: 0
; VGPRBlocks: 0
; NumSGPRsForWavesPerEU: 4
; NumVGPRsForWavesPerEU: 1
; AccumOffset: 4
; Occupancy: 8
; WaveLimiterHint : 0
; COMPUTE_PGM_RSRC2:SCRATCH_EN: 0
; COMPUTE_PGM_RSRC2:USER_SGPR: 6
; COMPUTE_PGM_RSRC2:TRAP_HANDLER: 0
; COMPUTE_PGM_RSRC2:TGID_X_EN: 1
; COMPUTE_PGM_RSRC2:TGID_Y_EN: 0
; COMPUTE_PGM_RSRC2:TGID_Z_EN: 0
; COMPUTE_PGM_RSRC2:TIDIG_COMP_CNT: 0
; COMPUTE_PGM_RSRC3_GFX90A:ACCUM_OFFSET: 0
; COMPUTE_PGM_RSRC3_GFX90A:TG_SPLIT: 0
	.section	.text._ZN7rocprim17ROCPRIM_400000_NS6detail17trampoline_kernelINS0_14default_configENS1_35radix_sort_onesweep_config_selectorIflEEZZNS1_29radix_sort_onesweep_iterationIS3_Lb0EPfS7_N6thrust23THRUST_200600_302600_NS10device_ptrIlEESB_jNS0_19identity_decomposerENS1_16block_id_wrapperIjLb1EEEEE10hipError_tT1_PNSt15iterator_traitsISG_E10value_typeET2_T3_PNSH_ISM_E10value_typeET4_T5_PSR_SS_PNS1_23onesweep_lookback_stateEbbT6_jjT7_P12ihipStream_tbENKUlT_T0_SG_SL_E_clIS7_S7_SB_SB_EEDaSZ_S10_SG_SL_EUlSZ_E_NS1_11comp_targetILNS1_3genE10ELNS1_11target_archE1201ELNS1_3gpuE5ELNS1_3repE0EEENS1_47radix_sort_onesweep_sort_config_static_selectorELNS0_4arch9wavefront6targetE1EEEvSG_,"axG",@progbits,_ZN7rocprim17ROCPRIM_400000_NS6detail17trampoline_kernelINS0_14default_configENS1_35radix_sort_onesweep_config_selectorIflEEZZNS1_29radix_sort_onesweep_iterationIS3_Lb0EPfS7_N6thrust23THRUST_200600_302600_NS10device_ptrIlEESB_jNS0_19identity_decomposerENS1_16block_id_wrapperIjLb1EEEEE10hipError_tT1_PNSt15iterator_traitsISG_E10value_typeET2_T3_PNSH_ISM_E10value_typeET4_T5_PSR_SS_PNS1_23onesweep_lookback_stateEbbT6_jjT7_P12ihipStream_tbENKUlT_T0_SG_SL_E_clIS7_S7_SB_SB_EEDaSZ_S10_SG_SL_EUlSZ_E_NS1_11comp_targetILNS1_3genE10ELNS1_11target_archE1201ELNS1_3gpuE5ELNS1_3repE0EEENS1_47radix_sort_onesweep_sort_config_static_selectorELNS0_4arch9wavefront6targetE1EEEvSG_,comdat
	.protected	_ZN7rocprim17ROCPRIM_400000_NS6detail17trampoline_kernelINS0_14default_configENS1_35radix_sort_onesweep_config_selectorIflEEZZNS1_29radix_sort_onesweep_iterationIS3_Lb0EPfS7_N6thrust23THRUST_200600_302600_NS10device_ptrIlEESB_jNS0_19identity_decomposerENS1_16block_id_wrapperIjLb1EEEEE10hipError_tT1_PNSt15iterator_traitsISG_E10value_typeET2_T3_PNSH_ISM_E10value_typeET4_T5_PSR_SS_PNS1_23onesweep_lookback_stateEbbT6_jjT7_P12ihipStream_tbENKUlT_T0_SG_SL_E_clIS7_S7_SB_SB_EEDaSZ_S10_SG_SL_EUlSZ_E_NS1_11comp_targetILNS1_3genE10ELNS1_11target_archE1201ELNS1_3gpuE5ELNS1_3repE0EEENS1_47radix_sort_onesweep_sort_config_static_selectorELNS0_4arch9wavefront6targetE1EEEvSG_ ; -- Begin function _ZN7rocprim17ROCPRIM_400000_NS6detail17trampoline_kernelINS0_14default_configENS1_35radix_sort_onesweep_config_selectorIflEEZZNS1_29radix_sort_onesweep_iterationIS3_Lb0EPfS7_N6thrust23THRUST_200600_302600_NS10device_ptrIlEESB_jNS0_19identity_decomposerENS1_16block_id_wrapperIjLb1EEEEE10hipError_tT1_PNSt15iterator_traitsISG_E10value_typeET2_T3_PNSH_ISM_E10value_typeET4_T5_PSR_SS_PNS1_23onesweep_lookback_stateEbbT6_jjT7_P12ihipStream_tbENKUlT_T0_SG_SL_E_clIS7_S7_SB_SB_EEDaSZ_S10_SG_SL_EUlSZ_E_NS1_11comp_targetILNS1_3genE10ELNS1_11target_archE1201ELNS1_3gpuE5ELNS1_3repE0EEENS1_47radix_sort_onesweep_sort_config_static_selectorELNS0_4arch9wavefront6targetE1EEEvSG_
	.globl	_ZN7rocprim17ROCPRIM_400000_NS6detail17trampoline_kernelINS0_14default_configENS1_35radix_sort_onesweep_config_selectorIflEEZZNS1_29radix_sort_onesweep_iterationIS3_Lb0EPfS7_N6thrust23THRUST_200600_302600_NS10device_ptrIlEESB_jNS0_19identity_decomposerENS1_16block_id_wrapperIjLb1EEEEE10hipError_tT1_PNSt15iterator_traitsISG_E10value_typeET2_T3_PNSH_ISM_E10value_typeET4_T5_PSR_SS_PNS1_23onesweep_lookback_stateEbbT6_jjT7_P12ihipStream_tbENKUlT_T0_SG_SL_E_clIS7_S7_SB_SB_EEDaSZ_S10_SG_SL_EUlSZ_E_NS1_11comp_targetILNS1_3genE10ELNS1_11target_archE1201ELNS1_3gpuE5ELNS1_3repE0EEENS1_47radix_sort_onesweep_sort_config_static_selectorELNS0_4arch9wavefront6targetE1EEEvSG_
	.p2align	8
	.type	_ZN7rocprim17ROCPRIM_400000_NS6detail17trampoline_kernelINS0_14default_configENS1_35radix_sort_onesweep_config_selectorIflEEZZNS1_29radix_sort_onesweep_iterationIS3_Lb0EPfS7_N6thrust23THRUST_200600_302600_NS10device_ptrIlEESB_jNS0_19identity_decomposerENS1_16block_id_wrapperIjLb1EEEEE10hipError_tT1_PNSt15iterator_traitsISG_E10value_typeET2_T3_PNSH_ISM_E10value_typeET4_T5_PSR_SS_PNS1_23onesweep_lookback_stateEbbT6_jjT7_P12ihipStream_tbENKUlT_T0_SG_SL_E_clIS7_S7_SB_SB_EEDaSZ_S10_SG_SL_EUlSZ_E_NS1_11comp_targetILNS1_3genE10ELNS1_11target_archE1201ELNS1_3gpuE5ELNS1_3repE0EEENS1_47radix_sort_onesweep_sort_config_static_selectorELNS0_4arch9wavefront6targetE1EEEvSG_,@function
_ZN7rocprim17ROCPRIM_400000_NS6detail17trampoline_kernelINS0_14default_configENS1_35radix_sort_onesweep_config_selectorIflEEZZNS1_29radix_sort_onesweep_iterationIS3_Lb0EPfS7_N6thrust23THRUST_200600_302600_NS10device_ptrIlEESB_jNS0_19identity_decomposerENS1_16block_id_wrapperIjLb1EEEEE10hipError_tT1_PNSt15iterator_traitsISG_E10value_typeET2_T3_PNSH_ISM_E10value_typeET4_T5_PSR_SS_PNS1_23onesweep_lookback_stateEbbT6_jjT7_P12ihipStream_tbENKUlT_T0_SG_SL_E_clIS7_S7_SB_SB_EEDaSZ_S10_SG_SL_EUlSZ_E_NS1_11comp_targetILNS1_3genE10ELNS1_11target_archE1201ELNS1_3gpuE5ELNS1_3repE0EEENS1_47radix_sort_onesweep_sort_config_static_selectorELNS0_4arch9wavefront6targetE1EEEvSG_: ; @_ZN7rocprim17ROCPRIM_400000_NS6detail17trampoline_kernelINS0_14default_configENS1_35radix_sort_onesweep_config_selectorIflEEZZNS1_29radix_sort_onesweep_iterationIS3_Lb0EPfS7_N6thrust23THRUST_200600_302600_NS10device_ptrIlEESB_jNS0_19identity_decomposerENS1_16block_id_wrapperIjLb1EEEEE10hipError_tT1_PNSt15iterator_traitsISG_E10value_typeET2_T3_PNSH_ISM_E10value_typeET4_T5_PSR_SS_PNS1_23onesweep_lookback_stateEbbT6_jjT7_P12ihipStream_tbENKUlT_T0_SG_SL_E_clIS7_S7_SB_SB_EEDaSZ_S10_SG_SL_EUlSZ_E_NS1_11comp_targetILNS1_3genE10ELNS1_11target_archE1201ELNS1_3gpuE5ELNS1_3repE0EEENS1_47radix_sort_onesweep_sort_config_static_selectorELNS0_4arch9wavefront6targetE1EEEvSG_
; %bb.0:
	.section	.rodata,"a",@progbits
	.p2align	6, 0x0
	.amdhsa_kernel _ZN7rocprim17ROCPRIM_400000_NS6detail17trampoline_kernelINS0_14default_configENS1_35radix_sort_onesweep_config_selectorIflEEZZNS1_29radix_sort_onesweep_iterationIS3_Lb0EPfS7_N6thrust23THRUST_200600_302600_NS10device_ptrIlEESB_jNS0_19identity_decomposerENS1_16block_id_wrapperIjLb1EEEEE10hipError_tT1_PNSt15iterator_traitsISG_E10value_typeET2_T3_PNSH_ISM_E10value_typeET4_T5_PSR_SS_PNS1_23onesweep_lookback_stateEbbT6_jjT7_P12ihipStream_tbENKUlT_T0_SG_SL_E_clIS7_S7_SB_SB_EEDaSZ_S10_SG_SL_EUlSZ_E_NS1_11comp_targetILNS1_3genE10ELNS1_11target_archE1201ELNS1_3gpuE5ELNS1_3repE0EEENS1_47radix_sort_onesweep_sort_config_static_selectorELNS0_4arch9wavefront6targetE1EEEvSG_
		.amdhsa_group_segment_fixed_size 0
		.amdhsa_private_segment_fixed_size 0
		.amdhsa_kernarg_size 88
		.amdhsa_user_sgpr_count 6
		.amdhsa_user_sgpr_private_segment_buffer 1
		.amdhsa_user_sgpr_dispatch_ptr 0
		.amdhsa_user_sgpr_queue_ptr 0
		.amdhsa_user_sgpr_kernarg_segment_ptr 1
		.amdhsa_user_sgpr_dispatch_id 0
		.amdhsa_user_sgpr_flat_scratch_init 0
		.amdhsa_user_sgpr_kernarg_preload_length 0
		.amdhsa_user_sgpr_kernarg_preload_offset 0
		.amdhsa_user_sgpr_private_segment_size 0
		.amdhsa_uses_dynamic_stack 0
		.amdhsa_system_sgpr_private_segment_wavefront_offset 0
		.amdhsa_system_sgpr_workgroup_id_x 1
		.amdhsa_system_sgpr_workgroup_id_y 0
		.amdhsa_system_sgpr_workgroup_id_z 0
		.amdhsa_system_sgpr_workgroup_info 0
		.amdhsa_system_vgpr_workitem_id 0
		.amdhsa_next_free_vgpr 1
		.amdhsa_next_free_sgpr 0
		.amdhsa_accum_offset 4
		.amdhsa_reserve_vcc 0
		.amdhsa_reserve_flat_scratch 0
		.amdhsa_float_round_mode_32 0
		.amdhsa_float_round_mode_16_64 0
		.amdhsa_float_denorm_mode_32 3
		.amdhsa_float_denorm_mode_16_64 3
		.amdhsa_dx10_clamp 1
		.amdhsa_ieee_mode 1
		.amdhsa_fp16_overflow 0
		.amdhsa_tg_split 0
		.amdhsa_exception_fp_ieee_invalid_op 0
		.amdhsa_exception_fp_denorm_src 0
		.amdhsa_exception_fp_ieee_div_zero 0
		.amdhsa_exception_fp_ieee_overflow 0
		.amdhsa_exception_fp_ieee_underflow 0
		.amdhsa_exception_fp_ieee_inexact 0
		.amdhsa_exception_int_div_zero 0
	.end_amdhsa_kernel
	.section	.text._ZN7rocprim17ROCPRIM_400000_NS6detail17trampoline_kernelINS0_14default_configENS1_35radix_sort_onesweep_config_selectorIflEEZZNS1_29radix_sort_onesweep_iterationIS3_Lb0EPfS7_N6thrust23THRUST_200600_302600_NS10device_ptrIlEESB_jNS0_19identity_decomposerENS1_16block_id_wrapperIjLb1EEEEE10hipError_tT1_PNSt15iterator_traitsISG_E10value_typeET2_T3_PNSH_ISM_E10value_typeET4_T5_PSR_SS_PNS1_23onesweep_lookback_stateEbbT6_jjT7_P12ihipStream_tbENKUlT_T0_SG_SL_E_clIS7_S7_SB_SB_EEDaSZ_S10_SG_SL_EUlSZ_E_NS1_11comp_targetILNS1_3genE10ELNS1_11target_archE1201ELNS1_3gpuE5ELNS1_3repE0EEENS1_47radix_sort_onesweep_sort_config_static_selectorELNS0_4arch9wavefront6targetE1EEEvSG_,"axG",@progbits,_ZN7rocprim17ROCPRIM_400000_NS6detail17trampoline_kernelINS0_14default_configENS1_35radix_sort_onesweep_config_selectorIflEEZZNS1_29radix_sort_onesweep_iterationIS3_Lb0EPfS7_N6thrust23THRUST_200600_302600_NS10device_ptrIlEESB_jNS0_19identity_decomposerENS1_16block_id_wrapperIjLb1EEEEE10hipError_tT1_PNSt15iterator_traitsISG_E10value_typeET2_T3_PNSH_ISM_E10value_typeET4_T5_PSR_SS_PNS1_23onesweep_lookback_stateEbbT6_jjT7_P12ihipStream_tbENKUlT_T0_SG_SL_E_clIS7_S7_SB_SB_EEDaSZ_S10_SG_SL_EUlSZ_E_NS1_11comp_targetILNS1_3genE10ELNS1_11target_archE1201ELNS1_3gpuE5ELNS1_3repE0EEENS1_47radix_sort_onesweep_sort_config_static_selectorELNS0_4arch9wavefront6targetE1EEEvSG_,comdat
.Lfunc_end1840:
	.size	_ZN7rocprim17ROCPRIM_400000_NS6detail17trampoline_kernelINS0_14default_configENS1_35radix_sort_onesweep_config_selectorIflEEZZNS1_29radix_sort_onesweep_iterationIS3_Lb0EPfS7_N6thrust23THRUST_200600_302600_NS10device_ptrIlEESB_jNS0_19identity_decomposerENS1_16block_id_wrapperIjLb1EEEEE10hipError_tT1_PNSt15iterator_traitsISG_E10value_typeET2_T3_PNSH_ISM_E10value_typeET4_T5_PSR_SS_PNS1_23onesweep_lookback_stateEbbT6_jjT7_P12ihipStream_tbENKUlT_T0_SG_SL_E_clIS7_S7_SB_SB_EEDaSZ_S10_SG_SL_EUlSZ_E_NS1_11comp_targetILNS1_3genE10ELNS1_11target_archE1201ELNS1_3gpuE5ELNS1_3repE0EEENS1_47radix_sort_onesweep_sort_config_static_selectorELNS0_4arch9wavefront6targetE1EEEvSG_, .Lfunc_end1840-_ZN7rocprim17ROCPRIM_400000_NS6detail17trampoline_kernelINS0_14default_configENS1_35radix_sort_onesweep_config_selectorIflEEZZNS1_29radix_sort_onesweep_iterationIS3_Lb0EPfS7_N6thrust23THRUST_200600_302600_NS10device_ptrIlEESB_jNS0_19identity_decomposerENS1_16block_id_wrapperIjLb1EEEEE10hipError_tT1_PNSt15iterator_traitsISG_E10value_typeET2_T3_PNSH_ISM_E10value_typeET4_T5_PSR_SS_PNS1_23onesweep_lookback_stateEbbT6_jjT7_P12ihipStream_tbENKUlT_T0_SG_SL_E_clIS7_S7_SB_SB_EEDaSZ_S10_SG_SL_EUlSZ_E_NS1_11comp_targetILNS1_3genE10ELNS1_11target_archE1201ELNS1_3gpuE5ELNS1_3repE0EEENS1_47radix_sort_onesweep_sort_config_static_selectorELNS0_4arch9wavefront6targetE1EEEvSG_
                                        ; -- End function
	.section	.AMDGPU.csdata,"",@progbits
; Kernel info:
; codeLenInByte = 0
; NumSgprs: 4
; NumVgprs: 0
; NumAgprs: 0
; TotalNumVgprs: 0
; ScratchSize: 0
; MemoryBound: 0
; FloatMode: 240
; IeeeMode: 1
; LDSByteSize: 0 bytes/workgroup (compile time only)
; SGPRBlocks: 0
; VGPRBlocks: 0
; NumSGPRsForWavesPerEU: 4
; NumVGPRsForWavesPerEU: 1
; AccumOffset: 4
; Occupancy: 8
; WaveLimiterHint : 0
; COMPUTE_PGM_RSRC2:SCRATCH_EN: 0
; COMPUTE_PGM_RSRC2:USER_SGPR: 6
; COMPUTE_PGM_RSRC2:TRAP_HANDLER: 0
; COMPUTE_PGM_RSRC2:TGID_X_EN: 1
; COMPUTE_PGM_RSRC2:TGID_Y_EN: 0
; COMPUTE_PGM_RSRC2:TGID_Z_EN: 0
; COMPUTE_PGM_RSRC2:TIDIG_COMP_CNT: 0
; COMPUTE_PGM_RSRC3_GFX90A:ACCUM_OFFSET: 0
; COMPUTE_PGM_RSRC3_GFX90A:TG_SPLIT: 0
	.section	.text._ZN7rocprim17ROCPRIM_400000_NS6detail17trampoline_kernelINS0_14default_configENS1_35radix_sort_onesweep_config_selectorIflEEZZNS1_29radix_sort_onesweep_iterationIS3_Lb0EPfS7_N6thrust23THRUST_200600_302600_NS10device_ptrIlEESB_jNS0_19identity_decomposerENS1_16block_id_wrapperIjLb1EEEEE10hipError_tT1_PNSt15iterator_traitsISG_E10value_typeET2_T3_PNSH_ISM_E10value_typeET4_T5_PSR_SS_PNS1_23onesweep_lookback_stateEbbT6_jjT7_P12ihipStream_tbENKUlT_T0_SG_SL_E_clIS7_S7_SB_SB_EEDaSZ_S10_SG_SL_EUlSZ_E_NS1_11comp_targetILNS1_3genE9ELNS1_11target_archE1100ELNS1_3gpuE3ELNS1_3repE0EEENS1_47radix_sort_onesweep_sort_config_static_selectorELNS0_4arch9wavefront6targetE1EEEvSG_,"axG",@progbits,_ZN7rocprim17ROCPRIM_400000_NS6detail17trampoline_kernelINS0_14default_configENS1_35radix_sort_onesweep_config_selectorIflEEZZNS1_29radix_sort_onesweep_iterationIS3_Lb0EPfS7_N6thrust23THRUST_200600_302600_NS10device_ptrIlEESB_jNS0_19identity_decomposerENS1_16block_id_wrapperIjLb1EEEEE10hipError_tT1_PNSt15iterator_traitsISG_E10value_typeET2_T3_PNSH_ISM_E10value_typeET4_T5_PSR_SS_PNS1_23onesweep_lookback_stateEbbT6_jjT7_P12ihipStream_tbENKUlT_T0_SG_SL_E_clIS7_S7_SB_SB_EEDaSZ_S10_SG_SL_EUlSZ_E_NS1_11comp_targetILNS1_3genE9ELNS1_11target_archE1100ELNS1_3gpuE3ELNS1_3repE0EEENS1_47radix_sort_onesweep_sort_config_static_selectorELNS0_4arch9wavefront6targetE1EEEvSG_,comdat
	.protected	_ZN7rocprim17ROCPRIM_400000_NS6detail17trampoline_kernelINS0_14default_configENS1_35radix_sort_onesweep_config_selectorIflEEZZNS1_29radix_sort_onesweep_iterationIS3_Lb0EPfS7_N6thrust23THRUST_200600_302600_NS10device_ptrIlEESB_jNS0_19identity_decomposerENS1_16block_id_wrapperIjLb1EEEEE10hipError_tT1_PNSt15iterator_traitsISG_E10value_typeET2_T3_PNSH_ISM_E10value_typeET4_T5_PSR_SS_PNS1_23onesweep_lookback_stateEbbT6_jjT7_P12ihipStream_tbENKUlT_T0_SG_SL_E_clIS7_S7_SB_SB_EEDaSZ_S10_SG_SL_EUlSZ_E_NS1_11comp_targetILNS1_3genE9ELNS1_11target_archE1100ELNS1_3gpuE3ELNS1_3repE0EEENS1_47radix_sort_onesweep_sort_config_static_selectorELNS0_4arch9wavefront6targetE1EEEvSG_ ; -- Begin function _ZN7rocprim17ROCPRIM_400000_NS6detail17trampoline_kernelINS0_14default_configENS1_35radix_sort_onesweep_config_selectorIflEEZZNS1_29radix_sort_onesweep_iterationIS3_Lb0EPfS7_N6thrust23THRUST_200600_302600_NS10device_ptrIlEESB_jNS0_19identity_decomposerENS1_16block_id_wrapperIjLb1EEEEE10hipError_tT1_PNSt15iterator_traitsISG_E10value_typeET2_T3_PNSH_ISM_E10value_typeET4_T5_PSR_SS_PNS1_23onesweep_lookback_stateEbbT6_jjT7_P12ihipStream_tbENKUlT_T0_SG_SL_E_clIS7_S7_SB_SB_EEDaSZ_S10_SG_SL_EUlSZ_E_NS1_11comp_targetILNS1_3genE9ELNS1_11target_archE1100ELNS1_3gpuE3ELNS1_3repE0EEENS1_47radix_sort_onesweep_sort_config_static_selectorELNS0_4arch9wavefront6targetE1EEEvSG_
	.globl	_ZN7rocprim17ROCPRIM_400000_NS6detail17trampoline_kernelINS0_14default_configENS1_35radix_sort_onesweep_config_selectorIflEEZZNS1_29radix_sort_onesweep_iterationIS3_Lb0EPfS7_N6thrust23THRUST_200600_302600_NS10device_ptrIlEESB_jNS0_19identity_decomposerENS1_16block_id_wrapperIjLb1EEEEE10hipError_tT1_PNSt15iterator_traitsISG_E10value_typeET2_T3_PNSH_ISM_E10value_typeET4_T5_PSR_SS_PNS1_23onesweep_lookback_stateEbbT6_jjT7_P12ihipStream_tbENKUlT_T0_SG_SL_E_clIS7_S7_SB_SB_EEDaSZ_S10_SG_SL_EUlSZ_E_NS1_11comp_targetILNS1_3genE9ELNS1_11target_archE1100ELNS1_3gpuE3ELNS1_3repE0EEENS1_47radix_sort_onesweep_sort_config_static_selectorELNS0_4arch9wavefront6targetE1EEEvSG_
	.p2align	8
	.type	_ZN7rocprim17ROCPRIM_400000_NS6detail17trampoline_kernelINS0_14default_configENS1_35radix_sort_onesweep_config_selectorIflEEZZNS1_29radix_sort_onesweep_iterationIS3_Lb0EPfS7_N6thrust23THRUST_200600_302600_NS10device_ptrIlEESB_jNS0_19identity_decomposerENS1_16block_id_wrapperIjLb1EEEEE10hipError_tT1_PNSt15iterator_traitsISG_E10value_typeET2_T3_PNSH_ISM_E10value_typeET4_T5_PSR_SS_PNS1_23onesweep_lookback_stateEbbT6_jjT7_P12ihipStream_tbENKUlT_T0_SG_SL_E_clIS7_S7_SB_SB_EEDaSZ_S10_SG_SL_EUlSZ_E_NS1_11comp_targetILNS1_3genE9ELNS1_11target_archE1100ELNS1_3gpuE3ELNS1_3repE0EEENS1_47radix_sort_onesweep_sort_config_static_selectorELNS0_4arch9wavefront6targetE1EEEvSG_,@function
_ZN7rocprim17ROCPRIM_400000_NS6detail17trampoline_kernelINS0_14default_configENS1_35radix_sort_onesweep_config_selectorIflEEZZNS1_29radix_sort_onesweep_iterationIS3_Lb0EPfS7_N6thrust23THRUST_200600_302600_NS10device_ptrIlEESB_jNS0_19identity_decomposerENS1_16block_id_wrapperIjLb1EEEEE10hipError_tT1_PNSt15iterator_traitsISG_E10value_typeET2_T3_PNSH_ISM_E10value_typeET4_T5_PSR_SS_PNS1_23onesweep_lookback_stateEbbT6_jjT7_P12ihipStream_tbENKUlT_T0_SG_SL_E_clIS7_S7_SB_SB_EEDaSZ_S10_SG_SL_EUlSZ_E_NS1_11comp_targetILNS1_3genE9ELNS1_11target_archE1100ELNS1_3gpuE3ELNS1_3repE0EEENS1_47radix_sort_onesweep_sort_config_static_selectorELNS0_4arch9wavefront6targetE1EEEvSG_: ; @_ZN7rocprim17ROCPRIM_400000_NS6detail17trampoline_kernelINS0_14default_configENS1_35radix_sort_onesweep_config_selectorIflEEZZNS1_29radix_sort_onesweep_iterationIS3_Lb0EPfS7_N6thrust23THRUST_200600_302600_NS10device_ptrIlEESB_jNS0_19identity_decomposerENS1_16block_id_wrapperIjLb1EEEEE10hipError_tT1_PNSt15iterator_traitsISG_E10value_typeET2_T3_PNSH_ISM_E10value_typeET4_T5_PSR_SS_PNS1_23onesweep_lookback_stateEbbT6_jjT7_P12ihipStream_tbENKUlT_T0_SG_SL_E_clIS7_S7_SB_SB_EEDaSZ_S10_SG_SL_EUlSZ_E_NS1_11comp_targetILNS1_3genE9ELNS1_11target_archE1100ELNS1_3gpuE3ELNS1_3repE0EEENS1_47radix_sort_onesweep_sort_config_static_selectorELNS0_4arch9wavefront6targetE1EEEvSG_
; %bb.0:
	.section	.rodata,"a",@progbits
	.p2align	6, 0x0
	.amdhsa_kernel _ZN7rocprim17ROCPRIM_400000_NS6detail17trampoline_kernelINS0_14default_configENS1_35radix_sort_onesweep_config_selectorIflEEZZNS1_29radix_sort_onesweep_iterationIS3_Lb0EPfS7_N6thrust23THRUST_200600_302600_NS10device_ptrIlEESB_jNS0_19identity_decomposerENS1_16block_id_wrapperIjLb1EEEEE10hipError_tT1_PNSt15iterator_traitsISG_E10value_typeET2_T3_PNSH_ISM_E10value_typeET4_T5_PSR_SS_PNS1_23onesweep_lookback_stateEbbT6_jjT7_P12ihipStream_tbENKUlT_T0_SG_SL_E_clIS7_S7_SB_SB_EEDaSZ_S10_SG_SL_EUlSZ_E_NS1_11comp_targetILNS1_3genE9ELNS1_11target_archE1100ELNS1_3gpuE3ELNS1_3repE0EEENS1_47radix_sort_onesweep_sort_config_static_selectorELNS0_4arch9wavefront6targetE1EEEvSG_
		.amdhsa_group_segment_fixed_size 0
		.amdhsa_private_segment_fixed_size 0
		.amdhsa_kernarg_size 88
		.amdhsa_user_sgpr_count 6
		.amdhsa_user_sgpr_private_segment_buffer 1
		.amdhsa_user_sgpr_dispatch_ptr 0
		.amdhsa_user_sgpr_queue_ptr 0
		.amdhsa_user_sgpr_kernarg_segment_ptr 1
		.amdhsa_user_sgpr_dispatch_id 0
		.amdhsa_user_sgpr_flat_scratch_init 0
		.amdhsa_user_sgpr_kernarg_preload_length 0
		.amdhsa_user_sgpr_kernarg_preload_offset 0
		.amdhsa_user_sgpr_private_segment_size 0
		.amdhsa_uses_dynamic_stack 0
		.amdhsa_system_sgpr_private_segment_wavefront_offset 0
		.amdhsa_system_sgpr_workgroup_id_x 1
		.amdhsa_system_sgpr_workgroup_id_y 0
		.amdhsa_system_sgpr_workgroup_id_z 0
		.amdhsa_system_sgpr_workgroup_info 0
		.amdhsa_system_vgpr_workitem_id 0
		.amdhsa_next_free_vgpr 1
		.amdhsa_next_free_sgpr 0
		.amdhsa_accum_offset 4
		.amdhsa_reserve_vcc 0
		.amdhsa_reserve_flat_scratch 0
		.amdhsa_float_round_mode_32 0
		.amdhsa_float_round_mode_16_64 0
		.amdhsa_float_denorm_mode_32 3
		.amdhsa_float_denorm_mode_16_64 3
		.amdhsa_dx10_clamp 1
		.amdhsa_ieee_mode 1
		.amdhsa_fp16_overflow 0
		.amdhsa_tg_split 0
		.amdhsa_exception_fp_ieee_invalid_op 0
		.amdhsa_exception_fp_denorm_src 0
		.amdhsa_exception_fp_ieee_div_zero 0
		.amdhsa_exception_fp_ieee_overflow 0
		.amdhsa_exception_fp_ieee_underflow 0
		.amdhsa_exception_fp_ieee_inexact 0
		.amdhsa_exception_int_div_zero 0
	.end_amdhsa_kernel
	.section	.text._ZN7rocprim17ROCPRIM_400000_NS6detail17trampoline_kernelINS0_14default_configENS1_35radix_sort_onesweep_config_selectorIflEEZZNS1_29radix_sort_onesweep_iterationIS3_Lb0EPfS7_N6thrust23THRUST_200600_302600_NS10device_ptrIlEESB_jNS0_19identity_decomposerENS1_16block_id_wrapperIjLb1EEEEE10hipError_tT1_PNSt15iterator_traitsISG_E10value_typeET2_T3_PNSH_ISM_E10value_typeET4_T5_PSR_SS_PNS1_23onesweep_lookback_stateEbbT6_jjT7_P12ihipStream_tbENKUlT_T0_SG_SL_E_clIS7_S7_SB_SB_EEDaSZ_S10_SG_SL_EUlSZ_E_NS1_11comp_targetILNS1_3genE9ELNS1_11target_archE1100ELNS1_3gpuE3ELNS1_3repE0EEENS1_47radix_sort_onesweep_sort_config_static_selectorELNS0_4arch9wavefront6targetE1EEEvSG_,"axG",@progbits,_ZN7rocprim17ROCPRIM_400000_NS6detail17trampoline_kernelINS0_14default_configENS1_35radix_sort_onesweep_config_selectorIflEEZZNS1_29radix_sort_onesweep_iterationIS3_Lb0EPfS7_N6thrust23THRUST_200600_302600_NS10device_ptrIlEESB_jNS0_19identity_decomposerENS1_16block_id_wrapperIjLb1EEEEE10hipError_tT1_PNSt15iterator_traitsISG_E10value_typeET2_T3_PNSH_ISM_E10value_typeET4_T5_PSR_SS_PNS1_23onesweep_lookback_stateEbbT6_jjT7_P12ihipStream_tbENKUlT_T0_SG_SL_E_clIS7_S7_SB_SB_EEDaSZ_S10_SG_SL_EUlSZ_E_NS1_11comp_targetILNS1_3genE9ELNS1_11target_archE1100ELNS1_3gpuE3ELNS1_3repE0EEENS1_47radix_sort_onesweep_sort_config_static_selectorELNS0_4arch9wavefront6targetE1EEEvSG_,comdat
.Lfunc_end1841:
	.size	_ZN7rocprim17ROCPRIM_400000_NS6detail17trampoline_kernelINS0_14default_configENS1_35radix_sort_onesweep_config_selectorIflEEZZNS1_29radix_sort_onesweep_iterationIS3_Lb0EPfS7_N6thrust23THRUST_200600_302600_NS10device_ptrIlEESB_jNS0_19identity_decomposerENS1_16block_id_wrapperIjLb1EEEEE10hipError_tT1_PNSt15iterator_traitsISG_E10value_typeET2_T3_PNSH_ISM_E10value_typeET4_T5_PSR_SS_PNS1_23onesweep_lookback_stateEbbT6_jjT7_P12ihipStream_tbENKUlT_T0_SG_SL_E_clIS7_S7_SB_SB_EEDaSZ_S10_SG_SL_EUlSZ_E_NS1_11comp_targetILNS1_3genE9ELNS1_11target_archE1100ELNS1_3gpuE3ELNS1_3repE0EEENS1_47radix_sort_onesweep_sort_config_static_selectorELNS0_4arch9wavefront6targetE1EEEvSG_, .Lfunc_end1841-_ZN7rocprim17ROCPRIM_400000_NS6detail17trampoline_kernelINS0_14default_configENS1_35radix_sort_onesweep_config_selectorIflEEZZNS1_29radix_sort_onesweep_iterationIS3_Lb0EPfS7_N6thrust23THRUST_200600_302600_NS10device_ptrIlEESB_jNS0_19identity_decomposerENS1_16block_id_wrapperIjLb1EEEEE10hipError_tT1_PNSt15iterator_traitsISG_E10value_typeET2_T3_PNSH_ISM_E10value_typeET4_T5_PSR_SS_PNS1_23onesweep_lookback_stateEbbT6_jjT7_P12ihipStream_tbENKUlT_T0_SG_SL_E_clIS7_S7_SB_SB_EEDaSZ_S10_SG_SL_EUlSZ_E_NS1_11comp_targetILNS1_3genE9ELNS1_11target_archE1100ELNS1_3gpuE3ELNS1_3repE0EEENS1_47radix_sort_onesweep_sort_config_static_selectorELNS0_4arch9wavefront6targetE1EEEvSG_
                                        ; -- End function
	.section	.AMDGPU.csdata,"",@progbits
; Kernel info:
; codeLenInByte = 0
; NumSgprs: 4
; NumVgprs: 0
; NumAgprs: 0
; TotalNumVgprs: 0
; ScratchSize: 0
; MemoryBound: 0
; FloatMode: 240
; IeeeMode: 1
; LDSByteSize: 0 bytes/workgroup (compile time only)
; SGPRBlocks: 0
; VGPRBlocks: 0
; NumSGPRsForWavesPerEU: 4
; NumVGPRsForWavesPerEU: 1
; AccumOffset: 4
; Occupancy: 8
; WaveLimiterHint : 0
; COMPUTE_PGM_RSRC2:SCRATCH_EN: 0
; COMPUTE_PGM_RSRC2:USER_SGPR: 6
; COMPUTE_PGM_RSRC2:TRAP_HANDLER: 0
; COMPUTE_PGM_RSRC2:TGID_X_EN: 1
; COMPUTE_PGM_RSRC2:TGID_Y_EN: 0
; COMPUTE_PGM_RSRC2:TGID_Z_EN: 0
; COMPUTE_PGM_RSRC2:TIDIG_COMP_CNT: 0
; COMPUTE_PGM_RSRC3_GFX90A:ACCUM_OFFSET: 0
; COMPUTE_PGM_RSRC3_GFX90A:TG_SPLIT: 0
	.section	.text._ZN7rocprim17ROCPRIM_400000_NS6detail17trampoline_kernelINS0_14default_configENS1_35radix_sort_onesweep_config_selectorIflEEZZNS1_29radix_sort_onesweep_iterationIS3_Lb0EPfS7_N6thrust23THRUST_200600_302600_NS10device_ptrIlEESB_jNS0_19identity_decomposerENS1_16block_id_wrapperIjLb1EEEEE10hipError_tT1_PNSt15iterator_traitsISG_E10value_typeET2_T3_PNSH_ISM_E10value_typeET4_T5_PSR_SS_PNS1_23onesweep_lookback_stateEbbT6_jjT7_P12ihipStream_tbENKUlT_T0_SG_SL_E_clIS7_S7_SB_SB_EEDaSZ_S10_SG_SL_EUlSZ_E_NS1_11comp_targetILNS1_3genE8ELNS1_11target_archE1030ELNS1_3gpuE2ELNS1_3repE0EEENS1_47radix_sort_onesweep_sort_config_static_selectorELNS0_4arch9wavefront6targetE1EEEvSG_,"axG",@progbits,_ZN7rocprim17ROCPRIM_400000_NS6detail17trampoline_kernelINS0_14default_configENS1_35radix_sort_onesweep_config_selectorIflEEZZNS1_29radix_sort_onesweep_iterationIS3_Lb0EPfS7_N6thrust23THRUST_200600_302600_NS10device_ptrIlEESB_jNS0_19identity_decomposerENS1_16block_id_wrapperIjLb1EEEEE10hipError_tT1_PNSt15iterator_traitsISG_E10value_typeET2_T3_PNSH_ISM_E10value_typeET4_T5_PSR_SS_PNS1_23onesweep_lookback_stateEbbT6_jjT7_P12ihipStream_tbENKUlT_T0_SG_SL_E_clIS7_S7_SB_SB_EEDaSZ_S10_SG_SL_EUlSZ_E_NS1_11comp_targetILNS1_3genE8ELNS1_11target_archE1030ELNS1_3gpuE2ELNS1_3repE0EEENS1_47radix_sort_onesweep_sort_config_static_selectorELNS0_4arch9wavefront6targetE1EEEvSG_,comdat
	.protected	_ZN7rocprim17ROCPRIM_400000_NS6detail17trampoline_kernelINS0_14default_configENS1_35radix_sort_onesweep_config_selectorIflEEZZNS1_29radix_sort_onesweep_iterationIS3_Lb0EPfS7_N6thrust23THRUST_200600_302600_NS10device_ptrIlEESB_jNS0_19identity_decomposerENS1_16block_id_wrapperIjLb1EEEEE10hipError_tT1_PNSt15iterator_traitsISG_E10value_typeET2_T3_PNSH_ISM_E10value_typeET4_T5_PSR_SS_PNS1_23onesweep_lookback_stateEbbT6_jjT7_P12ihipStream_tbENKUlT_T0_SG_SL_E_clIS7_S7_SB_SB_EEDaSZ_S10_SG_SL_EUlSZ_E_NS1_11comp_targetILNS1_3genE8ELNS1_11target_archE1030ELNS1_3gpuE2ELNS1_3repE0EEENS1_47radix_sort_onesweep_sort_config_static_selectorELNS0_4arch9wavefront6targetE1EEEvSG_ ; -- Begin function _ZN7rocprim17ROCPRIM_400000_NS6detail17trampoline_kernelINS0_14default_configENS1_35radix_sort_onesweep_config_selectorIflEEZZNS1_29radix_sort_onesweep_iterationIS3_Lb0EPfS7_N6thrust23THRUST_200600_302600_NS10device_ptrIlEESB_jNS0_19identity_decomposerENS1_16block_id_wrapperIjLb1EEEEE10hipError_tT1_PNSt15iterator_traitsISG_E10value_typeET2_T3_PNSH_ISM_E10value_typeET4_T5_PSR_SS_PNS1_23onesweep_lookback_stateEbbT6_jjT7_P12ihipStream_tbENKUlT_T0_SG_SL_E_clIS7_S7_SB_SB_EEDaSZ_S10_SG_SL_EUlSZ_E_NS1_11comp_targetILNS1_3genE8ELNS1_11target_archE1030ELNS1_3gpuE2ELNS1_3repE0EEENS1_47radix_sort_onesweep_sort_config_static_selectorELNS0_4arch9wavefront6targetE1EEEvSG_
	.globl	_ZN7rocprim17ROCPRIM_400000_NS6detail17trampoline_kernelINS0_14default_configENS1_35radix_sort_onesweep_config_selectorIflEEZZNS1_29radix_sort_onesweep_iterationIS3_Lb0EPfS7_N6thrust23THRUST_200600_302600_NS10device_ptrIlEESB_jNS0_19identity_decomposerENS1_16block_id_wrapperIjLb1EEEEE10hipError_tT1_PNSt15iterator_traitsISG_E10value_typeET2_T3_PNSH_ISM_E10value_typeET4_T5_PSR_SS_PNS1_23onesweep_lookback_stateEbbT6_jjT7_P12ihipStream_tbENKUlT_T0_SG_SL_E_clIS7_S7_SB_SB_EEDaSZ_S10_SG_SL_EUlSZ_E_NS1_11comp_targetILNS1_3genE8ELNS1_11target_archE1030ELNS1_3gpuE2ELNS1_3repE0EEENS1_47radix_sort_onesweep_sort_config_static_selectorELNS0_4arch9wavefront6targetE1EEEvSG_
	.p2align	8
	.type	_ZN7rocprim17ROCPRIM_400000_NS6detail17trampoline_kernelINS0_14default_configENS1_35radix_sort_onesweep_config_selectorIflEEZZNS1_29radix_sort_onesweep_iterationIS3_Lb0EPfS7_N6thrust23THRUST_200600_302600_NS10device_ptrIlEESB_jNS0_19identity_decomposerENS1_16block_id_wrapperIjLb1EEEEE10hipError_tT1_PNSt15iterator_traitsISG_E10value_typeET2_T3_PNSH_ISM_E10value_typeET4_T5_PSR_SS_PNS1_23onesweep_lookback_stateEbbT6_jjT7_P12ihipStream_tbENKUlT_T0_SG_SL_E_clIS7_S7_SB_SB_EEDaSZ_S10_SG_SL_EUlSZ_E_NS1_11comp_targetILNS1_3genE8ELNS1_11target_archE1030ELNS1_3gpuE2ELNS1_3repE0EEENS1_47radix_sort_onesweep_sort_config_static_selectorELNS0_4arch9wavefront6targetE1EEEvSG_,@function
_ZN7rocprim17ROCPRIM_400000_NS6detail17trampoline_kernelINS0_14default_configENS1_35radix_sort_onesweep_config_selectorIflEEZZNS1_29radix_sort_onesweep_iterationIS3_Lb0EPfS7_N6thrust23THRUST_200600_302600_NS10device_ptrIlEESB_jNS0_19identity_decomposerENS1_16block_id_wrapperIjLb1EEEEE10hipError_tT1_PNSt15iterator_traitsISG_E10value_typeET2_T3_PNSH_ISM_E10value_typeET4_T5_PSR_SS_PNS1_23onesweep_lookback_stateEbbT6_jjT7_P12ihipStream_tbENKUlT_T0_SG_SL_E_clIS7_S7_SB_SB_EEDaSZ_S10_SG_SL_EUlSZ_E_NS1_11comp_targetILNS1_3genE8ELNS1_11target_archE1030ELNS1_3gpuE2ELNS1_3repE0EEENS1_47radix_sort_onesweep_sort_config_static_selectorELNS0_4arch9wavefront6targetE1EEEvSG_: ; @_ZN7rocprim17ROCPRIM_400000_NS6detail17trampoline_kernelINS0_14default_configENS1_35radix_sort_onesweep_config_selectorIflEEZZNS1_29radix_sort_onesweep_iterationIS3_Lb0EPfS7_N6thrust23THRUST_200600_302600_NS10device_ptrIlEESB_jNS0_19identity_decomposerENS1_16block_id_wrapperIjLb1EEEEE10hipError_tT1_PNSt15iterator_traitsISG_E10value_typeET2_T3_PNSH_ISM_E10value_typeET4_T5_PSR_SS_PNS1_23onesweep_lookback_stateEbbT6_jjT7_P12ihipStream_tbENKUlT_T0_SG_SL_E_clIS7_S7_SB_SB_EEDaSZ_S10_SG_SL_EUlSZ_E_NS1_11comp_targetILNS1_3genE8ELNS1_11target_archE1030ELNS1_3gpuE2ELNS1_3repE0EEENS1_47radix_sort_onesweep_sort_config_static_selectorELNS0_4arch9wavefront6targetE1EEEvSG_
; %bb.0:
	.section	.rodata,"a",@progbits
	.p2align	6, 0x0
	.amdhsa_kernel _ZN7rocprim17ROCPRIM_400000_NS6detail17trampoline_kernelINS0_14default_configENS1_35radix_sort_onesweep_config_selectorIflEEZZNS1_29radix_sort_onesweep_iterationIS3_Lb0EPfS7_N6thrust23THRUST_200600_302600_NS10device_ptrIlEESB_jNS0_19identity_decomposerENS1_16block_id_wrapperIjLb1EEEEE10hipError_tT1_PNSt15iterator_traitsISG_E10value_typeET2_T3_PNSH_ISM_E10value_typeET4_T5_PSR_SS_PNS1_23onesweep_lookback_stateEbbT6_jjT7_P12ihipStream_tbENKUlT_T0_SG_SL_E_clIS7_S7_SB_SB_EEDaSZ_S10_SG_SL_EUlSZ_E_NS1_11comp_targetILNS1_3genE8ELNS1_11target_archE1030ELNS1_3gpuE2ELNS1_3repE0EEENS1_47radix_sort_onesweep_sort_config_static_selectorELNS0_4arch9wavefront6targetE1EEEvSG_
		.amdhsa_group_segment_fixed_size 0
		.amdhsa_private_segment_fixed_size 0
		.amdhsa_kernarg_size 88
		.amdhsa_user_sgpr_count 6
		.amdhsa_user_sgpr_private_segment_buffer 1
		.amdhsa_user_sgpr_dispatch_ptr 0
		.amdhsa_user_sgpr_queue_ptr 0
		.amdhsa_user_sgpr_kernarg_segment_ptr 1
		.amdhsa_user_sgpr_dispatch_id 0
		.amdhsa_user_sgpr_flat_scratch_init 0
		.amdhsa_user_sgpr_kernarg_preload_length 0
		.amdhsa_user_sgpr_kernarg_preload_offset 0
		.amdhsa_user_sgpr_private_segment_size 0
		.amdhsa_uses_dynamic_stack 0
		.amdhsa_system_sgpr_private_segment_wavefront_offset 0
		.amdhsa_system_sgpr_workgroup_id_x 1
		.amdhsa_system_sgpr_workgroup_id_y 0
		.amdhsa_system_sgpr_workgroup_id_z 0
		.amdhsa_system_sgpr_workgroup_info 0
		.amdhsa_system_vgpr_workitem_id 0
		.amdhsa_next_free_vgpr 1
		.amdhsa_next_free_sgpr 0
		.amdhsa_accum_offset 4
		.amdhsa_reserve_vcc 0
		.amdhsa_reserve_flat_scratch 0
		.amdhsa_float_round_mode_32 0
		.amdhsa_float_round_mode_16_64 0
		.amdhsa_float_denorm_mode_32 3
		.amdhsa_float_denorm_mode_16_64 3
		.amdhsa_dx10_clamp 1
		.amdhsa_ieee_mode 1
		.amdhsa_fp16_overflow 0
		.amdhsa_tg_split 0
		.amdhsa_exception_fp_ieee_invalid_op 0
		.amdhsa_exception_fp_denorm_src 0
		.amdhsa_exception_fp_ieee_div_zero 0
		.amdhsa_exception_fp_ieee_overflow 0
		.amdhsa_exception_fp_ieee_underflow 0
		.amdhsa_exception_fp_ieee_inexact 0
		.amdhsa_exception_int_div_zero 0
	.end_amdhsa_kernel
	.section	.text._ZN7rocprim17ROCPRIM_400000_NS6detail17trampoline_kernelINS0_14default_configENS1_35radix_sort_onesweep_config_selectorIflEEZZNS1_29radix_sort_onesweep_iterationIS3_Lb0EPfS7_N6thrust23THRUST_200600_302600_NS10device_ptrIlEESB_jNS0_19identity_decomposerENS1_16block_id_wrapperIjLb1EEEEE10hipError_tT1_PNSt15iterator_traitsISG_E10value_typeET2_T3_PNSH_ISM_E10value_typeET4_T5_PSR_SS_PNS1_23onesweep_lookback_stateEbbT6_jjT7_P12ihipStream_tbENKUlT_T0_SG_SL_E_clIS7_S7_SB_SB_EEDaSZ_S10_SG_SL_EUlSZ_E_NS1_11comp_targetILNS1_3genE8ELNS1_11target_archE1030ELNS1_3gpuE2ELNS1_3repE0EEENS1_47radix_sort_onesweep_sort_config_static_selectorELNS0_4arch9wavefront6targetE1EEEvSG_,"axG",@progbits,_ZN7rocprim17ROCPRIM_400000_NS6detail17trampoline_kernelINS0_14default_configENS1_35radix_sort_onesweep_config_selectorIflEEZZNS1_29radix_sort_onesweep_iterationIS3_Lb0EPfS7_N6thrust23THRUST_200600_302600_NS10device_ptrIlEESB_jNS0_19identity_decomposerENS1_16block_id_wrapperIjLb1EEEEE10hipError_tT1_PNSt15iterator_traitsISG_E10value_typeET2_T3_PNSH_ISM_E10value_typeET4_T5_PSR_SS_PNS1_23onesweep_lookback_stateEbbT6_jjT7_P12ihipStream_tbENKUlT_T0_SG_SL_E_clIS7_S7_SB_SB_EEDaSZ_S10_SG_SL_EUlSZ_E_NS1_11comp_targetILNS1_3genE8ELNS1_11target_archE1030ELNS1_3gpuE2ELNS1_3repE0EEENS1_47radix_sort_onesweep_sort_config_static_selectorELNS0_4arch9wavefront6targetE1EEEvSG_,comdat
.Lfunc_end1842:
	.size	_ZN7rocprim17ROCPRIM_400000_NS6detail17trampoline_kernelINS0_14default_configENS1_35radix_sort_onesweep_config_selectorIflEEZZNS1_29radix_sort_onesweep_iterationIS3_Lb0EPfS7_N6thrust23THRUST_200600_302600_NS10device_ptrIlEESB_jNS0_19identity_decomposerENS1_16block_id_wrapperIjLb1EEEEE10hipError_tT1_PNSt15iterator_traitsISG_E10value_typeET2_T3_PNSH_ISM_E10value_typeET4_T5_PSR_SS_PNS1_23onesweep_lookback_stateEbbT6_jjT7_P12ihipStream_tbENKUlT_T0_SG_SL_E_clIS7_S7_SB_SB_EEDaSZ_S10_SG_SL_EUlSZ_E_NS1_11comp_targetILNS1_3genE8ELNS1_11target_archE1030ELNS1_3gpuE2ELNS1_3repE0EEENS1_47radix_sort_onesweep_sort_config_static_selectorELNS0_4arch9wavefront6targetE1EEEvSG_, .Lfunc_end1842-_ZN7rocprim17ROCPRIM_400000_NS6detail17trampoline_kernelINS0_14default_configENS1_35radix_sort_onesweep_config_selectorIflEEZZNS1_29radix_sort_onesweep_iterationIS3_Lb0EPfS7_N6thrust23THRUST_200600_302600_NS10device_ptrIlEESB_jNS0_19identity_decomposerENS1_16block_id_wrapperIjLb1EEEEE10hipError_tT1_PNSt15iterator_traitsISG_E10value_typeET2_T3_PNSH_ISM_E10value_typeET4_T5_PSR_SS_PNS1_23onesweep_lookback_stateEbbT6_jjT7_P12ihipStream_tbENKUlT_T0_SG_SL_E_clIS7_S7_SB_SB_EEDaSZ_S10_SG_SL_EUlSZ_E_NS1_11comp_targetILNS1_3genE8ELNS1_11target_archE1030ELNS1_3gpuE2ELNS1_3repE0EEENS1_47radix_sort_onesweep_sort_config_static_selectorELNS0_4arch9wavefront6targetE1EEEvSG_
                                        ; -- End function
	.section	.AMDGPU.csdata,"",@progbits
; Kernel info:
; codeLenInByte = 0
; NumSgprs: 4
; NumVgprs: 0
; NumAgprs: 0
; TotalNumVgprs: 0
; ScratchSize: 0
; MemoryBound: 0
; FloatMode: 240
; IeeeMode: 1
; LDSByteSize: 0 bytes/workgroup (compile time only)
; SGPRBlocks: 0
; VGPRBlocks: 0
; NumSGPRsForWavesPerEU: 4
; NumVGPRsForWavesPerEU: 1
; AccumOffset: 4
; Occupancy: 8
; WaveLimiterHint : 0
; COMPUTE_PGM_RSRC2:SCRATCH_EN: 0
; COMPUTE_PGM_RSRC2:USER_SGPR: 6
; COMPUTE_PGM_RSRC2:TRAP_HANDLER: 0
; COMPUTE_PGM_RSRC2:TGID_X_EN: 1
; COMPUTE_PGM_RSRC2:TGID_Y_EN: 0
; COMPUTE_PGM_RSRC2:TGID_Z_EN: 0
; COMPUTE_PGM_RSRC2:TIDIG_COMP_CNT: 0
; COMPUTE_PGM_RSRC3_GFX90A:ACCUM_OFFSET: 0
; COMPUTE_PGM_RSRC3_GFX90A:TG_SPLIT: 0
	.section	.text._ZN7rocprim17ROCPRIM_400000_NS6detail17trampoline_kernelINS0_14default_configENS1_35radix_sort_onesweep_config_selectorIflEEZZNS1_29radix_sort_onesweep_iterationIS3_Lb0EPfS7_N6thrust23THRUST_200600_302600_NS10device_ptrIlEESB_jNS0_19identity_decomposerENS1_16block_id_wrapperIjLb1EEEEE10hipError_tT1_PNSt15iterator_traitsISG_E10value_typeET2_T3_PNSH_ISM_E10value_typeET4_T5_PSR_SS_PNS1_23onesweep_lookback_stateEbbT6_jjT7_P12ihipStream_tbENKUlT_T0_SG_SL_E_clIS7_S7_SB_PlEEDaSZ_S10_SG_SL_EUlSZ_E_NS1_11comp_targetILNS1_3genE0ELNS1_11target_archE4294967295ELNS1_3gpuE0ELNS1_3repE0EEENS1_47radix_sort_onesweep_sort_config_static_selectorELNS0_4arch9wavefront6targetE1EEEvSG_,"axG",@progbits,_ZN7rocprim17ROCPRIM_400000_NS6detail17trampoline_kernelINS0_14default_configENS1_35radix_sort_onesweep_config_selectorIflEEZZNS1_29radix_sort_onesweep_iterationIS3_Lb0EPfS7_N6thrust23THRUST_200600_302600_NS10device_ptrIlEESB_jNS0_19identity_decomposerENS1_16block_id_wrapperIjLb1EEEEE10hipError_tT1_PNSt15iterator_traitsISG_E10value_typeET2_T3_PNSH_ISM_E10value_typeET4_T5_PSR_SS_PNS1_23onesweep_lookback_stateEbbT6_jjT7_P12ihipStream_tbENKUlT_T0_SG_SL_E_clIS7_S7_SB_PlEEDaSZ_S10_SG_SL_EUlSZ_E_NS1_11comp_targetILNS1_3genE0ELNS1_11target_archE4294967295ELNS1_3gpuE0ELNS1_3repE0EEENS1_47radix_sort_onesweep_sort_config_static_selectorELNS0_4arch9wavefront6targetE1EEEvSG_,comdat
	.protected	_ZN7rocprim17ROCPRIM_400000_NS6detail17trampoline_kernelINS0_14default_configENS1_35radix_sort_onesweep_config_selectorIflEEZZNS1_29radix_sort_onesweep_iterationIS3_Lb0EPfS7_N6thrust23THRUST_200600_302600_NS10device_ptrIlEESB_jNS0_19identity_decomposerENS1_16block_id_wrapperIjLb1EEEEE10hipError_tT1_PNSt15iterator_traitsISG_E10value_typeET2_T3_PNSH_ISM_E10value_typeET4_T5_PSR_SS_PNS1_23onesweep_lookback_stateEbbT6_jjT7_P12ihipStream_tbENKUlT_T0_SG_SL_E_clIS7_S7_SB_PlEEDaSZ_S10_SG_SL_EUlSZ_E_NS1_11comp_targetILNS1_3genE0ELNS1_11target_archE4294967295ELNS1_3gpuE0ELNS1_3repE0EEENS1_47radix_sort_onesweep_sort_config_static_selectorELNS0_4arch9wavefront6targetE1EEEvSG_ ; -- Begin function _ZN7rocprim17ROCPRIM_400000_NS6detail17trampoline_kernelINS0_14default_configENS1_35radix_sort_onesweep_config_selectorIflEEZZNS1_29radix_sort_onesweep_iterationIS3_Lb0EPfS7_N6thrust23THRUST_200600_302600_NS10device_ptrIlEESB_jNS0_19identity_decomposerENS1_16block_id_wrapperIjLb1EEEEE10hipError_tT1_PNSt15iterator_traitsISG_E10value_typeET2_T3_PNSH_ISM_E10value_typeET4_T5_PSR_SS_PNS1_23onesweep_lookback_stateEbbT6_jjT7_P12ihipStream_tbENKUlT_T0_SG_SL_E_clIS7_S7_SB_PlEEDaSZ_S10_SG_SL_EUlSZ_E_NS1_11comp_targetILNS1_3genE0ELNS1_11target_archE4294967295ELNS1_3gpuE0ELNS1_3repE0EEENS1_47radix_sort_onesweep_sort_config_static_selectorELNS0_4arch9wavefront6targetE1EEEvSG_
	.globl	_ZN7rocprim17ROCPRIM_400000_NS6detail17trampoline_kernelINS0_14default_configENS1_35radix_sort_onesweep_config_selectorIflEEZZNS1_29radix_sort_onesweep_iterationIS3_Lb0EPfS7_N6thrust23THRUST_200600_302600_NS10device_ptrIlEESB_jNS0_19identity_decomposerENS1_16block_id_wrapperIjLb1EEEEE10hipError_tT1_PNSt15iterator_traitsISG_E10value_typeET2_T3_PNSH_ISM_E10value_typeET4_T5_PSR_SS_PNS1_23onesweep_lookback_stateEbbT6_jjT7_P12ihipStream_tbENKUlT_T0_SG_SL_E_clIS7_S7_SB_PlEEDaSZ_S10_SG_SL_EUlSZ_E_NS1_11comp_targetILNS1_3genE0ELNS1_11target_archE4294967295ELNS1_3gpuE0ELNS1_3repE0EEENS1_47radix_sort_onesweep_sort_config_static_selectorELNS0_4arch9wavefront6targetE1EEEvSG_
	.p2align	8
	.type	_ZN7rocprim17ROCPRIM_400000_NS6detail17trampoline_kernelINS0_14default_configENS1_35radix_sort_onesweep_config_selectorIflEEZZNS1_29radix_sort_onesweep_iterationIS3_Lb0EPfS7_N6thrust23THRUST_200600_302600_NS10device_ptrIlEESB_jNS0_19identity_decomposerENS1_16block_id_wrapperIjLb1EEEEE10hipError_tT1_PNSt15iterator_traitsISG_E10value_typeET2_T3_PNSH_ISM_E10value_typeET4_T5_PSR_SS_PNS1_23onesweep_lookback_stateEbbT6_jjT7_P12ihipStream_tbENKUlT_T0_SG_SL_E_clIS7_S7_SB_PlEEDaSZ_S10_SG_SL_EUlSZ_E_NS1_11comp_targetILNS1_3genE0ELNS1_11target_archE4294967295ELNS1_3gpuE0ELNS1_3repE0EEENS1_47radix_sort_onesweep_sort_config_static_selectorELNS0_4arch9wavefront6targetE1EEEvSG_,@function
_ZN7rocprim17ROCPRIM_400000_NS6detail17trampoline_kernelINS0_14default_configENS1_35radix_sort_onesweep_config_selectorIflEEZZNS1_29radix_sort_onesweep_iterationIS3_Lb0EPfS7_N6thrust23THRUST_200600_302600_NS10device_ptrIlEESB_jNS0_19identity_decomposerENS1_16block_id_wrapperIjLb1EEEEE10hipError_tT1_PNSt15iterator_traitsISG_E10value_typeET2_T3_PNSH_ISM_E10value_typeET4_T5_PSR_SS_PNS1_23onesweep_lookback_stateEbbT6_jjT7_P12ihipStream_tbENKUlT_T0_SG_SL_E_clIS7_S7_SB_PlEEDaSZ_S10_SG_SL_EUlSZ_E_NS1_11comp_targetILNS1_3genE0ELNS1_11target_archE4294967295ELNS1_3gpuE0ELNS1_3repE0EEENS1_47radix_sort_onesweep_sort_config_static_selectorELNS0_4arch9wavefront6targetE1EEEvSG_: ; @_ZN7rocprim17ROCPRIM_400000_NS6detail17trampoline_kernelINS0_14default_configENS1_35radix_sort_onesweep_config_selectorIflEEZZNS1_29radix_sort_onesweep_iterationIS3_Lb0EPfS7_N6thrust23THRUST_200600_302600_NS10device_ptrIlEESB_jNS0_19identity_decomposerENS1_16block_id_wrapperIjLb1EEEEE10hipError_tT1_PNSt15iterator_traitsISG_E10value_typeET2_T3_PNSH_ISM_E10value_typeET4_T5_PSR_SS_PNS1_23onesweep_lookback_stateEbbT6_jjT7_P12ihipStream_tbENKUlT_T0_SG_SL_E_clIS7_S7_SB_PlEEDaSZ_S10_SG_SL_EUlSZ_E_NS1_11comp_targetILNS1_3genE0ELNS1_11target_archE4294967295ELNS1_3gpuE0ELNS1_3repE0EEENS1_47radix_sort_onesweep_sort_config_static_selectorELNS0_4arch9wavefront6targetE1EEEvSG_
; %bb.0:
	.section	.rodata,"a",@progbits
	.p2align	6, 0x0
	.amdhsa_kernel _ZN7rocprim17ROCPRIM_400000_NS6detail17trampoline_kernelINS0_14default_configENS1_35radix_sort_onesweep_config_selectorIflEEZZNS1_29radix_sort_onesweep_iterationIS3_Lb0EPfS7_N6thrust23THRUST_200600_302600_NS10device_ptrIlEESB_jNS0_19identity_decomposerENS1_16block_id_wrapperIjLb1EEEEE10hipError_tT1_PNSt15iterator_traitsISG_E10value_typeET2_T3_PNSH_ISM_E10value_typeET4_T5_PSR_SS_PNS1_23onesweep_lookback_stateEbbT6_jjT7_P12ihipStream_tbENKUlT_T0_SG_SL_E_clIS7_S7_SB_PlEEDaSZ_S10_SG_SL_EUlSZ_E_NS1_11comp_targetILNS1_3genE0ELNS1_11target_archE4294967295ELNS1_3gpuE0ELNS1_3repE0EEENS1_47radix_sort_onesweep_sort_config_static_selectorELNS0_4arch9wavefront6targetE1EEEvSG_
		.amdhsa_group_segment_fixed_size 0
		.amdhsa_private_segment_fixed_size 0
		.amdhsa_kernarg_size 88
		.amdhsa_user_sgpr_count 6
		.amdhsa_user_sgpr_private_segment_buffer 1
		.amdhsa_user_sgpr_dispatch_ptr 0
		.amdhsa_user_sgpr_queue_ptr 0
		.amdhsa_user_sgpr_kernarg_segment_ptr 1
		.amdhsa_user_sgpr_dispatch_id 0
		.amdhsa_user_sgpr_flat_scratch_init 0
		.amdhsa_user_sgpr_kernarg_preload_length 0
		.amdhsa_user_sgpr_kernarg_preload_offset 0
		.amdhsa_user_sgpr_private_segment_size 0
		.amdhsa_uses_dynamic_stack 0
		.amdhsa_system_sgpr_private_segment_wavefront_offset 0
		.amdhsa_system_sgpr_workgroup_id_x 1
		.amdhsa_system_sgpr_workgroup_id_y 0
		.amdhsa_system_sgpr_workgroup_id_z 0
		.amdhsa_system_sgpr_workgroup_info 0
		.amdhsa_system_vgpr_workitem_id 0
		.amdhsa_next_free_vgpr 1
		.amdhsa_next_free_sgpr 0
		.amdhsa_accum_offset 4
		.amdhsa_reserve_vcc 0
		.amdhsa_reserve_flat_scratch 0
		.amdhsa_float_round_mode_32 0
		.amdhsa_float_round_mode_16_64 0
		.amdhsa_float_denorm_mode_32 3
		.amdhsa_float_denorm_mode_16_64 3
		.amdhsa_dx10_clamp 1
		.amdhsa_ieee_mode 1
		.amdhsa_fp16_overflow 0
		.amdhsa_tg_split 0
		.amdhsa_exception_fp_ieee_invalid_op 0
		.amdhsa_exception_fp_denorm_src 0
		.amdhsa_exception_fp_ieee_div_zero 0
		.amdhsa_exception_fp_ieee_overflow 0
		.amdhsa_exception_fp_ieee_underflow 0
		.amdhsa_exception_fp_ieee_inexact 0
		.amdhsa_exception_int_div_zero 0
	.end_amdhsa_kernel
	.section	.text._ZN7rocprim17ROCPRIM_400000_NS6detail17trampoline_kernelINS0_14default_configENS1_35radix_sort_onesweep_config_selectorIflEEZZNS1_29radix_sort_onesweep_iterationIS3_Lb0EPfS7_N6thrust23THRUST_200600_302600_NS10device_ptrIlEESB_jNS0_19identity_decomposerENS1_16block_id_wrapperIjLb1EEEEE10hipError_tT1_PNSt15iterator_traitsISG_E10value_typeET2_T3_PNSH_ISM_E10value_typeET4_T5_PSR_SS_PNS1_23onesweep_lookback_stateEbbT6_jjT7_P12ihipStream_tbENKUlT_T0_SG_SL_E_clIS7_S7_SB_PlEEDaSZ_S10_SG_SL_EUlSZ_E_NS1_11comp_targetILNS1_3genE0ELNS1_11target_archE4294967295ELNS1_3gpuE0ELNS1_3repE0EEENS1_47radix_sort_onesweep_sort_config_static_selectorELNS0_4arch9wavefront6targetE1EEEvSG_,"axG",@progbits,_ZN7rocprim17ROCPRIM_400000_NS6detail17trampoline_kernelINS0_14default_configENS1_35radix_sort_onesweep_config_selectorIflEEZZNS1_29radix_sort_onesweep_iterationIS3_Lb0EPfS7_N6thrust23THRUST_200600_302600_NS10device_ptrIlEESB_jNS0_19identity_decomposerENS1_16block_id_wrapperIjLb1EEEEE10hipError_tT1_PNSt15iterator_traitsISG_E10value_typeET2_T3_PNSH_ISM_E10value_typeET4_T5_PSR_SS_PNS1_23onesweep_lookback_stateEbbT6_jjT7_P12ihipStream_tbENKUlT_T0_SG_SL_E_clIS7_S7_SB_PlEEDaSZ_S10_SG_SL_EUlSZ_E_NS1_11comp_targetILNS1_3genE0ELNS1_11target_archE4294967295ELNS1_3gpuE0ELNS1_3repE0EEENS1_47radix_sort_onesweep_sort_config_static_selectorELNS0_4arch9wavefront6targetE1EEEvSG_,comdat
.Lfunc_end1843:
	.size	_ZN7rocprim17ROCPRIM_400000_NS6detail17trampoline_kernelINS0_14default_configENS1_35radix_sort_onesweep_config_selectorIflEEZZNS1_29radix_sort_onesweep_iterationIS3_Lb0EPfS7_N6thrust23THRUST_200600_302600_NS10device_ptrIlEESB_jNS0_19identity_decomposerENS1_16block_id_wrapperIjLb1EEEEE10hipError_tT1_PNSt15iterator_traitsISG_E10value_typeET2_T3_PNSH_ISM_E10value_typeET4_T5_PSR_SS_PNS1_23onesweep_lookback_stateEbbT6_jjT7_P12ihipStream_tbENKUlT_T0_SG_SL_E_clIS7_S7_SB_PlEEDaSZ_S10_SG_SL_EUlSZ_E_NS1_11comp_targetILNS1_3genE0ELNS1_11target_archE4294967295ELNS1_3gpuE0ELNS1_3repE0EEENS1_47radix_sort_onesweep_sort_config_static_selectorELNS0_4arch9wavefront6targetE1EEEvSG_, .Lfunc_end1843-_ZN7rocprim17ROCPRIM_400000_NS6detail17trampoline_kernelINS0_14default_configENS1_35radix_sort_onesweep_config_selectorIflEEZZNS1_29radix_sort_onesweep_iterationIS3_Lb0EPfS7_N6thrust23THRUST_200600_302600_NS10device_ptrIlEESB_jNS0_19identity_decomposerENS1_16block_id_wrapperIjLb1EEEEE10hipError_tT1_PNSt15iterator_traitsISG_E10value_typeET2_T3_PNSH_ISM_E10value_typeET4_T5_PSR_SS_PNS1_23onesweep_lookback_stateEbbT6_jjT7_P12ihipStream_tbENKUlT_T0_SG_SL_E_clIS7_S7_SB_PlEEDaSZ_S10_SG_SL_EUlSZ_E_NS1_11comp_targetILNS1_3genE0ELNS1_11target_archE4294967295ELNS1_3gpuE0ELNS1_3repE0EEENS1_47radix_sort_onesweep_sort_config_static_selectorELNS0_4arch9wavefront6targetE1EEEvSG_
                                        ; -- End function
	.section	.AMDGPU.csdata,"",@progbits
; Kernel info:
; codeLenInByte = 0
; NumSgprs: 4
; NumVgprs: 0
; NumAgprs: 0
; TotalNumVgprs: 0
; ScratchSize: 0
; MemoryBound: 0
; FloatMode: 240
; IeeeMode: 1
; LDSByteSize: 0 bytes/workgroup (compile time only)
; SGPRBlocks: 0
; VGPRBlocks: 0
; NumSGPRsForWavesPerEU: 4
; NumVGPRsForWavesPerEU: 1
; AccumOffset: 4
; Occupancy: 8
; WaveLimiterHint : 0
; COMPUTE_PGM_RSRC2:SCRATCH_EN: 0
; COMPUTE_PGM_RSRC2:USER_SGPR: 6
; COMPUTE_PGM_RSRC2:TRAP_HANDLER: 0
; COMPUTE_PGM_RSRC2:TGID_X_EN: 1
; COMPUTE_PGM_RSRC2:TGID_Y_EN: 0
; COMPUTE_PGM_RSRC2:TGID_Z_EN: 0
; COMPUTE_PGM_RSRC2:TIDIG_COMP_CNT: 0
; COMPUTE_PGM_RSRC3_GFX90A:ACCUM_OFFSET: 0
; COMPUTE_PGM_RSRC3_GFX90A:TG_SPLIT: 0
	.section	.text._ZN7rocprim17ROCPRIM_400000_NS6detail17trampoline_kernelINS0_14default_configENS1_35radix_sort_onesweep_config_selectorIflEEZZNS1_29radix_sort_onesweep_iterationIS3_Lb0EPfS7_N6thrust23THRUST_200600_302600_NS10device_ptrIlEESB_jNS0_19identity_decomposerENS1_16block_id_wrapperIjLb1EEEEE10hipError_tT1_PNSt15iterator_traitsISG_E10value_typeET2_T3_PNSH_ISM_E10value_typeET4_T5_PSR_SS_PNS1_23onesweep_lookback_stateEbbT6_jjT7_P12ihipStream_tbENKUlT_T0_SG_SL_E_clIS7_S7_SB_PlEEDaSZ_S10_SG_SL_EUlSZ_E_NS1_11comp_targetILNS1_3genE6ELNS1_11target_archE950ELNS1_3gpuE13ELNS1_3repE0EEENS1_47radix_sort_onesweep_sort_config_static_selectorELNS0_4arch9wavefront6targetE1EEEvSG_,"axG",@progbits,_ZN7rocprim17ROCPRIM_400000_NS6detail17trampoline_kernelINS0_14default_configENS1_35radix_sort_onesweep_config_selectorIflEEZZNS1_29radix_sort_onesweep_iterationIS3_Lb0EPfS7_N6thrust23THRUST_200600_302600_NS10device_ptrIlEESB_jNS0_19identity_decomposerENS1_16block_id_wrapperIjLb1EEEEE10hipError_tT1_PNSt15iterator_traitsISG_E10value_typeET2_T3_PNSH_ISM_E10value_typeET4_T5_PSR_SS_PNS1_23onesweep_lookback_stateEbbT6_jjT7_P12ihipStream_tbENKUlT_T0_SG_SL_E_clIS7_S7_SB_PlEEDaSZ_S10_SG_SL_EUlSZ_E_NS1_11comp_targetILNS1_3genE6ELNS1_11target_archE950ELNS1_3gpuE13ELNS1_3repE0EEENS1_47radix_sort_onesweep_sort_config_static_selectorELNS0_4arch9wavefront6targetE1EEEvSG_,comdat
	.protected	_ZN7rocprim17ROCPRIM_400000_NS6detail17trampoline_kernelINS0_14default_configENS1_35radix_sort_onesweep_config_selectorIflEEZZNS1_29radix_sort_onesweep_iterationIS3_Lb0EPfS7_N6thrust23THRUST_200600_302600_NS10device_ptrIlEESB_jNS0_19identity_decomposerENS1_16block_id_wrapperIjLb1EEEEE10hipError_tT1_PNSt15iterator_traitsISG_E10value_typeET2_T3_PNSH_ISM_E10value_typeET4_T5_PSR_SS_PNS1_23onesweep_lookback_stateEbbT6_jjT7_P12ihipStream_tbENKUlT_T0_SG_SL_E_clIS7_S7_SB_PlEEDaSZ_S10_SG_SL_EUlSZ_E_NS1_11comp_targetILNS1_3genE6ELNS1_11target_archE950ELNS1_3gpuE13ELNS1_3repE0EEENS1_47radix_sort_onesweep_sort_config_static_selectorELNS0_4arch9wavefront6targetE1EEEvSG_ ; -- Begin function _ZN7rocprim17ROCPRIM_400000_NS6detail17trampoline_kernelINS0_14default_configENS1_35radix_sort_onesweep_config_selectorIflEEZZNS1_29radix_sort_onesweep_iterationIS3_Lb0EPfS7_N6thrust23THRUST_200600_302600_NS10device_ptrIlEESB_jNS0_19identity_decomposerENS1_16block_id_wrapperIjLb1EEEEE10hipError_tT1_PNSt15iterator_traitsISG_E10value_typeET2_T3_PNSH_ISM_E10value_typeET4_T5_PSR_SS_PNS1_23onesweep_lookback_stateEbbT6_jjT7_P12ihipStream_tbENKUlT_T0_SG_SL_E_clIS7_S7_SB_PlEEDaSZ_S10_SG_SL_EUlSZ_E_NS1_11comp_targetILNS1_3genE6ELNS1_11target_archE950ELNS1_3gpuE13ELNS1_3repE0EEENS1_47radix_sort_onesweep_sort_config_static_selectorELNS0_4arch9wavefront6targetE1EEEvSG_
	.globl	_ZN7rocprim17ROCPRIM_400000_NS6detail17trampoline_kernelINS0_14default_configENS1_35radix_sort_onesweep_config_selectorIflEEZZNS1_29radix_sort_onesweep_iterationIS3_Lb0EPfS7_N6thrust23THRUST_200600_302600_NS10device_ptrIlEESB_jNS0_19identity_decomposerENS1_16block_id_wrapperIjLb1EEEEE10hipError_tT1_PNSt15iterator_traitsISG_E10value_typeET2_T3_PNSH_ISM_E10value_typeET4_T5_PSR_SS_PNS1_23onesweep_lookback_stateEbbT6_jjT7_P12ihipStream_tbENKUlT_T0_SG_SL_E_clIS7_S7_SB_PlEEDaSZ_S10_SG_SL_EUlSZ_E_NS1_11comp_targetILNS1_3genE6ELNS1_11target_archE950ELNS1_3gpuE13ELNS1_3repE0EEENS1_47radix_sort_onesweep_sort_config_static_selectorELNS0_4arch9wavefront6targetE1EEEvSG_
	.p2align	8
	.type	_ZN7rocprim17ROCPRIM_400000_NS6detail17trampoline_kernelINS0_14default_configENS1_35radix_sort_onesweep_config_selectorIflEEZZNS1_29radix_sort_onesweep_iterationIS3_Lb0EPfS7_N6thrust23THRUST_200600_302600_NS10device_ptrIlEESB_jNS0_19identity_decomposerENS1_16block_id_wrapperIjLb1EEEEE10hipError_tT1_PNSt15iterator_traitsISG_E10value_typeET2_T3_PNSH_ISM_E10value_typeET4_T5_PSR_SS_PNS1_23onesweep_lookback_stateEbbT6_jjT7_P12ihipStream_tbENKUlT_T0_SG_SL_E_clIS7_S7_SB_PlEEDaSZ_S10_SG_SL_EUlSZ_E_NS1_11comp_targetILNS1_3genE6ELNS1_11target_archE950ELNS1_3gpuE13ELNS1_3repE0EEENS1_47radix_sort_onesweep_sort_config_static_selectorELNS0_4arch9wavefront6targetE1EEEvSG_,@function
_ZN7rocprim17ROCPRIM_400000_NS6detail17trampoline_kernelINS0_14default_configENS1_35radix_sort_onesweep_config_selectorIflEEZZNS1_29radix_sort_onesweep_iterationIS3_Lb0EPfS7_N6thrust23THRUST_200600_302600_NS10device_ptrIlEESB_jNS0_19identity_decomposerENS1_16block_id_wrapperIjLb1EEEEE10hipError_tT1_PNSt15iterator_traitsISG_E10value_typeET2_T3_PNSH_ISM_E10value_typeET4_T5_PSR_SS_PNS1_23onesweep_lookback_stateEbbT6_jjT7_P12ihipStream_tbENKUlT_T0_SG_SL_E_clIS7_S7_SB_PlEEDaSZ_S10_SG_SL_EUlSZ_E_NS1_11comp_targetILNS1_3genE6ELNS1_11target_archE950ELNS1_3gpuE13ELNS1_3repE0EEENS1_47radix_sort_onesweep_sort_config_static_selectorELNS0_4arch9wavefront6targetE1EEEvSG_: ; @_ZN7rocprim17ROCPRIM_400000_NS6detail17trampoline_kernelINS0_14default_configENS1_35radix_sort_onesweep_config_selectorIflEEZZNS1_29radix_sort_onesweep_iterationIS3_Lb0EPfS7_N6thrust23THRUST_200600_302600_NS10device_ptrIlEESB_jNS0_19identity_decomposerENS1_16block_id_wrapperIjLb1EEEEE10hipError_tT1_PNSt15iterator_traitsISG_E10value_typeET2_T3_PNSH_ISM_E10value_typeET4_T5_PSR_SS_PNS1_23onesweep_lookback_stateEbbT6_jjT7_P12ihipStream_tbENKUlT_T0_SG_SL_E_clIS7_S7_SB_PlEEDaSZ_S10_SG_SL_EUlSZ_E_NS1_11comp_targetILNS1_3genE6ELNS1_11target_archE950ELNS1_3gpuE13ELNS1_3repE0EEENS1_47radix_sort_onesweep_sort_config_static_selectorELNS0_4arch9wavefront6targetE1EEEvSG_
; %bb.0:
	.section	.rodata,"a",@progbits
	.p2align	6, 0x0
	.amdhsa_kernel _ZN7rocprim17ROCPRIM_400000_NS6detail17trampoline_kernelINS0_14default_configENS1_35radix_sort_onesweep_config_selectorIflEEZZNS1_29radix_sort_onesweep_iterationIS3_Lb0EPfS7_N6thrust23THRUST_200600_302600_NS10device_ptrIlEESB_jNS0_19identity_decomposerENS1_16block_id_wrapperIjLb1EEEEE10hipError_tT1_PNSt15iterator_traitsISG_E10value_typeET2_T3_PNSH_ISM_E10value_typeET4_T5_PSR_SS_PNS1_23onesweep_lookback_stateEbbT6_jjT7_P12ihipStream_tbENKUlT_T0_SG_SL_E_clIS7_S7_SB_PlEEDaSZ_S10_SG_SL_EUlSZ_E_NS1_11comp_targetILNS1_3genE6ELNS1_11target_archE950ELNS1_3gpuE13ELNS1_3repE0EEENS1_47radix_sort_onesweep_sort_config_static_selectorELNS0_4arch9wavefront6targetE1EEEvSG_
		.amdhsa_group_segment_fixed_size 0
		.amdhsa_private_segment_fixed_size 0
		.amdhsa_kernarg_size 88
		.amdhsa_user_sgpr_count 6
		.amdhsa_user_sgpr_private_segment_buffer 1
		.amdhsa_user_sgpr_dispatch_ptr 0
		.amdhsa_user_sgpr_queue_ptr 0
		.amdhsa_user_sgpr_kernarg_segment_ptr 1
		.amdhsa_user_sgpr_dispatch_id 0
		.amdhsa_user_sgpr_flat_scratch_init 0
		.amdhsa_user_sgpr_kernarg_preload_length 0
		.amdhsa_user_sgpr_kernarg_preload_offset 0
		.amdhsa_user_sgpr_private_segment_size 0
		.amdhsa_uses_dynamic_stack 0
		.amdhsa_system_sgpr_private_segment_wavefront_offset 0
		.amdhsa_system_sgpr_workgroup_id_x 1
		.amdhsa_system_sgpr_workgroup_id_y 0
		.amdhsa_system_sgpr_workgroup_id_z 0
		.amdhsa_system_sgpr_workgroup_info 0
		.amdhsa_system_vgpr_workitem_id 0
		.amdhsa_next_free_vgpr 1
		.amdhsa_next_free_sgpr 0
		.amdhsa_accum_offset 4
		.amdhsa_reserve_vcc 0
		.amdhsa_reserve_flat_scratch 0
		.amdhsa_float_round_mode_32 0
		.amdhsa_float_round_mode_16_64 0
		.amdhsa_float_denorm_mode_32 3
		.amdhsa_float_denorm_mode_16_64 3
		.amdhsa_dx10_clamp 1
		.amdhsa_ieee_mode 1
		.amdhsa_fp16_overflow 0
		.amdhsa_tg_split 0
		.amdhsa_exception_fp_ieee_invalid_op 0
		.amdhsa_exception_fp_denorm_src 0
		.amdhsa_exception_fp_ieee_div_zero 0
		.amdhsa_exception_fp_ieee_overflow 0
		.amdhsa_exception_fp_ieee_underflow 0
		.amdhsa_exception_fp_ieee_inexact 0
		.amdhsa_exception_int_div_zero 0
	.end_amdhsa_kernel
	.section	.text._ZN7rocprim17ROCPRIM_400000_NS6detail17trampoline_kernelINS0_14default_configENS1_35radix_sort_onesweep_config_selectorIflEEZZNS1_29radix_sort_onesweep_iterationIS3_Lb0EPfS7_N6thrust23THRUST_200600_302600_NS10device_ptrIlEESB_jNS0_19identity_decomposerENS1_16block_id_wrapperIjLb1EEEEE10hipError_tT1_PNSt15iterator_traitsISG_E10value_typeET2_T3_PNSH_ISM_E10value_typeET4_T5_PSR_SS_PNS1_23onesweep_lookback_stateEbbT6_jjT7_P12ihipStream_tbENKUlT_T0_SG_SL_E_clIS7_S7_SB_PlEEDaSZ_S10_SG_SL_EUlSZ_E_NS1_11comp_targetILNS1_3genE6ELNS1_11target_archE950ELNS1_3gpuE13ELNS1_3repE0EEENS1_47radix_sort_onesweep_sort_config_static_selectorELNS0_4arch9wavefront6targetE1EEEvSG_,"axG",@progbits,_ZN7rocprim17ROCPRIM_400000_NS6detail17trampoline_kernelINS0_14default_configENS1_35radix_sort_onesweep_config_selectorIflEEZZNS1_29radix_sort_onesweep_iterationIS3_Lb0EPfS7_N6thrust23THRUST_200600_302600_NS10device_ptrIlEESB_jNS0_19identity_decomposerENS1_16block_id_wrapperIjLb1EEEEE10hipError_tT1_PNSt15iterator_traitsISG_E10value_typeET2_T3_PNSH_ISM_E10value_typeET4_T5_PSR_SS_PNS1_23onesweep_lookback_stateEbbT6_jjT7_P12ihipStream_tbENKUlT_T0_SG_SL_E_clIS7_S7_SB_PlEEDaSZ_S10_SG_SL_EUlSZ_E_NS1_11comp_targetILNS1_3genE6ELNS1_11target_archE950ELNS1_3gpuE13ELNS1_3repE0EEENS1_47radix_sort_onesweep_sort_config_static_selectorELNS0_4arch9wavefront6targetE1EEEvSG_,comdat
.Lfunc_end1844:
	.size	_ZN7rocprim17ROCPRIM_400000_NS6detail17trampoline_kernelINS0_14default_configENS1_35radix_sort_onesweep_config_selectorIflEEZZNS1_29radix_sort_onesweep_iterationIS3_Lb0EPfS7_N6thrust23THRUST_200600_302600_NS10device_ptrIlEESB_jNS0_19identity_decomposerENS1_16block_id_wrapperIjLb1EEEEE10hipError_tT1_PNSt15iterator_traitsISG_E10value_typeET2_T3_PNSH_ISM_E10value_typeET4_T5_PSR_SS_PNS1_23onesweep_lookback_stateEbbT6_jjT7_P12ihipStream_tbENKUlT_T0_SG_SL_E_clIS7_S7_SB_PlEEDaSZ_S10_SG_SL_EUlSZ_E_NS1_11comp_targetILNS1_3genE6ELNS1_11target_archE950ELNS1_3gpuE13ELNS1_3repE0EEENS1_47radix_sort_onesweep_sort_config_static_selectorELNS0_4arch9wavefront6targetE1EEEvSG_, .Lfunc_end1844-_ZN7rocprim17ROCPRIM_400000_NS6detail17trampoline_kernelINS0_14default_configENS1_35radix_sort_onesweep_config_selectorIflEEZZNS1_29radix_sort_onesweep_iterationIS3_Lb0EPfS7_N6thrust23THRUST_200600_302600_NS10device_ptrIlEESB_jNS0_19identity_decomposerENS1_16block_id_wrapperIjLb1EEEEE10hipError_tT1_PNSt15iterator_traitsISG_E10value_typeET2_T3_PNSH_ISM_E10value_typeET4_T5_PSR_SS_PNS1_23onesweep_lookback_stateEbbT6_jjT7_P12ihipStream_tbENKUlT_T0_SG_SL_E_clIS7_S7_SB_PlEEDaSZ_S10_SG_SL_EUlSZ_E_NS1_11comp_targetILNS1_3genE6ELNS1_11target_archE950ELNS1_3gpuE13ELNS1_3repE0EEENS1_47radix_sort_onesweep_sort_config_static_selectorELNS0_4arch9wavefront6targetE1EEEvSG_
                                        ; -- End function
	.section	.AMDGPU.csdata,"",@progbits
; Kernel info:
; codeLenInByte = 0
; NumSgprs: 4
; NumVgprs: 0
; NumAgprs: 0
; TotalNumVgprs: 0
; ScratchSize: 0
; MemoryBound: 0
; FloatMode: 240
; IeeeMode: 1
; LDSByteSize: 0 bytes/workgroup (compile time only)
; SGPRBlocks: 0
; VGPRBlocks: 0
; NumSGPRsForWavesPerEU: 4
; NumVGPRsForWavesPerEU: 1
; AccumOffset: 4
; Occupancy: 8
; WaveLimiterHint : 0
; COMPUTE_PGM_RSRC2:SCRATCH_EN: 0
; COMPUTE_PGM_RSRC2:USER_SGPR: 6
; COMPUTE_PGM_RSRC2:TRAP_HANDLER: 0
; COMPUTE_PGM_RSRC2:TGID_X_EN: 1
; COMPUTE_PGM_RSRC2:TGID_Y_EN: 0
; COMPUTE_PGM_RSRC2:TGID_Z_EN: 0
; COMPUTE_PGM_RSRC2:TIDIG_COMP_CNT: 0
; COMPUTE_PGM_RSRC3_GFX90A:ACCUM_OFFSET: 0
; COMPUTE_PGM_RSRC3_GFX90A:TG_SPLIT: 0
	.section	.text._ZN7rocprim17ROCPRIM_400000_NS6detail17trampoline_kernelINS0_14default_configENS1_35radix_sort_onesweep_config_selectorIflEEZZNS1_29radix_sort_onesweep_iterationIS3_Lb0EPfS7_N6thrust23THRUST_200600_302600_NS10device_ptrIlEESB_jNS0_19identity_decomposerENS1_16block_id_wrapperIjLb1EEEEE10hipError_tT1_PNSt15iterator_traitsISG_E10value_typeET2_T3_PNSH_ISM_E10value_typeET4_T5_PSR_SS_PNS1_23onesweep_lookback_stateEbbT6_jjT7_P12ihipStream_tbENKUlT_T0_SG_SL_E_clIS7_S7_SB_PlEEDaSZ_S10_SG_SL_EUlSZ_E_NS1_11comp_targetILNS1_3genE5ELNS1_11target_archE942ELNS1_3gpuE9ELNS1_3repE0EEENS1_47radix_sort_onesweep_sort_config_static_selectorELNS0_4arch9wavefront6targetE1EEEvSG_,"axG",@progbits,_ZN7rocprim17ROCPRIM_400000_NS6detail17trampoline_kernelINS0_14default_configENS1_35radix_sort_onesweep_config_selectorIflEEZZNS1_29radix_sort_onesweep_iterationIS3_Lb0EPfS7_N6thrust23THRUST_200600_302600_NS10device_ptrIlEESB_jNS0_19identity_decomposerENS1_16block_id_wrapperIjLb1EEEEE10hipError_tT1_PNSt15iterator_traitsISG_E10value_typeET2_T3_PNSH_ISM_E10value_typeET4_T5_PSR_SS_PNS1_23onesweep_lookback_stateEbbT6_jjT7_P12ihipStream_tbENKUlT_T0_SG_SL_E_clIS7_S7_SB_PlEEDaSZ_S10_SG_SL_EUlSZ_E_NS1_11comp_targetILNS1_3genE5ELNS1_11target_archE942ELNS1_3gpuE9ELNS1_3repE0EEENS1_47radix_sort_onesweep_sort_config_static_selectorELNS0_4arch9wavefront6targetE1EEEvSG_,comdat
	.protected	_ZN7rocprim17ROCPRIM_400000_NS6detail17trampoline_kernelINS0_14default_configENS1_35radix_sort_onesweep_config_selectorIflEEZZNS1_29radix_sort_onesweep_iterationIS3_Lb0EPfS7_N6thrust23THRUST_200600_302600_NS10device_ptrIlEESB_jNS0_19identity_decomposerENS1_16block_id_wrapperIjLb1EEEEE10hipError_tT1_PNSt15iterator_traitsISG_E10value_typeET2_T3_PNSH_ISM_E10value_typeET4_T5_PSR_SS_PNS1_23onesweep_lookback_stateEbbT6_jjT7_P12ihipStream_tbENKUlT_T0_SG_SL_E_clIS7_S7_SB_PlEEDaSZ_S10_SG_SL_EUlSZ_E_NS1_11comp_targetILNS1_3genE5ELNS1_11target_archE942ELNS1_3gpuE9ELNS1_3repE0EEENS1_47radix_sort_onesweep_sort_config_static_selectorELNS0_4arch9wavefront6targetE1EEEvSG_ ; -- Begin function _ZN7rocprim17ROCPRIM_400000_NS6detail17trampoline_kernelINS0_14default_configENS1_35radix_sort_onesweep_config_selectorIflEEZZNS1_29radix_sort_onesweep_iterationIS3_Lb0EPfS7_N6thrust23THRUST_200600_302600_NS10device_ptrIlEESB_jNS0_19identity_decomposerENS1_16block_id_wrapperIjLb1EEEEE10hipError_tT1_PNSt15iterator_traitsISG_E10value_typeET2_T3_PNSH_ISM_E10value_typeET4_T5_PSR_SS_PNS1_23onesweep_lookback_stateEbbT6_jjT7_P12ihipStream_tbENKUlT_T0_SG_SL_E_clIS7_S7_SB_PlEEDaSZ_S10_SG_SL_EUlSZ_E_NS1_11comp_targetILNS1_3genE5ELNS1_11target_archE942ELNS1_3gpuE9ELNS1_3repE0EEENS1_47radix_sort_onesweep_sort_config_static_selectorELNS0_4arch9wavefront6targetE1EEEvSG_
	.globl	_ZN7rocprim17ROCPRIM_400000_NS6detail17trampoline_kernelINS0_14default_configENS1_35radix_sort_onesweep_config_selectorIflEEZZNS1_29radix_sort_onesweep_iterationIS3_Lb0EPfS7_N6thrust23THRUST_200600_302600_NS10device_ptrIlEESB_jNS0_19identity_decomposerENS1_16block_id_wrapperIjLb1EEEEE10hipError_tT1_PNSt15iterator_traitsISG_E10value_typeET2_T3_PNSH_ISM_E10value_typeET4_T5_PSR_SS_PNS1_23onesweep_lookback_stateEbbT6_jjT7_P12ihipStream_tbENKUlT_T0_SG_SL_E_clIS7_S7_SB_PlEEDaSZ_S10_SG_SL_EUlSZ_E_NS1_11comp_targetILNS1_3genE5ELNS1_11target_archE942ELNS1_3gpuE9ELNS1_3repE0EEENS1_47radix_sort_onesweep_sort_config_static_selectorELNS0_4arch9wavefront6targetE1EEEvSG_
	.p2align	8
	.type	_ZN7rocprim17ROCPRIM_400000_NS6detail17trampoline_kernelINS0_14default_configENS1_35radix_sort_onesweep_config_selectorIflEEZZNS1_29radix_sort_onesweep_iterationIS3_Lb0EPfS7_N6thrust23THRUST_200600_302600_NS10device_ptrIlEESB_jNS0_19identity_decomposerENS1_16block_id_wrapperIjLb1EEEEE10hipError_tT1_PNSt15iterator_traitsISG_E10value_typeET2_T3_PNSH_ISM_E10value_typeET4_T5_PSR_SS_PNS1_23onesweep_lookback_stateEbbT6_jjT7_P12ihipStream_tbENKUlT_T0_SG_SL_E_clIS7_S7_SB_PlEEDaSZ_S10_SG_SL_EUlSZ_E_NS1_11comp_targetILNS1_3genE5ELNS1_11target_archE942ELNS1_3gpuE9ELNS1_3repE0EEENS1_47radix_sort_onesweep_sort_config_static_selectorELNS0_4arch9wavefront6targetE1EEEvSG_,@function
_ZN7rocprim17ROCPRIM_400000_NS6detail17trampoline_kernelINS0_14default_configENS1_35radix_sort_onesweep_config_selectorIflEEZZNS1_29radix_sort_onesweep_iterationIS3_Lb0EPfS7_N6thrust23THRUST_200600_302600_NS10device_ptrIlEESB_jNS0_19identity_decomposerENS1_16block_id_wrapperIjLb1EEEEE10hipError_tT1_PNSt15iterator_traitsISG_E10value_typeET2_T3_PNSH_ISM_E10value_typeET4_T5_PSR_SS_PNS1_23onesweep_lookback_stateEbbT6_jjT7_P12ihipStream_tbENKUlT_T0_SG_SL_E_clIS7_S7_SB_PlEEDaSZ_S10_SG_SL_EUlSZ_E_NS1_11comp_targetILNS1_3genE5ELNS1_11target_archE942ELNS1_3gpuE9ELNS1_3repE0EEENS1_47radix_sort_onesweep_sort_config_static_selectorELNS0_4arch9wavefront6targetE1EEEvSG_: ; @_ZN7rocprim17ROCPRIM_400000_NS6detail17trampoline_kernelINS0_14default_configENS1_35radix_sort_onesweep_config_selectorIflEEZZNS1_29radix_sort_onesweep_iterationIS3_Lb0EPfS7_N6thrust23THRUST_200600_302600_NS10device_ptrIlEESB_jNS0_19identity_decomposerENS1_16block_id_wrapperIjLb1EEEEE10hipError_tT1_PNSt15iterator_traitsISG_E10value_typeET2_T3_PNSH_ISM_E10value_typeET4_T5_PSR_SS_PNS1_23onesweep_lookback_stateEbbT6_jjT7_P12ihipStream_tbENKUlT_T0_SG_SL_E_clIS7_S7_SB_PlEEDaSZ_S10_SG_SL_EUlSZ_E_NS1_11comp_targetILNS1_3genE5ELNS1_11target_archE942ELNS1_3gpuE9ELNS1_3repE0EEENS1_47radix_sort_onesweep_sort_config_static_selectorELNS0_4arch9wavefront6targetE1EEEvSG_
; %bb.0:
	.section	.rodata,"a",@progbits
	.p2align	6, 0x0
	.amdhsa_kernel _ZN7rocprim17ROCPRIM_400000_NS6detail17trampoline_kernelINS0_14default_configENS1_35radix_sort_onesweep_config_selectorIflEEZZNS1_29radix_sort_onesweep_iterationIS3_Lb0EPfS7_N6thrust23THRUST_200600_302600_NS10device_ptrIlEESB_jNS0_19identity_decomposerENS1_16block_id_wrapperIjLb1EEEEE10hipError_tT1_PNSt15iterator_traitsISG_E10value_typeET2_T3_PNSH_ISM_E10value_typeET4_T5_PSR_SS_PNS1_23onesweep_lookback_stateEbbT6_jjT7_P12ihipStream_tbENKUlT_T0_SG_SL_E_clIS7_S7_SB_PlEEDaSZ_S10_SG_SL_EUlSZ_E_NS1_11comp_targetILNS1_3genE5ELNS1_11target_archE942ELNS1_3gpuE9ELNS1_3repE0EEENS1_47radix_sort_onesweep_sort_config_static_selectorELNS0_4arch9wavefront6targetE1EEEvSG_
		.amdhsa_group_segment_fixed_size 0
		.amdhsa_private_segment_fixed_size 0
		.amdhsa_kernarg_size 88
		.amdhsa_user_sgpr_count 6
		.amdhsa_user_sgpr_private_segment_buffer 1
		.amdhsa_user_sgpr_dispatch_ptr 0
		.amdhsa_user_sgpr_queue_ptr 0
		.amdhsa_user_sgpr_kernarg_segment_ptr 1
		.amdhsa_user_sgpr_dispatch_id 0
		.amdhsa_user_sgpr_flat_scratch_init 0
		.amdhsa_user_sgpr_kernarg_preload_length 0
		.amdhsa_user_sgpr_kernarg_preload_offset 0
		.amdhsa_user_sgpr_private_segment_size 0
		.amdhsa_uses_dynamic_stack 0
		.amdhsa_system_sgpr_private_segment_wavefront_offset 0
		.amdhsa_system_sgpr_workgroup_id_x 1
		.amdhsa_system_sgpr_workgroup_id_y 0
		.amdhsa_system_sgpr_workgroup_id_z 0
		.amdhsa_system_sgpr_workgroup_info 0
		.amdhsa_system_vgpr_workitem_id 0
		.amdhsa_next_free_vgpr 1
		.amdhsa_next_free_sgpr 0
		.amdhsa_accum_offset 4
		.amdhsa_reserve_vcc 0
		.amdhsa_reserve_flat_scratch 0
		.amdhsa_float_round_mode_32 0
		.amdhsa_float_round_mode_16_64 0
		.amdhsa_float_denorm_mode_32 3
		.amdhsa_float_denorm_mode_16_64 3
		.amdhsa_dx10_clamp 1
		.amdhsa_ieee_mode 1
		.amdhsa_fp16_overflow 0
		.amdhsa_tg_split 0
		.amdhsa_exception_fp_ieee_invalid_op 0
		.amdhsa_exception_fp_denorm_src 0
		.amdhsa_exception_fp_ieee_div_zero 0
		.amdhsa_exception_fp_ieee_overflow 0
		.amdhsa_exception_fp_ieee_underflow 0
		.amdhsa_exception_fp_ieee_inexact 0
		.amdhsa_exception_int_div_zero 0
	.end_amdhsa_kernel
	.section	.text._ZN7rocprim17ROCPRIM_400000_NS6detail17trampoline_kernelINS0_14default_configENS1_35radix_sort_onesweep_config_selectorIflEEZZNS1_29radix_sort_onesweep_iterationIS3_Lb0EPfS7_N6thrust23THRUST_200600_302600_NS10device_ptrIlEESB_jNS0_19identity_decomposerENS1_16block_id_wrapperIjLb1EEEEE10hipError_tT1_PNSt15iterator_traitsISG_E10value_typeET2_T3_PNSH_ISM_E10value_typeET4_T5_PSR_SS_PNS1_23onesweep_lookback_stateEbbT6_jjT7_P12ihipStream_tbENKUlT_T0_SG_SL_E_clIS7_S7_SB_PlEEDaSZ_S10_SG_SL_EUlSZ_E_NS1_11comp_targetILNS1_3genE5ELNS1_11target_archE942ELNS1_3gpuE9ELNS1_3repE0EEENS1_47radix_sort_onesweep_sort_config_static_selectorELNS0_4arch9wavefront6targetE1EEEvSG_,"axG",@progbits,_ZN7rocprim17ROCPRIM_400000_NS6detail17trampoline_kernelINS0_14default_configENS1_35radix_sort_onesweep_config_selectorIflEEZZNS1_29radix_sort_onesweep_iterationIS3_Lb0EPfS7_N6thrust23THRUST_200600_302600_NS10device_ptrIlEESB_jNS0_19identity_decomposerENS1_16block_id_wrapperIjLb1EEEEE10hipError_tT1_PNSt15iterator_traitsISG_E10value_typeET2_T3_PNSH_ISM_E10value_typeET4_T5_PSR_SS_PNS1_23onesweep_lookback_stateEbbT6_jjT7_P12ihipStream_tbENKUlT_T0_SG_SL_E_clIS7_S7_SB_PlEEDaSZ_S10_SG_SL_EUlSZ_E_NS1_11comp_targetILNS1_3genE5ELNS1_11target_archE942ELNS1_3gpuE9ELNS1_3repE0EEENS1_47radix_sort_onesweep_sort_config_static_selectorELNS0_4arch9wavefront6targetE1EEEvSG_,comdat
.Lfunc_end1845:
	.size	_ZN7rocprim17ROCPRIM_400000_NS6detail17trampoline_kernelINS0_14default_configENS1_35radix_sort_onesweep_config_selectorIflEEZZNS1_29radix_sort_onesweep_iterationIS3_Lb0EPfS7_N6thrust23THRUST_200600_302600_NS10device_ptrIlEESB_jNS0_19identity_decomposerENS1_16block_id_wrapperIjLb1EEEEE10hipError_tT1_PNSt15iterator_traitsISG_E10value_typeET2_T3_PNSH_ISM_E10value_typeET4_T5_PSR_SS_PNS1_23onesweep_lookback_stateEbbT6_jjT7_P12ihipStream_tbENKUlT_T0_SG_SL_E_clIS7_S7_SB_PlEEDaSZ_S10_SG_SL_EUlSZ_E_NS1_11comp_targetILNS1_3genE5ELNS1_11target_archE942ELNS1_3gpuE9ELNS1_3repE0EEENS1_47radix_sort_onesweep_sort_config_static_selectorELNS0_4arch9wavefront6targetE1EEEvSG_, .Lfunc_end1845-_ZN7rocprim17ROCPRIM_400000_NS6detail17trampoline_kernelINS0_14default_configENS1_35radix_sort_onesweep_config_selectorIflEEZZNS1_29radix_sort_onesweep_iterationIS3_Lb0EPfS7_N6thrust23THRUST_200600_302600_NS10device_ptrIlEESB_jNS0_19identity_decomposerENS1_16block_id_wrapperIjLb1EEEEE10hipError_tT1_PNSt15iterator_traitsISG_E10value_typeET2_T3_PNSH_ISM_E10value_typeET4_T5_PSR_SS_PNS1_23onesweep_lookback_stateEbbT6_jjT7_P12ihipStream_tbENKUlT_T0_SG_SL_E_clIS7_S7_SB_PlEEDaSZ_S10_SG_SL_EUlSZ_E_NS1_11comp_targetILNS1_3genE5ELNS1_11target_archE942ELNS1_3gpuE9ELNS1_3repE0EEENS1_47radix_sort_onesweep_sort_config_static_selectorELNS0_4arch9wavefront6targetE1EEEvSG_
                                        ; -- End function
	.section	.AMDGPU.csdata,"",@progbits
; Kernel info:
; codeLenInByte = 0
; NumSgprs: 4
; NumVgprs: 0
; NumAgprs: 0
; TotalNumVgprs: 0
; ScratchSize: 0
; MemoryBound: 0
; FloatMode: 240
; IeeeMode: 1
; LDSByteSize: 0 bytes/workgroup (compile time only)
; SGPRBlocks: 0
; VGPRBlocks: 0
; NumSGPRsForWavesPerEU: 4
; NumVGPRsForWavesPerEU: 1
; AccumOffset: 4
; Occupancy: 8
; WaveLimiterHint : 0
; COMPUTE_PGM_RSRC2:SCRATCH_EN: 0
; COMPUTE_PGM_RSRC2:USER_SGPR: 6
; COMPUTE_PGM_RSRC2:TRAP_HANDLER: 0
; COMPUTE_PGM_RSRC2:TGID_X_EN: 1
; COMPUTE_PGM_RSRC2:TGID_Y_EN: 0
; COMPUTE_PGM_RSRC2:TGID_Z_EN: 0
; COMPUTE_PGM_RSRC2:TIDIG_COMP_CNT: 0
; COMPUTE_PGM_RSRC3_GFX90A:ACCUM_OFFSET: 0
; COMPUTE_PGM_RSRC3_GFX90A:TG_SPLIT: 0
	.section	.text._ZN7rocprim17ROCPRIM_400000_NS6detail17trampoline_kernelINS0_14default_configENS1_35radix_sort_onesweep_config_selectorIflEEZZNS1_29radix_sort_onesweep_iterationIS3_Lb0EPfS7_N6thrust23THRUST_200600_302600_NS10device_ptrIlEESB_jNS0_19identity_decomposerENS1_16block_id_wrapperIjLb1EEEEE10hipError_tT1_PNSt15iterator_traitsISG_E10value_typeET2_T3_PNSH_ISM_E10value_typeET4_T5_PSR_SS_PNS1_23onesweep_lookback_stateEbbT6_jjT7_P12ihipStream_tbENKUlT_T0_SG_SL_E_clIS7_S7_SB_PlEEDaSZ_S10_SG_SL_EUlSZ_E_NS1_11comp_targetILNS1_3genE2ELNS1_11target_archE906ELNS1_3gpuE6ELNS1_3repE0EEENS1_47radix_sort_onesweep_sort_config_static_selectorELNS0_4arch9wavefront6targetE1EEEvSG_,"axG",@progbits,_ZN7rocprim17ROCPRIM_400000_NS6detail17trampoline_kernelINS0_14default_configENS1_35radix_sort_onesweep_config_selectorIflEEZZNS1_29radix_sort_onesweep_iterationIS3_Lb0EPfS7_N6thrust23THRUST_200600_302600_NS10device_ptrIlEESB_jNS0_19identity_decomposerENS1_16block_id_wrapperIjLb1EEEEE10hipError_tT1_PNSt15iterator_traitsISG_E10value_typeET2_T3_PNSH_ISM_E10value_typeET4_T5_PSR_SS_PNS1_23onesweep_lookback_stateEbbT6_jjT7_P12ihipStream_tbENKUlT_T0_SG_SL_E_clIS7_S7_SB_PlEEDaSZ_S10_SG_SL_EUlSZ_E_NS1_11comp_targetILNS1_3genE2ELNS1_11target_archE906ELNS1_3gpuE6ELNS1_3repE0EEENS1_47radix_sort_onesweep_sort_config_static_selectorELNS0_4arch9wavefront6targetE1EEEvSG_,comdat
	.protected	_ZN7rocprim17ROCPRIM_400000_NS6detail17trampoline_kernelINS0_14default_configENS1_35radix_sort_onesweep_config_selectorIflEEZZNS1_29radix_sort_onesweep_iterationIS3_Lb0EPfS7_N6thrust23THRUST_200600_302600_NS10device_ptrIlEESB_jNS0_19identity_decomposerENS1_16block_id_wrapperIjLb1EEEEE10hipError_tT1_PNSt15iterator_traitsISG_E10value_typeET2_T3_PNSH_ISM_E10value_typeET4_T5_PSR_SS_PNS1_23onesweep_lookback_stateEbbT6_jjT7_P12ihipStream_tbENKUlT_T0_SG_SL_E_clIS7_S7_SB_PlEEDaSZ_S10_SG_SL_EUlSZ_E_NS1_11comp_targetILNS1_3genE2ELNS1_11target_archE906ELNS1_3gpuE6ELNS1_3repE0EEENS1_47radix_sort_onesweep_sort_config_static_selectorELNS0_4arch9wavefront6targetE1EEEvSG_ ; -- Begin function _ZN7rocprim17ROCPRIM_400000_NS6detail17trampoline_kernelINS0_14default_configENS1_35radix_sort_onesweep_config_selectorIflEEZZNS1_29radix_sort_onesweep_iterationIS3_Lb0EPfS7_N6thrust23THRUST_200600_302600_NS10device_ptrIlEESB_jNS0_19identity_decomposerENS1_16block_id_wrapperIjLb1EEEEE10hipError_tT1_PNSt15iterator_traitsISG_E10value_typeET2_T3_PNSH_ISM_E10value_typeET4_T5_PSR_SS_PNS1_23onesweep_lookback_stateEbbT6_jjT7_P12ihipStream_tbENKUlT_T0_SG_SL_E_clIS7_S7_SB_PlEEDaSZ_S10_SG_SL_EUlSZ_E_NS1_11comp_targetILNS1_3genE2ELNS1_11target_archE906ELNS1_3gpuE6ELNS1_3repE0EEENS1_47radix_sort_onesweep_sort_config_static_selectorELNS0_4arch9wavefront6targetE1EEEvSG_
	.globl	_ZN7rocprim17ROCPRIM_400000_NS6detail17trampoline_kernelINS0_14default_configENS1_35radix_sort_onesweep_config_selectorIflEEZZNS1_29radix_sort_onesweep_iterationIS3_Lb0EPfS7_N6thrust23THRUST_200600_302600_NS10device_ptrIlEESB_jNS0_19identity_decomposerENS1_16block_id_wrapperIjLb1EEEEE10hipError_tT1_PNSt15iterator_traitsISG_E10value_typeET2_T3_PNSH_ISM_E10value_typeET4_T5_PSR_SS_PNS1_23onesweep_lookback_stateEbbT6_jjT7_P12ihipStream_tbENKUlT_T0_SG_SL_E_clIS7_S7_SB_PlEEDaSZ_S10_SG_SL_EUlSZ_E_NS1_11comp_targetILNS1_3genE2ELNS1_11target_archE906ELNS1_3gpuE6ELNS1_3repE0EEENS1_47radix_sort_onesweep_sort_config_static_selectorELNS0_4arch9wavefront6targetE1EEEvSG_
	.p2align	8
	.type	_ZN7rocprim17ROCPRIM_400000_NS6detail17trampoline_kernelINS0_14default_configENS1_35radix_sort_onesweep_config_selectorIflEEZZNS1_29radix_sort_onesweep_iterationIS3_Lb0EPfS7_N6thrust23THRUST_200600_302600_NS10device_ptrIlEESB_jNS0_19identity_decomposerENS1_16block_id_wrapperIjLb1EEEEE10hipError_tT1_PNSt15iterator_traitsISG_E10value_typeET2_T3_PNSH_ISM_E10value_typeET4_T5_PSR_SS_PNS1_23onesweep_lookback_stateEbbT6_jjT7_P12ihipStream_tbENKUlT_T0_SG_SL_E_clIS7_S7_SB_PlEEDaSZ_S10_SG_SL_EUlSZ_E_NS1_11comp_targetILNS1_3genE2ELNS1_11target_archE906ELNS1_3gpuE6ELNS1_3repE0EEENS1_47radix_sort_onesweep_sort_config_static_selectorELNS0_4arch9wavefront6targetE1EEEvSG_,@function
_ZN7rocprim17ROCPRIM_400000_NS6detail17trampoline_kernelINS0_14default_configENS1_35radix_sort_onesweep_config_selectorIflEEZZNS1_29radix_sort_onesweep_iterationIS3_Lb0EPfS7_N6thrust23THRUST_200600_302600_NS10device_ptrIlEESB_jNS0_19identity_decomposerENS1_16block_id_wrapperIjLb1EEEEE10hipError_tT1_PNSt15iterator_traitsISG_E10value_typeET2_T3_PNSH_ISM_E10value_typeET4_T5_PSR_SS_PNS1_23onesweep_lookback_stateEbbT6_jjT7_P12ihipStream_tbENKUlT_T0_SG_SL_E_clIS7_S7_SB_PlEEDaSZ_S10_SG_SL_EUlSZ_E_NS1_11comp_targetILNS1_3genE2ELNS1_11target_archE906ELNS1_3gpuE6ELNS1_3repE0EEENS1_47radix_sort_onesweep_sort_config_static_selectorELNS0_4arch9wavefront6targetE1EEEvSG_: ; @_ZN7rocprim17ROCPRIM_400000_NS6detail17trampoline_kernelINS0_14default_configENS1_35radix_sort_onesweep_config_selectorIflEEZZNS1_29radix_sort_onesweep_iterationIS3_Lb0EPfS7_N6thrust23THRUST_200600_302600_NS10device_ptrIlEESB_jNS0_19identity_decomposerENS1_16block_id_wrapperIjLb1EEEEE10hipError_tT1_PNSt15iterator_traitsISG_E10value_typeET2_T3_PNSH_ISM_E10value_typeET4_T5_PSR_SS_PNS1_23onesweep_lookback_stateEbbT6_jjT7_P12ihipStream_tbENKUlT_T0_SG_SL_E_clIS7_S7_SB_PlEEDaSZ_S10_SG_SL_EUlSZ_E_NS1_11comp_targetILNS1_3genE2ELNS1_11target_archE906ELNS1_3gpuE6ELNS1_3repE0EEENS1_47radix_sort_onesweep_sort_config_static_selectorELNS0_4arch9wavefront6targetE1EEEvSG_
; %bb.0:
	.section	.rodata,"a",@progbits
	.p2align	6, 0x0
	.amdhsa_kernel _ZN7rocprim17ROCPRIM_400000_NS6detail17trampoline_kernelINS0_14default_configENS1_35radix_sort_onesweep_config_selectorIflEEZZNS1_29radix_sort_onesweep_iterationIS3_Lb0EPfS7_N6thrust23THRUST_200600_302600_NS10device_ptrIlEESB_jNS0_19identity_decomposerENS1_16block_id_wrapperIjLb1EEEEE10hipError_tT1_PNSt15iterator_traitsISG_E10value_typeET2_T3_PNSH_ISM_E10value_typeET4_T5_PSR_SS_PNS1_23onesweep_lookback_stateEbbT6_jjT7_P12ihipStream_tbENKUlT_T0_SG_SL_E_clIS7_S7_SB_PlEEDaSZ_S10_SG_SL_EUlSZ_E_NS1_11comp_targetILNS1_3genE2ELNS1_11target_archE906ELNS1_3gpuE6ELNS1_3repE0EEENS1_47radix_sort_onesweep_sort_config_static_selectorELNS0_4arch9wavefront6targetE1EEEvSG_
		.amdhsa_group_segment_fixed_size 0
		.amdhsa_private_segment_fixed_size 0
		.amdhsa_kernarg_size 88
		.amdhsa_user_sgpr_count 6
		.amdhsa_user_sgpr_private_segment_buffer 1
		.amdhsa_user_sgpr_dispatch_ptr 0
		.amdhsa_user_sgpr_queue_ptr 0
		.amdhsa_user_sgpr_kernarg_segment_ptr 1
		.amdhsa_user_sgpr_dispatch_id 0
		.amdhsa_user_sgpr_flat_scratch_init 0
		.amdhsa_user_sgpr_kernarg_preload_length 0
		.amdhsa_user_sgpr_kernarg_preload_offset 0
		.amdhsa_user_sgpr_private_segment_size 0
		.amdhsa_uses_dynamic_stack 0
		.amdhsa_system_sgpr_private_segment_wavefront_offset 0
		.amdhsa_system_sgpr_workgroup_id_x 1
		.amdhsa_system_sgpr_workgroup_id_y 0
		.amdhsa_system_sgpr_workgroup_id_z 0
		.amdhsa_system_sgpr_workgroup_info 0
		.amdhsa_system_vgpr_workitem_id 0
		.amdhsa_next_free_vgpr 1
		.amdhsa_next_free_sgpr 0
		.amdhsa_accum_offset 4
		.amdhsa_reserve_vcc 0
		.amdhsa_reserve_flat_scratch 0
		.amdhsa_float_round_mode_32 0
		.amdhsa_float_round_mode_16_64 0
		.amdhsa_float_denorm_mode_32 3
		.amdhsa_float_denorm_mode_16_64 3
		.amdhsa_dx10_clamp 1
		.amdhsa_ieee_mode 1
		.amdhsa_fp16_overflow 0
		.amdhsa_tg_split 0
		.amdhsa_exception_fp_ieee_invalid_op 0
		.amdhsa_exception_fp_denorm_src 0
		.amdhsa_exception_fp_ieee_div_zero 0
		.amdhsa_exception_fp_ieee_overflow 0
		.amdhsa_exception_fp_ieee_underflow 0
		.amdhsa_exception_fp_ieee_inexact 0
		.amdhsa_exception_int_div_zero 0
	.end_amdhsa_kernel
	.section	.text._ZN7rocprim17ROCPRIM_400000_NS6detail17trampoline_kernelINS0_14default_configENS1_35radix_sort_onesweep_config_selectorIflEEZZNS1_29radix_sort_onesweep_iterationIS3_Lb0EPfS7_N6thrust23THRUST_200600_302600_NS10device_ptrIlEESB_jNS0_19identity_decomposerENS1_16block_id_wrapperIjLb1EEEEE10hipError_tT1_PNSt15iterator_traitsISG_E10value_typeET2_T3_PNSH_ISM_E10value_typeET4_T5_PSR_SS_PNS1_23onesweep_lookback_stateEbbT6_jjT7_P12ihipStream_tbENKUlT_T0_SG_SL_E_clIS7_S7_SB_PlEEDaSZ_S10_SG_SL_EUlSZ_E_NS1_11comp_targetILNS1_3genE2ELNS1_11target_archE906ELNS1_3gpuE6ELNS1_3repE0EEENS1_47radix_sort_onesweep_sort_config_static_selectorELNS0_4arch9wavefront6targetE1EEEvSG_,"axG",@progbits,_ZN7rocprim17ROCPRIM_400000_NS6detail17trampoline_kernelINS0_14default_configENS1_35radix_sort_onesweep_config_selectorIflEEZZNS1_29radix_sort_onesweep_iterationIS3_Lb0EPfS7_N6thrust23THRUST_200600_302600_NS10device_ptrIlEESB_jNS0_19identity_decomposerENS1_16block_id_wrapperIjLb1EEEEE10hipError_tT1_PNSt15iterator_traitsISG_E10value_typeET2_T3_PNSH_ISM_E10value_typeET4_T5_PSR_SS_PNS1_23onesweep_lookback_stateEbbT6_jjT7_P12ihipStream_tbENKUlT_T0_SG_SL_E_clIS7_S7_SB_PlEEDaSZ_S10_SG_SL_EUlSZ_E_NS1_11comp_targetILNS1_3genE2ELNS1_11target_archE906ELNS1_3gpuE6ELNS1_3repE0EEENS1_47radix_sort_onesweep_sort_config_static_selectorELNS0_4arch9wavefront6targetE1EEEvSG_,comdat
.Lfunc_end1846:
	.size	_ZN7rocprim17ROCPRIM_400000_NS6detail17trampoline_kernelINS0_14default_configENS1_35radix_sort_onesweep_config_selectorIflEEZZNS1_29radix_sort_onesweep_iterationIS3_Lb0EPfS7_N6thrust23THRUST_200600_302600_NS10device_ptrIlEESB_jNS0_19identity_decomposerENS1_16block_id_wrapperIjLb1EEEEE10hipError_tT1_PNSt15iterator_traitsISG_E10value_typeET2_T3_PNSH_ISM_E10value_typeET4_T5_PSR_SS_PNS1_23onesweep_lookback_stateEbbT6_jjT7_P12ihipStream_tbENKUlT_T0_SG_SL_E_clIS7_S7_SB_PlEEDaSZ_S10_SG_SL_EUlSZ_E_NS1_11comp_targetILNS1_3genE2ELNS1_11target_archE906ELNS1_3gpuE6ELNS1_3repE0EEENS1_47radix_sort_onesweep_sort_config_static_selectorELNS0_4arch9wavefront6targetE1EEEvSG_, .Lfunc_end1846-_ZN7rocprim17ROCPRIM_400000_NS6detail17trampoline_kernelINS0_14default_configENS1_35radix_sort_onesweep_config_selectorIflEEZZNS1_29radix_sort_onesweep_iterationIS3_Lb0EPfS7_N6thrust23THRUST_200600_302600_NS10device_ptrIlEESB_jNS0_19identity_decomposerENS1_16block_id_wrapperIjLb1EEEEE10hipError_tT1_PNSt15iterator_traitsISG_E10value_typeET2_T3_PNSH_ISM_E10value_typeET4_T5_PSR_SS_PNS1_23onesweep_lookback_stateEbbT6_jjT7_P12ihipStream_tbENKUlT_T0_SG_SL_E_clIS7_S7_SB_PlEEDaSZ_S10_SG_SL_EUlSZ_E_NS1_11comp_targetILNS1_3genE2ELNS1_11target_archE906ELNS1_3gpuE6ELNS1_3repE0EEENS1_47radix_sort_onesweep_sort_config_static_selectorELNS0_4arch9wavefront6targetE1EEEvSG_
                                        ; -- End function
	.section	.AMDGPU.csdata,"",@progbits
; Kernel info:
; codeLenInByte = 0
; NumSgprs: 4
; NumVgprs: 0
; NumAgprs: 0
; TotalNumVgprs: 0
; ScratchSize: 0
; MemoryBound: 0
; FloatMode: 240
; IeeeMode: 1
; LDSByteSize: 0 bytes/workgroup (compile time only)
; SGPRBlocks: 0
; VGPRBlocks: 0
; NumSGPRsForWavesPerEU: 4
; NumVGPRsForWavesPerEU: 1
; AccumOffset: 4
; Occupancy: 8
; WaveLimiterHint : 0
; COMPUTE_PGM_RSRC2:SCRATCH_EN: 0
; COMPUTE_PGM_RSRC2:USER_SGPR: 6
; COMPUTE_PGM_RSRC2:TRAP_HANDLER: 0
; COMPUTE_PGM_RSRC2:TGID_X_EN: 1
; COMPUTE_PGM_RSRC2:TGID_Y_EN: 0
; COMPUTE_PGM_RSRC2:TGID_Z_EN: 0
; COMPUTE_PGM_RSRC2:TIDIG_COMP_CNT: 0
; COMPUTE_PGM_RSRC3_GFX90A:ACCUM_OFFSET: 0
; COMPUTE_PGM_RSRC3_GFX90A:TG_SPLIT: 0
	.section	.text._ZN7rocprim17ROCPRIM_400000_NS6detail17trampoline_kernelINS0_14default_configENS1_35radix_sort_onesweep_config_selectorIflEEZZNS1_29radix_sort_onesweep_iterationIS3_Lb0EPfS7_N6thrust23THRUST_200600_302600_NS10device_ptrIlEESB_jNS0_19identity_decomposerENS1_16block_id_wrapperIjLb1EEEEE10hipError_tT1_PNSt15iterator_traitsISG_E10value_typeET2_T3_PNSH_ISM_E10value_typeET4_T5_PSR_SS_PNS1_23onesweep_lookback_stateEbbT6_jjT7_P12ihipStream_tbENKUlT_T0_SG_SL_E_clIS7_S7_SB_PlEEDaSZ_S10_SG_SL_EUlSZ_E_NS1_11comp_targetILNS1_3genE4ELNS1_11target_archE910ELNS1_3gpuE8ELNS1_3repE0EEENS1_47radix_sort_onesweep_sort_config_static_selectorELNS0_4arch9wavefront6targetE1EEEvSG_,"axG",@progbits,_ZN7rocprim17ROCPRIM_400000_NS6detail17trampoline_kernelINS0_14default_configENS1_35radix_sort_onesweep_config_selectorIflEEZZNS1_29radix_sort_onesweep_iterationIS3_Lb0EPfS7_N6thrust23THRUST_200600_302600_NS10device_ptrIlEESB_jNS0_19identity_decomposerENS1_16block_id_wrapperIjLb1EEEEE10hipError_tT1_PNSt15iterator_traitsISG_E10value_typeET2_T3_PNSH_ISM_E10value_typeET4_T5_PSR_SS_PNS1_23onesweep_lookback_stateEbbT6_jjT7_P12ihipStream_tbENKUlT_T0_SG_SL_E_clIS7_S7_SB_PlEEDaSZ_S10_SG_SL_EUlSZ_E_NS1_11comp_targetILNS1_3genE4ELNS1_11target_archE910ELNS1_3gpuE8ELNS1_3repE0EEENS1_47radix_sort_onesweep_sort_config_static_selectorELNS0_4arch9wavefront6targetE1EEEvSG_,comdat
	.protected	_ZN7rocprim17ROCPRIM_400000_NS6detail17trampoline_kernelINS0_14default_configENS1_35radix_sort_onesweep_config_selectorIflEEZZNS1_29radix_sort_onesweep_iterationIS3_Lb0EPfS7_N6thrust23THRUST_200600_302600_NS10device_ptrIlEESB_jNS0_19identity_decomposerENS1_16block_id_wrapperIjLb1EEEEE10hipError_tT1_PNSt15iterator_traitsISG_E10value_typeET2_T3_PNSH_ISM_E10value_typeET4_T5_PSR_SS_PNS1_23onesweep_lookback_stateEbbT6_jjT7_P12ihipStream_tbENKUlT_T0_SG_SL_E_clIS7_S7_SB_PlEEDaSZ_S10_SG_SL_EUlSZ_E_NS1_11comp_targetILNS1_3genE4ELNS1_11target_archE910ELNS1_3gpuE8ELNS1_3repE0EEENS1_47radix_sort_onesweep_sort_config_static_selectorELNS0_4arch9wavefront6targetE1EEEvSG_ ; -- Begin function _ZN7rocprim17ROCPRIM_400000_NS6detail17trampoline_kernelINS0_14default_configENS1_35radix_sort_onesweep_config_selectorIflEEZZNS1_29radix_sort_onesweep_iterationIS3_Lb0EPfS7_N6thrust23THRUST_200600_302600_NS10device_ptrIlEESB_jNS0_19identity_decomposerENS1_16block_id_wrapperIjLb1EEEEE10hipError_tT1_PNSt15iterator_traitsISG_E10value_typeET2_T3_PNSH_ISM_E10value_typeET4_T5_PSR_SS_PNS1_23onesweep_lookback_stateEbbT6_jjT7_P12ihipStream_tbENKUlT_T0_SG_SL_E_clIS7_S7_SB_PlEEDaSZ_S10_SG_SL_EUlSZ_E_NS1_11comp_targetILNS1_3genE4ELNS1_11target_archE910ELNS1_3gpuE8ELNS1_3repE0EEENS1_47radix_sort_onesweep_sort_config_static_selectorELNS0_4arch9wavefront6targetE1EEEvSG_
	.globl	_ZN7rocprim17ROCPRIM_400000_NS6detail17trampoline_kernelINS0_14default_configENS1_35radix_sort_onesweep_config_selectorIflEEZZNS1_29radix_sort_onesweep_iterationIS3_Lb0EPfS7_N6thrust23THRUST_200600_302600_NS10device_ptrIlEESB_jNS0_19identity_decomposerENS1_16block_id_wrapperIjLb1EEEEE10hipError_tT1_PNSt15iterator_traitsISG_E10value_typeET2_T3_PNSH_ISM_E10value_typeET4_T5_PSR_SS_PNS1_23onesweep_lookback_stateEbbT6_jjT7_P12ihipStream_tbENKUlT_T0_SG_SL_E_clIS7_S7_SB_PlEEDaSZ_S10_SG_SL_EUlSZ_E_NS1_11comp_targetILNS1_3genE4ELNS1_11target_archE910ELNS1_3gpuE8ELNS1_3repE0EEENS1_47radix_sort_onesweep_sort_config_static_selectorELNS0_4arch9wavefront6targetE1EEEvSG_
	.p2align	8
	.type	_ZN7rocprim17ROCPRIM_400000_NS6detail17trampoline_kernelINS0_14default_configENS1_35radix_sort_onesweep_config_selectorIflEEZZNS1_29radix_sort_onesweep_iterationIS3_Lb0EPfS7_N6thrust23THRUST_200600_302600_NS10device_ptrIlEESB_jNS0_19identity_decomposerENS1_16block_id_wrapperIjLb1EEEEE10hipError_tT1_PNSt15iterator_traitsISG_E10value_typeET2_T3_PNSH_ISM_E10value_typeET4_T5_PSR_SS_PNS1_23onesweep_lookback_stateEbbT6_jjT7_P12ihipStream_tbENKUlT_T0_SG_SL_E_clIS7_S7_SB_PlEEDaSZ_S10_SG_SL_EUlSZ_E_NS1_11comp_targetILNS1_3genE4ELNS1_11target_archE910ELNS1_3gpuE8ELNS1_3repE0EEENS1_47radix_sort_onesweep_sort_config_static_selectorELNS0_4arch9wavefront6targetE1EEEvSG_,@function
_ZN7rocprim17ROCPRIM_400000_NS6detail17trampoline_kernelINS0_14default_configENS1_35radix_sort_onesweep_config_selectorIflEEZZNS1_29radix_sort_onesweep_iterationIS3_Lb0EPfS7_N6thrust23THRUST_200600_302600_NS10device_ptrIlEESB_jNS0_19identity_decomposerENS1_16block_id_wrapperIjLb1EEEEE10hipError_tT1_PNSt15iterator_traitsISG_E10value_typeET2_T3_PNSH_ISM_E10value_typeET4_T5_PSR_SS_PNS1_23onesweep_lookback_stateEbbT6_jjT7_P12ihipStream_tbENKUlT_T0_SG_SL_E_clIS7_S7_SB_PlEEDaSZ_S10_SG_SL_EUlSZ_E_NS1_11comp_targetILNS1_3genE4ELNS1_11target_archE910ELNS1_3gpuE8ELNS1_3repE0EEENS1_47radix_sort_onesweep_sort_config_static_selectorELNS0_4arch9wavefront6targetE1EEEvSG_: ; @_ZN7rocprim17ROCPRIM_400000_NS6detail17trampoline_kernelINS0_14default_configENS1_35radix_sort_onesweep_config_selectorIflEEZZNS1_29radix_sort_onesweep_iterationIS3_Lb0EPfS7_N6thrust23THRUST_200600_302600_NS10device_ptrIlEESB_jNS0_19identity_decomposerENS1_16block_id_wrapperIjLb1EEEEE10hipError_tT1_PNSt15iterator_traitsISG_E10value_typeET2_T3_PNSH_ISM_E10value_typeET4_T5_PSR_SS_PNS1_23onesweep_lookback_stateEbbT6_jjT7_P12ihipStream_tbENKUlT_T0_SG_SL_E_clIS7_S7_SB_PlEEDaSZ_S10_SG_SL_EUlSZ_E_NS1_11comp_targetILNS1_3genE4ELNS1_11target_archE910ELNS1_3gpuE8ELNS1_3repE0EEENS1_47radix_sort_onesweep_sort_config_static_selectorELNS0_4arch9wavefront6targetE1EEEvSG_
; %bb.0:
	s_load_dwordx4 s[44:47], s[4:5], 0x28
	s_load_dwordx2 s[30:31], s[4:5], 0x38
	s_load_dwordx4 s[48:51], s[4:5], 0x44
	v_and_b32_e32 v10, 0x3ff, v0
	v_cmp_eq_u32_e64 s[0:1], 0, v10
	s_and_saveexec_b64 s[2:3], s[0:1]
	s_cbranch_execz .LBB1847_4
; %bb.1:
	s_mov_b64 s[10:11], exec
	v_mbcnt_lo_u32_b32 v1, s10, 0
	v_mbcnt_hi_u32_b32 v1, s11, v1
	v_cmp_eq_u32_e32 vcc, 0, v1
                                        ; implicit-def: $vgpr2
	s_and_saveexec_b64 s[8:9], vcc
	s_cbranch_execz .LBB1847_3
; %bb.2:
	s_load_dwordx2 s[12:13], s[4:5], 0x50
	s_bcnt1_i32_b64 s7, s[10:11]
	v_mov_b32_e32 v2, 0
	v_mov_b32_e32 v3, s7
	s_waitcnt lgkmcnt(0)
	global_atomic_add v2, v2, v3, s[12:13] glc
.LBB1847_3:
	s_or_b64 exec, exec, s[8:9]
	s_waitcnt vmcnt(0)
	v_readfirstlane_b32 s7, v2
	v_add_u32_e32 v1, s7, v1
	v_mov_b32_e32 v2, 0
	ds_write_b32 v2, v1 offset:20544
.LBB1847_4:
	s_or_b64 exec, exec, s[2:3]
	v_mov_b32_e32 v1, 0
	s_load_dwordx8 s[36:43], s[4:5], 0x0
	s_load_dword s2, s[4:5], 0x20
	s_waitcnt lgkmcnt(0)
	s_barrier
	ds_read_b32 v1, v1 offset:20544
	v_lshlrev_b32_e32 v11, 3, v10
	s_waitcnt lgkmcnt(0)
	s_barrier
	v_cmp_le_u32_e32 vcc, s50, v1
	v_readfirstlane_b32 s33, v1
	v_mbcnt_lo_u32_b32 v1, -1, 0
	s_cbranch_vccz .LBB1847_67
; %bb.5:
	s_lshl_b32 s3, s50, 13
	s_lshl_b32 s34, s33, 13
	s_mov_b32 s35, 0
	s_sub_i32 s7, s2, s3
	s_lshl_b64 s[2:3], s[34:35], 2
	v_mbcnt_hi_u32_b32 v19, -1, v1
	s_add_u32 s2, s36, s2
	v_and_b32_e32 v17, 63, v19
	s_addc_u32 s3, s37, s3
	v_lshlrev_b32_e32 v2, 2, v17
	v_and_b32_e32 v16, 0x1e00, v11
	v_mov_b32_e32 v3, s3
	v_add_co_u32_e32 v2, vcc, s2, v2
	v_addc_co_u32_e32 v3, vcc, 0, v3, vcc
	v_lshlrev_b32_e32 v4, 2, v16
	s_brev_b32 s8, -2
	v_add_co_u32_e32 v12, vcc, v2, v4
	s_mov_b32 s9, s8
	v_addc_co_u32_e32 v13, vcc, 0, v3, vcc
	v_or_b32_e32 v14, v17, v16
	s_mov_b32 s10, s8
	s_mov_b32 s11, s8
	;; [unrolled: 1-line block ×6, first 2 shown]
	v_pk_mov_b32 v[2:3], s[8:9], s[8:9] op_sel:[0,1]
	v_cmp_gt_u32_e64 s[2:3], s7, v14
	v_pk_mov_b32 v[4:5], s[10:11], s[10:11] op_sel:[0,1]
	v_pk_mov_b32 v[6:7], s[12:13], s[12:13] op_sel:[0,1]
	v_pk_mov_b32 v[8:9], s[14:15], s[14:15] op_sel:[0,1]
	s_and_saveexec_b64 s[8:9], s[2:3]
	s_cbranch_execz .LBB1847_7
; %bb.6:
	global_load_dword v2, v[12:13], off
	v_bfrev_b32_e32 v3, -2
	v_mov_b32_e32 v4, v3
	v_mov_b32_e32 v5, v3
	;; [unrolled: 1-line block ×6, first 2 shown]
.LBB1847_7:
	s_or_b64 exec, exec, s[8:9]
	v_or_b32_e32 v15, 64, v14
	v_cmp_gt_u32_e64 s[26:27], s7, v15
	s_and_saveexec_b64 s[8:9], s[26:27]
	s_cbranch_execz .LBB1847_9
; %bb.8:
	global_load_dword v3, v[12:13], off offset:256
.LBB1847_9:
	s_or_b64 exec, exec, s[8:9]
	v_or_b32_e32 v15, 0x80, v14
	v_cmp_gt_u32_e64 s[8:9], s7, v15
	s_and_saveexec_b64 s[10:11], s[8:9]
	s_cbranch_execz .LBB1847_11
; %bb.10:
	global_load_dword v4, v[12:13], off offset:512
.LBB1847_11:
	;; [unrolled: 8-line block ×7, first 2 shown]
	s_or_b64 exec, exec, s[20:21]
	s_load_dword s20, s[4:5], 0x64
	s_load_dword s52, s[4:5], 0x58
	s_add_u32 s21, s4, 0x58
	s_addc_u32 s22, s5, 0
	v_mov_b32_e32 v12, 0
	s_waitcnt lgkmcnt(0)
	s_lshr_b32 s23, s20, 16
	s_cmp_lt_u32 s6, s52
	s_cselect_b32 s20, 12, 18
	s_add_u32 s20, s21, s20
	s_addc_u32 s21, s22, 0
	global_load_ushort v14, v12, s[20:21]
	v_bfrev_b32_e32 v20, 1
	s_waitcnt vmcnt(1)
	v_cmp_lt_i32_e32 vcc, -1, v2
	v_mul_u32_u24_e32 v18, 5, v10
	v_cndmask_b32_e32 v21, -1, v20, vcc
	s_brev_b32 s22, -2
	v_lshlrev_b32_e32 v23, 2, v18
	v_xor_b32_e32 v18, v21, v2
	v_cmp_ne_u32_e32 vcc, s22, v18
	v_cndmask_b32_e32 v2, v20, v18, vcc
	s_lshl_b32 s20, -1, s49
	v_lshrrev_b32_e32 v2, s48, v2
	s_not_b32 s53, s20
	v_and_b32_e32 v2, s53, v2
	v_and_b32_e32 v22, 1, v2
	v_bfe_u32 v13, v0, 10, 10
	v_bfe_u32 v15, v0, 20, 10
	v_add_co_u32_e32 v24, vcc, -1, v22
	v_mad_u32_u24 v15, v15, s23, v13
	v_lshlrev_b32_e32 v13, 30, v2
	v_addc_co_u32_e64 v25, s[20:21], 0, -1, vcc
	v_cmp_ne_u32_e32 vcc, 0, v22
	v_cmp_gt_i64_e64 s[20:21], 0, v[12:13]
	v_not_b32_e32 v22, v13
	v_lshlrev_b32_e32 v13, 29, v2
	v_xor_b32_e32 v25, vcc_hi, v25
	v_xor_b32_e32 v24, vcc_lo, v24
	v_ashrrev_i32_e32 v22, 31, v22
	v_cmp_gt_i64_e32 vcc, 0, v[12:13]
	v_not_b32_e32 v26, v13
	v_lshlrev_b32_e32 v13, 28, v2
	v_and_b32_e32 v25, exec_hi, v25
	v_and_b32_e32 v24, exec_lo, v24
	v_xor_b32_e32 v27, s21, v22
	v_xor_b32_e32 v22, s20, v22
	v_ashrrev_i32_e32 v26, 31, v26
	v_cmp_gt_i64_e64 s[20:21], 0, v[12:13]
	v_not_b32_e32 v28, v13
	v_lshlrev_b32_e32 v13, 27, v2
	v_and_b32_e32 v25, v25, v27
	v_and_b32_e32 v22, v24, v22
	v_xor_b32_e32 v24, vcc_hi, v26
	v_xor_b32_e32 v26, vcc_lo, v26
	v_ashrrev_i32_e32 v27, 31, v28
	v_cmp_gt_i64_e32 vcc, 0, v[12:13]
	v_not_b32_e32 v28, v13
	v_lshlrev_b32_e32 v13, 26, v2
	v_and_b32_e32 v24, v25, v24
	v_and_b32_e32 v22, v22, v26
	v_xor_b32_e32 v25, s21, v27
	v_xor_b32_e32 v26, s20, v27
	v_ashrrev_i32_e32 v27, 31, v28
	v_cmp_gt_i64_e64 s[20:21], 0, v[12:13]
	v_not_b32_e32 v28, v13
	v_lshlrev_b32_e32 v13, 25, v2
	v_and_b32_e32 v24, v24, v25
	v_and_b32_e32 v22, v22, v26
	v_xor_b32_e32 v25, vcc_hi, v27
	v_xor_b32_e32 v26, vcc_lo, v27
	v_ashrrev_i32_e32 v27, 31, v28
	v_cmp_gt_i64_e32 vcc, 0, v[12:13]
	v_not_b32_e32 v13, v13
	v_and_b32_e32 v24, v24, v25
	v_and_b32_e32 v22, v22, v26
	v_xor_b32_e32 v25, s21, v27
	v_xor_b32_e32 v26, s20, v27
	v_ashrrev_i32_e32 v13, 31, v13
	v_lshl_add_u32 v21, v2, 4, v2
	v_and_b32_e32 v22, v22, v26
	v_xor_b32_e32 v26, vcc_hi, v13
	v_xor_b32_e32 v13, vcc_lo, v13
	v_and_b32_e32 v24, v24, v25
	ds_write2_b32 v23, v12, v12 offset0:16 offset1:17
	ds_write2_b32 v23, v12, v12 offset0:18 offset1:19
	ds_write_b32 v23, v12 offset:80
	s_waitcnt lgkmcnt(0)
	s_barrier
	s_waitcnt lgkmcnt(0)
	; wave barrier
	s_waitcnt vmcnt(0)
	v_mad_u64_u32 v[14:15], s[20:21], v15, v14, v[10:11]
	v_lshrrev_b32_e32 v42, 6, v14
	v_add_lshl_u32 v25, v21, v42, 2
	v_and_b32_e32 v21, v22, v13
	v_lshlrev_b32_e32 v13, 24, v2
	v_not_b32_e32 v2, v13
	v_cmp_gt_i64_e32 vcc, 0, v[12:13]
	v_ashrrev_i32_e32 v2, 31, v2
	v_and_b32_e32 v14, v24, v26
	v_xor_b32_e32 v13, vcc_hi, v2
	v_xor_b32_e32 v2, vcc_lo, v2
	v_and_b32_e32 v15, v14, v13
	v_and_b32_e32 v14, v21, v2
	v_mbcnt_lo_u32_b32 v2, v14, 0
	v_mbcnt_hi_u32_b32 v22, v15, v2
	v_cmp_eq_u32_e32 vcc, 0, v22
	v_cmp_ne_u64_e64 s[20:21], 0, v[14:15]
	s_and_b64 s[24:25], s[20:21], vcc
	s_and_saveexec_b64 s[20:21], s[24:25]
	s_cbranch_execz .LBB1847_23
; %bb.22:
	v_bcnt_u32_b32 v2, v14, 0
	v_bcnt_u32_b32 v2, v15, v2
	ds_write_b32 v25, v2 offset:64
.LBB1847_23:
	s_or_b64 exec, exec, s[20:21]
	v_cmp_lt_i32_e32 vcc, -1, v3
	v_cndmask_b32_e32 v2, -1, v20, vcc
	v_xor_b32_e32 v14, v2, v3
	v_cmp_ne_u32_e32 vcc, s22, v14
	v_cndmask_b32_e32 v2, v20, v14, vcc
	v_lshrrev_b32_e32 v2, s48, v2
	v_and_b32_e32 v2, s53, v2
	v_lshl_add_u32 v3, v2, 4, v2
	v_add_lshl_u32 v26, v3, v42, 2
	v_and_b32_e32 v3, 1, v2
	v_add_co_u32_e32 v13, vcc, -1, v3
	v_addc_co_u32_e64 v15, s[20:21], 0, -1, vcc
	v_cmp_ne_u32_e32 vcc, 0, v3
	v_xor_b32_e32 v13, vcc_lo, v13
	v_xor_b32_e32 v3, vcc_hi, v15
	v_and_b32_e32 v15, exec_lo, v13
	v_lshlrev_b32_e32 v13, 30, v2
	v_cmp_gt_i64_e32 vcc, 0, v[12:13]
	v_not_b32_e32 v13, v13
	v_ashrrev_i32_e32 v13, 31, v13
	v_xor_b32_e32 v20, vcc_hi, v13
	v_xor_b32_e32 v13, vcc_lo, v13
	v_and_b32_e32 v15, v15, v13
	v_lshlrev_b32_e32 v13, 29, v2
	v_cmp_gt_i64_e32 vcc, 0, v[12:13]
	v_not_b32_e32 v13, v13
	v_and_b32_e32 v3, exec_hi, v3
	v_ashrrev_i32_e32 v13, 31, v13
	v_and_b32_e32 v3, v3, v20
	v_xor_b32_e32 v20, vcc_hi, v13
	v_xor_b32_e32 v13, vcc_lo, v13
	v_and_b32_e32 v15, v15, v13
	v_lshlrev_b32_e32 v13, 28, v2
	v_cmp_gt_i64_e32 vcc, 0, v[12:13]
	v_not_b32_e32 v13, v13
	v_ashrrev_i32_e32 v13, 31, v13
	v_and_b32_e32 v3, v3, v20
	v_xor_b32_e32 v20, vcc_hi, v13
	v_xor_b32_e32 v13, vcc_lo, v13
	v_and_b32_e32 v15, v15, v13
	v_lshlrev_b32_e32 v13, 27, v2
	v_cmp_gt_i64_e32 vcc, 0, v[12:13]
	v_not_b32_e32 v13, v13
	v_ashrrev_i32_e32 v13, 31, v13
	v_and_b32_e32 v3, v3, v20
	v_xor_b32_e32 v20, vcc_hi, v13
	v_xor_b32_e32 v13, vcc_lo, v13
	v_and_b32_e32 v15, v15, v13
	v_lshlrev_b32_e32 v13, 26, v2
	v_cmp_gt_i64_e32 vcc, 0, v[12:13]
	v_not_b32_e32 v13, v13
	v_ashrrev_i32_e32 v13, 31, v13
	v_and_b32_e32 v3, v3, v20
	v_xor_b32_e32 v20, vcc_hi, v13
	v_xor_b32_e32 v13, vcc_lo, v13
	v_and_b32_e32 v15, v15, v13
	v_lshlrev_b32_e32 v13, 25, v2
	v_cmp_gt_i64_e32 vcc, 0, v[12:13]
	v_not_b32_e32 v13, v13
	v_ashrrev_i32_e32 v13, 31, v13
	v_and_b32_e32 v3, v3, v20
	v_xor_b32_e32 v20, vcc_hi, v13
	v_xor_b32_e32 v13, vcc_lo, v13
	v_and_b32_e32 v15, v15, v13
	v_lshlrev_b32_e32 v13, 24, v2
	v_not_b32_e32 v2, v13
	v_cmp_gt_i64_e32 vcc, 0, v[12:13]
	v_ashrrev_i32_e32 v2, 31, v2
	v_xor_b32_e32 v12, vcc_hi, v2
	v_xor_b32_e32 v2, vcc_lo, v2
	; wave barrier
	ds_read_b32 v30, v26 offset:64
	v_and_b32_e32 v3, v3, v20
	v_and_b32_e32 v2, v15, v2
	;; [unrolled: 1-line block ×3, first 2 shown]
	v_mbcnt_lo_u32_b32 v12, v2, 0
	v_mbcnt_hi_u32_b32 v31, v3, v12
	v_cmp_eq_u32_e32 vcc, 0, v31
	v_cmp_ne_u64_e64 s[20:21], 0, v[2:3]
	s_and_b64 s[22:23], s[20:21], vcc
	; wave barrier
	s_and_saveexec_b64 s[20:21], s[22:23]
	s_cbranch_execz .LBB1847_25
; %bb.24:
	v_bcnt_u32_b32 v2, v2, 0
	v_bcnt_u32_b32 v2, v3, v2
	s_waitcnt lgkmcnt(0)
	v_add_u32_e32 v2, v30, v2
	ds_write_b32 v26, v2 offset:64
.LBB1847_25:
	s_or_b64 exec, exec, s[20:21]
	v_bfrev_b32_e32 v21, 1
	v_cmp_lt_i32_e32 vcc, -1, v4
	v_cndmask_b32_e32 v2, -1, v21, vcc
	v_xor_b32_e32 v15, v2, v4
	s_brev_b32 s22, -2
	v_cmp_ne_u32_e32 vcc, s22, v15
	v_cndmask_b32_e32 v2, v21, v15, vcc
	v_lshrrev_b32_e32 v2, s48, v2
	v_and_b32_e32 v4, s53, v2
	v_and_b32_e32 v3, 1, v4
	v_add_co_u32_e32 v12, vcc, -1, v3
	v_addc_co_u32_e64 v13, s[20:21], 0, -1, vcc
	v_cmp_ne_u32_e32 vcc, 0, v3
	v_lshl_add_u32 v2, v4, 4, v4
	v_xor_b32_e32 v3, vcc_hi, v13
	v_add_lshl_u32 v28, v2, v42, 2
	v_mov_b32_e32 v2, 0
	v_and_b32_e32 v13, exec_hi, v3
	v_lshlrev_b32_e32 v3, 30, v4
	v_xor_b32_e32 v12, vcc_lo, v12
	v_cmp_gt_i64_e32 vcc, 0, v[2:3]
	v_not_b32_e32 v3, v3
	v_ashrrev_i32_e32 v3, 31, v3
	v_and_b32_e32 v12, exec_lo, v12
	v_xor_b32_e32 v20, vcc_hi, v3
	v_xor_b32_e32 v3, vcc_lo, v3
	v_and_b32_e32 v12, v12, v3
	v_lshlrev_b32_e32 v3, 29, v4
	v_cmp_gt_i64_e32 vcc, 0, v[2:3]
	v_not_b32_e32 v3, v3
	v_ashrrev_i32_e32 v3, 31, v3
	v_and_b32_e32 v13, v13, v20
	v_xor_b32_e32 v20, vcc_hi, v3
	v_xor_b32_e32 v3, vcc_lo, v3
	v_and_b32_e32 v12, v12, v3
	v_lshlrev_b32_e32 v3, 28, v4
	v_cmp_gt_i64_e32 vcc, 0, v[2:3]
	v_not_b32_e32 v3, v3
	v_ashrrev_i32_e32 v3, 31, v3
	v_and_b32_e32 v13, v13, v20
	;; [unrolled: 8-line block ×5, first 2 shown]
	v_xor_b32_e32 v20, vcc_hi, v3
	v_xor_b32_e32 v3, vcc_lo, v3
	v_and_b32_e32 v12, v12, v3
	v_lshlrev_b32_e32 v3, 24, v4
	v_cmp_gt_i64_e32 vcc, 0, v[2:3]
	v_not_b32_e32 v3, v3
	v_ashrrev_i32_e32 v3, 31, v3
	v_xor_b32_e32 v4, vcc_hi, v3
	v_xor_b32_e32 v3, vcc_lo, v3
	; wave barrier
	ds_read_b32 v32, v28 offset:64
	v_and_b32_e32 v13, v13, v20
	v_and_b32_e32 v12, v12, v3
	;; [unrolled: 1-line block ×3, first 2 shown]
	v_mbcnt_lo_u32_b32 v3, v12, 0
	v_mbcnt_hi_u32_b32 v33, v13, v3
	v_cmp_eq_u32_e32 vcc, 0, v33
	v_cmp_ne_u64_e64 s[20:21], 0, v[12:13]
	s_and_b64 s[24:25], s[20:21], vcc
	; wave barrier
	s_and_saveexec_b64 s[20:21], s[24:25]
	s_cbranch_execz .LBB1847_27
; %bb.26:
	v_bcnt_u32_b32 v3, v12, 0
	v_bcnt_u32_b32 v3, v13, v3
	s_waitcnt lgkmcnt(0)
	v_add_u32_e32 v3, v32, v3
	ds_write_b32 v28, v3 offset:64
.LBB1847_27:
	s_or_b64 exec, exec, s[20:21]
	v_cmp_lt_i32_e32 vcc, -1, v5
	v_cndmask_b32_e32 v3, -1, v21, vcc
	v_xor_b32_e32 v20, v3, v5
	v_cmp_ne_u32_e32 vcc, s22, v20
	v_cndmask_b32_e32 v3, v21, v20, vcc
	v_lshrrev_b32_e32 v3, s48, v3
	v_and_b32_e32 v4, s53, v3
	v_lshl_add_u32 v3, v4, 4, v4
	v_add_lshl_u32 v12, v3, v42, 2
	v_and_b32_e32 v3, 1, v4
	v_add_co_u32_e32 v5, vcc, -1, v3
	v_addc_co_u32_e64 v13, s[20:21], 0, -1, vcc
	v_cmp_ne_u32_e32 vcc, 0, v3
	v_xor_b32_e32 v3, vcc_hi, v13
	v_and_b32_e32 v13, exec_hi, v3
	v_lshlrev_b32_e32 v3, 30, v4
	v_xor_b32_e32 v5, vcc_lo, v5
	v_cmp_gt_i64_e32 vcc, 0, v[2:3]
	v_not_b32_e32 v3, v3
	v_ashrrev_i32_e32 v3, 31, v3
	v_and_b32_e32 v5, exec_lo, v5
	v_xor_b32_e32 v21, vcc_hi, v3
	v_xor_b32_e32 v3, vcc_lo, v3
	v_and_b32_e32 v5, v5, v3
	v_lshlrev_b32_e32 v3, 29, v4
	v_cmp_gt_i64_e32 vcc, 0, v[2:3]
	v_not_b32_e32 v3, v3
	v_ashrrev_i32_e32 v3, 31, v3
	v_and_b32_e32 v13, v13, v21
	v_xor_b32_e32 v21, vcc_hi, v3
	v_xor_b32_e32 v3, vcc_lo, v3
	v_and_b32_e32 v5, v5, v3
	v_lshlrev_b32_e32 v3, 28, v4
	v_cmp_gt_i64_e32 vcc, 0, v[2:3]
	v_not_b32_e32 v3, v3
	v_ashrrev_i32_e32 v3, 31, v3
	v_and_b32_e32 v13, v13, v21
	;; [unrolled: 8-line block ×5, first 2 shown]
	v_xor_b32_e32 v21, vcc_hi, v3
	v_xor_b32_e32 v3, vcc_lo, v3
	v_and_b32_e32 v5, v5, v3
	v_lshlrev_b32_e32 v3, 24, v4
	v_cmp_gt_i64_e32 vcc, 0, v[2:3]
	v_not_b32_e32 v2, v3
	v_ashrrev_i32_e32 v2, 31, v2
	v_xor_b32_e32 v3, vcc_hi, v2
	v_xor_b32_e32 v2, vcc_lo, v2
	; wave barrier
	ds_read_b32 v34, v12 offset:64
	v_and_b32_e32 v13, v13, v21
	v_and_b32_e32 v2, v5, v2
	;; [unrolled: 1-line block ×3, first 2 shown]
	v_mbcnt_lo_u32_b32 v4, v2, 0
	v_mbcnt_hi_u32_b32 v35, v3, v4
	v_cmp_eq_u32_e32 vcc, 0, v35
	v_cmp_ne_u64_e64 s[20:21], 0, v[2:3]
	s_and_b64 s[22:23], s[20:21], vcc
	; wave barrier
	s_and_saveexec_b64 s[20:21], s[22:23]
	s_cbranch_execz .LBB1847_29
; %bb.28:
	v_bcnt_u32_b32 v2, v2, 0
	v_bcnt_u32_b32 v2, v3, v2
	s_waitcnt lgkmcnt(0)
	v_add_u32_e32 v2, v34, v2
	ds_write_b32 v12, v2 offset:64
.LBB1847_29:
	s_or_b64 exec, exec, s[20:21]
	v_bfrev_b32_e32 v13, 1
	v_cmp_lt_i32_e32 vcc, -1, v6
	v_cndmask_b32_e32 v2, -1, v13, vcc
	v_xor_b32_e32 v21, v2, v6
	s_brev_b32 s22, -2
	v_cmp_ne_u32_e32 vcc, s22, v21
	v_cndmask_b32_e32 v2, v13, v21, vcc
	v_lshrrev_b32_e32 v2, s48, v2
	v_and_b32_e32 v4, s53, v2
	v_and_b32_e32 v3, 1, v4
	v_add_co_u32_e32 v5, vcc, -1, v3
	v_addc_co_u32_e64 v24, s[20:21], 0, -1, vcc
	v_cmp_ne_u32_e32 vcc, 0, v3
	v_lshl_add_u32 v2, v4, 4, v4
	v_xor_b32_e32 v3, vcc_hi, v24
	v_add_lshl_u32 v6, v2, v42, 2
	v_mov_b32_e32 v2, 0
	v_and_b32_e32 v24, exec_hi, v3
	v_lshlrev_b32_e32 v3, 30, v4
	v_xor_b32_e32 v5, vcc_lo, v5
	v_cmp_gt_i64_e32 vcc, 0, v[2:3]
	v_not_b32_e32 v3, v3
	v_ashrrev_i32_e32 v3, 31, v3
	v_and_b32_e32 v5, exec_lo, v5
	v_xor_b32_e32 v27, vcc_hi, v3
	v_xor_b32_e32 v3, vcc_lo, v3
	v_and_b32_e32 v5, v5, v3
	v_lshlrev_b32_e32 v3, 29, v4
	v_cmp_gt_i64_e32 vcc, 0, v[2:3]
	v_not_b32_e32 v3, v3
	v_ashrrev_i32_e32 v3, 31, v3
	v_and_b32_e32 v24, v24, v27
	v_xor_b32_e32 v27, vcc_hi, v3
	v_xor_b32_e32 v3, vcc_lo, v3
	v_and_b32_e32 v5, v5, v3
	v_lshlrev_b32_e32 v3, 28, v4
	v_cmp_gt_i64_e32 vcc, 0, v[2:3]
	v_not_b32_e32 v3, v3
	v_ashrrev_i32_e32 v3, 31, v3
	v_and_b32_e32 v24, v24, v27
	;; [unrolled: 8-line block ×5, first 2 shown]
	v_xor_b32_e32 v27, vcc_hi, v3
	v_xor_b32_e32 v3, vcc_lo, v3
	v_and_b32_e32 v24, v24, v27
	v_and_b32_e32 v27, v5, v3
	v_lshlrev_b32_e32 v3, 24, v4
	v_cmp_gt_i64_e32 vcc, 0, v[2:3]
	v_not_b32_e32 v3, v3
	v_ashrrev_i32_e32 v3, 31, v3
	v_xor_b32_e32 v4, vcc_hi, v3
	v_xor_b32_e32 v3, vcc_lo, v3
	; wave barrier
	ds_read_b32 v36, v6 offset:64
	v_and_b32_e32 v5, v24, v4
	v_and_b32_e32 v4, v27, v3
	v_mbcnt_lo_u32_b32 v3, v4, 0
	v_mbcnt_hi_u32_b32 v37, v5, v3
	v_cmp_eq_u32_e32 vcc, 0, v37
	v_cmp_ne_u64_e64 s[20:21], 0, v[4:5]
	s_and_b64 s[24:25], s[20:21], vcc
	; wave barrier
	s_and_saveexec_b64 s[20:21], s[24:25]
	s_cbranch_execz .LBB1847_31
; %bb.30:
	v_bcnt_u32_b32 v3, v4, 0
	v_bcnt_u32_b32 v3, v5, v3
	s_waitcnt lgkmcnt(0)
	v_add_u32_e32 v3, v36, v3
	ds_write_b32 v6, v3 offset:64
.LBB1847_31:
	s_or_b64 exec, exec, s[20:21]
	v_cmp_lt_i32_e32 vcc, -1, v7
	v_cndmask_b32_e32 v3, -1, v13, vcc
	v_xor_b32_e32 v24, v3, v7
	v_cmp_ne_u32_e32 vcc, s22, v24
	v_cndmask_b32_e32 v3, v13, v24, vcc
	v_lshrrev_b32_e32 v3, s48, v3
	v_and_b32_e32 v4, s53, v3
	v_lshl_add_u32 v3, v4, 4, v4
	v_add_lshl_u32 v7, v3, v42, 2
	v_and_b32_e32 v3, 1, v4
	v_add_co_u32_e32 v5, vcc, -1, v3
	v_addc_co_u32_e64 v13, s[20:21], 0, -1, vcc
	v_cmp_ne_u32_e32 vcc, 0, v3
	v_xor_b32_e32 v3, vcc_hi, v13
	v_and_b32_e32 v13, exec_hi, v3
	v_lshlrev_b32_e32 v3, 30, v4
	v_xor_b32_e32 v5, vcc_lo, v5
	v_cmp_gt_i64_e32 vcc, 0, v[2:3]
	v_not_b32_e32 v3, v3
	v_ashrrev_i32_e32 v3, 31, v3
	v_and_b32_e32 v5, exec_lo, v5
	v_xor_b32_e32 v27, vcc_hi, v3
	v_xor_b32_e32 v3, vcc_lo, v3
	v_and_b32_e32 v5, v5, v3
	v_lshlrev_b32_e32 v3, 29, v4
	v_cmp_gt_i64_e32 vcc, 0, v[2:3]
	v_not_b32_e32 v3, v3
	v_ashrrev_i32_e32 v3, 31, v3
	v_and_b32_e32 v13, v13, v27
	v_xor_b32_e32 v27, vcc_hi, v3
	v_xor_b32_e32 v3, vcc_lo, v3
	v_and_b32_e32 v5, v5, v3
	v_lshlrev_b32_e32 v3, 28, v4
	v_cmp_gt_i64_e32 vcc, 0, v[2:3]
	v_not_b32_e32 v3, v3
	v_ashrrev_i32_e32 v3, 31, v3
	v_and_b32_e32 v13, v13, v27
	v_xor_b32_e32 v27, vcc_hi, v3
	v_xor_b32_e32 v3, vcc_lo, v3
	v_and_b32_e32 v5, v5, v3
	v_lshlrev_b32_e32 v3, 27, v4
	v_cmp_gt_i64_e32 vcc, 0, v[2:3]
	v_not_b32_e32 v3, v3
	v_ashrrev_i32_e32 v3, 31, v3
	v_and_b32_e32 v13, v13, v27
	v_xor_b32_e32 v27, vcc_hi, v3
	v_xor_b32_e32 v3, vcc_lo, v3
	v_and_b32_e32 v5, v5, v3
	v_lshlrev_b32_e32 v3, 26, v4
	v_cmp_gt_i64_e32 vcc, 0, v[2:3]
	v_not_b32_e32 v3, v3
	v_ashrrev_i32_e32 v3, 31, v3
	v_and_b32_e32 v13, v13, v27
	v_xor_b32_e32 v27, vcc_hi, v3
	v_xor_b32_e32 v3, vcc_lo, v3
	v_and_b32_e32 v5, v5, v3
	v_lshlrev_b32_e32 v3, 25, v4
	v_cmp_gt_i64_e32 vcc, 0, v[2:3]
	v_not_b32_e32 v3, v3
	v_ashrrev_i32_e32 v3, 31, v3
	v_and_b32_e32 v13, v13, v27
	v_xor_b32_e32 v27, vcc_hi, v3
	v_xor_b32_e32 v3, vcc_lo, v3
	v_and_b32_e32 v5, v5, v3
	v_lshlrev_b32_e32 v3, 24, v4
	v_cmp_gt_i64_e32 vcc, 0, v[2:3]
	v_not_b32_e32 v2, v3
	v_ashrrev_i32_e32 v2, 31, v2
	v_xor_b32_e32 v3, vcc_hi, v2
	v_xor_b32_e32 v2, vcc_lo, v2
	; wave barrier
	ds_read_b32 v38, v7 offset:64
	v_and_b32_e32 v13, v13, v27
	v_and_b32_e32 v2, v5, v2
	;; [unrolled: 1-line block ×3, first 2 shown]
	v_mbcnt_lo_u32_b32 v4, v2, 0
	v_mbcnt_hi_u32_b32 v39, v3, v4
	v_cmp_eq_u32_e32 vcc, 0, v39
	v_cmp_ne_u64_e64 s[20:21], 0, v[2:3]
	s_and_b64 s[22:23], s[20:21], vcc
	; wave barrier
	s_and_saveexec_b64 s[20:21], s[22:23]
	s_cbranch_execz .LBB1847_33
; %bb.32:
	v_bcnt_u32_b32 v2, v2, 0
	v_bcnt_u32_b32 v2, v3, v2
	s_waitcnt lgkmcnt(0)
	v_add_u32_e32 v2, v38, v2
	ds_write_b32 v7, v2 offset:64
.LBB1847_33:
	s_or_b64 exec, exec, s[20:21]
	v_bfrev_b32_e32 v43, 1
	v_cmp_lt_i32_e32 vcc, -1, v8
	v_cndmask_b32_e32 v2, -1, v43, vcc
	v_xor_b32_e32 v27, v2, v8
	s_brev_b32 s22, -2
	v_cmp_ne_u32_e32 vcc, s22, v27
	v_cndmask_b32_e32 v2, v43, v27, vcc
	v_lshrrev_b32_e32 v2, s48, v2
	v_and_b32_e32 v4, s53, v2
	v_and_b32_e32 v3, 1, v4
	v_add_co_u32_e32 v5, vcc, -1, v3
	v_addc_co_u32_e64 v13, s[20:21], 0, -1, vcc
	v_cmp_ne_u32_e32 vcc, 0, v3
	v_lshl_add_u32 v2, v4, 4, v4
	v_xor_b32_e32 v3, vcc_hi, v13
	v_add_lshl_u32 v8, v2, v42, 2
	v_mov_b32_e32 v2, 0
	v_and_b32_e32 v13, exec_hi, v3
	v_lshlrev_b32_e32 v3, 30, v4
	v_xor_b32_e32 v5, vcc_lo, v5
	v_cmp_gt_i64_e32 vcc, 0, v[2:3]
	v_not_b32_e32 v3, v3
	v_ashrrev_i32_e32 v3, 31, v3
	v_and_b32_e32 v5, exec_lo, v5
	v_xor_b32_e32 v29, vcc_hi, v3
	v_xor_b32_e32 v3, vcc_lo, v3
	v_and_b32_e32 v5, v5, v3
	v_lshlrev_b32_e32 v3, 29, v4
	v_cmp_gt_i64_e32 vcc, 0, v[2:3]
	v_not_b32_e32 v3, v3
	v_ashrrev_i32_e32 v3, 31, v3
	v_and_b32_e32 v13, v13, v29
	v_xor_b32_e32 v29, vcc_hi, v3
	v_xor_b32_e32 v3, vcc_lo, v3
	v_and_b32_e32 v5, v5, v3
	v_lshlrev_b32_e32 v3, 28, v4
	v_cmp_gt_i64_e32 vcc, 0, v[2:3]
	v_not_b32_e32 v3, v3
	v_ashrrev_i32_e32 v3, 31, v3
	v_and_b32_e32 v13, v13, v29
	;; [unrolled: 8-line block ×5, first 2 shown]
	v_xor_b32_e32 v29, vcc_hi, v3
	v_xor_b32_e32 v3, vcc_lo, v3
	v_and_b32_e32 v13, v13, v29
	v_and_b32_e32 v29, v5, v3
	v_lshlrev_b32_e32 v3, 24, v4
	v_cmp_gt_i64_e32 vcc, 0, v[2:3]
	v_not_b32_e32 v3, v3
	v_ashrrev_i32_e32 v3, 31, v3
	v_xor_b32_e32 v4, vcc_hi, v3
	v_xor_b32_e32 v3, vcc_lo, v3
	; wave barrier
	ds_read_b32 v40, v8 offset:64
	v_and_b32_e32 v5, v13, v4
	v_and_b32_e32 v4, v29, v3
	v_mbcnt_lo_u32_b32 v3, v4, 0
	v_mbcnt_hi_u32_b32 v41, v5, v3
	v_cmp_eq_u32_e32 vcc, 0, v41
	v_cmp_ne_u64_e64 s[20:21], 0, v[4:5]
	s_and_b64 s[24:25], s[20:21], vcc
	; wave barrier
	s_and_saveexec_b64 s[20:21], s[24:25]
	s_cbranch_execz .LBB1847_35
; %bb.34:
	v_bcnt_u32_b32 v3, v4, 0
	v_bcnt_u32_b32 v3, v5, v3
	s_waitcnt lgkmcnt(0)
	v_add_u32_e32 v3, v40, v3
	ds_write_b32 v8, v3 offset:64
.LBB1847_35:
	s_or_b64 exec, exec, s[20:21]
	v_cmp_lt_i32_e32 vcc, -1, v9
	v_cndmask_b32_e32 v3, -1, v43, vcc
	v_xor_b32_e32 v29, v3, v9
	v_cmp_ne_u32_e32 vcc, s22, v29
	v_cndmask_b32_e32 v3, v43, v29, vcc
	v_lshrrev_b32_e32 v3, s48, v3
	v_and_b32_e32 v4, s53, v3
	v_lshl_add_u32 v3, v4, 4, v4
	v_add_lshl_u32 v9, v3, v42, 2
	v_and_b32_e32 v3, 1, v4
	v_add_co_u32_e32 v5, vcc, -1, v3
	v_addc_co_u32_e64 v43, s[20:21], 0, -1, vcc
	v_cmp_ne_u32_e32 vcc, 0, v3
	v_xor_b32_e32 v3, vcc_hi, v43
	v_and_b32_e32 v43, exec_hi, v3
	v_lshlrev_b32_e32 v3, 30, v4
	v_xor_b32_e32 v5, vcc_lo, v5
	v_cmp_gt_i64_e32 vcc, 0, v[2:3]
	v_not_b32_e32 v3, v3
	v_ashrrev_i32_e32 v3, 31, v3
	v_and_b32_e32 v5, exec_lo, v5
	v_xor_b32_e32 v44, vcc_hi, v3
	v_xor_b32_e32 v3, vcc_lo, v3
	v_and_b32_e32 v5, v5, v3
	v_lshlrev_b32_e32 v3, 29, v4
	v_cmp_gt_i64_e32 vcc, 0, v[2:3]
	v_not_b32_e32 v3, v3
	v_ashrrev_i32_e32 v3, 31, v3
	v_and_b32_e32 v43, v43, v44
	v_xor_b32_e32 v44, vcc_hi, v3
	v_xor_b32_e32 v3, vcc_lo, v3
	v_and_b32_e32 v5, v5, v3
	v_lshlrev_b32_e32 v3, 28, v4
	v_cmp_gt_i64_e32 vcc, 0, v[2:3]
	v_not_b32_e32 v3, v3
	v_ashrrev_i32_e32 v3, 31, v3
	v_and_b32_e32 v43, v43, v44
	;; [unrolled: 8-line block ×5, first 2 shown]
	v_xor_b32_e32 v44, vcc_hi, v3
	v_xor_b32_e32 v3, vcc_lo, v3
	v_and_b32_e32 v5, v5, v3
	v_lshlrev_b32_e32 v3, 24, v4
	v_cmp_gt_i64_e32 vcc, 0, v[2:3]
	v_not_b32_e32 v2, v3
	v_ashrrev_i32_e32 v2, 31, v2
	v_xor_b32_e32 v3, vcc_hi, v2
	v_xor_b32_e32 v2, vcc_lo, v2
	; wave barrier
	ds_read_b32 v42, v9 offset:64
	v_and_b32_e32 v43, v43, v44
	v_and_b32_e32 v2, v5, v2
	;; [unrolled: 1-line block ×3, first 2 shown]
	v_mbcnt_lo_u32_b32 v4, v2, 0
	v_mbcnt_hi_u32_b32 v45, v3, v4
	v_cmp_eq_u32_e32 vcc, 0, v45
	v_cmp_ne_u64_e64 s[20:21], 0, v[2:3]
	v_add_u32_e32 v13, 64, v23
	s_and_b64 s[22:23], s[20:21], vcc
	; wave barrier
	s_and_saveexec_b64 s[20:21], s[22:23]
	s_cbranch_execz .LBB1847_37
; %bb.36:
	v_bcnt_u32_b32 v2, v2, 0
	v_bcnt_u32_b32 v2, v3, v2
	s_waitcnt lgkmcnt(0)
	v_add_u32_e32 v2, v42, v2
	ds_write_b32 v9, v2 offset:64
.LBB1847_37:
	s_or_b64 exec, exec, s[20:21]
	; wave barrier
	s_waitcnt lgkmcnt(0)
	s_barrier
	ds_read2_b32 v[4:5], v23 offset0:16 offset1:17
	ds_read2_b32 v[2:3], v13 offset0:2 offset1:3
	ds_read_b32 v43, v13 offset:16
	v_cmp_lt_u32_e64 s[28:29], 31, v19
	s_waitcnt lgkmcnt(1)
	v_add3_u32 v44, v5, v4, v2
	s_waitcnt lgkmcnt(0)
	v_add3_u32 v43, v44, v3, v43
	v_and_b32_e32 v44, 15, v19
	v_cmp_eq_u32_e32 vcc, 0, v44
	v_mov_b32_dpp v46, v43 row_shr:1 row_mask:0xf bank_mask:0xf
	v_cndmask_b32_e64 v46, v46, 0, vcc
	v_add_u32_e32 v43, v46, v43
	v_cmp_lt_u32_e64 s[20:21], 1, v44
	v_cmp_lt_u32_e64 s[22:23], 3, v44
	v_mov_b32_dpp v46, v43 row_shr:2 row_mask:0xf bank_mask:0xf
	v_cndmask_b32_e64 v46, 0, v46, s[20:21]
	v_add_u32_e32 v43, v43, v46
	v_cmp_lt_u32_e64 s[24:25], 7, v44
	s_nop 0
	v_mov_b32_dpp v46, v43 row_shr:4 row_mask:0xf bank_mask:0xf
	v_cndmask_b32_e64 v46, 0, v46, s[22:23]
	v_add_u32_e32 v43, v43, v46
	s_nop 1
	v_mov_b32_dpp v46, v43 row_shr:8 row_mask:0xf bank_mask:0xf
	v_cndmask_b32_e64 v44, 0, v46, s[24:25]
	v_add_u32_e32 v43, v43, v44
	v_bfe_i32 v46, v19, 4, 1
	s_nop 0
	v_mov_b32_dpp v44, v43 row_bcast:15 row_mask:0xf bank_mask:0xf
	v_and_b32_e32 v44, v46, v44
	v_add_u32_e32 v43, v43, v44
	v_and_b32_e32 v46, 63, v10
	s_nop 0
	v_mov_b32_dpp v44, v43 row_bcast:31 row_mask:0xf bank_mask:0xf
	v_cndmask_b32_e64 v44, 0, v44, s[28:29]
	v_add_u32_e32 v43, v43, v44
	v_lshrrev_b32_e32 v44, 6, v10
	v_cmp_eq_u32_e64 s[28:29], 63, v46
	s_and_saveexec_b64 s[50:51], s[28:29]
	s_cbranch_execz .LBB1847_39
; %bb.38:
	v_lshlrev_b32_e32 v46, 2, v44
	ds_write_b32 v46, v43
.LBB1847_39:
	s_or_b64 exec, exec, s[50:51]
	v_cmp_gt_u32_e64 s[28:29], 16, v10
	s_waitcnt lgkmcnt(0)
	s_barrier
	s_and_saveexec_b64 s[50:51], s[28:29]
	s_cbranch_execz .LBB1847_41
; %bb.40:
	v_lshlrev_b32_e32 v46, 2, v10
	ds_read_b32 v47, v46
	s_waitcnt lgkmcnt(0)
	s_nop 0
	v_mov_b32_dpp v48, v47 row_shr:1 row_mask:0xf bank_mask:0xf
	v_cndmask_b32_e64 v48, v48, 0, vcc
	v_add_u32_e32 v47, v48, v47
	s_nop 1
	v_mov_b32_dpp v48, v47 row_shr:2 row_mask:0xf bank_mask:0xf
	v_cndmask_b32_e64 v48, 0, v48, s[20:21]
	v_add_u32_e32 v47, v47, v48
	s_nop 1
	v_mov_b32_dpp v48, v47 row_shr:4 row_mask:0xf bank_mask:0xf
	v_cndmask_b32_e64 v48, 0, v48, s[22:23]
	;; [unrolled: 4-line block ×3, first 2 shown]
	v_add_u32_e32 v47, v47, v48
	ds_write_b32 v46, v47
.LBB1847_41:
	s_or_b64 exec, exec, s[50:51]
	v_cmp_lt_u32_e32 vcc, 63, v10
	v_mov_b32_e32 v46, 0
	s_waitcnt lgkmcnt(0)
	s_barrier
	s_and_saveexec_b64 s[20:21], vcc
	s_cbranch_execz .LBB1847_43
; %bb.42:
	v_lshl_add_u32 v44, v44, 2, -4
	ds_read_b32 v46, v44
.LBB1847_43:
	s_or_b64 exec, exec, s[20:21]
	v_add_u32_e32 v44, -1, v19
	v_and_b32_e32 v47, 64, v19
	v_cmp_lt_i32_e32 vcc, v44, v47
	v_cndmask_b32_e32 v44, v44, v19, vcc
	s_waitcnt lgkmcnt(0)
	v_add_u32_e32 v43, v46, v43
	v_lshlrev_b32_e32 v44, 2, v44
	ds_bpermute_b32 v43, v44, v43
	v_cmp_eq_u32_e32 vcc, 0, v19
	s_movk_i32 s20, 0x100
	v_cmp_gt_u32_e64 s[20:21], s20, v10
                                        ; implicit-def: $vgpr44
	s_waitcnt lgkmcnt(0)
	v_cndmask_b32_e32 v19, v43, v46, vcc
	v_cndmask_b32_e64 v19, v19, 0, s[0:1]
	v_add_u32_e32 v4, v19, v4
	v_add_u32_e32 v5, v4, v5
	;; [unrolled: 1-line block ×4, first 2 shown]
	ds_write2_b32 v23, v19, v4 offset0:16 offset1:17
	ds_write2_b32 v13, v5, v2 offset0:2 offset1:3
	ds_write_b32 v13, v3 offset:16
	s_waitcnt lgkmcnt(0)
	s_barrier
	ds_read_b32 v13, v25 offset:64
	ds_read_b32 v46, v26 offset:64
	;; [unrolled: 1-line block ×8, first 2 shown]
                                        ; implicit-def: $vgpr43
	s_and_saveexec_b64 s[22:23], s[20:21]
	s_cbranch_execz .LBB1847_47
; %bb.44:
	v_mul_u32_u24_e32 v2, 17, v10
	v_lshlrev_b32_e32 v3, 2, v2
	ds_read_b32 v43, v3 offset:64
	s_movk_i32 s24, 0xff
	v_cmp_ne_u32_e32 vcc, s24, v10
	v_mov_b32_e32 v2, 0x2000
	s_and_saveexec_b64 s[24:25], vcc
	s_cbranch_execz .LBB1847_46
; %bb.45:
	ds_read_b32 v2, v3 offset:132
.LBB1847_46:
	s_or_b64 exec, exec, s[24:25]
	s_waitcnt lgkmcnt(0)
	v_sub_u32_e32 v44, v2, v43
.LBB1847_47:
	s_or_b64 exec, exec, s[22:23]
	s_waitcnt lgkmcnt(0)
	s_barrier
	s_and_saveexec_b64 s[22:23], s[20:21]
	s_cbranch_execz .LBB1847_57
; %bb.48:
	v_lshl_or_b32 v2, s33, 8, v10
	v_mov_b32_e32 v3, 0
	v_lshlrev_b64 v[4:5], 2, v[2:3]
	v_mov_b32_e32 v8, s31
	v_add_co_u32_e32 v4, vcc, s30, v4
	v_addc_co_u32_e32 v5, vcc, v8, v5, vcc
	v_or_b32_e32 v2, 2.0, v44
	s_mov_b64 s[24:25], 0
	s_brev_b32 s54, 1
	s_mov_b32 s55, s33
	v_mov_b32_e32 v9, 0
	global_store_dword v[4:5], v2, off
                                        ; implicit-def: $sgpr28_sgpr29
	s_branch .LBB1847_50
.LBB1847_49:                            ;   in Loop: Header=BB1847_50 Depth=1
	s_or_b64 exec, exec, s[28:29]
	v_and_b32_e32 v6, 0x3fffffff, v12
	v_add_u32_e32 v9, v6, v9
	v_cmp_eq_u32_e64 s[28:29], s54, v2
	s_and_b64 s[50:51], exec, s[28:29]
	s_or_b64 s[24:25], s[50:51], s[24:25]
	s_andn2_b64 exec, exec, s[24:25]
	s_cbranch_execz .LBB1847_56
.LBB1847_50:                            ; =>This Loop Header: Depth=1
                                        ;     Child Loop BB1847_53 Depth 2
	s_or_b64 s[28:29], s[28:29], exec
	s_cmp_eq_u32 s55, 0
	s_cbranch_scc1 .LBB1847_55
; %bb.51:                               ;   in Loop: Header=BB1847_50 Depth=1
	s_add_i32 s55, s55, -1
	v_lshl_or_b32 v2, s55, 8, v10
	v_lshlrev_b64 v[6:7], 2, v[2:3]
	v_add_co_u32_e32 v6, vcc, s30, v6
	v_addc_co_u32_e32 v7, vcc, v8, v7, vcc
	global_load_dword v12, v[6:7], off glc
	s_waitcnt vmcnt(0)
	v_and_b32_e32 v2, -2.0, v12
	v_cmp_eq_u32_e32 vcc, 0, v2
	s_and_saveexec_b64 s[28:29], vcc
	s_cbranch_execz .LBB1847_49
; %bb.52:                               ;   in Loop: Header=BB1847_50 Depth=1
	s_mov_b64 s[50:51], 0
.LBB1847_53:                            ;   Parent Loop BB1847_50 Depth=1
                                        ; =>  This Inner Loop Header: Depth=2
	global_load_dword v12, v[6:7], off glc
	s_waitcnt vmcnt(0)
	v_and_b32_e32 v2, -2.0, v12
	v_cmp_ne_u32_e32 vcc, 0, v2
	s_or_b64 s[50:51], vcc, s[50:51]
	s_andn2_b64 exec, exec, s[50:51]
	s_cbranch_execnz .LBB1847_53
; %bb.54:                               ;   in Loop: Header=BB1847_50 Depth=1
	s_or_b64 exec, exec, s[50:51]
	s_branch .LBB1847_49
.LBB1847_55:                            ;   in Loop: Header=BB1847_50 Depth=1
                                        ; implicit-def: $sgpr55
	s_and_b64 s[50:51], exec, s[28:29]
	s_or_b64 s[24:25], s[50:51], s[24:25]
	s_andn2_b64 exec, exec, s[24:25]
	s_cbranch_execnz .LBB1847_50
.LBB1847_56:
	s_or_b64 exec, exec, s[24:25]
	v_add_u32_e32 v2, v9, v44
	v_or_b32_e32 v2, 0x80000000, v2
	global_store_dword v[4:5], v2, off
	v_lshlrev_b32_e32 v2, 2, v10
	global_load_dword v3, v2, s[44:45]
	v_sub_u32_e32 v4, v9, v43
	s_waitcnt vmcnt(0)
	v_add_u32_e32 v3, v4, v3
	ds_write_b32 v2, v3
.LBB1847_57:
	s_or_b64 exec, exec, s[22:23]
	v_add_u32_e32 v53, v13, v22
	v_lshlrev_b32_e32 v55, 2, v10
	v_add3_u32 v19, v31, v30, v46
	v_add3_u32 v22, v33, v32, v47
	;; [unrolled: 1-line block ×7, first 2 shown]
	s_movk_i32 s28, 0x400
	v_add_u32_e32 v56, 0x400, v55
	s_mov_b32 s54, 0
	s_mov_b64 s[22:23], -1
	s_brev_b32 s29, -2
	v_mov_b32_e32 v13, 0
	s_movk_i32 s50, 0x800
	s_movk_i32 s51, 0xc00
	v_bfrev_b32_e32 v57, 1
	v_mov_b32_e32 v58, v53
	v_mov_b32_e32 v59, v10
                                        ; implicit-def: $vgpr2_vgpr3_vgpr4_vgpr5_vgpr6_vgpr7_vgpr8_vgpr9
	s_branch .LBB1847_59
.LBB1847_58:                            ;   in Loop: Header=BB1847_59 Depth=1
	s_or_b64 exec, exec, s[24:25]
	s_xor_b64 s[24:25], s[22:23], -1
	v_add_u32_e32 v59, 0x1000, v59
	v_add_u32_e32 v54, 0xfffff000, v54
	;; [unrolled: 1-line block ×9, first 2 shown]
	s_mov_b32 s54, 4
	s_mov_b64 s[22:23], 0
	s_and_b64 vcc, exec, s[24:25]
	s_barrier
	s_cbranch_vccnz .LBB1847_68
.LBB1847_59:                            ; =>This Inner Loop Header: Depth=1
	v_min_u32_e32 v12, 0x1000, v58
	v_lshlrev_b32_e32 v12, 2, v12
	ds_write_b32 v12, v18 offset:1024
	v_min_u32_e32 v12, 0x1000, v19
	v_lshlrev_b32_e32 v12, 2, v12
	ds_write_b32 v12, v14 offset:1024
	;; [unrolled: 3-line block ×7, first 2 shown]
	v_min_u32_e32 v12, 0x1000, v54
	v_lshlrev_b32_e32 v12, 2, v12
	v_cmp_gt_u32_e32 vcc, s7, v59
	ds_write_b32 v12, v29 offset:1024
	s_waitcnt lgkmcnt(0)
	s_barrier
	s_and_saveexec_b64 s[24:25], vcc
	s_cbranch_execz .LBB1847_61
; %bb.60:                               ;   in Loop: Header=BB1847_59 Depth=1
	ds_read_b32 v12, v55 offset:1024
	v_mov_b32_e32 v63, s39
	s_cmp_eq_u32 s54, 7
	s_waitcnt lgkmcnt(0)
	v_cmp_ne_u32_e32 vcc, s29, v12
	v_cndmask_b32_e32 v60, v57, v12, vcc
	v_lshrrev_b32_e32 v60, s48, v60
	v_and_b32_e32 v62, s53, v60
	v_lshlrev_b32_e32 v60, 2, v62
	ds_read_b32 v60, v60
	v_cmp_lt_i32_e32 vcc, -1, v12
	v_cndmask_b32_e64 v61, v57, -1, vcc
	v_xor_b32_e32 v64, v61, v12
	s_waitcnt lgkmcnt(0)
	v_add_u32_e32 v12, v59, v60
	v_lshlrev_b64 v[60:61], 2, v[12:13]
	v_add_co_u32_e32 v60, vcc, s38, v60
	v_addc_co_u32_e32 v61, vcc, v63, v61, vcc
	s_cselect_b64 vcc, -1, 0
	s_cmp_eq_u32 s54, 6
	v_cndmask_b32_e32 v9, v9, v62, vcc
	s_cselect_b64 vcc, -1, 0
	s_cmp_eq_u32 s54, 5
	v_cndmask_b32_e32 v8, v8, v62, vcc
	;; [unrolled: 3-line block ×7, first 2 shown]
	s_cselect_b64 vcc, -1, 0
	v_cndmask_b32_e32 v2, v2, v62, vcc
	global_store_dword v[60:61], v64, off
.LBB1847_61:                            ;   in Loop: Header=BB1847_59 Depth=1
	s_or_b64 exec, exec, s[24:25]
	v_add_u32_e32 v12, 0x400, v59
	v_cmp_gt_u32_e32 vcc, s7, v12
	s_and_saveexec_b64 s[24:25], vcc
	s_cbranch_execz .LBB1847_63
; %bb.62:                               ;   in Loop: Header=BB1847_59 Depth=1
	ds_read_b32 v12, v56 offset:4096
	v_mov_b32_e32 v63, s39
	s_or_b32 s55, s54, 1
	s_cmp_eq_u32 s55, 7
	s_waitcnt lgkmcnt(0)
	v_cmp_ne_u32_e32 vcc, s29, v12
	v_cndmask_b32_e32 v60, v57, v12, vcc
	v_lshrrev_b32_e32 v60, s48, v60
	v_and_b32_e32 v62, s53, v60
	v_lshlrev_b32_e32 v60, 2, v62
	ds_read_b32 v60, v60
	v_cmp_lt_i32_e32 vcc, -1, v12
	v_cndmask_b32_e64 v61, v57, -1, vcc
	v_xor_b32_e32 v64, v61, v12
	s_waitcnt lgkmcnt(0)
	v_add3_u32 v12, v59, v60, s28
	v_lshlrev_b64 v[60:61], 2, v[12:13]
	v_add_co_u32_e32 v60, vcc, s38, v60
	v_addc_co_u32_e32 v61, vcc, v63, v61, vcc
	s_cselect_b64 vcc, -1, 0
	s_cmp_eq_u32 s55, 6
	v_cndmask_b32_e32 v9, v9, v62, vcc
	s_cselect_b64 vcc, -1, 0
	s_cmp_eq_u32 s55, 5
	v_cndmask_b32_e32 v8, v8, v62, vcc
	;; [unrolled: 3-line block ×7, first 2 shown]
	s_cselect_b64 vcc, -1, 0
	v_cndmask_b32_e32 v2, v2, v62, vcc
	global_store_dword v[60:61], v64, off
.LBB1847_63:                            ;   in Loop: Header=BB1847_59 Depth=1
	s_or_b64 exec, exec, s[24:25]
	v_add_u32_e32 v12, 0x800, v59
	v_cmp_gt_u32_e32 vcc, s7, v12
	s_and_saveexec_b64 s[24:25], vcc
	s_cbranch_execz .LBB1847_65
; %bb.64:                               ;   in Loop: Header=BB1847_59 Depth=1
	ds_read_b32 v12, v56 offset:8192
	v_mov_b32_e32 v63, s39
	s_or_b32 s55, s54, 2
	s_cmp_eq_u32 s55, 7
	s_waitcnt lgkmcnt(0)
	v_cmp_ne_u32_e32 vcc, s29, v12
	v_cndmask_b32_e32 v60, v57, v12, vcc
	v_lshrrev_b32_e32 v60, s48, v60
	v_and_b32_e32 v62, s53, v60
	v_lshlrev_b32_e32 v60, 2, v62
	ds_read_b32 v60, v60
	v_cmp_lt_i32_e32 vcc, -1, v12
	v_cndmask_b32_e64 v61, v57, -1, vcc
	v_xor_b32_e32 v64, v61, v12
	s_waitcnt lgkmcnt(0)
	v_add3_u32 v12, v59, v60, s50
	v_lshlrev_b64 v[60:61], 2, v[12:13]
	v_add_co_u32_e32 v60, vcc, s38, v60
	v_addc_co_u32_e32 v61, vcc, v63, v61, vcc
	s_cselect_b64 vcc, -1, 0
	s_cmp_eq_u32 s55, 6
	v_cndmask_b32_e32 v9, v9, v62, vcc
	s_cselect_b64 vcc, -1, 0
	s_cmp_eq_u32 s55, 5
	v_cndmask_b32_e32 v8, v8, v62, vcc
	;; [unrolled: 3-line block ×7, first 2 shown]
	s_cselect_b64 vcc, -1, 0
	v_cndmask_b32_e32 v2, v2, v62, vcc
	global_store_dword v[60:61], v64, off
.LBB1847_65:                            ;   in Loop: Header=BB1847_59 Depth=1
	s_or_b64 exec, exec, s[24:25]
	v_add_u32_e32 v12, 0xc00, v59
	v_cmp_gt_u32_e32 vcc, s7, v12
	s_and_saveexec_b64 s[24:25], vcc
	s_cbranch_execz .LBB1847_58
; %bb.66:                               ;   in Loop: Header=BB1847_59 Depth=1
	ds_read_b32 v12, v56 offset:12288
	v_mov_b32_e32 v63, s39
	s_or_b32 s54, s54, 3
	s_cmp_eq_u32 s54, 7
	s_waitcnt lgkmcnt(0)
	v_cmp_ne_u32_e32 vcc, s29, v12
	v_cndmask_b32_e32 v60, v57, v12, vcc
	v_lshrrev_b32_e32 v60, s48, v60
	v_and_b32_e32 v62, s53, v60
	v_lshlrev_b32_e32 v60, 2, v62
	ds_read_b32 v60, v60
	v_cmp_lt_i32_e32 vcc, -1, v12
	v_cndmask_b32_e64 v61, v57, -1, vcc
	v_xor_b32_e32 v64, v61, v12
	s_waitcnt lgkmcnt(0)
	v_add3_u32 v12, v59, v60, s51
	v_lshlrev_b64 v[60:61], 2, v[12:13]
	v_add_co_u32_e32 v60, vcc, s38, v60
	v_addc_co_u32_e32 v61, vcc, v63, v61, vcc
	s_cselect_b64 vcc, -1, 0
	s_cmp_eq_u32 s54, 6
	v_cndmask_b32_e32 v9, v9, v62, vcc
	s_cselect_b64 vcc, -1, 0
	s_cmp_eq_u32 s54, 5
	v_cndmask_b32_e32 v8, v8, v62, vcc
	;; [unrolled: 3-line block ×7, first 2 shown]
	s_cselect_b64 vcc, -1, 0
	v_cndmask_b32_e32 v2, v2, v62, vcc
	global_store_dword v[60:61], v64, off
	s_branch .LBB1847_58
.LBB1847_67:
	s_mov_b64 s[10:11], 0
                                        ; implicit-def: $vgpr2
	s_cbranch_execnz .LBB1847_86
	s_branch .LBB1847_129
.LBB1847_68:
	s_lshl_b64 s[22:23], s[34:35], 3
	s_add_u32 s22, s40, s22
	s_addc_u32 s23, s41, s23
	v_lshlrev_b32_e32 v12, 3, v17
	v_mov_b32_e32 v13, s23
	v_add_co_u32_e32 v12, vcc, s22, v12
	v_addc_co_u32_e32 v13, vcc, 0, v13, vcc
	v_lshlrev_b32_e32 v14, 3, v16
	v_add_co_u32_e32 v28, vcc, v12, v14
	v_addc_co_u32_e32 v29, vcc, 0, v13, vcc
                                        ; implicit-def: $vgpr12_vgpr13
	s_and_saveexec_b64 s[22:23], s[2:3]
	s_cbranch_execnz .LBB1847_132
; %bb.69:
	s_or_b64 exec, exec, s[22:23]
                                        ; implicit-def: $vgpr14_vgpr15
	s_and_saveexec_b64 s[2:3], s[26:27]
	s_cbranch_execnz .LBB1847_133
.LBB1847_70:
	s_or_b64 exec, exec, s[2:3]
                                        ; implicit-def: $vgpr16_vgpr17
	s_and_saveexec_b64 s[2:3], s[8:9]
	s_cbranch_execnz .LBB1847_134
.LBB1847_71:
	s_or_b64 exec, exec, s[2:3]
                                        ; implicit-def: $vgpr18_vgpr19
	s_and_saveexec_b64 s[2:3], s[10:11]
	s_cbranch_execnz .LBB1847_135
.LBB1847_72:
	s_or_b64 exec, exec, s[2:3]
                                        ; implicit-def: $vgpr20_vgpr21
	s_and_saveexec_b64 s[2:3], s[12:13]
	s_cbranch_execnz .LBB1847_136
.LBB1847_73:
	s_or_b64 exec, exec, s[2:3]
                                        ; implicit-def: $vgpr22_vgpr23
	s_and_saveexec_b64 s[2:3], s[14:15]
	s_cbranch_execnz .LBB1847_137
.LBB1847_74:
	s_or_b64 exec, exec, s[2:3]
                                        ; implicit-def: $vgpr24_vgpr25
	s_and_saveexec_b64 s[2:3], s[16:17]
	s_cbranch_execnz .LBB1847_138
.LBB1847_75:
	s_or_b64 exec, exec, s[2:3]
                                        ; implicit-def: $vgpr26_vgpr27
	s_and_saveexec_b64 s[2:3], s[18:19]
	s_cbranch_execz .LBB1847_77
.LBB1847_76:
	global_load_dwordx2 v[26:27], v[28:29], off offset:3584
.LBB1847_77:
	s_or_b64 exec, exec, s[2:3]
	s_movk_i32 s8, 0x400
	v_add_u32_e32 v54, 0x400, v11
	v_add3_u32 v42, v45, v52, v42
	v_add3_u32 v40, v41, v51, v40
	;; [unrolled: 1-line block ×7, first 2 shown]
	s_mov_b32 s9, 0
	v_mov_b32_e32 v29, 0
	s_mov_b32 s10, 0
	v_mov_b32_e32 v31, v10
	s_waitcnt vmcnt(0)
	s_branch .LBB1847_79
.LBB1847_78:                            ;   in Loop: Header=BB1847_79 Depth=1
	s_or_b64 exec, exec, s[2:3]
	s_addk_i32 s10, 0xf800
	s_add_i32 s9, s9, 2
	s_cmpk_eq_i32 s10, 0xe000
	v_add_u32_e32 v31, 0x800, v31
	s_barrier
	s_cbranch_scc1 .LBB1847_83
.LBB1847_79:                            ; =>This Inner Loop Header: Depth=1
	v_add_u32_e32 v28, s10, v53
	v_min_u32_e32 v28, 0x800, v28
	v_lshlrev_b32_e32 v28, 3, v28
	ds_write_b64 v28, v[12:13] offset:1024
	v_add_u32_e32 v28, s10, v30
	v_min_u32_e32 v28, 0x800, v28
	v_lshlrev_b32_e32 v28, 3, v28
	ds_write_b64 v28, v[14:15] offset:1024
	;; [unrolled: 4-line block ×7, first 2 shown]
	v_add_u32_e32 v28, s10, v42
	v_min_u32_e32 v28, 0x800, v28
	v_lshlrev_b32_e32 v28, 3, v28
	v_cmp_gt_u32_e32 vcc, s7, v31
	ds_write_b64 v28, v[26:27] offset:1024
	s_waitcnt lgkmcnt(0)
	s_barrier
	s_and_saveexec_b64 s[2:3], vcc
	s_cbranch_execz .LBB1847_81
; %bb.80:                               ;   in Loop: Header=BB1847_79 Depth=1
	s_cmp_eq_u32 s9, 1
	s_cselect_b64 vcc, -1, 0
	s_cmp_eq_u32 s9, 2
	v_cndmask_b32_e32 v28, v2, v3, vcc
	s_cselect_b64 vcc, -1, 0
	s_cmp_eq_u32 s9, 3
	v_cndmask_b32_e32 v28, v28, v4, vcc
	;; [unrolled: 3-line block ×6, first 2 shown]
	s_cselect_b64 vcc, -1, 0
	v_cndmask_b32_e32 v28, v28, v9, vcc
	v_lshlrev_b32_e32 v28, 2, v28
	ds_read_b32 v28, v28
	ds_read_b64 v[46:47], v11 offset:1024
	s_waitcnt lgkmcnt(1)
	v_add_u32_e32 v28, v31, v28
	v_lshlrev_b64 v[48:49], 3, v[28:29]
	v_mov_b32_e32 v28, s43
	v_add_co_u32_e32 v48, vcc, s42, v48
	v_addc_co_u32_e32 v49, vcc, v28, v49, vcc
	s_waitcnt lgkmcnt(0)
	global_store_dwordx2 v[48:49], v[46:47], off
.LBB1847_81:                            ;   in Loop: Header=BB1847_79 Depth=1
	s_or_b64 exec, exec, s[2:3]
	v_add_u32_e32 v28, 0x400, v31
	v_cmp_gt_u32_e32 vcc, s7, v28
	s_and_saveexec_b64 s[2:3], vcc
	s_cbranch_execz .LBB1847_78
; %bb.82:                               ;   in Loop: Header=BB1847_79 Depth=1
	s_add_i32 s11, s9, 1
	s_cmp_eq_u32 s11, 1
	s_cselect_b64 vcc, -1, 0
	s_cmp_eq_u32 s11, 2
	v_cndmask_b32_e32 v28, v2, v3, vcc
	s_cselect_b64 vcc, -1, 0
	s_cmp_eq_u32 s11, 3
	v_cndmask_b32_e32 v28, v28, v4, vcc
	;; [unrolled: 3-line block ×6, first 2 shown]
	s_cselect_b64 vcc, -1, 0
	v_cndmask_b32_e32 v28, v28, v9, vcc
	v_lshlrev_b32_e32 v28, 2, v28
	ds_read_b32 v28, v28
	ds_read_b64 v[46:47], v54 offset:8192
	s_waitcnt lgkmcnt(1)
	v_add3_u32 v28, v31, v28, s8
	v_lshlrev_b64 v[48:49], 3, v[28:29]
	v_mov_b32_e32 v28, s43
	v_add_co_u32_e32 v48, vcc, s42, v48
	v_addc_co_u32_e32 v49, vcc, v28, v49, vcc
	s_waitcnt lgkmcnt(0)
	global_store_dwordx2 v[48:49], v[46:47], off
	s_branch .LBB1847_78
.LBB1847_83:
	s_add_i32 s52, s52, -1
	s_cmp_eq_u32 s52, s33
	s_cselect_b64 s[2:3], -1, 0
	s_and_b64 s[8:9], s[20:21], s[2:3]
	s_mov_b64 s[2:3], 0
	s_mov_b64 s[10:11], 0
                                        ; implicit-def: $vgpr2
	s_and_saveexec_b64 s[12:13], s[8:9]
	s_xor_b64 s[8:9], exec, s[12:13]
; %bb.84:
	s_mov_b64 s[10:11], exec
	v_add_u32_e32 v2, v43, v44
; %bb.85:
	s_or_b64 exec, exec, s[8:9]
	s_and_b64 vcc, exec, s[2:3]
	s_cbranch_vccz .LBB1847_129
.LBB1847_86:
	s_lshl_b32 s12, s33, 13
	s_mov_b32 s13, 0
	v_mbcnt_hi_u32_b32 v4, -1, v1
	s_lshl_b64 s[2:3], s[12:13], 2
	v_and_b32_e32 v7, 63, v4
	s_add_u32 s2, s36, s2
	v_lshlrev_b32_e32 v1, 2, v7
	v_add_co_u32_e32 v1, vcc, s2, v1
	s_load_dword s16, s[4:5], 0x58
	s_load_dword s2, s[4:5], 0x64
	s_addc_u32 s3, s37, s3
	v_and_b32_e32 v6, 0x1e00, v11
	v_mov_b32_e32 v3, s3
	v_addc_co_u32_e32 v3, vcc, 0, v3, vcc
	v_lshlrev_b32_e32 v5, 2, v6
	v_add_co_u32_e32 v18, vcc, v1, v5
	s_add_u32 s3, s4, 0x58
	v_addc_co_u32_e32 v19, vcc, 0, v3, vcc
	s_addc_u32 s4, s5, 0
	s_waitcnt lgkmcnt(0)
	s_lshr_b32 s5, s2, 16
	global_load_dword v1, v[18:19], off
	s_cmp_lt_u32 s6, s16
	s_cselect_b32 s2, 12, 18
	s_add_u32 s2, s3, s2
	v_mov_b32_e32 v2, 0
	s_addc_u32 s3, s4, 0
	global_load_ushort v3, v2, s[2:3]
	v_mul_u32_u24_e32 v5, 5, v10
	v_lshlrev_b32_e32 v5, 2, v5
	ds_write2_b32 v5, v2, v2 offset0:16 offset1:17
	ds_write2_b32 v5, v2, v2 offset0:18 offset1:19
	ds_write_b32 v5, v2 offset:80
	global_load_dword v9, v[18:19], off offset:256
	global_load_dword v12, v[18:19], off offset:512
	;; [unrolled: 1-line block ×7, first 2 shown]
	v_bfrev_b32_e32 v16, 1
	v_bfe_u32 v8, v0, 10, 10
	v_bfe_u32 v0, v0, 20, 10
	v_mad_u32_u24 v0, v0, s5, v8
	s_brev_b32 s4, -2
	s_lshl_b32 s2, -1, s49
	s_not_b32 s17, s2
	s_waitcnt lgkmcnt(0)
	s_barrier
	s_waitcnt lgkmcnt(0)
	; wave barrier
	s_waitcnt vmcnt(8)
	v_cmp_lt_i32_e32 vcc, -1, v1
	v_cndmask_b32_e32 v8, -1, v16, vcc
	v_xor_b32_e32 v8, v8, v1
	v_cmp_ne_u32_e32 vcc, s4, v8
	v_cndmask_b32_e32 v15, v16, v8, vcc
	s_waitcnt vmcnt(7)
	v_mad_u64_u32 v[0:1], s[2:3], v0, v3, v[10:11]
	v_lshrrev_b32_e32 v1, s48, v15
	v_lshrrev_b32_e32 v26, 6, v0
	v_and_b32_e32 v0, s17, v1
	v_lshl_add_u32 v1, v0, 4, v0
	v_and_b32_e32 v15, 1, v0
	v_add_lshl_u32 v18, v26, v1, 2
	v_add_co_u32_e32 v1, vcc, -1, v15
	v_lshlrev_b32_e32 v3, 30, v0
	v_addc_co_u32_e64 v19, s[2:3], 0, -1, vcc
	v_cmp_ne_u32_e32 vcc, 0, v15
	v_cmp_gt_i64_e64 s[2:3], 0, v[2:3]
	v_not_b32_e32 v15, v3
	v_lshlrev_b32_e32 v3, 29, v0
	v_xor_b32_e32 v19, vcc_hi, v19
	v_xor_b32_e32 v1, vcc_lo, v1
	v_ashrrev_i32_e32 v15, 31, v15
	v_cmp_gt_i64_e32 vcc, 0, v[2:3]
	v_not_b32_e32 v20, v3
	v_lshlrev_b32_e32 v3, 28, v0
	v_and_b32_e32 v19, exec_hi, v19
	v_and_b32_e32 v1, exec_lo, v1
	v_xor_b32_e32 v22, s3, v15
	v_xor_b32_e32 v15, s2, v15
	v_ashrrev_i32_e32 v20, 31, v20
	v_cmp_gt_i64_e64 s[2:3], 0, v[2:3]
	v_not_b32_e32 v3, v3
	v_and_b32_e32 v19, v19, v22
	v_and_b32_e32 v1, v1, v15
	v_xor_b32_e32 v15, vcc_hi, v20
	v_xor_b32_e32 v20, vcc_lo, v20
	v_ashrrev_i32_e32 v3, 31, v3
	v_and_b32_e32 v15, v19, v15
	v_and_b32_e32 v1, v1, v20
	v_xor_b32_e32 v19, s3, v3
	v_xor_b32_e32 v3, s2, v3
	v_and_b32_e32 v1, v1, v3
	v_lshlrev_b32_e32 v3, 27, v0
	v_cmp_gt_i64_e32 vcc, 0, v[2:3]
	v_not_b32_e32 v3, v3
	v_ashrrev_i32_e32 v3, 31, v3
	v_and_b32_e32 v15, v15, v19
	v_xor_b32_e32 v19, vcc_hi, v3
	v_xor_b32_e32 v3, vcc_lo, v3
	v_and_b32_e32 v1, v1, v3
	v_lshlrev_b32_e32 v3, 26, v0
	v_cmp_gt_i64_e32 vcc, 0, v[2:3]
	v_not_b32_e32 v3, v3
	v_ashrrev_i32_e32 v3, 31, v3
	v_and_b32_e32 v15, v15, v19
	v_xor_b32_e32 v19, vcc_hi, v3
	v_xor_b32_e32 v3, vcc_lo, v3
	;; [unrolled: 8-line block ×3, first 2 shown]
	v_and_b32_e32 v15, v15, v19
	v_and_b32_e32 v19, v1, v3
	v_lshlrev_b32_e32 v3, 24, v0
	v_not_b32_e32 v0, v3
	v_cmp_gt_i64_e32 vcc, 0, v[2:3]
	v_ashrrev_i32_e32 v0, 31, v0
	v_xor_b32_e32 v1, vcc_hi, v0
	v_xor_b32_e32 v0, vcc_lo, v0
	v_and_b32_e32 v0, v19, v0
	v_and_b32_e32 v1, v15, v1
	v_mbcnt_lo_u32_b32 v3, v0, 0
	v_mbcnt_hi_u32_b32 v15, v1, v3
	v_cmp_eq_u32_e32 vcc, 0, v15
	v_cmp_ne_u64_e64 s[2:3], 0, v[0:1]
	s_and_b64 s[6:7], s[2:3], vcc
	s_and_saveexec_b64 s[2:3], s[6:7]
	s_cbranch_execz .LBB1847_88
; %bb.87:
	v_bcnt_u32_b32 v0, v0, 0
	v_bcnt_u32_b32 v0, v1, v0
	ds_write_b32 v18, v0 offset:64
.LBB1847_88:
	s_or_b64 exec, exec, s[2:3]
	s_waitcnt vmcnt(6)
	v_cmp_lt_i32_e32 vcc, -1, v9
	v_cndmask_b32_e32 v0, -1, v16, vcc
	v_xor_b32_e32 v9, v0, v9
	v_cmp_ne_u32_e32 vcc, s4, v9
	v_cndmask_b32_e32 v0, v16, v9, vcc
	v_lshrrev_b32_e32 v0, s48, v0
	v_and_b32_e32 v0, s17, v0
	v_lshl_add_u32 v1, v0, 4, v0
	v_add_lshl_u32 v22, v26, v1, 2
	v_and_b32_e32 v1, 1, v0
	v_add_co_u32_e32 v3, vcc, -1, v1
	v_addc_co_u32_e64 v19, s[2:3], 0, -1, vcc
	v_cmp_ne_u32_e32 vcc, 0, v1
	v_xor_b32_e32 v3, vcc_lo, v3
	v_xor_b32_e32 v1, vcc_hi, v19
	v_and_b32_e32 v19, exec_lo, v3
	v_lshlrev_b32_e32 v3, 30, v0
	v_cmp_gt_i64_e32 vcc, 0, v[2:3]
	v_not_b32_e32 v3, v3
	v_ashrrev_i32_e32 v3, 31, v3
	v_xor_b32_e32 v20, vcc_hi, v3
	v_xor_b32_e32 v3, vcc_lo, v3
	v_and_b32_e32 v19, v19, v3
	v_lshlrev_b32_e32 v3, 29, v0
	v_cmp_gt_i64_e32 vcc, 0, v[2:3]
	v_not_b32_e32 v3, v3
	v_and_b32_e32 v1, exec_hi, v1
	v_ashrrev_i32_e32 v3, 31, v3
	v_and_b32_e32 v1, v1, v20
	v_xor_b32_e32 v20, vcc_hi, v3
	v_xor_b32_e32 v3, vcc_lo, v3
	v_and_b32_e32 v19, v19, v3
	v_lshlrev_b32_e32 v3, 28, v0
	v_cmp_gt_i64_e32 vcc, 0, v[2:3]
	v_not_b32_e32 v3, v3
	v_ashrrev_i32_e32 v3, 31, v3
	v_and_b32_e32 v1, v1, v20
	v_xor_b32_e32 v20, vcc_hi, v3
	v_xor_b32_e32 v3, vcc_lo, v3
	v_and_b32_e32 v19, v19, v3
	v_lshlrev_b32_e32 v3, 27, v0
	v_cmp_gt_i64_e32 vcc, 0, v[2:3]
	v_not_b32_e32 v3, v3
	;; [unrolled: 8-line block ×4, first 2 shown]
	v_ashrrev_i32_e32 v3, 31, v3
	v_and_b32_e32 v1, v1, v20
	v_xor_b32_e32 v20, vcc_hi, v3
	v_xor_b32_e32 v3, vcc_lo, v3
	v_and_b32_e32 v19, v19, v3
	v_lshlrev_b32_e32 v3, 24, v0
	v_not_b32_e32 v0, v3
	v_cmp_gt_i64_e32 vcc, 0, v[2:3]
	v_ashrrev_i32_e32 v0, 31, v0
	v_xor_b32_e32 v2, vcc_hi, v0
	v_xor_b32_e32 v0, vcc_lo, v0
	; wave barrier
	ds_read_b32 v16, v22 offset:64
	v_and_b32_e32 v1, v1, v20
	v_and_b32_e32 v0, v19, v0
	;; [unrolled: 1-line block ×3, first 2 shown]
	v_mbcnt_lo_u32_b32 v2, v0, 0
	v_mbcnt_hi_u32_b32 v19, v1, v2
	v_cmp_eq_u32_e32 vcc, 0, v19
	v_cmp_ne_u64_e64 s[2:3], 0, v[0:1]
	s_and_b64 s[4:5], s[2:3], vcc
	; wave barrier
	s_and_saveexec_b64 s[2:3], s[4:5]
	s_cbranch_execz .LBB1847_90
; %bb.89:
	v_bcnt_u32_b32 v0, v0, 0
	v_bcnt_u32_b32 v0, v1, v0
	s_waitcnt lgkmcnt(0)
	v_add_u32_e32 v0, v16, v0
	ds_write_b32 v22, v0 offset:64
.LBB1847_90:
	s_or_b64 exec, exec, s[2:3]
	v_bfrev_b32_e32 v24, 1
	s_waitcnt vmcnt(5)
	v_cmp_lt_i32_e32 vcc, -1, v12
	v_cndmask_b32_e32 v0, -1, v24, vcc
	v_xor_b32_e32 v12, v0, v12
	s_brev_b32 s4, -2
	v_cmp_ne_u32_e32 vcc, s4, v12
	v_cndmask_b32_e32 v0, v24, v12, vcc
	v_lshrrev_b32_e32 v0, s48, v0
	v_and_b32_e32 v2, s17, v0
	v_and_b32_e32 v1, 1, v2
	v_add_co_u32_e32 v3, vcc, -1, v1
	v_addc_co_u32_e64 v23, s[2:3], 0, -1, vcc
	v_cmp_ne_u32_e32 vcc, 0, v1
	v_lshl_add_u32 v0, v2, 4, v2
	v_xor_b32_e32 v1, vcc_hi, v23
	v_add_lshl_u32 v27, v26, v0, 2
	v_mov_b32_e32 v0, 0
	v_and_b32_e32 v23, exec_hi, v1
	v_lshlrev_b32_e32 v1, 30, v2
	v_xor_b32_e32 v3, vcc_lo, v3
	v_cmp_gt_i64_e32 vcc, 0, v[0:1]
	v_not_b32_e32 v1, v1
	v_ashrrev_i32_e32 v1, 31, v1
	v_and_b32_e32 v3, exec_lo, v3
	v_xor_b32_e32 v28, vcc_hi, v1
	v_xor_b32_e32 v1, vcc_lo, v1
	v_and_b32_e32 v3, v3, v1
	v_lshlrev_b32_e32 v1, 29, v2
	v_cmp_gt_i64_e32 vcc, 0, v[0:1]
	v_not_b32_e32 v1, v1
	v_ashrrev_i32_e32 v1, 31, v1
	v_and_b32_e32 v23, v23, v28
	v_xor_b32_e32 v28, vcc_hi, v1
	v_xor_b32_e32 v1, vcc_lo, v1
	v_and_b32_e32 v3, v3, v1
	v_lshlrev_b32_e32 v1, 28, v2
	v_cmp_gt_i64_e32 vcc, 0, v[0:1]
	v_not_b32_e32 v1, v1
	v_ashrrev_i32_e32 v1, 31, v1
	v_and_b32_e32 v23, v23, v28
	v_xor_b32_e32 v28, vcc_hi, v1
	v_xor_b32_e32 v1, vcc_lo, v1
	v_and_b32_e32 v3, v3, v1
	v_lshlrev_b32_e32 v1, 27, v2
	v_cmp_gt_i64_e32 vcc, 0, v[0:1]
	v_not_b32_e32 v1, v1
	v_ashrrev_i32_e32 v1, 31, v1
	v_and_b32_e32 v23, v23, v28
	v_xor_b32_e32 v28, vcc_hi, v1
	v_xor_b32_e32 v1, vcc_lo, v1
	v_and_b32_e32 v3, v3, v1
	v_lshlrev_b32_e32 v1, 26, v2
	v_cmp_gt_i64_e32 vcc, 0, v[0:1]
	v_not_b32_e32 v1, v1
	v_ashrrev_i32_e32 v1, 31, v1
	v_and_b32_e32 v23, v23, v28
	v_xor_b32_e32 v28, vcc_hi, v1
	v_xor_b32_e32 v1, vcc_lo, v1
	v_and_b32_e32 v3, v3, v1
	v_lshlrev_b32_e32 v1, 25, v2
	v_cmp_gt_i64_e32 vcc, 0, v[0:1]
	v_not_b32_e32 v1, v1
	v_ashrrev_i32_e32 v1, 31, v1
	v_and_b32_e32 v23, v23, v28
	v_xor_b32_e32 v28, vcc_hi, v1
	v_xor_b32_e32 v1, vcc_lo, v1
	v_and_b32_e32 v23, v23, v28
	v_and_b32_e32 v28, v3, v1
	v_lshlrev_b32_e32 v1, 24, v2
	v_cmp_gt_i64_e32 vcc, 0, v[0:1]
	v_not_b32_e32 v1, v1
	v_ashrrev_i32_e32 v1, 31, v1
	v_xor_b32_e32 v2, vcc_hi, v1
	v_xor_b32_e32 v1, vcc_lo, v1
	; wave barrier
	ds_read_b32 v20, v27 offset:64
	v_and_b32_e32 v3, v23, v2
	v_and_b32_e32 v2, v28, v1
	v_mbcnt_lo_u32_b32 v1, v2, 0
	v_mbcnt_hi_u32_b32 v23, v3, v1
	v_cmp_eq_u32_e32 vcc, 0, v23
	v_cmp_ne_u64_e64 s[2:3], 0, v[2:3]
	s_and_b64 s[6:7], s[2:3], vcc
	; wave barrier
	s_and_saveexec_b64 s[2:3], s[6:7]
	s_cbranch_execz .LBB1847_92
; %bb.91:
	v_bcnt_u32_b32 v1, v2, 0
	v_bcnt_u32_b32 v1, v3, v1
	s_waitcnt lgkmcnt(0)
	v_add_u32_e32 v1, v20, v1
	ds_write_b32 v27, v1 offset:64
.LBB1847_92:
	s_or_b64 exec, exec, s[2:3]
	s_waitcnt vmcnt(4)
	v_cmp_lt_i32_e32 vcc, -1, v13
	v_cndmask_b32_e32 v1, -1, v24, vcc
	v_xor_b32_e32 v13, v1, v13
	v_cmp_ne_u32_e32 vcc, s4, v13
	v_cndmask_b32_e32 v1, v24, v13, vcc
	v_lshrrev_b32_e32 v1, s48, v1
	v_and_b32_e32 v2, s17, v1
	v_lshl_add_u32 v1, v2, 4, v2
	v_add_lshl_u32 v30, v26, v1, 2
	v_and_b32_e32 v1, 1, v2
	v_add_co_u32_e32 v3, vcc, -1, v1
	v_addc_co_u32_e64 v28, s[2:3], 0, -1, vcc
	v_cmp_ne_u32_e32 vcc, 0, v1
	v_xor_b32_e32 v1, vcc_hi, v28
	v_and_b32_e32 v28, exec_hi, v1
	v_lshlrev_b32_e32 v1, 30, v2
	v_xor_b32_e32 v3, vcc_lo, v3
	v_cmp_gt_i64_e32 vcc, 0, v[0:1]
	v_not_b32_e32 v1, v1
	v_ashrrev_i32_e32 v1, 31, v1
	v_and_b32_e32 v3, exec_lo, v3
	v_xor_b32_e32 v29, vcc_hi, v1
	v_xor_b32_e32 v1, vcc_lo, v1
	v_and_b32_e32 v3, v3, v1
	v_lshlrev_b32_e32 v1, 29, v2
	v_cmp_gt_i64_e32 vcc, 0, v[0:1]
	v_not_b32_e32 v1, v1
	v_ashrrev_i32_e32 v1, 31, v1
	v_and_b32_e32 v28, v28, v29
	v_xor_b32_e32 v29, vcc_hi, v1
	v_xor_b32_e32 v1, vcc_lo, v1
	v_and_b32_e32 v3, v3, v1
	v_lshlrev_b32_e32 v1, 28, v2
	v_cmp_gt_i64_e32 vcc, 0, v[0:1]
	v_not_b32_e32 v1, v1
	v_ashrrev_i32_e32 v1, 31, v1
	v_and_b32_e32 v28, v28, v29
	;; [unrolled: 8-line block ×5, first 2 shown]
	v_xor_b32_e32 v29, vcc_hi, v1
	v_xor_b32_e32 v1, vcc_lo, v1
	v_and_b32_e32 v3, v3, v1
	v_lshlrev_b32_e32 v1, 24, v2
	v_cmp_gt_i64_e32 vcc, 0, v[0:1]
	v_not_b32_e32 v0, v1
	v_ashrrev_i32_e32 v0, 31, v0
	v_xor_b32_e32 v1, vcc_hi, v0
	v_xor_b32_e32 v0, vcc_lo, v0
	; wave barrier
	ds_read_b32 v24, v30 offset:64
	v_and_b32_e32 v28, v28, v29
	v_and_b32_e32 v0, v3, v0
	;; [unrolled: 1-line block ×3, first 2 shown]
	v_mbcnt_lo_u32_b32 v2, v0, 0
	v_mbcnt_hi_u32_b32 v28, v1, v2
	v_cmp_eq_u32_e32 vcc, 0, v28
	v_cmp_ne_u64_e64 s[2:3], 0, v[0:1]
	s_and_b64 s[4:5], s[2:3], vcc
	; wave barrier
	s_and_saveexec_b64 s[2:3], s[4:5]
	s_cbranch_execz .LBB1847_94
; %bb.93:
	v_bcnt_u32_b32 v0, v0, 0
	v_bcnt_u32_b32 v0, v1, v0
	s_waitcnt lgkmcnt(0)
	v_add_u32_e32 v0, v24, v0
	ds_write_b32 v30, v0 offset:64
.LBB1847_94:
	s_or_b64 exec, exec, s[2:3]
	v_bfrev_b32_e32 v32, 1
	s_waitcnt vmcnt(3)
	v_cmp_lt_i32_e32 vcc, -1, v14
	v_cndmask_b32_e32 v0, -1, v32, vcc
	v_xor_b32_e32 v14, v0, v14
	s_brev_b32 s4, -2
	v_cmp_ne_u32_e32 vcc, s4, v14
	v_cndmask_b32_e32 v0, v32, v14, vcc
	v_lshrrev_b32_e32 v0, s48, v0
	v_and_b32_e32 v2, s17, v0
	v_and_b32_e32 v1, 1, v2
	v_add_co_u32_e32 v3, vcc, -1, v1
	v_addc_co_u32_e64 v33, s[2:3], 0, -1, vcc
	v_cmp_ne_u32_e32 vcc, 0, v1
	v_lshl_add_u32 v0, v2, 4, v2
	v_xor_b32_e32 v1, vcc_hi, v33
	v_add_lshl_u32 v31, v26, v0, 2
	v_mov_b32_e32 v0, 0
	v_and_b32_e32 v33, exec_hi, v1
	v_lshlrev_b32_e32 v1, 30, v2
	v_xor_b32_e32 v3, vcc_lo, v3
	v_cmp_gt_i64_e32 vcc, 0, v[0:1]
	v_not_b32_e32 v1, v1
	v_ashrrev_i32_e32 v1, 31, v1
	v_and_b32_e32 v3, exec_lo, v3
	v_xor_b32_e32 v34, vcc_hi, v1
	v_xor_b32_e32 v1, vcc_lo, v1
	v_and_b32_e32 v3, v3, v1
	v_lshlrev_b32_e32 v1, 29, v2
	v_cmp_gt_i64_e32 vcc, 0, v[0:1]
	v_not_b32_e32 v1, v1
	v_ashrrev_i32_e32 v1, 31, v1
	v_and_b32_e32 v33, v33, v34
	v_xor_b32_e32 v34, vcc_hi, v1
	v_xor_b32_e32 v1, vcc_lo, v1
	v_and_b32_e32 v3, v3, v1
	v_lshlrev_b32_e32 v1, 28, v2
	v_cmp_gt_i64_e32 vcc, 0, v[0:1]
	v_not_b32_e32 v1, v1
	v_ashrrev_i32_e32 v1, 31, v1
	v_and_b32_e32 v33, v33, v34
	;; [unrolled: 8-line block ×5, first 2 shown]
	v_xor_b32_e32 v34, vcc_hi, v1
	v_xor_b32_e32 v1, vcc_lo, v1
	v_and_b32_e32 v33, v33, v34
	v_and_b32_e32 v34, v3, v1
	v_lshlrev_b32_e32 v1, 24, v2
	v_cmp_gt_i64_e32 vcc, 0, v[0:1]
	v_not_b32_e32 v1, v1
	v_ashrrev_i32_e32 v1, 31, v1
	v_xor_b32_e32 v2, vcc_hi, v1
	v_xor_b32_e32 v1, vcc_lo, v1
	; wave barrier
	ds_read_b32 v29, v31 offset:64
	v_and_b32_e32 v3, v33, v2
	v_and_b32_e32 v2, v34, v1
	v_mbcnt_lo_u32_b32 v1, v2, 0
	v_mbcnt_hi_u32_b32 v33, v3, v1
	v_cmp_eq_u32_e32 vcc, 0, v33
	v_cmp_ne_u64_e64 s[2:3], 0, v[2:3]
	s_and_b64 s[6:7], s[2:3], vcc
	; wave barrier
	s_and_saveexec_b64 s[2:3], s[6:7]
	s_cbranch_execz .LBB1847_96
; %bb.95:
	v_bcnt_u32_b32 v1, v2, 0
	v_bcnt_u32_b32 v1, v3, v1
	s_waitcnt lgkmcnt(0)
	v_add_u32_e32 v1, v29, v1
	ds_write_b32 v31, v1 offset:64
.LBB1847_96:
	s_or_b64 exec, exec, s[2:3]
	s_waitcnt vmcnt(2)
	v_cmp_lt_i32_e32 vcc, -1, v17
	v_cndmask_b32_e32 v1, -1, v32, vcc
	v_xor_b32_e32 v17, v1, v17
	v_cmp_ne_u32_e32 vcc, s4, v17
	v_cndmask_b32_e32 v1, v32, v17, vcc
	v_lshrrev_b32_e32 v1, s48, v1
	v_and_b32_e32 v2, s17, v1
	v_lshl_add_u32 v1, v2, 4, v2
	v_add_lshl_u32 v36, v26, v1, 2
	v_and_b32_e32 v1, 1, v2
	v_add_co_u32_e32 v3, vcc, -1, v1
	v_addc_co_u32_e64 v34, s[2:3], 0, -1, vcc
	v_cmp_ne_u32_e32 vcc, 0, v1
	v_xor_b32_e32 v1, vcc_hi, v34
	v_and_b32_e32 v34, exec_hi, v1
	v_lshlrev_b32_e32 v1, 30, v2
	v_xor_b32_e32 v3, vcc_lo, v3
	v_cmp_gt_i64_e32 vcc, 0, v[0:1]
	v_not_b32_e32 v1, v1
	v_ashrrev_i32_e32 v1, 31, v1
	v_and_b32_e32 v3, exec_lo, v3
	v_xor_b32_e32 v35, vcc_hi, v1
	v_xor_b32_e32 v1, vcc_lo, v1
	v_and_b32_e32 v3, v3, v1
	v_lshlrev_b32_e32 v1, 29, v2
	v_cmp_gt_i64_e32 vcc, 0, v[0:1]
	v_not_b32_e32 v1, v1
	v_ashrrev_i32_e32 v1, 31, v1
	v_and_b32_e32 v34, v34, v35
	v_xor_b32_e32 v35, vcc_hi, v1
	v_xor_b32_e32 v1, vcc_lo, v1
	v_and_b32_e32 v3, v3, v1
	v_lshlrev_b32_e32 v1, 28, v2
	v_cmp_gt_i64_e32 vcc, 0, v[0:1]
	v_not_b32_e32 v1, v1
	v_ashrrev_i32_e32 v1, 31, v1
	v_and_b32_e32 v34, v34, v35
	;; [unrolled: 8-line block ×5, first 2 shown]
	v_xor_b32_e32 v35, vcc_hi, v1
	v_xor_b32_e32 v1, vcc_lo, v1
	v_and_b32_e32 v3, v3, v1
	v_lshlrev_b32_e32 v1, 24, v2
	v_cmp_gt_i64_e32 vcc, 0, v[0:1]
	v_not_b32_e32 v0, v1
	v_ashrrev_i32_e32 v0, 31, v0
	v_xor_b32_e32 v1, vcc_hi, v0
	v_xor_b32_e32 v0, vcc_lo, v0
	; wave barrier
	ds_read_b32 v32, v36 offset:64
	v_and_b32_e32 v34, v34, v35
	v_and_b32_e32 v0, v3, v0
	;; [unrolled: 1-line block ×3, first 2 shown]
	v_mbcnt_lo_u32_b32 v2, v0, 0
	v_mbcnt_hi_u32_b32 v34, v1, v2
	v_cmp_eq_u32_e32 vcc, 0, v34
	v_cmp_ne_u64_e64 s[2:3], 0, v[0:1]
	s_and_b64 s[4:5], s[2:3], vcc
	; wave barrier
	s_and_saveexec_b64 s[2:3], s[4:5]
	s_cbranch_execz .LBB1847_98
; %bb.97:
	v_bcnt_u32_b32 v0, v0, 0
	v_bcnt_u32_b32 v0, v1, v0
	s_waitcnt lgkmcnt(0)
	v_add_u32_e32 v0, v32, v0
	ds_write_b32 v36, v0 offset:64
.LBB1847_98:
	s_or_b64 exec, exec, s[2:3]
	v_bfrev_b32_e32 v38, 1
	s_waitcnt vmcnt(1)
	v_cmp_lt_i32_e32 vcc, -1, v21
	v_cndmask_b32_e32 v0, -1, v38, vcc
	v_xor_b32_e32 v21, v0, v21
	s_brev_b32 s4, -2
	v_cmp_ne_u32_e32 vcc, s4, v21
	v_cndmask_b32_e32 v0, v38, v21, vcc
	v_lshrrev_b32_e32 v0, s48, v0
	v_and_b32_e32 v2, s17, v0
	v_and_b32_e32 v1, 1, v2
	v_add_co_u32_e32 v3, vcc, -1, v1
	v_addc_co_u32_e64 v37, s[2:3], 0, -1, vcc
	v_cmp_ne_u32_e32 vcc, 0, v1
	v_lshl_add_u32 v0, v2, 4, v2
	v_xor_b32_e32 v1, vcc_hi, v37
	v_add_lshl_u32 v39, v26, v0, 2
	v_mov_b32_e32 v0, 0
	v_and_b32_e32 v37, exec_hi, v1
	v_lshlrev_b32_e32 v1, 30, v2
	v_xor_b32_e32 v3, vcc_lo, v3
	v_cmp_gt_i64_e32 vcc, 0, v[0:1]
	v_not_b32_e32 v1, v1
	v_ashrrev_i32_e32 v1, 31, v1
	v_and_b32_e32 v3, exec_lo, v3
	v_xor_b32_e32 v40, vcc_hi, v1
	v_xor_b32_e32 v1, vcc_lo, v1
	v_and_b32_e32 v3, v3, v1
	v_lshlrev_b32_e32 v1, 29, v2
	v_cmp_gt_i64_e32 vcc, 0, v[0:1]
	v_not_b32_e32 v1, v1
	v_ashrrev_i32_e32 v1, 31, v1
	v_and_b32_e32 v37, v37, v40
	v_xor_b32_e32 v40, vcc_hi, v1
	v_xor_b32_e32 v1, vcc_lo, v1
	v_and_b32_e32 v3, v3, v1
	v_lshlrev_b32_e32 v1, 28, v2
	v_cmp_gt_i64_e32 vcc, 0, v[0:1]
	v_not_b32_e32 v1, v1
	v_ashrrev_i32_e32 v1, 31, v1
	v_and_b32_e32 v37, v37, v40
	;; [unrolled: 8-line block ×5, first 2 shown]
	v_xor_b32_e32 v40, vcc_hi, v1
	v_xor_b32_e32 v1, vcc_lo, v1
	v_and_b32_e32 v37, v37, v40
	v_and_b32_e32 v40, v3, v1
	v_lshlrev_b32_e32 v1, 24, v2
	v_cmp_gt_i64_e32 vcc, 0, v[0:1]
	v_not_b32_e32 v1, v1
	v_ashrrev_i32_e32 v1, 31, v1
	v_xor_b32_e32 v2, vcc_hi, v1
	v_xor_b32_e32 v1, vcc_lo, v1
	; wave barrier
	ds_read_b32 v35, v39 offset:64
	v_and_b32_e32 v3, v37, v2
	v_and_b32_e32 v2, v40, v1
	v_mbcnt_lo_u32_b32 v1, v2, 0
	v_mbcnt_hi_u32_b32 v37, v3, v1
	v_cmp_eq_u32_e32 vcc, 0, v37
	v_cmp_ne_u64_e64 s[2:3], 0, v[2:3]
	s_and_b64 s[6:7], s[2:3], vcc
	; wave barrier
	s_and_saveexec_b64 s[2:3], s[6:7]
	s_cbranch_execz .LBB1847_100
; %bb.99:
	v_bcnt_u32_b32 v1, v2, 0
	v_bcnt_u32_b32 v1, v3, v1
	s_waitcnt lgkmcnt(0)
	v_add_u32_e32 v1, v35, v1
	ds_write_b32 v39, v1 offset:64
.LBB1847_100:
	s_or_b64 exec, exec, s[2:3]
	s_waitcnt vmcnt(0)
	v_cmp_lt_i32_e32 vcc, -1, v25
	v_cndmask_b32_e32 v1, -1, v38, vcc
	v_xor_b32_e32 v25, v1, v25
	v_cmp_ne_u32_e32 vcc, s4, v25
	v_cndmask_b32_e32 v1, v38, v25, vcc
	v_lshrrev_b32_e32 v1, s48, v1
	v_and_b32_e32 v2, s17, v1
	v_lshl_add_u32 v1, v2, 4, v2
	v_add_lshl_u32 v26, v1, v26, 2
	v_and_b32_e32 v1, 1, v2
	v_add_co_u32_e32 v3, vcc, -1, v1
	v_addc_co_u32_e64 v40, s[2:3], 0, -1, vcc
	v_cmp_ne_u32_e32 vcc, 0, v1
	v_xor_b32_e32 v1, vcc_hi, v40
	v_and_b32_e32 v40, exec_hi, v1
	v_lshlrev_b32_e32 v1, 30, v2
	v_xor_b32_e32 v3, vcc_lo, v3
	v_cmp_gt_i64_e32 vcc, 0, v[0:1]
	v_not_b32_e32 v1, v1
	v_ashrrev_i32_e32 v1, 31, v1
	v_and_b32_e32 v3, exec_lo, v3
	v_xor_b32_e32 v42, vcc_hi, v1
	v_xor_b32_e32 v1, vcc_lo, v1
	v_and_b32_e32 v3, v3, v1
	v_lshlrev_b32_e32 v1, 29, v2
	v_cmp_gt_i64_e32 vcc, 0, v[0:1]
	v_not_b32_e32 v1, v1
	v_ashrrev_i32_e32 v1, 31, v1
	v_and_b32_e32 v40, v40, v42
	v_xor_b32_e32 v42, vcc_hi, v1
	v_xor_b32_e32 v1, vcc_lo, v1
	v_and_b32_e32 v3, v3, v1
	v_lshlrev_b32_e32 v1, 28, v2
	v_cmp_gt_i64_e32 vcc, 0, v[0:1]
	v_not_b32_e32 v1, v1
	v_ashrrev_i32_e32 v1, 31, v1
	v_and_b32_e32 v40, v40, v42
	;; [unrolled: 8-line block ×5, first 2 shown]
	v_xor_b32_e32 v42, vcc_hi, v1
	v_xor_b32_e32 v1, vcc_lo, v1
	v_and_b32_e32 v3, v3, v1
	v_lshlrev_b32_e32 v1, 24, v2
	v_cmp_gt_i64_e32 vcc, 0, v[0:1]
	v_not_b32_e32 v0, v1
	v_ashrrev_i32_e32 v0, 31, v0
	v_xor_b32_e32 v1, vcc_hi, v0
	v_xor_b32_e32 v0, vcc_lo, v0
	; wave barrier
	ds_read_b32 v38, v26 offset:64
	v_and_b32_e32 v40, v40, v42
	v_and_b32_e32 v0, v3, v0
	;; [unrolled: 1-line block ×3, first 2 shown]
	v_mbcnt_lo_u32_b32 v2, v0, 0
	v_mbcnt_hi_u32_b32 v40, v1, v2
	v_cmp_eq_u32_e32 vcc, 0, v40
	v_cmp_ne_u64_e64 s[2:3], 0, v[0:1]
	v_add_u32_e32 v41, 64, v5
	s_and_b64 s[4:5], s[2:3], vcc
	; wave barrier
	s_and_saveexec_b64 s[2:3], s[4:5]
	s_cbranch_execz .LBB1847_102
; %bb.101:
	v_bcnt_u32_b32 v0, v0, 0
	v_bcnt_u32_b32 v0, v1, v0
	s_waitcnt lgkmcnt(0)
	v_add_u32_e32 v0, v38, v0
	ds_write_b32 v26, v0 offset:64
.LBB1847_102:
	s_or_b64 exec, exec, s[2:3]
	; wave barrier
	s_waitcnt lgkmcnt(0)
	s_barrier
	ds_read2_b32 v[2:3], v5 offset0:16 offset1:17
	ds_read2_b32 v[0:1], v41 offset0:2 offset1:3
	ds_read_b32 v42, v41 offset:16
	v_cmp_lt_u32_e64 s[8:9], 31, v4
	s_waitcnt lgkmcnt(1)
	v_add3_u32 v43, v3, v2, v0
	s_waitcnt lgkmcnt(0)
	v_add3_u32 v42, v43, v1, v42
	v_and_b32_e32 v43, 15, v4
	v_cmp_eq_u32_e32 vcc, 0, v43
	v_mov_b32_dpp v44, v42 row_shr:1 row_mask:0xf bank_mask:0xf
	v_cndmask_b32_e64 v44, v44, 0, vcc
	v_add_u32_e32 v42, v44, v42
	v_cmp_lt_u32_e64 s[2:3], 1, v43
	v_cmp_lt_u32_e64 s[4:5], 3, v43
	v_mov_b32_dpp v44, v42 row_shr:2 row_mask:0xf bank_mask:0xf
	v_cndmask_b32_e64 v44, 0, v44, s[2:3]
	v_add_u32_e32 v42, v42, v44
	v_cmp_lt_u32_e64 s[6:7], 7, v43
	s_nop 0
	v_mov_b32_dpp v44, v42 row_shr:4 row_mask:0xf bank_mask:0xf
	v_cndmask_b32_e64 v44, 0, v44, s[4:5]
	v_add_u32_e32 v42, v42, v44
	s_nop 1
	v_mov_b32_dpp v44, v42 row_shr:8 row_mask:0xf bank_mask:0xf
	v_cndmask_b32_e64 v43, 0, v44, s[6:7]
	v_add_u32_e32 v42, v42, v43
	v_bfe_i32 v44, v4, 4, 1
	s_nop 0
	v_mov_b32_dpp v43, v42 row_bcast:15 row_mask:0xf bank_mask:0xf
	v_and_b32_e32 v43, v44, v43
	v_add_u32_e32 v42, v42, v43
	v_and_b32_e32 v44, 63, v10
	s_nop 0
	v_mov_b32_dpp v43, v42 row_bcast:31 row_mask:0xf bank_mask:0xf
	v_cndmask_b32_e64 v43, 0, v43, s[8:9]
	v_add_u32_e32 v42, v42, v43
	v_lshrrev_b32_e32 v43, 6, v10
	v_cmp_eq_u32_e64 s[8:9], 63, v44
	s_and_saveexec_b64 s[14:15], s[8:9]
	s_cbranch_execz .LBB1847_104
; %bb.103:
	v_lshlrev_b32_e32 v44, 2, v43
	ds_write_b32 v44, v42
.LBB1847_104:
	s_or_b64 exec, exec, s[14:15]
	v_cmp_gt_u32_e64 s[8:9], 16, v10
	s_waitcnt lgkmcnt(0)
	s_barrier
	s_and_saveexec_b64 s[14:15], s[8:9]
	s_cbranch_execz .LBB1847_106
; %bb.105:
	v_lshlrev_b32_e32 v44, 2, v10
	ds_read_b32 v45, v44
	s_waitcnt lgkmcnt(0)
	s_nop 0
	v_mov_b32_dpp v46, v45 row_shr:1 row_mask:0xf bank_mask:0xf
	v_cndmask_b32_e64 v46, v46, 0, vcc
	v_add_u32_e32 v45, v46, v45
	s_nop 1
	v_mov_b32_dpp v46, v45 row_shr:2 row_mask:0xf bank_mask:0xf
	v_cndmask_b32_e64 v46, 0, v46, s[2:3]
	v_add_u32_e32 v45, v45, v46
	s_nop 1
	v_mov_b32_dpp v46, v45 row_shr:4 row_mask:0xf bank_mask:0xf
	v_cndmask_b32_e64 v46, 0, v46, s[4:5]
	;; [unrolled: 4-line block ×3, first 2 shown]
	v_add_u32_e32 v45, v45, v46
	ds_write_b32 v44, v45
.LBB1847_106:
	s_or_b64 exec, exec, s[14:15]
	v_cmp_lt_u32_e32 vcc, 63, v10
	v_mov_b32_e32 v44, 0
	s_waitcnt lgkmcnt(0)
	s_barrier
	s_and_saveexec_b64 s[2:3], vcc
	s_cbranch_execz .LBB1847_108
; %bb.107:
	v_lshl_add_u32 v43, v43, 2, -4
	ds_read_b32 v44, v43
.LBB1847_108:
	s_or_b64 exec, exec, s[2:3]
	v_add_u32_e32 v43, -1, v4
	v_and_b32_e32 v45, 64, v4
	v_cmp_lt_i32_e32 vcc, v43, v45
	v_cndmask_b32_e32 v43, v43, v4, vcc
	s_waitcnt lgkmcnt(0)
	v_add_u32_e32 v42, v44, v42
	v_lshlrev_b32_e32 v43, 2, v43
	ds_bpermute_b32 v42, v43, v42
	v_cmp_eq_u32_e32 vcc, 0, v4
	s_waitcnt lgkmcnt(0)
	v_cndmask_b32_e32 v4, v42, v44, vcc
	v_cndmask_b32_e64 v4, v4, 0, s[0:1]
	v_add_u32_e32 v2, v4, v2
	v_add_u32_e32 v3, v2, v3
	;; [unrolled: 1-line block ×4, first 2 shown]
	ds_write2_b32 v5, v4, v2 offset0:16 offset1:17
	ds_write2_b32 v41, v3, v0 offset0:2 offset1:3
	ds_write_b32 v41, v1 offset:16
	s_waitcnt lgkmcnt(0)
	s_barrier
	ds_read_b32 v44, v18 offset:64
	ds_read_b32 v18, v22 offset:64
	ds_read_b32 v41, v27 offset:64
	ds_read_b32 v42, v30 offset:64
	ds_read_b32 v43, v31 offset:64
	ds_read_b32 v36, v36 offset:64
	ds_read_b32 v31, v39 offset:64
	ds_read_b32 v30, v26 offset:64
	s_movk_i32 s0, 0x100
	v_cmp_gt_u32_e64 s[0:1], s0, v10
                                        ; implicit-def: $vgpr22
                                        ; implicit-def: $vgpr26
	s_and_saveexec_b64 s[2:3], s[0:1]
	s_cbranch_execz .LBB1847_112
; %bb.109:
	v_mul_u32_u24_e32 v0, 17, v10
	v_lshlrev_b32_e32 v1, 2, v0
	ds_read_b32 v22, v1 offset:64
	s_movk_i32 s4, 0xff
	v_cmp_ne_u32_e32 vcc, s4, v10
	v_mov_b32_e32 v0, 0x2000
	s_and_saveexec_b64 s[4:5], vcc
	s_cbranch_execz .LBB1847_111
; %bb.110:
	ds_read_b32 v0, v1 offset:132
.LBB1847_111:
	s_or_b64 exec, exec, s[4:5]
	s_waitcnt lgkmcnt(0)
	v_sub_u32_e32 v26, v0, v22
.LBB1847_112:
	s_or_b64 exec, exec, s[2:3]
	s_waitcnt lgkmcnt(0)
	s_barrier
	s_and_saveexec_b64 s[2:3], s[0:1]
	s_cbranch_execz .LBB1847_122
; %bb.113:
	v_lshl_or_b32 v0, s33, 8, v10
	v_mov_b32_e32 v1, 0
	v_lshlrev_b64 v[2:3], 2, v[0:1]
	v_mov_b32_e32 v27, s31
	v_add_co_u32_e32 v2, vcc, s30, v2
	v_addc_co_u32_e32 v3, vcc, v27, v3, vcc
	v_or_b32_e32 v0, 2.0, v26
	s_mov_b64 s[4:5], 0
	s_brev_b32 s14, 1
	s_mov_b32 s15, s33
	v_mov_b32_e32 v39, 0
	global_store_dword v[2:3], v0, off
                                        ; implicit-def: $sgpr6_sgpr7
	s_branch .LBB1847_116
.LBB1847_114:                           ;   in Loop: Header=BB1847_116 Depth=1
	s_or_b64 exec, exec, s[8:9]
.LBB1847_115:                           ;   in Loop: Header=BB1847_116 Depth=1
	s_or_b64 exec, exec, s[6:7]
	v_and_b32_e32 v4, 0x3fffffff, v45
	v_add_u32_e32 v39, v4, v39
	v_cmp_eq_u32_e64 s[6:7], s14, v0
	s_and_b64 s[8:9], exec, s[6:7]
	s_or_b64 s[4:5], s[8:9], s[4:5]
	s_andn2_b64 exec, exec, s[4:5]
	s_cbranch_execz .LBB1847_121
.LBB1847_116:                           ; =>This Loop Header: Depth=1
                                        ;     Child Loop BB1847_119 Depth 2
	s_or_b64 s[6:7], s[6:7], exec
	s_cmp_eq_u32 s15, 0
	s_cbranch_scc1 .LBB1847_120
; %bb.117:                              ;   in Loop: Header=BB1847_116 Depth=1
	s_add_i32 s15, s15, -1
	v_lshl_or_b32 v0, s15, 8, v10
	v_lshlrev_b64 v[4:5], 2, v[0:1]
	v_add_co_u32_e32 v4, vcc, s30, v4
	v_addc_co_u32_e32 v5, vcc, v27, v5, vcc
	global_load_dword v45, v[4:5], off glc
	s_waitcnt vmcnt(0)
	v_and_b32_e32 v0, -2.0, v45
	v_cmp_eq_u32_e32 vcc, 0, v0
	s_and_saveexec_b64 s[6:7], vcc
	s_cbranch_execz .LBB1847_115
; %bb.118:                              ;   in Loop: Header=BB1847_116 Depth=1
	s_mov_b64 s[8:9], 0
.LBB1847_119:                           ;   Parent Loop BB1847_116 Depth=1
                                        ; =>  This Inner Loop Header: Depth=2
	global_load_dword v45, v[4:5], off glc
	s_waitcnt vmcnt(0)
	v_and_b32_e32 v0, -2.0, v45
	v_cmp_ne_u32_e32 vcc, 0, v0
	s_or_b64 s[8:9], vcc, s[8:9]
	s_andn2_b64 exec, exec, s[8:9]
	s_cbranch_execnz .LBB1847_119
	s_branch .LBB1847_114
.LBB1847_120:                           ;   in Loop: Header=BB1847_116 Depth=1
                                        ; implicit-def: $sgpr15
	s_and_b64 s[8:9], exec, s[6:7]
	s_or_b64 s[4:5], s[8:9], s[4:5]
	s_andn2_b64 exec, exec, s[4:5]
	s_cbranch_execnz .LBB1847_116
.LBB1847_121:
	s_or_b64 exec, exec, s[4:5]
	v_add_u32_e32 v0, v39, v26
	v_or_b32_e32 v0, 0x80000000, v0
	global_store_dword v[2:3], v0, off
	v_lshlrev_b32_e32 v0, 2, v10
	global_load_dword v1, v0, s[44:45]
	v_sub_u32_e32 v2, v39, v22
	s_waitcnt vmcnt(0)
	v_add_u32_e32 v1, v2, v1
	ds_write_b32 v0, v1
.LBB1847_122:
	s_or_b64 exec, exec, s[2:3]
	v_lshlrev_b32_e32 v2, 2, v10
	v_add_u32_e32 v27, v44, v15
	s_movk_i32 s4, 0x400
	v_add_u32_e32 v3, 0x400, v2
	v_add3_u32 v30, v40, v30, v38
	v_add3_u32 v31, v37, v31, v35
	;; [unrolled: 1-line block ×7, first 2 shown]
	s_mov_b64 s[2:3], -1
	s_mov_b32 s5, 0
	s_brev_b32 s6, -2
	v_bfrev_b32_e32 v4, 1
	v_mov_b32_e32 v5, s39
	s_movk_i32 s7, 0x800
	s_movk_i32 s8, 0xc00
	v_mov_b32_e32 v1, 0
	v_mov_b32_e32 v15, v10
	s_mov_b32 s9, 0
                                        ; implicit-def: $vgpr39
                                        ; implicit-def: $vgpr38
                                        ; implicit-def: $vgpr37
                                        ; implicit-def: $vgpr36
                                        ; implicit-def: $vgpr35
                                        ; implicit-def: $vgpr34
                                        ; implicit-def: $vgpr33
                                        ; implicit-def: $vgpr28
.LBB1847_123:                           ; =>This Inner Loop Header: Depth=1
	v_add_u32_e32 v0, s5, v27
	v_add_u32_e32 v18, s5, v20
	v_add_u32_e32 v19, s5, v24
	v_add_u32_e32 v16, s5, v23
	v_add_u32_e32 v40, s5, v29
	v_add_u32_e32 v41, s5, v32
	v_add_u32_e32 v42, s5, v31
	v_add_u32_e32 v43, s5, v30
	v_min_u32_e32 v0, 0x1000, v0
	v_min_u32_e32 v18, 0x1000, v18
	;; [unrolled: 1-line block ×8, first 2 shown]
	v_lshlrev_b32_e32 v0, 2, v0
	v_lshlrev_b32_e32 v18, 2, v18
	;; [unrolled: 1-line block ×8, first 2 shown]
	ds_write_b32 v0, v8 offset:1024
	ds_write_b32 v16, v9 offset:1024
	;; [unrolled: 1-line block ×8, first 2 shown]
	s_waitcnt lgkmcnt(0)
	s_barrier
	ds_read2st64_b32 v[18:19], v3 offset0:16 offset1:32
	ds_read_b32 v0, v2 offset:1024
	s_cmp_eq_u32 s9, 0
	s_waitcnt lgkmcnt(1)
	v_cmp_ne_u32_e32 vcc, s6, v18
	v_cndmask_b32_e32 v16, v4, v18, vcc
	v_cmp_lt_i32_e32 vcc, -1, v18
	v_cndmask_b32_e64 v40, v4, -1, vcc
	v_cmp_ne_u32_e32 vcc, s6, v19
	v_cndmask_b32_e32 v41, v4, v19, vcc
	v_cmp_lt_i32_e32 vcc, -1, v19
	v_lshrrev_b32_e32 v16, s48, v16
	v_cndmask_b32_e64 v42, v4, -1, vcc
	v_xor_b32_e32 v40, v40, v18
	v_lshrrev_b32_e32 v18, s48, v41
	v_and_b32_e32 v16, s17, v16
	s_waitcnt lgkmcnt(0)
	v_cmp_ne_u32_e32 vcc, s6, v0
	v_xor_b32_e32 v41, v42, v19
	v_and_b32_e32 v42, s17, v18
	v_lshlrev_b32_e32 v18, 2, v16
	v_cndmask_b32_e32 v44, v4, v0, vcc
	ds_read_b32 v43, v18
	ds_read_b32 v18, v3 offset:12288
	v_cmp_lt_i32_e32 vcc, -1, v0
	v_lshrrev_b32_e32 v44, s48, v44
	v_cndmask_b32_e64 v45, v4, -1, vcc
	v_and_b32_e32 v44, s17, v44
	s_cselect_b64 vcc, -1, 0
	s_cmp_eq_u32 s9, 1
	v_cndmask_b32_e32 v39, v39, v44, vcc
	s_cselect_b64 vcc, -1, 0
	s_cmp_eq_u32 s9, 2
	v_cndmask_b32_e32 v38, v38, v44, vcc
	s_cselect_b64 vcc, -1, 0
	s_cmp_eq_u32 s9, 3
	v_xor_b32_e32 v45, v45, v0
	v_lshlrev_b32_e32 v0, 2, v44
	v_cndmask_b32_e32 v37, v37, v44, vcc
	s_cselect_b64 vcc, -1, 0
	v_lshlrev_b32_e32 v19, 2, v42
	ds_read_b32 v0, v0
	ds_read_b32 v46, v19
	v_cndmask_b32_e32 v36, v36, v44, vcc
	s_waitcnt lgkmcnt(2)
	v_cmp_ne_u32_e32 vcc, s6, v18
	s_cmp_eq_u32 s9, 4
	v_cndmask_b32_e32 v19, v4, v18, vcc
	v_cmp_lt_i32_e32 vcc, -1, v18
	v_cndmask_b32_e64 v47, v4, -1, vcc
	s_cselect_b64 vcc, -1, 0
	s_cmp_eq_u32 s9, 5
	v_lshrrev_b32_e32 v19, s48, v19
	v_cndmask_b32_e32 v48, v35, v44, vcc
	s_cselect_b64 vcc, -1, 0
	s_cmp_eq_u32 s9, 6
	v_and_b32_e32 v50, s17, v19
	v_xor_b32_e32 v47, v47, v18
	v_cndmask_b32_e32 v49, v34, v44, vcc
	s_cselect_b64 vcc, -1, 0
	s_cmp_eq_u32 s9, 7
	v_lshlrev_b32_e32 v18, 2, v50
	s_waitcnt lgkmcnt(1)
	v_add_u32_e32 v0, v15, v0
	v_cndmask_b32_e32 v33, v33, v44, vcc
	ds_read_b32 v51, v18
	s_cselect_b64 vcc, -1, 0
	v_lshlrev_b64 v[18:19], 2, v[0:1]
	v_cndmask_b32_e32 v28, v28, v44, vcc
	s_or_b32 s14, s9, 1
	v_add_co_u32_e32 v18, vcc, s38, v18
	v_add3_u32 v0, v15, v43, s4
	s_cmp_eq_u32 s14, 7
	v_addc_co_u32_e32 v19, vcc, v5, v19, vcc
	v_lshlrev_b64 v[34:35], 2, v[0:1]
	s_cselect_b64 vcc, -1, 0
	v_cndmask_b32_e32 v28, v28, v16, vcc
	global_store_dword v[18:19], v45, off
	v_add_co_u32_e32 v18, vcc, s38, v34
	s_cmp_eq_u32 s14, 6
	v_addc_co_u32_e32 v19, vcc, v5, v35, vcc
	s_waitcnt lgkmcnt(1)
	v_add3_u32 v0, v15, v46, s7
	s_cselect_b64 vcc, -1, 0
	s_cmp_eq_u32 s14, 5
	v_cndmask_b32_e32 v33, v33, v16, vcc
	v_lshlrev_b64 v[34:35], 2, v[0:1]
	s_cselect_b64 vcc, -1, 0
	global_store_dword v[18:19], v40, off
	v_cndmask_b32_e32 v40, v49, v16, vcc
	v_add_co_u32_e32 v18, vcc, s38, v34
	s_cmp_eq_u32 s14, 4
	v_addc_co_u32_e32 v19, vcc, v5, v35, vcc
	s_cselect_b64 vcc, -1, 0
	s_cmp_eq_u32 s14, 3
	v_cndmask_b32_e32 v34, v48, v16, vcc
	s_waitcnt lgkmcnt(0)
	v_add3_u32 v0, v15, v51, s8
	s_cselect_b64 vcc, -1, 0
	s_cmp_eq_u32 s14, 2
	global_store_dword v[18:19], v41, off
	v_cndmask_b32_e32 v35, v36, v16, vcc
	v_lshlrev_b64 v[18:19], 2, v[0:1]
	s_cselect_b64 vcc, -1, 0
	v_cndmask_b32_e32 v0, v37, v16, vcc
	v_add_co_u32_e32 v18, vcc, s38, v18
	s_cmp_eq_u32 s14, 1
	v_addc_co_u32_e32 v19, vcc, v5, v19, vcc
	s_cselect_b64 vcc, -1, 0
	s_cmp_eq_u32 s14, 0
	v_cndmask_b32_e32 v36, v38, v16, vcc
	s_cselect_b64 vcc, -1, 0
	s_or_b32 s14, s9, 2
	s_cmp_eq_u32 s14, 0
	v_cndmask_b32_e32 v16, v39, v16, vcc
	s_cselect_b64 vcc, -1, 0
	s_cmp_eq_u32 s14, 1
	v_cndmask_b32_e32 v16, v16, v42, vcc
	s_cselect_b64 vcc, -1, 0
	s_cmp_eq_u32 s14, 2
	global_store_dword v[18:19], v47, off
	v_cndmask_b32_e32 v18, v36, v42, vcc
	s_cselect_b64 vcc, -1, 0
	s_cmp_eq_u32 s14, 3
	v_cndmask_b32_e32 v0, v0, v42, vcc
	s_cselect_b64 vcc, -1, 0
	s_cmp_eq_u32 s14, 4
	;; [unrolled: 3-line block ×5, first 2 shown]
	v_cndmask_b32_e32 v33, v33, v42, vcc
	s_cselect_b64 vcc, -1, 0
	s_or_b32 s14, s9, 3
	s_cmp_eq_u32 s14, 7
	v_cndmask_b32_e32 v28, v28, v42, vcc
	s_cselect_b64 vcc, -1, 0
	s_cmp_eq_u32 s14, 6
	v_cndmask_b32_e32 v28, v28, v50, vcc
	s_cselect_b64 vcc, -1, 0
	;; [unrolled: 3-line block ×8, first 2 shown]
	v_add_u32_e32 v15, 0x1000, v15
	s_mov_b32 s9, 4
	v_cndmask_b32_e32 v39, v16, v50, vcc
	s_addk_i32 s5, 0xf000
	s_and_b64 vcc, exec, s[2:3]
	s_mov_b64 s[2:3], 0
	s_barrier
	s_cbranch_vccnz .LBB1847_123
; %bb.124:
	s_lshl_b64 s[2:3], s[12:13], 3
	s_add_u32 s2, s40, s2
	s_addc_u32 s3, s41, s3
	v_lshlrev_b32_e32 v0, 3, v7
	v_mov_b32_e32 v1, s3
	v_add_co_u32_e32 v0, vcc, s2, v0
	v_addc_co_u32_e32 v1, vcc, 0, v1, vcc
	v_lshlrev_b32_e32 v2, 3, v6
	v_add_co_u32_e32 v18, vcc, v0, v2
	v_addc_co_u32_e32 v19, vcc, 0, v1, vcc
	global_load_dwordx2 v[0:1], v[18:19], off
	global_load_dwordx2 v[2:3], v[18:19], off offset:512
	global_load_dwordx2 v[4:5], v[18:19], off offset:1024
	;; [unrolled: 1-line block ×7, first 2 shown]
	s_mov_b32 s2, 0
	s_movk_i32 s3, 0x400
	v_add_u32_e32 v21, 0x400, v11
	s_mov_b32 s4, 1
	v_mov_b32_e32 v19, 0
	v_mov_b32_e32 v25, v10
	s_waitcnt vmcnt(0)
.LBB1847_125:                           ; =>This Inner Loop Header: Depth=1
	s_add_i32 s5, s4, -1
	v_add_u32_e32 v18, s2, v27
	s_cmp_eq_u32 s5, 1
	v_add_u32_e32 v40, s2, v23
	v_add_u32_e32 v41, s2, v20
	;; [unrolled: 1-line block ×7, first 2 shown]
	v_min_u32_e32 v18, 0x800, v18
	s_cselect_b64 vcc, -1, 0
	s_cmp_eq_u32 s5, 2
	v_min_u32_e32 v40, 0x800, v40
	v_min_u32_e32 v41, 0x800, v41
	;; [unrolled: 1-line block ×7, first 2 shown]
	v_lshlrev_b32_e32 v18, 3, v18
	v_cndmask_b32_e32 v48, v39, v38, vcc
	s_cselect_b64 vcc, -1, 0
	s_cmp_eq_u32 s5, 3
	v_lshlrev_b32_e32 v40, 3, v40
	v_lshlrev_b32_e32 v41, 3, v41
	;; [unrolled: 1-line block ×7, first 2 shown]
	ds_write_b64 v18, v[0:1] offset:1024
	ds_write_b64 v40, v[2:3] offset:1024
	;; [unrolled: 1-line block ×8, first 2 shown]
	v_cndmask_b32_e32 v18, v48, v37, vcc
	s_cselect_b64 vcc, -1, 0
	s_cmp_eq_u32 s5, 4
	v_cndmask_b32_e32 v18, v18, v36, vcc
	s_cselect_b64 vcc, -1, 0
	s_cmp_eq_u32 s5, 5
	;; [unrolled: 3-line block ×9, first 2 shown]
	v_lshlrev_b32_e32 v18, 2, v18
	v_cndmask_b32_e32 v42, v42, v35, vcc
	s_cselect_b64 vcc, -1, 0
	s_cmp_eq_u32 s4, 6
	s_waitcnt lgkmcnt(0)
	s_barrier
	ds_read_b64 v[40:41], v11 offset:1024
	ds_read_b32 v18, v18
	v_cndmask_b32_e32 v42, v42, v34, vcc
	s_cselect_b64 vcc, -1, 0
	s_cmp_eq_u32 s4, 7
	v_cndmask_b32_e32 v42, v42, v33, vcc
	s_cselect_b64 vcc, -1, 0
	v_cndmask_b32_e32 v42, v42, v28, vcc
	v_lshlrev_b32_e32 v42, 2, v42
	ds_read_b32 v46, v42
	ds_read_b64 v[42:43], v21 offset:8192
	s_waitcnt lgkmcnt(2)
	v_add_u32_e32 v18, v25, v18
	v_lshlrev_b64 v[44:45], 3, v[18:19]
	v_mov_b32_e32 v47, s43
	v_add_co_u32_e32 v44, vcc, s42, v44
	v_addc_co_u32_e32 v45, vcc, v47, v45, vcc
	s_waitcnt lgkmcnt(1)
	v_add3_u32 v18, v25, v46, s3
	global_store_dwordx2 v[44:45], v[40:41], off
	v_lshlrev_b64 v[40:41], 3, v[18:19]
	s_addk_i32 s2, 0xf800
	s_add_i32 s4, s4, 2
	v_add_co_u32_e32 v40, vcc, s42, v40
	s_cmpk_lg_i32 s2, 0xe000
	v_add_u32_e32 v25, 0x800, v25
	v_addc_co_u32_e32 v41, vcc, v47, v41, vcc
	s_waitcnt lgkmcnt(0)
	global_store_dwordx2 v[40:41], v[42:43], off
	s_barrier
	s_cbranch_scc1 .LBB1847_125
; %bb.126:
	s_add_i32 s16, s16, -1
	s_cmp_eq_u32 s16, s33
	s_cselect_b64 s[2:3], -1, 0
	s_and_b64 s[2:3], s[0:1], s[2:3]
                                        ; implicit-def: $vgpr2
	s_and_saveexec_b64 s[0:1], s[2:3]
; %bb.127:
	v_add_u32_e32 v2, v22, v26
	s_or_b64 s[10:11], s[10:11], exec
; %bb.128:
	s_or_b64 exec, exec, s[0:1]
.LBB1847_129:
	s_and_saveexec_b64 s[0:1], s[10:11]
	s_cbranch_execnz .LBB1847_131
; %bb.130:
	s_endpgm
.LBB1847_131:
	v_lshlrev_b32_e32 v0, 2, v10
	ds_read_b32 v1, v0
	s_waitcnt lgkmcnt(0)
	v_add_u32_e32 v1, v1, v2
	global_store_dword v0, v1, s[46:47]
	s_endpgm
.LBB1847_132:
	global_load_dwordx2 v[12:13], v[28:29], off
	s_or_b64 exec, exec, s[22:23]
                                        ; implicit-def: $vgpr14_vgpr15
	s_and_saveexec_b64 s[2:3], s[26:27]
	s_cbranch_execz .LBB1847_70
.LBB1847_133:
	global_load_dwordx2 v[14:15], v[28:29], off offset:512
	s_or_b64 exec, exec, s[2:3]
                                        ; implicit-def: $vgpr16_vgpr17
	s_and_saveexec_b64 s[2:3], s[8:9]
	s_cbranch_execz .LBB1847_71
.LBB1847_134:
	global_load_dwordx2 v[16:17], v[28:29], off offset:1024
	s_or_b64 exec, exec, s[2:3]
                                        ; implicit-def: $vgpr18_vgpr19
	s_and_saveexec_b64 s[2:3], s[10:11]
	s_cbranch_execz .LBB1847_72
.LBB1847_135:
	global_load_dwordx2 v[18:19], v[28:29], off offset:1536
	s_or_b64 exec, exec, s[2:3]
                                        ; implicit-def: $vgpr20_vgpr21
	s_and_saveexec_b64 s[2:3], s[12:13]
	s_cbranch_execz .LBB1847_73
.LBB1847_136:
	global_load_dwordx2 v[20:21], v[28:29], off offset:2048
	s_or_b64 exec, exec, s[2:3]
                                        ; implicit-def: $vgpr22_vgpr23
	s_and_saveexec_b64 s[2:3], s[14:15]
	s_cbranch_execz .LBB1847_74
.LBB1847_137:
	global_load_dwordx2 v[22:23], v[28:29], off offset:2560
	s_or_b64 exec, exec, s[2:3]
                                        ; implicit-def: $vgpr24_vgpr25
	s_and_saveexec_b64 s[2:3], s[16:17]
	s_cbranch_execz .LBB1847_75
.LBB1847_138:
	global_load_dwordx2 v[24:25], v[28:29], off offset:3072
	s_or_b64 exec, exec, s[2:3]
                                        ; implicit-def: $vgpr26_vgpr27
	s_and_saveexec_b64 s[2:3], s[18:19]
	s_cbranch_execnz .LBB1847_76
	s_branch .LBB1847_77
	.section	.rodata,"a",@progbits
	.p2align	6, 0x0
	.amdhsa_kernel _ZN7rocprim17ROCPRIM_400000_NS6detail17trampoline_kernelINS0_14default_configENS1_35radix_sort_onesweep_config_selectorIflEEZZNS1_29radix_sort_onesweep_iterationIS3_Lb0EPfS7_N6thrust23THRUST_200600_302600_NS10device_ptrIlEESB_jNS0_19identity_decomposerENS1_16block_id_wrapperIjLb1EEEEE10hipError_tT1_PNSt15iterator_traitsISG_E10value_typeET2_T3_PNSH_ISM_E10value_typeET4_T5_PSR_SS_PNS1_23onesweep_lookback_stateEbbT6_jjT7_P12ihipStream_tbENKUlT_T0_SG_SL_E_clIS7_S7_SB_PlEEDaSZ_S10_SG_SL_EUlSZ_E_NS1_11comp_targetILNS1_3genE4ELNS1_11target_archE910ELNS1_3gpuE8ELNS1_3repE0EEENS1_47radix_sort_onesweep_sort_config_static_selectorELNS0_4arch9wavefront6targetE1EEEvSG_
		.amdhsa_group_segment_fixed_size 20552
		.amdhsa_private_segment_fixed_size 0
		.amdhsa_kernarg_size 344
		.amdhsa_user_sgpr_count 6
		.amdhsa_user_sgpr_private_segment_buffer 1
		.amdhsa_user_sgpr_dispatch_ptr 0
		.amdhsa_user_sgpr_queue_ptr 0
		.amdhsa_user_sgpr_kernarg_segment_ptr 1
		.amdhsa_user_sgpr_dispatch_id 0
		.amdhsa_user_sgpr_flat_scratch_init 0
		.amdhsa_user_sgpr_kernarg_preload_length 0
		.amdhsa_user_sgpr_kernarg_preload_offset 0
		.amdhsa_user_sgpr_private_segment_size 0
		.amdhsa_uses_dynamic_stack 0
		.amdhsa_system_sgpr_private_segment_wavefront_offset 0
		.amdhsa_system_sgpr_workgroup_id_x 1
		.amdhsa_system_sgpr_workgroup_id_y 0
		.amdhsa_system_sgpr_workgroup_id_z 0
		.amdhsa_system_sgpr_workgroup_info 0
		.amdhsa_system_vgpr_workitem_id 2
		.amdhsa_next_free_vgpr 65
		.amdhsa_next_free_sgpr 56
		.amdhsa_accum_offset 68
		.amdhsa_reserve_vcc 1
		.amdhsa_reserve_flat_scratch 0
		.amdhsa_float_round_mode_32 0
		.amdhsa_float_round_mode_16_64 0
		.amdhsa_float_denorm_mode_32 3
		.amdhsa_float_denorm_mode_16_64 3
		.amdhsa_dx10_clamp 1
		.amdhsa_ieee_mode 1
		.amdhsa_fp16_overflow 0
		.amdhsa_tg_split 0
		.amdhsa_exception_fp_ieee_invalid_op 0
		.amdhsa_exception_fp_denorm_src 0
		.amdhsa_exception_fp_ieee_div_zero 0
		.amdhsa_exception_fp_ieee_overflow 0
		.amdhsa_exception_fp_ieee_underflow 0
		.amdhsa_exception_fp_ieee_inexact 0
		.amdhsa_exception_int_div_zero 0
	.end_amdhsa_kernel
	.section	.text._ZN7rocprim17ROCPRIM_400000_NS6detail17trampoline_kernelINS0_14default_configENS1_35radix_sort_onesweep_config_selectorIflEEZZNS1_29radix_sort_onesweep_iterationIS3_Lb0EPfS7_N6thrust23THRUST_200600_302600_NS10device_ptrIlEESB_jNS0_19identity_decomposerENS1_16block_id_wrapperIjLb1EEEEE10hipError_tT1_PNSt15iterator_traitsISG_E10value_typeET2_T3_PNSH_ISM_E10value_typeET4_T5_PSR_SS_PNS1_23onesweep_lookback_stateEbbT6_jjT7_P12ihipStream_tbENKUlT_T0_SG_SL_E_clIS7_S7_SB_PlEEDaSZ_S10_SG_SL_EUlSZ_E_NS1_11comp_targetILNS1_3genE4ELNS1_11target_archE910ELNS1_3gpuE8ELNS1_3repE0EEENS1_47radix_sort_onesweep_sort_config_static_selectorELNS0_4arch9wavefront6targetE1EEEvSG_,"axG",@progbits,_ZN7rocprim17ROCPRIM_400000_NS6detail17trampoline_kernelINS0_14default_configENS1_35radix_sort_onesweep_config_selectorIflEEZZNS1_29radix_sort_onesweep_iterationIS3_Lb0EPfS7_N6thrust23THRUST_200600_302600_NS10device_ptrIlEESB_jNS0_19identity_decomposerENS1_16block_id_wrapperIjLb1EEEEE10hipError_tT1_PNSt15iterator_traitsISG_E10value_typeET2_T3_PNSH_ISM_E10value_typeET4_T5_PSR_SS_PNS1_23onesweep_lookback_stateEbbT6_jjT7_P12ihipStream_tbENKUlT_T0_SG_SL_E_clIS7_S7_SB_PlEEDaSZ_S10_SG_SL_EUlSZ_E_NS1_11comp_targetILNS1_3genE4ELNS1_11target_archE910ELNS1_3gpuE8ELNS1_3repE0EEENS1_47radix_sort_onesweep_sort_config_static_selectorELNS0_4arch9wavefront6targetE1EEEvSG_,comdat
.Lfunc_end1847:
	.size	_ZN7rocprim17ROCPRIM_400000_NS6detail17trampoline_kernelINS0_14default_configENS1_35radix_sort_onesweep_config_selectorIflEEZZNS1_29radix_sort_onesweep_iterationIS3_Lb0EPfS7_N6thrust23THRUST_200600_302600_NS10device_ptrIlEESB_jNS0_19identity_decomposerENS1_16block_id_wrapperIjLb1EEEEE10hipError_tT1_PNSt15iterator_traitsISG_E10value_typeET2_T3_PNSH_ISM_E10value_typeET4_T5_PSR_SS_PNS1_23onesweep_lookback_stateEbbT6_jjT7_P12ihipStream_tbENKUlT_T0_SG_SL_E_clIS7_S7_SB_PlEEDaSZ_S10_SG_SL_EUlSZ_E_NS1_11comp_targetILNS1_3genE4ELNS1_11target_archE910ELNS1_3gpuE8ELNS1_3repE0EEENS1_47radix_sort_onesweep_sort_config_static_selectorELNS0_4arch9wavefront6targetE1EEEvSG_, .Lfunc_end1847-_ZN7rocprim17ROCPRIM_400000_NS6detail17trampoline_kernelINS0_14default_configENS1_35radix_sort_onesweep_config_selectorIflEEZZNS1_29radix_sort_onesweep_iterationIS3_Lb0EPfS7_N6thrust23THRUST_200600_302600_NS10device_ptrIlEESB_jNS0_19identity_decomposerENS1_16block_id_wrapperIjLb1EEEEE10hipError_tT1_PNSt15iterator_traitsISG_E10value_typeET2_T3_PNSH_ISM_E10value_typeET4_T5_PSR_SS_PNS1_23onesweep_lookback_stateEbbT6_jjT7_P12ihipStream_tbENKUlT_T0_SG_SL_E_clIS7_S7_SB_PlEEDaSZ_S10_SG_SL_EUlSZ_E_NS1_11comp_targetILNS1_3genE4ELNS1_11target_archE910ELNS1_3gpuE8ELNS1_3repE0EEENS1_47radix_sort_onesweep_sort_config_static_selectorELNS0_4arch9wavefront6targetE1EEEvSG_
                                        ; -- End function
	.section	.AMDGPU.csdata,"",@progbits
; Kernel info:
; codeLenInByte = 13568
; NumSgprs: 60
; NumVgprs: 65
; NumAgprs: 0
; TotalNumVgprs: 65
; ScratchSize: 0
; MemoryBound: 0
; FloatMode: 240
; IeeeMode: 1
; LDSByteSize: 20552 bytes/workgroup (compile time only)
; SGPRBlocks: 7
; VGPRBlocks: 8
; NumSGPRsForWavesPerEU: 60
; NumVGPRsForWavesPerEU: 65
; AccumOffset: 68
; Occupancy: 7
; WaveLimiterHint : 1
; COMPUTE_PGM_RSRC2:SCRATCH_EN: 0
; COMPUTE_PGM_RSRC2:USER_SGPR: 6
; COMPUTE_PGM_RSRC2:TRAP_HANDLER: 0
; COMPUTE_PGM_RSRC2:TGID_X_EN: 1
; COMPUTE_PGM_RSRC2:TGID_Y_EN: 0
; COMPUTE_PGM_RSRC2:TGID_Z_EN: 0
; COMPUTE_PGM_RSRC2:TIDIG_COMP_CNT: 2
; COMPUTE_PGM_RSRC3_GFX90A:ACCUM_OFFSET: 16
; COMPUTE_PGM_RSRC3_GFX90A:TG_SPLIT: 0
	.section	.text._ZN7rocprim17ROCPRIM_400000_NS6detail17trampoline_kernelINS0_14default_configENS1_35radix_sort_onesweep_config_selectorIflEEZZNS1_29radix_sort_onesweep_iterationIS3_Lb0EPfS7_N6thrust23THRUST_200600_302600_NS10device_ptrIlEESB_jNS0_19identity_decomposerENS1_16block_id_wrapperIjLb1EEEEE10hipError_tT1_PNSt15iterator_traitsISG_E10value_typeET2_T3_PNSH_ISM_E10value_typeET4_T5_PSR_SS_PNS1_23onesweep_lookback_stateEbbT6_jjT7_P12ihipStream_tbENKUlT_T0_SG_SL_E_clIS7_S7_SB_PlEEDaSZ_S10_SG_SL_EUlSZ_E_NS1_11comp_targetILNS1_3genE3ELNS1_11target_archE908ELNS1_3gpuE7ELNS1_3repE0EEENS1_47radix_sort_onesweep_sort_config_static_selectorELNS0_4arch9wavefront6targetE1EEEvSG_,"axG",@progbits,_ZN7rocprim17ROCPRIM_400000_NS6detail17trampoline_kernelINS0_14default_configENS1_35radix_sort_onesweep_config_selectorIflEEZZNS1_29radix_sort_onesweep_iterationIS3_Lb0EPfS7_N6thrust23THRUST_200600_302600_NS10device_ptrIlEESB_jNS0_19identity_decomposerENS1_16block_id_wrapperIjLb1EEEEE10hipError_tT1_PNSt15iterator_traitsISG_E10value_typeET2_T3_PNSH_ISM_E10value_typeET4_T5_PSR_SS_PNS1_23onesweep_lookback_stateEbbT6_jjT7_P12ihipStream_tbENKUlT_T0_SG_SL_E_clIS7_S7_SB_PlEEDaSZ_S10_SG_SL_EUlSZ_E_NS1_11comp_targetILNS1_3genE3ELNS1_11target_archE908ELNS1_3gpuE7ELNS1_3repE0EEENS1_47radix_sort_onesweep_sort_config_static_selectorELNS0_4arch9wavefront6targetE1EEEvSG_,comdat
	.protected	_ZN7rocprim17ROCPRIM_400000_NS6detail17trampoline_kernelINS0_14default_configENS1_35radix_sort_onesweep_config_selectorIflEEZZNS1_29radix_sort_onesweep_iterationIS3_Lb0EPfS7_N6thrust23THRUST_200600_302600_NS10device_ptrIlEESB_jNS0_19identity_decomposerENS1_16block_id_wrapperIjLb1EEEEE10hipError_tT1_PNSt15iterator_traitsISG_E10value_typeET2_T3_PNSH_ISM_E10value_typeET4_T5_PSR_SS_PNS1_23onesweep_lookback_stateEbbT6_jjT7_P12ihipStream_tbENKUlT_T0_SG_SL_E_clIS7_S7_SB_PlEEDaSZ_S10_SG_SL_EUlSZ_E_NS1_11comp_targetILNS1_3genE3ELNS1_11target_archE908ELNS1_3gpuE7ELNS1_3repE0EEENS1_47radix_sort_onesweep_sort_config_static_selectorELNS0_4arch9wavefront6targetE1EEEvSG_ ; -- Begin function _ZN7rocprim17ROCPRIM_400000_NS6detail17trampoline_kernelINS0_14default_configENS1_35radix_sort_onesweep_config_selectorIflEEZZNS1_29radix_sort_onesweep_iterationIS3_Lb0EPfS7_N6thrust23THRUST_200600_302600_NS10device_ptrIlEESB_jNS0_19identity_decomposerENS1_16block_id_wrapperIjLb1EEEEE10hipError_tT1_PNSt15iterator_traitsISG_E10value_typeET2_T3_PNSH_ISM_E10value_typeET4_T5_PSR_SS_PNS1_23onesweep_lookback_stateEbbT6_jjT7_P12ihipStream_tbENKUlT_T0_SG_SL_E_clIS7_S7_SB_PlEEDaSZ_S10_SG_SL_EUlSZ_E_NS1_11comp_targetILNS1_3genE3ELNS1_11target_archE908ELNS1_3gpuE7ELNS1_3repE0EEENS1_47radix_sort_onesweep_sort_config_static_selectorELNS0_4arch9wavefront6targetE1EEEvSG_
	.globl	_ZN7rocprim17ROCPRIM_400000_NS6detail17trampoline_kernelINS0_14default_configENS1_35radix_sort_onesweep_config_selectorIflEEZZNS1_29radix_sort_onesweep_iterationIS3_Lb0EPfS7_N6thrust23THRUST_200600_302600_NS10device_ptrIlEESB_jNS0_19identity_decomposerENS1_16block_id_wrapperIjLb1EEEEE10hipError_tT1_PNSt15iterator_traitsISG_E10value_typeET2_T3_PNSH_ISM_E10value_typeET4_T5_PSR_SS_PNS1_23onesweep_lookback_stateEbbT6_jjT7_P12ihipStream_tbENKUlT_T0_SG_SL_E_clIS7_S7_SB_PlEEDaSZ_S10_SG_SL_EUlSZ_E_NS1_11comp_targetILNS1_3genE3ELNS1_11target_archE908ELNS1_3gpuE7ELNS1_3repE0EEENS1_47radix_sort_onesweep_sort_config_static_selectorELNS0_4arch9wavefront6targetE1EEEvSG_
	.p2align	8
	.type	_ZN7rocprim17ROCPRIM_400000_NS6detail17trampoline_kernelINS0_14default_configENS1_35radix_sort_onesweep_config_selectorIflEEZZNS1_29radix_sort_onesweep_iterationIS3_Lb0EPfS7_N6thrust23THRUST_200600_302600_NS10device_ptrIlEESB_jNS0_19identity_decomposerENS1_16block_id_wrapperIjLb1EEEEE10hipError_tT1_PNSt15iterator_traitsISG_E10value_typeET2_T3_PNSH_ISM_E10value_typeET4_T5_PSR_SS_PNS1_23onesweep_lookback_stateEbbT6_jjT7_P12ihipStream_tbENKUlT_T0_SG_SL_E_clIS7_S7_SB_PlEEDaSZ_S10_SG_SL_EUlSZ_E_NS1_11comp_targetILNS1_3genE3ELNS1_11target_archE908ELNS1_3gpuE7ELNS1_3repE0EEENS1_47radix_sort_onesweep_sort_config_static_selectorELNS0_4arch9wavefront6targetE1EEEvSG_,@function
_ZN7rocprim17ROCPRIM_400000_NS6detail17trampoline_kernelINS0_14default_configENS1_35radix_sort_onesweep_config_selectorIflEEZZNS1_29radix_sort_onesweep_iterationIS3_Lb0EPfS7_N6thrust23THRUST_200600_302600_NS10device_ptrIlEESB_jNS0_19identity_decomposerENS1_16block_id_wrapperIjLb1EEEEE10hipError_tT1_PNSt15iterator_traitsISG_E10value_typeET2_T3_PNSH_ISM_E10value_typeET4_T5_PSR_SS_PNS1_23onesweep_lookback_stateEbbT6_jjT7_P12ihipStream_tbENKUlT_T0_SG_SL_E_clIS7_S7_SB_PlEEDaSZ_S10_SG_SL_EUlSZ_E_NS1_11comp_targetILNS1_3genE3ELNS1_11target_archE908ELNS1_3gpuE7ELNS1_3repE0EEENS1_47radix_sort_onesweep_sort_config_static_selectorELNS0_4arch9wavefront6targetE1EEEvSG_: ; @_ZN7rocprim17ROCPRIM_400000_NS6detail17trampoline_kernelINS0_14default_configENS1_35radix_sort_onesweep_config_selectorIflEEZZNS1_29radix_sort_onesweep_iterationIS3_Lb0EPfS7_N6thrust23THRUST_200600_302600_NS10device_ptrIlEESB_jNS0_19identity_decomposerENS1_16block_id_wrapperIjLb1EEEEE10hipError_tT1_PNSt15iterator_traitsISG_E10value_typeET2_T3_PNSH_ISM_E10value_typeET4_T5_PSR_SS_PNS1_23onesweep_lookback_stateEbbT6_jjT7_P12ihipStream_tbENKUlT_T0_SG_SL_E_clIS7_S7_SB_PlEEDaSZ_S10_SG_SL_EUlSZ_E_NS1_11comp_targetILNS1_3genE3ELNS1_11target_archE908ELNS1_3gpuE7ELNS1_3repE0EEENS1_47radix_sort_onesweep_sort_config_static_selectorELNS0_4arch9wavefront6targetE1EEEvSG_
; %bb.0:
	.section	.rodata,"a",@progbits
	.p2align	6, 0x0
	.amdhsa_kernel _ZN7rocprim17ROCPRIM_400000_NS6detail17trampoline_kernelINS0_14default_configENS1_35radix_sort_onesweep_config_selectorIflEEZZNS1_29radix_sort_onesweep_iterationIS3_Lb0EPfS7_N6thrust23THRUST_200600_302600_NS10device_ptrIlEESB_jNS0_19identity_decomposerENS1_16block_id_wrapperIjLb1EEEEE10hipError_tT1_PNSt15iterator_traitsISG_E10value_typeET2_T3_PNSH_ISM_E10value_typeET4_T5_PSR_SS_PNS1_23onesweep_lookback_stateEbbT6_jjT7_P12ihipStream_tbENKUlT_T0_SG_SL_E_clIS7_S7_SB_PlEEDaSZ_S10_SG_SL_EUlSZ_E_NS1_11comp_targetILNS1_3genE3ELNS1_11target_archE908ELNS1_3gpuE7ELNS1_3repE0EEENS1_47radix_sort_onesweep_sort_config_static_selectorELNS0_4arch9wavefront6targetE1EEEvSG_
		.amdhsa_group_segment_fixed_size 0
		.amdhsa_private_segment_fixed_size 0
		.amdhsa_kernarg_size 88
		.amdhsa_user_sgpr_count 6
		.amdhsa_user_sgpr_private_segment_buffer 1
		.amdhsa_user_sgpr_dispatch_ptr 0
		.amdhsa_user_sgpr_queue_ptr 0
		.amdhsa_user_sgpr_kernarg_segment_ptr 1
		.amdhsa_user_sgpr_dispatch_id 0
		.amdhsa_user_sgpr_flat_scratch_init 0
		.amdhsa_user_sgpr_kernarg_preload_length 0
		.amdhsa_user_sgpr_kernarg_preload_offset 0
		.amdhsa_user_sgpr_private_segment_size 0
		.amdhsa_uses_dynamic_stack 0
		.amdhsa_system_sgpr_private_segment_wavefront_offset 0
		.amdhsa_system_sgpr_workgroup_id_x 1
		.amdhsa_system_sgpr_workgroup_id_y 0
		.amdhsa_system_sgpr_workgroup_id_z 0
		.amdhsa_system_sgpr_workgroup_info 0
		.amdhsa_system_vgpr_workitem_id 0
		.amdhsa_next_free_vgpr 1
		.amdhsa_next_free_sgpr 0
		.amdhsa_accum_offset 4
		.amdhsa_reserve_vcc 0
		.amdhsa_reserve_flat_scratch 0
		.amdhsa_float_round_mode_32 0
		.amdhsa_float_round_mode_16_64 0
		.amdhsa_float_denorm_mode_32 3
		.amdhsa_float_denorm_mode_16_64 3
		.amdhsa_dx10_clamp 1
		.amdhsa_ieee_mode 1
		.amdhsa_fp16_overflow 0
		.amdhsa_tg_split 0
		.amdhsa_exception_fp_ieee_invalid_op 0
		.amdhsa_exception_fp_denorm_src 0
		.amdhsa_exception_fp_ieee_div_zero 0
		.amdhsa_exception_fp_ieee_overflow 0
		.amdhsa_exception_fp_ieee_underflow 0
		.amdhsa_exception_fp_ieee_inexact 0
		.amdhsa_exception_int_div_zero 0
	.end_amdhsa_kernel
	.section	.text._ZN7rocprim17ROCPRIM_400000_NS6detail17trampoline_kernelINS0_14default_configENS1_35radix_sort_onesweep_config_selectorIflEEZZNS1_29radix_sort_onesweep_iterationIS3_Lb0EPfS7_N6thrust23THRUST_200600_302600_NS10device_ptrIlEESB_jNS0_19identity_decomposerENS1_16block_id_wrapperIjLb1EEEEE10hipError_tT1_PNSt15iterator_traitsISG_E10value_typeET2_T3_PNSH_ISM_E10value_typeET4_T5_PSR_SS_PNS1_23onesweep_lookback_stateEbbT6_jjT7_P12ihipStream_tbENKUlT_T0_SG_SL_E_clIS7_S7_SB_PlEEDaSZ_S10_SG_SL_EUlSZ_E_NS1_11comp_targetILNS1_3genE3ELNS1_11target_archE908ELNS1_3gpuE7ELNS1_3repE0EEENS1_47radix_sort_onesweep_sort_config_static_selectorELNS0_4arch9wavefront6targetE1EEEvSG_,"axG",@progbits,_ZN7rocprim17ROCPRIM_400000_NS6detail17trampoline_kernelINS0_14default_configENS1_35radix_sort_onesweep_config_selectorIflEEZZNS1_29radix_sort_onesweep_iterationIS3_Lb0EPfS7_N6thrust23THRUST_200600_302600_NS10device_ptrIlEESB_jNS0_19identity_decomposerENS1_16block_id_wrapperIjLb1EEEEE10hipError_tT1_PNSt15iterator_traitsISG_E10value_typeET2_T3_PNSH_ISM_E10value_typeET4_T5_PSR_SS_PNS1_23onesweep_lookback_stateEbbT6_jjT7_P12ihipStream_tbENKUlT_T0_SG_SL_E_clIS7_S7_SB_PlEEDaSZ_S10_SG_SL_EUlSZ_E_NS1_11comp_targetILNS1_3genE3ELNS1_11target_archE908ELNS1_3gpuE7ELNS1_3repE0EEENS1_47radix_sort_onesweep_sort_config_static_selectorELNS0_4arch9wavefront6targetE1EEEvSG_,comdat
.Lfunc_end1848:
	.size	_ZN7rocprim17ROCPRIM_400000_NS6detail17trampoline_kernelINS0_14default_configENS1_35radix_sort_onesweep_config_selectorIflEEZZNS1_29radix_sort_onesweep_iterationIS3_Lb0EPfS7_N6thrust23THRUST_200600_302600_NS10device_ptrIlEESB_jNS0_19identity_decomposerENS1_16block_id_wrapperIjLb1EEEEE10hipError_tT1_PNSt15iterator_traitsISG_E10value_typeET2_T3_PNSH_ISM_E10value_typeET4_T5_PSR_SS_PNS1_23onesweep_lookback_stateEbbT6_jjT7_P12ihipStream_tbENKUlT_T0_SG_SL_E_clIS7_S7_SB_PlEEDaSZ_S10_SG_SL_EUlSZ_E_NS1_11comp_targetILNS1_3genE3ELNS1_11target_archE908ELNS1_3gpuE7ELNS1_3repE0EEENS1_47radix_sort_onesweep_sort_config_static_selectorELNS0_4arch9wavefront6targetE1EEEvSG_, .Lfunc_end1848-_ZN7rocprim17ROCPRIM_400000_NS6detail17trampoline_kernelINS0_14default_configENS1_35radix_sort_onesweep_config_selectorIflEEZZNS1_29radix_sort_onesweep_iterationIS3_Lb0EPfS7_N6thrust23THRUST_200600_302600_NS10device_ptrIlEESB_jNS0_19identity_decomposerENS1_16block_id_wrapperIjLb1EEEEE10hipError_tT1_PNSt15iterator_traitsISG_E10value_typeET2_T3_PNSH_ISM_E10value_typeET4_T5_PSR_SS_PNS1_23onesweep_lookback_stateEbbT6_jjT7_P12ihipStream_tbENKUlT_T0_SG_SL_E_clIS7_S7_SB_PlEEDaSZ_S10_SG_SL_EUlSZ_E_NS1_11comp_targetILNS1_3genE3ELNS1_11target_archE908ELNS1_3gpuE7ELNS1_3repE0EEENS1_47radix_sort_onesweep_sort_config_static_selectorELNS0_4arch9wavefront6targetE1EEEvSG_
                                        ; -- End function
	.section	.AMDGPU.csdata,"",@progbits
; Kernel info:
; codeLenInByte = 0
; NumSgprs: 4
; NumVgprs: 0
; NumAgprs: 0
; TotalNumVgprs: 0
; ScratchSize: 0
; MemoryBound: 0
; FloatMode: 240
; IeeeMode: 1
; LDSByteSize: 0 bytes/workgroup (compile time only)
; SGPRBlocks: 0
; VGPRBlocks: 0
; NumSGPRsForWavesPerEU: 4
; NumVGPRsForWavesPerEU: 1
; AccumOffset: 4
; Occupancy: 8
; WaveLimiterHint : 0
; COMPUTE_PGM_RSRC2:SCRATCH_EN: 0
; COMPUTE_PGM_RSRC2:USER_SGPR: 6
; COMPUTE_PGM_RSRC2:TRAP_HANDLER: 0
; COMPUTE_PGM_RSRC2:TGID_X_EN: 1
; COMPUTE_PGM_RSRC2:TGID_Y_EN: 0
; COMPUTE_PGM_RSRC2:TGID_Z_EN: 0
; COMPUTE_PGM_RSRC2:TIDIG_COMP_CNT: 0
; COMPUTE_PGM_RSRC3_GFX90A:ACCUM_OFFSET: 0
; COMPUTE_PGM_RSRC3_GFX90A:TG_SPLIT: 0
	.section	.text._ZN7rocprim17ROCPRIM_400000_NS6detail17trampoline_kernelINS0_14default_configENS1_35radix_sort_onesweep_config_selectorIflEEZZNS1_29radix_sort_onesweep_iterationIS3_Lb0EPfS7_N6thrust23THRUST_200600_302600_NS10device_ptrIlEESB_jNS0_19identity_decomposerENS1_16block_id_wrapperIjLb1EEEEE10hipError_tT1_PNSt15iterator_traitsISG_E10value_typeET2_T3_PNSH_ISM_E10value_typeET4_T5_PSR_SS_PNS1_23onesweep_lookback_stateEbbT6_jjT7_P12ihipStream_tbENKUlT_T0_SG_SL_E_clIS7_S7_SB_PlEEDaSZ_S10_SG_SL_EUlSZ_E_NS1_11comp_targetILNS1_3genE10ELNS1_11target_archE1201ELNS1_3gpuE5ELNS1_3repE0EEENS1_47radix_sort_onesweep_sort_config_static_selectorELNS0_4arch9wavefront6targetE1EEEvSG_,"axG",@progbits,_ZN7rocprim17ROCPRIM_400000_NS6detail17trampoline_kernelINS0_14default_configENS1_35radix_sort_onesweep_config_selectorIflEEZZNS1_29radix_sort_onesweep_iterationIS3_Lb0EPfS7_N6thrust23THRUST_200600_302600_NS10device_ptrIlEESB_jNS0_19identity_decomposerENS1_16block_id_wrapperIjLb1EEEEE10hipError_tT1_PNSt15iterator_traitsISG_E10value_typeET2_T3_PNSH_ISM_E10value_typeET4_T5_PSR_SS_PNS1_23onesweep_lookback_stateEbbT6_jjT7_P12ihipStream_tbENKUlT_T0_SG_SL_E_clIS7_S7_SB_PlEEDaSZ_S10_SG_SL_EUlSZ_E_NS1_11comp_targetILNS1_3genE10ELNS1_11target_archE1201ELNS1_3gpuE5ELNS1_3repE0EEENS1_47radix_sort_onesweep_sort_config_static_selectorELNS0_4arch9wavefront6targetE1EEEvSG_,comdat
	.protected	_ZN7rocprim17ROCPRIM_400000_NS6detail17trampoline_kernelINS0_14default_configENS1_35radix_sort_onesweep_config_selectorIflEEZZNS1_29radix_sort_onesweep_iterationIS3_Lb0EPfS7_N6thrust23THRUST_200600_302600_NS10device_ptrIlEESB_jNS0_19identity_decomposerENS1_16block_id_wrapperIjLb1EEEEE10hipError_tT1_PNSt15iterator_traitsISG_E10value_typeET2_T3_PNSH_ISM_E10value_typeET4_T5_PSR_SS_PNS1_23onesweep_lookback_stateEbbT6_jjT7_P12ihipStream_tbENKUlT_T0_SG_SL_E_clIS7_S7_SB_PlEEDaSZ_S10_SG_SL_EUlSZ_E_NS1_11comp_targetILNS1_3genE10ELNS1_11target_archE1201ELNS1_3gpuE5ELNS1_3repE0EEENS1_47radix_sort_onesweep_sort_config_static_selectorELNS0_4arch9wavefront6targetE1EEEvSG_ ; -- Begin function _ZN7rocprim17ROCPRIM_400000_NS6detail17trampoline_kernelINS0_14default_configENS1_35radix_sort_onesweep_config_selectorIflEEZZNS1_29radix_sort_onesweep_iterationIS3_Lb0EPfS7_N6thrust23THRUST_200600_302600_NS10device_ptrIlEESB_jNS0_19identity_decomposerENS1_16block_id_wrapperIjLb1EEEEE10hipError_tT1_PNSt15iterator_traitsISG_E10value_typeET2_T3_PNSH_ISM_E10value_typeET4_T5_PSR_SS_PNS1_23onesweep_lookback_stateEbbT6_jjT7_P12ihipStream_tbENKUlT_T0_SG_SL_E_clIS7_S7_SB_PlEEDaSZ_S10_SG_SL_EUlSZ_E_NS1_11comp_targetILNS1_3genE10ELNS1_11target_archE1201ELNS1_3gpuE5ELNS1_3repE0EEENS1_47radix_sort_onesweep_sort_config_static_selectorELNS0_4arch9wavefront6targetE1EEEvSG_
	.globl	_ZN7rocprim17ROCPRIM_400000_NS6detail17trampoline_kernelINS0_14default_configENS1_35radix_sort_onesweep_config_selectorIflEEZZNS1_29radix_sort_onesweep_iterationIS3_Lb0EPfS7_N6thrust23THRUST_200600_302600_NS10device_ptrIlEESB_jNS0_19identity_decomposerENS1_16block_id_wrapperIjLb1EEEEE10hipError_tT1_PNSt15iterator_traitsISG_E10value_typeET2_T3_PNSH_ISM_E10value_typeET4_T5_PSR_SS_PNS1_23onesweep_lookback_stateEbbT6_jjT7_P12ihipStream_tbENKUlT_T0_SG_SL_E_clIS7_S7_SB_PlEEDaSZ_S10_SG_SL_EUlSZ_E_NS1_11comp_targetILNS1_3genE10ELNS1_11target_archE1201ELNS1_3gpuE5ELNS1_3repE0EEENS1_47radix_sort_onesweep_sort_config_static_selectorELNS0_4arch9wavefront6targetE1EEEvSG_
	.p2align	8
	.type	_ZN7rocprim17ROCPRIM_400000_NS6detail17trampoline_kernelINS0_14default_configENS1_35radix_sort_onesweep_config_selectorIflEEZZNS1_29radix_sort_onesweep_iterationIS3_Lb0EPfS7_N6thrust23THRUST_200600_302600_NS10device_ptrIlEESB_jNS0_19identity_decomposerENS1_16block_id_wrapperIjLb1EEEEE10hipError_tT1_PNSt15iterator_traitsISG_E10value_typeET2_T3_PNSH_ISM_E10value_typeET4_T5_PSR_SS_PNS1_23onesweep_lookback_stateEbbT6_jjT7_P12ihipStream_tbENKUlT_T0_SG_SL_E_clIS7_S7_SB_PlEEDaSZ_S10_SG_SL_EUlSZ_E_NS1_11comp_targetILNS1_3genE10ELNS1_11target_archE1201ELNS1_3gpuE5ELNS1_3repE0EEENS1_47radix_sort_onesweep_sort_config_static_selectorELNS0_4arch9wavefront6targetE1EEEvSG_,@function
_ZN7rocprim17ROCPRIM_400000_NS6detail17trampoline_kernelINS0_14default_configENS1_35radix_sort_onesweep_config_selectorIflEEZZNS1_29radix_sort_onesweep_iterationIS3_Lb0EPfS7_N6thrust23THRUST_200600_302600_NS10device_ptrIlEESB_jNS0_19identity_decomposerENS1_16block_id_wrapperIjLb1EEEEE10hipError_tT1_PNSt15iterator_traitsISG_E10value_typeET2_T3_PNSH_ISM_E10value_typeET4_T5_PSR_SS_PNS1_23onesweep_lookback_stateEbbT6_jjT7_P12ihipStream_tbENKUlT_T0_SG_SL_E_clIS7_S7_SB_PlEEDaSZ_S10_SG_SL_EUlSZ_E_NS1_11comp_targetILNS1_3genE10ELNS1_11target_archE1201ELNS1_3gpuE5ELNS1_3repE0EEENS1_47radix_sort_onesweep_sort_config_static_selectorELNS0_4arch9wavefront6targetE1EEEvSG_: ; @_ZN7rocprim17ROCPRIM_400000_NS6detail17trampoline_kernelINS0_14default_configENS1_35radix_sort_onesweep_config_selectorIflEEZZNS1_29radix_sort_onesweep_iterationIS3_Lb0EPfS7_N6thrust23THRUST_200600_302600_NS10device_ptrIlEESB_jNS0_19identity_decomposerENS1_16block_id_wrapperIjLb1EEEEE10hipError_tT1_PNSt15iterator_traitsISG_E10value_typeET2_T3_PNSH_ISM_E10value_typeET4_T5_PSR_SS_PNS1_23onesweep_lookback_stateEbbT6_jjT7_P12ihipStream_tbENKUlT_T0_SG_SL_E_clIS7_S7_SB_PlEEDaSZ_S10_SG_SL_EUlSZ_E_NS1_11comp_targetILNS1_3genE10ELNS1_11target_archE1201ELNS1_3gpuE5ELNS1_3repE0EEENS1_47radix_sort_onesweep_sort_config_static_selectorELNS0_4arch9wavefront6targetE1EEEvSG_
; %bb.0:
	.section	.rodata,"a",@progbits
	.p2align	6, 0x0
	.amdhsa_kernel _ZN7rocprim17ROCPRIM_400000_NS6detail17trampoline_kernelINS0_14default_configENS1_35radix_sort_onesweep_config_selectorIflEEZZNS1_29radix_sort_onesweep_iterationIS3_Lb0EPfS7_N6thrust23THRUST_200600_302600_NS10device_ptrIlEESB_jNS0_19identity_decomposerENS1_16block_id_wrapperIjLb1EEEEE10hipError_tT1_PNSt15iterator_traitsISG_E10value_typeET2_T3_PNSH_ISM_E10value_typeET4_T5_PSR_SS_PNS1_23onesweep_lookback_stateEbbT6_jjT7_P12ihipStream_tbENKUlT_T0_SG_SL_E_clIS7_S7_SB_PlEEDaSZ_S10_SG_SL_EUlSZ_E_NS1_11comp_targetILNS1_3genE10ELNS1_11target_archE1201ELNS1_3gpuE5ELNS1_3repE0EEENS1_47radix_sort_onesweep_sort_config_static_selectorELNS0_4arch9wavefront6targetE1EEEvSG_
		.amdhsa_group_segment_fixed_size 0
		.amdhsa_private_segment_fixed_size 0
		.amdhsa_kernarg_size 88
		.amdhsa_user_sgpr_count 6
		.amdhsa_user_sgpr_private_segment_buffer 1
		.amdhsa_user_sgpr_dispatch_ptr 0
		.amdhsa_user_sgpr_queue_ptr 0
		.amdhsa_user_sgpr_kernarg_segment_ptr 1
		.amdhsa_user_sgpr_dispatch_id 0
		.amdhsa_user_sgpr_flat_scratch_init 0
		.amdhsa_user_sgpr_kernarg_preload_length 0
		.amdhsa_user_sgpr_kernarg_preload_offset 0
		.amdhsa_user_sgpr_private_segment_size 0
		.amdhsa_uses_dynamic_stack 0
		.amdhsa_system_sgpr_private_segment_wavefront_offset 0
		.amdhsa_system_sgpr_workgroup_id_x 1
		.amdhsa_system_sgpr_workgroup_id_y 0
		.amdhsa_system_sgpr_workgroup_id_z 0
		.amdhsa_system_sgpr_workgroup_info 0
		.amdhsa_system_vgpr_workitem_id 0
		.amdhsa_next_free_vgpr 1
		.amdhsa_next_free_sgpr 0
		.amdhsa_accum_offset 4
		.amdhsa_reserve_vcc 0
		.amdhsa_reserve_flat_scratch 0
		.amdhsa_float_round_mode_32 0
		.amdhsa_float_round_mode_16_64 0
		.amdhsa_float_denorm_mode_32 3
		.amdhsa_float_denorm_mode_16_64 3
		.amdhsa_dx10_clamp 1
		.amdhsa_ieee_mode 1
		.amdhsa_fp16_overflow 0
		.amdhsa_tg_split 0
		.amdhsa_exception_fp_ieee_invalid_op 0
		.amdhsa_exception_fp_denorm_src 0
		.amdhsa_exception_fp_ieee_div_zero 0
		.amdhsa_exception_fp_ieee_overflow 0
		.amdhsa_exception_fp_ieee_underflow 0
		.amdhsa_exception_fp_ieee_inexact 0
		.amdhsa_exception_int_div_zero 0
	.end_amdhsa_kernel
	.section	.text._ZN7rocprim17ROCPRIM_400000_NS6detail17trampoline_kernelINS0_14default_configENS1_35radix_sort_onesweep_config_selectorIflEEZZNS1_29radix_sort_onesweep_iterationIS3_Lb0EPfS7_N6thrust23THRUST_200600_302600_NS10device_ptrIlEESB_jNS0_19identity_decomposerENS1_16block_id_wrapperIjLb1EEEEE10hipError_tT1_PNSt15iterator_traitsISG_E10value_typeET2_T3_PNSH_ISM_E10value_typeET4_T5_PSR_SS_PNS1_23onesweep_lookback_stateEbbT6_jjT7_P12ihipStream_tbENKUlT_T0_SG_SL_E_clIS7_S7_SB_PlEEDaSZ_S10_SG_SL_EUlSZ_E_NS1_11comp_targetILNS1_3genE10ELNS1_11target_archE1201ELNS1_3gpuE5ELNS1_3repE0EEENS1_47radix_sort_onesweep_sort_config_static_selectorELNS0_4arch9wavefront6targetE1EEEvSG_,"axG",@progbits,_ZN7rocprim17ROCPRIM_400000_NS6detail17trampoline_kernelINS0_14default_configENS1_35radix_sort_onesweep_config_selectorIflEEZZNS1_29radix_sort_onesweep_iterationIS3_Lb0EPfS7_N6thrust23THRUST_200600_302600_NS10device_ptrIlEESB_jNS0_19identity_decomposerENS1_16block_id_wrapperIjLb1EEEEE10hipError_tT1_PNSt15iterator_traitsISG_E10value_typeET2_T3_PNSH_ISM_E10value_typeET4_T5_PSR_SS_PNS1_23onesweep_lookback_stateEbbT6_jjT7_P12ihipStream_tbENKUlT_T0_SG_SL_E_clIS7_S7_SB_PlEEDaSZ_S10_SG_SL_EUlSZ_E_NS1_11comp_targetILNS1_3genE10ELNS1_11target_archE1201ELNS1_3gpuE5ELNS1_3repE0EEENS1_47radix_sort_onesweep_sort_config_static_selectorELNS0_4arch9wavefront6targetE1EEEvSG_,comdat
.Lfunc_end1849:
	.size	_ZN7rocprim17ROCPRIM_400000_NS6detail17trampoline_kernelINS0_14default_configENS1_35radix_sort_onesweep_config_selectorIflEEZZNS1_29radix_sort_onesweep_iterationIS3_Lb0EPfS7_N6thrust23THRUST_200600_302600_NS10device_ptrIlEESB_jNS0_19identity_decomposerENS1_16block_id_wrapperIjLb1EEEEE10hipError_tT1_PNSt15iterator_traitsISG_E10value_typeET2_T3_PNSH_ISM_E10value_typeET4_T5_PSR_SS_PNS1_23onesweep_lookback_stateEbbT6_jjT7_P12ihipStream_tbENKUlT_T0_SG_SL_E_clIS7_S7_SB_PlEEDaSZ_S10_SG_SL_EUlSZ_E_NS1_11comp_targetILNS1_3genE10ELNS1_11target_archE1201ELNS1_3gpuE5ELNS1_3repE0EEENS1_47radix_sort_onesweep_sort_config_static_selectorELNS0_4arch9wavefront6targetE1EEEvSG_, .Lfunc_end1849-_ZN7rocprim17ROCPRIM_400000_NS6detail17trampoline_kernelINS0_14default_configENS1_35radix_sort_onesweep_config_selectorIflEEZZNS1_29radix_sort_onesweep_iterationIS3_Lb0EPfS7_N6thrust23THRUST_200600_302600_NS10device_ptrIlEESB_jNS0_19identity_decomposerENS1_16block_id_wrapperIjLb1EEEEE10hipError_tT1_PNSt15iterator_traitsISG_E10value_typeET2_T3_PNSH_ISM_E10value_typeET4_T5_PSR_SS_PNS1_23onesweep_lookback_stateEbbT6_jjT7_P12ihipStream_tbENKUlT_T0_SG_SL_E_clIS7_S7_SB_PlEEDaSZ_S10_SG_SL_EUlSZ_E_NS1_11comp_targetILNS1_3genE10ELNS1_11target_archE1201ELNS1_3gpuE5ELNS1_3repE0EEENS1_47radix_sort_onesweep_sort_config_static_selectorELNS0_4arch9wavefront6targetE1EEEvSG_
                                        ; -- End function
	.section	.AMDGPU.csdata,"",@progbits
; Kernel info:
; codeLenInByte = 0
; NumSgprs: 4
; NumVgprs: 0
; NumAgprs: 0
; TotalNumVgprs: 0
; ScratchSize: 0
; MemoryBound: 0
; FloatMode: 240
; IeeeMode: 1
; LDSByteSize: 0 bytes/workgroup (compile time only)
; SGPRBlocks: 0
; VGPRBlocks: 0
; NumSGPRsForWavesPerEU: 4
; NumVGPRsForWavesPerEU: 1
; AccumOffset: 4
; Occupancy: 8
; WaveLimiterHint : 0
; COMPUTE_PGM_RSRC2:SCRATCH_EN: 0
; COMPUTE_PGM_RSRC2:USER_SGPR: 6
; COMPUTE_PGM_RSRC2:TRAP_HANDLER: 0
; COMPUTE_PGM_RSRC2:TGID_X_EN: 1
; COMPUTE_PGM_RSRC2:TGID_Y_EN: 0
; COMPUTE_PGM_RSRC2:TGID_Z_EN: 0
; COMPUTE_PGM_RSRC2:TIDIG_COMP_CNT: 0
; COMPUTE_PGM_RSRC3_GFX90A:ACCUM_OFFSET: 0
; COMPUTE_PGM_RSRC3_GFX90A:TG_SPLIT: 0
	.section	.text._ZN7rocprim17ROCPRIM_400000_NS6detail17trampoline_kernelINS0_14default_configENS1_35radix_sort_onesweep_config_selectorIflEEZZNS1_29radix_sort_onesweep_iterationIS3_Lb0EPfS7_N6thrust23THRUST_200600_302600_NS10device_ptrIlEESB_jNS0_19identity_decomposerENS1_16block_id_wrapperIjLb1EEEEE10hipError_tT1_PNSt15iterator_traitsISG_E10value_typeET2_T3_PNSH_ISM_E10value_typeET4_T5_PSR_SS_PNS1_23onesweep_lookback_stateEbbT6_jjT7_P12ihipStream_tbENKUlT_T0_SG_SL_E_clIS7_S7_SB_PlEEDaSZ_S10_SG_SL_EUlSZ_E_NS1_11comp_targetILNS1_3genE9ELNS1_11target_archE1100ELNS1_3gpuE3ELNS1_3repE0EEENS1_47radix_sort_onesweep_sort_config_static_selectorELNS0_4arch9wavefront6targetE1EEEvSG_,"axG",@progbits,_ZN7rocprim17ROCPRIM_400000_NS6detail17trampoline_kernelINS0_14default_configENS1_35radix_sort_onesweep_config_selectorIflEEZZNS1_29radix_sort_onesweep_iterationIS3_Lb0EPfS7_N6thrust23THRUST_200600_302600_NS10device_ptrIlEESB_jNS0_19identity_decomposerENS1_16block_id_wrapperIjLb1EEEEE10hipError_tT1_PNSt15iterator_traitsISG_E10value_typeET2_T3_PNSH_ISM_E10value_typeET4_T5_PSR_SS_PNS1_23onesweep_lookback_stateEbbT6_jjT7_P12ihipStream_tbENKUlT_T0_SG_SL_E_clIS7_S7_SB_PlEEDaSZ_S10_SG_SL_EUlSZ_E_NS1_11comp_targetILNS1_3genE9ELNS1_11target_archE1100ELNS1_3gpuE3ELNS1_3repE0EEENS1_47radix_sort_onesweep_sort_config_static_selectorELNS0_4arch9wavefront6targetE1EEEvSG_,comdat
	.protected	_ZN7rocprim17ROCPRIM_400000_NS6detail17trampoline_kernelINS0_14default_configENS1_35radix_sort_onesweep_config_selectorIflEEZZNS1_29radix_sort_onesweep_iterationIS3_Lb0EPfS7_N6thrust23THRUST_200600_302600_NS10device_ptrIlEESB_jNS0_19identity_decomposerENS1_16block_id_wrapperIjLb1EEEEE10hipError_tT1_PNSt15iterator_traitsISG_E10value_typeET2_T3_PNSH_ISM_E10value_typeET4_T5_PSR_SS_PNS1_23onesweep_lookback_stateEbbT6_jjT7_P12ihipStream_tbENKUlT_T0_SG_SL_E_clIS7_S7_SB_PlEEDaSZ_S10_SG_SL_EUlSZ_E_NS1_11comp_targetILNS1_3genE9ELNS1_11target_archE1100ELNS1_3gpuE3ELNS1_3repE0EEENS1_47radix_sort_onesweep_sort_config_static_selectorELNS0_4arch9wavefront6targetE1EEEvSG_ ; -- Begin function _ZN7rocprim17ROCPRIM_400000_NS6detail17trampoline_kernelINS0_14default_configENS1_35radix_sort_onesweep_config_selectorIflEEZZNS1_29radix_sort_onesweep_iterationIS3_Lb0EPfS7_N6thrust23THRUST_200600_302600_NS10device_ptrIlEESB_jNS0_19identity_decomposerENS1_16block_id_wrapperIjLb1EEEEE10hipError_tT1_PNSt15iterator_traitsISG_E10value_typeET2_T3_PNSH_ISM_E10value_typeET4_T5_PSR_SS_PNS1_23onesweep_lookback_stateEbbT6_jjT7_P12ihipStream_tbENKUlT_T0_SG_SL_E_clIS7_S7_SB_PlEEDaSZ_S10_SG_SL_EUlSZ_E_NS1_11comp_targetILNS1_3genE9ELNS1_11target_archE1100ELNS1_3gpuE3ELNS1_3repE0EEENS1_47radix_sort_onesweep_sort_config_static_selectorELNS0_4arch9wavefront6targetE1EEEvSG_
	.globl	_ZN7rocprim17ROCPRIM_400000_NS6detail17trampoline_kernelINS0_14default_configENS1_35radix_sort_onesweep_config_selectorIflEEZZNS1_29radix_sort_onesweep_iterationIS3_Lb0EPfS7_N6thrust23THRUST_200600_302600_NS10device_ptrIlEESB_jNS0_19identity_decomposerENS1_16block_id_wrapperIjLb1EEEEE10hipError_tT1_PNSt15iterator_traitsISG_E10value_typeET2_T3_PNSH_ISM_E10value_typeET4_T5_PSR_SS_PNS1_23onesweep_lookback_stateEbbT6_jjT7_P12ihipStream_tbENKUlT_T0_SG_SL_E_clIS7_S7_SB_PlEEDaSZ_S10_SG_SL_EUlSZ_E_NS1_11comp_targetILNS1_3genE9ELNS1_11target_archE1100ELNS1_3gpuE3ELNS1_3repE0EEENS1_47radix_sort_onesweep_sort_config_static_selectorELNS0_4arch9wavefront6targetE1EEEvSG_
	.p2align	8
	.type	_ZN7rocprim17ROCPRIM_400000_NS6detail17trampoline_kernelINS0_14default_configENS1_35radix_sort_onesweep_config_selectorIflEEZZNS1_29radix_sort_onesweep_iterationIS3_Lb0EPfS7_N6thrust23THRUST_200600_302600_NS10device_ptrIlEESB_jNS0_19identity_decomposerENS1_16block_id_wrapperIjLb1EEEEE10hipError_tT1_PNSt15iterator_traitsISG_E10value_typeET2_T3_PNSH_ISM_E10value_typeET4_T5_PSR_SS_PNS1_23onesweep_lookback_stateEbbT6_jjT7_P12ihipStream_tbENKUlT_T0_SG_SL_E_clIS7_S7_SB_PlEEDaSZ_S10_SG_SL_EUlSZ_E_NS1_11comp_targetILNS1_3genE9ELNS1_11target_archE1100ELNS1_3gpuE3ELNS1_3repE0EEENS1_47radix_sort_onesweep_sort_config_static_selectorELNS0_4arch9wavefront6targetE1EEEvSG_,@function
_ZN7rocprim17ROCPRIM_400000_NS6detail17trampoline_kernelINS0_14default_configENS1_35radix_sort_onesweep_config_selectorIflEEZZNS1_29radix_sort_onesweep_iterationIS3_Lb0EPfS7_N6thrust23THRUST_200600_302600_NS10device_ptrIlEESB_jNS0_19identity_decomposerENS1_16block_id_wrapperIjLb1EEEEE10hipError_tT1_PNSt15iterator_traitsISG_E10value_typeET2_T3_PNSH_ISM_E10value_typeET4_T5_PSR_SS_PNS1_23onesweep_lookback_stateEbbT6_jjT7_P12ihipStream_tbENKUlT_T0_SG_SL_E_clIS7_S7_SB_PlEEDaSZ_S10_SG_SL_EUlSZ_E_NS1_11comp_targetILNS1_3genE9ELNS1_11target_archE1100ELNS1_3gpuE3ELNS1_3repE0EEENS1_47radix_sort_onesweep_sort_config_static_selectorELNS0_4arch9wavefront6targetE1EEEvSG_: ; @_ZN7rocprim17ROCPRIM_400000_NS6detail17trampoline_kernelINS0_14default_configENS1_35radix_sort_onesweep_config_selectorIflEEZZNS1_29radix_sort_onesweep_iterationIS3_Lb0EPfS7_N6thrust23THRUST_200600_302600_NS10device_ptrIlEESB_jNS0_19identity_decomposerENS1_16block_id_wrapperIjLb1EEEEE10hipError_tT1_PNSt15iterator_traitsISG_E10value_typeET2_T3_PNSH_ISM_E10value_typeET4_T5_PSR_SS_PNS1_23onesweep_lookback_stateEbbT6_jjT7_P12ihipStream_tbENKUlT_T0_SG_SL_E_clIS7_S7_SB_PlEEDaSZ_S10_SG_SL_EUlSZ_E_NS1_11comp_targetILNS1_3genE9ELNS1_11target_archE1100ELNS1_3gpuE3ELNS1_3repE0EEENS1_47radix_sort_onesweep_sort_config_static_selectorELNS0_4arch9wavefront6targetE1EEEvSG_
; %bb.0:
	.section	.rodata,"a",@progbits
	.p2align	6, 0x0
	.amdhsa_kernel _ZN7rocprim17ROCPRIM_400000_NS6detail17trampoline_kernelINS0_14default_configENS1_35radix_sort_onesweep_config_selectorIflEEZZNS1_29radix_sort_onesweep_iterationIS3_Lb0EPfS7_N6thrust23THRUST_200600_302600_NS10device_ptrIlEESB_jNS0_19identity_decomposerENS1_16block_id_wrapperIjLb1EEEEE10hipError_tT1_PNSt15iterator_traitsISG_E10value_typeET2_T3_PNSH_ISM_E10value_typeET4_T5_PSR_SS_PNS1_23onesweep_lookback_stateEbbT6_jjT7_P12ihipStream_tbENKUlT_T0_SG_SL_E_clIS7_S7_SB_PlEEDaSZ_S10_SG_SL_EUlSZ_E_NS1_11comp_targetILNS1_3genE9ELNS1_11target_archE1100ELNS1_3gpuE3ELNS1_3repE0EEENS1_47radix_sort_onesweep_sort_config_static_selectorELNS0_4arch9wavefront6targetE1EEEvSG_
		.amdhsa_group_segment_fixed_size 0
		.amdhsa_private_segment_fixed_size 0
		.amdhsa_kernarg_size 88
		.amdhsa_user_sgpr_count 6
		.amdhsa_user_sgpr_private_segment_buffer 1
		.amdhsa_user_sgpr_dispatch_ptr 0
		.amdhsa_user_sgpr_queue_ptr 0
		.amdhsa_user_sgpr_kernarg_segment_ptr 1
		.amdhsa_user_sgpr_dispatch_id 0
		.amdhsa_user_sgpr_flat_scratch_init 0
		.amdhsa_user_sgpr_kernarg_preload_length 0
		.amdhsa_user_sgpr_kernarg_preload_offset 0
		.amdhsa_user_sgpr_private_segment_size 0
		.amdhsa_uses_dynamic_stack 0
		.amdhsa_system_sgpr_private_segment_wavefront_offset 0
		.amdhsa_system_sgpr_workgroup_id_x 1
		.amdhsa_system_sgpr_workgroup_id_y 0
		.amdhsa_system_sgpr_workgroup_id_z 0
		.amdhsa_system_sgpr_workgroup_info 0
		.amdhsa_system_vgpr_workitem_id 0
		.amdhsa_next_free_vgpr 1
		.amdhsa_next_free_sgpr 0
		.amdhsa_accum_offset 4
		.amdhsa_reserve_vcc 0
		.amdhsa_reserve_flat_scratch 0
		.amdhsa_float_round_mode_32 0
		.amdhsa_float_round_mode_16_64 0
		.amdhsa_float_denorm_mode_32 3
		.amdhsa_float_denorm_mode_16_64 3
		.amdhsa_dx10_clamp 1
		.amdhsa_ieee_mode 1
		.amdhsa_fp16_overflow 0
		.amdhsa_tg_split 0
		.amdhsa_exception_fp_ieee_invalid_op 0
		.amdhsa_exception_fp_denorm_src 0
		.amdhsa_exception_fp_ieee_div_zero 0
		.amdhsa_exception_fp_ieee_overflow 0
		.amdhsa_exception_fp_ieee_underflow 0
		.amdhsa_exception_fp_ieee_inexact 0
		.amdhsa_exception_int_div_zero 0
	.end_amdhsa_kernel
	.section	.text._ZN7rocprim17ROCPRIM_400000_NS6detail17trampoline_kernelINS0_14default_configENS1_35radix_sort_onesweep_config_selectorIflEEZZNS1_29radix_sort_onesweep_iterationIS3_Lb0EPfS7_N6thrust23THRUST_200600_302600_NS10device_ptrIlEESB_jNS0_19identity_decomposerENS1_16block_id_wrapperIjLb1EEEEE10hipError_tT1_PNSt15iterator_traitsISG_E10value_typeET2_T3_PNSH_ISM_E10value_typeET4_T5_PSR_SS_PNS1_23onesweep_lookback_stateEbbT6_jjT7_P12ihipStream_tbENKUlT_T0_SG_SL_E_clIS7_S7_SB_PlEEDaSZ_S10_SG_SL_EUlSZ_E_NS1_11comp_targetILNS1_3genE9ELNS1_11target_archE1100ELNS1_3gpuE3ELNS1_3repE0EEENS1_47radix_sort_onesweep_sort_config_static_selectorELNS0_4arch9wavefront6targetE1EEEvSG_,"axG",@progbits,_ZN7rocprim17ROCPRIM_400000_NS6detail17trampoline_kernelINS0_14default_configENS1_35radix_sort_onesweep_config_selectorIflEEZZNS1_29radix_sort_onesweep_iterationIS3_Lb0EPfS7_N6thrust23THRUST_200600_302600_NS10device_ptrIlEESB_jNS0_19identity_decomposerENS1_16block_id_wrapperIjLb1EEEEE10hipError_tT1_PNSt15iterator_traitsISG_E10value_typeET2_T3_PNSH_ISM_E10value_typeET4_T5_PSR_SS_PNS1_23onesweep_lookback_stateEbbT6_jjT7_P12ihipStream_tbENKUlT_T0_SG_SL_E_clIS7_S7_SB_PlEEDaSZ_S10_SG_SL_EUlSZ_E_NS1_11comp_targetILNS1_3genE9ELNS1_11target_archE1100ELNS1_3gpuE3ELNS1_3repE0EEENS1_47radix_sort_onesweep_sort_config_static_selectorELNS0_4arch9wavefront6targetE1EEEvSG_,comdat
.Lfunc_end1850:
	.size	_ZN7rocprim17ROCPRIM_400000_NS6detail17trampoline_kernelINS0_14default_configENS1_35radix_sort_onesweep_config_selectorIflEEZZNS1_29radix_sort_onesweep_iterationIS3_Lb0EPfS7_N6thrust23THRUST_200600_302600_NS10device_ptrIlEESB_jNS0_19identity_decomposerENS1_16block_id_wrapperIjLb1EEEEE10hipError_tT1_PNSt15iterator_traitsISG_E10value_typeET2_T3_PNSH_ISM_E10value_typeET4_T5_PSR_SS_PNS1_23onesweep_lookback_stateEbbT6_jjT7_P12ihipStream_tbENKUlT_T0_SG_SL_E_clIS7_S7_SB_PlEEDaSZ_S10_SG_SL_EUlSZ_E_NS1_11comp_targetILNS1_3genE9ELNS1_11target_archE1100ELNS1_3gpuE3ELNS1_3repE0EEENS1_47radix_sort_onesweep_sort_config_static_selectorELNS0_4arch9wavefront6targetE1EEEvSG_, .Lfunc_end1850-_ZN7rocprim17ROCPRIM_400000_NS6detail17trampoline_kernelINS0_14default_configENS1_35radix_sort_onesweep_config_selectorIflEEZZNS1_29radix_sort_onesweep_iterationIS3_Lb0EPfS7_N6thrust23THRUST_200600_302600_NS10device_ptrIlEESB_jNS0_19identity_decomposerENS1_16block_id_wrapperIjLb1EEEEE10hipError_tT1_PNSt15iterator_traitsISG_E10value_typeET2_T3_PNSH_ISM_E10value_typeET4_T5_PSR_SS_PNS1_23onesweep_lookback_stateEbbT6_jjT7_P12ihipStream_tbENKUlT_T0_SG_SL_E_clIS7_S7_SB_PlEEDaSZ_S10_SG_SL_EUlSZ_E_NS1_11comp_targetILNS1_3genE9ELNS1_11target_archE1100ELNS1_3gpuE3ELNS1_3repE0EEENS1_47radix_sort_onesweep_sort_config_static_selectorELNS0_4arch9wavefront6targetE1EEEvSG_
                                        ; -- End function
	.section	.AMDGPU.csdata,"",@progbits
; Kernel info:
; codeLenInByte = 0
; NumSgprs: 4
; NumVgprs: 0
; NumAgprs: 0
; TotalNumVgprs: 0
; ScratchSize: 0
; MemoryBound: 0
; FloatMode: 240
; IeeeMode: 1
; LDSByteSize: 0 bytes/workgroup (compile time only)
; SGPRBlocks: 0
; VGPRBlocks: 0
; NumSGPRsForWavesPerEU: 4
; NumVGPRsForWavesPerEU: 1
; AccumOffset: 4
; Occupancy: 8
; WaveLimiterHint : 0
; COMPUTE_PGM_RSRC2:SCRATCH_EN: 0
; COMPUTE_PGM_RSRC2:USER_SGPR: 6
; COMPUTE_PGM_RSRC2:TRAP_HANDLER: 0
; COMPUTE_PGM_RSRC2:TGID_X_EN: 1
; COMPUTE_PGM_RSRC2:TGID_Y_EN: 0
; COMPUTE_PGM_RSRC2:TGID_Z_EN: 0
; COMPUTE_PGM_RSRC2:TIDIG_COMP_CNT: 0
; COMPUTE_PGM_RSRC3_GFX90A:ACCUM_OFFSET: 0
; COMPUTE_PGM_RSRC3_GFX90A:TG_SPLIT: 0
	.section	.text._ZN7rocprim17ROCPRIM_400000_NS6detail17trampoline_kernelINS0_14default_configENS1_35radix_sort_onesweep_config_selectorIflEEZZNS1_29radix_sort_onesweep_iterationIS3_Lb0EPfS7_N6thrust23THRUST_200600_302600_NS10device_ptrIlEESB_jNS0_19identity_decomposerENS1_16block_id_wrapperIjLb1EEEEE10hipError_tT1_PNSt15iterator_traitsISG_E10value_typeET2_T3_PNSH_ISM_E10value_typeET4_T5_PSR_SS_PNS1_23onesweep_lookback_stateEbbT6_jjT7_P12ihipStream_tbENKUlT_T0_SG_SL_E_clIS7_S7_SB_PlEEDaSZ_S10_SG_SL_EUlSZ_E_NS1_11comp_targetILNS1_3genE8ELNS1_11target_archE1030ELNS1_3gpuE2ELNS1_3repE0EEENS1_47radix_sort_onesweep_sort_config_static_selectorELNS0_4arch9wavefront6targetE1EEEvSG_,"axG",@progbits,_ZN7rocprim17ROCPRIM_400000_NS6detail17trampoline_kernelINS0_14default_configENS1_35radix_sort_onesweep_config_selectorIflEEZZNS1_29radix_sort_onesweep_iterationIS3_Lb0EPfS7_N6thrust23THRUST_200600_302600_NS10device_ptrIlEESB_jNS0_19identity_decomposerENS1_16block_id_wrapperIjLb1EEEEE10hipError_tT1_PNSt15iterator_traitsISG_E10value_typeET2_T3_PNSH_ISM_E10value_typeET4_T5_PSR_SS_PNS1_23onesweep_lookback_stateEbbT6_jjT7_P12ihipStream_tbENKUlT_T0_SG_SL_E_clIS7_S7_SB_PlEEDaSZ_S10_SG_SL_EUlSZ_E_NS1_11comp_targetILNS1_3genE8ELNS1_11target_archE1030ELNS1_3gpuE2ELNS1_3repE0EEENS1_47radix_sort_onesweep_sort_config_static_selectorELNS0_4arch9wavefront6targetE1EEEvSG_,comdat
	.protected	_ZN7rocprim17ROCPRIM_400000_NS6detail17trampoline_kernelINS0_14default_configENS1_35radix_sort_onesweep_config_selectorIflEEZZNS1_29radix_sort_onesweep_iterationIS3_Lb0EPfS7_N6thrust23THRUST_200600_302600_NS10device_ptrIlEESB_jNS0_19identity_decomposerENS1_16block_id_wrapperIjLb1EEEEE10hipError_tT1_PNSt15iterator_traitsISG_E10value_typeET2_T3_PNSH_ISM_E10value_typeET4_T5_PSR_SS_PNS1_23onesweep_lookback_stateEbbT6_jjT7_P12ihipStream_tbENKUlT_T0_SG_SL_E_clIS7_S7_SB_PlEEDaSZ_S10_SG_SL_EUlSZ_E_NS1_11comp_targetILNS1_3genE8ELNS1_11target_archE1030ELNS1_3gpuE2ELNS1_3repE0EEENS1_47radix_sort_onesweep_sort_config_static_selectorELNS0_4arch9wavefront6targetE1EEEvSG_ ; -- Begin function _ZN7rocprim17ROCPRIM_400000_NS6detail17trampoline_kernelINS0_14default_configENS1_35radix_sort_onesweep_config_selectorIflEEZZNS1_29radix_sort_onesweep_iterationIS3_Lb0EPfS7_N6thrust23THRUST_200600_302600_NS10device_ptrIlEESB_jNS0_19identity_decomposerENS1_16block_id_wrapperIjLb1EEEEE10hipError_tT1_PNSt15iterator_traitsISG_E10value_typeET2_T3_PNSH_ISM_E10value_typeET4_T5_PSR_SS_PNS1_23onesweep_lookback_stateEbbT6_jjT7_P12ihipStream_tbENKUlT_T0_SG_SL_E_clIS7_S7_SB_PlEEDaSZ_S10_SG_SL_EUlSZ_E_NS1_11comp_targetILNS1_3genE8ELNS1_11target_archE1030ELNS1_3gpuE2ELNS1_3repE0EEENS1_47radix_sort_onesweep_sort_config_static_selectorELNS0_4arch9wavefront6targetE1EEEvSG_
	.globl	_ZN7rocprim17ROCPRIM_400000_NS6detail17trampoline_kernelINS0_14default_configENS1_35radix_sort_onesweep_config_selectorIflEEZZNS1_29radix_sort_onesweep_iterationIS3_Lb0EPfS7_N6thrust23THRUST_200600_302600_NS10device_ptrIlEESB_jNS0_19identity_decomposerENS1_16block_id_wrapperIjLb1EEEEE10hipError_tT1_PNSt15iterator_traitsISG_E10value_typeET2_T3_PNSH_ISM_E10value_typeET4_T5_PSR_SS_PNS1_23onesweep_lookback_stateEbbT6_jjT7_P12ihipStream_tbENKUlT_T0_SG_SL_E_clIS7_S7_SB_PlEEDaSZ_S10_SG_SL_EUlSZ_E_NS1_11comp_targetILNS1_3genE8ELNS1_11target_archE1030ELNS1_3gpuE2ELNS1_3repE0EEENS1_47radix_sort_onesweep_sort_config_static_selectorELNS0_4arch9wavefront6targetE1EEEvSG_
	.p2align	8
	.type	_ZN7rocprim17ROCPRIM_400000_NS6detail17trampoline_kernelINS0_14default_configENS1_35radix_sort_onesweep_config_selectorIflEEZZNS1_29radix_sort_onesweep_iterationIS3_Lb0EPfS7_N6thrust23THRUST_200600_302600_NS10device_ptrIlEESB_jNS0_19identity_decomposerENS1_16block_id_wrapperIjLb1EEEEE10hipError_tT1_PNSt15iterator_traitsISG_E10value_typeET2_T3_PNSH_ISM_E10value_typeET4_T5_PSR_SS_PNS1_23onesweep_lookback_stateEbbT6_jjT7_P12ihipStream_tbENKUlT_T0_SG_SL_E_clIS7_S7_SB_PlEEDaSZ_S10_SG_SL_EUlSZ_E_NS1_11comp_targetILNS1_3genE8ELNS1_11target_archE1030ELNS1_3gpuE2ELNS1_3repE0EEENS1_47radix_sort_onesweep_sort_config_static_selectorELNS0_4arch9wavefront6targetE1EEEvSG_,@function
_ZN7rocprim17ROCPRIM_400000_NS6detail17trampoline_kernelINS0_14default_configENS1_35radix_sort_onesweep_config_selectorIflEEZZNS1_29radix_sort_onesweep_iterationIS3_Lb0EPfS7_N6thrust23THRUST_200600_302600_NS10device_ptrIlEESB_jNS0_19identity_decomposerENS1_16block_id_wrapperIjLb1EEEEE10hipError_tT1_PNSt15iterator_traitsISG_E10value_typeET2_T3_PNSH_ISM_E10value_typeET4_T5_PSR_SS_PNS1_23onesweep_lookback_stateEbbT6_jjT7_P12ihipStream_tbENKUlT_T0_SG_SL_E_clIS7_S7_SB_PlEEDaSZ_S10_SG_SL_EUlSZ_E_NS1_11comp_targetILNS1_3genE8ELNS1_11target_archE1030ELNS1_3gpuE2ELNS1_3repE0EEENS1_47radix_sort_onesweep_sort_config_static_selectorELNS0_4arch9wavefront6targetE1EEEvSG_: ; @_ZN7rocprim17ROCPRIM_400000_NS6detail17trampoline_kernelINS0_14default_configENS1_35radix_sort_onesweep_config_selectorIflEEZZNS1_29radix_sort_onesweep_iterationIS3_Lb0EPfS7_N6thrust23THRUST_200600_302600_NS10device_ptrIlEESB_jNS0_19identity_decomposerENS1_16block_id_wrapperIjLb1EEEEE10hipError_tT1_PNSt15iterator_traitsISG_E10value_typeET2_T3_PNSH_ISM_E10value_typeET4_T5_PSR_SS_PNS1_23onesweep_lookback_stateEbbT6_jjT7_P12ihipStream_tbENKUlT_T0_SG_SL_E_clIS7_S7_SB_PlEEDaSZ_S10_SG_SL_EUlSZ_E_NS1_11comp_targetILNS1_3genE8ELNS1_11target_archE1030ELNS1_3gpuE2ELNS1_3repE0EEENS1_47radix_sort_onesweep_sort_config_static_selectorELNS0_4arch9wavefront6targetE1EEEvSG_
; %bb.0:
	.section	.rodata,"a",@progbits
	.p2align	6, 0x0
	.amdhsa_kernel _ZN7rocprim17ROCPRIM_400000_NS6detail17trampoline_kernelINS0_14default_configENS1_35radix_sort_onesweep_config_selectorIflEEZZNS1_29radix_sort_onesweep_iterationIS3_Lb0EPfS7_N6thrust23THRUST_200600_302600_NS10device_ptrIlEESB_jNS0_19identity_decomposerENS1_16block_id_wrapperIjLb1EEEEE10hipError_tT1_PNSt15iterator_traitsISG_E10value_typeET2_T3_PNSH_ISM_E10value_typeET4_T5_PSR_SS_PNS1_23onesweep_lookback_stateEbbT6_jjT7_P12ihipStream_tbENKUlT_T0_SG_SL_E_clIS7_S7_SB_PlEEDaSZ_S10_SG_SL_EUlSZ_E_NS1_11comp_targetILNS1_3genE8ELNS1_11target_archE1030ELNS1_3gpuE2ELNS1_3repE0EEENS1_47radix_sort_onesweep_sort_config_static_selectorELNS0_4arch9wavefront6targetE1EEEvSG_
		.amdhsa_group_segment_fixed_size 0
		.amdhsa_private_segment_fixed_size 0
		.amdhsa_kernarg_size 88
		.amdhsa_user_sgpr_count 6
		.amdhsa_user_sgpr_private_segment_buffer 1
		.amdhsa_user_sgpr_dispatch_ptr 0
		.amdhsa_user_sgpr_queue_ptr 0
		.amdhsa_user_sgpr_kernarg_segment_ptr 1
		.amdhsa_user_sgpr_dispatch_id 0
		.amdhsa_user_sgpr_flat_scratch_init 0
		.amdhsa_user_sgpr_kernarg_preload_length 0
		.amdhsa_user_sgpr_kernarg_preload_offset 0
		.amdhsa_user_sgpr_private_segment_size 0
		.amdhsa_uses_dynamic_stack 0
		.amdhsa_system_sgpr_private_segment_wavefront_offset 0
		.amdhsa_system_sgpr_workgroup_id_x 1
		.amdhsa_system_sgpr_workgroup_id_y 0
		.amdhsa_system_sgpr_workgroup_id_z 0
		.amdhsa_system_sgpr_workgroup_info 0
		.amdhsa_system_vgpr_workitem_id 0
		.amdhsa_next_free_vgpr 1
		.amdhsa_next_free_sgpr 0
		.amdhsa_accum_offset 4
		.amdhsa_reserve_vcc 0
		.amdhsa_reserve_flat_scratch 0
		.amdhsa_float_round_mode_32 0
		.amdhsa_float_round_mode_16_64 0
		.amdhsa_float_denorm_mode_32 3
		.amdhsa_float_denorm_mode_16_64 3
		.amdhsa_dx10_clamp 1
		.amdhsa_ieee_mode 1
		.amdhsa_fp16_overflow 0
		.amdhsa_tg_split 0
		.amdhsa_exception_fp_ieee_invalid_op 0
		.amdhsa_exception_fp_denorm_src 0
		.amdhsa_exception_fp_ieee_div_zero 0
		.amdhsa_exception_fp_ieee_overflow 0
		.amdhsa_exception_fp_ieee_underflow 0
		.amdhsa_exception_fp_ieee_inexact 0
		.amdhsa_exception_int_div_zero 0
	.end_amdhsa_kernel
	.section	.text._ZN7rocprim17ROCPRIM_400000_NS6detail17trampoline_kernelINS0_14default_configENS1_35radix_sort_onesweep_config_selectorIflEEZZNS1_29radix_sort_onesweep_iterationIS3_Lb0EPfS7_N6thrust23THRUST_200600_302600_NS10device_ptrIlEESB_jNS0_19identity_decomposerENS1_16block_id_wrapperIjLb1EEEEE10hipError_tT1_PNSt15iterator_traitsISG_E10value_typeET2_T3_PNSH_ISM_E10value_typeET4_T5_PSR_SS_PNS1_23onesweep_lookback_stateEbbT6_jjT7_P12ihipStream_tbENKUlT_T0_SG_SL_E_clIS7_S7_SB_PlEEDaSZ_S10_SG_SL_EUlSZ_E_NS1_11comp_targetILNS1_3genE8ELNS1_11target_archE1030ELNS1_3gpuE2ELNS1_3repE0EEENS1_47radix_sort_onesweep_sort_config_static_selectorELNS0_4arch9wavefront6targetE1EEEvSG_,"axG",@progbits,_ZN7rocprim17ROCPRIM_400000_NS6detail17trampoline_kernelINS0_14default_configENS1_35radix_sort_onesweep_config_selectorIflEEZZNS1_29radix_sort_onesweep_iterationIS3_Lb0EPfS7_N6thrust23THRUST_200600_302600_NS10device_ptrIlEESB_jNS0_19identity_decomposerENS1_16block_id_wrapperIjLb1EEEEE10hipError_tT1_PNSt15iterator_traitsISG_E10value_typeET2_T3_PNSH_ISM_E10value_typeET4_T5_PSR_SS_PNS1_23onesweep_lookback_stateEbbT6_jjT7_P12ihipStream_tbENKUlT_T0_SG_SL_E_clIS7_S7_SB_PlEEDaSZ_S10_SG_SL_EUlSZ_E_NS1_11comp_targetILNS1_3genE8ELNS1_11target_archE1030ELNS1_3gpuE2ELNS1_3repE0EEENS1_47radix_sort_onesweep_sort_config_static_selectorELNS0_4arch9wavefront6targetE1EEEvSG_,comdat
.Lfunc_end1851:
	.size	_ZN7rocprim17ROCPRIM_400000_NS6detail17trampoline_kernelINS0_14default_configENS1_35radix_sort_onesweep_config_selectorIflEEZZNS1_29radix_sort_onesweep_iterationIS3_Lb0EPfS7_N6thrust23THRUST_200600_302600_NS10device_ptrIlEESB_jNS0_19identity_decomposerENS1_16block_id_wrapperIjLb1EEEEE10hipError_tT1_PNSt15iterator_traitsISG_E10value_typeET2_T3_PNSH_ISM_E10value_typeET4_T5_PSR_SS_PNS1_23onesweep_lookback_stateEbbT6_jjT7_P12ihipStream_tbENKUlT_T0_SG_SL_E_clIS7_S7_SB_PlEEDaSZ_S10_SG_SL_EUlSZ_E_NS1_11comp_targetILNS1_3genE8ELNS1_11target_archE1030ELNS1_3gpuE2ELNS1_3repE0EEENS1_47radix_sort_onesweep_sort_config_static_selectorELNS0_4arch9wavefront6targetE1EEEvSG_, .Lfunc_end1851-_ZN7rocprim17ROCPRIM_400000_NS6detail17trampoline_kernelINS0_14default_configENS1_35radix_sort_onesweep_config_selectorIflEEZZNS1_29radix_sort_onesweep_iterationIS3_Lb0EPfS7_N6thrust23THRUST_200600_302600_NS10device_ptrIlEESB_jNS0_19identity_decomposerENS1_16block_id_wrapperIjLb1EEEEE10hipError_tT1_PNSt15iterator_traitsISG_E10value_typeET2_T3_PNSH_ISM_E10value_typeET4_T5_PSR_SS_PNS1_23onesweep_lookback_stateEbbT6_jjT7_P12ihipStream_tbENKUlT_T0_SG_SL_E_clIS7_S7_SB_PlEEDaSZ_S10_SG_SL_EUlSZ_E_NS1_11comp_targetILNS1_3genE8ELNS1_11target_archE1030ELNS1_3gpuE2ELNS1_3repE0EEENS1_47radix_sort_onesweep_sort_config_static_selectorELNS0_4arch9wavefront6targetE1EEEvSG_
                                        ; -- End function
	.section	.AMDGPU.csdata,"",@progbits
; Kernel info:
; codeLenInByte = 0
; NumSgprs: 4
; NumVgprs: 0
; NumAgprs: 0
; TotalNumVgprs: 0
; ScratchSize: 0
; MemoryBound: 0
; FloatMode: 240
; IeeeMode: 1
; LDSByteSize: 0 bytes/workgroup (compile time only)
; SGPRBlocks: 0
; VGPRBlocks: 0
; NumSGPRsForWavesPerEU: 4
; NumVGPRsForWavesPerEU: 1
; AccumOffset: 4
; Occupancy: 8
; WaveLimiterHint : 0
; COMPUTE_PGM_RSRC2:SCRATCH_EN: 0
; COMPUTE_PGM_RSRC2:USER_SGPR: 6
; COMPUTE_PGM_RSRC2:TRAP_HANDLER: 0
; COMPUTE_PGM_RSRC2:TGID_X_EN: 1
; COMPUTE_PGM_RSRC2:TGID_Y_EN: 0
; COMPUTE_PGM_RSRC2:TGID_Z_EN: 0
; COMPUTE_PGM_RSRC2:TIDIG_COMP_CNT: 0
; COMPUTE_PGM_RSRC3_GFX90A:ACCUM_OFFSET: 0
; COMPUTE_PGM_RSRC3_GFX90A:TG_SPLIT: 0
	.section	.text._ZN7rocprim17ROCPRIM_400000_NS6detail17trampoline_kernelINS0_14default_configENS1_35radix_sort_onesweep_config_selectorIflEEZZNS1_29radix_sort_onesweep_iterationIS3_Lb0EPfS7_N6thrust23THRUST_200600_302600_NS10device_ptrIlEESB_jNS0_19identity_decomposerENS1_16block_id_wrapperIjLb1EEEEE10hipError_tT1_PNSt15iterator_traitsISG_E10value_typeET2_T3_PNSH_ISM_E10value_typeET4_T5_PSR_SS_PNS1_23onesweep_lookback_stateEbbT6_jjT7_P12ihipStream_tbENKUlT_T0_SG_SL_E_clIS7_S7_PlSB_EEDaSZ_S10_SG_SL_EUlSZ_E_NS1_11comp_targetILNS1_3genE0ELNS1_11target_archE4294967295ELNS1_3gpuE0ELNS1_3repE0EEENS1_47radix_sort_onesweep_sort_config_static_selectorELNS0_4arch9wavefront6targetE1EEEvSG_,"axG",@progbits,_ZN7rocprim17ROCPRIM_400000_NS6detail17trampoline_kernelINS0_14default_configENS1_35radix_sort_onesweep_config_selectorIflEEZZNS1_29radix_sort_onesweep_iterationIS3_Lb0EPfS7_N6thrust23THRUST_200600_302600_NS10device_ptrIlEESB_jNS0_19identity_decomposerENS1_16block_id_wrapperIjLb1EEEEE10hipError_tT1_PNSt15iterator_traitsISG_E10value_typeET2_T3_PNSH_ISM_E10value_typeET4_T5_PSR_SS_PNS1_23onesweep_lookback_stateEbbT6_jjT7_P12ihipStream_tbENKUlT_T0_SG_SL_E_clIS7_S7_PlSB_EEDaSZ_S10_SG_SL_EUlSZ_E_NS1_11comp_targetILNS1_3genE0ELNS1_11target_archE4294967295ELNS1_3gpuE0ELNS1_3repE0EEENS1_47radix_sort_onesweep_sort_config_static_selectorELNS0_4arch9wavefront6targetE1EEEvSG_,comdat
	.protected	_ZN7rocprim17ROCPRIM_400000_NS6detail17trampoline_kernelINS0_14default_configENS1_35radix_sort_onesweep_config_selectorIflEEZZNS1_29radix_sort_onesweep_iterationIS3_Lb0EPfS7_N6thrust23THRUST_200600_302600_NS10device_ptrIlEESB_jNS0_19identity_decomposerENS1_16block_id_wrapperIjLb1EEEEE10hipError_tT1_PNSt15iterator_traitsISG_E10value_typeET2_T3_PNSH_ISM_E10value_typeET4_T5_PSR_SS_PNS1_23onesweep_lookback_stateEbbT6_jjT7_P12ihipStream_tbENKUlT_T0_SG_SL_E_clIS7_S7_PlSB_EEDaSZ_S10_SG_SL_EUlSZ_E_NS1_11comp_targetILNS1_3genE0ELNS1_11target_archE4294967295ELNS1_3gpuE0ELNS1_3repE0EEENS1_47radix_sort_onesweep_sort_config_static_selectorELNS0_4arch9wavefront6targetE1EEEvSG_ ; -- Begin function _ZN7rocprim17ROCPRIM_400000_NS6detail17trampoline_kernelINS0_14default_configENS1_35radix_sort_onesweep_config_selectorIflEEZZNS1_29radix_sort_onesweep_iterationIS3_Lb0EPfS7_N6thrust23THRUST_200600_302600_NS10device_ptrIlEESB_jNS0_19identity_decomposerENS1_16block_id_wrapperIjLb1EEEEE10hipError_tT1_PNSt15iterator_traitsISG_E10value_typeET2_T3_PNSH_ISM_E10value_typeET4_T5_PSR_SS_PNS1_23onesweep_lookback_stateEbbT6_jjT7_P12ihipStream_tbENKUlT_T0_SG_SL_E_clIS7_S7_PlSB_EEDaSZ_S10_SG_SL_EUlSZ_E_NS1_11comp_targetILNS1_3genE0ELNS1_11target_archE4294967295ELNS1_3gpuE0ELNS1_3repE0EEENS1_47radix_sort_onesweep_sort_config_static_selectorELNS0_4arch9wavefront6targetE1EEEvSG_
	.globl	_ZN7rocprim17ROCPRIM_400000_NS6detail17trampoline_kernelINS0_14default_configENS1_35radix_sort_onesweep_config_selectorIflEEZZNS1_29radix_sort_onesweep_iterationIS3_Lb0EPfS7_N6thrust23THRUST_200600_302600_NS10device_ptrIlEESB_jNS0_19identity_decomposerENS1_16block_id_wrapperIjLb1EEEEE10hipError_tT1_PNSt15iterator_traitsISG_E10value_typeET2_T3_PNSH_ISM_E10value_typeET4_T5_PSR_SS_PNS1_23onesweep_lookback_stateEbbT6_jjT7_P12ihipStream_tbENKUlT_T0_SG_SL_E_clIS7_S7_PlSB_EEDaSZ_S10_SG_SL_EUlSZ_E_NS1_11comp_targetILNS1_3genE0ELNS1_11target_archE4294967295ELNS1_3gpuE0ELNS1_3repE0EEENS1_47radix_sort_onesweep_sort_config_static_selectorELNS0_4arch9wavefront6targetE1EEEvSG_
	.p2align	8
	.type	_ZN7rocprim17ROCPRIM_400000_NS6detail17trampoline_kernelINS0_14default_configENS1_35radix_sort_onesweep_config_selectorIflEEZZNS1_29radix_sort_onesweep_iterationIS3_Lb0EPfS7_N6thrust23THRUST_200600_302600_NS10device_ptrIlEESB_jNS0_19identity_decomposerENS1_16block_id_wrapperIjLb1EEEEE10hipError_tT1_PNSt15iterator_traitsISG_E10value_typeET2_T3_PNSH_ISM_E10value_typeET4_T5_PSR_SS_PNS1_23onesweep_lookback_stateEbbT6_jjT7_P12ihipStream_tbENKUlT_T0_SG_SL_E_clIS7_S7_PlSB_EEDaSZ_S10_SG_SL_EUlSZ_E_NS1_11comp_targetILNS1_3genE0ELNS1_11target_archE4294967295ELNS1_3gpuE0ELNS1_3repE0EEENS1_47radix_sort_onesweep_sort_config_static_selectorELNS0_4arch9wavefront6targetE1EEEvSG_,@function
_ZN7rocprim17ROCPRIM_400000_NS6detail17trampoline_kernelINS0_14default_configENS1_35radix_sort_onesweep_config_selectorIflEEZZNS1_29radix_sort_onesweep_iterationIS3_Lb0EPfS7_N6thrust23THRUST_200600_302600_NS10device_ptrIlEESB_jNS0_19identity_decomposerENS1_16block_id_wrapperIjLb1EEEEE10hipError_tT1_PNSt15iterator_traitsISG_E10value_typeET2_T3_PNSH_ISM_E10value_typeET4_T5_PSR_SS_PNS1_23onesweep_lookback_stateEbbT6_jjT7_P12ihipStream_tbENKUlT_T0_SG_SL_E_clIS7_S7_PlSB_EEDaSZ_S10_SG_SL_EUlSZ_E_NS1_11comp_targetILNS1_3genE0ELNS1_11target_archE4294967295ELNS1_3gpuE0ELNS1_3repE0EEENS1_47radix_sort_onesweep_sort_config_static_selectorELNS0_4arch9wavefront6targetE1EEEvSG_: ; @_ZN7rocprim17ROCPRIM_400000_NS6detail17trampoline_kernelINS0_14default_configENS1_35radix_sort_onesweep_config_selectorIflEEZZNS1_29radix_sort_onesweep_iterationIS3_Lb0EPfS7_N6thrust23THRUST_200600_302600_NS10device_ptrIlEESB_jNS0_19identity_decomposerENS1_16block_id_wrapperIjLb1EEEEE10hipError_tT1_PNSt15iterator_traitsISG_E10value_typeET2_T3_PNSH_ISM_E10value_typeET4_T5_PSR_SS_PNS1_23onesweep_lookback_stateEbbT6_jjT7_P12ihipStream_tbENKUlT_T0_SG_SL_E_clIS7_S7_PlSB_EEDaSZ_S10_SG_SL_EUlSZ_E_NS1_11comp_targetILNS1_3genE0ELNS1_11target_archE4294967295ELNS1_3gpuE0ELNS1_3repE0EEENS1_47radix_sort_onesweep_sort_config_static_selectorELNS0_4arch9wavefront6targetE1EEEvSG_
; %bb.0:
	.section	.rodata,"a",@progbits
	.p2align	6, 0x0
	.amdhsa_kernel _ZN7rocprim17ROCPRIM_400000_NS6detail17trampoline_kernelINS0_14default_configENS1_35radix_sort_onesweep_config_selectorIflEEZZNS1_29radix_sort_onesweep_iterationIS3_Lb0EPfS7_N6thrust23THRUST_200600_302600_NS10device_ptrIlEESB_jNS0_19identity_decomposerENS1_16block_id_wrapperIjLb1EEEEE10hipError_tT1_PNSt15iterator_traitsISG_E10value_typeET2_T3_PNSH_ISM_E10value_typeET4_T5_PSR_SS_PNS1_23onesweep_lookback_stateEbbT6_jjT7_P12ihipStream_tbENKUlT_T0_SG_SL_E_clIS7_S7_PlSB_EEDaSZ_S10_SG_SL_EUlSZ_E_NS1_11comp_targetILNS1_3genE0ELNS1_11target_archE4294967295ELNS1_3gpuE0ELNS1_3repE0EEENS1_47radix_sort_onesweep_sort_config_static_selectorELNS0_4arch9wavefront6targetE1EEEvSG_
		.amdhsa_group_segment_fixed_size 0
		.amdhsa_private_segment_fixed_size 0
		.amdhsa_kernarg_size 88
		.amdhsa_user_sgpr_count 6
		.amdhsa_user_sgpr_private_segment_buffer 1
		.amdhsa_user_sgpr_dispatch_ptr 0
		.amdhsa_user_sgpr_queue_ptr 0
		.amdhsa_user_sgpr_kernarg_segment_ptr 1
		.amdhsa_user_sgpr_dispatch_id 0
		.amdhsa_user_sgpr_flat_scratch_init 0
		.amdhsa_user_sgpr_kernarg_preload_length 0
		.amdhsa_user_sgpr_kernarg_preload_offset 0
		.amdhsa_user_sgpr_private_segment_size 0
		.amdhsa_uses_dynamic_stack 0
		.amdhsa_system_sgpr_private_segment_wavefront_offset 0
		.amdhsa_system_sgpr_workgroup_id_x 1
		.amdhsa_system_sgpr_workgroup_id_y 0
		.amdhsa_system_sgpr_workgroup_id_z 0
		.amdhsa_system_sgpr_workgroup_info 0
		.amdhsa_system_vgpr_workitem_id 0
		.amdhsa_next_free_vgpr 1
		.amdhsa_next_free_sgpr 0
		.amdhsa_accum_offset 4
		.amdhsa_reserve_vcc 0
		.amdhsa_reserve_flat_scratch 0
		.amdhsa_float_round_mode_32 0
		.amdhsa_float_round_mode_16_64 0
		.amdhsa_float_denorm_mode_32 3
		.amdhsa_float_denorm_mode_16_64 3
		.amdhsa_dx10_clamp 1
		.amdhsa_ieee_mode 1
		.amdhsa_fp16_overflow 0
		.amdhsa_tg_split 0
		.amdhsa_exception_fp_ieee_invalid_op 0
		.amdhsa_exception_fp_denorm_src 0
		.amdhsa_exception_fp_ieee_div_zero 0
		.amdhsa_exception_fp_ieee_overflow 0
		.amdhsa_exception_fp_ieee_underflow 0
		.amdhsa_exception_fp_ieee_inexact 0
		.amdhsa_exception_int_div_zero 0
	.end_amdhsa_kernel
	.section	.text._ZN7rocprim17ROCPRIM_400000_NS6detail17trampoline_kernelINS0_14default_configENS1_35radix_sort_onesweep_config_selectorIflEEZZNS1_29radix_sort_onesweep_iterationIS3_Lb0EPfS7_N6thrust23THRUST_200600_302600_NS10device_ptrIlEESB_jNS0_19identity_decomposerENS1_16block_id_wrapperIjLb1EEEEE10hipError_tT1_PNSt15iterator_traitsISG_E10value_typeET2_T3_PNSH_ISM_E10value_typeET4_T5_PSR_SS_PNS1_23onesweep_lookback_stateEbbT6_jjT7_P12ihipStream_tbENKUlT_T0_SG_SL_E_clIS7_S7_PlSB_EEDaSZ_S10_SG_SL_EUlSZ_E_NS1_11comp_targetILNS1_3genE0ELNS1_11target_archE4294967295ELNS1_3gpuE0ELNS1_3repE0EEENS1_47radix_sort_onesweep_sort_config_static_selectorELNS0_4arch9wavefront6targetE1EEEvSG_,"axG",@progbits,_ZN7rocprim17ROCPRIM_400000_NS6detail17trampoline_kernelINS0_14default_configENS1_35radix_sort_onesweep_config_selectorIflEEZZNS1_29radix_sort_onesweep_iterationIS3_Lb0EPfS7_N6thrust23THRUST_200600_302600_NS10device_ptrIlEESB_jNS0_19identity_decomposerENS1_16block_id_wrapperIjLb1EEEEE10hipError_tT1_PNSt15iterator_traitsISG_E10value_typeET2_T3_PNSH_ISM_E10value_typeET4_T5_PSR_SS_PNS1_23onesweep_lookback_stateEbbT6_jjT7_P12ihipStream_tbENKUlT_T0_SG_SL_E_clIS7_S7_PlSB_EEDaSZ_S10_SG_SL_EUlSZ_E_NS1_11comp_targetILNS1_3genE0ELNS1_11target_archE4294967295ELNS1_3gpuE0ELNS1_3repE0EEENS1_47radix_sort_onesweep_sort_config_static_selectorELNS0_4arch9wavefront6targetE1EEEvSG_,comdat
.Lfunc_end1852:
	.size	_ZN7rocprim17ROCPRIM_400000_NS6detail17trampoline_kernelINS0_14default_configENS1_35radix_sort_onesweep_config_selectorIflEEZZNS1_29radix_sort_onesweep_iterationIS3_Lb0EPfS7_N6thrust23THRUST_200600_302600_NS10device_ptrIlEESB_jNS0_19identity_decomposerENS1_16block_id_wrapperIjLb1EEEEE10hipError_tT1_PNSt15iterator_traitsISG_E10value_typeET2_T3_PNSH_ISM_E10value_typeET4_T5_PSR_SS_PNS1_23onesweep_lookback_stateEbbT6_jjT7_P12ihipStream_tbENKUlT_T0_SG_SL_E_clIS7_S7_PlSB_EEDaSZ_S10_SG_SL_EUlSZ_E_NS1_11comp_targetILNS1_3genE0ELNS1_11target_archE4294967295ELNS1_3gpuE0ELNS1_3repE0EEENS1_47radix_sort_onesweep_sort_config_static_selectorELNS0_4arch9wavefront6targetE1EEEvSG_, .Lfunc_end1852-_ZN7rocprim17ROCPRIM_400000_NS6detail17trampoline_kernelINS0_14default_configENS1_35radix_sort_onesweep_config_selectorIflEEZZNS1_29radix_sort_onesweep_iterationIS3_Lb0EPfS7_N6thrust23THRUST_200600_302600_NS10device_ptrIlEESB_jNS0_19identity_decomposerENS1_16block_id_wrapperIjLb1EEEEE10hipError_tT1_PNSt15iterator_traitsISG_E10value_typeET2_T3_PNSH_ISM_E10value_typeET4_T5_PSR_SS_PNS1_23onesweep_lookback_stateEbbT6_jjT7_P12ihipStream_tbENKUlT_T0_SG_SL_E_clIS7_S7_PlSB_EEDaSZ_S10_SG_SL_EUlSZ_E_NS1_11comp_targetILNS1_3genE0ELNS1_11target_archE4294967295ELNS1_3gpuE0ELNS1_3repE0EEENS1_47radix_sort_onesweep_sort_config_static_selectorELNS0_4arch9wavefront6targetE1EEEvSG_
                                        ; -- End function
	.section	.AMDGPU.csdata,"",@progbits
; Kernel info:
; codeLenInByte = 0
; NumSgprs: 4
; NumVgprs: 0
; NumAgprs: 0
; TotalNumVgprs: 0
; ScratchSize: 0
; MemoryBound: 0
; FloatMode: 240
; IeeeMode: 1
; LDSByteSize: 0 bytes/workgroup (compile time only)
; SGPRBlocks: 0
; VGPRBlocks: 0
; NumSGPRsForWavesPerEU: 4
; NumVGPRsForWavesPerEU: 1
; AccumOffset: 4
; Occupancy: 8
; WaveLimiterHint : 0
; COMPUTE_PGM_RSRC2:SCRATCH_EN: 0
; COMPUTE_PGM_RSRC2:USER_SGPR: 6
; COMPUTE_PGM_RSRC2:TRAP_HANDLER: 0
; COMPUTE_PGM_RSRC2:TGID_X_EN: 1
; COMPUTE_PGM_RSRC2:TGID_Y_EN: 0
; COMPUTE_PGM_RSRC2:TGID_Z_EN: 0
; COMPUTE_PGM_RSRC2:TIDIG_COMP_CNT: 0
; COMPUTE_PGM_RSRC3_GFX90A:ACCUM_OFFSET: 0
; COMPUTE_PGM_RSRC3_GFX90A:TG_SPLIT: 0
	.section	.text._ZN7rocprim17ROCPRIM_400000_NS6detail17trampoline_kernelINS0_14default_configENS1_35radix_sort_onesweep_config_selectorIflEEZZNS1_29radix_sort_onesweep_iterationIS3_Lb0EPfS7_N6thrust23THRUST_200600_302600_NS10device_ptrIlEESB_jNS0_19identity_decomposerENS1_16block_id_wrapperIjLb1EEEEE10hipError_tT1_PNSt15iterator_traitsISG_E10value_typeET2_T3_PNSH_ISM_E10value_typeET4_T5_PSR_SS_PNS1_23onesweep_lookback_stateEbbT6_jjT7_P12ihipStream_tbENKUlT_T0_SG_SL_E_clIS7_S7_PlSB_EEDaSZ_S10_SG_SL_EUlSZ_E_NS1_11comp_targetILNS1_3genE6ELNS1_11target_archE950ELNS1_3gpuE13ELNS1_3repE0EEENS1_47radix_sort_onesweep_sort_config_static_selectorELNS0_4arch9wavefront6targetE1EEEvSG_,"axG",@progbits,_ZN7rocprim17ROCPRIM_400000_NS6detail17trampoline_kernelINS0_14default_configENS1_35radix_sort_onesweep_config_selectorIflEEZZNS1_29radix_sort_onesweep_iterationIS3_Lb0EPfS7_N6thrust23THRUST_200600_302600_NS10device_ptrIlEESB_jNS0_19identity_decomposerENS1_16block_id_wrapperIjLb1EEEEE10hipError_tT1_PNSt15iterator_traitsISG_E10value_typeET2_T3_PNSH_ISM_E10value_typeET4_T5_PSR_SS_PNS1_23onesweep_lookback_stateEbbT6_jjT7_P12ihipStream_tbENKUlT_T0_SG_SL_E_clIS7_S7_PlSB_EEDaSZ_S10_SG_SL_EUlSZ_E_NS1_11comp_targetILNS1_3genE6ELNS1_11target_archE950ELNS1_3gpuE13ELNS1_3repE0EEENS1_47radix_sort_onesweep_sort_config_static_selectorELNS0_4arch9wavefront6targetE1EEEvSG_,comdat
	.protected	_ZN7rocprim17ROCPRIM_400000_NS6detail17trampoline_kernelINS0_14default_configENS1_35radix_sort_onesweep_config_selectorIflEEZZNS1_29radix_sort_onesweep_iterationIS3_Lb0EPfS7_N6thrust23THRUST_200600_302600_NS10device_ptrIlEESB_jNS0_19identity_decomposerENS1_16block_id_wrapperIjLb1EEEEE10hipError_tT1_PNSt15iterator_traitsISG_E10value_typeET2_T3_PNSH_ISM_E10value_typeET4_T5_PSR_SS_PNS1_23onesweep_lookback_stateEbbT6_jjT7_P12ihipStream_tbENKUlT_T0_SG_SL_E_clIS7_S7_PlSB_EEDaSZ_S10_SG_SL_EUlSZ_E_NS1_11comp_targetILNS1_3genE6ELNS1_11target_archE950ELNS1_3gpuE13ELNS1_3repE0EEENS1_47radix_sort_onesweep_sort_config_static_selectorELNS0_4arch9wavefront6targetE1EEEvSG_ ; -- Begin function _ZN7rocprim17ROCPRIM_400000_NS6detail17trampoline_kernelINS0_14default_configENS1_35radix_sort_onesweep_config_selectorIflEEZZNS1_29radix_sort_onesweep_iterationIS3_Lb0EPfS7_N6thrust23THRUST_200600_302600_NS10device_ptrIlEESB_jNS0_19identity_decomposerENS1_16block_id_wrapperIjLb1EEEEE10hipError_tT1_PNSt15iterator_traitsISG_E10value_typeET2_T3_PNSH_ISM_E10value_typeET4_T5_PSR_SS_PNS1_23onesweep_lookback_stateEbbT6_jjT7_P12ihipStream_tbENKUlT_T0_SG_SL_E_clIS7_S7_PlSB_EEDaSZ_S10_SG_SL_EUlSZ_E_NS1_11comp_targetILNS1_3genE6ELNS1_11target_archE950ELNS1_3gpuE13ELNS1_3repE0EEENS1_47radix_sort_onesweep_sort_config_static_selectorELNS0_4arch9wavefront6targetE1EEEvSG_
	.globl	_ZN7rocprim17ROCPRIM_400000_NS6detail17trampoline_kernelINS0_14default_configENS1_35radix_sort_onesweep_config_selectorIflEEZZNS1_29radix_sort_onesweep_iterationIS3_Lb0EPfS7_N6thrust23THRUST_200600_302600_NS10device_ptrIlEESB_jNS0_19identity_decomposerENS1_16block_id_wrapperIjLb1EEEEE10hipError_tT1_PNSt15iterator_traitsISG_E10value_typeET2_T3_PNSH_ISM_E10value_typeET4_T5_PSR_SS_PNS1_23onesweep_lookback_stateEbbT6_jjT7_P12ihipStream_tbENKUlT_T0_SG_SL_E_clIS7_S7_PlSB_EEDaSZ_S10_SG_SL_EUlSZ_E_NS1_11comp_targetILNS1_3genE6ELNS1_11target_archE950ELNS1_3gpuE13ELNS1_3repE0EEENS1_47radix_sort_onesweep_sort_config_static_selectorELNS0_4arch9wavefront6targetE1EEEvSG_
	.p2align	8
	.type	_ZN7rocprim17ROCPRIM_400000_NS6detail17trampoline_kernelINS0_14default_configENS1_35radix_sort_onesweep_config_selectorIflEEZZNS1_29radix_sort_onesweep_iterationIS3_Lb0EPfS7_N6thrust23THRUST_200600_302600_NS10device_ptrIlEESB_jNS0_19identity_decomposerENS1_16block_id_wrapperIjLb1EEEEE10hipError_tT1_PNSt15iterator_traitsISG_E10value_typeET2_T3_PNSH_ISM_E10value_typeET4_T5_PSR_SS_PNS1_23onesweep_lookback_stateEbbT6_jjT7_P12ihipStream_tbENKUlT_T0_SG_SL_E_clIS7_S7_PlSB_EEDaSZ_S10_SG_SL_EUlSZ_E_NS1_11comp_targetILNS1_3genE6ELNS1_11target_archE950ELNS1_3gpuE13ELNS1_3repE0EEENS1_47radix_sort_onesweep_sort_config_static_selectorELNS0_4arch9wavefront6targetE1EEEvSG_,@function
_ZN7rocprim17ROCPRIM_400000_NS6detail17trampoline_kernelINS0_14default_configENS1_35radix_sort_onesweep_config_selectorIflEEZZNS1_29radix_sort_onesweep_iterationIS3_Lb0EPfS7_N6thrust23THRUST_200600_302600_NS10device_ptrIlEESB_jNS0_19identity_decomposerENS1_16block_id_wrapperIjLb1EEEEE10hipError_tT1_PNSt15iterator_traitsISG_E10value_typeET2_T3_PNSH_ISM_E10value_typeET4_T5_PSR_SS_PNS1_23onesweep_lookback_stateEbbT6_jjT7_P12ihipStream_tbENKUlT_T0_SG_SL_E_clIS7_S7_PlSB_EEDaSZ_S10_SG_SL_EUlSZ_E_NS1_11comp_targetILNS1_3genE6ELNS1_11target_archE950ELNS1_3gpuE13ELNS1_3repE0EEENS1_47radix_sort_onesweep_sort_config_static_selectorELNS0_4arch9wavefront6targetE1EEEvSG_: ; @_ZN7rocprim17ROCPRIM_400000_NS6detail17trampoline_kernelINS0_14default_configENS1_35radix_sort_onesweep_config_selectorIflEEZZNS1_29radix_sort_onesweep_iterationIS3_Lb0EPfS7_N6thrust23THRUST_200600_302600_NS10device_ptrIlEESB_jNS0_19identity_decomposerENS1_16block_id_wrapperIjLb1EEEEE10hipError_tT1_PNSt15iterator_traitsISG_E10value_typeET2_T3_PNSH_ISM_E10value_typeET4_T5_PSR_SS_PNS1_23onesweep_lookback_stateEbbT6_jjT7_P12ihipStream_tbENKUlT_T0_SG_SL_E_clIS7_S7_PlSB_EEDaSZ_S10_SG_SL_EUlSZ_E_NS1_11comp_targetILNS1_3genE6ELNS1_11target_archE950ELNS1_3gpuE13ELNS1_3repE0EEENS1_47radix_sort_onesweep_sort_config_static_selectorELNS0_4arch9wavefront6targetE1EEEvSG_
; %bb.0:
	.section	.rodata,"a",@progbits
	.p2align	6, 0x0
	.amdhsa_kernel _ZN7rocprim17ROCPRIM_400000_NS6detail17trampoline_kernelINS0_14default_configENS1_35radix_sort_onesweep_config_selectorIflEEZZNS1_29radix_sort_onesweep_iterationIS3_Lb0EPfS7_N6thrust23THRUST_200600_302600_NS10device_ptrIlEESB_jNS0_19identity_decomposerENS1_16block_id_wrapperIjLb1EEEEE10hipError_tT1_PNSt15iterator_traitsISG_E10value_typeET2_T3_PNSH_ISM_E10value_typeET4_T5_PSR_SS_PNS1_23onesweep_lookback_stateEbbT6_jjT7_P12ihipStream_tbENKUlT_T0_SG_SL_E_clIS7_S7_PlSB_EEDaSZ_S10_SG_SL_EUlSZ_E_NS1_11comp_targetILNS1_3genE6ELNS1_11target_archE950ELNS1_3gpuE13ELNS1_3repE0EEENS1_47radix_sort_onesweep_sort_config_static_selectorELNS0_4arch9wavefront6targetE1EEEvSG_
		.amdhsa_group_segment_fixed_size 0
		.amdhsa_private_segment_fixed_size 0
		.amdhsa_kernarg_size 88
		.amdhsa_user_sgpr_count 6
		.amdhsa_user_sgpr_private_segment_buffer 1
		.amdhsa_user_sgpr_dispatch_ptr 0
		.amdhsa_user_sgpr_queue_ptr 0
		.amdhsa_user_sgpr_kernarg_segment_ptr 1
		.amdhsa_user_sgpr_dispatch_id 0
		.amdhsa_user_sgpr_flat_scratch_init 0
		.amdhsa_user_sgpr_kernarg_preload_length 0
		.amdhsa_user_sgpr_kernarg_preload_offset 0
		.amdhsa_user_sgpr_private_segment_size 0
		.amdhsa_uses_dynamic_stack 0
		.amdhsa_system_sgpr_private_segment_wavefront_offset 0
		.amdhsa_system_sgpr_workgroup_id_x 1
		.amdhsa_system_sgpr_workgroup_id_y 0
		.amdhsa_system_sgpr_workgroup_id_z 0
		.amdhsa_system_sgpr_workgroup_info 0
		.amdhsa_system_vgpr_workitem_id 0
		.amdhsa_next_free_vgpr 1
		.amdhsa_next_free_sgpr 0
		.amdhsa_accum_offset 4
		.amdhsa_reserve_vcc 0
		.amdhsa_reserve_flat_scratch 0
		.amdhsa_float_round_mode_32 0
		.amdhsa_float_round_mode_16_64 0
		.amdhsa_float_denorm_mode_32 3
		.amdhsa_float_denorm_mode_16_64 3
		.amdhsa_dx10_clamp 1
		.amdhsa_ieee_mode 1
		.amdhsa_fp16_overflow 0
		.amdhsa_tg_split 0
		.amdhsa_exception_fp_ieee_invalid_op 0
		.amdhsa_exception_fp_denorm_src 0
		.amdhsa_exception_fp_ieee_div_zero 0
		.amdhsa_exception_fp_ieee_overflow 0
		.amdhsa_exception_fp_ieee_underflow 0
		.amdhsa_exception_fp_ieee_inexact 0
		.amdhsa_exception_int_div_zero 0
	.end_amdhsa_kernel
	.section	.text._ZN7rocprim17ROCPRIM_400000_NS6detail17trampoline_kernelINS0_14default_configENS1_35radix_sort_onesweep_config_selectorIflEEZZNS1_29radix_sort_onesweep_iterationIS3_Lb0EPfS7_N6thrust23THRUST_200600_302600_NS10device_ptrIlEESB_jNS0_19identity_decomposerENS1_16block_id_wrapperIjLb1EEEEE10hipError_tT1_PNSt15iterator_traitsISG_E10value_typeET2_T3_PNSH_ISM_E10value_typeET4_T5_PSR_SS_PNS1_23onesweep_lookback_stateEbbT6_jjT7_P12ihipStream_tbENKUlT_T0_SG_SL_E_clIS7_S7_PlSB_EEDaSZ_S10_SG_SL_EUlSZ_E_NS1_11comp_targetILNS1_3genE6ELNS1_11target_archE950ELNS1_3gpuE13ELNS1_3repE0EEENS1_47radix_sort_onesweep_sort_config_static_selectorELNS0_4arch9wavefront6targetE1EEEvSG_,"axG",@progbits,_ZN7rocprim17ROCPRIM_400000_NS6detail17trampoline_kernelINS0_14default_configENS1_35radix_sort_onesweep_config_selectorIflEEZZNS1_29radix_sort_onesweep_iterationIS3_Lb0EPfS7_N6thrust23THRUST_200600_302600_NS10device_ptrIlEESB_jNS0_19identity_decomposerENS1_16block_id_wrapperIjLb1EEEEE10hipError_tT1_PNSt15iterator_traitsISG_E10value_typeET2_T3_PNSH_ISM_E10value_typeET4_T5_PSR_SS_PNS1_23onesweep_lookback_stateEbbT6_jjT7_P12ihipStream_tbENKUlT_T0_SG_SL_E_clIS7_S7_PlSB_EEDaSZ_S10_SG_SL_EUlSZ_E_NS1_11comp_targetILNS1_3genE6ELNS1_11target_archE950ELNS1_3gpuE13ELNS1_3repE0EEENS1_47radix_sort_onesweep_sort_config_static_selectorELNS0_4arch9wavefront6targetE1EEEvSG_,comdat
.Lfunc_end1853:
	.size	_ZN7rocprim17ROCPRIM_400000_NS6detail17trampoline_kernelINS0_14default_configENS1_35radix_sort_onesweep_config_selectorIflEEZZNS1_29radix_sort_onesweep_iterationIS3_Lb0EPfS7_N6thrust23THRUST_200600_302600_NS10device_ptrIlEESB_jNS0_19identity_decomposerENS1_16block_id_wrapperIjLb1EEEEE10hipError_tT1_PNSt15iterator_traitsISG_E10value_typeET2_T3_PNSH_ISM_E10value_typeET4_T5_PSR_SS_PNS1_23onesweep_lookback_stateEbbT6_jjT7_P12ihipStream_tbENKUlT_T0_SG_SL_E_clIS7_S7_PlSB_EEDaSZ_S10_SG_SL_EUlSZ_E_NS1_11comp_targetILNS1_3genE6ELNS1_11target_archE950ELNS1_3gpuE13ELNS1_3repE0EEENS1_47radix_sort_onesweep_sort_config_static_selectorELNS0_4arch9wavefront6targetE1EEEvSG_, .Lfunc_end1853-_ZN7rocprim17ROCPRIM_400000_NS6detail17trampoline_kernelINS0_14default_configENS1_35radix_sort_onesweep_config_selectorIflEEZZNS1_29radix_sort_onesweep_iterationIS3_Lb0EPfS7_N6thrust23THRUST_200600_302600_NS10device_ptrIlEESB_jNS0_19identity_decomposerENS1_16block_id_wrapperIjLb1EEEEE10hipError_tT1_PNSt15iterator_traitsISG_E10value_typeET2_T3_PNSH_ISM_E10value_typeET4_T5_PSR_SS_PNS1_23onesweep_lookback_stateEbbT6_jjT7_P12ihipStream_tbENKUlT_T0_SG_SL_E_clIS7_S7_PlSB_EEDaSZ_S10_SG_SL_EUlSZ_E_NS1_11comp_targetILNS1_3genE6ELNS1_11target_archE950ELNS1_3gpuE13ELNS1_3repE0EEENS1_47radix_sort_onesweep_sort_config_static_selectorELNS0_4arch9wavefront6targetE1EEEvSG_
                                        ; -- End function
	.section	.AMDGPU.csdata,"",@progbits
; Kernel info:
; codeLenInByte = 0
; NumSgprs: 4
; NumVgprs: 0
; NumAgprs: 0
; TotalNumVgprs: 0
; ScratchSize: 0
; MemoryBound: 0
; FloatMode: 240
; IeeeMode: 1
; LDSByteSize: 0 bytes/workgroup (compile time only)
; SGPRBlocks: 0
; VGPRBlocks: 0
; NumSGPRsForWavesPerEU: 4
; NumVGPRsForWavesPerEU: 1
; AccumOffset: 4
; Occupancy: 8
; WaveLimiterHint : 0
; COMPUTE_PGM_RSRC2:SCRATCH_EN: 0
; COMPUTE_PGM_RSRC2:USER_SGPR: 6
; COMPUTE_PGM_RSRC2:TRAP_HANDLER: 0
; COMPUTE_PGM_RSRC2:TGID_X_EN: 1
; COMPUTE_PGM_RSRC2:TGID_Y_EN: 0
; COMPUTE_PGM_RSRC2:TGID_Z_EN: 0
; COMPUTE_PGM_RSRC2:TIDIG_COMP_CNT: 0
; COMPUTE_PGM_RSRC3_GFX90A:ACCUM_OFFSET: 0
; COMPUTE_PGM_RSRC3_GFX90A:TG_SPLIT: 0
	.section	.text._ZN7rocprim17ROCPRIM_400000_NS6detail17trampoline_kernelINS0_14default_configENS1_35radix_sort_onesweep_config_selectorIflEEZZNS1_29radix_sort_onesweep_iterationIS3_Lb0EPfS7_N6thrust23THRUST_200600_302600_NS10device_ptrIlEESB_jNS0_19identity_decomposerENS1_16block_id_wrapperIjLb1EEEEE10hipError_tT1_PNSt15iterator_traitsISG_E10value_typeET2_T3_PNSH_ISM_E10value_typeET4_T5_PSR_SS_PNS1_23onesweep_lookback_stateEbbT6_jjT7_P12ihipStream_tbENKUlT_T0_SG_SL_E_clIS7_S7_PlSB_EEDaSZ_S10_SG_SL_EUlSZ_E_NS1_11comp_targetILNS1_3genE5ELNS1_11target_archE942ELNS1_3gpuE9ELNS1_3repE0EEENS1_47radix_sort_onesweep_sort_config_static_selectorELNS0_4arch9wavefront6targetE1EEEvSG_,"axG",@progbits,_ZN7rocprim17ROCPRIM_400000_NS6detail17trampoline_kernelINS0_14default_configENS1_35radix_sort_onesweep_config_selectorIflEEZZNS1_29radix_sort_onesweep_iterationIS3_Lb0EPfS7_N6thrust23THRUST_200600_302600_NS10device_ptrIlEESB_jNS0_19identity_decomposerENS1_16block_id_wrapperIjLb1EEEEE10hipError_tT1_PNSt15iterator_traitsISG_E10value_typeET2_T3_PNSH_ISM_E10value_typeET4_T5_PSR_SS_PNS1_23onesweep_lookback_stateEbbT6_jjT7_P12ihipStream_tbENKUlT_T0_SG_SL_E_clIS7_S7_PlSB_EEDaSZ_S10_SG_SL_EUlSZ_E_NS1_11comp_targetILNS1_3genE5ELNS1_11target_archE942ELNS1_3gpuE9ELNS1_3repE0EEENS1_47radix_sort_onesweep_sort_config_static_selectorELNS0_4arch9wavefront6targetE1EEEvSG_,comdat
	.protected	_ZN7rocprim17ROCPRIM_400000_NS6detail17trampoline_kernelINS0_14default_configENS1_35radix_sort_onesweep_config_selectorIflEEZZNS1_29radix_sort_onesweep_iterationIS3_Lb0EPfS7_N6thrust23THRUST_200600_302600_NS10device_ptrIlEESB_jNS0_19identity_decomposerENS1_16block_id_wrapperIjLb1EEEEE10hipError_tT1_PNSt15iterator_traitsISG_E10value_typeET2_T3_PNSH_ISM_E10value_typeET4_T5_PSR_SS_PNS1_23onesweep_lookback_stateEbbT6_jjT7_P12ihipStream_tbENKUlT_T0_SG_SL_E_clIS7_S7_PlSB_EEDaSZ_S10_SG_SL_EUlSZ_E_NS1_11comp_targetILNS1_3genE5ELNS1_11target_archE942ELNS1_3gpuE9ELNS1_3repE0EEENS1_47radix_sort_onesweep_sort_config_static_selectorELNS0_4arch9wavefront6targetE1EEEvSG_ ; -- Begin function _ZN7rocprim17ROCPRIM_400000_NS6detail17trampoline_kernelINS0_14default_configENS1_35radix_sort_onesweep_config_selectorIflEEZZNS1_29radix_sort_onesweep_iterationIS3_Lb0EPfS7_N6thrust23THRUST_200600_302600_NS10device_ptrIlEESB_jNS0_19identity_decomposerENS1_16block_id_wrapperIjLb1EEEEE10hipError_tT1_PNSt15iterator_traitsISG_E10value_typeET2_T3_PNSH_ISM_E10value_typeET4_T5_PSR_SS_PNS1_23onesweep_lookback_stateEbbT6_jjT7_P12ihipStream_tbENKUlT_T0_SG_SL_E_clIS7_S7_PlSB_EEDaSZ_S10_SG_SL_EUlSZ_E_NS1_11comp_targetILNS1_3genE5ELNS1_11target_archE942ELNS1_3gpuE9ELNS1_3repE0EEENS1_47radix_sort_onesweep_sort_config_static_selectorELNS0_4arch9wavefront6targetE1EEEvSG_
	.globl	_ZN7rocprim17ROCPRIM_400000_NS6detail17trampoline_kernelINS0_14default_configENS1_35radix_sort_onesweep_config_selectorIflEEZZNS1_29radix_sort_onesweep_iterationIS3_Lb0EPfS7_N6thrust23THRUST_200600_302600_NS10device_ptrIlEESB_jNS0_19identity_decomposerENS1_16block_id_wrapperIjLb1EEEEE10hipError_tT1_PNSt15iterator_traitsISG_E10value_typeET2_T3_PNSH_ISM_E10value_typeET4_T5_PSR_SS_PNS1_23onesweep_lookback_stateEbbT6_jjT7_P12ihipStream_tbENKUlT_T0_SG_SL_E_clIS7_S7_PlSB_EEDaSZ_S10_SG_SL_EUlSZ_E_NS1_11comp_targetILNS1_3genE5ELNS1_11target_archE942ELNS1_3gpuE9ELNS1_3repE0EEENS1_47radix_sort_onesweep_sort_config_static_selectorELNS0_4arch9wavefront6targetE1EEEvSG_
	.p2align	8
	.type	_ZN7rocprim17ROCPRIM_400000_NS6detail17trampoline_kernelINS0_14default_configENS1_35radix_sort_onesweep_config_selectorIflEEZZNS1_29radix_sort_onesweep_iterationIS3_Lb0EPfS7_N6thrust23THRUST_200600_302600_NS10device_ptrIlEESB_jNS0_19identity_decomposerENS1_16block_id_wrapperIjLb1EEEEE10hipError_tT1_PNSt15iterator_traitsISG_E10value_typeET2_T3_PNSH_ISM_E10value_typeET4_T5_PSR_SS_PNS1_23onesweep_lookback_stateEbbT6_jjT7_P12ihipStream_tbENKUlT_T0_SG_SL_E_clIS7_S7_PlSB_EEDaSZ_S10_SG_SL_EUlSZ_E_NS1_11comp_targetILNS1_3genE5ELNS1_11target_archE942ELNS1_3gpuE9ELNS1_3repE0EEENS1_47radix_sort_onesweep_sort_config_static_selectorELNS0_4arch9wavefront6targetE1EEEvSG_,@function
_ZN7rocprim17ROCPRIM_400000_NS6detail17trampoline_kernelINS0_14default_configENS1_35radix_sort_onesweep_config_selectorIflEEZZNS1_29radix_sort_onesweep_iterationIS3_Lb0EPfS7_N6thrust23THRUST_200600_302600_NS10device_ptrIlEESB_jNS0_19identity_decomposerENS1_16block_id_wrapperIjLb1EEEEE10hipError_tT1_PNSt15iterator_traitsISG_E10value_typeET2_T3_PNSH_ISM_E10value_typeET4_T5_PSR_SS_PNS1_23onesweep_lookback_stateEbbT6_jjT7_P12ihipStream_tbENKUlT_T0_SG_SL_E_clIS7_S7_PlSB_EEDaSZ_S10_SG_SL_EUlSZ_E_NS1_11comp_targetILNS1_3genE5ELNS1_11target_archE942ELNS1_3gpuE9ELNS1_3repE0EEENS1_47radix_sort_onesweep_sort_config_static_selectorELNS0_4arch9wavefront6targetE1EEEvSG_: ; @_ZN7rocprim17ROCPRIM_400000_NS6detail17trampoline_kernelINS0_14default_configENS1_35radix_sort_onesweep_config_selectorIflEEZZNS1_29radix_sort_onesweep_iterationIS3_Lb0EPfS7_N6thrust23THRUST_200600_302600_NS10device_ptrIlEESB_jNS0_19identity_decomposerENS1_16block_id_wrapperIjLb1EEEEE10hipError_tT1_PNSt15iterator_traitsISG_E10value_typeET2_T3_PNSH_ISM_E10value_typeET4_T5_PSR_SS_PNS1_23onesweep_lookback_stateEbbT6_jjT7_P12ihipStream_tbENKUlT_T0_SG_SL_E_clIS7_S7_PlSB_EEDaSZ_S10_SG_SL_EUlSZ_E_NS1_11comp_targetILNS1_3genE5ELNS1_11target_archE942ELNS1_3gpuE9ELNS1_3repE0EEENS1_47radix_sort_onesweep_sort_config_static_selectorELNS0_4arch9wavefront6targetE1EEEvSG_
; %bb.0:
	.section	.rodata,"a",@progbits
	.p2align	6, 0x0
	.amdhsa_kernel _ZN7rocprim17ROCPRIM_400000_NS6detail17trampoline_kernelINS0_14default_configENS1_35radix_sort_onesweep_config_selectorIflEEZZNS1_29radix_sort_onesweep_iterationIS3_Lb0EPfS7_N6thrust23THRUST_200600_302600_NS10device_ptrIlEESB_jNS0_19identity_decomposerENS1_16block_id_wrapperIjLb1EEEEE10hipError_tT1_PNSt15iterator_traitsISG_E10value_typeET2_T3_PNSH_ISM_E10value_typeET4_T5_PSR_SS_PNS1_23onesweep_lookback_stateEbbT6_jjT7_P12ihipStream_tbENKUlT_T0_SG_SL_E_clIS7_S7_PlSB_EEDaSZ_S10_SG_SL_EUlSZ_E_NS1_11comp_targetILNS1_3genE5ELNS1_11target_archE942ELNS1_3gpuE9ELNS1_3repE0EEENS1_47radix_sort_onesweep_sort_config_static_selectorELNS0_4arch9wavefront6targetE1EEEvSG_
		.amdhsa_group_segment_fixed_size 0
		.amdhsa_private_segment_fixed_size 0
		.amdhsa_kernarg_size 88
		.amdhsa_user_sgpr_count 6
		.amdhsa_user_sgpr_private_segment_buffer 1
		.amdhsa_user_sgpr_dispatch_ptr 0
		.amdhsa_user_sgpr_queue_ptr 0
		.amdhsa_user_sgpr_kernarg_segment_ptr 1
		.amdhsa_user_sgpr_dispatch_id 0
		.amdhsa_user_sgpr_flat_scratch_init 0
		.amdhsa_user_sgpr_kernarg_preload_length 0
		.amdhsa_user_sgpr_kernarg_preload_offset 0
		.amdhsa_user_sgpr_private_segment_size 0
		.amdhsa_uses_dynamic_stack 0
		.amdhsa_system_sgpr_private_segment_wavefront_offset 0
		.amdhsa_system_sgpr_workgroup_id_x 1
		.amdhsa_system_sgpr_workgroup_id_y 0
		.amdhsa_system_sgpr_workgroup_id_z 0
		.amdhsa_system_sgpr_workgroup_info 0
		.amdhsa_system_vgpr_workitem_id 0
		.amdhsa_next_free_vgpr 1
		.amdhsa_next_free_sgpr 0
		.amdhsa_accum_offset 4
		.amdhsa_reserve_vcc 0
		.amdhsa_reserve_flat_scratch 0
		.amdhsa_float_round_mode_32 0
		.amdhsa_float_round_mode_16_64 0
		.amdhsa_float_denorm_mode_32 3
		.amdhsa_float_denorm_mode_16_64 3
		.amdhsa_dx10_clamp 1
		.amdhsa_ieee_mode 1
		.amdhsa_fp16_overflow 0
		.amdhsa_tg_split 0
		.amdhsa_exception_fp_ieee_invalid_op 0
		.amdhsa_exception_fp_denorm_src 0
		.amdhsa_exception_fp_ieee_div_zero 0
		.amdhsa_exception_fp_ieee_overflow 0
		.amdhsa_exception_fp_ieee_underflow 0
		.amdhsa_exception_fp_ieee_inexact 0
		.amdhsa_exception_int_div_zero 0
	.end_amdhsa_kernel
	.section	.text._ZN7rocprim17ROCPRIM_400000_NS6detail17trampoline_kernelINS0_14default_configENS1_35radix_sort_onesweep_config_selectorIflEEZZNS1_29radix_sort_onesweep_iterationIS3_Lb0EPfS7_N6thrust23THRUST_200600_302600_NS10device_ptrIlEESB_jNS0_19identity_decomposerENS1_16block_id_wrapperIjLb1EEEEE10hipError_tT1_PNSt15iterator_traitsISG_E10value_typeET2_T3_PNSH_ISM_E10value_typeET4_T5_PSR_SS_PNS1_23onesweep_lookback_stateEbbT6_jjT7_P12ihipStream_tbENKUlT_T0_SG_SL_E_clIS7_S7_PlSB_EEDaSZ_S10_SG_SL_EUlSZ_E_NS1_11comp_targetILNS1_3genE5ELNS1_11target_archE942ELNS1_3gpuE9ELNS1_3repE0EEENS1_47radix_sort_onesweep_sort_config_static_selectorELNS0_4arch9wavefront6targetE1EEEvSG_,"axG",@progbits,_ZN7rocprim17ROCPRIM_400000_NS6detail17trampoline_kernelINS0_14default_configENS1_35radix_sort_onesweep_config_selectorIflEEZZNS1_29radix_sort_onesweep_iterationIS3_Lb0EPfS7_N6thrust23THRUST_200600_302600_NS10device_ptrIlEESB_jNS0_19identity_decomposerENS1_16block_id_wrapperIjLb1EEEEE10hipError_tT1_PNSt15iterator_traitsISG_E10value_typeET2_T3_PNSH_ISM_E10value_typeET4_T5_PSR_SS_PNS1_23onesweep_lookback_stateEbbT6_jjT7_P12ihipStream_tbENKUlT_T0_SG_SL_E_clIS7_S7_PlSB_EEDaSZ_S10_SG_SL_EUlSZ_E_NS1_11comp_targetILNS1_3genE5ELNS1_11target_archE942ELNS1_3gpuE9ELNS1_3repE0EEENS1_47radix_sort_onesweep_sort_config_static_selectorELNS0_4arch9wavefront6targetE1EEEvSG_,comdat
.Lfunc_end1854:
	.size	_ZN7rocprim17ROCPRIM_400000_NS6detail17trampoline_kernelINS0_14default_configENS1_35radix_sort_onesweep_config_selectorIflEEZZNS1_29radix_sort_onesweep_iterationIS3_Lb0EPfS7_N6thrust23THRUST_200600_302600_NS10device_ptrIlEESB_jNS0_19identity_decomposerENS1_16block_id_wrapperIjLb1EEEEE10hipError_tT1_PNSt15iterator_traitsISG_E10value_typeET2_T3_PNSH_ISM_E10value_typeET4_T5_PSR_SS_PNS1_23onesweep_lookback_stateEbbT6_jjT7_P12ihipStream_tbENKUlT_T0_SG_SL_E_clIS7_S7_PlSB_EEDaSZ_S10_SG_SL_EUlSZ_E_NS1_11comp_targetILNS1_3genE5ELNS1_11target_archE942ELNS1_3gpuE9ELNS1_3repE0EEENS1_47radix_sort_onesweep_sort_config_static_selectorELNS0_4arch9wavefront6targetE1EEEvSG_, .Lfunc_end1854-_ZN7rocprim17ROCPRIM_400000_NS6detail17trampoline_kernelINS0_14default_configENS1_35radix_sort_onesweep_config_selectorIflEEZZNS1_29radix_sort_onesweep_iterationIS3_Lb0EPfS7_N6thrust23THRUST_200600_302600_NS10device_ptrIlEESB_jNS0_19identity_decomposerENS1_16block_id_wrapperIjLb1EEEEE10hipError_tT1_PNSt15iterator_traitsISG_E10value_typeET2_T3_PNSH_ISM_E10value_typeET4_T5_PSR_SS_PNS1_23onesweep_lookback_stateEbbT6_jjT7_P12ihipStream_tbENKUlT_T0_SG_SL_E_clIS7_S7_PlSB_EEDaSZ_S10_SG_SL_EUlSZ_E_NS1_11comp_targetILNS1_3genE5ELNS1_11target_archE942ELNS1_3gpuE9ELNS1_3repE0EEENS1_47radix_sort_onesweep_sort_config_static_selectorELNS0_4arch9wavefront6targetE1EEEvSG_
                                        ; -- End function
	.section	.AMDGPU.csdata,"",@progbits
; Kernel info:
; codeLenInByte = 0
; NumSgprs: 4
; NumVgprs: 0
; NumAgprs: 0
; TotalNumVgprs: 0
; ScratchSize: 0
; MemoryBound: 0
; FloatMode: 240
; IeeeMode: 1
; LDSByteSize: 0 bytes/workgroup (compile time only)
; SGPRBlocks: 0
; VGPRBlocks: 0
; NumSGPRsForWavesPerEU: 4
; NumVGPRsForWavesPerEU: 1
; AccumOffset: 4
; Occupancy: 8
; WaveLimiterHint : 0
; COMPUTE_PGM_RSRC2:SCRATCH_EN: 0
; COMPUTE_PGM_RSRC2:USER_SGPR: 6
; COMPUTE_PGM_RSRC2:TRAP_HANDLER: 0
; COMPUTE_PGM_RSRC2:TGID_X_EN: 1
; COMPUTE_PGM_RSRC2:TGID_Y_EN: 0
; COMPUTE_PGM_RSRC2:TGID_Z_EN: 0
; COMPUTE_PGM_RSRC2:TIDIG_COMP_CNT: 0
; COMPUTE_PGM_RSRC3_GFX90A:ACCUM_OFFSET: 0
; COMPUTE_PGM_RSRC3_GFX90A:TG_SPLIT: 0
	.section	.text._ZN7rocprim17ROCPRIM_400000_NS6detail17trampoline_kernelINS0_14default_configENS1_35radix_sort_onesweep_config_selectorIflEEZZNS1_29radix_sort_onesweep_iterationIS3_Lb0EPfS7_N6thrust23THRUST_200600_302600_NS10device_ptrIlEESB_jNS0_19identity_decomposerENS1_16block_id_wrapperIjLb1EEEEE10hipError_tT1_PNSt15iterator_traitsISG_E10value_typeET2_T3_PNSH_ISM_E10value_typeET4_T5_PSR_SS_PNS1_23onesweep_lookback_stateEbbT6_jjT7_P12ihipStream_tbENKUlT_T0_SG_SL_E_clIS7_S7_PlSB_EEDaSZ_S10_SG_SL_EUlSZ_E_NS1_11comp_targetILNS1_3genE2ELNS1_11target_archE906ELNS1_3gpuE6ELNS1_3repE0EEENS1_47radix_sort_onesweep_sort_config_static_selectorELNS0_4arch9wavefront6targetE1EEEvSG_,"axG",@progbits,_ZN7rocprim17ROCPRIM_400000_NS6detail17trampoline_kernelINS0_14default_configENS1_35radix_sort_onesweep_config_selectorIflEEZZNS1_29radix_sort_onesweep_iterationIS3_Lb0EPfS7_N6thrust23THRUST_200600_302600_NS10device_ptrIlEESB_jNS0_19identity_decomposerENS1_16block_id_wrapperIjLb1EEEEE10hipError_tT1_PNSt15iterator_traitsISG_E10value_typeET2_T3_PNSH_ISM_E10value_typeET4_T5_PSR_SS_PNS1_23onesweep_lookback_stateEbbT6_jjT7_P12ihipStream_tbENKUlT_T0_SG_SL_E_clIS7_S7_PlSB_EEDaSZ_S10_SG_SL_EUlSZ_E_NS1_11comp_targetILNS1_3genE2ELNS1_11target_archE906ELNS1_3gpuE6ELNS1_3repE0EEENS1_47radix_sort_onesweep_sort_config_static_selectorELNS0_4arch9wavefront6targetE1EEEvSG_,comdat
	.protected	_ZN7rocprim17ROCPRIM_400000_NS6detail17trampoline_kernelINS0_14default_configENS1_35radix_sort_onesweep_config_selectorIflEEZZNS1_29radix_sort_onesweep_iterationIS3_Lb0EPfS7_N6thrust23THRUST_200600_302600_NS10device_ptrIlEESB_jNS0_19identity_decomposerENS1_16block_id_wrapperIjLb1EEEEE10hipError_tT1_PNSt15iterator_traitsISG_E10value_typeET2_T3_PNSH_ISM_E10value_typeET4_T5_PSR_SS_PNS1_23onesweep_lookback_stateEbbT6_jjT7_P12ihipStream_tbENKUlT_T0_SG_SL_E_clIS7_S7_PlSB_EEDaSZ_S10_SG_SL_EUlSZ_E_NS1_11comp_targetILNS1_3genE2ELNS1_11target_archE906ELNS1_3gpuE6ELNS1_3repE0EEENS1_47radix_sort_onesweep_sort_config_static_selectorELNS0_4arch9wavefront6targetE1EEEvSG_ ; -- Begin function _ZN7rocprim17ROCPRIM_400000_NS6detail17trampoline_kernelINS0_14default_configENS1_35radix_sort_onesweep_config_selectorIflEEZZNS1_29radix_sort_onesweep_iterationIS3_Lb0EPfS7_N6thrust23THRUST_200600_302600_NS10device_ptrIlEESB_jNS0_19identity_decomposerENS1_16block_id_wrapperIjLb1EEEEE10hipError_tT1_PNSt15iterator_traitsISG_E10value_typeET2_T3_PNSH_ISM_E10value_typeET4_T5_PSR_SS_PNS1_23onesweep_lookback_stateEbbT6_jjT7_P12ihipStream_tbENKUlT_T0_SG_SL_E_clIS7_S7_PlSB_EEDaSZ_S10_SG_SL_EUlSZ_E_NS1_11comp_targetILNS1_3genE2ELNS1_11target_archE906ELNS1_3gpuE6ELNS1_3repE0EEENS1_47radix_sort_onesweep_sort_config_static_selectorELNS0_4arch9wavefront6targetE1EEEvSG_
	.globl	_ZN7rocprim17ROCPRIM_400000_NS6detail17trampoline_kernelINS0_14default_configENS1_35radix_sort_onesweep_config_selectorIflEEZZNS1_29radix_sort_onesweep_iterationIS3_Lb0EPfS7_N6thrust23THRUST_200600_302600_NS10device_ptrIlEESB_jNS0_19identity_decomposerENS1_16block_id_wrapperIjLb1EEEEE10hipError_tT1_PNSt15iterator_traitsISG_E10value_typeET2_T3_PNSH_ISM_E10value_typeET4_T5_PSR_SS_PNS1_23onesweep_lookback_stateEbbT6_jjT7_P12ihipStream_tbENKUlT_T0_SG_SL_E_clIS7_S7_PlSB_EEDaSZ_S10_SG_SL_EUlSZ_E_NS1_11comp_targetILNS1_3genE2ELNS1_11target_archE906ELNS1_3gpuE6ELNS1_3repE0EEENS1_47radix_sort_onesweep_sort_config_static_selectorELNS0_4arch9wavefront6targetE1EEEvSG_
	.p2align	8
	.type	_ZN7rocprim17ROCPRIM_400000_NS6detail17trampoline_kernelINS0_14default_configENS1_35radix_sort_onesweep_config_selectorIflEEZZNS1_29radix_sort_onesweep_iterationIS3_Lb0EPfS7_N6thrust23THRUST_200600_302600_NS10device_ptrIlEESB_jNS0_19identity_decomposerENS1_16block_id_wrapperIjLb1EEEEE10hipError_tT1_PNSt15iterator_traitsISG_E10value_typeET2_T3_PNSH_ISM_E10value_typeET4_T5_PSR_SS_PNS1_23onesweep_lookback_stateEbbT6_jjT7_P12ihipStream_tbENKUlT_T0_SG_SL_E_clIS7_S7_PlSB_EEDaSZ_S10_SG_SL_EUlSZ_E_NS1_11comp_targetILNS1_3genE2ELNS1_11target_archE906ELNS1_3gpuE6ELNS1_3repE0EEENS1_47radix_sort_onesweep_sort_config_static_selectorELNS0_4arch9wavefront6targetE1EEEvSG_,@function
_ZN7rocprim17ROCPRIM_400000_NS6detail17trampoline_kernelINS0_14default_configENS1_35radix_sort_onesweep_config_selectorIflEEZZNS1_29radix_sort_onesweep_iterationIS3_Lb0EPfS7_N6thrust23THRUST_200600_302600_NS10device_ptrIlEESB_jNS0_19identity_decomposerENS1_16block_id_wrapperIjLb1EEEEE10hipError_tT1_PNSt15iterator_traitsISG_E10value_typeET2_T3_PNSH_ISM_E10value_typeET4_T5_PSR_SS_PNS1_23onesweep_lookback_stateEbbT6_jjT7_P12ihipStream_tbENKUlT_T0_SG_SL_E_clIS7_S7_PlSB_EEDaSZ_S10_SG_SL_EUlSZ_E_NS1_11comp_targetILNS1_3genE2ELNS1_11target_archE906ELNS1_3gpuE6ELNS1_3repE0EEENS1_47radix_sort_onesweep_sort_config_static_selectorELNS0_4arch9wavefront6targetE1EEEvSG_: ; @_ZN7rocprim17ROCPRIM_400000_NS6detail17trampoline_kernelINS0_14default_configENS1_35radix_sort_onesweep_config_selectorIflEEZZNS1_29radix_sort_onesweep_iterationIS3_Lb0EPfS7_N6thrust23THRUST_200600_302600_NS10device_ptrIlEESB_jNS0_19identity_decomposerENS1_16block_id_wrapperIjLb1EEEEE10hipError_tT1_PNSt15iterator_traitsISG_E10value_typeET2_T3_PNSH_ISM_E10value_typeET4_T5_PSR_SS_PNS1_23onesweep_lookback_stateEbbT6_jjT7_P12ihipStream_tbENKUlT_T0_SG_SL_E_clIS7_S7_PlSB_EEDaSZ_S10_SG_SL_EUlSZ_E_NS1_11comp_targetILNS1_3genE2ELNS1_11target_archE906ELNS1_3gpuE6ELNS1_3repE0EEENS1_47radix_sort_onesweep_sort_config_static_selectorELNS0_4arch9wavefront6targetE1EEEvSG_
; %bb.0:
	.section	.rodata,"a",@progbits
	.p2align	6, 0x0
	.amdhsa_kernel _ZN7rocprim17ROCPRIM_400000_NS6detail17trampoline_kernelINS0_14default_configENS1_35radix_sort_onesweep_config_selectorIflEEZZNS1_29radix_sort_onesweep_iterationIS3_Lb0EPfS7_N6thrust23THRUST_200600_302600_NS10device_ptrIlEESB_jNS0_19identity_decomposerENS1_16block_id_wrapperIjLb1EEEEE10hipError_tT1_PNSt15iterator_traitsISG_E10value_typeET2_T3_PNSH_ISM_E10value_typeET4_T5_PSR_SS_PNS1_23onesweep_lookback_stateEbbT6_jjT7_P12ihipStream_tbENKUlT_T0_SG_SL_E_clIS7_S7_PlSB_EEDaSZ_S10_SG_SL_EUlSZ_E_NS1_11comp_targetILNS1_3genE2ELNS1_11target_archE906ELNS1_3gpuE6ELNS1_3repE0EEENS1_47radix_sort_onesweep_sort_config_static_selectorELNS0_4arch9wavefront6targetE1EEEvSG_
		.amdhsa_group_segment_fixed_size 0
		.amdhsa_private_segment_fixed_size 0
		.amdhsa_kernarg_size 88
		.amdhsa_user_sgpr_count 6
		.amdhsa_user_sgpr_private_segment_buffer 1
		.amdhsa_user_sgpr_dispatch_ptr 0
		.amdhsa_user_sgpr_queue_ptr 0
		.amdhsa_user_sgpr_kernarg_segment_ptr 1
		.amdhsa_user_sgpr_dispatch_id 0
		.amdhsa_user_sgpr_flat_scratch_init 0
		.amdhsa_user_sgpr_kernarg_preload_length 0
		.amdhsa_user_sgpr_kernarg_preload_offset 0
		.amdhsa_user_sgpr_private_segment_size 0
		.amdhsa_uses_dynamic_stack 0
		.amdhsa_system_sgpr_private_segment_wavefront_offset 0
		.amdhsa_system_sgpr_workgroup_id_x 1
		.amdhsa_system_sgpr_workgroup_id_y 0
		.amdhsa_system_sgpr_workgroup_id_z 0
		.amdhsa_system_sgpr_workgroup_info 0
		.amdhsa_system_vgpr_workitem_id 0
		.amdhsa_next_free_vgpr 1
		.amdhsa_next_free_sgpr 0
		.amdhsa_accum_offset 4
		.amdhsa_reserve_vcc 0
		.amdhsa_reserve_flat_scratch 0
		.amdhsa_float_round_mode_32 0
		.amdhsa_float_round_mode_16_64 0
		.amdhsa_float_denorm_mode_32 3
		.amdhsa_float_denorm_mode_16_64 3
		.amdhsa_dx10_clamp 1
		.amdhsa_ieee_mode 1
		.amdhsa_fp16_overflow 0
		.amdhsa_tg_split 0
		.amdhsa_exception_fp_ieee_invalid_op 0
		.amdhsa_exception_fp_denorm_src 0
		.amdhsa_exception_fp_ieee_div_zero 0
		.amdhsa_exception_fp_ieee_overflow 0
		.amdhsa_exception_fp_ieee_underflow 0
		.amdhsa_exception_fp_ieee_inexact 0
		.amdhsa_exception_int_div_zero 0
	.end_amdhsa_kernel
	.section	.text._ZN7rocprim17ROCPRIM_400000_NS6detail17trampoline_kernelINS0_14default_configENS1_35radix_sort_onesweep_config_selectorIflEEZZNS1_29radix_sort_onesweep_iterationIS3_Lb0EPfS7_N6thrust23THRUST_200600_302600_NS10device_ptrIlEESB_jNS0_19identity_decomposerENS1_16block_id_wrapperIjLb1EEEEE10hipError_tT1_PNSt15iterator_traitsISG_E10value_typeET2_T3_PNSH_ISM_E10value_typeET4_T5_PSR_SS_PNS1_23onesweep_lookback_stateEbbT6_jjT7_P12ihipStream_tbENKUlT_T0_SG_SL_E_clIS7_S7_PlSB_EEDaSZ_S10_SG_SL_EUlSZ_E_NS1_11comp_targetILNS1_3genE2ELNS1_11target_archE906ELNS1_3gpuE6ELNS1_3repE0EEENS1_47radix_sort_onesweep_sort_config_static_selectorELNS0_4arch9wavefront6targetE1EEEvSG_,"axG",@progbits,_ZN7rocprim17ROCPRIM_400000_NS6detail17trampoline_kernelINS0_14default_configENS1_35radix_sort_onesweep_config_selectorIflEEZZNS1_29radix_sort_onesweep_iterationIS3_Lb0EPfS7_N6thrust23THRUST_200600_302600_NS10device_ptrIlEESB_jNS0_19identity_decomposerENS1_16block_id_wrapperIjLb1EEEEE10hipError_tT1_PNSt15iterator_traitsISG_E10value_typeET2_T3_PNSH_ISM_E10value_typeET4_T5_PSR_SS_PNS1_23onesweep_lookback_stateEbbT6_jjT7_P12ihipStream_tbENKUlT_T0_SG_SL_E_clIS7_S7_PlSB_EEDaSZ_S10_SG_SL_EUlSZ_E_NS1_11comp_targetILNS1_3genE2ELNS1_11target_archE906ELNS1_3gpuE6ELNS1_3repE0EEENS1_47radix_sort_onesweep_sort_config_static_selectorELNS0_4arch9wavefront6targetE1EEEvSG_,comdat
.Lfunc_end1855:
	.size	_ZN7rocprim17ROCPRIM_400000_NS6detail17trampoline_kernelINS0_14default_configENS1_35radix_sort_onesweep_config_selectorIflEEZZNS1_29radix_sort_onesweep_iterationIS3_Lb0EPfS7_N6thrust23THRUST_200600_302600_NS10device_ptrIlEESB_jNS0_19identity_decomposerENS1_16block_id_wrapperIjLb1EEEEE10hipError_tT1_PNSt15iterator_traitsISG_E10value_typeET2_T3_PNSH_ISM_E10value_typeET4_T5_PSR_SS_PNS1_23onesweep_lookback_stateEbbT6_jjT7_P12ihipStream_tbENKUlT_T0_SG_SL_E_clIS7_S7_PlSB_EEDaSZ_S10_SG_SL_EUlSZ_E_NS1_11comp_targetILNS1_3genE2ELNS1_11target_archE906ELNS1_3gpuE6ELNS1_3repE0EEENS1_47radix_sort_onesweep_sort_config_static_selectorELNS0_4arch9wavefront6targetE1EEEvSG_, .Lfunc_end1855-_ZN7rocprim17ROCPRIM_400000_NS6detail17trampoline_kernelINS0_14default_configENS1_35radix_sort_onesweep_config_selectorIflEEZZNS1_29radix_sort_onesweep_iterationIS3_Lb0EPfS7_N6thrust23THRUST_200600_302600_NS10device_ptrIlEESB_jNS0_19identity_decomposerENS1_16block_id_wrapperIjLb1EEEEE10hipError_tT1_PNSt15iterator_traitsISG_E10value_typeET2_T3_PNSH_ISM_E10value_typeET4_T5_PSR_SS_PNS1_23onesweep_lookback_stateEbbT6_jjT7_P12ihipStream_tbENKUlT_T0_SG_SL_E_clIS7_S7_PlSB_EEDaSZ_S10_SG_SL_EUlSZ_E_NS1_11comp_targetILNS1_3genE2ELNS1_11target_archE906ELNS1_3gpuE6ELNS1_3repE0EEENS1_47radix_sort_onesweep_sort_config_static_selectorELNS0_4arch9wavefront6targetE1EEEvSG_
                                        ; -- End function
	.section	.AMDGPU.csdata,"",@progbits
; Kernel info:
; codeLenInByte = 0
; NumSgprs: 4
; NumVgprs: 0
; NumAgprs: 0
; TotalNumVgprs: 0
; ScratchSize: 0
; MemoryBound: 0
; FloatMode: 240
; IeeeMode: 1
; LDSByteSize: 0 bytes/workgroup (compile time only)
; SGPRBlocks: 0
; VGPRBlocks: 0
; NumSGPRsForWavesPerEU: 4
; NumVGPRsForWavesPerEU: 1
; AccumOffset: 4
; Occupancy: 8
; WaveLimiterHint : 0
; COMPUTE_PGM_RSRC2:SCRATCH_EN: 0
; COMPUTE_PGM_RSRC2:USER_SGPR: 6
; COMPUTE_PGM_RSRC2:TRAP_HANDLER: 0
; COMPUTE_PGM_RSRC2:TGID_X_EN: 1
; COMPUTE_PGM_RSRC2:TGID_Y_EN: 0
; COMPUTE_PGM_RSRC2:TGID_Z_EN: 0
; COMPUTE_PGM_RSRC2:TIDIG_COMP_CNT: 0
; COMPUTE_PGM_RSRC3_GFX90A:ACCUM_OFFSET: 0
; COMPUTE_PGM_RSRC3_GFX90A:TG_SPLIT: 0
	.section	.text._ZN7rocprim17ROCPRIM_400000_NS6detail17trampoline_kernelINS0_14default_configENS1_35radix_sort_onesweep_config_selectorIflEEZZNS1_29radix_sort_onesweep_iterationIS3_Lb0EPfS7_N6thrust23THRUST_200600_302600_NS10device_ptrIlEESB_jNS0_19identity_decomposerENS1_16block_id_wrapperIjLb1EEEEE10hipError_tT1_PNSt15iterator_traitsISG_E10value_typeET2_T3_PNSH_ISM_E10value_typeET4_T5_PSR_SS_PNS1_23onesweep_lookback_stateEbbT6_jjT7_P12ihipStream_tbENKUlT_T0_SG_SL_E_clIS7_S7_PlSB_EEDaSZ_S10_SG_SL_EUlSZ_E_NS1_11comp_targetILNS1_3genE4ELNS1_11target_archE910ELNS1_3gpuE8ELNS1_3repE0EEENS1_47radix_sort_onesweep_sort_config_static_selectorELNS0_4arch9wavefront6targetE1EEEvSG_,"axG",@progbits,_ZN7rocprim17ROCPRIM_400000_NS6detail17trampoline_kernelINS0_14default_configENS1_35radix_sort_onesweep_config_selectorIflEEZZNS1_29radix_sort_onesweep_iterationIS3_Lb0EPfS7_N6thrust23THRUST_200600_302600_NS10device_ptrIlEESB_jNS0_19identity_decomposerENS1_16block_id_wrapperIjLb1EEEEE10hipError_tT1_PNSt15iterator_traitsISG_E10value_typeET2_T3_PNSH_ISM_E10value_typeET4_T5_PSR_SS_PNS1_23onesweep_lookback_stateEbbT6_jjT7_P12ihipStream_tbENKUlT_T0_SG_SL_E_clIS7_S7_PlSB_EEDaSZ_S10_SG_SL_EUlSZ_E_NS1_11comp_targetILNS1_3genE4ELNS1_11target_archE910ELNS1_3gpuE8ELNS1_3repE0EEENS1_47radix_sort_onesweep_sort_config_static_selectorELNS0_4arch9wavefront6targetE1EEEvSG_,comdat
	.protected	_ZN7rocprim17ROCPRIM_400000_NS6detail17trampoline_kernelINS0_14default_configENS1_35radix_sort_onesweep_config_selectorIflEEZZNS1_29radix_sort_onesweep_iterationIS3_Lb0EPfS7_N6thrust23THRUST_200600_302600_NS10device_ptrIlEESB_jNS0_19identity_decomposerENS1_16block_id_wrapperIjLb1EEEEE10hipError_tT1_PNSt15iterator_traitsISG_E10value_typeET2_T3_PNSH_ISM_E10value_typeET4_T5_PSR_SS_PNS1_23onesweep_lookback_stateEbbT6_jjT7_P12ihipStream_tbENKUlT_T0_SG_SL_E_clIS7_S7_PlSB_EEDaSZ_S10_SG_SL_EUlSZ_E_NS1_11comp_targetILNS1_3genE4ELNS1_11target_archE910ELNS1_3gpuE8ELNS1_3repE0EEENS1_47radix_sort_onesweep_sort_config_static_selectorELNS0_4arch9wavefront6targetE1EEEvSG_ ; -- Begin function _ZN7rocprim17ROCPRIM_400000_NS6detail17trampoline_kernelINS0_14default_configENS1_35radix_sort_onesweep_config_selectorIflEEZZNS1_29radix_sort_onesweep_iterationIS3_Lb0EPfS7_N6thrust23THRUST_200600_302600_NS10device_ptrIlEESB_jNS0_19identity_decomposerENS1_16block_id_wrapperIjLb1EEEEE10hipError_tT1_PNSt15iterator_traitsISG_E10value_typeET2_T3_PNSH_ISM_E10value_typeET4_T5_PSR_SS_PNS1_23onesweep_lookback_stateEbbT6_jjT7_P12ihipStream_tbENKUlT_T0_SG_SL_E_clIS7_S7_PlSB_EEDaSZ_S10_SG_SL_EUlSZ_E_NS1_11comp_targetILNS1_3genE4ELNS1_11target_archE910ELNS1_3gpuE8ELNS1_3repE0EEENS1_47radix_sort_onesweep_sort_config_static_selectorELNS0_4arch9wavefront6targetE1EEEvSG_
	.globl	_ZN7rocprim17ROCPRIM_400000_NS6detail17trampoline_kernelINS0_14default_configENS1_35radix_sort_onesweep_config_selectorIflEEZZNS1_29radix_sort_onesweep_iterationIS3_Lb0EPfS7_N6thrust23THRUST_200600_302600_NS10device_ptrIlEESB_jNS0_19identity_decomposerENS1_16block_id_wrapperIjLb1EEEEE10hipError_tT1_PNSt15iterator_traitsISG_E10value_typeET2_T3_PNSH_ISM_E10value_typeET4_T5_PSR_SS_PNS1_23onesweep_lookback_stateEbbT6_jjT7_P12ihipStream_tbENKUlT_T0_SG_SL_E_clIS7_S7_PlSB_EEDaSZ_S10_SG_SL_EUlSZ_E_NS1_11comp_targetILNS1_3genE4ELNS1_11target_archE910ELNS1_3gpuE8ELNS1_3repE0EEENS1_47radix_sort_onesweep_sort_config_static_selectorELNS0_4arch9wavefront6targetE1EEEvSG_
	.p2align	8
	.type	_ZN7rocprim17ROCPRIM_400000_NS6detail17trampoline_kernelINS0_14default_configENS1_35radix_sort_onesweep_config_selectorIflEEZZNS1_29radix_sort_onesweep_iterationIS3_Lb0EPfS7_N6thrust23THRUST_200600_302600_NS10device_ptrIlEESB_jNS0_19identity_decomposerENS1_16block_id_wrapperIjLb1EEEEE10hipError_tT1_PNSt15iterator_traitsISG_E10value_typeET2_T3_PNSH_ISM_E10value_typeET4_T5_PSR_SS_PNS1_23onesweep_lookback_stateEbbT6_jjT7_P12ihipStream_tbENKUlT_T0_SG_SL_E_clIS7_S7_PlSB_EEDaSZ_S10_SG_SL_EUlSZ_E_NS1_11comp_targetILNS1_3genE4ELNS1_11target_archE910ELNS1_3gpuE8ELNS1_3repE0EEENS1_47radix_sort_onesweep_sort_config_static_selectorELNS0_4arch9wavefront6targetE1EEEvSG_,@function
_ZN7rocprim17ROCPRIM_400000_NS6detail17trampoline_kernelINS0_14default_configENS1_35radix_sort_onesweep_config_selectorIflEEZZNS1_29radix_sort_onesweep_iterationIS3_Lb0EPfS7_N6thrust23THRUST_200600_302600_NS10device_ptrIlEESB_jNS0_19identity_decomposerENS1_16block_id_wrapperIjLb1EEEEE10hipError_tT1_PNSt15iterator_traitsISG_E10value_typeET2_T3_PNSH_ISM_E10value_typeET4_T5_PSR_SS_PNS1_23onesweep_lookback_stateEbbT6_jjT7_P12ihipStream_tbENKUlT_T0_SG_SL_E_clIS7_S7_PlSB_EEDaSZ_S10_SG_SL_EUlSZ_E_NS1_11comp_targetILNS1_3genE4ELNS1_11target_archE910ELNS1_3gpuE8ELNS1_3repE0EEENS1_47radix_sort_onesweep_sort_config_static_selectorELNS0_4arch9wavefront6targetE1EEEvSG_: ; @_ZN7rocprim17ROCPRIM_400000_NS6detail17trampoline_kernelINS0_14default_configENS1_35radix_sort_onesweep_config_selectorIflEEZZNS1_29radix_sort_onesweep_iterationIS3_Lb0EPfS7_N6thrust23THRUST_200600_302600_NS10device_ptrIlEESB_jNS0_19identity_decomposerENS1_16block_id_wrapperIjLb1EEEEE10hipError_tT1_PNSt15iterator_traitsISG_E10value_typeET2_T3_PNSH_ISM_E10value_typeET4_T5_PSR_SS_PNS1_23onesweep_lookback_stateEbbT6_jjT7_P12ihipStream_tbENKUlT_T0_SG_SL_E_clIS7_S7_PlSB_EEDaSZ_S10_SG_SL_EUlSZ_E_NS1_11comp_targetILNS1_3genE4ELNS1_11target_archE910ELNS1_3gpuE8ELNS1_3repE0EEENS1_47radix_sort_onesweep_sort_config_static_selectorELNS0_4arch9wavefront6targetE1EEEvSG_
; %bb.0:
	s_load_dwordx4 s[44:47], s[4:5], 0x28
	s_load_dwordx2 s[30:31], s[4:5], 0x38
	s_load_dwordx4 s[48:51], s[4:5], 0x44
	v_and_b32_e32 v10, 0x3ff, v0
	v_cmp_eq_u32_e64 s[0:1], 0, v10
	s_and_saveexec_b64 s[2:3], s[0:1]
	s_cbranch_execz .LBB1856_4
; %bb.1:
	s_mov_b64 s[10:11], exec
	v_mbcnt_lo_u32_b32 v1, s10, 0
	v_mbcnt_hi_u32_b32 v1, s11, v1
	v_cmp_eq_u32_e32 vcc, 0, v1
                                        ; implicit-def: $vgpr2
	s_and_saveexec_b64 s[8:9], vcc
	s_cbranch_execz .LBB1856_3
; %bb.2:
	s_load_dwordx2 s[12:13], s[4:5], 0x50
	s_bcnt1_i32_b64 s7, s[10:11]
	v_mov_b32_e32 v2, 0
	v_mov_b32_e32 v3, s7
	s_waitcnt lgkmcnt(0)
	global_atomic_add v2, v2, v3, s[12:13] glc
.LBB1856_3:
	s_or_b64 exec, exec, s[8:9]
	s_waitcnt vmcnt(0)
	v_readfirstlane_b32 s7, v2
	v_add_u32_e32 v1, s7, v1
	v_mov_b32_e32 v2, 0
	ds_write_b32 v2, v1 offset:20544
.LBB1856_4:
	s_or_b64 exec, exec, s[2:3]
	v_mov_b32_e32 v1, 0
	s_load_dwordx8 s[36:43], s[4:5], 0x0
	s_load_dword s2, s[4:5], 0x20
	s_waitcnt lgkmcnt(0)
	s_barrier
	ds_read_b32 v1, v1 offset:20544
	v_lshlrev_b32_e32 v11, 3, v10
	s_waitcnt lgkmcnt(0)
	s_barrier
	v_cmp_le_u32_e32 vcc, s50, v1
	v_readfirstlane_b32 s33, v1
	v_mbcnt_lo_u32_b32 v1, -1, 0
	s_cbranch_vccz .LBB1856_67
; %bb.5:
	s_lshl_b32 s3, s50, 13
	s_lshl_b32 s34, s33, 13
	s_mov_b32 s35, 0
	s_sub_i32 s7, s2, s3
	s_lshl_b64 s[2:3], s[34:35], 2
	v_mbcnt_hi_u32_b32 v19, -1, v1
	s_add_u32 s2, s36, s2
	v_and_b32_e32 v17, 63, v19
	s_addc_u32 s3, s37, s3
	v_lshlrev_b32_e32 v2, 2, v17
	v_and_b32_e32 v16, 0x1e00, v11
	v_mov_b32_e32 v3, s3
	v_add_co_u32_e32 v2, vcc, s2, v2
	v_addc_co_u32_e32 v3, vcc, 0, v3, vcc
	v_lshlrev_b32_e32 v4, 2, v16
	s_brev_b32 s8, -2
	v_add_co_u32_e32 v12, vcc, v2, v4
	s_mov_b32 s9, s8
	v_addc_co_u32_e32 v13, vcc, 0, v3, vcc
	v_or_b32_e32 v14, v17, v16
	s_mov_b32 s10, s8
	s_mov_b32 s11, s8
	;; [unrolled: 1-line block ×6, first 2 shown]
	v_pk_mov_b32 v[2:3], s[8:9], s[8:9] op_sel:[0,1]
	v_cmp_gt_u32_e64 s[2:3], s7, v14
	v_pk_mov_b32 v[4:5], s[10:11], s[10:11] op_sel:[0,1]
	v_pk_mov_b32 v[6:7], s[12:13], s[12:13] op_sel:[0,1]
	;; [unrolled: 1-line block ×3, first 2 shown]
	s_and_saveexec_b64 s[8:9], s[2:3]
	s_cbranch_execz .LBB1856_7
; %bb.6:
	global_load_dword v2, v[12:13], off
	v_bfrev_b32_e32 v3, -2
	v_mov_b32_e32 v4, v3
	v_mov_b32_e32 v5, v3
	;; [unrolled: 1-line block ×6, first 2 shown]
.LBB1856_7:
	s_or_b64 exec, exec, s[8:9]
	v_or_b32_e32 v15, 64, v14
	v_cmp_gt_u32_e64 s[26:27], s7, v15
	s_and_saveexec_b64 s[8:9], s[26:27]
	s_cbranch_execz .LBB1856_9
; %bb.8:
	global_load_dword v3, v[12:13], off offset:256
.LBB1856_9:
	s_or_b64 exec, exec, s[8:9]
	v_or_b32_e32 v15, 0x80, v14
	v_cmp_gt_u32_e64 s[8:9], s7, v15
	s_and_saveexec_b64 s[10:11], s[8:9]
	s_cbranch_execz .LBB1856_11
; %bb.10:
	global_load_dword v4, v[12:13], off offset:512
.LBB1856_11:
	;; [unrolled: 8-line block ×7, first 2 shown]
	s_or_b64 exec, exec, s[20:21]
	s_load_dword s20, s[4:5], 0x64
	s_load_dword s52, s[4:5], 0x58
	s_add_u32 s21, s4, 0x58
	s_addc_u32 s22, s5, 0
	v_mov_b32_e32 v12, 0
	s_waitcnt lgkmcnt(0)
	s_lshr_b32 s23, s20, 16
	s_cmp_lt_u32 s6, s52
	s_cselect_b32 s20, 12, 18
	s_add_u32 s20, s21, s20
	s_addc_u32 s21, s22, 0
	global_load_ushort v14, v12, s[20:21]
	v_bfrev_b32_e32 v20, 1
	s_waitcnt vmcnt(1)
	v_cmp_lt_i32_e32 vcc, -1, v2
	v_mul_u32_u24_e32 v18, 5, v10
	v_cndmask_b32_e32 v21, -1, v20, vcc
	s_brev_b32 s22, -2
	v_lshlrev_b32_e32 v23, 2, v18
	v_xor_b32_e32 v18, v21, v2
	v_cmp_ne_u32_e32 vcc, s22, v18
	v_cndmask_b32_e32 v2, v20, v18, vcc
	s_lshl_b32 s20, -1, s49
	v_lshrrev_b32_e32 v2, s48, v2
	s_not_b32 s53, s20
	v_and_b32_e32 v2, s53, v2
	v_and_b32_e32 v22, 1, v2
	v_bfe_u32 v13, v0, 10, 10
	v_bfe_u32 v15, v0, 20, 10
	v_add_co_u32_e32 v24, vcc, -1, v22
	v_mad_u32_u24 v15, v15, s23, v13
	v_lshlrev_b32_e32 v13, 30, v2
	v_addc_co_u32_e64 v25, s[20:21], 0, -1, vcc
	v_cmp_ne_u32_e32 vcc, 0, v22
	v_cmp_gt_i64_e64 s[20:21], 0, v[12:13]
	v_not_b32_e32 v22, v13
	v_lshlrev_b32_e32 v13, 29, v2
	v_xor_b32_e32 v25, vcc_hi, v25
	v_xor_b32_e32 v24, vcc_lo, v24
	v_ashrrev_i32_e32 v22, 31, v22
	v_cmp_gt_i64_e32 vcc, 0, v[12:13]
	v_not_b32_e32 v26, v13
	v_lshlrev_b32_e32 v13, 28, v2
	v_and_b32_e32 v25, exec_hi, v25
	v_and_b32_e32 v24, exec_lo, v24
	v_xor_b32_e32 v27, s21, v22
	v_xor_b32_e32 v22, s20, v22
	v_ashrrev_i32_e32 v26, 31, v26
	v_cmp_gt_i64_e64 s[20:21], 0, v[12:13]
	v_not_b32_e32 v28, v13
	v_lshlrev_b32_e32 v13, 27, v2
	v_and_b32_e32 v25, v25, v27
	v_and_b32_e32 v22, v24, v22
	v_xor_b32_e32 v24, vcc_hi, v26
	v_xor_b32_e32 v26, vcc_lo, v26
	v_ashrrev_i32_e32 v27, 31, v28
	v_cmp_gt_i64_e32 vcc, 0, v[12:13]
	v_not_b32_e32 v28, v13
	v_lshlrev_b32_e32 v13, 26, v2
	v_and_b32_e32 v24, v25, v24
	v_and_b32_e32 v22, v22, v26
	v_xor_b32_e32 v25, s21, v27
	v_xor_b32_e32 v26, s20, v27
	v_ashrrev_i32_e32 v27, 31, v28
	v_cmp_gt_i64_e64 s[20:21], 0, v[12:13]
	v_not_b32_e32 v28, v13
	v_lshlrev_b32_e32 v13, 25, v2
	v_and_b32_e32 v24, v24, v25
	v_and_b32_e32 v22, v22, v26
	v_xor_b32_e32 v25, vcc_hi, v27
	v_xor_b32_e32 v26, vcc_lo, v27
	v_ashrrev_i32_e32 v27, 31, v28
	v_cmp_gt_i64_e32 vcc, 0, v[12:13]
	v_not_b32_e32 v13, v13
	v_and_b32_e32 v24, v24, v25
	v_and_b32_e32 v22, v22, v26
	v_xor_b32_e32 v25, s21, v27
	v_xor_b32_e32 v26, s20, v27
	v_ashrrev_i32_e32 v13, 31, v13
	v_lshl_add_u32 v21, v2, 4, v2
	v_and_b32_e32 v22, v22, v26
	v_xor_b32_e32 v26, vcc_hi, v13
	v_xor_b32_e32 v13, vcc_lo, v13
	v_and_b32_e32 v24, v24, v25
	ds_write2_b32 v23, v12, v12 offset0:16 offset1:17
	ds_write2_b32 v23, v12, v12 offset0:18 offset1:19
	ds_write_b32 v23, v12 offset:80
	s_waitcnt lgkmcnt(0)
	s_barrier
	s_waitcnt lgkmcnt(0)
	; wave barrier
	s_waitcnt vmcnt(0)
	v_mad_u64_u32 v[14:15], s[20:21], v15, v14, v[10:11]
	v_lshrrev_b32_e32 v42, 6, v14
	v_add_lshl_u32 v25, v21, v42, 2
	v_and_b32_e32 v21, v22, v13
	v_lshlrev_b32_e32 v13, 24, v2
	v_not_b32_e32 v2, v13
	v_cmp_gt_i64_e32 vcc, 0, v[12:13]
	v_ashrrev_i32_e32 v2, 31, v2
	v_and_b32_e32 v14, v24, v26
	v_xor_b32_e32 v13, vcc_hi, v2
	v_xor_b32_e32 v2, vcc_lo, v2
	v_and_b32_e32 v15, v14, v13
	v_and_b32_e32 v14, v21, v2
	v_mbcnt_lo_u32_b32 v2, v14, 0
	v_mbcnt_hi_u32_b32 v22, v15, v2
	v_cmp_eq_u32_e32 vcc, 0, v22
	v_cmp_ne_u64_e64 s[20:21], 0, v[14:15]
	s_and_b64 s[24:25], s[20:21], vcc
	s_and_saveexec_b64 s[20:21], s[24:25]
	s_cbranch_execz .LBB1856_23
; %bb.22:
	v_bcnt_u32_b32 v2, v14, 0
	v_bcnt_u32_b32 v2, v15, v2
	ds_write_b32 v25, v2 offset:64
.LBB1856_23:
	s_or_b64 exec, exec, s[20:21]
	v_cmp_lt_i32_e32 vcc, -1, v3
	v_cndmask_b32_e32 v2, -1, v20, vcc
	v_xor_b32_e32 v14, v2, v3
	v_cmp_ne_u32_e32 vcc, s22, v14
	v_cndmask_b32_e32 v2, v20, v14, vcc
	v_lshrrev_b32_e32 v2, s48, v2
	v_and_b32_e32 v2, s53, v2
	v_lshl_add_u32 v3, v2, 4, v2
	v_add_lshl_u32 v26, v3, v42, 2
	v_and_b32_e32 v3, 1, v2
	v_add_co_u32_e32 v13, vcc, -1, v3
	v_addc_co_u32_e64 v15, s[20:21], 0, -1, vcc
	v_cmp_ne_u32_e32 vcc, 0, v3
	v_xor_b32_e32 v13, vcc_lo, v13
	v_xor_b32_e32 v3, vcc_hi, v15
	v_and_b32_e32 v15, exec_lo, v13
	v_lshlrev_b32_e32 v13, 30, v2
	v_cmp_gt_i64_e32 vcc, 0, v[12:13]
	v_not_b32_e32 v13, v13
	v_ashrrev_i32_e32 v13, 31, v13
	v_xor_b32_e32 v20, vcc_hi, v13
	v_xor_b32_e32 v13, vcc_lo, v13
	v_and_b32_e32 v15, v15, v13
	v_lshlrev_b32_e32 v13, 29, v2
	v_cmp_gt_i64_e32 vcc, 0, v[12:13]
	v_not_b32_e32 v13, v13
	v_and_b32_e32 v3, exec_hi, v3
	v_ashrrev_i32_e32 v13, 31, v13
	v_and_b32_e32 v3, v3, v20
	v_xor_b32_e32 v20, vcc_hi, v13
	v_xor_b32_e32 v13, vcc_lo, v13
	v_and_b32_e32 v15, v15, v13
	v_lshlrev_b32_e32 v13, 28, v2
	v_cmp_gt_i64_e32 vcc, 0, v[12:13]
	v_not_b32_e32 v13, v13
	v_ashrrev_i32_e32 v13, 31, v13
	v_and_b32_e32 v3, v3, v20
	v_xor_b32_e32 v20, vcc_hi, v13
	v_xor_b32_e32 v13, vcc_lo, v13
	v_and_b32_e32 v15, v15, v13
	v_lshlrev_b32_e32 v13, 27, v2
	v_cmp_gt_i64_e32 vcc, 0, v[12:13]
	v_not_b32_e32 v13, v13
	;; [unrolled: 8-line block ×4, first 2 shown]
	v_ashrrev_i32_e32 v13, 31, v13
	v_and_b32_e32 v3, v3, v20
	v_xor_b32_e32 v20, vcc_hi, v13
	v_xor_b32_e32 v13, vcc_lo, v13
	v_and_b32_e32 v15, v15, v13
	v_lshlrev_b32_e32 v13, 24, v2
	v_not_b32_e32 v2, v13
	v_cmp_gt_i64_e32 vcc, 0, v[12:13]
	v_ashrrev_i32_e32 v2, 31, v2
	v_xor_b32_e32 v12, vcc_hi, v2
	v_xor_b32_e32 v2, vcc_lo, v2
	; wave barrier
	ds_read_b32 v30, v26 offset:64
	v_and_b32_e32 v3, v3, v20
	v_and_b32_e32 v2, v15, v2
	;; [unrolled: 1-line block ×3, first 2 shown]
	v_mbcnt_lo_u32_b32 v12, v2, 0
	v_mbcnt_hi_u32_b32 v31, v3, v12
	v_cmp_eq_u32_e32 vcc, 0, v31
	v_cmp_ne_u64_e64 s[20:21], 0, v[2:3]
	s_and_b64 s[22:23], s[20:21], vcc
	; wave barrier
	s_and_saveexec_b64 s[20:21], s[22:23]
	s_cbranch_execz .LBB1856_25
; %bb.24:
	v_bcnt_u32_b32 v2, v2, 0
	v_bcnt_u32_b32 v2, v3, v2
	s_waitcnt lgkmcnt(0)
	v_add_u32_e32 v2, v30, v2
	ds_write_b32 v26, v2 offset:64
.LBB1856_25:
	s_or_b64 exec, exec, s[20:21]
	v_bfrev_b32_e32 v21, 1
	v_cmp_lt_i32_e32 vcc, -1, v4
	v_cndmask_b32_e32 v2, -1, v21, vcc
	v_xor_b32_e32 v15, v2, v4
	s_brev_b32 s22, -2
	v_cmp_ne_u32_e32 vcc, s22, v15
	v_cndmask_b32_e32 v2, v21, v15, vcc
	v_lshrrev_b32_e32 v2, s48, v2
	v_and_b32_e32 v4, s53, v2
	v_and_b32_e32 v3, 1, v4
	v_add_co_u32_e32 v12, vcc, -1, v3
	v_addc_co_u32_e64 v13, s[20:21], 0, -1, vcc
	v_cmp_ne_u32_e32 vcc, 0, v3
	v_lshl_add_u32 v2, v4, 4, v4
	v_xor_b32_e32 v3, vcc_hi, v13
	v_add_lshl_u32 v28, v2, v42, 2
	v_mov_b32_e32 v2, 0
	v_and_b32_e32 v13, exec_hi, v3
	v_lshlrev_b32_e32 v3, 30, v4
	v_xor_b32_e32 v12, vcc_lo, v12
	v_cmp_gt_i64_e32 vcc, 0, v[2:3]
	v_not_b32_e32 v3, v3
	v_ashrrev_i32_e32 v3, 31, v3
	v_and_b32_e32 v12, exec_lo, v12
	v_xor_b32_e32 v20, vcc_hi, v3
	v_xor_b32_e32 v3, vcc_lo, v3
	v_and_b32_e32 v12, v12, v3
	v_lshlrev_b32_e32 v3, 29, v4
	v_cmp_gt_i64_e32 vcc, 0, v[2:3]
	v_not_b32_e32 v3, v3
	v_ashrrev_i32_e32 v3, 31, v3
	v_and_b32_e32 v13, v13, v20
	v_xor_b32_e32 v20, vcc_hi, v3
	v_xor_b32_e32 v3, vcc_lo, v3
	v_and_b32_e32 v12, v12, v3
	v_lshlrev_b32_e32 v3, 28, v4
	v_cmp_gt_i64_e32 vcc, 0, v[2:3]
	v_not_b32_e32 v3, v3
	v_ashrrev_i32_e32 v3, 31, v3
	v_and_b32_e32 v13, v13, v20
	;; [unrolled: 8-line block ×5, first 2 shown]
	v_xor_b32_e32 v20, vcc_hi, v3
	v_xor_b32_e32 v3, vcc_lo, v3
	v_and_b32_e32 v12, v12, v3
	v_lshlrev_b32_e32 v3, 24, v4
	v_cmp_gt_i64_e32 vcc, 0, v[2:3]
	v_not_b32_e32 v3, v3
	v_ashrrev_i32_e32 v3, 31, v3
	v_xor_b32_e32 v4, vcc_hi, v3
	v_xor_b32_e32 v3, vcc_lo, v3
	; wave barrier
	ds_read_b32 v32, v28 offset:64
	v_and_b32_e32 v13, v13, v20
	v_and_b32_e32 v12, v12, v3
	;; [unrolled: 1-line block ×3, first 2 shown]
	v_mbcnt_lo_u32_b32 v3, v12, 0
	v_mbcnt_hi_u32_b32 v33, v13, v3
	v_cmp_eq_u32_e32 vcc, 0, v33
	v_cmp_ne_u64_e64 s[20:21], 0, v[12:13]
	s_and_b64 s[24:25], s[20:21], vcc
	; wave barrier
	s_and_saveexec_b64 s[20:21], s[24:25]
	s_cbranch_execz .LBB1856_27
; %bb.26:
	v_bcnt_u32_b32 v3, v12, 0
	v_bcnt_u32_b32 v3, v13, v3
	s_waitcnt lgkmcnt(0)
	v_add_u32_e32 v3, v32, v3
	ds_write_b32 v28, v3 offset:64
.LBB1856_27:
	s_or_b64 exec, exec, s[20:21]
	v_cmp_lt_i32_e32 vcc, -1, v5
	v_cndmask_b32_e32 v3, -1, v21, vcc
	v_xor_b32_e32 v20, v3, v5
	v_cmp_ne_u32_e32 vcc, s22, v20
	v_cndmask_b32_e32 v3, v21, v20, vcc
	v_lshrrev_b32_e32 v3, s48, v3
	v_and_b32_e32 v4, s53, v3
	v_lshl_add_u32 v3, v4, 4, v4
	v_add_lshl_u32 v12, v3, v42, 2
	v_and_b32_e32 v3, 1, v4
	v_add_co_u32_e32 v5, vcc, -1, v3
	v_addc_co_u32_e64 v13, s[20:21], 0, -1, vcc
	v_cmp_ne_u32_e32 vcc, 0, v3
	v_xor_b32_e32 v3, vcc_hi, v13
	v_and_b32_e32 v13, exec_hi, v3
	v_lshlrev_b32_e32 v3, 30, v4
	v_xor_b32_e32 v5, vcc_lo, v5
	v_cmp_gt_i64_e32 vcc, 0, v[2:3]
	v_not_b32_e32 v3, v3
	v_ashrrev_i32_e32 v3, 31, v3
	v_and_b32_e32 v5, exec_lo, v5
	v_xor_b32_e32 v21, vcc_hi, v3
	v_xor_b32_e32 v3, vcc_lo, v3
	v_and_b32_e32 v5, v5, v3
	v_lshlrev_b32_e32 v3, 29, v4
	v_cmp_gt_i64_e32 vcc, 0, v[2:3]
	v_not_b32_e32 v3, v3
	v_ashrrev_i32_e32 v3, 31, v3
	v_and_b32_e32 v13, v13, v21
	v_xor_b32_e32 v21, vcc_hi, v3
	v_xor_b32_e32 v3, vcc_lo, v3
	v_and_b32_e32 v5, v5, v3
	v_lshlrev_b32_e32 v3, 28, v4
	v_cmp_gt_i64_e32 vcc, 0, v[2:3]
	v_not_b32_e32 v3, v3
	v_ashrrev_i32_e32 v3, 31, v3
	v_and_b32_e32 v13, v13, v21
	;; [unrolled: 8-line block ×5, first 2 shown]
	v_xor_b32_e32 v21, vcc_hi, v3
	v_xor_b32_e32 v3, vcc_lo, v3
	v_and_b32_e32 v5, v5, v3
	v_lshlrev_b32_e32 v3, 24, v4
	v_cmp_gt_i64_e32 vcc, 0, v[2:3]
	v_not_b32_e32 v2, v3
	v_ashrrev_i32_e32 v2, 31, v2
	v_xor_b32_e32 v3, vcc_hi, v2
	v_xor_b32_e32 v2, vcc_lo, v2
	; wave barrier
	ds_read_b32 v34, v12 offset:64
	v_and_b32_e32 v13, v13, v21
	v_and_b32_e32 v2, v5, v2
	;; [unrolled: 1-line block ×3, first 2 shown]
	v_mbcnt_lo_u32_b32 v4, v2, 0
	v_mbcnt_hi_u32_b32 v35, v3, v4
	v_cmp_eq_u32_e32 vcc, 0, v35
	v_cmp_ne_u64_e64 s[20:21], 0, v[2:3]
	s_and_b64 s[22:23], s[20:21], vcc
	; wave barrier
	s_and_saveexec_b64 s[20:21], s[22:23]
	s_cbranch_execz .LBB1856_29
; %bb.28:
	v_bcnt_u32_b32 v2, v2, 0
	v_bcnt_u32_b32 v2, v3, v2
	s_waitcnt lgkmcnt(0)
	v_add_u32_e32 v2, v34, v2
	ds_write_b32 v12, v2 offset:64
.LBB1856_29:
	s_or_b64 exec, exec, s[20:21]
	v_bfrev_b32_e32 v13, 1
	v_cmp_lt_i32_e32 vcc, -1, v6
	v_cndmask_b32_e32 v2, -1, v13, vcc
	v_xor_b32_e32 v21, v2, v6
	s_brev_b32 s22, -2
	v_cmp_ne_u32_e32 vcc, s22, v21
	v_cndmask_b32_e32 v2, v13, v21, vcc
	v_lshrrev_b32_e32 v2, s48, v2
	v_and_b32_e32 v4, s53, v2
	v_and_b32_e32 v3, 1, v4
	v_add_co_u32_e32 v5, vcc, -1, v3
	v_addc_co_u32_e64 v24, s[20:21], 0, -1, vcc
	v_cmp_ne_u32_e32 vcc, 0, v3
	v_lshl_add_u32 v2, v4, 4, v4
	v_xor_b32_e32 v3, vcc_hi, v24
	v_add_lshl_u32 v6, v2, v42, 2
	v_mov_b32_e32 v2, 0
	v_and_b32_e32 v24, exec_hi, v3
	v_lshlrev_b32_e32 v3, 30, v4
	v_xor_b32_e32 v5, vcc_lo, v5
	v_cmp_gt_i64_e32 vcc, 0, v[2:3]
	v_not_b32_e32 v3, v3
	v_ashrrev_i32_e32 v3, 31, v3
	v_and_b32_e32 v5, exec_lo, v5
	v_xor_b32_e32 v27, vcc_hi, v3
	v_xor_b32_e32 v3, vcc_lo, v3
	v_and_b32_e32 v5, v5, v3
	v_lshlrev_b32_e32 v3, 29, v4
	v_cmp_gt_i64_e32 vcc, 0, v[2:3]
	v_not_b32_e32 v3, v3
	v_ashrrev_i32_e32 v3, 31, v3
	v_and_b32_e32 v24, v24, v27
	v_xor_b32_e32 v27, vcc_hi, v3
	v_xor_b32_e32 v3, vcc_lo, v3
	v_and_b32_e32 v5, v5, v3
	v_lshlrev_b32_e32 v3, 28, v4
	v_cmp_gt_i64_e32 vcc, 0, v[2:3]
	v_not_b32_e32 v3, v3
	v_ashrrev_i32_e32 v3, 31, v3
	v_and_b32_e32 v24, v24, v27
	;; [unrolled: 8-line block ×5, first 2 shown]
	v_xor_b32_e32 v27, vcc_hi, v3
	v_xor_b32_e32 v3, vcc_lo, v3
	v_and_b32_e32 v24, v24, v27
	v_and_b32_e32 v27, v5, v3
	v_lshlrev_b32_e32 v3, 24, v4
	v_cmp_gt_i64_e32 vcc, 0, v[2:3]
	v_not_b32_e32 v3, v3
	v_ashrrev_i32_e32 v3, 31, v3
	v_xor_b32_e32 v4, vcc_hi, v3
	v_xor_b32_e32 v3, vcc_lo, v3
	; wave barrier
	ds_read_b32 v36, v6 offset:64
	v_and_b32_e32 v5, v24, v4
	v_and_b32_e32 v4, v27, v3
	v_mbcnt_lo_u32_b32 v3, v4, 0
	v_mbcnt_hi_u32_b32 v37, v5, v3
	v_cmp_eq_u32_e32 vcc, 0, v37
	v_cmp_ne_u64_e64 s[20:21], 0, v[4:5]
	s_and_b64 s[24:25], s[20:21], vcc
	; wave barrier
	s_and_saveexec_b64 s[20:21], s[24:25]
	s_cbranch_execz .LBB1856_31
; %bb.30:
	v_bcnt_u32_b32 v3, v4, 0
	v_bcnt_u32_b32 v3, v5, v3
	s_waitcnt lgkmcnt(0)
	v_add_u32_e32 v3, v36, v3
	ds_write_b32 v6, v3 offset:64
.LBB1856_31:
	s_or_b64 exec, exec, s[20:21]
	v_cmp_lt_i32_e32 vcc, -1, v7
	v_cndmask_b32_e32 v3, -1, v13, vcc
	v_xor_b32_e32 v24, v3, v7
	v_cmp_ne_u32_e32 vcc, s22, v24
	v_cndmask_b32_e32 v3, v13, v24, vcc
	v_lshrrev_b32_e32 v3, s48, v3
	v_and_b32_e32 v4, s53, v3
	v_lshl_add_u32 v3, v4, 4, v4
	v_add_lshl_u32 v7, v3, v42, 2
	v_and_b32_e32 v3, 1, v4
	v_add_co_u32_e32 v5, vcc, -1, v3
	v_addc_co_u32_e64 v13, s[20:21], 0, -1, vcc
	v_cmp_ne_u32_e32 vcc, 0, v3
	v_xor_b32_e32 v3, vcc_hi, v13
	v_and_b32_e32 v13, exec_hi, v3
	v_lshlrev_b32_e32 v3, 30, v4
	v_xor_b32_e32 v5, vcc_lo, v5
	v_cmp_gt_i64_e32 vcc, 0, v[2:3]
	v_not_b32_e32 v3, v3
	v_ashrrev_i32_e32 v3, 31, v3
	v_and_b32_e32 v5, exec_lo, v5
	v_xor_b32_e32 v27, vcc_hi, v3
	v_xor_b32_e32 v3, vcc_lo, v3
	v_and_b32_e32 v5, v5, v3
	v_lshlrev_b32_e32 v3, 29, v4
	v_cmp_gt_i64_e32 vcc, 0, v[2:3]
	v_not_b32_e32 v3, v3
	v_ashrrev_i32_e32 v3, 31, v3
	v_and_b32_e32 v13, v13, v27
	v_xor_b32_e32 v27, vcc_hi, v3
	v_xor_b32_e32 v3, vcc_lo, v3
	v_and_b32_e32 v5, v5, v3
	v_lshlrev_b32_e32 v3, 28, v4
	v_cmp_gt_i64_e32 vcc, 0, v[2:3]
	v_not_b32_e32 v3, v3
	v_ashrrev_i32_e32 v3, 31, v3
	v_and_b32_e32 v13, v13, v27
	;; [unrolled: 8-line block ×5, first 2 shown]
	v_xor_b32_e32 v27, vcc_hi, v3
	v_xor_b32_e32 v3, vcc_lo, v3
	v_and_b32_e32 v5, v5, v3
	v_lshlrev_b32_e32 v3, 24, v4
	v_cmp_gt_i64_e32 vcc, 0, v[2:3]
	v_not_b32_e32 v2, v3
	v_ashrrev_i32_e32 v2, 31, v2
	v_xor_b32_e32 v3, vcc_hi, v2
	v_xor_b32_e32 v2, vcc_lo, v2
	; wave barrier
	ds_read_b32 v38, v7 offset:64
	v_and_b32_e32 v13, v13, v27
	v_and_b32_e32 v2, v5, v2
	;; [unrolled: 1-line block ×3, first 2 shown]
	v_mbcnt_lo_u32_b32 v4, v2, 0
	v_mbcnt_hi_u32_b32 v39, v3, v4
	v_cmp_eq_u32_e32 vcc, 0, v39
	v_cmp_ne_u64_e64 s[20:21], 0, v[2:3]
	s_and_b64 s[22:23], s[20:21], vcc
	; wave barrier
	s_and_saveexec_b64 s[20:21], s[22:23]
	s_cbranch_execz .LBB1856_33
; %bb.32:
	v_bcnt_u32_b32 v2, v2, 0
	v_bcnt_u32_b32 v2, v3, v2
	s_waitcnt lgkmcnt(0)
	v_add_u32_e32 v2, v38, v2
	ds_write_b32 v7, v2 offset:64
.LBB1856_33:
	s_or_b64 exec, exec, s[20:21]
	v_bfrev_b32_e32 v43, 1
	v_cmp_lt_i32_e32 vcc, -1, v8
	v_cndmask_b32_e32 v2, -1, v43, vcc
	v_xor_b32_e32 v27, v2, v8
	s_brev_b32 s22, -2
	v_cmp_ne_u32_e32 vcc, s22, v27
	v_cndmask_b32_e32 v2, v43, v27, vcc
	v_lshrrev_b32_e32 v2, s48, v2
	v_and_b32_e32 v4, s53, v2
	v_and_b32_e32 v3, 1, v4
	v_add_co_u32_e32 v5, vcc, -1, v3
	v_addc_co_u32_e64 v13, s[20:21], 0, -1, vcc
	v_cmp_ne_u32_e32 vcc, 0, v3
	v_lshl_add_u32 v2, v4, 4, v4
	v_xor_b32_e32 v3, vcc_hi, v13
	v_add_lshl_u32 v8, v2, v42, 2
	v_mov_b32_e32 v2, 0
	v_and_b32_e32 v13, exec_hi, v3
	v_lshlrev_b32_e32 v3, 30, v4
	v_xor_b32_e32 v5, vcc_lo, v5
	v_cmp_gt_i64_e32 vcc, 0, v[2:3]
	v_not_b32_e32 v3, v3
	v_ashrrev_i32_e32 v3, 31, v3
	v_and_b32_e32 v5, exec_lo, v5
	v_xor_b32_e32 v29, vcc_hi, v3
	v_xor_b32_e32 v3, vcc_lo, v3
	v_and_b32_e32 v5, v5, v3
	v_lshlrev_b32_e32 v3, 29, v4
	v_cmp_gt_i64_e32 vcc, 0, v[2:3]
	v_not_b32_e32 v3, v3
	v_ashrrev_i32_e32 v3, 31, v3
	v_and_b32_e32 v13, v13, v29
	v_xor_b32_e32 v29, vcc_hi, v3
	v_xor_b32_e32 v3, vcc_lo, v3
	v_and_b32_e32 v5, v5, v3
	v_lshlrev_b32_e32 v3, 28, v4
	v_cmp_gt_i64_e32 vcc, 0, v[2:3]
	v_not_b32_e32 v3, v3
	v_ashrrev_i32_e32 v3, 31, v3
	v_and_b32_e32 v13, v13, v29
	;; [unrolled: 8-line block ×5, first 2 shown]
	v_xor_b32_e32 v29, vcc_hi, v3
	v_xor_b32_e32 v3, vcc_lo, v3
	v_and_b32_e32 v13, v13, v29
	v_and_b32_e32 v29, v5, v3
	v_lshlrev_b32_e32 v3, 24, v4
	v_cmp_gt_i64_e32 vcc, 0, v[2:3]
	v_not_b32_e32 v3, v3
	v_ashrrev_i32_e32 v3, 31, v3
	v_xor_b32_e32 v4, vcc_hi, v3
	v_xor_b32_e32 v3, vcc_lo, v3
	; wave barrier
	ds_read_b32 v40, v8 offset:64
	v_and_b32_e32 v5, v13, v4
	v_and_b32_e32 v4, v29, v3
	v_mbcnt_lo_u32_b32 v3, v4, 0
	v_mbcnt_hi_u32_b32 v41, v5, v3
	v_cmp_eq_u32_e32 vcc, 0, v41
	v_cmp_ne_u64_e64 s[20:21], 0, v[4:5]
	s_and_b64 s[24:25], s[20:21], vcc
	; wave barrier
	s_and_saveexec_b64 s[20:21], s[24:25]
	s_cbranch_execz .LBB1856_35
; %bb.34:
	v_bcnt_u32_b32 v3, v4, 0
	v_bcnt_u32_b32 v3, v5, v3
	s_waitcnt lgkmcnt(0)
	v_add_u32_e32 v3, v40, v3
	ds_write_b32 v8, v3 offset:64
.LBB1856_35:
	s_or_b64 exec, exec, s[20:21]
	v_cmp_lt_i32_e32 vcc, -1, v9
	v_cndmask_b32_e32 v3, -1, v43, vcc
	v_xor_b32_e32 v29, v3, v9
	v_cmp_ne_u32_e32 vcc, s22, v29
	v_cndmask_b32_e32 v3, v43, v29, vcc
	v_lshrrev_b32_e32 v3, s48, v3
	v_and_b32_e32 v4, s53, v3
	v_lshl_add_u32 v3, v4, 4, v4
	v_add_lshl_u32 v9, v3, v42, 2
	v_and_b32_e32 v3, 1, v4
	v_add_co_u32_e32 v5, vcc, -1, v3
	v_addc_co_u32_e64 v43, s[20:21], 0, -1, vcc
	v_cmp_ne_u32_e32 vcc, 0, v3
	v_xor_b32_e32 v3, vcc_hi, v43
	v_and_b32_e32 v43, exec_hi, v3
	v_lshlrev_b32_e32 v3, 30, v4
	v_xor_b32_e32 v5, vcc_lo, v5
	v_cmp_gt_i64_e32 vcc, 0, v[2:3]
	v_not_b32_e32 v3, v3
	v_ashrrev_i32_e32 v3, 31, v3
	v_and_b32_e32 v5, exec_lo, v5
	v_xor_b32_e32 v44, vcc_hi, v3
	v_xor_b32_e32 v3, vcc_lo, v3
	v_and_b32_e32 v5, v5, v3
	v_lshlrev_b32_e32 v3, 29, v4
	v_cmp_gt_i64_e32 vcc, 0, v[2:3]
	v_not_b32_e32 v3, v3
	v_ashrrev_i32_e32 v3, 31, v3
	v_and_b32_e32 v43, v43, v44
	v_xor_b32_e32 v44, vcc_hi, v3
	v_xor_b32_e32 v3, vcc_lo, v3
	v_and_b32_e32 v5, v5, v3
	v_lshlrev_b32_e32 v3, 28, v4
	v_cmp_gt_i64_e32 vcc, 0, v[2:3]
	v_not_b32_e32 v3, v3
	v_ashrrev_i32_e32 v3, 31, v3
	v_and_b32_e32 v43, v43, v44
	v_xor_b32_e32 v44, vcc_hi, v3
	v_xor_b32_e32 v3, vcc_lo, v3
	v_and_b32_e32 v5, v5, v3
	v_lshlrev_b32_e32 v3, 27, v4
	v_cmp_gt_i64_e32 vcc, 0, v[2:3]
	v_not_b32_e32 v3, v3
	v_ashrrev_i32_e32 v3, 31, v3
	v_and_b32_e32 v43, v43, v44
	v_xor_b32_e32 v44, vcc_hi, v3
	v_xor_b32_e32 v3, vcc_lo, v3
	v_and_b32_e32 v5, v5, v3
	v_lshlrev_b32_e32 v3, 26, v4
	v_cmp_gt_i64_e32 vcc, 0, v[2:3]
	v_not_b32_e32 v3, v3
	v_ashrrev_i32_e32 v3, 31, v3
	v_and_b32_e32 v43, v43, v44
	v_xor_b32_e32 v44, vcc_hi, v3
	v_xor_b32_e32 v3, vcc_lo, v3
	v_and_b32_e32 v5, v5, v3
	v_lshlrev_b32_e32 v3, 25, v4
	v_cmp_gt_i64_e32 vcc, 0, v[2:3]
	v_not_b32_e32 v3, v3
	v_ashrrev_i32_e32 v3, 31, v3
	v_and_b32_e32 v43, v43, v44
	v_xor_b32_e32 v44, vcc_hi, v3
	v_xor_b32_e32 v3, vcc_lo, v3
	v_and_b32_e32 v5, v5, v3
	v_lshlrev_b32_e32 v3, 24, v4
	v_cmp_gt_i64_e32 vcc, 0, v[2:3]
	v_not_b32_e32 v2, v3
	v_ashrrev_i32_e32 v2, 31, v2
	v_xor_b32_e32 v3, vcc_hi, v2
	v_xor_b32_e32 v2, vcc_lo, v2
	; wave barrier
	ds_read_b32 v42, v9 offset:64
	v_and_b32_e32 v43, v43, v44
	v_and_b32_e32 v2, v5, v2
	;; [unrolled: 1-line block ×3, first 2 shown]
	v_mbcnt_lo_u32_b32 v4, v2, 0
	v_mbcnt_hi_u32_b32 v45, v3, v4
	v_cmp_eq_u32_e32 vcc, 0, v45
	v_cmp_ne_u64_e64 s[20:21], 0, v[2:3]
	v_add_u32_e32 v13, 64, v23
	s_and_b64 s[22:23], s[20:21], vcc
	; wave barrier
	s_and_saveexec_b64 s[20:21], s[22:23]
	s_cbranch_execz .LBB1856_37
; %bb.36:
	v_bcnt_u32_b32 v2, v2, 0
	v_bcnt_u32_b32 v2, v3, v2
	s_waitcnt lgkmcnt(0)
	v_add_u32_e32 v2, v42, v2
	ds_write_b32 v9, v2 offset:64
.LBB1856_37:
	s_or_b64 exec, exec, s[20:21]
	; wave barrier
	s_waitcnt lgkmcnt(0)
	s_barrier
	ds_read2_b32 v[4:5], v23 offset0:16 offset1:17
	ds_read2_b32 v[2:3], v13 offset0:2 offset1:3
	ds_read_b32 v43, v13 offset:16
	v_cmp_lt_u32_e64 s[28:29], 31, v19
	s_waitcnt lgkmcnt(1)
	v_add3_u32 v44, v5, v4, v2
	s_waitcnt lgkmcnt(0)
	v_add3_u32 v43, v44, v3, v43
	v_and_b32_e32 v44, 15, v19
	v_cmp_eq_u32_e32 vcc, 0, v44
	v_mov_b32_dpp v46, v43 row_shr:1 row_mask:0xf bank_mask:0xf
	v_cndmask_b32_e64 v46, v46, 0, vcc
	v_add_u32_e32 v43, v46, v43
	v_cmp_lt_u32_e64 s[20:21], 1, v44
	v_cmp_lt_u32_e64 s[22:23], 3, v44
	v_mov_b32_dpp v46, v43 row_shr:2 row_mask:0xf bank_mask:0xf
	v_cndmask_b32_e64 v46, 0, v46, s[20:21]
	v_add_u32_e32 v43, v43, v46
	v_cmp_lt_u32_e64 s[24:25], 7, v44
	s_nop 0
	v_mov_b32_dpp v46, v43 row_shr:4 row_mask:0xf bank_mask:0xf
	v_cndmask_b32_e64 v46, 0, v46, s[22:23]
	v_add_u32_e32 v43, v43, v46
	s_nop 1
	v_mov_b32_dpp v46, v43 row_shr:8 row_mask:0xf bank_mask:0xf
	v_cndmask_b32_e64 v44, 0, v46, s[24:25]
	v_add_u32_e32 v43, v43, v44
	v_bfe_i32 v46, v19, 4, 1
	s_nop 0
	v_mov_b32_dpp v44, v43 row_bcast:15 row_mask:0xf bank_mask:0xf
	v_and_b32_e32 v44, v46, v44
	v_add_u32_e32 v43, v43, v44
	v_and_b32_e32 v46, 63, v10
	s_nop 0
	v_mov_b32_dpp v44, v43 row_bcast:31 row_mask:0xf bank_mask:0xf
	v_cndmask_b32_e64 v44, 0, v44, s[28:29]
	v_add_u32_e32 v43, v43, v44
	v_lshrrev_b32_e32 v44, 6, v10
	v_cmp_eq_u32_e64 s[28:29], 63, v46
	s_and_saveexec_b64 s[50:51], s[28:29]
	s_cbranch_execz .LBB1856_39
; %bb.38:
	v_lshlrev_b32_e32 v46, 2, v44
	ds_write_b32 v46, v43
.LBB1856_39:
	s_or_b64 exec, exec, s[50:51]
	v_cmp_gt_u32_e64 s[28:29], 16, v10
	s_waitcnt lgkmcnt(0)
	s_barrier
	s_and_saveexec_b64 s[50:51], s[28:29]
	s_cbranch_execz .LBB1856_41
; %bb.40:
	v_lshlrev_b32_e32 v46, 2, v10
	ds_read_b32 v47, v46
	s_waitcnt lgkmcnt(0)
	s_nop 0
	v_mov_b32_dpp v48, v47 row_shr:1 row_mask:0xf bank_mask:0xf
	v_cndmask_b32_e64 v48, v48, 0, vcc
	v_add_u32_e32 v47, v48, v47
	s_nop 1
	v_mov_b32_dpp v48, v47 row_shr:2 row_mask:0xf bank_mask:0xf
	v_cndmask_b32_e64 v48, 0, v48, s[20:21]
	v_add_u32_e32 v47, v47, v48
	s_nop 1
	v_mov_b32_dpp v48, v47 row_shr:4 row_mask:0xf bank_mask:0xf
	v_cndmask_b32_e64 v48, 0, v48, s[22:23]
	;; [unrolled: 4-line block ×3, first 2 shown]
	v_add_u32_e32 v47, v47, v48
	ds_write_b32 v46, v47
.LBB1856_41:
	s_or_b64 exec, exec, s[50:51]
	v_cmp_lt_u32_e32 vcc, 63, v10
	v_mov_b32_e32 v46, 0
	s_waitcnt lgkmcnt(0)
	s_barrier
	s_and_saveexec_b64 s[20:21], vcc
	s_cbranch_execz .LBB1856_43
; %bb.42:
	v_lshl_add_u32 v44, v44, 2, -4
	ds_read_b32 v46, v44
.LBB1856_43:
	s_or_b64 exec, exec, s[20:21]
	v_add_u32_e32 v44, -1, v19
	v_and_b32_e32 v47, 64, v19
	v_cmp_lt_i32_e32 vcc, v44, v47
	v_cndmask_b32_e32 v44, v44, v19, vcc
	s_waitcnt lgkmcnt(0)
	v_add_u32_e32 v43, v46, v43
	v_lshlrev_b32_e32 v44, 2, v44
	ds_bpermute_b32 v43, v44, v43
	v_cmp_eq_u32_e32 vcc, 0, v19
	s_movk_i32 s20, 0x100
	v_cmp_gt_u32_e64 s[20:21], s20, v10
                                        ; implicit-def: $vgpr44
	s_waitcnt lgkmcnt(0)
	v_cndmask_b32_e32 v19, v43, v46, vcc
	v_cndmask_b32_e64 v19, v19, 0, s[0:1]
	v_add_u32_e32 v4, v19, v4
	v_add_u32_e32 v5, v4, v5
	;; [unrolled: 1-line block ×4, first 2 shown]
	ds_write2_b32 v23, v19, v4 offset0:16 offset1:17
	ds_write2_b32 v13, v5, v2 offset0:2 offset1:3
	ds_write_b32 v13, v3 offset:16
	s_waitcnt lgkmcnt(0)
	s_barrier
	ds_read_b32 v13, v25 offset:64
	ds_read_b32 v46, v26 offset:64
	;; [unrolled: 1-line block ×8, first 2 shown]
                                        ; implicit-def: $vgpr43
	s_and_saveexec_b64 s[22:23], s[20:21]
	s_cbranch_execz .LBB1856_47
; %bb.44:
	v_mul_u32_u24_e32 v2, 17, v10
	v_lshlrev_b32_e32 v3, 2, v2
	ds_read_b32 v43, v3 offset:64
	s_movk_i32 s24, 0xff
	v_cmp_ne_u32_e32 vcc, s24, v10
	v_mov_b32_e32 v2, 0x2000
	s_and_saveexec_b64 s[24:25], vcc
	s_cbranch_execz .LBB1856_46
; %bb.45:
	ds_read_b32 v2, v3 offset:132
.LBB1856_46:
	s_or_b64 exec, exec, s[24:25]
	s_waitcnt lgkmcnt(0)
	v_sub_u32_e32 v44, v2, v43
.LBB1856_47:
	s_or_b64 exec, exec, s[22:23]
	s_waitcnt lgkmcnt(0)
	s_barrier
	s_and_saveexec_b64 s[22:23], s[20:21]
	s_cbranch_execz .LBB1856_57
; %bb.48:
	v_lshl_or_b32 v2, s33, 8, v10
	v_mov_b32_e32 v3, 0
	v_lshlrev_b64 v[4:5], 2, v[2:3]
	v_mov_b32_e32 v8, s31
	v_add_co_u32_e32 v4, vcc, s30, v4
	v_addc_co_u32_e32 v5, vcc, v8, v5, vcc
	v_or_b32_e32 v2, 2.0, v44
	s_mov_b64 s[24:25], 0
	s_brev_b32 s54, 1
	s_mov_b32 s55, s33
	v_mov_b32_e32 v9, 0
	global_store_dword v[4:5], v2, off
                                        ; implicit-def: $sgpr28_sgpr29
	s_branch .LBB1856_50
.LBB1856_49:                            ;   in Loop: Header=BB1856_50 Depth=1
	s_or_b64 exec, exec, s[28:29]
	v_and_b32_e32 v6, 0x3fffffff, v12
	v_add_u32_e32 v9, v6, v9
	v_cmp_eq_u32_e64 s[28:29], s54, v2
	s_and_b64 s[50:51], exec, s[28:29]
	s_or_b64 s[24:25], s[50:51], s[24:25]
	s_andn2_b64 exec, exec, s[24:25]
	s_cbranch_execz .LBB1856_56
.LBB1856_50:                            ; =>This Loop Header: Depth=1
                                        ;     Child Loop BB1856_53 Depth 2
	s_or_b64 s[28:29], s[28:29], exec
	s_cmp_eq_u32 s55, 0
	s_cbranch_scc1 .LBB1856_55
; %bb.51:                               ;   in Loop: Header=BB1856_50 Depth=1
	s_add_i32 s55, s55, -1
	v_lshl_or_b32 v2, s55, 8, v10
	v_lshlrev_b64 v[6:7], 2, v[2:3]
	v_add_co_u32_e32 v6, vcc, s30, v6
	v_addc_co_u32_e32 v7, vcc, v8, v7, vcc
	global_load_dword v12, v[6:7], off glc
	s_waitcnt vmcnt(0)
	v_and_b32_e32 v2, -2.0, v12
	v_cmp_eq_u32_e32 vcc, 0, v2
	s_and_saveexec_b64 s[28:29], vcc
	s_cbranch_execz .LBB1856_49
; %bb.52:                               ;   in Loop: Header=BB1856_50 Depth=1
	s_mov_b64 s[50:51], 0
.LBB1856_53:                            ;   Parent Loop BB1856_50 Depth=1
                                        ; =>  This Inner Loop Header: Depth=2
	global_load_dword v12, v[6:7], off glc
	s_waitcnt vmcnt(0)
	v_and_b32_e32 v2, -2.0, v12
	v_cmp_ne_u32_e32 vcc, 0, v2
	s_or_b64 s[50:51], vcc, s[50:51]
	s_andn2_b64 exec, exec, s[50:51]
	s_cbranch_execnz .LBB1856_53
; %bb.54:                               ;   in Loop: Header=BB1856_50 Depth=1
	s_or_b64 exec, exec, s[50:51]
	s_branch .LBB1856_49
.LBB1856_55:                            ;   in Loop: Header=BB1856_50 Depth=1
                                        ; implicit-def: $sgpr55
	s_and_b64 s[50:51], exec, s[28:29]
	s_or_b64 s[24:25], s[50:51], s[24:25]
	s_andn2_b64 exec, exec, s[24:25]
	s_cbranch_execnz .LBB1856_50
.LBB1856_56:
	s_or_b64 exec, exec, s[24:25]
	v_add_u32_e32 v2, v9, v44
	v_or_b32_e32 v2, 0x80000000, v2
	global_store_dword v[4:5], v2, off
	v_lshlrev_b32_e32 v2, 2, v10
	global_load_dword v3, v2, s[44:45]
	v_sub_u32_e32 v4, v9, v43
	s_waitcnt vmcnt(0)
	v_add_u32_e32 v3, v4, v3
	ds_write_b32 v2, v3
.LBB1856_57:
	s_or_b64 exec, exec, s[22:23]
	v_add_u32_e32 v53, v13, v22
	v_lshlrev_b32_e32 v55, 2, v10
	v_add3_u32 v19, v31, v30, v46
	v_add3_u32 v22, v33, v32, v47
	;; [unrolled: 1-line block ×7, first 2 shown]
	s_movk_i32 s28, 0x400
	v_add_u32_e32 v56, 0x400, v55
	s_mov_b32 s54, 0
	s_mov_b64 s[22:23], -1
	s_brev_b32 s29, -2
	v_mov_b32_e32 v13, 0
	s_movk_i32 s50, 0x800
	s_movk_i32 s51, 0xc00
	v_bfrev_b32_e32 v57, 1
	v_mov_b32_e32 v58, v53
	v_mov_b32_e32 v59, v10
                                        ; implicit-def: $vgpr2_vgpr3_vgpr4_vgpr5_vgpr6_vgpr7_vgpr8_vgpr9
	s_branch .LBB1856_59
.LBB1856_58:                            ;   in Loop: Header=BB1856_59 Depth=1
	s_or_b64 exec, exec, s[24:25]
	s_xor_b64 s[24:25], s[22:23], -1
	v_add_u32_e32 v59, 0x1000, v59
	v_add_u32_e32 v54, 0xfffff000, v54
	;; [unrolled: 1-line block ×9, first 2 shown]
	s_mov_b32 s54, 4
	s_mov_b64 s[22:23], 0
	s_and_b64 vcc, exec, s[24:25]
	s_barrier
	s_cbranch_vccnz .LBB1856_68
.LBB1856_59:                            ; =>This Inner Loop Header: Depth=1
	v_min_u32_e32 v12, 0x1000, v58
	v_lshlrev_b32_e32 v12, 2, v12
	ds_write_b32 v12, v18 offset:1024
	v_min_u32_e32 v12, 0x1000, v19
	v_lshlrev_b32_e32 v12, 2, v12
	ds_write_b32 v12, v14 offset:1024
	;; [unrolled: 3-line block ×7, first 2 shown]
	v_min_u32_e32 v12, 0x1000, v54
	v_lshlrev_b32_e32 v12, 2, v12
	v_cmp_gt_u32_e32 vcc, s7, v59
	ds_write_b32 v12, v29 offset:1024
	s_waitcnt lgkmcnt(0)
	s_barrier
	s_and_saveexec_b64 s[24:25], vcc
	s_cbranch_execz .LBB1856_61
; %bb.60:                               ;   in Loop: Header=BB1856_59 Depth=1
	ds_read_b32 v12, v55 offset:1024
	v_mov_b32_e32 v63, s39
	s_cmp_eq_u32 s54, 7
	s_waitcnt lgkmcnt(0)
	v_cmp_ne_u32_e32 vcc, s29, v12
	v_cndmask_b32_e32 v60, v57, v12, vcc
	v_lshrrev_b32_e32 v60, s48, v60
	v_and_b32_e32 v62, s53, v60
	v_lshlrev_b32_e32 v60, 2, v62
	ds_read_b32 v60, v60
	v_cmp_lt_i32_e32 vcc, -1, v12
	v_cndmask_b32_e64 v61, v57, -1, vcc
	v_xor_b32_e32 v64, v61, v12
	s_waitcnt lgkmcnt(0)
	v_add_u32_e32 v12, v59, v60
	v_lshlrev_b64 v[60:61], 2, v[12:13]
	v_add_co_u32_e32 v60, vcc, s38, v60
	v_addc_co_u32_e32 v61, vcc, v63, v61, vcc
	s_cselect_b64 vcc, -1, 0
	s_cmp_eq_u32 s54, 6
	v_cndmask_b32_e32 v9, v9, v62, vcc
	s_cselect_b64 vcc, -1, 0
	s_cmp_eq_u32 s54, 5
	v_cndmask_b32_e32 v8, v8, v62, vcc
	;; [unrolled: 3-line block ×7, first 2 shown]
	s_cselect_b64 vcc, -1, 0
	v_cndmask_b32_e32 v2, v2, v62, vcc
	global_store_dword v[60:61], v64, off
.LBB1856_61:                            ;   in Loop: Header=BB1856_59 Depth=1
	s_or_b64 exec, exec, s[24:25]
	v_add_u32_e32 v12, 0x400, v59
	v_cmp_gt_u32_e32 vcc, s7, v12
	s_and_saveexec_b64 s[24:25], vcc
	s_cbranch_execz .LBB1856_63
; %bb.62:                               ;   in Loop: Header=BB1856_59 Depth=1
	ds_read_b32 v12, v56 offset:4096
	v_mov_b32_e32 v63, s39
	s_or_b32 s55, s54, 1
	s_cmp_eq_u32 s55, 7
	s_waitcnt lgkmcnt(0)
	v_cmp_ne_u32_e32 vcc, s29, v12
	v_cndmask_b32_e32 v60, v57, v12, vcc
	v_lshrrev_b32_e32 v60, s48, v60
	v_and_b32_e32 v62, s53, v60
	v_lshlrev_b32_e32 v60, 2, v62
	ds_read_b32 v60, v60
	v_cmp_lt_i32_e32 vcc, -1, v12
	v_cndmask_b32_e64 v61, v57, -1, vcc
	v_xor_b32_e32 v64, v61, v12
	s_waitcnt lgkmcnt(0)
	v_add3_u32 v12, v59, v60, s28
	v_lshlrev_b64 v[60:61], 2, v[12:13]
	v_add_co_u32_e32 v60, vcc, s38, v60
	v_addc_co_u32_e32 v61, vcc, v63, v61, vcc
	s_cselect_b64 vcc, -1, 0
	s_cmp_eq_u32 s55, 6
	v_cndmask_b32_e32 v9, v9, v62, vcc
	s_cselect_b64 vcc, -1, 0
	s_cmp_eq_u32 s55, 5
	v_cndmask_b32_e32 v8, v8, v62, vcc
	;; [unrolled: 3-line block ×7, first 2 shown]
	s_cselect_b64 vcc, -1, 0
	v_cndmask_b32_e32 v2, v2, v62, vcc
	global_store_dword v[60:61], v64, off
.LBB1856_63:                            ;   in Loop: Header=BB1856_59 Depth=1
	s_or_b64 exec, exec, s[24:25]
	v_add_u32_e32 v12, 0x800, v59
	v_cmp_gt_u32_e32 vcc, s7, v12
	s_and_saveexec_b64 s[24:25], vcc
	s_cbranch_execz .LBB1856_65
; %bb.64:                               ;   in Loop: Header=BB1856_59 Depth=1
	ds_read_b32 v12, v56 offset:8192
	v_mov_b32_e32 v63, s39
	s_or_b32 s55, s54, 2
	s_cmp_eq_u32 s55, 7
	s_waitcnt lgkmcnt(0)
	v_cmp_ne_u32_e32 vcc, s29, v12
	v_cndmask_b32_e32 v60, v57, v12, vcc
	v_lshrrev_b32_e32 v60, s48, v60
	v_and_b32_e32 v62, s53, v60
	v_lshlrev_b32_e32 v60, 2, v62
	ds_read_b32 v60, v60
	v_cmp_lt_i32_e32 vcc, -1, v12
	v_cndmask_b32_e64 v61, v57, -1, vcc
	v_xor_b32_e32 v64, v61, v12
	s_waitcnt lgkmcnt(0)
	v_add3_u32 v12, v59, v60, s50
	v_lshlrev_b64 v[60:61], 2, v[12:13]
	v_add_co_u32_e32 v60, vcc, s38, v60
	v_addc_co_u32_e32 v61, vcc, v63, v61, vcc
	s_cselect_b64 vcc, -1, 0
	s_cmp_eq_u32 s55, 6
	v_cndmask_b32_e32 v9, v9, v62, vcc
	s_cselect_b64 vcc, -1, 0
	s_cmp_eq_u32 s55, 5
	v_cndmask_b32_e32 v8, v8, v62, vcc
	;; [unrolled: 3-line block ×7, first 2 shown]
	s_cselect_b64 vcc, -1, 0
	v_cndmask_b32_e32 v2, v2, v62, vcc
	global_store_dword v[60:61], v64, off
.LBB1856_65:                            ;   in Loop: Header=BB1856_59 Depth=1
	s_or_b64 exec, exec, s[24:25]
	v_add_u32_e32 v12, 0xc00, v59
	v_cmp_gt_u32_e32 vcc, s7, v12
	s_and_saveexec_b64 s[24:25], vcc
	s_cbranch_execz .LBB1856_58
; %bb.66:                               ;   in Loop: Header=BB1856_59 Depth=1
	ds_read_b32 v12, v56 offset:12288
	v_mov_b32_e32 v63, s39
	s_or_b32 s54, s54, 3
	s_cmp_eq_u32 s54, 7
	s_waitcnt lgkmcnt(0)
	v_cmp_ne_u32_e32 vcc, s29, v12
	v_cndmask_b32_e32 v60, v57, v12, vcc
	v_lshrrev_b32_e32 v60, s48, v60
	v_and_b32_e32 v62, s53, v60
	v_lshlrev_b32_e32 v60, 2, v62
	ds_read_b32 v60, v60
	v_cmp_lt_i32_e32 vcc, -1, v12
	v_cndmask_b32_e64 v61, v57, -1, vcc
	v_xor_b32_e32 v64, v61, v12
	s_waitcnt lgkmcnt(0)
	v_add3_u32 v12, v59, v60, s51
	v_lshlrev_b64 v[60:61], 2, v[12:13]
	v_add_co_u32_e32 v60, vcc, s38, v60
	v_addc_co_u32_e32 v61, vcc, v63, v61, vcc
	s_cselect_b64 vcc, -1, 0
	s_cmp_eq_u32 s54, 6
	v_cndmask_b32_e32 v9, v9, v62, vcc
	s_cselect_b64 vcc, -1, 0
	s_cmp_eq_u32 s54, 5
	v_cndmask_b32_e32 v8, v8, v62, vcc
	;; [unrolled: 3-line block ×7, first 2 shown]
	s_cselect_b64 vcc, -1, 0
	v_cndmask_b32_e32 v2, v2, v62, vcc
	global_store_dword v[60:61], v64, off
	s_branch .LBB1856_58
.LBB1856_67:
	s_mov_b64 s[10:11], 0
                                        ; implicit-def: $vgpr2
	s_cbranch_execnz .LBB1856_86
	s_branch .LBB1856_129
.LBB1856_68:
	s_lshl_b64 s[22:23], s[34:35], 3
	s_add_u32 s22, s40, s22
	s_addc_u32 s23, s41, s23
	v_lshlrev_b32_e32 v12, 3, v17
	v_mov_b32_e32 v13, s23
	v_add_co_u32_e32 v12, vcc, s22, v12
	v_addc_co_u32_e32 v13, vcc, 0, v13, vcc
	v_lshlrev_b32_e32 v14, 3, v16
	v_add_co_u32_e32 v28, vcc, v12, v14
	v_addc_co_u32_e32 v29, vcc, 0, v13, vcc
                                        ; implicit-def: $vgpr12_vgpr13
	s_and_saveexec_b64 s[22:23], s[2:3]
	s_cbranch_execnz .LBB1856_132
; %bb.69:
	s_or_b64 exec, exec, s[22:23]
                                        ; implicit-def: $vgpr14_vgpr15
	s_and_saveexec_b64 s[2:3], s[26:27]
	s_cbranch_execnz .LBB1856_133
.LBB1856_70:
	s_or_b64 exec, exec, s[2:3]
                                        ; implicit-def: $vgpr16_vgpr17
	s_and_saveexec_b64 s[2:3], s[8:9]
	s_cbranch_execnz .LBB1856_134
.LBB1856_71:
	s_or_b64 exec, exec, s[2:3]
                                        ; implicit-def: $vgpr18_vgpr19
	s_and_saveexec_b64 s[2:3], s[10:11]
	s_cbranch_execnz .LBB1856_135
.LBB1856_72:
	s_or_b64 exec, exec, s[2:3]
                                        ; implicit-def: $vgpr20_vgpr21
	s_and_saveexec_b64 s[2:3], s[12:13]
	s_cbranch_execnz .LBB1856_136
.LBB1856_73:
	s_or_b64 exec, exec, s[2:3]
                                        ; implicit-def: $vgpr22_vgpr23
	s_and_saveexec_b64 s[2:3], s[14:15]
	s_cbranch_execnz .LBB1856_137
.LBB1856_74:
	s_or_b64 exec, exec, s[2:3]
                                        ; implicit-def: $vgpr24_vgpr25
	s_and_saveexec_b64 s[2:3], s[16:17]
	s_cbranch_execnz .LBB1856_138
.LBB1856_75:
	s_or_b64 exec, exec, s[2:3]
                                        ; implicit-def: $vgpr26_vgpr27
	s_and_saveexec_b64 s[2:3], s[18:19]
	s_cbranch_execz .LBB1856_77
.LBB1856_76:
	global_load_dwordx2 v[26:27], v[28:29], off offset:3584
.LBB1856_77:
	s_or_b64 exec, exec, s[2:3]
	s_movk_i32 s8, 0x400
	v_add_u32_e32 v54, 0x400, v11
	v_add3_u32 v42, v45, v52, v42
	v_add3_u32 v40, v41, v51, v40
	;; [unrolled: 1-line block ×7, first 2 shown]
	s_mov_b32 s9, 0
	v_mov_b32_e32 v29, 0
	s_mov_b32 s10, 0
	v_mov_b32_e32 v31, v10
	s_waitcnt vmcnt(0)
	s_branch .LBB1856_79
.LBB1856_78:                            ;   in Loop: Header=BB1856_79 Depth=1
	s_or_b64 exec, exec, s[2:3]
	s_addk_i32 s10, 0xf800
	s_add_i32 s9, s9, 2
	s_cmpk_eq_i32 s10, 0xe000
	v_add_u32_e32 v31, 0x800, v31
	s_barrier
	s_cbranch_scc1 .LBB1856_83
.LBB1856_79:                            ; =>This Inner Loop Header: Depth=1
	v_add_u32_e32 v28, s10, v53
	v_min_u32_e32 v28, 0x800, v28
	v_lshlrev_b32_e32 v28, 3, v28
	ds_write_b64 v28, v[12:13] offset:1024
	v_add_u32_e32 v28, s10, v30
	v_min_u32_e32 v28, 0x800, v28
	v_lshlrev_b32_e32 v28, 3, v28
	ds_write_b64 v28, v[14:15] offset:1024
	v_add_u32_e32 v28, s10, v32
	v_min_u32_e32 v28, 0x800, v28
	v_lshlrev_b32_e32 v28, 3, v28
	ds_write_b64 v28, v[16:17] offset:1024
	v_add_u32_e32 v28, s10, v34
	v_min_u32_e32 v28, 0x800, v28
	v_lshlrev_b32_e32 v28, 3, v28
	ds_write_b64 v28, v[18:19] offset:1024
	v_add_u32_e32 v28, s10, v36
	v_min_u32_e32 v28, 0x800, v28
	v_lshlrev_b32_e32 v28, 3, v28
	ds_write_b64 v28, v[20:21] offset:1024
	v_add_u32_e32 v28, s10, v38
	v_min_u32_e32 v28, 0x800, v28
	v_lshlrev_b32_e32 v28, 3, v28
	ds_write_b64 v28, v[22:23] offset:1024
	v_add_u32_e32 v28, s10, v40
	v_min_u32_e32 v28, 0x800, v28
	v_lshlrev_b32_e32 v28, 3, v28
	ds_write_b64 v28, v[24:25] offset:1024
	v_add_u32_e32 v28, s10, v42
	v_min_u32_e32 v28, 0x800, v28
	v_lshlrev_b32_e32 v28, 3, v28
	v_cmp_gt_u32_e32 vcc, s7, v31
	ds_write_b64 v28, v[26:27] offset:1024
	s_waitcnt lgkmcnt(0)
	s_barrier
	s_and_saveexec_b64 s[2:3], vcc
	s_cbranch_execz .LBB1856_81
; %bb.80:                               ;   in Loop: Header=BB1856_79 Depth=1
	s_cmp_eq_u32 s9, 1
	s_cselect_b64 vcc, -1, 0
	s_cmp_eq_u32 s9, 2
	v_cndmask_b32_e32 v28, v2, v3, vcc
	s_cselect_b64 vcc, -1, 0
	s_cmp_eq_u32 s9, 3
	v_cndmask_b32_e32 v28, v28, v4, vcc
	;; [unrolled: 3-line block ×6, first 2 shown]
	s_cselect_b64 vcc, -1, 0
	v_cndmask_b32_e32 v28, v28, v9, vcc
	v_lshlrev_b32_e32 v28, 2, v28
	ds_read_b32 v28, v28
	ds_read_b64 v[46:47], v11 offset:1024
	s_waitcnt lgkmcnt(1)
	v_add_u32_e32 v28, v31, v28
	v_lshlrev_b64 v[48:49], 3, v[28:29]
	v_mov_b32_e32 v28, s43
	v_add_co_u32_e32 v48, vcc, s42, v48
	v_addc_co_u32_e32 v49, vcc, v28, v49, vcc
	s_waitcnt lgkmcnt(0)
	global_store_dwordx2 v[48:49], v[46:47], off
.LBB1856_81:                            ;   in Loop: Header=BB1856_79 Depth=1
	s_or_b64 exec, exec, s[2:3]
	v_add_u32_e32 v28, 0x400, v31
	v_cmp_gt_u32_e32 vcc, s7, v28
	s_and_saveexec_b64 s[2:3], vcc
	s_cbranch_execz .LBB1856_78
; %bb.82:                               ;   in Loop: Header=BB1856_79 Depth=1
	s_add_i32 s11, s9, 1
	s_cmp_eq_u32 s11, 1
	s_cselect_b64 vcc, -1, 0
	s_cmp_eq_u32 s11, 2
	v_cndmask_b32_e32 v28, v2, v3, vcc
	s_cselect_b64 vcc, -1, 0
	s_cmp_eq_u32 s11, 3
	v_cndmask_b32_e32 v28, v28, v4, vcc
	;; [unrolled: 3-line block ×6, first 2 shown]
	s_cselect_b64 vcc, -1, 0
	v_cndmask_b32_e32 v28, v28, v9, vcc
	v_lshlrev_b32_e32 v28, 2, v28
	ds_read_b32 v28, v28
	ds_read_b64 v[46:47], v54 offset:8192
	s_waitcnt lgkmcnt(1)
	v_add3_u32 v28, v31, v28, s8
	v_lshlrev_b64 v[48:49], 3, v[28:29]
	v_mov_b32_e32 v28, s43
	v_add_co_u32_e32 v48, vcc, s42, v48
	v_addc_co_u32_e32 v49, vcc, v28, v49, vcc
	s_waitcnt lgkmcnt(0)
	global_store_dwordx2 v[48:49], v[46:47], off
	s_branch .LBB1856_78
.LBB1856_83:
	s_add_i32 s52, s52, -1
	s_cmp_eq_u32 s52, s33
	s_cselect_b64 s[2:3], -1, 0
	s_and_b64 s[8:9], s[20:21], s[2:3]
	s_mov_b64 s[2:3], 0
	s_mov_b64 s[10:11], 0
                                        ; implicit-def: $vgpr2
	s_and_saveexec_b64 s[12:13], s[8:9]
	s_xor_b64 s[8:9], exec, s[12:13]
; %bb.84:
	s_mov_b64 s[10:11], exec
	v_add_u32_e32 v2, v43, v44
; %bb.85:
	s_or_b64 exec, exec, s[8:9]
	s_and_b64 vcc, exec, s[2:3]
	s_cbranch_vccz .LBB1856_129
.LBB1856_86:
	s_lshl_b32 s12, s33, 13
	s_mov_b32 s13, 0
	v_mbcnt_hi_u32_b32 v4, -1, v1
	s_lshl_b64 s[2:3], s[12:13], 2
	v_and_b32_e32 v7, 63, v4
	s_add_u32 s2, s36, s2
	v_lshlrev_b32_e32 v1, 2, v7
	v_add_co_u32_e32 v1, vcc, s2, v1
	s_load_dword s16, s[4:5], 0x58
	s_load_dword s2, s[4:5], 0x64
	s_addc_u32 s3, s37, s3
	v_and_b32_e32 v6, 0x1e00, v11
	v_mov_b32_e32 v3, s3
	v_addc_co_u32_e32 v3, vcc, 0, v3, vcc
	v_lshlrev_b32_e32 v5, 2, v6
	v_add_co_u32_e32 v18, vcc, v1, v5
	s_add_u32 s3, s4, 0x58
	v_addc_co_u32_e32 v19, vcc, 0, v3, vcc
	s_addc_u32 s4, s5, 0
	s_waitcnt lgkmcnt(0)
	s_lshr_b32 s5, s2, 16
	global_load_dword v1, v[18:19], off
	s_cmp_lt_u32 s6, s16
	s_cselect_b32 s2, 12, 18
	s_add_u32 s2, s3, s2
	v_mov_b32_e32 v2, 0
	s_addc_u32 s3, s4, 0
	global_load_ushort v3, v2, s[2:3]
	v_mul_u32_u24_e32 v5, 5, v10
	v_lshlrev_b32_e32 v5, 2, v5
	ds_write2_b32 v5, v2, v2 offset0:16 offset1:17
	ds_write2_b32 v5, v2, v2 offset0:18 offset1:19
	ds_write_b32 v5, v2 offset:80
	global_load_dword v9, v[18:19], off offset:256
	global_load_dword v12, v[18:19], off offset:512
	;; [unrolled: 1-line block ×7, first 2 shown]
	v_bfrev_b32_e32 v16, 1
	v_bfe_u32 v8, v0, 10, 10
	v_bfe_u32 v0, v0, 20, 10
	v_mad_u32_u24 v0, v0, s5, v8
	s_brev_b32 s4, -2
	s_lshl_b32 s2, -1, s49
	s_not_b32 s17, s2
	s_waitcnt lgkmcnt(0)
	s_barrier
	s_waitcnt lgkmcnt(0)
	; wave barrier
	s_waitcnt vmcnt(8)
	v_cmp_lt_i32_e32 vcc, -1, v1
	v_cndmask_b32_e32 v8, -1, v16, vcc
	v_xor_b32_e32 v8, v8, v1
	v_cmp_ne_u32_e32 vcc, s4, v8
	v_cndmask_b32_e32 v15, v16, v8, vcc
	s_waitcnt vmcnt(7)
	v_mad_u64_u32 v[0:1], s[2:3], v0, v3, v[10:11]
	v_lshrrev_b32_e32 v1, s48, v15
	v_lshrrev_b32_e32 v26, 6, v0
	v_and_b32_e32 v0, s17, v1
	v_lshl_add_u32 v1, v0, 4, v0
	v_and_b32_e32 v15, 1, v0
	v_add_lshl_u32 v18, v26, v1, 2
	v_add_co_u32_e32 v1, vcc, -1, v15
	v_lshlrev_b32_e32 v3, 30, v0
	v_addc_co_u32_e64 v19, s[2:3], 0, -1, vcc
	v_cmp_ne_u32_e32 vcc, 0, v15
	v_cmp_gt_i64_e64 s[2:3], 0, v[2:3]
	v_not_b32_e32 v15, v3
	v_lshlrev_b32_e32 v3, 29, v0
	v_xor_b32_e32 v19, vcc_hi, v19
	v_xor_b32_e32 v1, vcc_lo, v1
	v_ashrrev_i32_e32 v15, 31, v15
	v_cmp_gt_i64_e32 vcc, 0, v[2:3]
	v_not_b32_e32 v20, v3
	v_lshlrev_b32_e32 v3, 28, v0
	v_and_b32_e32 v19, exec_hi, v19
	v_and_b32_e32 v1, exec_lo, v1
	v_xor_b32_e32 v22, s3, v15
	v_xor_b32_e32 v15, s2, v15
	v_ashrrev_i32_e32 v20, 31, v20
	v_cmp_gt_i64_e64 s[2:3], 0, v[2:3]
	v_not_b32_e32 v3, v3
	v_and_b32_e32 v19, v19, v22
	v_and_b32_e32 v1, v1, v15
	v_xor_b32_e32 v15, vcc_hi, v20
	v_xor_b32_e32 v20, vcc_lo, v20
	v_ashrrev_i32_e32 v3, 31, v3
	v_and_b32_e32 v15, v19, v15
	v_and_b32_e32 v1, v1, v20
	v_xor_b32_e32 v19, s3, v3
	v_xor_b32_e32 v3, s2, v3
	v_and_b32_e32 v1, v1, v3
	v_lshlrev_b32_e32 v3, 27, v0
	v_cmp_gt_i64_e32 vcc, 0, v[2:3]
	v_not_b32_e32 v3, v3
	v_ashrrev_i32_e32 v3, 31, v3
	v_and_b32_e32 v15, v15, v19
	v_xor_b32_e32 v19, vcc_hi, v3
	v_xor_b32_e32 v3, vcc_lo, v3
	v_and_b32_e32 v1, v1, v3
	v_lshlrev_b32_e32 v3, 26, v0
	v_cmp_gt_i64_e32 vcc, 0, v[2:3]
	v_not_b32_e32 v3, v3
	v_ashrrev_i32_e32 v3, 31, v3
	v_and_b32_e32 v15, v15, v19
	v_xor_b32_e32 v19, vcc_hi, v3
	v_xor_b32_e32 v3, vcc_lo, v3
	;; [unrolled: 8-line block ×3, first 2 shown]
	v_and_b32_e32 v15, v15, v19
	v_and_b32_e32 v19, v1, v3
	v_lshlrev_b32_e32 v3, 24, v0
	v_not_b32_e32 v0, v3
	v_cmp_gt_i64_e32 vcc, 0, v[2:3]
	v_ashrrev_i32_e32 v0, 31, v0
	v_xor_b32_e32 v1, vcc_hi, v0
	v_xor_b32_e32 v0, vcc_lo, v0
	v_and_b32_e32 v0, v19, v0
	v_and_b32_e32 v1, v15, v1
	v_mbcnt_lo_u32_b32 v3, v0, 0
	v_mbcnt_hi_u32_b32 v15, v1, v3
	v_cmp_eq_u32_e32 vcc, 0, v15
	v_cmp_ne_u64_e64 s[2:3], 0, v[0:1]
	s_and_b64 s[6:7], s[2:3], vcc
	s_and_saveexec_b64 s[2:3], s[6:7]
	s_cbranch_execz .LBB1856_88
; %bb.87:
	v_bcnt_u32_b32 v0, v0, 0
	v_bcnt_u32_b32 v0, v1, v0
	ds_write_b32 v18, v0 offset:64
.LBB1856_88:
	s_or_b64 exec, exec, s[2:3]
	s_waitcnt vmcnt(6)
	v_cmp_lt_i32_e32 vcc, -1, v9
	v_cndmask_b32_e32 v0, -1, v16, vcc
	v_xor_b32_e32 v9, v0, v9
	v_cmp_ne_u32_e32 vcc, s4, v9
	v_cndmask_b32_e32 v0, v16, v9, vcc
	v_lshrrev_b32_e32 v0, s48, v0
	v_and_b32_e32 v0, s17, v0
	v_lshl_add_u32 v1, v0, 4, v0
	v_add_lshl_u32 v22, v26, v1, 2
	v_and_b32_e32 v1, 1, v0
	v_add_co_u32_e32 v3, vcc, -1, v1
	v_addc_co_u32_e64 v19, s[2:3], 0, -1, vcc
	v_cmp_ne_u32_e32 vcc, 0, v1
	v_xor_b32_e32 v3, vcc_lo, v3
	v_xor_b32_e32 v1, vcc_hi, v19
	v_and_b32_e32 v19, exec_lo, v3
	v_lshlrev_b32_e32 v3, 30, v0
	v_cmp_gt_i64_e32 vcc, 0, v[2:3]
	v_not_b32_e32 v3, v3
	v_ashrrev_i32_e32 v3, 31, v3
	v_xor_b32_e32 v20, vcc_hi, v3
	v_xor_b32_e32 v3, vcc_lo, v3
	v_and_b32_e32 v19, v19, v3
	v_lshlrev_b32_e32 v3, 29, v0
	v_cmp_gt_i64_e32 vcc, 0, v[2:3]
	v_not_b32_e32 v3, v3
	v_and_b32_e32 v1, exec_hi, v1
	v_ashrrev_i32_e32 v3, 31, v3
	v_and_b32_e32 v1, v1, v20
	v_xor_b32_e32 v20, vcc_hi, v3
	v_xor_b32_e32 v3, vcc_lo, v3
	v_and_b32_e32 v19, v19, v3
	v_lshlrev_b32_e32 v3, 28, v0
	v_cmp_gt_i64_e32 vcc, 0, v[2:3]
	v_not_b32_e32 v3, v3
	v_ashrrev_i32_e32 v3, 31, v3
	v_and_b32_e32 v1, v1, v20
	v_xor_b32_e32 v20, vcc_hi, v3
	v_xor_b32_e32 v3, vcc_lo, v3
	v_and_b32_e32 v19, v19, v3
	v_lshlrev_b32_e32 v3, 27, v0
	v_cmp_gt_i64_e32 vcc, 0, v[2:3]
	v_not_b32_e32 v3, v3
	;; [unrolled: 8-line block ×4, first 2 shown]
	v_ashrrev_i32_e32 v3, 31, v3
	v_and_b32_e32 v1, v1, v20
	v_xor_b32_e32 v20, vcc_hi, v3
	v_xor_b32_e32 v3, vcc_lo, v3
	v_and_b32_e32 v19, v19, v3
	v_lshlrev_b32_e32 v3, 24, v0
	v_not_b32_e32 v0, v3
	v_cmp_gt_i64_e32 vcc, 0, v[2:3]
	v_ashrrev_i32_e32 v0, 31, v0
	v_xor_b32_e32 v2, vcc_hi, v0
	v_xor_b32_e32 v0, vcc_lo, v0
	; wave barrier
	ds_read_b32 v16, v22 offset:64
	v_and_b32_e32 v1, v1, v20
	v_and_b32_e32 v0, v19, v0
	;; [unrolled: 1-line block ×3, first 2 shown]
	v_mbcnt_lo_u32_b32 v2, v0, 0
	v_mbcnt_hi_u32_b32 v19, v1, v2
	v_cmp_eq_u32_e32 vcc, 0, v19
	v_cmp_ne_u64_e64 s[2:3], 0, v[0:1]
	s_and_b64 s[4:5], s[2:3], vcc
	; wave barrier
	s_and_saveexec_b64 s[2:3], s[4:5]
	s_cbranch_execz .LBB1856_90
; %bb.89:
	v_bcnt_u32_b32 v0, v0, 0
	v_bcnt_u32_b32 v0, v1, v0
	s_waitcnt lgkmcnt(0)
	v_add_u32_e32 v0, v16, v0
	ds_write_b32 v22, v0 offset:64
.LBB1856_90:
	s_or_b64 exec, exec, s[2:3]
	v_bfrev_b32_e32 v24, 1
	s_waitcnt vmcnt(5)
	v_cmp_lt_i32_e32 vcc, -1, v12
	v_cndmask_b32_e32 v0, -1, v24, vcc
	v_xor_b32_e32 v12, v0, v12
	s_brev_b32 s4, -2
	v_cmp_ne_u32_e32 vcc, s4, v12
	v_cndmask_b32_e32 v0, v24, v12, vcc
	v_lshrrev_b32_e32 v0, s48, v0
	v_and_b32_e32 v2, s17, v0
	v_and_b32_e32 v1, 1, v2
	v_add_co_u32_e32 v3, vcc, -1, v1
	v_addc_co_u32_e64 v23, s[2:3], 0, -1, vcc
	v_cmp_ne_u32_e32 vcc, 0, v1
	v_lshl_add_u32 v0, v2, 4, v2
	v_xor_b32_e32 v1, vcc_hi, v23
	v_add_lshl_u32 v27, v26, v0, 2
	v_mov_b32_e32 v0, 0
	v_and_b32_e32 v23, exec_hi, v1
	v_lshlrev_b32_e32 v1, 30, v2
	v_xor_b32_e32 v3, vcc_lo, v3
	v_cmp_gt_i64_e32 vcc, 0, v[0:1]
	v_not_b32_e32 v1, v1
	v_ashrrev_i32_e32 v1, 31, v1
	v_and_b32_e32 v3, exec_lo, v3
	v_xor_b32_e32 v28, vcc_hi, v1
	v_xor_b32_e32 v1, vcc_lo, v1
	v_and_b32_e32 v3, v3, v1
	v_lshlrev_b32_e32 v1, 29, v2
	v_cmp_gt_i64_e32 vcc, 0, v[0:1]
	v_not_b32_e32 v1, v1
	v_ashrrev_i32_e32 v1, 31, v1
	v_and_b32_e32 v23, v23, v28
	v_xor_b32_e32 v28, vcc_hi, v1
	v_xor_b32_e32 v1, vcc_lo, v1
	v_and_b32_e32 v3, v3, v1
	v_lshlrev_b32_e32 v1, 28, v2
	v_cmp_gt_i64_e32 vcc, 0, v[0:1]
	v_not_b32_e32 v1, v1
	v_ashrrev_i32_e32 v1, 31, v1
	v_and_b32_e32 v23, v23, v28
	;; [unrolled: 8-line block ×5, first 2 shown]
	v_xor_b32_e32 v28, vcc_hi, v1
	v_xor_b32_e32 v1, vcc_lo, v1
	v_and_b32_e32 v23, v23, v28
	v_and_b32_e32 v28, v3, v1
	v_lshlrev_b32_e32 v1, 24, v2
	v_cmp_gt_i64_e32 vcc, 0, v[0:1]
	v_not_b32_e32 v1, v1
	v_ashrrev_i32_e32 v1, 31, v1
	v_xor_b32_e32 v2, vcc_hi, v1
	v_xor_b32_e32 v1, vcc_lo, v1
	; wave barrier
	ds_read_b32 v20, v27 offset:64
	v_and_b32_e32 v3, v23, v2
	v_and_b32_e32 v2, v28, v1
	v_mbcnt_lo_u32_b32 v1, v2, 0
	v_mbcnt_hi_u32_b32 v23, v3, v1
	v_cmp_eq_u32_e32 vcc, 0, v23
	v_cmp_ne_u64_e64 s[2:3], 0, v[2:3]
	s_and_b64 s[6:7], s[2:3], vcc
	; wave barrier
	s_and_saveexec_b64 s[2:3], s[6:7]
	s_cbranch_execz .LBB1856_92
; %bb.91:
	v_bcnt_u32_b32 v1, v2, 0
	v_bcnt_u32_b32 v1, v3, v1
	s_waitcnt lgkmcnt(0)
	v_add_u32_e32 v1, v20, v1
	ds_write_b32 v27, v1 offset:64
.LBB1856_92:
	s_or_b64 exec, exec, s[2:3]
	s_waitcnt vmcnt(4)
	v_cmp_lt_i32_e32 vcc, -1, v13
	v_cndmask_b32_e32 v1, -1, v24, vcc
	v_xor_b32_e32 v13, v1, v13
	v_cmp_ne_u32_e32 vcc, s4, v13
	v_cndmask_b32_e32 v1, v24, v13, vcc
	v_lshrrev_b32_e32 v1, s48, v1
	v_and_b32_e32 v2, s17, v1
	v_lshl_add_u32 v1, v2, 4, v2
	v_add_lshl_u32 v30, v26, v1, 2
	v_and_b32_e32 v1, 1, v2
	v_add_co_u32_e32 v3, vcc, -1, v1
	v_addc_co_u32_e64 v28, s[2:3], 0, -1, vcc
	v_cmp_ne_u32_e32 vcc, 0, v1
	v_xor_b32_e32 v1, vcc_hi, v28
	v_and_b32_e32 v28, exec_hi, v1
	v_lshlrev_b32_e32 v1, 30, v2
	v_xor_b32_e32 v3, vcc_lo, v3
	v_cmp_gt_i64_e32 vcc, 0, v[0:1]
	v_not_b32_e32 v1, v1
	v_ashrrev_i32_e32 v1, 31, v1
	v_and_b32_e32 v3, exec_lo, v3
	v_xor_b32_e32 v29, vcc_hi, v1
	v_xor_b32_e32 v1, vcc_lo, v1
	v_and_b32_e32 v3, v3, v1
	v_lshlrev_b32_e32 v1, 29, v2
	v_cmp_gt_i64_e32 vcc, 0, v[0:1]
	v_not_b32_e32 v1, v1
	v_ashrrev_i32_e32 v1, 31, v1
	v_and_b32_e32 v28, v28, v29
	v_xor_b32_e32 v29, vcc_hi, v1
	v_xor_b32_e32 v1, vcc_lo, v1
	v_and_b32_e32 v3, v3, v1
	v_lshlrev_b32_e32 v1, 28, v2
	v_cmp_gt_i64_e32 vcc, 0, v[0:1]
	v_not_b32_e32 v1, v1
	v_ashrrev_i32_e32 v1, 31, v1
	v_and_b32_e32 v28, v28, v29
	;; [unrolled: 8-line block ×5, first 2 shown]
	v_xor_b32_e32 v29, vcc_hi, v1
	v_xor_b32_e32 v1, vcc_lo, v1
	v_and_b32_e32 v3, v3, v1
	v_lshlrev_b32_e32 v1, 24, v2
	v_cmp_gt_i64_e32 vcc, 0, v[0:1]
	v_not_b32_e32 v0, v1
	v_ashrrev_i32_e32 v0, 31, v0
	v_xor_b32_e32 v1, vcc_hi, v0
	v_xor_b32_e32 v0, vcc_lo, v0
	; wave barrier
	ds_read_b32 v24, v30 offset:64
	v_and_b32_e32 v28, v28, v29
	v_and_b32_e32 v0, v3, v0
	v_and_b32_e32 v1, v28, v1
	v_mbcnt_lo_u32_b32 v2, v0, 0
	v_mbcnt_hi_u32_b32 v28, v1, v2
	v_cmp_eq_u32_e32 vcc, 0, v28
	v_cmp_ne_u64_e64 s[2:3], 0, v[0:1]
	s_and_b64 s[4:5], s[2:3], vcc
	; wave barrier
	s_and_saveexec_b64 s[2:3], s[4:5]
	s_cbranch_execz .LBB1856_94
; %bb.93:
	v_bcnt_u32_b32 v0, v0, 0
	v_bcnt_u32_b32 v0, v1, v0
	s_waitcnt lgkmcnt(0)
	v_add_u32_e32 v0, v24, v0
	ds_write_b32 v30, v0 offset:64
.LBB1856_94:
	s_or_b64 exec, exec, s[2:3]
	v_bfrev_b32_e32 v32, 1
	s_waitcnt vmcnt(3)
	v_cmp_lt_i32_e32 vcc, -1, v14
	v_cndmask_b32_e32 v0, -1, v32, vcc
	v_xor_b32_e32 v14, v0, v14
	s_brev_b32 s4, -2
	v_cmp_ne_u32_e32 vcc, s4, v14
	v_cndmask_b32_e32 v0, v32, v14, vcc
	v_lshrrev_b32_e32 v0, s48, v0
	v_and_b32_e32 v2, s17, v0
	v_and_b32_e32 v1, 1, v2
	v_add_co_u32_e32 v3, vcc, -1, v1
	v_addc_co_u32_e64 v33, s[2:3], 0, -1, vcc
	v_cmp_ne_u32_e32 vcc, 0, v1
	v_lshl_add_u32 v0, v2, 4, v2
	v_xor_b32_e32 v1, vcc_hi, v33
	v_add_lshl_u32 v31, v26, v0, 2
	v_mov_b32_e32 v0, 0
	v_and_b32_e32 v33, exec_hi, v1
	v_lshlrev_b32_e32 v1, 30, v2
	v_xor_b32_e32 v3, vcc_lo, v3
	v_cmp_gt_i64_e32 vcc, 0, v[0:1]
	v_not_b32_e32 v1, v1
	v_ashrrev_i32_e32 v1, 31, v1
	v_and_b32_e32 v3, exec_lo, v3
	v_xor_b32_e32 v34, vcc_hi, v1
	v_xor_b32_e32 v1, vcc_lo, v1
	v_and_b32_e32 v3, v3, v1
	v_lshlrev_b32_e32 v1, 29, v2
	v_cmp_gt_i64_e32 vcc, 0, v[0:1]
	v_not_b32_e32 v1, v1
	v_ashrrev_i32_e32 v1, 31, v1
	v_and_b32_e32 v33, v33, v34
	v_xor_b32_e32 v34, vcc_hi, v1
	v_xor_b32_e32 v1, vcc_lo, v1
	v_and_b32_e32 v3, v3, v1
	v_lshlrev_b32_e32 v1, 28, v2
	v_cmp_gt_i64_e32 vcc, 0, v[0:1]
	v_not_b32_e32 v1, v1
	v_ashrrev_i32_e32 v1, 31, v1
	v_and_b32_e32 v33, v33, v34
	;; [unrolled: 8-line block ×5, first 2 shown]
	v_xor_b32_e32 v34, vcc_hi, v1
	v_xor_b32_e32 v1, vcc_lo, v1
	v_and_b32_e32 v33, v33, v34
	v_and_b32_e32 v34, v3, v1
	v_lshlrev_b32_e32 v1, 24, v2
	v_cmp_gt_i64_e32 vcc, 0, v[0:1]
	v_not_b32_e32 v1, v1
	v_ashrrev_i32_e32 v1, 31, v1
	v_xor_b32_e32 v2, vcc_hi, v1
	v_xor_b32_e32 v1, vcc_lo, v1
	; wave barrier
	ds_read_b32 v29, v31 offset:64
	v_and_b32_e32 v3, v33, v2
	v_and_b32_e32 v2, v34, v1
	v_mbcnt_lo_u32_b32 v1, v2, 0
	v_mbcnt_hi_u32_b32 v33, v3, v1
	v_cmp_eq_u32_e32 vcc, 0, v33
	v_cmp_ne_u64_e64 s[2:3], 0, v[2:3]
	s_and_b64 s[6:7], s[2:3], vcc
	; wave barrier
	s_and_saveexec_b64 s[2:3], s[6:7]
	s_cbranch_execz .LBB1856_96
; %bb.95:
	v_bcnt_u32_b32 v1, v2, 0
	v_bcnt_u32_b32 v1, v3, v1
	s_waitcnt lgkmcnt(0)
	v_add_u32_e32 v1, v29, v1
	ds_write_b32 v31, v1 offset:64
.LBB1856_96:
	s_or_b64 exec, exec, s[2:3]
	s_waitcnt vmcnt(2)
	v_cmp_lt_i32_e32 vcc, -1, v17
	v_cndmask_b32_e32 v1, -1, v32, vcc
	v_xor_b32_e32 v17, v1, v17
	v_cmp_ne_u32_e32 vcc, s4, v17
	v_cndmask_b32_e32 v1, v32, v17, vcc
	v_lshrrev_b32_e32 v1, s48, v1
	v_and_b32_e32 v2, s17, v1
	v_lshl_add_u32 v1, v2, 4, v2
	v_add_lshl_u32 v36, v26, v1, 2
	v_and_b32_e32 v1, 1, v2
	v_add_co_u32_e32 v3, vcc, -1, v1
	v_addc_co_u32_e64 v34, s[2:3], 0, -1, vcc
	v_cmp_ne_u32_e32 vcc, 0, v1
	v_xor_b32_e32 v1, vcc_hi, v34
	v_and_b32_e32 v34, exec_hi, v1
	v_lshlrev_b32_e32 v1, 30, v2
	v_xor_b32_e32 v3, vcc_lo, v3
	v_cmp_gt_i64_e32 vcc, 0, v[0:1]
	v_not_b32_e32 v1, v1
	v_ashrrev_i32_e32 v1, 31, v1
	v_and_b32_e32 v3, exec_lo, v3
	v_xor_b32_e32 v35, vcc_hi, v1
	v_xor_b32_e32 v1, vcc_lo, v1
	v_and_b32_e32 v3, v3, v1
	v_lshlrev_b32_e32 v1, 29, v2
	v_cmp_gt_i64_e32 vcc, 0, v[0:1]
	v_not_b32_e32 v1, v1
	v_ashrrev_i32_e32 v1, 31, v1
	v_and_b32_e32 v34, v34, v35
	v_xor_b32_e32 v35, vcc_hi, v1
	v_xor_b32_e32 v1, vcc_lo, v1
	v_and_b32_e32 v3, v3, v1
	v_lshlrev_b32_e32 v1, 28, v2
	v_cmp_gt_i64_e32 vcc, 0, v[0:1]
	v_not_b32_e32 v1, v1
	v_ashrrev_i32_e32 v1, 31, v1
	v_and_b32_e32 v34, v34, v35
	;; [unrolled: 8-line block ×5, first 2 shown]
	v_xor_b32_e32 v35, vcc_hi, v1
	v_xor_b32_e32 v1, vcc_lo, v1
	v_and_b32_e32 v3, v3, v1
	v_lshlrev_b32_e32 v1, 24, v2
	v_cmp_gt_i64_e32 vcc, 0, v[0:1]
	v_not_b32_e32 v0, v1
	v_ashrrev_i32_e32 v0, 31, v0
	v_xor_b32_e32 v1, vcc_hi, v0
	v_xor_b32_e32 v0, vcc_lo, v0
	; wave barrier
	ds_read_b32 v32, v36 offset:64
	v_and_b32_e32 v34, v34, v35
	v_and_b32_e32 v0, v3, v0
	;; [unrolled: 1-line block ×3, first 2 shown]
	v_mbcnt_lo_u32_b32 v2, v0, 0
	v_mbcnt_hi_u32_b32 v34, v1, v2
	v_cmp_eq_u32_e32 vcc, 0, v34
	v_cmp_ne_u64_e64 s[2:3], 0, v[0:1]
	s_and_b64 s[4:5], s[2:3], vcc
	; wave barrier
	s_and_saveexec_b64 s[2:3], s[4:5]
	s_cbranch_execz .LBB1856_98
; %bb.97:
	v_bcnt_u32_b32 v0, v0, 0
	v_bcnt_u32_b32 v0, v1, v0
	s_waitcnt lgkmcnt(0)
	v_add_u32_e32 v0, v32, v0
	ds_write_b32 v36, v0 offset:64
.LBB1856_98:
	s_or_b64 exec, exec, s[2:3]
	v_bfrev_b32_e32 v38, 1
	s_waitcnt vmcnt(1)
	v_cmp_lt_i32_e32 vcc, -1, v21
	v_cndmask_b32_e32 v0, -1, v38, vcc
	v_xor_b32_e32 v21, v0, v21
	s_brev_b32 s4, -2
	v_cmp_ne_u32_e32 vcc, s4, v21
	v_cndmask_b32_e32 v0, v38, v21, vcc
	v_lshrrev_b32_e32 v0, s48, v0
	v_and_b32_e32 v2, s17, v0
	v_and_b32_e32 v1, 1, v2
	v_add_co_u32_e32 v3, vcc, -1, v1
	v_addc_co_u32_e64 v37, s[2:3], 0, -1, vcc
	v_cmp_ne_u32_e32 vcc, 0, v1
	v_lshl_add_u32 v0, v2, 4, v2
	v_xor_b32_e32 v1, vcc_hi, v37
	v_add_lshl_u32 v39, v26, v0, 2
	v_mov_b32_e32 v0, 0
	v_and_b32_e32 v37, exec_hi, v1
	v_lshlrev_b32_e32 v1, 30, v2
	v_xor_b32_e32 v3, vcc_lo, v3
	v_cmp_gt_i64_e32 vcc, 0, v[0:1]
	v_not_b32_e32 v1, v1
	v_ashrrev_i32_e32 v1, 31, v1
	v_and_b32_e32 v3, exec_lo, v3
	v_xor_b32_e32 v40, vcc_hi, v1
	v_xor_b32_e32 v1, vcc_lo, v1
	v_and_b32_e32 v3, v3, v1
	v_lshlrev_b32_e32 v1, 29, v2
	v_cmp_gt_i64_e32 vcc, 0, v[0:1]
	v_not_b32_e32 v1, v1
	v_ashrrev_i32_e32 v1, 31, v1
	v_and_b32_e32 v37, v37, v40
	v_xor_b32_e32 v40, vcc_hi, v1
	v_xor_b32_e32 v1, vcc_lo, v1
	v_and_b32_e32 v3, v3, v1
	v_lshlrev_b32_e32 v1, 28, v2
	v_cmp_gt_i64_e32 vcc, 0, v[0:1]
	v_not_b32_e32 v1, v1
	v_ashrrev_i32_e32 v1, 31, v1
	v_and_b32_e32 v37, v37, v40
	;; [unrolled: 8-line block ×5, first 2 shown]
	v_xor_b32_e32 v40, vcc_hi, v1
	v_xor_b32_e32 v1, vcc_lo, v1
	v_and_b32_e32 v37, v37, v40
	v_and_b32_e32 v40, v3, v1
	v_lshlrev_b32_e32 v1, 24, v2
	v_cmp_gt_i64_e32 vcc, 0, v[0:1]
	v_not_b32_e32 v1, v1
	v_ashrrev_i32_e32 v1, 31, v1
	v_xor_b32_e32 v2, vcc_hi, v1
	v_xor_b32_e32 v1, vcc_lo, v1
	; wave barrier
	ds_read_b32 v35, v39 offset:64
	v_and_b32_e32 v3, v37, v2
	v_and_b32_e32 v2, v40, v1
	v_mbcnt_lo_u32_b32 v1, v2, 0
	v_mbcnt_hi_u32_b32 v37, v3, v1
	v_cmp_eq_u32_e32 vcc, 0, v37
	v_cmp_ne_u64_e64 s[2:3], 0, v[2:3]
	s_and_b64 s[6:7], s[2:3], vcc
	; wave barrier
	s_and_saveexec_b64 s[2:3], s[6:7]
	s_cbranch_execz .LBB1856_100
; %bb.99:
	v_bcnt_u32_b32 v1, v2, 0
	v_bcnt_u32_b32 v1, v3, v1
	s_waitcnt lgkmcnt(0)
	v_add_u32_e32 v1, v35, v1
	ds_write_b32 v39, v1 offset:64
.LBB1856_100:
	s_or_b64 exec, exec, s[2:3]
	s_waitcnt vmcnt(0)
	v_cmp_lt_i32_e32 vcc, -1, v25
	v_cndmask_b32_e32 v1, -1, v38, vcc
	v_xor_b32_e32 v25, v1, v25
	v_cmp_ne_u32_e32 vcc, s4, v25
	v_cndmask_b32_e32 v1, v38, v25, vcc
	v_lshrrev_b32_e32 v1, s48, v1
	v_and_b32_e32 v2, s17, v1
	v_lshl_add_u32 v1, v2, 4, v2
	v_add_lshl_u32 v26, v1, v26, 2
	v_and_b32_e32 v1, 1, v2
	v_add_co_u32_e32 v3, vcc, -1, v1
	v_addc_co_u32_e64 v40, s[2:3], 0, -1, vcc
	v_cmp_ne_u32_e32 vcc, 0, v1
	v_xor_b32_e32 v1, vcc_hi, v40
	v_and_b32_e32 v40, exec_hi, v1
	v_lshlrev_b32_e32 v1, 30, v2
	v_xor_b32_e32 v3, vcc_lo, v3
	v_cmp_gt_i64_e32 vcc, 0, v[0:1]
	v_not_b32_e32 v1, v1
	v_ashrrev_i32_e32 v1, 31, v1
	v_and_b32_e32 v3, exec_lo, v3
	v_xor_b32_e32 v42, vcc_hi, v1
	v_xor_b32_e32 v1, vcc_lo, v1
	v_and_b32_e32 v3, v3, v1
	v_lshlrev_b32_e32 v1, 29, v2
	v_cmp_gt_i64_e32 vcc, 0, v[0:1]
	v_not_b32_e32 v1, v1
	v_ashrrev_i32_e32 v1, 31, v1
	v_and_b32_e32 v40, v40, v42
	v_xor_b32_e32 v42, vcc_hi, v1
	v_xor_b32_e32 v1, vcc_lo, v1
	v_and_b32_e32 v3, v3, v1
	v_lshlrev_b32_e32 v1, 28, v2
	v_cmp_gt_i64_e32 vcc, 0, v[0:1]
	v_not_b32_e32 v1, v1
	v_ashrrev_i32_e32 v1, 31, v1
	v_and_b32_e32 v40, v40, v42
	;; [unrolled: 8-line block ×5, first 2 shown]
	v_xor_b32_e32 v42, vcc_hi, v1
	v_xor_b32_e32 v1, vcc_lo, v1
	v_and_b32_e32 v3, v3, v1
	v_lshlrev_b32_e32 v1, 24, v2
	v_cmp_gt_i64_e32 vcc, 0, v[0:1]
	v_not_b32_e32 v0, v1
	v_ashrrev_i32_e32 v0, 31, v0
	v_xor_b32_e32 v1, vcc_hi, v0
	v_xor_b32_e32 v0, vcc_lo, v0
	; wave barrier
	ds_read_b32 v38, v26 offset:64
	v_and_b32_e32 v40, v40, v42
	v_and_b32_e32 v0, v3, v0
	;; [unrolled: 1-line block ×3, first 2 shown]
	v_mbcnt_lo_u32_b32 v2, v0, 0
	v_mbcnt_hi_u32_b32 v40, v1, v2
	v_cmp_eq_u32_e32 vcc, 0, v40
	v_cmp_ne_u64_e64 s[2:3], 0, v[0:1]
	v_add_u32_e32 v41, 64, v5
	s_and_b64 s[4:5], s[2:3], vcc
	; wave barrier
	s_and_saveexec_b64 s[2:3], s[4:5]
	s_cbranch_execz .LBB1856_102
; %bb.101:
	v_bcnt_u32_b32 v0, v0, 0
	v_bcnt_u32_b32 v0, v1, v0
	s_waitcnt lgkmcnt(0)
	v_add_u32_e32 v0, v38, v0
	ds_write_b32 v26, v0 offset:64
.LBB1856_102:
	s_or_b64 exec, exec, s[2:3]
	; wave barrier
	s_waitcnt lgkmcnt(0)
	s_barrier
	ds_read2_b32 v[2:3], v5 offset0:16 offset1:17
	ds_read2_b32 v[0:1], v41 offset0:2 offset1:3
	ds_read_b32 v42, v41 offset:16
	v_cmp_lt_u32_e64 s[8:9], 31, v4
	s_waitcnt lgkmcnt(1)
	v_add3_u32 v43, v3, v2, v0
	s_waitcnt lgkmcnt(0)
	v_add3_u32 v42, v43, v1, v42
	v_and_b32_e32 v43, 15, v4
	v_cmp_eq_u32_e32 vcc, 0, v43
	v_mov_b32_dpp v44, v42 row_shr:1 row_mask:0xf bank_mask:0xf
	v_cndmask_b32_e64 v44, v44, 0, vcc
	v_add_u32_e32 v42, v44, v42
	v_cmp_lt_u32_e64 s[2:3], 1, v43
	v_cmp_lt_u32_e64 s[4:5], 3, v43
	v_mov_b32_dpp v44, v42 row_shr:2 row_mask:0xf bank_mask:0xf
	v_cndmask_b32_e64 v44, 0, v44, s[2:3]
	v_add_u32_e32 v42, v42, v44
	v_cmp_lt_u32_e64 s[6:7], 7, v43
	s_nop 0
	v_mov_b32_dpp v44, v42 row_shr:4 row_mask:0xf bank_mask:0xf
	v_cndmask_b32_e64 v44, 0, v44, s[4:5]
	v_add_u32_e32 v42, v42, v44
	s_nop 1
	v_mov_b32_dpp v44, v42 row_shr:8 row_mask:0xf bank_mask:0xf
	v_cndmask_b32_e64 v43, 0, v44, s[6:7]
	v_add_u32_e32 v42, v42, v43
	v_bfe_i32 v44, v4, 4, 1
	s_nop 0
	v_mov_b32_dpp v43, v42 row_bcast:15 row_mask:0xf bank_mask:0xf
	v_and_b32_e32 v43, v44, v43
	v_add_u32_e32 v42, v42, v43
	v_and_b32_e32 v44, 63, v10
	s_nop 0
	v_mov_b32_dpp v43, v42 row_bcast:31 row_mask:0xf bank_mask:0xf
	v_cndmask_b32_e64 v43, 0, v43, s[8:9]
	v_add_u32_e32 v42, v42, v43
	v_lshrrev_b32_e32 v43, 6, v10
	v_cmp_eq_u32_e64 s[8:9], 63, v44
	s_and_saveexec_b64 s[14:15], s[8:9]
	s_cbranch_execz .LBB1856_104
; %bb.103:
	v_lshlrev_b32_e32 v44, 2, v43
	ds_write_b32 v44, v42
.LBB1856_104:
	s_or_b64 exec, exec, s[14:15]
	v_cmp_gt_u32_e64 s[8:9], 16, v10
	s_waitcnt lgkmcnt(0)
	s_barrier
	s_and_saveexec_b64 s[14:15], s[8:9]
	s_cbranch_execz .LBB1856_106
; %bb.105:
	v_lshlrev_b32_e32 v44, 2, v10
	ds_read_b32 v45, v44
	s_waitcnt lgkmcnt(0)
	s_nop 0
	v_mov_b32_dpp v46, v45 row_shr:1 row_mask:0xf bank_mask:0xf
	v_cndmask_b32_e64 v46, v46, 0, vcc
	v_add_u32_e32 v45, v46, v45
	s_nop 1
	v_mov_b32_dpp v46, v45 row_shr:2 row_mask:0xf bank_mask:0xf
	v_cndmask_b32_e64 v46, 0, v46, s[2:3]
	v_add_u32_e32 v45, v45, v46
	s_nop 1
	v_mov_b32_dpp v46, v45 row_shr:4 row_mask:0xf bank_mask:0xf
	v_cndmask_b32_e64 v46, 0, v46, s[4:5]
	;; [unrolled: 4-line block ×3, first 2 shown]
	v_add_u32_e32 v45, v45, v46
	ds_write_b32 v44, v45
.LBB1856_106:
	s_or_b64 exec, exec, s[14:15]
	v_cmp_lt_u32_e32 vcc, 63, v10
	v_mov_b32_e32 v44, 0
	s_waitcnt lgkmcnt(0)
	s_barrier
	s_and_saveexec_b64 s[2:3], vcc
	s_cbranch_execz .LBB1856_108
; %bb.107:
	v_lshl_add_u32 v43, v43, 2, -4
	ds_read_b32 v44, v43
.LBB1856_108:
	s_or_b64 exec, exec, s[2:3]
	v_add_u32_e32 v43, -1, v4
	v_and_b32_e32 v45, 64, v4
	v_cmp_lt_i32_e32 vcc, v43, v45
	v_cndmask_b32_e32 v43, v43, v4, vcc
	s_waitcnt lgkmcnt(0)
	v_add_u32_e32 v42, v44, v42
	v_lshlrev_b32_e32 v43, 2, v43
	ds_bpermute_b32 v42, v43, v42
	v_cmp_eq_u32_e32 vcc, 0, v4
	s_waitcnt lgkmcnt(0)
	v_cndmask_b32_e32 v4, v42, v44, vcc
	v_cndmask_b32_e64 v4, v4, 0, s[0:1]
	v_add_u32_e32 v2, v4, v2
	v_add_u32_e32 v3, v2, v3
	;; [unrolled: 1-line block ×4, first 2 shown]
	ds_write2_b32 v5, v4, v2 offset0:16 offset1:17
	ds_write2_b32 v41, v3, v0 offset0:2 offset1:3
	ds_write_b32 v41, v1 offset:16
	s_waitcnt lgkmcnt(0)
	s_barrier
	ds_read_b32 v44, v18 offset:64
	ds_read_b32 v18, v22 offset:64
	;; [unrolled: 1-line block ×8, first 2 shown]
	s_movk_i32 s0, 0x100
	v_cmp_gt_u32_e64 s[0:1], s0, v10
                                        ; implicit-def: $vgpr22
                                        ; implicit-def: $vgpr26
	s_and_saveexec_b64 s[2:3], s[0:1]
	s_cbranch_execz .LBB1856_112
; %bb.109:
	v_mul_u32_u24_e32 v0, 17, v10
	v_lshlrev_b32_e32 v1, 2, v0
	ds_read_b32 v22, v1 offset:64
	s_movk_i32 s4, 0xff
	v_cmp_ne_u32_e32 vcc, s4, v10
	v_mov_b32_e32 v0, 0x2000
	s_and_saveexec_b64 s[4:5], vcc
	s_cbranch_execz .LBB1856_111
; %bb.110:
	ds_read_b32 v0, v1 offset:132
.LBB1856_111:
	s_or_b64 exec, exec, s[4:5]
	s_waitcnt lgkmcnt(0)
	v_sub_u32_e32 v26, v0, v22
.LBB1856_112:
	s_or_b64 exec, exec, s[2:3]
	s_waitcnt lgkmcnt(0)
	s_barrier
	s_and_saveexec_b64 s[2:3], s[0:1]
	s_cbranch_execz .LBB1856_122
; %bb.113:
	v_lshl_or_b32 v0, s33, 8, v10
	v_mov_b32_e32 v1, 0
	v_lshlrev_b64 v[2:3], 2, v[0:1]
	v_mov_b32_e32 v27, s31
	v_add_co_u32_e32 v2, vcc, s30, v2
	v_addc_co_u32_e32 v3, vcc, v27, v3, vcc
	v_or_b32_e32 v0, 2.0, v26
	s_mov_b64 s[4:5], 0
	s_brev_b32 s14, 1
	s_mov_b32 s15, s33
	v_mov_b32_e32 v39, 0
	global_store_dword v[2:3], v0, off
                                        ; implicit-def: $sgpr6_sgpr7
	s_branch .LBB1856_116
.LBB1856_114:                           ;   in Loop: Header=BB1856_116 Depth=1
	s_or_b64 exec, exec, s[8:9]
.LBB1856_115:                           ;   in Loop: Header=BB1856_116 Depth=1
	s_or_b64 exec, exec, s[6:7]
	v_and_b32_e32 v4, 0x3fffffff, v45
	v_add_u32_e32 v39, v4, v39
	v_cmp_eq_u32_e64 s[6:7], s14, v0
	s_and_b64 s[8:9], exec, s[6:7]
	s_or_b64 s[4:5], s[8:9], s[4:5]
	s_andn2_b64 exec, exec, s[4:5]
	s_cbranch_execz .LBB1856_121
.LBB1856_116:                           ; =>This Loop Header: Depth=1
                                        ;     Child Loop BB1856_119 Depth 2
	s_or_b64 s[6:7], s[6:7], exec
	s_cmp_eq_u32 s15, 0
	s_cbranch_scc1 .LBB1856_120
; %bb.117:                              ;   in Loop: Header=BB1856_116 Depth=1
	s_add_i32 s15, s15, -1
	v_lshl_or_b32 v0, s15, 8, v10
	v_lshlrev_b64 v[4:5], 2, v[0:1]
	v_add_co_u32_e32 v4, vcc, s30, v4
	v_addc_co_u32_e32 v5, vcc, v27, v5, vcc
	global_load_dword v45, v[4:5], off glc
	s_waitcnt vmcnt(0)
	v_and_b32_e32 v0, -2.0, v45
	v_cmp_eq_u32_e32 vcc, 0, v0
	s_and_saveexec_b64 s[6:7], vcc
	s_cbranch_execz .LBB1856_115
; %bb.118:                              ;   in Loop: Header=BB1856_116 Depth=1
	s_mov_b64 s[8:9], 0
.LBB1856_119:                           ;   Parent Loop BB1856_116 Depth=1
                                        ; =>  This Inner Loop Header: Depth=2
	global_load_dword v45, v[4:5], off glc
	s_waitcnt vmcnt(0)
	v_and_b32_e32 v0, -2.0, v45
	v_cmp_ne_u32_e32 vcc, 0, v0
	s_or_b64 s[8:9], vcc, s[8:9]
	s_andn2_b64 exec, exec, s[8:9]
	s_cbranch_execnz .LBB1856_119
	s_branch .LBB1856_114
.LBB1856_120:                           ;   in Loop: Header=BB1856_116 Depth=1
                                        ; implicit-def: $sgpr15
	s_and_b64 s[8:9], exec, s[6:7]
	s_or_b64 s[4:5], s[8:9], s[4:5]
	s_andn2_b64 exec, exec, s[4:5]
	s_cbranch_execnz .LBB1856_116
.LBB1856_121:
	s_or_b64 exec, exec, s[4:5]
	v_add_u32_e32 v0, v39, v26
	v_or_b32_e32 v0, 0x80000000, v0
	global_store_dword v[2:3], v0, off
	v_lshlrev_b32_e32 v0, 2, v10
	global_load_dword v1, v0, s[44:45]
	v_sub_u32_e32 v2, v39, v22
	s_waitcnt vmcnt(0)
	v_add_u32_e32 v1, v2, v1
	ds_write_b32 v0, v1
.LBB1856_122:
	s_or_b64 exec, exec, s[2:3]
	v_lshlrev_b32_e32 v2, 2, v10
	v_add_u32_e32 v27, v44, v15
	s_movk_i32 s4, 0x400
	v_add_u32_e32 v3, 0x400, v2
	v_add3_u32 v30, v40, v30, v38
	v_add3_u32 v31, v37, v31, v35
	;; [unrolled: 1-line block ×7, first 2 shown]
	s_mov_b64 s[2:3], -1
	s_mov_b32 s5, 0
	s_brev_b32 s6, -2
	v_bfrev_b32_e32 v4, 1
	v_mov_b32_e32 v5, s39
	s_movk_i32 s7, 0x800
	s_movk_i32 s8, 0xc00
	v_mov_b32_e32 v1, 0
	v_mov_b32_e32 v15, v10
	s_mov_b32 s9, 0
                                        ; implicit-def: $vgpr39
                                        ; implicit-def: $vgpr38
                                        ; implicit-def: $vgpr37
                                        ; implicit-def: $vgpr36
                                        ; implicit-def: $vgpr35
                                        ; implicit-def: $vgpr34
                                        ; implicit-def: $vgpr33
                                        ; implicit-def: $vgpr28
.LBB1856_123:                           ; =>This Inner Loop Header: Depth=1
	v_add_u32_e32 v0, s5, v27
	v_add_u32_e32 v18, s5, v20
	;; [unrolled: 1-line block ×8, first 2 shown]
	v_min_u32_e32 v0, 0x1000, v0
	v_min_u32_e32 v18, 0x1000, v18
	;; [unrolled: 1-line block ×8, first 2 shown]
	v_lshlrev_b32_e32 v0, 2, v0
	v_lshlrev_b32_e32 v18, 2, v18
	;; [unrolled: 1-line block ×8, first 2 shown]
	ds_write_b32 v0, v8 offset:1024
	ds_write_b32 v16, v9 offset:1024
	;; [unrolled: 1-line block ×8, first 2 shown]
	s_waitcnt lgkmcnt(0)
	s_barrier
	ds_read2st64_b32 v[18:19], v3 offset0:16 offset1:32
	ds_read_b32 v0, v2 offset:1024
	s_cmp_eq_u32 s9, 0
	s_waitcnt lgkmcnt(1)
	v_cmp_ne_u32_e32 vcc, s6, v18
	v_cndmask_b32_e32 v16, v4, v18, vcc
	v_cmp_lt_i32_e32 vcc, -1, v18
	v_cndmask_b32_e64 v40, v4, -1, vcc
	v_cmp_ne_u32_e32 vcc, s6, v19
	v_cndmask_b32_e32 v41, v4, v19, vcc
	v_cmp_lt_i32_e32 vcc, -1, v19
	v_lshrrev_b32_e32 v16, s48, v16
	v_cndmask_b32_e64 v42, v4, -1, vcc
	v_xor_b32_e32 v40, v40, v18
	v_lshrrev_b32_e32 v18, s48, v41
	v_and_b32_e32 v16, s17, v16
	s_waitcnt lgkmcnt(0)
	v_cmp_ne_u32_e32 vcc, s6, v0
	v_xor_b32_e32 v41, v42, v19
	v_and_b32_e32 v42, s17, v18
	v_lshlrev_b32_e32 v18, 2, v16
	v_cndmask_b32_e32 v44, v4, v0, vcc
	ds_read_b32 v43, v18
	ds_read_b32 v18, v3 offset:12288
	v_cmp_lt_i32_e32 vcc, -1, v0
	v_lshrrev_b32_e32 v44, s48, v44
	v_cndmask_b32_e64 v45, v4, -1, vcc
	v_and_b32_e32 v44, s17, v44
	s_cselect_b64 vcc, -1, 0
	s_cmp_eq_u32 s9, 1
	v_cndmask_b32_e32 v39, v39, v44, vcc
	s_cselect_b64 vcc, -1, 0
	s_cmp_eq_u32 s9, 2
	v_cndmask_b32_e32 v38, v38, v44, vcc
	s_cselect_b64 vcc, -1, 0
	s_cmp_eq_u32 s9, 3
	v_xor_b32_e32 v45, v45, v0
	v_lshlrev_b32_e32 v0, 2, v44
	v_cndmask_b32_e32 v37, v37, v44, vcc
	s_cselect_b64 vcc, -1, 0
	v_lshlrev_b32_e32 v19, 2, v42
	ds_read_b32 v0, v0
	ds_read_b32 v46, v19
	v_cndmask_b32_e32 v36, v36, v44, vcc
	s_waitcnt lgkmcnt(2)
	v_cmp_ne_u32_e32 vcc, s6, v18
	s_cmp_eq_u32 s9, 4
	v_cndmask_b32_e32 v19, v4, v18, vcc
	v_cmp_lt_i32_e32 vcc, -1, v18
	v_cndmask_b32_e64 v47, v4, -1, vcc
	s_cselect_b64 vcc, -1, 0
	s_cmp_eq_u32 s9, 5
	v_lshrrev_b32_e32 v19, s48, v19
	v_cndmask_b32_e32 v48, v35, v44, vcc
	s_cselect_b64 vcc, -1, 0
	s_cmp_eq_u32 s9, 6
	v_and_b32_e32 v50, s17, v19
	v_xor_b32_e32 v47, v47, v18
	v_cndmask_b32_e32 v49, v34, v44, vcc
	s_cselect_b64 vcc, -1, 0
	s_cmp_eq_u32 s9, 7
	v_lshlrev_b32_e32 v18, 2, v50
	s_waitcnt lgkmcnt(1)
	v_add_u32_e32 v0, v15, v0
	v_cndmask_b32_e32 v33, v33, v44, vcc
	ds_read_b32 v51, v18
	s_cselect_b64 vcc, -1, 0
	v_lshlrev_b64 v[18:19], 2, v[0:1]
	v_cndmask_b32_e32 v28, v28, v44, vcc
	s_or_b32 s14, s9, 1
	v_add_co_u32_e32 v18, vcc, s38, v18
	v_add3_u32 v0, v15, v43, s4
	s_cmp_eq_u32 s14, 7
	v_addc_co_u32_e32 v19, vcc, v5, v19, vcc
	v_lshlrev_b64 v[34:35], 2, v[0:1]
	s_cselect_b64 vcc, -1, 0
	v_cndmask_b32_e32 v28, v28, v16, vcc
	global_store_dword v[18:19], v45, off
	v_add_co_u32_e32 v18, vcc, s38, v34
	s_cmp_eq_u32 s14, 6
	v_addc_co_u32_e32 v19, vcc, v5, v35, vcc
	s_waitcnt lgkmcnt(1)
	v_add3_u32 v0, v15, v46, s7
	s_cselect_b64 vcc, -1, 0
	s_cmp_eq_u32 s14, 5
	v_cndmask_b32_e32 v33, v33, v16, vcc
	v_lshlrev_b64 v[34:35], 2, v[0:1]
	s_cselect_b64 vcc, -1, 0
	global_store_dword v[18:19], v40, off
	v_cndmask_b32_e32 v40, v49, v16, vcc
	v_add_co_u32_e32 v18, vcc, s38, v34
	s_cmp_eq_u32 s14, 4
	v_addc_co_u32_e32 v19, vcc, v5, v35, vcc
	s_cselect_b64 vcc, -1, 0
	s_cmp_eq_u32 s14, 3
	v_cndmask_b32_e32 v34, v48, v16, vcc
	s_waitcnt lgkmcnt(0)
	v_add3_u32 v0, v15, v51, s8
	s_cselect_b64 vcc, -1, 0
	s_cmp_eq_u32 s14, 2
	global_store_dword v[18:19], v41, off
	v_cndmask_b32_e32 v35, v36, v16, vcc
	v_lshlrev_b64 v[18:19], 2, v[0:1]
	s_cselect_b64 vcc, -1, 0
	v_cndmask_b32_e32 v0, v37, v16, vcc
	v_add_co_u32_e32 v18, vcc, s38, v18
	s_cmp_eq_u32 s14, 1
	v_addc_co_u32_e32 v19, vcc, v5, v19, vcc
	s_cselect_b64 vcc, -1, 0
	s_cmp_eq_u32 s14, 0
	v_cndmask_b32_e32 v36, v38, v16, vcc
	s_cselect_b64 vcc, -1, 0
	s_or_b32 s14, s9, 2
	s_cmp_eq_u32 s14, 0
	v_cndmask_b32_e32 v16, v39, v16, vcc
	s_cselect_b64 vcc, -1, 0
	s_cmp_eq_u32 s14, 1
	v_cndmask_b32_e32 v16, v16, v42, vcc
	s_cselect_b64 vcc, -1, 0
	s_cmp_eq_u32 s14, 2
	global_store_dword v[18:19], v47, off
	v_cndmask_b32_e32 v18, v36, v42, vcc
	s_cselect_b64 vcc, -1, 0
	s_cmp_eq_u32 s14, 3
	v_cndmask_b32_e32 v0, v0, v42, vcc
	s_cselect_b64 vcc, -1, 0
	s_cmp_eq_u32 s14, 4
	;; [unrolled: 3-line block ×5, first 2 shown]
	v_cndmask_b32_e32 v33, v33, v42, vcc
	s_cselect_b64 vcc, -1, 0
	s_or_b32 s14, s9, 3
	s_cmp_eq_u32 s14, 7
	v_cndmask_b32_e32 v28, v28, v42, vcc
	s_cselect_b64 vcc, -1, 0
	s_cmp_eq_u32 s14, 6
	v_cndmask_b32_e32 v28, v28, v50, vcc
	s_cselect_b64 vcc, -1, 0
	;; [unrolled: 3-line block ×8, first 2 shown]
	v_add_u32_e32 v15, 0x1000, v15
	s_mov_b32 s9, 4
	v_cndmask_b32_e32 v39, v16, v50, vcc
	s_addk_i32 s5, 0xf000
	s_and_b64 vcc, exec, s[2:3]
	s_mov_b64 s[2:3], 0
	s_barrier
	s_cbranch_vccnz .LBB1856_123
; %bb.124:
	s_lshl_b64 s[2:3], s[12:13], 3
	s_add_u32 s2, s40, s2
	s_addc_u32 s3, s41, s3
	v_lshlrev_b32_e32 v0, 3, v7
	v_mov_b32_e32 v1, s3
	v_add_co_u32_e32 v0, vcc, s2, v0
	v_addc_co_u32_e32 v1, vcc, 0, v1, vcc
	v_lshlrev_b32_e32 v2, 3, v6
	v_add_co_u32_e32 v18, vcc, v0, v2
	v_addc_co_u32_e32 v19, vcc, 0, v1, vcc
	global_load_dwordx2 v[0:1], v[18:19], off
	global_load_dwordx2 v[2:3], v[18:19], off offset:512
	global_load_dwordx2 v[4:5], v[18:19], off offset:1024
	;; [unrolled: 1-line block ×7, first 2 shown]
	s_mov_b32 s2, 0
	s_movk_i32 s3, 0x400
	v_add_u32_e32 v21, 0x400, v11
	s_mov_b32 s4, 1
	v_mov_b32_e32 v19, 0
	v_mov_b32_e32 v25, v10
	s_waitcnt vmcnt(0)
.LBB1856_125:                           ; =>This Inner Loop Header: Depth=1
	s_add_i32 s5, s4, -1
	v_add_u32_e32 v18, s2, v27
	s_cmp_eq_u32 s5, 1
	v_add_u32_e32 v40, s2, v23
	v_add_u32_e32 v41, s2, v20
	;; [unrolled: 1-line block ×7, first 2 shown]
	v_min_u32_e32 v18, 0x800, v18
	s_cselect_b64 vcc, -1, 0
	s_cmp_eq_u32 s5, 2
	v_min_u32_e32 v40, 0x800, v40
	v_min_u32_e32 v41, 0x800, v41
	;; [unrolled: 1-line block ×7, first 2 shown]
	v_lshlrev_b32_e32 v18, 3, v18
	v_cndmask_b32_e32 v48, v39, v38, vcc
	s_cselect_b64 vcc, -1, 0
	s_cmp_eq_u32 s5, 3
	v_lshlrev_b32_e32 v40, 3, v40
	v_lshlrev_b32_e32 v41, 3, v41
	;; [unrolled: 1-line block ×7, first 2 shown]
	ds_write_b64 v18, v[0:1] offset:1024
	ds_write_b64 v40, v[2:3] offset:1024
	;; [unrolled: 1-line block ×8, first 2 shown]
	v_cndmask_b32_e32 v18, v48, v37, vcc
	s_cselect_b64 vcc, -1, 0
	s_cmp_eq_u32 s5, 4
	v_cndmask_b32_e32 v18, v18, v36, vcc
	s_cselect_b64 vcc, -1, 0
	s_cmp_eq_u32 s5, 5
	v_cndmask_b32_e32 v18, v18, v35, vcc
	s_cselect_b64 vcc, -1, 0
	s_cmp_eq_u32 s5, 6
	v_cndmask_b32_e32 v18, v18, v34, vcc
	s_cselect_b64 vcc, -1, 0
	s_cmp_eq_u32 s5, 7
	v_cndmask_b32_e32 v18, v18, v33, vcc
	s_cselect_b64 vcc, -1, 0
	s_cmp_eq_u32 s4, 1
	v_cndmask_b32_e32 v18, v18, v28, vcc
	s_cselect_b64 vcc, -1, 0
	s_cmp_eq_u32 s4, 2
	v_cndmask_b32_e32 v42, v39, v38, vcc
	s_cselect_b64 vcc, -1, 0
	s_cmp_eq_u32 s4, 3
	v_cndmask_b32_e32 v42, v42, v37, vcc
	s_cselect_b64 vcc, -1, 0
	s_cmp_eq_u32 s4, 4
	v_cndmask_b32_e32 v42, v42, v36, vcc
	s_cselect_b64 vcc, -1, 0
	s_cmp_eq_u32 s4, 5
	v_lshlrev_b32_e32 v18, 2, v18
	v_cndmask_b32_e32 v42, v42, v35, vcc
	s_cselect_b64 vcc, -1, 0
	s_cmp_eq_u32 s4, 6
	s_waitcnt lgkmcnt(0)
	s_barrier
	ds_read_b64 v[40:41], v11 offset:1024
	ds_read_b32 v18, v18
	v_cndmask_b32_e32 v42, v42, v34, vcc
	s_cselect_b64 vcc, -1, 0
	s_cmp_eq_u32 s4, 7
	v_cndmask_b32_e32 v42, v42, v33, vcc
	s_cselect_b64 vcc, -1, 0
	v_cndmask_b32_e32 v42, v42, v28, vcc
	v_lshlrev_b32_e32 v42, 2, v42
	ds_read_b32 v46, v42
	ds_read_b64 v[42:43], v21 offset:8192
	s_waitcnt lgkmcnt(2)
	v_add_u32_e32 v18, v25, v18
	v_lshlrev_b64 v[44:45], 3, v[18:19]
	v_mov_b32_e32 v47, s43
	v_add_co_u32_e32 v44, vcc, s42, v44
	v_addc_co_u32_e32 v45, vcc, v47, v45, vcc
	s_waitcnt lgkmcnt(1)
	v_add3_u32 v18, v25, v46, s3
	global_store_dwordx2 v[44:45], v[40:41], off
	v_lshlrev_b64 v[40:41], 3, v[18:19]
	s_addk_i32 s2, 0xf800
	s_add_i32 s4, s4, 2
	v_add_co_u32_e32 v40, vcc, s42, v40
	s_cmpk_lg_i32 s2, 0xe000
	v_add_u32_e32 v25, 0x800, v25
	v_addc_co_u32_e32 v41, vcc, v47, v41, vcc
	s_waitcnt lgkmcnt(0)
	global_store_dwordx2 v[40:41], v[42:43], off
	s_barrier
	s_cbranch_scc1 .LBB1856_125
; %bb.126:
	s_add_i32 s16, s16, -1
	s_cmp_eq_u32 s16, s33
	s_cselect_b64 s[2:3], -1, 0
	s_and_b64 s[2:3], s[0:1], s[2:3]
                                        ; implicit-def: $vgpr2
	s_and_saveexec_b64 s[0:1], s[2:3]
; %bb.127:
	v_add_u32_e32 v2, v22, v26
	s_or_b64 s[10:11], s[10:11], exec
; %bb.128:
	s_or_b64 exec, exec, s[0:1]
.LBB1856_129:
	s_and_saveexec_b64 s[0:1], s[10:11]
	s_cbranch_execnz .LBB1856_131
; %bb.130:
	s_endpgm
.LBB1856_131:
	v_lshlrev_b32_e32 v0, 2, v10
	ds_read_b32 v1, v0
	s_waitcnt lgkmcnt(0)
	v_add_u32_e32 v1, v1, v2
	global_store_dword v0, v1, s[46:47]
	s_endpgm
.LBB1856_132:
	global_load_dwordx2 v[12:13], v[28:29], off
	s_or_b64 exec, exec, s[22:23]
                                        ; implicit-def: $vgpr14_vgpr15
	s_and_saveexec_b64 s[2:3], s[26:27]
	s_cbranch_execz .LBB1856_70
.LBB1856_133:
	global_load_dwordx2 v[14:15], v[28:29], off offset:512
	s_or_b64 exec, exec, s[2:3]
                                        ; implicit-def: $vgpr16_vgpr17
	s_and_saveexec_b64 s[2:3], s[8:9]
	s_cbranch_execz .LBB1856_71
.LBB1856_134:
	global_load_dwordx2 v[16:17], v[28:29], off offset:1024
	s_or_b64 exec, exec, s[2:3]
                                        ; implicit-def: $vgpr18_vgpr19
	s_and_saveexec_b64 s[2:3], s[10:11]
	s_cbranch_execz .LBB1856_72
.LBB1856_135:
	global_load_dwordx2 v[18:19], v[28:29], off offset:1536
	s_or_b64 exec, exec, s[2:3]
                                        ; implicit-def: $vgpr20_vgpr21
	s_and_saveexec_b64 s[2:3], s[12:13]
	s_cbranch_execz .LBB1856_73
.LBB1856_136:
	global_load_dwordx2 v[20:21], v[28:29], off offset:2048
	s_or_b64 exec, exec, s[2:3]
                                        ; implicit-def: $vgpr22_vgpr23
	s_and_saveexec_b64 s[2:3], s[14:15]
	s_cbranch_execz .LBB1856_74
.LBB1856_137:
	global_load_dwordx2 v[22:23], v[28:29], off offset:2560
	s_or_b64 exec, exec, s[2:3]
                                        ; implicit-def: $vgpr24_vgpr25
	s_and_saveexec_b64 s[2:3], s[16:17]
	s_cbranch_execz .LBB1856_75
.LBB1856_138:
	global_load_dwordx2 v[24:25], v[28:29], off offset:3072
	s_or_b64 exec, exec, s[2:3]
                                        ; implicit-def: $vgpr26_vgpr27
	s_and_saveexec_b64 s[2:3], s[18:19]
	s_cbranch_execnz .LBB1856_76
	s_branch .LBB1856_77
	.section	.rodata,"a",@progbits
	.p2align	6, 0x0
	.amdhsa_kernel _ZN7rocprim17ROCPRIM_400000_NS6detail17trampoline_kernelINS0_14default_configENS1_35radix_sort_onesweep_config_selectorIflEEZZNS1_29radix_sort_onesweep_iterationIS3_Lb0EPfS7_N6thrust23THRUST_200600_302600_NS10device_ptrIlEESB_jNS0_19identity_decomposerENS1_16block_id_wrapperIjLb1EEEEE10hipError_tT1_PNSt15iterator_traitsISG_E10value_typeET2_T3_PNSH_ISM_E10value_typeET4_T5_PSR_SS_PNS1_23onesweep_lookback_stateEbbT6_jjT7_P12ihipStream_tbENKUlT_T0_SG_SL_E_clIS7_S7_PlSB_EEDaSZ_S10_SG_SL_EUlSZ_E_NS1_11comp_targetILNS1_3genE4ELNS1_11target_archE910ELNS1_3gpuE8ELNS1_3repE0EEENS1_47radix_sort_onesweep_sort_config_static_selectorELNS0_4arch9wavefront6targetE1EEEvSG_
		.amdhsa_group_segment_fixed_size 20552
		.amdhsa_private_segment_fixed_size 0
		.amdhsa_kernarg_size 344
		.amdhsa_user_sgpr_count 6
		.amdhsa_user_sgpr_private_segment_buffer 1
		.amdhsa_user_sgpr_dispatch_ptr 0
		.amdhsa_user_sgpr_queue_ptr 0
		.amdhsa_user_sgpr_kernarg_segment_ptr 1
		.amdhsa_user_sgpr_dispatch_id 0
		.amdhsa_user_sgpr_flat_scratch_init 0
		.amdhsa_user_sgpr_kernarg_preload_length 0
		.amdhsa_user_sgpr_kernarg_preload_offset 0
		.amdhsa_user_sgpr_private_segment_size 0
		.amdhsa_uses_dynamic_stack 0
		.amdhsa_system_sgpr_private_segment_wavefront_offset 0
		.amdhsa_system_sgpr_workgroup_id_x 1
		.amdhsa_system_sgpr_workgroup_id_y 0
		.amdhsa_system_sgpr_workgroup_id_z 0
		.amdhsa_system_sgpr_workgroup_info 0
		.amdhsa_system_vgpr_workitem_id 2
		.amdhsa_next_free_vgpr 65
		.amdhsa_next_free_sgpr 56
		.amdhsa_accum_offset 68
		.amdhsa_reserve_vcc 1
		.amdhsa_reserve_flat_scratch 0
		.amdhsa_float_round_mode_32 0
		.amdhsa_float_round_mode_16_64 0
		.amdhsa_float_denorm_mode_32 3
		.amdhsa_float_denorm_mode_16_64 3
		.amdhsa_dx10_clamp 1
		.amdhsa_ieee_mode 1
		.amdhsa_fp16_overflow 0
		.amdhsa_tg_split 0
		.amdhsa_exception_fp_ieee_invalid_op 0
		.amdhsa_exception_fp_denorm_src 0
		.amdhsa_exception_fp_ieee_div_zero 0
		.amdhsa_exception_fp_ieee_overflow 0
		.amdhsa_exception_fp_ieee_underflow 0
		.amdhsa_exception_fp_ieee_inexact 0
		.amdhsa_exception_int_div_zero 0
	.end_amdhsa_kernel
	.section	.text._ZN7rocprim17ROCPRIM_400000_NS6detail17trampoline_kernelINS0_14default_configENS1_35radix_sort_onesweep_config_selectorIflEEZZNS1_29radix_sort_onesweep_iterationIS3_Lb0EPfS7_N6thrust23THRUST_200600_302600_NS10device_ptrIlEESB_jNS0_19identity_decomposerENS1_16block_id_wrapperIjLb1EEEEE10hipError_tT1_PNSt15iterator_traitsISG_E10value_typeET2_T3_PNSH_ISM_E10value_typeET4_T5_PSR_SS_PNS1_23onesweep_lookback_stateEbbT6_jjT7_P12ihipStream_tbENKUlT_T0_SG_SL_E_clIS7_S7_PlSB_EEDaSZ_S10_SG_SL_EUlSZ_E_NS1_11comp_targetILNS1_3genE4ELNS1_11target_archE910ELNS1_3gpuE8ELNS1_3repE0EEENS1_47radix_sort_onesweep_sort_config_static_selectorELNS0_4arch9wavefront6targetE1EEEvSG_,"axG",@progbits,_ZN7rocprim17ROCPRIM_400000_NS6detail17trampoline_kernelINS0_14default_configENS1_35radix_sort_onesweep_config_selectorIflEEZZNS1_29radix_sort_onesweep_iterationIS3_Lb0EPfS7_N6thrust23THRUST_200600_302600_NS10device_ptrIlEESB_jNS0_19identity_decomposerENS1_16block_id_wrapperIjLb1EEEEE10hipError_tT1_PNSt15iterator_traitsISG_E10value_typeET2_T3_PNSH_ISM_E10value_typeET4_T5_PSR_SS_PNS1_23onesweep_lookback_stateEbbT6_jjT7_P12ihipStream_tbENKUlT_T0_SG_SL_E_clIS7_S7_PlSB_EEDaSZ_S10_SG_SL_EUlSZ_E_NS1_11comp_targetILNS1_3genE4ELNS1_11target_archE910ELNS1_3gpuE8ELNS1_3repE0EEENS1_47radix_sort_onesweep_sort_config_static_selectorELNS0_4arch9wavefront6targetE1EEEvSG_,comdat
.Lfunc_end1856:
	.size	_ZN7rocprim17ROCPRIM_400000_NS6detail17trampoline_kernelINS0_14default_configENS1_35radix_sort_onesweep_config_selectorIflEEZZNS1_29radix_sort_onesweep_iterationIS3_Lb0EPfS7_N6thrust23THRUST_200600_302600_NS10device_ptrIlEESB_jNS0_19identity_decomposerENS1_16block_id_wrapperIjLb1EEEEE10hipError_tT1_PNSt15iterator_traitsISG_E10value_typeET2_T3_PNSH_ISM_E10value_typeET4_T5_PSR_SS_PNS1_23onesweep_lookback_stateEbbT6_jjT7_P12ihipStream_tbENKUlT_T0_SG_SL_E_clIS7_S7_PlSB_EEDaSZ_S10_SG_SL_EUlSZ_E_NS1_11comp_targetILNS1_3genE4ELNS1_11target_archE910ELNS1_3gpuE8ELNS1_3repE0EEENS1_47radix_sort_onesweep_sort_config_static_selectorELNS0_4arch9wavefront6targetE1EEEvSG_, .Lfunc_end1856-_ZN7rocprim17ROCPRIM_400000_NS6detail17trampoline_kernelINS0_14default_configENS1_35radix_sort_onesweep_config_selectorIflEEZZNS1_29radix_sort_onesweep_iterationIS3_Lb0EPfS7_N6thrust23THRUST_200600_302600_NS10device_ptrIlEESB_jNS0_19identity_decomposerENS1_16block_id_wrapperIjLb1EEEEE10hipError_tT1_PNSt15iterator_traitsISG_E10value_typeET2_T3_PNSH_ISM_E10value_typeET4_T5_PSR_SS_PNS1_23onesweep_lookback_stateEbbT6_jjT7_P12ihipStream_tbENKUlT_T0_SG_SL_E_clIS7_S7_PlSB_EEDaSZ_S10_SG_SL_EUlSZ_E_NS1_11comp_targetILNS1_3genE4ELNS1_11target_archE910ELNS1_3gpuE8ELNS1_3repE0EEENS1_47radix_sort_onesweep_sort_config_static_selectorELNS0_4arch9wavefront6targetE1EEEvSG_
                                        ; -- End function
	.section	.AMDGPU.csdata,"",@progbits
; Kernel info:
; codeLenInByte = 13568
; NumSgprs: 60
; NumVgprs: 65
; NumAgprs: 0
; TotalNumVgprs: 65
; ScratchSize: 0
; MemoryBound: 0
; FloatMode: 240
; IeeeMode: 1
; LDSByteSize: 20552 bytes/workgroup (compile time only)
; SGPRBlocks: 7
; VGPRBlocks: 8
; NumSGPRsForWavesPerEU: 60
; NumVGPRsForWavesPerEU: 65
; AccumOffset: 68
; Occupancy: 7
; WaveLimiterHint : 1
; COMPUTE_PGM_RSRC2:SCRATCH_EN: 0
; COMPUTE_PGM_RSRC2:USER_SGPR: 6
; COMPUTE_PGM_RSRC2:TRAP_HANDLER: 0
; COMPUTE_PGM_RSRC2:TGID_X_EN: 1
; COMPUTE_PGM_RSRC2:TGID_Y_EN: 0
; COMPUTE_PGM_RSRC2:TGID_Z_EN: 0
; COMPUTE_PGM_RSRC2:TIDIG_COMP_CNT: 2
; COMPUTE_PGM_RSRC3_GFX90A:ACCUM_OFFSET: 16
; COMPUTE_PGM_RSRC3_GFX90A:TG_SPLIT: 0
	.section	.text._ZN7rocprim17ROCPRIM_400000_NS6detail17trampoline_kernelINS0_14default_configENS1_35radix_sort_onesweep_config_selectorIflEEZZNS1_29radix_sort_onesweep_iterationIS3_Lb0EPfS7_N6thrust23THRUST_200600_302600_NS10device_ptrIlEESB_jNS0_19identity_decomposerENS1_16block_id_wrapperIjLb1EEEEE10hipError_tT1_PNSt15iterator_traitsISG_E10value_typeET2_T3_PNSH_ISM_E10value_typeET4_T5_PSR_SS_PNS1_23onesweep_lookback_stateEbbT6_jjT7_P12ihipStream_tbENKUlT_T0_SG_SL_E_clIS7_S7_PlSB_EEDaSZ_S10_SG_SL_EUlSZ_E_NS1_11comp_targetILNS1_3genE3ELNS1_11target_archE908ELNS1_3gpuE7ELNS1_3repE0EEENS1_47radix_sort_onesweep_sort_config_static_selectorELNS0_4arch9wavefront6targetE1EEEvSG_,"axG",@progbits,_ZN7rocprim17ROCPRIM_400000_NS6detail17trampoline_kernelINS0_14default_configENS1_35radix_sort_onesweep_config_selectorIflEEZZNS1_29radix_sort_onesweep_iterationIS3_Lb0EPfS7_N6thrust23THRUST_200600_302600_NS10device_ptrIlEESB_jNS0_19identity_decomposerENS1_16block_id_wrapperIjLb1EEEEE10hipError_tT1_PNSt15iterator_traitsISG_E10value_typeET2_T3_PNSH_ISM_E10value_typeET4_T5_PSR_SS_PNS1_23onesweep_lookback_stateEbbT6_jjT7_P12ihipStream_tbENKUlT_T0_SG_SL_E_clIS7_S7_PlSB_EEDaSZ_S10_SG_SL_EUlSZ_E_NS1_11comp_targetILNS1_3genE3ELNS1_11target_archE908ELNS1_3gpuE7ELNS1_3repE0EEENS1_47radix_sort_onesweep_sort_config_static_selectorELNS0_4arch9wavefront6targetE1EEEvSG_,comdat
	.protected	_ZN7rocprim17ROCPRIM_400000_NS6detail17trampoline_kernelINS0_14default_configENS1_35radix_sort_onesweep_config_selectorIflEEZZNS1_29radix_sort_onesweep_iterationIS3_Lb0EPfS7_N6thrust23THRUST_200600_302600_NS10device_ptrIlEESB_jNS0_19identity_decomposerENS1_16block_id_wrapperIjLb1EEEEE10hipError_tT1_PNSt15iterator_traitsISG_E10value_typeET2_T3_PNSH_ISM_E10value_typeET4_T5_PSR_SS_PNS1_23onesweep_lookback_stateEbbT6_jjT7_P12ihipStream_tbENKUlT_T0_SG_SL_E_clIS7_S7_PlSB_EEDaSZ_S10_SG_SL_EUlSZ_E_NS1_11comp_targetILNS1_3genE3ELNS1_11target_archE908ELNS1_3gpuE7ELNS1_3repE0EEENS1_47radix_sort_onesweep_sort_config_static_selectorELNS0_4arch9wavefront6targetE1EEEvSG_ ; -- Begin function _ZN7rocprim17ROCPRIM_400000_NS6detail17trampoline_kernelINS0_14default_configENS1_35radix_sort_onesweep_config_selectorIflEEZZNS1_29radix_sort_onesweep_iterationIS3_Lb0EPfS7_N6thrust23THRUST_200600_302600_NS10device_ptrIlEESB_jNS0_19identity_decomposerENS1_16block_id_wrapperIjLb1EEEEE10hipError_tT1_PNSt15iterator_traitsISG_E10value_typeET2_T3_PNSH_ISM_E10value_typeET4_T5_PSR_SS_PNS1_23onesweep_lookback_stateEbbT6_jjT7_P12ihipStream_tbENKUlT_T0_SG_SL_E_clIS7_S7_PlSB_EEDaSZ_S10_SG_SL_EUlSZ_E_NS1_11comp_targetILNS1_3genE3ELNS1_11target_archE908ELNS1_3gpuE7ELNS1_3repE0EEENS1_47radix_sort_onesweep_sort_config_static_selectorELNS0_4arch9wavefront6targetE1EEEvSG_
	.globl	_ZN7rocprim17ROCPRIM_400000_NS6detail17trampoline_kernelINS0_14default_configENS1_35radix_sort_onesweep_config_selectorIflEEZZNS1_29radix_sort_onesweep_iterationIS3_Lb0EPfS7_N6thrust23THRUST_200600_302600_NS10device_ptrIlEESB_jNS0_19identity_decomposerENS1_16block_id_wrapperIjLb1EEEEE10hipError_tT1_PNSt15iterator_traitsISG_E10value_typeET2_T3_PNSH_ISM_E10value_typeET4_T5_PSR_SS_PNS1_23onesweep_lookback_stateEbbT6_jjT7_P12ihipStream_tbENKUlT_T0_SG_SL_E_clIS7_S7_PlSB_EEDaSZ_S10_SG_SL_EUlSZ_E_NS1_11comp_targetILNS1_3genE3ELNS1_11target_archE908ELNS1_3gpuE7ELNS1_3repE0EEENS1_47radix_sort_onesweep_sort_config_static_selectorELNS0_4arch9wavefront6targetE1EEEvSG_
	.p2align	8
	.type	_ZN7rocprim17ROCPRIM_400000_NS6detail17trampoline_kernelINS0_14default_configENS1_35radix_sort_onesweep_config_selectorIflEEZZNS1_29radix_sort_onesweep_iterationIS3_Lb0EPfS7_N6thrust23THRUST_200600_302600_NS10device_ptrIlEESB_jNS0_19identity_decomposerENS1_16block_id_wrapperIjLb1EEEEE10hipError_tT1_PNSt15iterator_traitsISG_E10value_typeET2_T3_PNSH_ISM_E10value_typeET4_T5_PSR_SS_PNS1_23onesweep_lookback_stateEbbT6_jjT7_P12ihipStream_tbENKUlT_T0_SG_SL_E_clIS7_S7_PlSB_EEDaSZ_S10_SG_SL_EUlSZ_E_NS1_11comp_targetILNS1_3genE3ELNS1_11target_archE908ELNS1_3gpuE7ELNS1_3repE0EEENS1_47radix_sort_onesweep_sort_config_static_selectorELNS0_4arch9wavefront6targetE1EEEvSG_,@function
_ZN7rocprim17ROCPRIM_400000_NS6detail17trampoline_kernelINS0_14default_configENS1_35radix_sort_onesweep_config_selectorIflEEZZNS1_29radix_sort_onesweep_iterationIS3_Lb0EPfS7_N6thrust23THRUST_200600_302600_NS10device_ptrIlEESB_jNS0_19identity_decomposerENS1_16block_id_wrapperIjLb1EEEEE10hipError_tT1_PNSt15iterator_traitsISG_E10value_typeET2_T3_PNSH_ISM_E10value_typeET4_T5_PSR_SS_PNS1_23onesweep_lookback_stateEbbT6_jjT7_P12ihipStream_tbENKUlT_T0_SG_SL_E_clIS7_S7_PlSB_EEDaSZ_S10_SG_SL_EUlSZ_E_NS1_11comp_targetILNS1_3genE3ELNS1_11target_archE908ELNS1_3gpuE7ELNS1_3repE0EEENS1_47radix_sort_onesweep_sort_config_static_selectorELNS0_4arch9wavefront6targetE1EEEvSG_: ; @_ZN7rocprim17ROCPRIM_400000_NS6detail17trampoline_kernelINS0_14default_configENS1_35radix_sort_onesweep_config_selectorIflEEZZNS1_29radix_sort_onesweep_iterationIS3_Lb0EPfS7_N6thrust23THRUST_200600_302600_NS10device_ptrIlEESB_jNS0_19identity_decomposerENS1_16block_id_wrapperIjLb1EEEEE10hipError_tT1_PNSt15iterator_traitsISG_E10value_typeET2_T3_PNSH_ISM_E10value_typeET4_T5_PSR_SS_PNS1_23onesweep_lookback_stateEbbT6_jjT7_P12ihipStream_tbENKUlT_T0_SG_SL_E_clIS7_S7_PlSB_EEDaSZ_S10_SG_SL_EUlSZ_E_NS1_11comp_targetILNS1_3genE3ELNS1_11target_archE908ELNS1_3gpuE7ELNS1_3repE0EEENS1_47radix_sort_onesweep_sort_config_static_selectorELNS0_4arch9wavefront6targetE1EEEvSG_
; %bb.0:
	.section	.rodata,"a",@progbits
	.p2align	6, 0x0
	.amdhsa_kernel _ZN7rocprim17ROCPRIM_400000_NS6detail17trampoline_kernelINS0_14default_configENS1_35radix_sort_onesweep_config_selectorIflEEZZNS1_29radix_sort_onesweep_iterationIS3_Lb0EPfS7_N6thrust23THRUST_200600_302600_NS10device_ptrIlEESB_jNS0_19identity_decomposerENS1_16block_id_wrapperIjLb1EEEEE10hipError_tT1_PNSt15iterator_traitsISG_E10value_typeET2_T3_PNSH_ISM_E10value_typeET4_T5_PSR_SS_PNS1_23onesweep_lookback_stateEbbT6_jjT7_P12ihipStream_tbENKUlT_T0_SG_SL_E_clIS7_S7_PlSB_EEDaSZ_S10_SG_SL_EUlSZ_E_NS1_11comp_targetILNS1_3genE3ELNS1_11target_archE908ELNS1_3gpuE7ELNS1_3repE0EEENS1_47radix_sort_onesweep_sort_config_static_selectorELNS0_4arch9wavefront6targetE1EEEvSG_
		.amdhsa_group_segment_fixed_size 0
		.amdhsa_private_segment_fixed_size 0
		.amdhsa_kernarg_size 88
		.amdhsa_user_sgpr_count 6
		.amdhsa_user_sgpr_private_segment_buffer 1
		.amdhsa_user_sgpr_dispatch_ptr 0
		.amdhsa_user_sgpr_queue_ptr 0
		.amdhsa_user_sgpr_kernarg_segment_ptr 1
		.amdhsa_user_sgpr_dispatch_id 0
		.amdhsa_user_sgpr_flat_scratch_init 0
		.amdhsa_user_sgpr_kernarg_preload_length 0
		.amdhsa_user_sgpr_kernarg_preload_offset 0
		.amdhsa_user_sgpr_private_segment_size 0
		.amdhsa_uses_dynamic_stack 0
		.amdhsa_system_sgpr_private_segment_wavefront_offset 0
		.amdhsa_system_sgpr_workgroup_id_x 1
		.amdhsa_system_sgpr_workgroup_id_y 0
		.amdhsa_system_sgpr_workgroup_id_z 0
		.amdhsa_system_sgpr_workgroup_info 0
		.amdhsa_system_vgpr_workitem_id 0
		.amdhsa_next_free_vgpr 1
		.amdhsa_next_free_sgpr 0
		.amdhsa_accum_offset 4
		.amdhsa_reserve_vcc 0
		.amdhsa_reserve_flat_scratch 0
		.amdhsa_float_round_mode_32 0
		.amdhsa_float_round_mode_16_64 0
		.amdhsa_float_denorm_mode_32 3
		.amdhsa_float_denorm_mode_16_64 3
		.amdhsa_dx10_clamp 1
		.amdhsa_ieee_mode 1
		.amdhsa_fp16_overflow 0
		.amdhsa_tg_split 0
		.amdhsa_exception_fp_ieee_invalid_op 0
		.amdhsa_exception_fp_denorm_src 0
		.amdhsa_exception_fp_ieee_div_zero 0
		.amdhsa_exception_fp_ieee_overflow 0
		.amdhsa_exception_fp_ieee_underflow 0
		.amdhsa_exception_fp_ieee_inexact 0
		.amdhsa_exception_int_div_zero 0
	.end_amdhsa_kernel
	.section	.text._ZN7rocprim17ROCPRIM_400000_NS6detail17trampoline_kernelINS0_14default_configENS1_35radix_sort_onesweep_config_selectorIflEEZZNS1_29radix_sort_onesweep_iterationIS3_Lb0EPfS7_N6thrust23THRUST_200600_302600_NS10device_ptrIlEESB_jNS0_19identity_decomposerENS1_16block_id_wrapperIjLb1EEEEE10hipError_tT1_PNSt15iterator_traitsISG_E10value_typeET2_T3_PNSH_ISM_E10value_typeET4_T5_PSR_SS_PNS1_23onesweep_lookback_stateEbbT6_jjT7_P12ihipStream_tbENKUlT_T0_SG_SL_E_clIS7_S7_PlSB_EEDaSZ_S10_SG_SL_EUlSZ_E_NS1_11comp_targetILNS1_3genE3ELNS1_11target_archE908ELNS1_3gpuE7ELNS1_3repE0EEENS1_47radix_sort_onesweep_sort_config_static_selectorELNS0_4arch9wavefront6targetE1EEEvSG_,"axG",@progbits,_ZN7rocprim17ROCPRIM_400000_NS6detail17trampoline_kernelINS0_14default_configENS1_35radix_sort_onesweep_config_selectorIflEEZZNS1_29radix_sort_onesweep_iterationIS3_Lb0EPfS7_N6thrust23THRUST_200600_302600_NS10device_ptrIlEESB_jNS0_19identity_decomposerENS1_16block_id_wrapperIjLb1EEEEE10hipError_tT1_PNSt15iterator_traitsISG_E10value_typeET2_T3_PNSH_ISM_E10value_typeET4_T5_PSR_SS_PNS1_23onesweep_lookback_stateEbbT6_jjT7_P12ihipStream_tbENKUlT_T0_SG_SL_E_clIS7_S7_PlSB_EEDaSZ_S10_SG_SL_EUlSZ_E_NS1_11comp_targetILNS1_3genE3ELNS1_11target_archE908ELNS1_3gpuE7ELNS1_3repE0EEENS1_47radix_sort_onesweep_sort_config_static_selectorELNS0_4arch9wavefront6targetE1EEEvSG_,comdat
.Lfunc_end1857:
	.size	_ZN7rocprim17ROCPRIM_400000_NS6detail17trampoline_kernelINS0_14default_configENS1_35radix_sort_onesweep_config_selectorIflEEZZNS1_29radix_sort_onesweep_iterationIS3_Lb0EPfS7_N6thrust23THRUST_200600_302600_NS10device_ptrIlEESB_jNS0_19identity_decomposerENS1_16block_id_wrapperIjLb1EEEEE10hipError_tT1_PNSt15iterator_traitsISG_E10value_typeET2_T3_PNSH_ISM_E10value_typeET4_T5_PSR_SS_PNS1_23onesweep_lookback_stateEbbT6_jjT7_P12ihipStream_tbENKUlT_T0_SG_SL_E_clIS7_S7_PlSB_EEDaSZ_S10_SG_SL_EUlSZ_E_NS1_11comp_targetILNS1_3genE3ELNS1_11target_archE908ELNS1_3gpuE7ELNS1_3repE0EEENS1_47radix_sort_onesweep_sort_config_static_selectorELNS0_4arch9wavefront6targetE1EEEvSG_, .Lfunc_end1857-_ZN7rocprim17ROCPRIM_400000_NS6detail17trampoline_kernelINS0_14default_configENS1_35radix_sort_onesweep_config_selectorIflEEZZNS1_29radix_sort_onesweep_iterationIS3_Lb0EPfS7_N6thrust23THRUST_200600_302600_NS10device_ptrIlEESB_jNS0_19identity_decomposerENS1_16block_id_wrapperIjLb1EEEEE10hipError_tT1_PNSt15iterator_traitsISG_E10value_typeET2_T3_PNSH_ISM_E10value_typeET4_T5_PSR_SS_PNS1_23onesweep_lookback_stateEbbT6_jjT7_P12ihipStream_tbENKUlT_T0_SG_SL_E_clIS7_S7_PlSB_EEDaSZ_S10_SG_SL_EUlSZ_E_NS1_11comp_targetILNS1_3genE3ELNS1_11target_archE908ELNS1_3gpuE7ELNS1_3repE0EEENS1_47radix_sort_onesweep_sort_config_static_selectorELNS0_4arch9wavefront6targetE1EEEvSG_
                                        ; -- End function
	.section	.AMDGPU.csdata,"",@progbits
; Kernel info:
; codeLenInByte = 0
; NumSgprs: 4
; NumVgprs: 0
; NumAgprs: 0
; TotalNumVgprs: 0
; ScratchSize: 0
; MemoryBound: 0
; FloatMode: 240
; IeeeMode: 1
; LDSByteSize: 0 bytes/workgroup (compile time only)
; SGPRBlocks: 0
; VGPRBlocks: 0
; NumSGPRsForWavesPerEU: 4
; NumVGPRsForWavesPerEU: 1
; AccumOffset: 4
; Occupancy: 8
; WaveLimiterHint : 0
; COMPUTE_PGM_RSRC2:SCRATCH_EN: 0
; COMPUTE_PGM_RSRC2:USER_SGPR: 6
; COMPUTE_PGM_RSRC2:TRAP_HANDLER: 0
; COMPUTE_PGM_RSRC2:TGID_X_EN: 1
; COMPUTE_PGM_RSRC2:TGID_Y_EN: 0
; COMPUTE_PGM_RSRC2:TGID_Z_EN: 0
; COMPUTE_PGM_RSRC2:TIDIG_COMP_CNT: 0
; COMPUTE_PGM_RSRC3_GFX90A:ACCUM_OFFSET: 0
; COMPUTE_PGM_RSRC3_GFX90A:TG_SPLIT: 0
	.section	.text._ZN7rocprim17ROCPRIM_400000_NS6detail17trampoline_kernelINS0_14default_configENS1_35radix_sort_onesweep_config_selectorIflEEZZNS1_29radix_sort_onesweep_iterationIS3_Lb0EPfS7_N6thrust23THRUST_200600_302600_NS10device_ptrIlEESB_jNS0_19identity_decomposerENS1_16block_id_wrapperIjLb1EEEEE10hipError_tT1_PNSt15iterator_traitsISG_E10value_typeET2_T3_PNSH_ISM_E10value_typeET4_T5_PSR_SS_PNS1_23onesweep_lookback_stateEbbT6_jjT7_P12ihipStream_tbENKUlT_T0_SG_SL_E_clIS7_S7_PlSB_EEDaSZ_S10_SG_SL_EUlSZ_E_NS1_11comp_targetILNS1_3genE10ELNS1_11target_archE1201ELNS1_3gpuE5ELNS1_3repE0EEENS1_47radix_sort_onesweep_sort_config_static_selectorELNS0_4arch9wavefront6targetE1EEEvSG_,"axG",@progbits,_ZN7rocprim17ROCPRIM_400000_NS6detail17trampoline_kernelINS0_14default_configENS1_35radix_sort_onesweep_config_selectorIflEEZZNS1_29radix_sort_onesweep_iterationIS3_Lb0EPfS7_N6thrust23THRUST_200600_302600_NS10device_ptrIlEESB_jNS0_19identity_decomposerENS1_16block_id_wrapperIjLb1EEEEE10hipError_tT1_PNSt15iterator_traitsISG_E10value_typeET2_T3_PNSH_ISM_E10value_typeET4_T5_PSR_SS_PNS1_23onesweep_lookback_stateEbbT6_jjT7_P12ihipStream_tbENKUlT_T0_SG_SL_E_clIS7_S7_PlSB_EEDaSZ_S10_SG_SL_EUlSZ_E_NS1_11comp_targetILNS1_3genE10ELNS1_11target_archE1201ELNS1_3gpuE5ELNS1_3repE0EEENS1_47radix_sort_onesweep_sort_config_static_selectorELNS0_4arch9wavefront6targetE1EEEvSG_,comdat
	.protected	_ZN7rocprim17ROCPRIM_400000_NS6detail17trampoline_kernelINS0_14default_configENS1_35radix_sort_onesweep_config_selectorIflEEZZNS1_29radix_sort_onesweep_iterationIS3_Lb0EPfS7_N6thrust23THRUST_200600_302600_NS10device_ptrIlEESB_jNS0_19identity_decomposerENS1_16block_id_wrapperIjLb1EEEEE10hipError_tT1_PNSt15iterator_traitsISG_E10value_typeET2_T3_PNSH_ISM_E10value_typeET4_T5_PSR_SS_PNS1_23onesweep_lookback_stateEbbT6_jjT7_P12ihipStream_tbENKUlT_T0_SG_SL_E_clIS7_S7_PlSB_EEDaSZ_S10_SG_SL_EUlSZ_E_NS1_11comp_targetILNS1_3genE10ELNS1_11target_archE1201ELNS1_3gpuE5ELNS1_3repE0EEENS1_47radix_sort_onesweep_sort_config_static_selectorELNS0_4arch9wavefront6targetE1EEEvSG_ ; -- Begin function _ZN7rocprim17ROCPRIM_400000_NS6detail17trampoline_kernelINS0_14default_configENS1_35radix_sort_onesweep_config_selectorIflEEZZNS1_29radix_sort_onesweep_iterationIS3_Lb0EPfS7_N6thrust23THRUST_200600_302600_NS10device_ptrIlEESB_jNS0_19identity_decomposerENS1_16block_id_wrapperIjLb1EEEEE10hipError_tT1_PNSt15iterator_traitsISG_E10value_typeET2_T3_PNSH_ISM_E10value_typeET4_T5_PSR_SS_PNS1_23onesweep_lookback_stateEbbT6_jjT7_P12ihipStream_tbENKUlT_T0_SG_SL_E_clIS7_S7_PlSB_EEDaSZ_S10_SG_SL_EUlSZ_E_NS1_11comp_targetILNS1_3genE10ELNS1_11target_archE1201ELNS1_3gpuE5ELNS1_3repE0EEENS1_47radix_sort_onesweep_sort_config_static_selectorELNS0_4arch9wavefront6targetE1EEEvSG_
	.globl	_ZN7rocprim17ROCPRIM_400000_NS6detail17trampoline_kernelINS0_14default_configENS1_35radix_sort_onesweep_config_selectorIflEEZZNS1_29radix_sort_onesweep_iterationIS3_Lb0EPfS7_N6thrust23THRUST_200600_302600_NS10device_ptrIlEESB_jNS0_19identity_decomposerENS1_16block_id_wrapperIjLb1EEEEE10hipError_tT1_PNSt15iterator_traitsISG_E10value_typeET2_T3_PNSH_ISM_E10value_typeET4_T5_PSR_SS_PNS1_23onesweep_lookback_stateEbbT6_jjT7_P12ihipStream_tbENKUlT_T0_SG_SL_E_clIS7_S7_PlSB_EEDaSZ_S10_SG_SL_EUlSZ_E_NS1_11comp_targetILNS1_3genE10ELNS1_11target_archE1201ELNS1_3gpuE5ELNS1_3repE0EEENS1_47radix_sort_onesweep_sort_config_static_selectorELNS0_4arch9wavefront6targetE1EEEvSG_
	.p2align	8
	.type	_ZN7rocprim17ROCPRIM_400000_NS6detail17trampoline_kernelINS0_14default_configENS1_35radix_sort_onesweep_config_selectorIflEEZZNS1_29radix_sort_onesweep_iterationIS3_Lb0EPfS7_N6thrust23THRUST_200600_302600_NS10device_ptrIlEESB_jNS0_19identity_decomposerENS1_16block_id_wrapperIjLb1EEEEE10hipError_tT1_PNSt15iterator_traitsISG_E10value_typeET2_T3_PNSH_ISM_E10value_typeET4_T5_PSR_SS_PNS1_23onesweep_lookback_stateEbbT6_jjT7_P12ihipStream_tbENKUlT_T0_SG_SL_E_clIS7_S7_PlSB_EEDaSZ_S10_SG_SL_EUlSZ_E_NS1_11comp_targetILNS1_3genE10ELNS1_11target_archE1201ELNS1_3gpuE5ELNS1_3repE0EEENS1_47radix_sort_onesweep_sort_config_static_selectorELNS0_4arch9wavefront6targetE1EEEvSG_,@function
_ZN7rocprim17ROCPRIM_400000_NS6detail17trampoline_kernelINS0_14default_configENS1_35radix_sort_onesweep_config_selectorIflEEZZNS1_29radix_sort_onesweep_iterationIS3_Lb0EPfS7_N6thrust23THRUST_200600_302600_NS10device_ptrIlEESB_jNS0_19identity_decomposerENS1_16block_id_wrapperIjLb1EEEEE10hipError_tT1_PNSt15iterator_traitsISG_E10value_typeET2_T3_PNSH_ISM_E10value_typeET4_T5_PSR_SS_PNS1_23onesweep_lookback_stateEbbT6_jjT7_P12ihipStream_tbENKUlT_T0_SG_SL_E_clIS7_S7_PlSB_EEDaSZ_S10_SG_SL_EUlSZ_E_NS1_11comp_targetILNS1_3genE10ELNS1_11target_archE1201ELNS1_3gpuE5ELNS1_3repE0EEENS1_47radix_sort_onesweep_sort_config_static_selectorELNS0_4arch9wavefront6targetE1EEEvSG_: ; @_ZN7rocprim17ROCPRIM_400000_NS6detail17trampoline_kernelINS0_14default_configENS1_35radix_sort_onesweep_config_selectorIflEEZZNS1_29radix_sort_onesweep_iterationIS3_Lb0EPfS7_N6thrust23THRUST_200600_302600_NS10device_ptrIlEESB_jNS0_19identity_decomposerENS1_16block_id_wrapperIjLb1EEEEE10hipError_tT1_PNSt15iterator_traitsISG_E10value_typeET2_T3_PNSH_ISM_E10value_typeET4_T5_PSR_SS_PNS1_23onesweep_lookback_stateEbbT6_jjT7_P12ihipStream_tbENKUlT_T0_SG_SL_E_clIS7_S7_PlSB_EEDaSZ_S10_SG_SL_EUlSZ_E_NS1_11comp_targetILNS1_3genE10ELNS1_11target_archE1201ELNS1_3gpuE5ELNS1_3repE0EEENS1_47radix_sort_onesweep_sort_config_static_selectorELNS0_4arch9wavefront6targetE1EEEvSG_
; %bb.0:
	.section	.rodata,"a",@progbits
	.p2align	6, 0x0
	.amdhsa_kernel _ZN7rocprim17ROCPRIM_400000_NS6detail17trampoline_kernelINS0_14default_configENS1_35radix_sort_onesweep_config_selectorIflEEZZNS1_29radix_sort_onesweep_iterationIS3_Lb0EPfS7_N6thrust23THRUST_200600_302600_NS10device_ptrIlEESB_jNS0_19identity_decomposerENS1_16block_id_wrapperIjLb1EEEEE10hipError_tT1_PNSt15iterator_traitsISG_E10value_typeET2_T3_PNSH_ISM_E10value_typeET4_T5_PSR_SS_PNS1_23onesweep_lookback_stateEbbT6_jjT7_P12ihipStream_tbENKUlT_T0_SG_SL_E_clIS7_S7_PlSB_EEDaSZ_S10_SG_SL_EUlSZ_E_NS1_11comp_targetILNS1_3genE10ELNS1_11target_archE1201ELNS1_3gpuE5ELNS1_3repE0EEENS1_47radix_sort_onesweep_sort_config_static_selectorELNS0_4arch9wavefront6targetE1EEEvSG_
		.amdhsa_group_segment_fixed_size 0
		.amdhsa_private_segment_fixed_size 0
		.amdhsa_kernarg_size 88
		.amdhsa_user_sgpr_count 6
		.amdhsa_user_sgpr_private_segment_buffer 1
		.amdhsa_user_sgpr_dispatch_ptr 0
		.amdhsa_user_sgpr_queue_ptr 0
		.amdhsa_user_sgpr_kernarg_segment_ptr 1
		.amdhsa_user_sgpr_dispatch_id 0
		.amdhsa_user_sgpr_flat_scratch_init 0
		.amdhsa_user_sgpr_kernarg_preload_length 0
		.amdhsa_user_sgpr_kernarg_preload_offset 0
		.amdhsa_user_sgpr_private_segment_size 0
		.amdhsa_uses_dynamic_stack 0
		.amdhsa_system_sgpr_private_segment_wavefront_offset 0
		.amdhsa_system_sgpr_workgroup_id_x 1
		.amdhsa_system_sgpr_workgroup_id_y 0
		.amdhsa_system_sgpr_workgroup_id_z 0
		.amdhsa_system_sgpr_workgroup_info 0
		.amdhsa_system_vgpr_workitem_id 0
		.amdhsa_next_free_vgpr 1
		.amdhsa_next_free_sgpr 0
		.amdhsa_accum_offset 4
		.amdhsa_reserve_vcc 0
		.amdhsa_reserve_flat_scratch 0
		.amdhsa_float_round_mode_32 0
		.amdhsa_float_round_mode_16_64 0
		.amdhsa_float_denorm_mode_32 3
		.amdhsa_float_denorm_mode_16_64 3
		.amdhsa_dx10_clamp 1
		.amdhsa_ieee_mode 1
		.amdhsa_fp16_overflow 0
		.amdhsa_tg_split 0
		.amdhsa_exception_fp_ieee_invalid_op 0
		.amdhsa_exception_fp_denorm_src 0
		.amdhsa_exception_fp_ieee_div_zero 0
		.amdhsa_exception_fp_ieee_overflow 0
		.amdhsa_exception_fp_ieee_underflow 0
		.amdhsa_exception_fp_ieee_inexact 0
		.amdhsa_exception_int_div_zero 0
	.end_amdhsa_kernel
	.section	.text._ZN7rocprim17ROCPRIM_400000_NS6detail17trampoline_kernelINS0_14default_configENS1_35radix_sort_onesweep_config_selectorIflEEZZNS1_29radix_sort_onesweep_iterationIS3_Lb0EPfS7_N6thrust23THRUST_200600_302600_NS10device_ptrIlEESB_jNS0_19identity_decomposerENS1_16block_id_wrapperIjLb1EEEEE10hipError_tT1_PNSt15iterator_traitsISG_E10value_typeET2_T3_PNSH_ISM_E10value_typeET4_T5_PSR_SS_PNS1_23onesweep_lookback_stateEbbT6_jjT7_P12ihipStream_tbENKUlT_T0_SG_SL_E_clIS7_S7_PlSB_EEDaSZ_S10_SG_SL_EUlSZ_E_NS1_11comp_targetILNS1_3genE10ELNS1_11target_archE1201ELNS1_3gpuE5ELNS1_3repE0EEENS1_47radix_sort_onesweep_sort_config_static_selectorELNS0_4arch9wavefront6targetE1EEEvSG_,"axG",@progbits,_ZN7rocprim17ROCPRIM_400000_NS6detail17trampoline_kernelINS0_14default_configENS1_35radix_sort_onesweep_config_selectorIflEEZZNS1_29radix_sort_onesweep_iterationIS3_Lb0EPfS7_N6thrust23THRUST_200600_302600_NS10device_ptrIlEESB_jNS0_19identity_decomposerENS1_16block_id_wrapperIjLb1EEEEE10hipError_tT1_PNSt15iterator_traitsISG_E10value_typeET2_T3_PNSH_ISM_E10value_typeET4_T5_PSR_SS_PNS1_23onesweep_lookback_stateEbbT6_jjT7_P12ihipStream_tbENKUlT_T0_SG_SL_E_clIS7_S7_PlSB_EEDaSZ_S10_SG_SL_EUlSZ_E_NS1_11comp_targetILNS1_3genE10ELNS1_11target_archE1201ELNS1_3gpuE5ELNS1_3repE0EEENS1_47radix_sort_onesweep_sort_config_static_selectorELNS0_4arch9wavefront6targetE1EEEvSG_,comdat
.Lfunc_end1858:
	.size	_ZN7rocprim17ROCPRIM_400000_NS6detail17trampoline_kernelINS0_14default_configENS1_35radix_sort_onesweep_config_selectorIflEEZZNS1_29radix_sort_onesweep_iterationIS3_Lb0EPfS7_N6thrust23THRUST_200600_302600_NS10device_ptrIlEESB_jNS0_19identity_decomposerENS1_16block_id_wrapperIjLb1EEEEE10hipError_tT1_PNSt15iterator_traitsISG_E10value_typeET2_T3_PNSH_ISM_E10value_typeET4_T5_PSR_SS_PNS1_23onesweep_lookback_stateEbbT6_jjT7_P12ihipStream_tbENKUlT_T0_SG_SL_E_clIS7_S7_PlSB_EEDaSZ_S10_SG_SL_EUlSZ_E_NS1_11comp_targetILNS1_3genE10ELNS1_11target_archE1201ELNS1_3gpuE5ELNS1_3repE0EEENS1_47radix_sort_onesweep_sort_config_static_selectorELNS0_4arch9wavefront6targetE1EEEvSG_, .Lfunc_end1858-_ZN7rocprim17ROCPRIM_400000_NS6detail17trampoline_kernelINS0_14default_configENS1_35radix_sort_onesweep_config_selectorIflEEZZNS1_29radix_sort_onesweep_iterationIS3_Lb0EPfS7_N6thrust23THRUST_200600_302600_NS10device_ptrIlEESB_jNS0_19identity_decomposerENS1_16block_id_wrapperIjLb1EEEEE10hipError_tT1_PNSt15iterator_traitsISG_E10value_typeET2_T3_PNSH_ISM_E10value_typeET4_T5_PSR_SS_PNS1_23onesweep_lookback_stateEbbT6_jjT7_P12ihipStream_tbENKUlT_T0_SG_SL_E_clIS7_S7_PlSB_EEDaSZ_S10_SG_SL_EUlSZ_E_NS1_11comp_targetILNS1_3genE10ELNS1_11target_archE1201ELNS1_3gpuE5ELNS1_3repE0EEENS1_47radix_sort_onesweep_sort_config_static_selectorELNS0_4arch9wavefront6targetE1EEEvSG_
                                        ; -- End function
	.section	.AMDGPU.csdata,"",@progbits
; Kernel info:
; codeLenInByte = 0
; NumSgprs: 4
; NumVgprs: 0
; NumAgprs: 0
; TotalNumVgprs: 0
; ScratchSize: 0
; MemoryBound: 0
; FloatMode: 240
; IeeeMode: 1
; LDSByteSize: 0 bytes/workgroup (compile time only)
; SGPRBlocks: 0
; VGPRBlocks: 0
; NumSGPRsForWavesPerEU: 4
; NumVGPRsForWavesPerEU: 1
; AccumOffset: 4
; Occupancy: 8
; WaveLimiterHint : 0
; COMPUTE_PGM_RSRC2:SCRATCH_EN: 0
; COMPUTE_PGM_RSRC2:USER_SGPR: 6
; COMPUTE_PGM_RSRC2:TRAP_HANDLER: 0
; COMPUTE_PGM_RSRC2:TGID_X_EN: 1
; COMPUTE_PGM_RSRC2:TGID_Y_EN: 0
; COMPUTE_PGM_RSRC2:TGID_Z_EN: 0
; COMPUTE_PGM_RSRC2:TIDIG_COMP_CNT: 0
; COMPUTE_PGM_RSRC3_GFX90A:ACCUM_OFFSET: 0
; COMPUTE_PGM_RSRC3_GFX90A:TG_SPLIT: 0
	.section	.text._ZN7rocprim17ROCPRIM_400000_NS6detail17trampoline_kernelINS0_14default_configENS1_35radix_sort_onesweep_config_selectorIflEEZZNS1_29radix_sort_onesweep_iterationIS3_Lb0EPfS7_N6thrust23THRUST_200600_302600_NS10device_ptrIlEESB_jNS0_19identity_decomposerENS1_16block_id_wrapperIjLb1EEEEE10hipError_tT1_PNSt15iterator_traitsISG_E10value_typeET2_T3_PNSH_ISM_E10value_typeET4_T5_PSR_SS_PNS1_23onesweep_lookback_stateEbbT6_jjT7_P12ihipStream_tbENKUlT_T0_SG_SL_E_clIS7_S7_PlSB_EEDaSZ_S10_SG_SL_EUlSZ_E_NS1_11comp_targetILNS1_3genE9ELNS1_11target_archE1100ELNS1_3gpuE3ELNS1_3repE0EEENS1_47radix_sort_onesweep_sort_config_static_selectorELNS0_4arch9wavefront6targetE1EEEvSG_,"axG",@progbits,_ZN7rocprim17ROCPRIM_400000_NS6detail17trampoline_kernelINS0_14default_configENS1_35radix_sort_onesweep_config_selectorIflEEZZNS1_29radix_sort_onesweep_iterationIS3_Lb0EPfS7_N6thrust23THRUST_200600_302600_NS10device_ptrIlEESB_jNS0_19identity_decomposerENS1_16block_id_wrapperIjLb1EEEEE10hipError_tT1_PNSt15iterator_traitsISG_E10value_typeET2_T3_PNSH_ISM_E10value_typeET4_T5_PSR_SS_PNS1_23onesweep_lookback_stateEbbT6_jjT7_P12ihipStream_tbENKUlT_T0_SG_SL_E_clIS7_S7_PlSB_EEDaSZ_S10_SG_SL_EUlSZ_E_NS1_11comp_targetILNS1_3genE9ELNS1_11target_archE1100ELNS1_3gpuE3ELNS1_3repE0EEENS1_47radix_sort_onesweep_sort_config_static_selectorELNS0_4arch9wavefront6targetE1EEEvSG_,comdat
	.protected	_ZN7rocprim17ROCPRIM_400000_NS6detail17trampoline_kernelINS0_14default_configENS1_35radix_sort_onesweep_config_selectorIflEEZZNS1_29radix_sort_onesweep_iterationIS3_Lb0EPfS7_N6thrust23THRUST_200600_302600_NS10device_ptrIlEESB_jNS0_19identity_decomposerENS1_16block_id_wrapperIjLb1EEEEE10hipError_tT1_PNSt15iterator_traitsISG_E10value_typeET2_T3_PNSH_ISM_E10value_typeET4_T5_PSR_SS_PNS1_23onesweep_lookback_stateEbbT6_jjT7_P12ihipStream_tbENKUlT_T0_SG_SL_E_clIS7_S7_PlSB_EEDaSZ_S10_SG_SL_EUlSZ_E_NS1_11comp_targetILNS1_3genE9ELNS1_11target_archE1100ELNS1_3gpuE3ELNS1_3repE0EEENS1_47radix_sort_onesweep_sort_config_static_selectorELNS0_4arch9wavefront6targetE1EEEvSG_ ; -- Begin function _ZN7rocprim17ROCPRIM_400000_NS6detail17trampoline_kernelINS0_14default_configENS1_35radix_sort_onesweep_config_selectorIflEEZZNS1_29radix_sort_onesweep_iterationIS3_Lb0EPfS7_N6thrust23THRUST_200600_302600_NS10device_ptrIlEESB_jNS0_19identity_decomposerENS1_16block_id_wrapperIjLb1EEEEE10hipError_tT1_PNSt15iterator_traitsISG_E10value_typeET2_T3_PNSH_ISM_E10value_typeET4_T5_PSR_SS_PNS1_23onesweep_lookback_stateEbbT6_jjT7_P12ihipStream_tbENKUlT_T0_SG_SL_E_clIS7_S7_PlSB_EEDaSZ_S10_SG_SL_EUlSZ_E_NS1_11comp_targetILNS1_3genE9ELNS1_11target_archE1100ELNS1_3gpuE3ELNS1_3repE0EEENS1_47radix_sort_onesweep_sort_config_static_selectorELNS0_4arch9wavefront6targetE1EEEvSG_
	.globl	_ZN7rocprim17ROCPRIM_400000_NS6detail17trampoline_kernelINS0_14default_configENS1_35radix_sort_onesweep_config_selectorIflEEZZNS1_29radix_sort_onesweep_iterationIS3_Lb0EPfS7_N6thrust23THRUST_200600_302600_NS10device_ptrIlEESB_jNS0_19identity_decomposerENS1_16block_id_wrapperIjLb1EEEEE10hipError_tT1_PNSt15iterator_traitsISG_E10value_typeET2_T3_PNSH_ISM_E10value_typeET4_T5_PSR_SS_PNS1_23onesweep_lookback_stateEbbT6_jjT7_P12ihipStream_tbENKUlT_T0_SG_SL_E_clIS7_S7_PlSB_EEDaSZ_S10_SG_SL_EUlSZ_E_NS1_11comp_targetILNS1_3genE9ELNS1_11target_archE1100ELNS1_3gpuE3ELNS1_3repE0EEENS1_47radix_sort_onesweep_sort_config_static_selectorELNS0_4arch9wavefront6targetE1EEEvSG_
	.p2align	8
	.type	_ZN7rocprim17ROCPRIM_400000_NS6detail17trampoline_kernelINS0_14default_configENS1_35radix_sort_onesweep_config_selectorIflEEZZNS1_29radix_sort_onesweep_iterationIS3_Lb0EPfS7_N6thrust23THRUST_200600_302600_NS10device_ptrIlEESB_jNS0_19identity_decomposerENS1_16block_id_wrapperIjLb1EEEEE10hipError_tT1_PNSt15iterator_traitsISG_E10value_typeET2_T3_PNSH_ISM_E10value_typeET4_T5_PSR_SS_PNS1_23onesweep_lookback_stateEbbT6_jjT7_P12ihipStream_tbENKUlT_T0_SG_SL_E_clIS7_S7_PlSB_EEDaSZ_S10_SG_SL_EUlSZ_E_NS1_11comp_targetILNS1_3genE9ELNS1_11target_archE1100ELNS1_3gpuE3ELNS1_3repE0EEENS1_47radix_sort_onesweep_sort_config_static_selectorELNS0_4arch9wavefront6targetE1EEEvSG_,@function
_ZN7rocprim17ROCPRIM_400000_NS6detail17trampoline_kernelINS0_14default_configENS1_35radix_sort_onesweep_config_selectorIflEEZZNS1_29radix_sort_onesweep_iterationIS3_Lb0EPfS7_N6thrust23THRUST_200600_302600_NS10device_ptrIlEESB_jNS0_19identity_decomposerENS1_16block_id_wrapperIjLb1EEEEE10hipError_tT1_PNSt15iterator_traitsISG_E10value_typeET2_T3_PNSH_ISM_E10value_typeET4_T5_PSR_SS_PNS1_23onesweep_lookback_stateEbbT6_jjT7_P12ihipStream_tbENKUlT_T0_SG_SL_E_clIS7_S7_PlSB_EEDaSZ_S10_SG_SL_EUlSZ_E_NS1_11comp_targetILNS1_3genE9ELNS1_11target_archE1100ELNS1_3gpuE3ELNS1_3repE0EEENS1_47radix_sort_onesweep_sort_config_static_selectorELNS0_4arch9wavefront6targetE1EEEvSG_: ; @_ZN7rocprim17ROCPRIM_400000_NS6detail17trampoline_kernelINS0_14default_configENS1_35radix_sort_onesweep_config_selectorIflEEZZNS1_29radix_sort_onesweep_iterationIS3_Lb0EPfS7_N6thrust23THRUST_200600_302600_NS10device_ptrIlEESB_jNS0_19identity_decomposerENS1_16block_id_wrapperIjLb1EEEEE10hipError_tT1_PNSt15iterator_traitsISG_E10value_typeET2_T3_PNSH_ISM_E10value_typeET4_T5_PSR_SS_PNS1_23onesweep_lookback_stateEbbT6_jjT7_P12ihipStream_tbENKUlT_T0_SG_SL_E_clIS7_S7_PlSB_EEDaSZ_S10_SG_SL_EUlSZ_E_NS1_11comp_targetILNS1_3genE9ELNS1_11target_archE1100ELNS1_3gpuE3ELNS1_3repE0EEENS1_47radix_sort_onesweep_sort_config_static_selectorELNS0_4arch9wavefront6targetE1EEEvSG_
; %bb.0:
	.section	.rodata,"a",@progbits
	.p2align	6, 0x0
	.amdhsa_kernel _ZN7rocprim17ROCPRIM_400000_NS6detail17trampoline_kernelINS0_14default_configENS1_35radix_sort_onesweep_config_selectorIflEEZZNS1_29radix_sort_onesweep_iterationIS3_Lb0EPfS7_N6thrust23THRUST_200600_302600_NS10device_ptrIlEESB_jNS0_19identity_decomposerENS1_16block_id_wrapperIjLb1EEEEE10hipError_tT1_PNSt15iterator_traitsISG_E10value_typeET2_T3_PNSH_ISM_E10value_typeET4_T5_PSR_SS_PNS1_23onesweep_lookback_stateEbbT6_jjT7_P12ihipStream_tbENKUlT_T0_SG_SL_E_clIS7_S7_PlSB_EEDaSZ_S10_SG_SL_EUlSZ_E_NS1_11comp_targetILNS1_3genE9ELNS1_11target_archE1100ELNS1_3gpuE3ELNS1_3repE0EEENS1_47radix_sort_onesweep_sort_config_static_selectorELNS0_4arch9wavefront6targetE1EEEvSG_
		.amdhsa_group_segment_fixed_size 0
		.amdhsa_private_segment_fixed_size 0
		.amdhsa_kernarg_size 88
		.amdhsa_user_sgpr_count 6
		.amdhsa_user_sgpr_private_segment_buffer 1
		.amdhsa_user_sgpr_dispatch_ptr 0
		.amdhsa_user_sgpr_queue_ptr 0
		.amdhsa_user_sgpr_kernarg_segment_ptr 1
		.amdhsa_user_sgpr_dispatch_id 0
		.amdhsa_user_sgpr_flat_scratch_init 0
		.amdhsa_user_sgpr_kernarg_preload_length 0
		.amdhsa_user_sgpr_kernarg_preload_offset 0
		.amdhsa_user_sgpr_private_segment_size 0
		.amdhsa_uses_dynamic_stack 0
		.amdhsa_system_sgpr_private_segment_wavefront_offset 0
		.amdhsa_system_sgpr_workgroup_id_x 1
		.amdhsa_system_sgpr_workgroup_id_y 0
		.amdhsa_system_sgpr_workgroup_id_z 0
		.amdhsa_system_sgpr_workgroup_info 0
		.amdhsa_system_vgpr_workitem_id 0
		.amdhsa_next_free_vgpr 1
		.amdhsa_next_free_sgpr 0
		.amdhsa_accum_offset 4
		.amdhsa_reserve_vcc 0
		.amdhsa_reserve_flat_scratch 0
		.amdhsa_float_round_mode_32 0
		.amdhsa_float_round_mode_16_64 0
		.amdhsa_float_denorm_mode_32 3
		.amdhsa_float_denorm_mode_16_64 3
		.amdhsa_dx10_clamp 1
		.amdhsa_ieee_mode 1
		.amdhsa_fp16_overflow 0
		.amdhsa_tg_split 0
		.amdhsa_exception_fp_ieee_invalid_op 0
		.amdhsa_exception_fp_denorm_src 0
		.amdhsa_exception_fp_ieee_div_zero 0
		.amdhsa_exception_fp_ieee_overflow 0
		.amdhsa_exception_fp_ieee_underflow 0
		.amdhsa_exception_fp_ieee_inexact 0
		.amdhsa_exception_int_div_zero 0
	.end_amdhsa_kernel
	.section	.text._ZN7rocprim17ROCPRIM_400000_NS6detail17trampoline_kernelINS0_14default_configENS1_35radix_sort_onesweep_config_selectorIflEEZZNS1_29radix_sort_onesweep_iterationIS3_Lb0EPfS7_N6thrust23THRUST_200600_302600_NS10device_ptrIlEESB_jNS0_19identity_decomposerENS1_16block_id_wrapperIjLb1EEEEE10hipError_tT1_PNSt15iterator_traitsISG_E10value_typeET2_T3_PNSH_ISM_E10value_typeET4_T5_PSR_SS_PNS1_23onesweep_lookback_stateEbbT6_jjT7_P12ihipStream_tbENKUlT_T0_SG_SL_E_clIS7_S7_PlSB_EEDaSZ_S10_SG_SL_EUlSZ_E_NS1_11comp_targetILNS1_3genE9ELNS1_11target_archE1100ELNS1_3gpuE3ELNS1_3repE0EEENS1_47radix_sort_onesweep_sort_config_static_selectorELNS0_4arch9wavefront6targetE1EEEvSG_,"axG",@progbits,_ZN7rocprim17ROCPRIM_400000_NS6detail17trampoline_kernelINS0_14default_configENS1_35radix_sort_onesweep_config_selectorIflEEZZNS1_29radix_sort_onesweep_iterationIS3_Lb0EPfS7_N6thrust23THRUST_200600_302600_NS10device_ptrIlEESB_jNS0_19identity_decomposerENS1_16block_id_wrapperIjLb1EEEEE10hipError_tT1_PNSt15iterator_traitsISG_E10value_typeET2_T3_PNSH_ISM_E10value_typeET4_T5_PSR_SS_PNS1_23onesweep_lookback_stateEbbT6_jjT7_P12ihipStream_tbENKUlT_T0_SG_SL_E_clIS7_S7_PlSB_EEDaSZ_S10_SG_SL_EUlSZ_E_NS1_11comp_targetILNS1_3genE9ELNS1_11target_archE1100ELNS1_3gpuE3ELNS1_3repE0EEENS1_47radix_sort_onesweep_sort_config_static_selectorELNS0_4arch9wavefront6targetE1EEEvSG_,comdat
.Lfunc_end1859:
	.size	_ZN7rocprim17ROCPRIM_400000_NS6detail17trampoline_kernelINS0_14default_configENS1_35radix_sort_onesweep_config_selectorIflEEZZNS1_29radix_sort_onesweep_iterationIS3_Lb0EPfS7_N6thrust23THRUST_200600_302600_NS10device_ptrIlEESB_jNS0_19identity_decomposerENS1_16block_id_wrapperIjLb1EEEEE10hipError_tT1_PNSt15iterator_traitsISG_E10value_typeET2_T3_PNSH_ISM_E10value_typeET4_T5_PSR_SS_PNS1_23onesweep_lookback_stateEbbT6_jjT7_P12ihipStream_tbENKUlT_T0_SG_SL_E_clIS7_S7_PlSB_EEDaSZ_S10_SG_SL_EUlSZ_E_NS1_11comp_targetILNS1_3genE9ELNS1_11target_archE1100ELNS1_3gpuE3ELNS1_3repE0EEENS1_47radix_sort_onesweep_sort_config_static_selectorELNS0_4arch9wavefront6targetE1EEEvSG_, .Lfunc_end1859-_ZN7rocprim17ROCPRIM_400000_NS6detail17trampoline_kernelINS0_14default_configENS1_35radix_sort_onesweep_config_selectorIflEEZZNS1_29radix_sort_onesweep_iterationIS3_Lb0EPfS7_N6thrust23THRUST_200600_302600_NS10device_ptrIlEESB_jNS0_19identity_decomposerENS1_16block_id_wrapperIjLb1EEEEE10hipError_tT1_PNSt15iterator_traitsISG_E10value_typeET2_T3_PNSH_ISM_E10value_typeET4_T5_PSR_SS_PNS1_23onesweep_lookback_stateEbbT6_jjT7_P12ihipStream_tbENKUlT_T0_SG_SL_E_clIS7_S7_PlSB_EEDaSZ_S10_SG_SL_EUlSZ_E_NS1_11comp_targetILNS1_3genE9ELNS1_11target_archE1100ELNS1_3gpuE3ELNS1_3repE0EEENS1_47radix_sort_onesweep_sort_config_static_selectorELNS0_4arch9wavefront6targetE1EEEvSG_
                                        ; -- End function
	.section	.AMDGPU.csdata,"",@progbits
; Kernel info:
; codeLenInByte = 0
; NumSgprs: 4
; NumVgprs: 0
; NumAgprs: 0
; TotalNumVgprs: 0
; ScratchSize: 0
; MemoryBound: 0
; FloatMode: 240
; IeeeMode: 1
; LDSByteSize: 0 bytes/workgroup (compile time only)
; SGPRBlocks: 0
; VGPRBlocks: 0
; NumSGPRsForWavesPerEU: 4
; NumVGPRsForWavesPerEU: 1
; AccumOffset: 4
; Occupancy: 8
; WaveLimiterHint : 0
; COMPUTE_PGM_RSRC2:SCRATCH_EN: 0
; COMPUTE_PGM_RSRC2:USER_SGPR: 6
; COMPUTE_PGM_RSRC2:TRAP_HANDLER: 0
; COMPUTE_PGM_RSRC2:TGID_X_EN: 1
; COMPUTE_PGM_RSRC2:TGID_Y_EN: 0
; COMPUTE_PGM_RSRC2:TGID_Z_EN: 0
; COMPUTE_PGM_RSRC2:TIDIG_COMP_CNT: 0
; COMPUTE_PGM_RSRC3_GFX90A:ACCUM_OFFSET: 0
; COMPUTE_PGM_RSRC3_GFX90A:TG_SPLIT: 0
	.section	.text._ZN7rocprim17ROCPRIM_400000_NS6detail17trampoline_kernelINS0_14default_configENS1_35radix_sort_onesweep_config_selectorIflEEZZNS1_29radix_sort_onesweep_iterationIS3_Lb0EPfS7_N6thrust23THRUST_200600_302600_NS10device_ptrIlEESB_jNS0_19identity_decomposerENS1_16block_id_wrapperIjLb1EEEEE10hipError_tT1_PNSt15iterator_traitsISG_E10value_typeET2_T3_PNSH_ISM_E10value_typeET4_T5_PSR_SS_PNS1_23onesweep_lookback_stateEbbT6_jjT7_P12ihipStream_tbENKUlT_T0_SG_SL_E_clIS7_S7_PlSB_EEDaSZ_S10_SG_SL_EUlSZ_E_NS1_11comp_targetILNS1_3genE8ELNS1_11target_archE1030ELNS1_3gpuE2ELNS1_3repE0EEENS1_47radix_sort_onesweep_sort_config_static_selectorELNS0_4arch9wavefront6targetE1EEEvSG_,"axG",@progbits,_ZN7rocprim17ROCPRIM_400000_NS6detail17trampoline_kernelINS0_14default_configENS1_35radix_sort_onesweep_config_selectorIflEEZZNS1_29radix_sort_onesweep_iterationIS3_Lb0EPfS7_N6thrust23THRUST_200600_302600_NS10device_ptrIlEESB_jNS0_19identity_decomposerENS1_16block_id_wrapperIjLb1EEEEE10hipError_tT1_PNSt15iterator_traitsISG_E10value_typeET2_T3_PNSH_ISM_E10value_typeET4_T5_PSR_SS_PNS1_23onesweep_lookback_stateEbbT6_jjT7_P12ihipStream_tbENKUlT_T0_SG_SL_E_clIS7_S7_PlSB_EEDaSZ_S10_SG_SL_EUlSZ_E_NS1_11comp_targetILNS1_3genE8ELNS1_11target_archE1030ELNS1_3gpuE2ELNS1_3repE0EEENS1_47radix_sort_onesweep_sort_config_static_selectorELNS0_4arch9wavefront6targetE1EEEvSG_,comdat
	.protected	_ZN7rocprim17ROCPRIM_400000_NS6detail17trampoline_kernelINS0_14default_configENS1_35radix_sort_onesweep_config_selectorIflEEZZNS1_29radix_sort_onesweep_iterationIS3_Lb0EPfS7_N6thrust23THRUST_200600_302600_NS10device_ptrIlEESB_jNS0_19identity_decomposerENS1_16block_id_wrapperIjLb1EEEEE10hipError_tT1_PNSt15iterator_traitsISG_E10value_typeET2_T3_PNSH_ISM_E10value_typeET4_T5_PSR_SS_PNS1_23onesweep_lookback_stateEbbT6_jjT7_P12ihipStream_tbENKUlT_T0_SG_SL_E_clIS7_S7_PlSB_EEDaSZ_S10_SG_SL_EUlSZ_E_NS1_11comp_targetILNS1_3genE8ELNS1_11target_archE1030ELNS1_3gpuE2ELNS1_3repE0EEENS1_47radix_sort_onesweep_sort_config_static_selectorELNS0_4arch9wavefront6targetE1EEEvSG_ ; -- Begin function _ZN7rocprim17ROCPRIM_400000_NS6detail17trampoline_kernelINS0_14default_configENS1_35radix_sort_onesweep_config_selectorIflEEZZNS1_29radix_sort_onesweep_iterationIS3_Lb0EPfS7_N6thrust23THRUST_200600_302600_NS10device_ptrIlEESB_jNS0_19identity_decomposerENS1_16block_id_wrapperIjLb1EEEEE10hipError_tT1_PNSt15iterator_traitsISG_E10value_typeET2_T3_PNSH_ISM_E10value_typeET4_T5_PSR_SS_PNS1_23onesweep_lookback_stateEbbT6_jjT7_P12ihipStream_tbENKUlT_T0_SG_SL_E_clIS7_S7_PlSB_EEDaSZ_S10_SG_SL_EUlSZ_E_NS1_11comp_targetILNS1_3genE8ELNS1_11target_archE1030ELNS1_3gpuE2ELNS1_3repE0EEENS1_47radix_sort_onesweep_sort_config_static_selectorELNS0_4arch9wavefront6targetE1EEEvSG_
	.globl	_ZN7rocprim17ROCPRIM_400000_NS6detail17trampoline_kernelINS0_14default_configENS1_35radix_sort_onesweep_config_selectorIflEEZZNS1_29radix_sort_onesweep_iterationIS3_Lb0EPfS7_N6thrust23THRUST_200600_302600_NS10device_ptrIlEESB_jNS0_19identity_decomposerENS1_16block_id_wrapperIjLb1EEEEE10hipError_tT1_PNSt15iterator_traitsISG_E10value_typeET2_T3_PNSH_ISM_E10value_typeET4_T5_PSR_SS_PNS1_23onesweep_lookback_stateEbbT6_jjT7_P12ihipStream_tbENKUlT_T0_SG_SL_E_clIS7_S7_PlSB_EEDaSZ_S10_SG_SL_EUlSZ_E_NS1_11comp_targetILNS1_3genE8ELNS1_11target_archE1030ELNS1_3gpuE2ELNS1_3repE0EEENS1_47radix_sort_onesweep_sort_config_static_selectorELNS0_4arch9wavefront6targetE1EEEvSG_
	.p2align	8
	.type	_ZN7rocprim17ROCPRIM_400000_NS6detail17trampoline_kernelINS0_14default_configENS1_35radix_sort_onesweep_config_selectorIflEEZZNS1_29radix_sort_onesweep_iterationIS3_Lb0EPfS7_N6thrust23THRUST_200600_302600_NS10device_ptrIlEESB_jNS0_19identity_decomposerENS1_16block_id_wrapperIjLb1EEEEE10hipError_tT1_PNSt15iterator_traitsISG_E10value_typeET2_T3_PNSH_ISM_E10value_typeET4_T5_PSR_SS_PNS1_23onesweep_lookback_stateEbbT6_jjT7_P12ihipStream_tbENKUlT_T0_SG_SL_E_clIS7_S7_PlSB_EEDaSZ_S10_SG_SL_EUlSZ_E_NS1_11comp_targetILNS1_3genE8ELNS1_11target_archE1030ELNS1_3gpuE2ELNS1_3repE0EEENS1_47radix_sort_onesweep_sort_config_static_selectorELNS0_4arch9wavefront6targetE1EEEvSG_,@function
_ZN7rocprim17ROCPRIM_400000_NS6detail17trampoline_kernelINS0_14default_configENS1_35radix_sort_onesweep_config_selectorIflEEZZNS1_29radix_sort_onesweep_iterationIS3_Lb0EPfS7_N6thrust23THRUST_200600_302600_NS10device_ptrIlEESB_jNS0_19identity_decomposerENS1_16block_id_wrapperIjLb1EEEEE10hipError_tT1_PNSt15iterator_traitsISG_E10value_typeET2_T3_PNSH_ISM_E10value_typeET4_T5_PSR_SS_PNS1_23onesweep_lookback_stateEbbT6_jjT7_P12ihipStream_tbENKUlT_T0_SG_SL_E_clIS7_S7_PlSB_EEDaSZ_S10_SG_SL_EUlSZ_E_NS1_11comp_targetILNS1_3genE8ELNS1_11target_archE1030ELNS1_3gpuE2ELNS1_3repE0EEENS1_47radix_sort_onesweep_sort_config_static_selectorELNS0_4arch9wavefront6targetE1EEEvSG_: ; @_ZN7rocprim17ROCPRIM_400000_NS6detail17trampoline_kernelINS0_14default_configENS1_35radix_sort_onesweep_config_selectorIflEEZZNS1_29radix_sort_onesweep_iterationIS3_Lb0EPfS7_N6thrust23THRUST_200600_302600_NS10device_ptrIlEESB_jNS0_19identity_decomposerENS1_16block_id_wrapperIjLb1EEEEE10hipError_tT1_PNSt15iterator_traitsISG_E10value_typeET2_T3_PNSH_ISM_E10value_typeET4_T5_PSR_SS_PNS1_23onesweep_lookback_stateEbbT6_jjT7_P12ihipStream_tbENKUlT_T0_SG_SL_E_clIS7_S7_PlSB_EEDaSZ_S10_SG_SL_EUlSZ_E_NS1_11comp_targetILNS1_3genE8ELNS1_11target_archE1030ELNS1_3gpuE2ELNS1_3repE0EEENS1_47radix_sort_onesweep_sort_config_static_selectorELNS0_4arch9wavefront6targetE1EEEvSG_
; %bb.0:
	.section	.rodata,"a",@progbits
	.p2align	6, 0x0
	.amdhsa_kernel _ZN7rocprim17ROCPRIM_400000_NS6detail17trampoline_kernelINS0_14default_configENS1_35radix_sort_onesweep_config_selectorIflEEZZNS1_29radix_sort_onesweep_iterationIS3_Lb0EPfS7_N6thrust23THRUST_200600_302600_NS10device_ptrIlEESB_jNS0_19identity_decomposerENS1_16block_id_wrapperIjLb1EEEEE10hipError_tT1_PNSt15iterator_traitsISG_E10value_typeET2_T3_PNSH_ISM_E10value_typeET4_T5_PSR_SS_PNS1_23onesweep_lookback_stateEbbT6_jjT7_P12ihipStream_tbENKUlT_T0_SG_SL_E_clIS7_S7_PlSB_EEDaSZ_S10_SG_SL_EUlSZ_E_NS1_11comp_targetILNS1_3genE8ELNS1_11target_archE1030ELNS1_3gpuE2ELNS1_3repE0EEENS1_47radix_sort_onesweep_sort_config_static_selectorELNS0_4arch9wavefront6targetE1EEEvSG_
		.amdhsa_group_segment_fixed_size 0
		.amdhsa_private_segment_fixed_size 0
		.amdhsa_kernarg_size 88
		.amdhsa_user_sgpr_count 6
		.amdhsa_user_sgpr_private_segment_buffer 1
		.amdhsa_user_sgpr_dispatch_ptr 0
		.amdhsa_user_sgpr_queue_ptr 0
		.amdhsa_user_sgpr_kernarg_segment_ptr 1
		.amdhsa_user_sgpr_dispatch_id 0
		.amdhsa_user_sgpr_flat_scratch_init 0
		.amdhsa_user_sgpr_kernarg_preload_length 0
		.amdhsa_user_sgpr_kernarg_preload_offset 0
		.amdhsa_user_sgpr_private_segment_size 0
		.amdhsa_uses_dynamic_stack 0
		.amdhsa_system_sgpr_private_segment_wavefront_offset 0
		.amdhsa_system_sgpr_workgroup_id_x 1
		.amdhsa_system_sgpr_workgroup_id_y 0
		.amdhsa_system_sgpr_workgroup_id_z 0
		.amdhsa_system_sgpr_workgroup_info 0
		.amdhsa_system_vgpr_workitem_id 0
		.amdhsa_next_free_vgpr 1
		.amdhsa_next_free_sgpr 0
		.amdhsa_accum_offset 4
		.amdhsa_reserve_vcc 0
		.amdhsa_reserve_flat_scratch 0
		.amdhsa_float_round_mode_32 0
		.amdhsa_float_round_mode_16_64 0
		.amdhsa_float_denorm_mode_32 3
		.amdhsa_float_denorm_mode_16_64 3
		.amdhsa_dx10_clamp 1
		.amdhsa_ieee_mode 1
		.amdhsa_fp16_overflow 0
		.amdhsa_tg_split 0
		.amdhsa_exception_fp_ieee_invalid_op 0
		.amdhsa_exception_fp_denorm_src 0
		.amdhsa_exception_fp_ieee_div_zero 0
		.amdhsa_exception_fp_ieee_overflow 0
		.amdhsa_exception_fp_ieee_underflow 0
		.amdhsa_exception_fp_ieee_inexact 0
		.amdhsa_exception_int_div_zero 0
	.end_amdhsa_kernel
	.section	.text._ZN7rocprim17ROCPRIM_400000_NS6detail17trampoline_kernelINS0_14default_configENS1_35radix_sort_onesweep_config_selectorIflEEZZNS1_29radix_sort_onesweep_iterationIS3_Lb0EPfS7_N6thrust23THRUST_200600_302600_NS10device_ptrIlEESB_jNS0_19identity_decomposerENS1_16block_id_wrapperIjLb1EEEEE10hipError_tT1_PNSt15iterator_traitsISG_E10value_typeET2_T3_PNSH_ISM_E10value_typeET4_T5_PSR_SS_PNS1_23onesweep_lookback_stateEbbT6_jjT7_P12ihipStream_tbENKUlT_T0_SG_SL_E_clIS7_S7_PlSB_EEDaSZ_S10_SG_SL_EUlSZ_E_NS1_11comp_targetILNS1_3genE8ELNS1_11target_archE1030ELNS1_3gpuE2ELNS1_3repE0EEENS1_47radix_sort_onesweep_sort_config_static_selectorELNS0_4arch9wavefront6targetE1EEEvSG_,"axG",@progbits,_ZN7rocprim17ROCPRIM_400000_NS6detail17trampoline_kernelINS0_14default_configENS1_35radix_sort_onesweep_config_selectorIflEEZZNS1_29radix_sort_onesweep_iterationIS3_Lb0EPfS7_N6thrust23THRUST_200600_302600_NS10device_ptrIlEESB_jNS0_19identity_decomposerENS1_16block_id_wrapperIjLb1EEEEE10hipError_tT1_PNSt15iterator_traitsISG_E10value_typeET2_T3_PNSH_ISM_E10value_typeET4_T5_PSR_SS_PNS1_23onesweep_lookback_stateEbbT6_jjT7_P12ihipStream_tbENKUlT_T0_SG_SL_E_clIS7_S7_PlSB_EEDaSZ_S10_SG_SL_EUlSZ_E_NS1_11comp_targetILNS1_3genE8ELNS1_11target_archE1030ELNS1_3gpuE2ELNS1_3repE0EEENS1_47radix_sort_onesweep_sort_config_static_selectorELNS0_4arch9wavefront6targetE1EEEvSG_,comdat
.Lfunc_end1860:
	.size	_ZN7rocprim17ROCPRIM_400000_NS6detail17trampoline_kernelINS0_14default_configENS1_35radix_sort_onesweep_config_selectorIflEEZZNS1_29radix_sort_onesweep_iterationIS3_Lb0EPfS7_N6thrust23THRUST_200600_302600_NS10device_ptrIlEESB_jNS0_19identity_decomposerENS1_16block_id_wrapperIjLb1EEEEE10hipError_tT1_PNSt15iterator_traitsISG_E10value_typeET2_T3_PNSH_ISM_E10value_typeET4_T5_PSR_SS_PNS1_23onesweep_lookback_stateEbbT6_jjT7_P12ihipStream_tbENKUlT_T0_SG_SL_E_clIS7_S7_PlSB_EEDaSZ_S10_SG_SL_EUlSZ_E_NS1_11comp_targetILNS1_3genE8ELNS1_11target_archE1030ELNS1_3gpuE2ELNS1_3repE0EEENS1_47radix_sort_onesweep_sort_config_static_selectorELNS0_4arch9wavefront6targetE1EEEvSG_, .Lfunc_end1860-_ZN7rocprim17ROCPRIM_400000_NS6detail17trampoline_kernelINS0_14default_configENS1_35radix_sort_onesweep_config_selectorIflEEZZNS1_29radix_sort_onesweep_iterationIS3_Lb0EPfS7_N6thrust23THRUST_200600_302600_NS10device_ptrIlEESB_jNS0_19identity_decomposerENS1_16block_id_wrapperIjLb1EEEEE10hipError_tT1_PNSt15iterator_traitsISG_E10value_typeET2_T3_PNSH_ISM_E10value_typeET4_T5_PSR_SS_PNS1_23onesweep_lookback_stateEbbT6_jjT7_P12ihipStream_tbENKUlT_T0_SG_SL_E_clIS7_S7_PlSB_EEDaSZ_S10_SG_SL_EUlSZ_E_NS1_11comp_targetILNS1_3genE8ELNS1_11target_archE1030ELNS1_3gpuE2ELNS1_3repE0EEENS1_47radix_sort_onesweep_sort_config_static_selectorELNS0_4arch9wavefront6targetE1EEEvSG_
                                        ; -- End function
	.section	.AMDGPU.csdata,"",@progbits
; Kernel info:
; codeLenInByte = 0
; NumSgprs: 4
; NumVgprs: 0
; NumAgprs: 0
; TotalNumVgprs: 0
; ScratchSize: 0
; MemoryBound: 0
; FloatMode: 240
; IeeeMode: 1
; LDSByteSize: 0 bytes/workgroup (compile time only)
; SGPRBlocks: 0
; VGPRBlocks: 0
; NumSGPRsForWavesPerEU: 4
; NumVGPRsForWavesPerEU: 1
; AccumOffset: 4
; Occupancy: 8
; WaveLimiterHint : 0
; COMPUTE_PGM_RSRC2:SCRATCH_EN: 0
; COMPUTE_PGM_RSRC2:USER_SGPR: 6
; COMPUTE_PGM_RSRC2:TRAP_HANDLER: 0
; COMPUTE_PGM_RSRC2:TGID_X_EN: 1
; COMPUTE_PGM_RSRC2:TGID_Y_EN: 0
; COMPUTE_PGM_RSRC2:TGID_Z_EN: 0
; COMPUTE_PGM_RSRC2:TIDIG_COMP_CNT: 0
; COMPUTE_PGM_RSRC3_GFX90A:ACCUM_OFFSET: 0
; COMPUTE_PGM_RSRC3_GFX90A:TG_SPLIT: 0
	.section	.text._ZN7rocprim17ROCPRIM_400000_NS6detail17trampoline_kernelINS0_14default_configENS1_35radix_sort_onesweep_config_selectorIflEEZZNS1_29radix_sort_onesweep_iterationIS3_Lb0EPfS7_N6thrust23THRUST_200600_302600_NS10device_ptrIlEESB_jNS0_19identity_decomposerENS1_16block_id_wrapperIjLb0EEEEE10hipError_tT1_PNSt15iterator_traitsISG_E10value_typeET2_T3_PNSH_ISM_E10value_typeET4_T5_PSR_SS_PNS1_23onesweep_lookback_stateEbbT6_jjT7_P12ihipStream_tbENKUlT_T0_SG_SL_E_clIS7_S7_SB_SB_EEDaSZ_S10_SG_SL_EUlSZ_E_NS1_11comp_targetILNS1_3genE0ELNS1_11target_archE4294967295ELNS1_3gpuE0ELNS1_3repE0EEENS1_47radix_sort_onesweep_sort_config_static_selectorELNS0_4arch9wavefront6targetE1EEEvSG_,"axG",@progbits,_ZN7rocprim17ROCPRIM_400000_NS6detail17trampoline_kernelINS0_14default_configENS1_35radix_sort_onesweep_config_selectorIflEEZZNS1_29radix_sort_onesweep_iterationIS3_Lb0EPfS7_N6thrust23THRUST_200600_302600_NS10device_ptrIlEESB_jNS0_19identity_decomposerENS1_16block_id_wrapperIjLb0EEEEE10hipError_tT1_PNSt15iterator_traitsISG_E10value_typeET2_T3_PNSH_ISM_E10value_typeET4_T5_PSR_SS_PNS1_23onesweep_lookback_stateEbbT6_jjT7_P12ihipStream_tbENKUlT_T0_SG_SL_E_clIS7_S7_SB_SB_EEDaSZ_S10_SG_SL_EUlSZ_E_NS1_11comp_targetILNS1_3genE0ELNS1_11target_archE4294967295ELNS1_3gpuE0ELNS1_3repE0EEENS1_47radix_sort_onesweep_sort_config_static_selectorELNS0_4arch9wavefront6targetE1EEEvSG_,comdat
	.protected	_ZN7rocprim17ROCPRIM_400000_NS6detail17trampoline_kernelINS0_14default_configENS1_35radix_sort_onesweep_config_selectorIflEEZZNS1_29radix_sort_onesweep_iterationIS3_Lb0EPfS7_N6thrust23THRUST_200600_302600_NS10device_ptrIlEESB_jNS0_19identity_decomposerENS1_16block_id_wrapperIjLb0EEEEE10hipError_tT1_PNSt15iterator_traitsISG_E10value_typeET2_T3_PNSH_ISM_E10value_typeET4_T5_PSR_SS_PNS1_23onesweep_lookback_stateEbbT6_jjT7_P12ihipStream_tbENKUlT_T0_SG_SL_E_clIS7_S7_SB_SB_EEDaSZ_S10_SG_SL_EUlSZ_E_NS1_11comp_targetILNS1_3genE0ELNS1_11target_archE4294967295ELNS1_3gpuE0ELNS1_3repE0EEENS1_47radix_sort_onesweep_sort_config_static_selectorELNS0_4arch9wavefront6targetE1EEEvSG_ ; -- Begin function _ZN7rocprim17ROCPRIM_400000_NS6detail17trampoline_kernelINS0_14default_configENS1_35radix_sort_onesweep_config_selectorIflEEZZNS1_29radix_sort_onesweep_iterationIS3_Lb0EPfS7_N6thrust23THRUST_200600_302600_NS10device_ptrIlEESB_jNS0_19identity_decomposerENS1_16block_id_wrapperIjLb0EEEEE10hipError_tT1_PNSt15iterator_traitsISG_E10value_typeET2_T3_PNSH_ISM_E10value_typeET4_T5_PSR_SS_PNS1_23onesweep_lookback_stateEbbT6_jjT7_P12ihipStream_tbENKUlT_T0_SG_SL_E_clIS7_S7_SB_SB_EEDaSZ_S10_SG_SL_EUlSZ_E_NS1_11comp_targetILNS1_3genE0ELNS1_11target_archE4294967295ELNS1_3gpuE0ELNS1_3repE0EEENS1_47radix_sort_onesweep_sort_config_static_selectorELNS0_4arch9wavefront6targetE1EEEvSG_
	.globl	_ZN7rocprim17ROCPRIM_400000_NS6detail17trampoline_kernelINS0_14default_configENS1_35radix_sort_onesweep_config_selectorIflEEZZNS1_29radix_sort_onesweep_iterationIS3_Lb0EPfS7_N6thrust23THRUST_200600_302600_NS10device_ptrIlEESB_jNS0_19identity_decomposerENS1_16block_id_wrapperIjLb0EEEEE10hipError_tT1_PNSt15iterator_traitsISG_E10value_typeET2_T3_PNSH_ISM_E10value_typeET4_T5_PSR_SS_PNS1_23onesweep_lookback_stateEbbT6_jjT7_P12ihipStream_tbENKUlT_T0_SG_SL_E_clIS7_S7_SB_SB_EEDaSZ_S10_SG_SL_EUlSZ_E_NS1_11comp_targetILNS1_3genE0ELNS1_11target_archE4294967295ELNS1_3gpuE0ELNS1_3repE0EEENS1_47radix_sort_onesweep_sort_config_static_selectorELNS0_4arch9wavefront6targetE1EEEvSG_
	.p2align	8
	.type	_ZN7rocprim17ROCPRIM_400000_NS6detail17trampoline_kernelINS0_14default_configENS1_35radix_sort_onesweep_config_selectorIflEEZZNS1_29radix_sort_onesweep_iterationIS3_Lb0EPfS7_N6thrust23THRUST_200600_302600_NS10device_ptrIlEESB_jNS0_19identity_decomposerENS1_16block_id_wrapperIjLb0EEEEE10hipError_tT1_PNSt15iterator_traitsISG_E10value_typeET2_T3_PNSH_ISM_E10value_typeET4_T5_PSR_SS_PNS1_23onesweep_lookback_stateEbbT6_jjT7_P12ihipStream_tbENKUlT_T0_SG_SL_E_clIS7_S7_SB_SB_EEDaSZ_S10_SG_SL_EUlSZ_E_NS1_11comp_targetILNS1_3genE0ELNS1_11target_archE4294967295ELNS1_3gpuE0ELNS1_3repE0EEENS1_47radix_sort_onesweep_sort_config_static_selectorELNS0_4arch9wavefront6targetE1EEEvSG_,@function
_ZN7rocprim17ROCPRIM_400000_NS6detail17trampoline_kernelINS0_14default_configENS1_35radix_sort_onesweep_config_selectorIflEEZZNS1_29radix_sort_onesweep_iterationIS3_Lb0EPfS7_N6thrust23THRUST_200600_302600_NS10device_ptrIlEESB_jNS0_19identity_decomposerENS1_16block_id_wrapperIjLb0EEEEE10hipError_tT1_PNSt15iterator_traitsISG_E10value_typeET2_T3_PNSH_ISM_E10value_typeET4_T5_PSR_SS_PNS1_23onesweep_lookback_stateEbbT6_jjT7_P12ihipStream_tbENKUlT_T0_SG_SL_E_clIS7_S7_SB_SB_EEDaSZ_S10_SG_SL_EUlSZ_E_NS1_11comp_targetILNS1_3genE0ELNS1_11target_archE4294967295ELNS1_3gpuE0ELNS1_3repE0EEENS1_47radix_sort_onesweep_sort_config_static_selectorELNS0_4arch9wavefront6targetE1EEEvSG_: ; @_ZN7rocprim17ROCPRIM_400000_NS6detail17trampoline_kernelINS0_14default_configENS1_35radix_sort_onesweep_config_selectorIflEEZZNS1_29radix_sort_onesweep_iterationIS3_Lb0EPfS7_N6thrust23THRUST_200600_302600_NS10device_ptrIlEESB_jNS0_19identity_decomposerENS1_16block_id_wrapperIjLb0EEEEE10hipError_tT1_PNSt15iterator_traitsISG_E10value_typeET2_T3_PNSH_ISM_E10value_typeET4_T5_PSR_SS_PNS1_23onesweep_lookback_stateEbbT6_jjT7_P12ihipStream_tbENKUlT_T0_SG_SL_E_clIS7_S7_SB_SB_EEDaSZ_S10_SG_SL_EUlSZ_E_NS1_11comp_targetILNS1_3genE0ELNS1_11target_archE4294967295ELNS1_3gpuE0ELNS1_3repE0EEENS1_47radix_sort_onesweep_sort_config_static_selectorELNS0_4arch9wavefront6targetE1EEEvSG_
; %bb.0:
	.section	.rodata,"a",@progbits
	.p2align	6, 0x0
	.amdhsa_kernel _ZN7rocprim17ROCPRIM_400000_NS6detail17trampoline_kernelINS0_14default_configENS1_35radix_sort_onesweep_config_selectorIflEEZZNS1_29radix_sort_onesweep_iterationIS3_Lb0EPfS7_N6thrust23THRUST_200600_302600_NS10device_ptrIlEESB_jNS0_19identity_decomposerENS1_16block_id_wrapperIjLb0EEEEE10hipError_tT1_PNSt15iterator_traitsISG_E10value_typeET2_T3_PNSH_ISM_E10value_typeET4_T5_PSR_SS_PNS1_23onesweep_lookback_stateEbbT6_jjT7_P12ihipStream_tbENKUlT_T0_SG_SL_E_clIS7_S7_SB_SB_EEDaSZ_S10_SG_SL_EUlSZ_E_NS1_11comp_targetILNS1_3genE0ELNS1_11target_archE4294967295ELNS1_3gpuE0ELNS1_3repE0EEENS1_47radix_sort_onesweep_sort_config_static_selectorELNS0_4arch9wavefront6targetE1EEEvSG_
		.amdhsa_group_segment_fixed_size 0
		.amdhsa_private_segment_fixed_size 0
		.amdhsa_kernarg_size 88
		.amdhsa_user_sgpr_count 6
		.amdhsa_user_sgpr_private_segment_buffer 1
		.amdhsa_user_sgpr_dispatch_ptr 0
		.amdhsa_user_sgpr_queue_ptr 0
		.amdhsa_user_sgpr_kernarg_segment_ptr 1
		.amdhsa_user_sgpr_dispatch_id 0
		.amdhsa_user_sgpr_flat_scratch_init 0
		.amdhsa_user_sgpr_kernarg_preload_length 0
		.amdhsa_user_sgpr_kernarg_preload_offset 0
		.amdhsa_user_sgpr_private_segment_size 0
		.amdhsa_uses_dynamic_stack 0
		.amdhsa_system_sgpr_private_segment_wavefront_offset 0
		.amdhsa_system_sgpr_workgroup_id_x 1
		.amdhsa_system_sgpr_workgroup_id_y 0
		.amdhsa_system_sgpr_workgroup_id_z 0
		.amdhsa_system_sgpr_workgroup_info 0
		.amdhsa_system_vgpr_workitem_id 0
		.amdhsa_next_free_vgpr 1
		.amdhsa_next_free_sgpr 0
		.amdhsa_accum_offset 4
		.amdhsa_reserve_vcc 0
		.amdhsa_reserve_flat_scratch 0
		.amdhsa_float_round_mode_32 0
		.amdhsa_float_round_mode_16_64 0
		.amdhsa_float_denorm_mode_32 3
		.amdhsa_float_denorm_mode_16_64 3
		.amdhsa_dx10_clamp 1
		.amdhsa_ieee_mode 1
		.amdhsa_fp16_overflow 0
		.amdhsa_tg_split 0
		.amdhsa_exception_fp_ieee_invalid_op 0
		.amdhsa_exception_fp_denorm_src 0
		.amdhsa_exception_fp_ieee_div_zero 0
		.amdhsa_exception_fp_ieee_overflow 0
		.amdhsa_exception_fp_ieee_underflow 0
		.amdhsa_exception_fp_ieee_inexact 0
		.amdhsa_exception_int_div_zero 0
	.end_amdhsa_kernel
	.section	.text._ZN7rocprim17ROCPRIM_400000_NS6detail17trampoline_kernelINS0_14default_configENS1_35radix_sort_onesweep_config_selectorIflEEZZNS1_29radix_sort_onesweep_iterationIS3_Lb0EPfS7_N6thrust23THRUST_200600_302600_NS10device_ptrIlEESB_jNS0_19identity_decomposerENS1_16block_id_wrapperIjLb0EEEEE10hipError_tT1_PNSt15iterator_traitsISG_E10value_typeET2_T3_PNSH_ISM_E10value_typeET4_T5_PSR_SS_PNS1_23onesweep_lookback_stateEbbT6_jjT7_P12ihipStream_tbENKUlT_T0_SG_SL_E_clIS7_S7_SB_SB_EEDaSZ_S10_SG_SL_EUlSZ_E_NS1_11comp_targetILNS1_3genE0ELNS1_11target_archE4294967295ELNS1_3gpuE0ELNS1_3repE0EEENS1_47radix_sort_onesweep_sort_config_static_selectorELNS0_4arch9wavefront6targetE1EEEvSG_,"axG",@progbits,_ZN7rocprim17ROCPRIM_400000_NS6detail17trampoline_kernelINS0_14default_configENS1_35radix_sort_onesweep_config_selectorIflEEZZNS1_29radix_sort_onesweep_iterationIS3_Lb0EPfS7_N6thrust23THRUST_200600_302600_NS10device_ptrIlEESB_jNS0_19identity_decomposerENS1_16block_id_wrapperIjLb0EEEEE10hipError_tT1_PNSt15iterator_traitsISG_E10value_typeET2_T3_PNSH_ISM_E10value_typeET4_T5_PSR_SS_PNS1_23onesweep_lookback_stateEbbT6_jjT7_P12ihipStream_tbENKUlT_T0_SG_SL_E_clIS7_S7_SB_SB_EEDaSZ_S10_SG_SL_EUlSZ_E_NS1_11comp_targetILNS1_3genE0ELNS1_11target_archE4294967295ELNS1_3gpuE0ELNS1_3repE0EEENS1_47radix_sort_onesweep_sort_config_static_selectorELNS0_4arch9wavefront6targetE1EEEvSG_,comdat
.Lfunc_end1861:
	.size	_ZN7rocprim17ROCPRIM_400000_NS6detail17trampoline_kernelINS0_14default_configENS1_35radix_sort_onesweep_config_selectorIflEEZZNS1_29radix_sort_onesweep_iterationIS3_Lb0EPfS7_N6thrust23THRUST_200600_302600_NS10device_ptrIlEESB_jNS0_19identity_decomposerENS1_16block_id_wrapperIjLb0EEEEE10hipError_tT1_PNSt15iterator_traitsISG_E10value_typeET2_T3_PNSH_ISM_E10value_typeET4_T5_PSR_SS_PNS1_23onesweep_lookback_stateEbbT6_jjT7_P12ihipStream_tbENKUlT_T0_SG_SL_E_clIS7_S7_SB_SB_EEDaSZ_S10_SG_SL_EUlSZ_E_NS1_11comp_targetILNS1_3genE0ELNS1_11target_archE4294967295ELNS1_3gpuE0ELNS1_3repE0EEENS1_47radix_sort_onesweep_sort_config_static_selectorELNS0_4arch9wavefront6targetE1EEEvSG_, .Lfunc_end1861-_ZN7rocprim17ROCPRIM_400000_NS6detail17trampoline_kernelINS0_14default_configENS1_35radix_sort_onesweep_config_selectorIflEEZZNS1_29radix_sort_onesweep_iterationIS3_Lb0EPfS7_N6thrust23THRUST_200600_302600_NS10device_ptrIlEESB_jNS0_19identity_decomposerENS1_16block_id_wrapperIjLb0EEEEE10hipError_tT1_PNSt15iterator_traitsISG_E10value_typeET2_T3_PNSH_ISM_E10value_typeET4_T5_PSR_SS_PNS1_23onesweep_lookback_stateEbbT6_jjT7_P12ihipStream_tbENKUlT_T0_SG_SL_E_clIS7_S7_SB_SB_EEDaSZ_S10_SG_SL_EUlSZ_E_NS1_11comp_targetILNS1_3genE0ELNS1_11target_archE4294967295ELNS1_3gpuE0ELNS1_3repE0EEENS1_47radix_sort_onesweep_sort_config_static_selectorELNS0_4arch9wavefront6targetE1EEEvSG_
                                        ; -- End function
	.section	.AMDGPU.csdata,"",@progbits
; Kernel info:
; codeLenInByte = 0
; NumSgprs: 4
; NumVgprs: 0
; NumAgprs: 0
; TotalNumVgprs: 0
; ScratchSize: 0
; MemoryBound: 0
; FloatMode: 240
; IeeeMode: 1
; LDSByteSize: 0 bytes/workgroup (compile time only)
; SGPRBlocks: 0
; VGPRBlocks: 0
; NumSGPRsForWavesPerEU: 4
; NumVGPRsForWavesPerEU: 1
; AccumOffset: 4
; Occupancy: 8
; WaveLimiterHint : 0
; COMPUTE_PGM_RSRC2:SCRATCH_EN: 0
; COMPUTE_PGM_RSRC2:USER_SGPR: 6
; COMPUTE_PGM_RSRC2:TRAP_HANDLER: 0
; COMPUTE_PGM_RSRC2:TGID_X_EN: 1
; COMPUTE_PGM_RSRC2:TGID_Y_EN: 0
; COMPUTE_PGM_RSRC2:TGID_Z_EN: 0
; COMPUTE_PGM_RSRC2:TIDIG_COMP_CNT: 0
; COMPUTE_PGM_RSRC3_GFX90A:ACCUM_OFFSET: 0
; COMPUTE_PGM_RSRC3_GFX90A:TG_SPLIT: 0
	.section	.text._ZN7rocprim17ROCPRIM_400000_NS6detail17trampoline_kernelINS0_14default_configENS1_35radix_sort_onesweep_config_selectorIflEEZZNS1_29radix_sort_onesweep_iterationIS3_Lb0EPfS7_N6thrust23THRUST_200600_302600_NS10device_ptrIlEESB_jNS0_19identity_decomposerENS1_16block_id_wrapperIjLb0EEEEE10hipError_tT1_PNSt15iterator_traitsISG_E10value_typeET2_T3_PNSH_ISM_E10value_typeET4_T5_PSR_SS_PNS1_23onesweep_lookback_stateEbbT6_jjT7_P12ihipStream_tbENKUlT_T0_SG_SL_E_clIS7_S7_SB_SB_EEDaSZ_S10_SG_SL_EUlSZ_E_NS1_11comp_targetILNS1_3genE6ELNS1_11target_archE950ELNS1_3gpuE13ELNS1_3repE0EEENS1_47radix_sort_onesweep_sort_config_static_selectorELNS0_4arch9wavefront6targetE1EEEvSG_,"axG",@progbits,_ZN7rocprim17ROCPRIM_400000_NS6detail17trampoline_kernelINS0_14default_configENS1_35radix_sort_onesweep_config_selectorIflEEZZNS1_29radix_sort_onesweep_iterationIS3_Lb0EPfS7_N6thrust23THRUST_200600_302600_NS10device_ptrIlEESB_jNS0_19identity_decomposerENS1_16block_id_wrapperIjLb0EEEEE10hipError_tT1_PNSt15iterator_traitsISG_E10value_typeET2_T3_PNSH_ISM_E10value_typeET4_T5_PSR_SS_PNS1_23onesweep_lookback_stateEbbT6_jjT7_P12ihipStream_tbENKUlT_T0_SG_SL_E_clIS7_S7_SB_SB_EEDaSZ_S10_SG_SL_EUlSZ_E_NS1_11comp_targetILNS1_3genE6ELNS1_11target_archE950ELNS1_3gpuE13ELNS1_3repE0EEENS1_47radix_sort_onesweep_sort_config_static_selectorELNS0_4arch9wavefront6targetE1EEEvSG_,comdat
	.protected	_ZN7rocprim17ROCPRIM_400000_NS6detail17trampoline_kernelINS0_14default_configENS1_35radix_sort_onesweep_config_selectorIflEEZZNS1_29radix_sort_onesweep_iterationIS3_Lb0EPfS7_N6thrust23THRUST_200600_302600_NS10device_ptrIlEESB_jNS0_19identity_decomposerENS1_16block_id_wrapperIjLb0EEEEE10hipError_tT1_PNSt15iterator_traitsISG_E10value_typeET2_T3_PNSH_ISM_E10value_typeET4_T5_PSR_SS_PNS1_23onesweep_lookback_stateEbbT6_jjT7_P12ihipStream_tbENKUlT_T0_SG_SL_E_clIS7_S7_SB_SB_EEDaSZ_S10_SG_SL_EUlSZ_E_NS1_11comp_targetILNS1_3genE6ELNS1_11target_archE950ELNS1_3gpuE13ELNS1_3repE0EEENS1_47radix_sort_onesweep_sort_config_static_selectorELNS0_4arch9wavefront6targetE1EEEvSG_ ; -- Begin function _ZN7rocprim17ROCPRIM_400000_NS6detail17trampoline_kernelINS0_14default_configENS1_35radix_sort_onesweep_config_selectorIflEEZZNS1_29radix_sort_onesweep_iterationIS3_Lb0EPfS7_N6thrust23THRUST_200600_302600_NS10device_ptrIlEESB_jNS0_19identity_decomposerENS1_16block_id_wrapperIjLb0EEEEE10hipError_tT1_PNSt15iterator_traitsISG_E10value_typeET2_T3_PNSH_ISM_E10value_typeET4_T5_PSR_SS_PNS1_23onesweep_lookback_stateEbbT6_jjT7_P12ihipStream_tbENKUlT_T0_SG_SL_E_clIS7_S7_SB_SB_EEDaSZ_S10_SG_SL_EUlSZ_E_NS1_11comp_targetILNS1_3genE6ELNS1_11target_archE950ELNS1_3gpuE13ELNS1_3repE0EEENS1_47radix_sort_onesweep_sort_config_static_selectorELNS0_4arch9wavefront6targetE1EEEvSG_
	.globl	_ZN7rocprim17ROCPRIM_400000_NS6detail17trampoline_kernelINS0_14default_configENS1_35radix_sort_onesweep_config_selectorIflEEZZNS1_29radix_sort_onesweep_iterationIS3_Lb0EPfS7_N6thrust23THRUST_200600_302600_NS10device_ptrIlEESB_jNS0_19identity_decomposerENS1_16block_id_wrapperIjLb0EEEEE10hipError_tT1_PNSt15iterator_traitsISG_E10value_typeET2_T3_PNSH_ISM_E10value_typeET4_T5_PSR_SS_PNS1_23onesweep_lookback_stateEbbT6_jjT7_P12ihipStream_tbENKUlT_T0_SG_SL_E_clIS7_S7_SB_SB_EEDaSZ_S10_SG_SL_EUlSZ_E_NS1_11comp_targetILNS1_3genE6ELNS1_11target_archE950ELNS1_3gpuE13ELNS1_3repE0EEENS1_47radix_sort_onesweep_sort_config_static_selectorELNS0_4arch9wavefront6targetE1EEEvSG_
	.p2align	8
	.type	_ZN7rocprim17ROCPRIM_400000_NS6detail17trampoline_kernelINS0_14default_configENS1_35radix_sort_onesweep_config_selectorIflEEZZNS1_29radix_sort_onesweep_iterationIS3_Lb0EPfS7_N6thrust23THRUST_200600_302600_NS10device_ptrIlEESB_jNS0_19identity_decomposerENS1_16block_id_wrapperIjLb0EEEEE10hipError_tT1_PNSt15iterator_traitsISG_E10value_typeET2_T3_PNSH_ISM_E10value_typeET4_T5_PSR_SS_PNS1_23onesweep_lookback_stateEbbT6_jjT7_P12ihipStream_tbENKUlT_T0_SG_SL_E_clIS7_S7_SB_SB_EEDaSZ_S10_SG_SL_EUlSZ_E_NS1_11comp_targetILNS1_3genE6ELNS1_11target_archE950ELNS1_3gpuE13ELNS1_3repE0EEENS1_47radix_sort_onesweep_sort_config_static_selectorELNS0_4arch9wavefront6targetE1EEEvSG_,@function
_ZN7rocprim17ROCPRIM_400000_NS6detail17trampoline_kernelINS0_14default_configENS1_35radix_sort_onesweep_config_selectorIflEEZZNS1_29radix_sort_onesweep_iterationIS3_Lb0EPfS7_N6thrust23THRUST_200600_302600_NS10device_ptrIlEESB_jNS0_19identity_decomposerENS1_16block_id_wrapperIjLb0EEEEE10hipError_tT1_PNSt15iterator_traitsISG_E10value_typeET2_T3_PNSH_ISM_E10value_typeET4_T5_PSR_SS_PNS1_23onesweep_lookback_stateEbbT6_jjT7_P12ihipStream_tbENKUlT_T0_SG_SL_E_clIS7_S7_SB_SB_EEDaSZ_S10_SG_SL_EUlSZ_E_NS1_11comp_targetILNS1_3genE6ELNS1_11target_archE950ELNS1_3gpuE13ELNS1_3repE0EEENS1_47radix_sort_onesweep_sort_config_static_selectorELNS0_4arch9wavefront6targetE1EEEvSG_: ; @_ZN7rocprim17ROCPRIM_400000_NS6detail17trampoline_kernelINS0_14default_configENS1_35radix_sort_onesweep_config_selectorIflEEZZNS1_29radix_sort_onesweep_iterationIS3_Lb0EPfS7_N6thrust23THRUST_200600_302600_NS10device_ptrIlEESB_jNS0_19identity_decomposerENS1_16block_id_wrapperIjLb0EEEEE10hipError_tT1_PNSt15iterator_traitsISG_E10value_typeET2_T3_PNSH_ISM_E10value_typeET4_T5_PSR_SS_PNS1_23onesweep_lookback_stateEbbT6_jjT7_P12ihipStream_tbENKUlT_T0_SG_SL_E_clIS7_S7_SB_SB_EEDaSZ_S10_SG_SL_EUlSZ_E_NS1_11comp_targetILNS1_3genE6ELNS1_11target_archE950ELNS1_3gpuE13ELNS1_3repE0EEENS1_47radix_sort_onesweep_sort_config_static_selectorELNS0_4arch9wavefront6targetE1EEEvSG_
; %bb.0:
	.section	.rodata,"a",@progbits
	.p2align	6, 0x0
	.amdhsa_kernel _ZN7rocprim17ROCPRIM_400000_NS6detail17trampoline_kernelINS0_14default_configENS1_35radix_sort_onesweep_config_selectorIflEEZZNS1_29radix_sort_onesweep_iterationIS3_Lb0EPfS7_N6thrust23THRUST_200600_302600_NS10device_ptrIlEESB_jNS0_19identity_decomposerENS1_16block_id_wrapperIjLb0EEEEE10hipError_tT1_PNSt15iterator_traitsISG_E10value_typeET2_T3_PNSH_ISM_E10value_typeET4_T5_PSR_SS_PNS1_23onesweep_lookback_stateEbbT6_jjT7_P12ihipStream_tbENKUlT_T0_SG_SL_E_clIS7_S7_SB_SB_EEDaSZ_S10_SG_SL_EUlSZ_E_NS1_11comp_targetILNS1_3genE6ELNS1_11target_archE950ELNS1_3gpuE13ELNS1_3repE0EEENS1_47radix_sort_onesweep_sort_config_static_selectorELNS0_4arch9wavefront6targetE1EEEvSG_
		.amdhsa_group_segment_fixed_size 0
		.amdhsa_private_segment_fixed_size 0
		.amdhsa_kernarg_size 88
		.amdhsa_user_sgpr_count 6
		.amdhsa_user_sgpr_private_segment_buffer 1
		.amdhsa_user_sgpr_dispatch_ptr 0
		.amdhsa_user_sgpr_queue_ptr 0
		.amdhsa_user_sgpr_kernarg_segment_ptr 1
		.amdhsa_user_sgpr_dispatch_id 0
		.amdhsa_user_sgpr_flat_scratch_init 0
		.amdhsa_user_sgpr_kernarg_preload_length 0
		.amdhsa_user_sgpr_kernarg_preload_offset 0
		.amdhsa_user_sgpr_private_segment_size 0
		.amdhsa_uses_dynamic_stack 0
		.amdhsa_system_sgpr_private_segment_wavefront_offset 0
		.amdhsa_system_sgpr_workgroup_id_x 1
		.amdhsa_system_sgpr_workgroup_id_y 0
		.amdhsa_system_sgpr_workgroup_id_z 0
		.amdhsa_system_sgpr_workgroup_info 0
		.amdhsa_system_vgpr_workitem_id 0
		.amdhsa_next_free_vgpr 1
		.amdhsa_next_free_sgpr 0
		.amdhsa_accum_offset 4
		.amdhsa_reserve_vcc 0
		.amdhsa_reserve_flat_scratch 0
		.amdhsa_float_round_mode_32 0
		.amdhsa_float_round_mode_16_64 0
		.amdhsa_float_denorm_mode_32 3
		.amdhsa_float_denorm_mode_16_64 3
		.amdhsa_dx10_clamp 1
		.amdhsa_ieee_mode 1
		.amdhsa_fp16_overflow 0
		.amdhsa_tg_split 0
		.amdhsa_exception_fp_ieee_invalid_op 0
		.amdhsa_exception_fp_denorm_src 0
		.amdhsa_exception_fp_ieee_div_zero 0
		.amdhsa_exception_fp_ieee_overflow 0
		.amdhsa_exception_fp_ieee_underflow 0
		.amdhsa_exception_fp_ieee_inexact 0
		.amdhsa_exception_int_div_zero 0
	.end_amdhsa_kernel
	.section	.text._ZN7rocprim17ROCPRIM_400000_NS6detail17trampoline_kernelINS0_14default_configENS1_35radix_sort_onesweep_config_selectorIflEEZZNS1_29radix_sort_onesweep_iterationIS3_Lb0EPfS7_N6thrust23THRUST_200600_302600_NS10device_ptrIlEESB_jNS0_19identity_decomposerENS1_16block_id_wrapperIjLb0EEEEE10hipError_tT1_PNSt15iterator_traitsISG_E10value_typeET2_T3_PNSH_ISM_E10value_typeET4_T5_PSR_SS_PNS1_23onesweep_lookback_stateEbbT6_jjT7_P12ihipStream_tbENKUlT_T0_SG_SL_E_clIS7_S7_SB_SB_EEDaSZ_S10_SG_SL_EUlSZ_E_NS1_11comp_targetILNS1_3genE6ELNS1_11target_archE950ELNS1_3gpuE13ELNS1_3repE0EEENS1_47radix_sort_onesweep_sort_config_static_selectorELNS0_4arch9wavefront6targetE1EEEvSG_,"axG",@progbits,_ZN7rocprim17ROCPRIM_400000_NS6detail17trampoline_kernelINS0_14default_configENS1_35radix_sort_onesweep_config_selectorIflEEZZNS1_29radix_sort_onesweep_iterationIS3_Lb0EPfS7_N6thrust23THRUST_200600_302600_NS10device_ptrIlEESB_jNS0_19identity_decomposerENS1_16block_id_wrapperIjLb0EEEEE10hipError_tT1_PNSt15iterator_traitsISG_E10value_typeET2_T3_PNSH_ISM_E10value_typeET4_T5_PSR_SS_PNS1_23onesweep_lookback_stateEbbT6_jjT7_P12ihipStream_tbENKUlT_T0_SG_SL_E_clIS7_S7_SB_SB_EEDaSZ_S10_SG_SL_EUlSZ_E_NS1_11comp_targetILNS1_3genE6ELNS1_11target_archE950ELNS1_3gpuE13ELNS1_3repE0EEENS1_47radix_sort_onesweep_sort_config_static_selectorELNS0_4arch9wavefront6targetE1EEEvSG_,comdat
.Lfunc_end1862:
	.size	_ZN7rocprim17ROCPRIM_400000_NS6detail17trampoline_kernelINS0_14default_configENS1_35radix_sort_onesweep_config_selectorIflEEZZNS1_29radix_sort_onesweep_iterationIS3_Lb0EPfS7_N6thrust23THRUST_200600_302600_NS10device_ptrIlEESB_jNS0_19identity_decomposerENS1_16block_id_wrapperIjLb0EEEEE10hipError_tT1_PNSt15iterator_traitsISG_E10value_typeET2_T3_PNSH_ISM_E10value_typeET4_T5_PSR_SS_PNS1_23onesweep_lookback_stateEbbT6_jjT7_P12ihipStream_tbENKUlT_T0_SG_SL_E_clIS7_S7_SB_SB_EEDaSZ_S10_SG_SL_EUlSZ_E_NS1_11comp_targetILNS1_3genE6ELNS1_11target_archE950ELNS1_3gpuE13ELNS1_3repE0EEENS1_47radix_sort_onesweep_sort_config_static_selectorELNS0_4arch9wavefront6targetE1EEEvSG_, .Lfunc_end1862-_ZN7rocprim17ROCPRIM_400000_NS6detail17trampoline_kernelINS0_14default_configENS1_35radix_sort_onesweep_config_selectorIflEEZZNS1_29radix_sort_onesweep_iterationIS3_Lb0EPfS7_N6thrust23THRUST_200600_302600_NS10device_ptrIlEESB_jNS0_19identity_decomposerENS1_16block_id_wrapperIjLb0EEEEE10hipError_tT1_PNSt15iterator_traitsISG_E10value_typeET2_T3_PNSH_ISM_E10value_typeET4_T5_PSR_SS_PNS1_23onesweep_lookback_stateEbbT6_jjT7_P12ihipStream_tbENKUlT_T0_SG_SL_E_clIS7_S7_SB_SB_EEDaSZ_S10_SG_SL_EUlSZ_E_NS1_11comp_targetILNS1_3genE6ELNS1_11target_archE950ELNS1_3gpuE13ELNS1_3repE0EEENS1_47radix_sort_onesweep_sort_config_static_selectorELNS0_4arch9wavefront6targetE1EEEvSG_
                                        ; -- End function
	.section	.AMDGPU.csdata,"",@progbits
; Kernel info:
; codeLenInByte = 0
; NumSgprs: 4
; NumVgprs: 0
; NumAgprs: 0
; TotalNumVgprs: 0
; ScratchSize: 0
; MemoryBound: 0
; FloatMode: 240
; IeeeMode: 1
; LDSByteSize: 0 bytes/workgroup (compile time only)
; SGPRBlocks: 0
; VGPRBlocks: 0
; NumSGPRsForWavesPerEU: 4
; NumVGPRsForWavesPerEU: 1
; AccumOffset: 4
; Occupancy: 8
; WaveLimiterHint : 0
; COMPUTE_PGM_RSRC2:SCRATCH_EN: 0
; COMPUTE_PGM_RSRC2:USER_SGPR: 6
; COMPUTE_PGM_RSRC2:TRAP_HANDLER: 0
; COMPUTE_PGM_RSRC2:TGID_X_EN: 1
; COMPUTE_PGM_RSRC2:TGID_Y_EN: 0
; COMPUTE_PGM_RSRC2:TGID_Z_EN: 0
; COMPUTE_PGM_RSRC2:TIDIG_COMP_CNT: 0
; COMPUTE_PGM_RSRC3_GFX90A:ACCUM_OFFSET: 0
; COMPUTE_PGM_RSRC3_GFX90A:TG_SPLIT: 0
	.section	.text._ZN7rocprim17ROCPRIM_400000_NS6detail17trampoline_kernelINS0_14default_configENS1_35radix_sort_onesweep_config_selectorIflEEZZNS1_29radix_sort_onesweep_iterationIS3_Lb0EPfS7_N6thrust23THRUST_200600_302600_NS10device_ptrIlEESB_jNS0_19identity_decomposerENS1_16block_id_wrapperIjLb0EEEEE10hipError_tT1_PNSt15iterator_traitsISG_E10value_typeET2_T3_PNSH_ISM_E10value_typeET4_T5_PSR_SS_PNS1_23onesweep_lookback_stateEbbT6_jjT7_P12ihipStream_tbENKUlT_T0_SG_SL_E_clIS7_S7_SB_SB_EEDaSZ_S10_SG_SL_EUlSZ_E_NS1_11comp_targetILNS1_3genE5ELNS1_11target_archE942ELNS1_3gpuE9ELNS1_3repE0EEENS1_47radix_sort_onesweep_sort_config_static_selectorELNS0_4arch9wavefront6targetE1EEEvSG_,"axG",@progbits,_ZN7rocprim17ROCPRIM_400000_NS6detail17trampoline_kernelINS0_14default_configENS1_35radix_sort_onesweep_config_selectorIflEEZZNS1_29radix_sort_onesweep_iterationIS3_Lb0EPfS7_N6thrust23THRUST_200600_302600_NS10device_ptrIlEESB_jNS0_19identity_decomposerENS1_16block_id_wrapperIjLb0EEEEE10hipError_tT1_PNSt15iterator_traitsISG_E10value_typeET2_T3_PNSH_ISM_E10value_typeET4_T5_PSR_SS_PNS1_23onesweep_lookback_stateEbbT6_jjT7_P12ihipStream_tbENKUlT_T0_SG_SL_E_clIS7_S7_SB_SB_EEDaSZ_S10_SG_SL_EUlSZ_E_NS1_11comp_targetILNS1_3genE5ELNS1_11target_archE942ELNS1_3gpuE9ELNS1_3repE0EEENS1_47radix_sort_onesweep_sort_config_static_selectorELNS0_4arch9wavefront6targetE1EEEvSG_,comdat
	.protected	_ZN7rocprim17ROCPRIM_400000_NS6detail17trampoline_kernelINS0_14default_configENS1_35radix_sort_onesweep_config_selectorIflEEZZNS1_29radix_sort_onesweep_iterationIS3_Lb0EPfS7_N6thrust23THRUST_200600_302600_NS10device_ptrIlEESB_jNS0_19identity_decomposerENS1_16block_id_wrapperIjLb0EEEEE10hipError_tT1_PNSt15iterator_traitsISG_E10value_typeET2_T3_PNSH_ISM_E10value_typeET4_T5_PSR_SS_PNS1_23onesweep_lookback_stateEbbT6_jjT7_P12ihipStream_tbENKUlT_T0_SG_SL_E_clIS7_S7_SB_SB_EEDaSZ_S10_SG_SL_EUlSZ_E_NS1_11comp_targetILNS1_3genE5ELNS1_11target_archE942ELNS1_3gpuE9ELNS1_3repE0EEENS1_47radix_sort_onesweep_sort_config_static_selectorELNS0_4arch9wavefront6targetE1EEEvSG_ ; -- Begin function _ZN7rocprim17ROCPRIM_400000_NS6detail17trampoline_kernelINS0_14default_configENS1_35radix_sort_onesweep_config_selectorIflEEZZNS1_29radix_sort_onesweep_iterationIS3_Lb0EPfS7_N6thrust23THRUST_200600_302600_NS10device_ptrIlEESB_jNS0_19identity_decomposerENS1_16block_id_wrapperIjLb0EEEEE10hipError_tT1_PNSt15iterator_traitsISG_E10value_typeET2_T3_PNSH_ISM_E10value_typeET4_T5_PSR_SS_PNS1_23onesweep_lookback_stateEbbT6_jjT7_P12ihipStream_tbENKUlT_T0_SG_SL_E_clIS7_S7_SB_SB_EEDaSZ_S10_SG_SL_EUlSZ_E_NS1_11comp_targetILNS1_3genE5ELNS1_11target_archE942ELNS1_3gpuE9ELNS1_3repE0EEENS1_47radix_sort_onesweep_sort_config_static_selectorELNS0_4arch9wavefront6targetE1EEEvSG_
	.globl	_ZN7rocprim17ROCPRIM_400000_NS6detail17trampoline_kernelINS0_14default_configENS1_35radix_sort_onesweep_config_selectorIflEEZZNS1_29radix_sort_onesweep_iterationIS3_Lb0EPfS7_N6thrust23THRUST_200600_302600_NS10device_ptrIlEESB_jNS0_19identity_decomposerENS1_16block_id_wrapperIjLb0EEEEE10hipError_tT1_PNSt15iterator_traitsISG_E10value_typeET2_T3_PNSH_ISM_E10value_typeET4_T5_PSR_SS_PNS1_23onesweep_lookback_stateEbbT6_jjT7_P12ihipStream_tbENKUlT_T0_SG_SL_E_clIS7_S7_SB_SB_EEDaSZ_S10_SG_SL_EUlSZ_E_NS1_11comp_targetILNS1_3genE5ELNS1_11target_archE942ELNS1_3gpuE9ELNS1_3repE0EEENS1_47radix_sort_onesweep_sort_config_static_selectorELNS0_4arch9wavefront6targetE1EEEvSG_
	.p2align	8
	.type	_ZN7rocprim17ROCPRIM_400000_NS6detail17trampoline_kernelINS0_14default_configENS1_35radix_sort_onesweep_config_selectorIflEEZZNS1_29radix_sort_onesweep_iterationIS3_Lb0EPfS7_N6thrust23THRUST_200600_302600_NS10device_ptrIlEESB_jNS0_19identity_decomposerENS1_16block_id_wrapperIjLb0EEEEE10hipError_tT1_PNSt15iterator_traitsISG_E10value_typeET2_T3_PNSH_ISM_E10value_typeET4_T5_PSR_SS_PNS1_23onesweep_lookback_stateEbbT6_jjT7_P12ihipStream_tbENKUlT_T0_SG_SL_E_clIS7_S7_SB_SB_EEDaSZ_S10_SG_SL_EUlSZ_E_NS1_11comp_targetILNS1_3genE5ELNS1_11target_archE942ELNS1_3gpuE9ELNS1_3repE0EEENS1_47radix_sort_onesweep_sort_config_static_selectorELNS0_4arch9wavefront6targetE1EEEvSG_,@function
_ZN7rocprim17ROCPRIM_400000_NS6detail17trampoline_kernelINS0_14default_configENS1_35radix_sort_onesweep_config_selectorIflEEZZNS1_29radix_sort_onesweep_iterationIS3_Lb0EPfS7_N6thrust23THRUST_200600_302600_NS10device_ptrIlEESB_jNS0_19identity_decomposerENS1_16block_id_wrapperIjLb0EEEEE10hipError_tT1_PNSt15iterator_traitsISG_E10value_typeET2_T3_PNSH_ISM_E10value_typeET4_T5_PSR_SS_PNS1_23onesweep_lookback_stateEbbT6_jjT7_P12ihipStream_tbENKUlT_T0_SG_SL_E_clIS7_S7_SB_SB_EEDaSZ_S10_SG_SL_EUlSZ_E_NS1_11comp_targetILNS1_3genE5ELNS1_11target_archE942ELNS1_3gpuE9ELNS1_3repE0EEENS1_47radix_sort_onesweep_sort_config_static_selectorELNS0_4arch9wavefront6targetE1EEEvSG_: ; @_ZN7rocprim17ROCPRIM_400000_NS6detail17trampoline_kernelINS0_14default_configENS1_35radix_sort_onesweep_config_selectorIflEEZZNS1_29radix_sort_onesweep_iterationIS3_Lb0EPfS7_N6thrust23THRUST_200600_302600_NS10device_ptrIlEESB_jNS0_19identity_decomposerENS1_16block_id_wrapperIjLb0EEEEE10hipError_tT1_PNSt15iterator_traitsISG_E10value_typeET2_T3_PNSH_ISM_E10value_typeET4_T5_PSR_SS_PNS1_23onesweep_lookback_stateEbbT6_jjT7_P12ihipStream_tbENKUlT_T0_SG_SL_E_clIS7_S7_SB_SB_EEDaSZ_S10_SG_SL_EUlSZ_E_NS1_11comp_targetILNS1_3genE5ELNS1_11target_archE942ELNS1_3gpuE9ELNS1_3repE0EEENS1_47radix_sort_onesweep_sort_config_static_selectorELNS0_4arch9wavefront6targetE1EEEvSG_
; %bb.0:
	.section	.rodata,"a",@progbits
	.p2align	6, 0x0
	.amdhsa_kernel _ZN7rocprim17ROCPRIM_400000_NS6detail17trampoline_kernelINS0_14default_configENS1_35radix_sort_onesweep_config_selectorIflEEZZNS1_29radix_sort_onesweep_iterationIS3_Lb0EPfS7_N6thrust23THRUST_200600_302600_NS10device_ptrIlEESB_jNS0_19identity_decomposerENS1_16block_id_wrapperIjLb0EEEEE10hipError_tT1_PNSt15iterator_traitsISG_E10value_typeET2_T3_PNSH_ISM_E10value_typeET4_T5_PSR_SS_PNS1_23onesweep_lookback_stateEbbT6_jjT7_P12ihipStream_tbENKUlT_T0_SG_SL_E_clIS7_S7_SB_SB_EEDaSZ_S10_SG_SL_EUlSZ_E_NS1_11comp_targetILNS1_3genE5ELNS1_11target_archE942ELNS1_3gpuE9ELNS1_3repE0EEENS1_47radix_sort_onesweep_sort_config_static_selectorELNS0_4arch9wavefront6targetE1EEEvSG_
		.amdhsa_group_segment_fixed_size 0
		.amdhsa_private_segment_fixed_size 0
		.amdhsa_kernarg_size 88
		.amdhsa_user_sgpr_count 6
		.amdhsa_user_sgpr_private_segment_buffer 1
		.amdhsa_user_sgpr_dispatch_ptr 0
		.amdhsa_user_sgpr_queue_ptr 0
		.amdhsa_user_sgpr_kernarg_segment_ptr 1
		.amdhsa_user_sgpr_dispatch_id 0
		.amdhsa_user_sgpr_flat_scratch_init 0
		.amdhsa_user_sgpr_kernarg_preload_length 0
		.amdhsa_user_sgpr_kernarg_preload_offset 0
		.amdhsa_user_sgpr_private_segment_size 0
		.amdhsa_uses_dynamic_stack 0
		.amdhsa_system_sgpr_private_segment_wavefront_offset 0
		.amdhsa_system_sgpr_workgroup_id_x 1
		.amdhsa_system_sgpr_workgroup_id_y 0
		.amdhsa_system_sgpr_workgroup_id_z 0
		.amdhsa_system_sgpr_workgroup_info 0
		.amdhsa_system_vgpr_workitem_id 0
		.amdhsa_next_free_vgpr 1
		.amdhsa_next_free_sgpr 0
		.amdhsa_accum_offset 4
		.amdhsa_reserve_vcc 0
		.amdhsa_reserve_flat_scratch 0
		.amdhsa_float_round_mode_32 0
		.amdhsa_float_round_mode_16_64 0
		.amdhsa_float_denorm_mode_32 3
		.amdhsa_float_denorm_mode_16_64 3
		.amdhsa_dx10_clamp 1
		.amdhsa_ieee_mode 1
		.amdhsa_fp16_overflow 0
		.amdhsa_tg_split 0
		.amdhsa_exception_fp_ieee_invalid_op 0
		.amdhsa_exception_fp_denorm_src 0
		.amdhsa_exception_fp_ieee_div_zero 0
		.amdhsa_exception_fp_ieee_overflow 0
		.amdhsa_exception_fp_ieee_underflow 0
		.amdhsa_exception_fp_ieee_inexact 0
		.amdhsa_exception_int_div_zero 0
	.end_amdhsa_kernel
	.section	.text._ZN7rocprim17ROCPRIM_400000_NS6detail17trampoline_kernelINS0_14default_configENS1_35radix_sort_onesweep_config_selectorIflEEZZNS1_29radix_sort_onesweep_iterationIS3_Lb0EPfS7_N6thrust23THRUST_200600_302600_NS10device_ptrIlEESB_jNS0_19identity_decomposerENS1_16block_id_wrapperIjLb0EEEEE10hipError_tT1_PNSt15iterator_traitsISG_E10value_typeET2_T3_PNSH_ISM_E10value_typeET4_T5_PSR_SS_PNS1_23onesweep_lookback_stateEbbT6_jjT7_P12ihipStream_tbENKUlT_T0_SG_SL_E_clIS7_S7_SB_SB_EEDaSZ_S10_SG_SL_EUlSZ_E_NS1_11comp_targetILNS1_3genE5ELNS1_11target_archE942ELNS1_3gpuE9ELNS1_3repE0EEENS1_47radix_sort_onesweep_sort_config_static_selectorELNS0_4arch9wavefront6targetE1EEEvSG_,"axG",@progbits,_ZN7rocprim17ROCPRIM_400000_NS6detail17trampoline_kernelINS0_14default_configENS1_35radix_sort_onesweep_config_selectorIflEEZZNS1_29radix_sort_onesweep_iterationIS3_Lb0EPfS7_N6thrust23THRUST_200600_302600_NS10device_ptrIlEESB_jNS0_19identity_decomposerENS1_16block_id_wrapperIjLb0EEEEE10hipError_tT1_PNSt15iterator_traitsISG_E10value_typeET2_T3_PNSH_ISM_E10value_typeET4_T5_PSR_SS_PNS1_23onesweep_lookback_stateEbbT6_jjT7_P12ihipStream_tbENKUlT_T0_SG_SL_E_clIS7_S7_SB_SB_EEDaSZ_S10_SG_SL_EUlSZ_E_NS1_11comp_targetILNS1_3genE5ELNS1_11target_archE942ELNS1_3gpuE9ELNS1_3repE0EEENS1_47radix_sort_onesweep_sort_config_static_selectorELNS0_4arch9wavefront6targetE1EEEvSG_,comdat
.Lfunc_end1863:
	.size	_ZN7rocprim17ROCPRIM_400000_NS6detail17trampoline_kernelINS0_14default_configENS1_35radix_sort_onesweep_config_selectorIflEEZZNS1_29radix_sort_onesweep_iterationIS3_Lb0EPfS7_N6thrust23THRUST_200600_302600_NS10device_ptrIlEESB_jNS0_19identity_decomposerENS1_16block_id_wrapperIjLb0EEEEE10hipError_tT1_PNSt15iterator_traitsISG_E10value_typeET2_T3_PNSH_ISM_E10value_typeET4_T5_PSR_SS_PNS1_23onesweep_lookback_stateEbbT6_jjT7_P12ihipStream_tbENKUlT_T0_SG_SL_E_clIS7_S7_SB_SB_EEDaSZ_S10_SG_SL_EUlSZ_E_NS1_11comp_targetILNS1_3genE5ELNS1_11target_archE942ELNS1_3gpuE9ELNS1_3repE0EEENS1_47radix_sort_onesweep_sort_config_static_selectorELNS0_4arch9wavefront6targetE1EEEvSG_, .Lfunc_end1863-_ZN7rocprim17ROCPRIM_400000_NS6detail17trampoline_kernelINS0_14default_configENS1_35radix_sort_onesweep_config_selectorIflEEZZNS1_29radix_sort_onesweep_iterationIS3_Lb0EPfS7_N6thrust23THRUST_200600_302600_NS10device_ptrIlEESB_jNS0_19identity_decomposerENS1_16block_id_wrapperIjLb0EEEEE10hipError_tT1_PNSt15iterator_traitsISG_E10value_typeET2_T3_PNSH_ISM_E10value_typeET4_T5_PSR_SS_PNS1_23onesweep_lookback_stateEbbT6_jjT7_P12ihipStream_tbENKUlT_T0_SG_SL_E_clIS7_S7_SB_SB_EEDaSZ_S10_SG_SL_EUlSZ_E_NS1_11comp_targetILNS1_3genE5ELNS1_11target_archE942ELNS1_3gpuE9ELNS1_3repE0EEENS1_47radix_sort_onesweep_sort_config_static_selectorELNS0_4arch9wavefront6targetE1EEEvSG_
                                        ; -- End function
	.section	.AMDGPU.csdata,"",@progbits
; Kernel info:
; codeLenInByte = 0
; NumSgprs: 4
; NumVgprs: 0
; NumAgprs: 0
; TotalNumVgprs: 0
; ScratchSize: 0
; MemoryBound: 0
; FloatMode: 240
; IeeeMode: 1
; LDSByteSize: 0 bytes/workgroup (compile time only)
; SGPRBlocks: 0
; VGPRBlocks: 0
; NumSGPRsForWavesPerEU: 4
; NumVGPRsForWavesPerEU: 1
; AccumOffset: 4
; Occupancy: 8
; WaveLimiterHint : 0
; COMPUTE_PGM_RSRC2:SCRATCH_EN: 0
; COMPUTE_PGM_RSRC2:USER_SGPR: 6
; COMPUTE_PGM_RSRC2:TRAP_HANDLER: 0
; COMPUTE_PGM_RSRC2:TGID_X_EN: 1
; COMPUTE_PGM_RSRC2:TGID_Y_EN: 0
; COMPUTE_PGM_RSRC2:TGID_Z_EN: 0
; COMPUTE_PGM_RSRC2:TIDIG_COMP_CNT: 0
; COMPUTE_PGM_RSRC3_GFX90A:ACCUM_OFFSET: 0
; COMPUTE_PGM_RSRC3_GFX90A:TG_SPLIT: 0
	.section	.text._ZN7rocprim17ROCPRIM_400000_NS6detail17trampoline_kernelINS0_14default_configENS1_35radix_sort_onesweep_config_selectorIflEEZZNS1_29radix_sort_onesweep_iterationIS3_Lb0EPfS7_N6thrust23THRUST_200600_302600_NS10device_ptrIlEESB_jNS0_19identity_decomposerENS1_16block_id_wrapperIjLb0EEEEE10hipError_tT1_PNSt15iterator_traitsISG_E10value_typeET2_T3_PNSH_ISM_E10value_typeET4_T5_PSR_SS_PNS1_23onesweep_lookback_stateEbbT6_jjT7_P12ihipStream_tbENKUlT_T0_SG_SL_E_clIS7_S7_SB_SB_EEDaSZ_S10_SG_SL_EUlSZ_E_NS1_11comp_targetILNS1_3genE2ELNS1_11target_archE906ELNS1_3gpuE6ELNS1_3repE0EEENS1_47radix_sort_onesweep_sort_config_static_selectorELNS0_4arch9wavefront6targetE1EEEvSG_,"axG",@progbits,_ZN7rocprim17ROCPRIM_400000_NS6detail17trampoline_kernelINS0_14default_configENS1_35radix_sort_onesweep_config_selectorIflEEZZNS1_29radix_sort_onesweep_iterationIS3_Lb0EPfS7_N6thrust23THRUST_200600_302600_NS10device_ptrIlEESB_jNS0_19identity_decomposerENS1_16block_id_wrapperIjLb0EEEEE10hipError_tT1_PNSt15iterator_traitsISG_E10value_typeET2_T3_PNSH_ISM_E10value_typeET4_T5_PSR_SS_PNS1_23onesweep_lookback_stateEbbT6_jjT7_P12ihipStream_tbENKUlT_T0_SG_SL_E_clIS7_S7_SB_SB_EEDaSZ_S10_SG_SL_EUlSZ_E_NS1_11comp_targetILNS1_3genE2ELNS1_11target_archE906ELNS1_3gpuE6ELNS1_3repE0EEENS1_47radix_sort_onesweep_sort_config_static_selectorELNS0_4arch9wavefront6targetE1EEEvSG_,comdat
	.protected	_ZN7rocprim17ROCPRIM_400000_NS6detail17trampoline_kernelINS0_14default_configENS1_35radix_sort_onesweep_config_selectorIflEEZZNS1_29radix_sort_onesweep_iterationIS3_Lb0EPfS7_N6thrust23THRUST_200600_302600_NS10device_ptrIlEESB_jNS0_19identity_decomposerENS1_16block_id_wrapperIjLb0EEEEE10hipError_tT1_PNSt15iterator_traitsISG_E10value_typeET2_T3_PNSH_ISM_E10value_typeET4_T5_PSR_SS_PNS1_23onesweep_lookback_stateEbbT6_jjT7_P12ihipStream_tbENKUlT_T0_SG_SL_E_clIS7_S7_SB_SB_EEDaSZ_S10_SG_SL_EUlSZ_E_NS1_11comp_targetILNS1_3genE2ELNS1_11target_archE906ELNS1_3gpuE6ELNS1_3repE0EEENS1_47radix_sort_onesweep_sort_config_static_selectorELNS0_4arch9wavefront6targetE1EEEvSG_ ; -- Begin function _ZN7rocprim17ROCPRIM_400000_NS6detail17trampoline_kernelINS0_14default_configENS1_35radix_sort_onesweep_config_selectorIflEEZZNS1_29radix_sort_onesweep_iterationIS3_Lb0EPfS7_N6thrust23THRUST_200600_302600_NS10device_ptrIlEESB_jNS0_19identity_decomposerENS1_16block_id_wrapperIjLb0EEEEE10hipError_tT1_PNSt15iterator_traitsISG_E10value_typeET2_T3_PNSH_ISM_E10value_typeET4_T5_PSR_SS_PNS1_23onesweep_lookback_stateEbbT6_jjT7_P12ihipStream_tbENKUlT_T0_SG_SL_E_clIS7_S7_SB_SB_EEDaSZ_S10_SG_SL_EUlSZ_E_NS1_11comp_targetILNS1_3genE2ELNS1_11target_archE906ELNS1_3gpuE6ELNS1_3repE0EEENS1_47radix_sort_onesweep_sort_config_static_selectorELNS0_4arch9wavefront6targetE1EEEvSG_
	.globl	_ZN7rocprim17ROCPRIM_400000_NS6detail17trampoline_kernelINS0_14default_configENS1_35radix_sort_onesweep_config_selectorIflEEZZNS1_29radix_sort_onesweep_iterationIS3_Lb0EPfS7_N6thrust23THRUST_200600_302600_NS10device_ptrIlEESB_jNS0_19identity_decomposerENS1_16block_id_wrapperIjLb0EEEEE10hipError_tT1_PNSt15iterator_traitsISG_E10value_typeET2_T3_PNSH_ISM_E10value_typeET4_T5_PSR_SS_PNS1_23onesweep_lookback_stateEbbT6_jjT7_P12ihipStream_tbENKUlT_T0_SG_SL_E_clIS7_S7_SB_SB_EEDaSZ_S10_SG_SL_EUlSZ_E_NS1_11comp_targetILNS1_3genE2ELNS1_11target_archE906ELNS1_3gpuE6ELNS1_3repE0EEENS1_47radix_sort_onesweep_sort_config_static_selectorELNS0_4arch9wavefront6targetE1EEEvSG_
	.p2align	8
	.type	_ZN7rocprim17ROCPRIM_400000_NS6detail17trampoline_kernelINS0_14default_configENS1_35radix_sort_onesweep_config_selectorIflEEZZNS1_29radix_sort_onesweep_iterationIS3_Lb0EPfS7_N6thrust23THRUST_200600_302600_NS10device_ptrIlEESB_jNS0_19identity_decomposerENS1_16block_id_wrapperIjLb0EEEEE10hipError_tT1_PNSt15iterator_traitsISG_E10value_typeET2_T3_PNSH_ISM_E10value_typeET4_T5_PSR_SS_PNS1_23onesweep_lookback_stateEbbT6_jjT7_P12ihipStream_tbENKUlT_T0_SG_SL_E_clIS7_S7_SB_SB_EEDaSZ_S10_SG_SL_EUlSZ_E_NS1_11comp_targetILNS1_3genE2ELNS1_11target_archE906ELNS1_3gpuE6ELNS1_3repE0EEENS1_47radix_sort_onesweep_sort_config_static_selectorELNS0_4arch9wavefront6targetE1EEEvSG_,@function
_ZN7rocprim17ROCPRIM_400000_NS6detail17trampoline_kernelINS0_14default_configENS1_35radix_sort_onesweep_config_selectorIflEEZZNS1_29radix_sort_onesweep_iterationIS3_Lb0EPfS7_N6thrust23THRUST_200600_302600_NS10device_ptrIlEESB_jNS0_19identity_decomposerENS1_16block_id_wrapperIjLb0EEEEE10hipError_tT1_PNSt15iterator_traitsISG_E10value_typeET2_T3_PNSH_ISM_E10value_typeET4_T5_PSR_SS_PNS1_23onesweep_lookback_stateEbbT6_jjT7_P12ihipStream_tbENKUlT_T0_SG_SL_E_clIS7_S7_SB_SB_EEDaSZ_S10_SG_SL_EUlSZ_E_NS1_11comp_targetILNS1_3genE2ELNS1_11target_archE906ELNS1_3gpuE6ELNS1_3repE0EEENS1_47radix_sort_onesweep_sort_config_static_selectorELNS0_4arch9wavefront6targetE1EEEvSG_: ; @_ZN7rocprim17ROCPRIM_400000_NS6detail17trampoline_kernelINS0_14default_configENS1_35radix_sort_onesweep_config_selectorIflEEZZNS1_29radix_sort_onesweep_iterationIS3_Lb0EPfS7_N6thrust23THRUST_200600_302600_NS10device_ptrIlEESB_jNS0_19identity_decomposerENS1_16block_id_wrapperIjLb0EEEEE10hipError_tT1_PNSt15iterator_traitsISG_E10value_typeET2_T3_PNSH_ISM_E10value_typeET4_T5_PSR_SS_PNS1_23onesweep_lookback_stateEbbT6_jjT7_P12ihipStream_tbENKUlT_T0_SG_SL_E_clIS7_S7_SB_SB_EEDaSZ_S10_SG_SL_EUlSZ_E_NS1_11comp_targetILNS1_3genE2ELNS1_11target_archE906ELNS1_3gpuE6ELNS1_3repE0EEENS1_47radix_sort_onesweep_sort_config_static_selectorELNS0_4arch9wavefront6targetE1EEEvSG_
; %bb.0:
	.section	.rodata,"a",@progbits
	.p2align	6, 0x0
	.amdhsa_kernel _ZN7rocprim17ROCPRIM_400000_NS6detail17trampoline_kernelINS0_14default_configENS1_35radix_sort_onesweep_config_selectorIflEEZZNS1_29radix_sort_onesweep_iterationIS3_Lb0EPfS7_N6thrust23THRUST_200600_302600_NS10device_ptrIlEESB_jNS0_19identity_decomposerENS1_16block_id_wrapperIjLb0EEEEE10hipError_tT1_PNSt15iterator_traitsISG_E10value_typeET2_T3_PNSH_ISM_E10value_typeET4_T5_PSR_SS_PNS1_23onesweep_lookback_stateEbbT6_jjT7_P12ihipStream_tbENKUlT_T0_SG_SL_E_clIS7_S7_SB_SB_EEDaSZ_S10_SG_SL_EUlSZ_E_NS1_11comp_targetILNS1_3genE2ELNS1_11target_archE906ELNS1_3gpuE6ELNS1_3repE0EEENS1_47radix_sort_onesweep_sort_config_static_selectorELNS0_4arch9wavefront6targetE1EEEvSG_
		.amdhsa_group_segment_fixed_size 0
		.amdhsa_private_segment_fixed_size 0
		.amdhsa_kernarg_size 88
		.amdhsa_user_sgpr_count 6
		.amdhsa_user_sgpr_private_segment_buffer 1
		.amdhsa_user_sgpr_dispatch_ptr 0
		.amdhsa_user_sgpr_queue_ptr 0
		.amdhsa_user_sgpr_kernarg_segment_ptr 1
		.amdhsa_user_sgpr_dispatch_id 0
		.amdhsa_user_sgpr_flat_scratch_init 0
		.amdhsa_user_sgpr_kernarg_preload_length 0
		.amdhsa_user_sgpr_kernarg_preload_offset 0
		.amdhsa_user_sgpr_private_segment_size 0
		.amdhsa_uses_dynamic_stack 0
		.amdhsa_system_sgpr_private_segment_wavefront_offset 0
		.amdhsa_system_sgpr_workgroup_id_x 1
		.amdhsa_system_sgpr_workgroup_id_y 0
		.amdhsa_system_sgpr_workgroup_id_z 0
		.amdhsa_system_sgpr_workgroup_info 0
		.amdhsa_system_vgpr_workitem_id 0
		.amdhsa_next_free_vgpr 1
		.amdhsa_next_free_sgpr 0
		.amdhsa_accum_offset 4
		.amdhsa_reserve_vcc 0
		.amdhsa_reserve_flat_scratch 0
		.amdhsa_float_round_mode_32 0
		.amdhsa_float_round_mode_16_64 0
		.amdhsa_float_denorm_mode_32 3
		.amdhsa_float_denorm_mode_16_64 3
		.amdhsa_dx10_clamp 1
		.amdhsa_ieee_mode 1
		.amdhsa_fp16_overflow 0
		.amdhsa_tg_split 0
		.amdhsa_exception_fp_ieee_invalid_op 0
		.amdhsa_exception_fp_denorm_src 0
		.amdhsa_exception_fp_ieee_div_zero 0
		.amdhsa_exception_fp_ieee_overflow 0
		.amdhsa_exception_fp_ieee_underflow 0
		.amdhsa_exception_fp_ieee_inexact 0
		.amdhsa_exception_int_div_zero 0
	.end_amdhsa_kernel
	.section	.text._ZN7rocprim17ROCPRIM_400000_NS6detail17trampoline_kernelINS0_14default_configENS1_35radix_sort_onesweep_config_selectorIflEEZZNS1_29radix_sort_onesweep_iterationIS3_Lb0EPfS7_N6thrust23THRUST_200600_302600_NS10device_ptrIlEESB_jNS0_19identity_decomposerENS1_16block_id_wrapperIjLb0EEEEE10hipError_tT1_PNSt15iterator_traitsISG_E10value_typeET2_T3_PNSH_ISM_E10value_typeET4_T5_PSR_SS_PNS1_23onesweep_lookback_stateEbbT6_jjT7_P12ihipStream_tbENKUlT_T0_SG_SL_E_clIS7_S7_SB_SB_EEDaSZ_S10_SG_SL_EUlSZ_E_NS1_11comp_targetILNS1_3genE2ELNS1_11target_archE906ELNS1_3gpuE6ELNS1_3repE0EEENS1_47radix_sort_onesweep_sort_config_static_selectorELNS0_4arch9wavefront6targetE1EEEvSG_,"axG",@progbits,_ZN7rocprim17ROCPRIM_400000_NS6detail17trampoline_kernelINS0_14default_configENS1_35radix_sort_onesweep_config_selectorIflEEZZNS1_29radix_sort_onesweep_iterationIS3_Lb0EPfS7_N6thrust23THRUST_200600_302600_NS10device_ptrIlEESB_jNS0_19identity_decomposerENS1_16block_id_wrapperIjLb0EEEEE10hipError_tT1_PNSt15iterator_traitsISG_E10value_typeET2_T3_PNSH_ISM_E10value_typeET4_T5_PSR_SS_PNS1_23onesweep_lookback_stateEbbT6_jjT7_P12ihipStream_tbENKUlT_T0_SG_SL_E_clIS7_S7_SB_SB_EEDaSZ_S10_SG_SL_EUlSZ_E_NS1_11comp_targetILNS1_3genE2ELNS1_11target_archE906ELNS1_3gpuE6ELNS1_3repE0EEENS1_47radix_sort_onesweep_sort_config_static_selectorELNS0_4arch9wavefront6targetE1EEEvSG_,comdat
.Lfunc_end1864:
	.size	_ZN7rocprim17ROCPRIM_400000_NS6detail17trampoline_kernelINS0_14default_configENS1_35radix_sort_onesweep_config_selectorIflEEZZNS1_29radix_sort_onesweep_iterationIS3_Lb0EPfS7_N6thrust23THRUST_200600_302600_NS10device_ptrIlEESB_jNS0_19identity_decomposerENS1_16block_id_wrapperIjLb0EEEEE10hipError_tT1_PNSt15iterator_traitsISG_E10value_typeET2_T3_PNSH_ISM_E10value_typeET4_T5_PSR_SS_PNS1_23onesweep_lookback_stateEbbT6_jjT7_P12ihipStream_tbENKUlT_T0_SG_SL_E_clIS7_S7_SB_SB_EEDaSZ_S10_SG_SL_EUlSZ_E_NS1_11comp_targetILNS1_3genE2ELNS1_11target_archE906ELNS1_3gpuE6ELNS1_3repE0EEENS1_47radix_sort_onesweep_sort_config_static_selectorELNS0_4arch9wavefront6targetE1EEEvSG_, .Lfunc_end1864-_ZN7rocprim17ROCPRIM_400000_NS6detail17trampoline_kernelINS0_14default_configENS1_35radix_sort_onesweep_config_selectorIflEEZZNS1_29radix_sort_onesweep_iterationIS3_Lb0EPfS7_N6thrust23THRUST_200600_302600_NS10device_ptrIlEESB_jNS0_19identity_decomposerENS1_16block_id_wrapperIjLb0EEEEE10hipError_tT1_PNSt15iterator_traitsISG_E10value_typeET2_T3_PNSH_ISM_E10value_typeET4_T5_PSR_SS_PNS1_23onesweep_lookback_stateEbbT6_jjT7_P12ihipStream_tbENKUlT_T0_SG_SL_E_clIS7_S7_SB_SB_EEDaSZ_S10_SG_SL_EUlSZ_E_NS1_11comp_targetILNS1_3genE2ELNS1_11target_archE906ELNS1_3gpuE6ELNS1_3repE0EEENS1_47radix_sort_onesweep_sort_config_static_selectorELNS0_4arch9wavefront6targetE1EEEvSG_
                                        ; -- End function
	.section	.AMDGPU.csdata,"",@progbits
; Kernel info:
; codeLenInByte = 0
; NumSgprs: 4
; NumVgprs: 0
; NumAgprs: 0
; TotalNumVgprs: 0
; ScratchSize: 0
; MemoryBound: 0
; FloatMode: 240
; IeeeMode: 1
; LDSByteSize: 0 bytes/workgroup (compile time only)
; SGPRBlocks: 0
; VGPRBlocks: 0
; NumSGPRsForWavesPerEU: 4
; NumVGPRsForWavesPerEU: 1
; AccumOffset: 4
; Occupancy: 8
; WaveLimiterHint : 0
; COMPUTE_PGM_RSRC2:SCRATCH_EN: 0
; COMPUTE_PGM_RSRC2:USER_SGPR: 6
; COMPUTE_PGM_RSRC2:TRAP_HANDLER: 0
; COMPUTE_PGM_RSRC2:TGID_X_EN: 1
; COMPUTE_PGM_RSRC2:TGID_Y_EN: 0
; COMPUTE_PGM_RSRC2:TGID_Z_EN: 0
; COMPUTE_PGM_RSRC2:TIDIG_COMP_CNT: 0
; COMPUTE_PGM_RSRC3_GFX90A:ACCUM_OFFSET: 0
; COMPUTE_PGM_RSRC3_GFX90A:TG_SPLIT: 0
	.section	.text._ZN7rocprim17ROCPRIM_400000_NS6detail17trampoline_kernelINS0_14default_configENS1_35radix_sort_onesweep_config_selectorIflEEZZNS1_29radix_sort_onesweep_iterationIS3_Lb0EPfS7_N6thrust23THRUST_200600_302600_NS10device_ptrIlEESB_jNS0_19identity_decomposerENS1_16block_id_wrapperIjLb0EEEEE10hipError_tT1_PNSt15iterator_traitsISG_E10value_typeET2_T3_PNSH_ISM_E10value_typeET4_T5_PSR_SS_PNS1_23onesweep_lookback_stateEbbT6_jjT7_P12ihipStream_tbENKUlT_T0_SG_SL_E_clIS7_S7_SB_SB_EEDaSZ_S10_SG_SL_EUlSZ_E_NS1_11comp_targetILNS1_3genE4ELNS1_11target_archE910ELNS1_3gpuE8ELNS1_3repE0EEENS1_47radix_sort_onesweep_sort_config_static_selectorELNS0_4arch9wavefront6targetE1EEEvSG_,"axG",@progbits,_ZN7rocprim17ROCPRIM_400000_NS6detail17trampoline_kernelINS0_14default_configENS1_35radix_sort_onesweep_config_selectorIflEEZZNS1_29radix_sort_onesweep_iterationIS3_Lb0EPfS7_N6thrust23THRUST_200600_302600_NS10device_ptrIlEESB_jNS0_19identity_decomposerENS1_16block_id_wrapperIjLb0EEEEE10hipError_tT1_PNSt15iterator_traitsISG_E10value_typeET2_T3_PNSH_ISM_E10value_typeET4_T5_PSR_SS_PNS1_23onesweep_lookback_stateEbbT6_jjT7_P12ihipStream_tbENKUlT_T0_SG_SL_E_clIS7_S7_SB_SB_EEDaSZ_S10_SG_SL_EUlSZ_E_NS1_11comp_targetILNS1_3genE4ELNS1_11target_archE910ELNS1_3gpuE8ELNS1_3repE0EEENS1_47radix_sort_onesweep_sort_config_static_selectorELNS0_4arch9wavefront6targetE1EEEvSG_,comdat
	.protected	_ZN7rocprim17ROCPRIM_400000_NS6detail17trampoline_kernelINS0_14default_configENS1_35radix_sort_onesweep_config_selectorIflEEZZNS1_29radix_sort_onesweep_iterationIS3_Lb0EPfS7_N6thrust23THRUST_200600_302600_NS10device_ptrIlEESB_jNS0_19identity_decomposerENS1_16block_id_wrapperIjLb0EEEEE10hipError_tT1_PNSt15iterator_traitsISG_E10value_typeET2_T3_PNSH_ISM_E10value_typeET4_T5_PSR_SS_PNS1_23onesweep_lookback_stateEbbT6_jjT7_P12ihipStream_tbENKUlT_T0_SG_SL_E_clIS7_S7_SB_SB_EEDaSZ_S10_SG_SL_EUlSZ_E_NS1_11comp_targetILNS1_3genE4ELNS1_11target_archE910ELNS1_3gpuE8ELNS1_3repE0EEENS1_47radix_sort_onesweep_sort_config_static_selectorELNS0_4arch9wavefront6targetE1EEEvSG_ ; -- Begin function _ZN7rocprim17ROCPRIM_400000_NS6detail17trampoline_kernelINS0_14default_configENS1_35radix_sort_onesweep_config_selectorIflEEZZNS1_29radix_sort_onesweep_iterationIS3_Lb0EPfS7_N6thrust23THRUST_200600_302600_NS10device_ptrIlEESB_jNS0_19identity_decomposerENS1_16block_id_wrapperIjLb0EEEEE10hipError_tT1_PNSt15iterator_traitsISG_E10value_typeET2_T3_PNSH_ISM_E10value_typeET4_T5_PSR_SS_PNS1_23onesweep_lookback_stateEbbT6_jjT7_P12ihipStream_tbENKUlT_T0_SG_SL_E_clIS7_S7_SB_SB_EEDaSZ_S10_SG_SL_EUlSZ_E_NS1_11comp_targetILNS1_3genE4ELNS1_11target_archE910ELNS1_3gpuE8ELNS1_3repE0EEENS1_47radix_sort_onesweep_sort_config_static_selectorELNS0_4arch9wavefront6targetE1EEEvSG_
	.globl	_ZN7rocprim17ROCPRIM_400000_NS6detail17trampoline_kernelINS0_14default_configENS1_35radix_sort_onesweep_config_selectorIflEEZZNS1_29radix_sort_onesweep_iterationIS3_Lb0EPfS7_N6thrust23THRUST_200600_302600_NS10device_ptrIlEESB_jNS0_19identity_decomposerENS1_16block_id_wrapperIjLb0EEEEE10hipError_tT1_PNSt15iterator_traitsISG_E10value_typeET2_T3_PNSH_ISM_E10value_typeET4_T5_PSR_SS_PNS1_23onesweep_lookback_stateEbbT6_jjT7_P12ihipStream_tbENKUlT_T0_SG_SL_E_clIS7_S7_SB_SB_EEDaSZ_S10_SG_SL_EUlSZ_E_NS1_11comp_targetILNS1_3genE4ELNS1_11target_archE910ELNS1_3gpuE8ELNS1_3repE0EEENS1_47radix_sort_onesweep_sort_config_static_selectorELNS0_4arch9wavefront6targetE1EEEvSG_
	.p2align	8
	.type	_ZN7rocprim17ROCPRIM_400000_NS6detail17trampoline_kernelINS0_14default_configENS1_35radix_sort_onesweep_config_selectorIflEEZZNS1_29radix_sort_onesweep_iterationIS3_Lb0EPfS7_N6thrust23THRUST_200600_302600_NS10device_ptrIlEESB_jNS0_19identity_decomposerENS1_16block_id_wrapperIjLb0EEEEE10hipError_tT1_PNSt15iterator_traitsISG_E10value_typeET2_T3_PNSH_ISM_E10value_typeET4_T5_PSR_SS_PNS1_23onesweep_lookback_stateEbbT6_jjT7_P12ihipStream_tbENKUlT_T0_SG_SL_E_clIS7_S7_SB_SB_EEDaSZ_S10_SG_SL_EUlSZ_E_NS1_11comp_targetILNS1_3genE4ELNS1_11target_archE910ELNS1_3gpuE8ELNS1_3repE0EEENS1_47radix_sort_onesweep_sort_config_static_selectorELNS0_4arch9wavefront6targetE1EEEvSG_,@function
_ZN7rocprim17ROCPRIM_400000_NS6detail17trampoline_kernelINS0_14default_configENS1_35radix_sort_onesweep_config_selectorIflEEZZNS1_29radix_sort_onesweep_iterationIS3_Lb0EPfS7_N6thrust23THRUST_200600_302600_NS10device_ptrIlEESB_jNS0_19identity_decomposerENS1_16block_id_wrapperIjLb0EEEEE10hipError_tT1_PNSt15iterator_traitsISG_E10value_typeET2_T3_PNSH_ISM_E10value_typeET4_T5_PSR_SS_PNS1_23onesweep_lookback_stateEbbT6_jjT7_P12ihipStream_tbENKUlT_T0_SG_SL_E_clIS7_S7_SB_SB_EEDaSZ_S10_SG_SL_EUlSZ_E_NS1_11comp_targetILNS1_3genE4ELNS1_11target_archE910ELNS1_3gpuE8ELNS1_3repE0EEENS1_47radix_sort_onesweep_sort_config_static_selectorELNS0_4arch9wavefront6targetE1EEEvSG_: ; @_ZN7rocprim17ROCPRIM_400000_NS6detail17trampoline_kernelINS0_14default_configENS1_35radix_sort_onesweep_config_selectorIflEEZZNS1_29radix_sort_onesweep_iterationIS3_Lb0EPfS7_N6thrust23THRUST_200600_302600_NS10device_ptrIlEESB_jNS0_19identity_decomposerENS1_16block_id_wrapperIjLb0EEEEE10hipError_tT1_PNSt15iterator_traitsISG_E10value_typeET2_T3_PNSH_ISM_E10value_typeET4_T5_PSR_SS_PNS1_23onesweep_lookback_stateEbbT6_jjT7_P12ihipStream_tbENKUlT_T0_SG_SL_E_clIS7_S7_SB_SB_EEDaSZ_S10_SG_SL_EUlSZ_E_NS1_11comp_targetILNS1_3genE4ELNS1_11target_archE910ELNS1_3gpuE8ELNS1_3repE0EEENS1_47radix_sort_onesweep_sort_config_static_selectorELNS0_4arch9wavefront6targetE1EEEvSG_
; %bb.0:
	s_load_dwordx8 s[36:43], s[4:5], 0x0
	s_load_dwordx4 s[44:47], s[4:5], 0x44
	s_load_dwordx4 s[28:31], s[4:5], 0x28
	s_load_dwordx2 s[34:35], s[4:5], 0x38
	v_mbcnt_lo_u32_b32 v1, -1, 0
	s_waitcnt lgkmcnt(0)
	s_cmp_ge_u32 s6, s46
	s_cbranch_scc0 .LBB1865_63
; %bb.1:
	s_load_dword s0, s[4:5], 0x20
	s_lshl_b32 s1, s46, 13
	s_lshl_b32 s46, s6, 13
	s_mov_b32 s47, 0
	v_mbcnt_hi_u32_b32 v19, -1, v1
	s_waitcnt lgkmcnt(0)
	s_sub_i32 s7, s0, s1
	s_lshl_b64 s[0:1], s[46:47], 2
	v_and_b32_e32 v10, 0x3ff, v0
	s_add_u32 s0, s36, s0
	v_and_b32_e32 v17, 63, v19
	s_addc_u32 s1, s37, s1
	v_lshlrev_b32_e32 v11, 3, v10
	v_lshlrev_b32_e32 v2, 2, v17
	v_and_b32_e32 v16, 0x1e00, v11
	v_mov_b32_e32 v3, s1
	v_add_co_u32_e32 v2, vcc, s0, v2
	v_addc_co_u32_e32 v3, vcc, 0, v3, vcc
	v_lshlrev_b32_e32 v4, 2, v16
	s_brev_b32 s8, -2
	v_add_co_u32_e32 v12, vcc, v2, v4
	s_mov_b32 s9, s8
	v_addc_co_u32_e32 v13, vcc, 0, v3, vcc
	v_or_b32_e32 v14, v17, v16
	s_mov_b32 s10, s8
	s_mov_b32 s11, s8
	;; [unrolled: 1-line block ×6, first 2 shown]
	v_pk_mov_b32 v[2:3], s[8:9], s[8:9] op_sel:[0,1]
	v_cmp_gt_u32_e64 s[0:1], s7, v14
	v_pk_mov_b32 v[4:5], s[10:11], s[10:11] op_sel:[0,1]
	v_pk_mov_b32 v[6:7], s[12:13], s[12:13] op_sel:[0,1]
	;; [unrolled: 1-line block ×3, first 2 shown]
	s_and_saveexec_b64 s[2:3], s[0:1]
	s_cbranch_execz .LBB1865_3
; %bb.2:
	global_load_dword v2, v[12:13], off
	v_bfrev_b32_e32 v3, -2
	v_mov_b32_e32 v4, v3
	v_mov_b32_e32 v5, v3
	v_mov_b32_e32 v6, v3
	v_mov_b32_e32 v7, v3
	v_mov_b32_e32 v8, v3
	v_mov_b32_e32 v9, v3
.LBB1865_3:
	s_or_b64 exec, exec, s[2:3]
	v_or_b32_e32 v15, 64, v14
	v_cmp_gt_u32_e64 s[2:3], s7, v15
	s_and_saveexec_b64 s[8:9], s[2:3]
	s_cbranch_execz .LBB1865_5
; %bb.4:
	global_load_dword v3, v[12:13], off offset:256
.LBB1865_5:
	s_or_b64 exec, exec, s[8:9]
	v_or_b32_e32 v15, 0x80, v14
	v_cmp_gt_u32_e64 s[24:25], s7, v15
	s_and_saveexec_b64 s[8:9], s[24:25]
	s_cbranch_execz .LBB1865_7
; %bb.6:
	global_load_dword v4, v[12:13], off offset:512
.LBB1865_7:
	;; [unrolled: 8-line block ×7, first 2 shown]
	s_or_b64 exec, exec, s[18:19]
	s_load_dword s18, s[4:5], 0x64
	s_load_dword s33, s[4:5], 0x58
	s_add_u32 s19, s4, 0x58
	s_addc_u32 s20, s5, 0
	v_mov_b32_e32 v12, 0
	s_waitcnt lgkmcnt(0)
	s_lshr_b32 s21, s18, 16
	s_cmp_lt_u32 s6, s33
	s_cselect_b32 s18, 12, 18
	s_add_u32 s18, s19, s18
	s_addc_u32 s19, s20, 0
	global_load_ushort v14, v12, s[18:19]
	v_bfrev_b32_e32 v20, 1
	s_waitcnt vmcnt(1)
	v_cmp_lt_i32_e32 vcc, -1, v2
	v_mul_u32_u24_e32 v18, 5, v10
	v_cndmask_b32_e32 v21, -1, v20, vcc
	s_brev_b32 s20, -2
	v_lshlrev_b32_e32 v23, 2, v18
	v_xor_b32_e32 v18, v21, v2
	v_cmp_ne_u32_e32 vcc, s20, v18
	v_cndmask_b32_e32 v2, v20, v18, vcc
	s_lshl_b32 s18, -1, s45
	v_lshrrev_b32_e32 v2, s44, v2
	s_not_b32 s50, s18
	v_and_b32_e32 v2, s50, v2
	v_and_b32_e32 v22, 1, v2
	v_bfe_u32 v13, v0, 10, 10
	v_bfe_u32 v15, v0, 20, 10
	v_add_co_u32_e32 v24, vcc, -1, v22
	v_mad_u32_u24 v15, v15, s21, v13
	v_lshlrev_b32_e32 v13, 30, v2
	v_addc_co_u32_e64 v25, s[18:19], 0, -1, vcc
	v_cmp_ne_u32_e32 vcc, 0, v22
	v_cmp_gt_i64_e64 s[18:19], 0, v[12:13]
	v_not_b32_e32 v22, v13
	v_lshlrev_b32_e32 v13, 29, v2
	v_xor_b32_e32 v25, vcc_hi, v25
	v_xor_b32_e32 v24, vcc_lo, v24
	v_ashrrev_i32_e32 v22, 31, v22
	v_cmp_gt_i64_e32 vcc, 0, v[12:13]
	v_not_b32_e32 v26, v13
	v_lshlrev_b32_e32 v13, 28, v2
	v_and_b32_e32 v25, exec_hi, v25
	v_and_b32_e32 v24, exec_lo, v24
	v_xor_b32_e32 v27, s19, v22
	v_xor_b32_e32 v22, s18, v22
	v_ashrrev_i32_e32 v26, 31, v26
	v_cmp_gt_i64_e64 s[18:19], 0, v[12:13]
	v_not_b32_e32 v28, v13
	v_lshlrev_b32_e32 v13, 27, v2
	v_and_b32_e32 v25, v25, v27
	v_and_b32_e32 v22, v24, v22
	v_xor_b32_e32 v24, vcc_hi, v26
	v_xor_b32_e32 v26, vcc_lo, v26
	v_ashrrev_i32_e32 v27, 31, v28
	v_cmp_gt_i64_e32 vcc, 0, v[12:13]
	v_not_b32_e32 v28, v13
	v_lshlrev_b32_e32 v13, 26, v2
	v_and_b32_e32 v24, v25, v24
	v_and_b32_e32 v22, v22, v26
	v_xor_b32_e32 v25, s19, v27
	v_xor_b32_e32 v26, s18, v27
	v_ashrrev_i32_e32 v27, 31, v28
	v_cmp_gt_i64_e64 s[18:19], 0, v[12:13]
	v_not_b32_e32 v28, v13
	v_lshlrev_b32_e32 v13, 25, v2
	v_and_b32_e32 v24, v24, v25
	v_and_b32_e32 v22, v22, v26
	v_xor_b32_e32 v25, vcc_hi, v27
	v_xor_b32_e32 v26, vcc_lo, v27
	v_ashrrev_i32_e32 v27, 31, v28
	v_cmp_gt_i64_e32 vcc, 0, v[12:13]
	v_not_b32_e32 v13, v13
	v_and_b32_e32 v24, v24, v25
	v_and_b32_e32 v22, v22, v26
	v_xor_b32_e32 v25, s19, v27
	v_xor_b32_e32 v26, s18, v27
	v_ashrrev_i32_e32 v13, 31, v13
	v_lshl_add_u32 v21, v2, 4, v2
	v_and_b32_e32 v22, v22, v26
	v_xor_b32_e32 v26, vcc_hi, v13
	v_xor_b32_e32 v13, vcc_lo, v13
	v_and_b32_e32 v24, v24, v25
	ds_write2_b32 v23, v12, v12 offset0:16 offset1:17
	ds_write2_b32 v23, v12, v12 offset0:18 offset1:19
	ds_write_b32 v23, v12 offset:80
	s_waitcnt lgkmcnt(0)
	s_barrier
	s_waitcnt lgkmcnt(0)
	; wave barrier
	s_waitcnt vmcnt(0)
	v_mad_u64_u32 v[14:15], s[18:19], v15, v14, v[10:11]
	v_lshrrev_b32_e32 v42, 6, v14
	v_add_lshl_u32 v25, v21, v42, 2
	v_and_b32_e32 v21, v22, v13
	v_lshlrev_b32_e32 v13, 24, v2
	v_not_b32_e32 v2, v13
	v_cmp_gt_i64_e32 vcc, 0, v[12:13]
	v_ashrrev_i32_e32 v2, 31, v2
	v_and_b32_e32 v14, v24, v26
	v_xor_b32_e32 v13, vcc_hi, v2
	v_xor_b32_e32 v2, vcc_lo, v2
	v_and_b32_e32 v15, v14, v13
	v_and_b32_e32 v14, v21, v2
	v_mbcnt_lo_u32_b32 v2, v14, 0
	v_mbcnt_hi_u32_b32 v22, v15, v2
	v_cmp_eq_u32_e32 vcc, 0, v22
	v_cmp_ne_u64_e64 s[18:19], 0, v[14:15]
	s_and_b64 s[22:23], s[18:19], vcc
	s_and_saveexec_b64 s[18:19], s[22:23]
	s_cbranch_execz .LBB1865_19
; %bb.18:
	v_bcnt_u32_b32 v2, v14, 0
	v_bcnt_u32_b32 v2, v15, v2
	ds_write_b32 v25, v2 offset:64
.LBB1865_19:
	s_or_b64 exec, exec, s[18:19]
	v_cmp_lt_i32_e32 vcc, -1, v3
	v_cndmask_b32_e32 v2, -1, v20, vcc
	v_xor_b32_e32 v14, v2, v3
	v_cmp_ne_u32_e32 vcc, s20, v14
	v_cndmask_b32_e32 v2, v20, v14, vcc
	v_lshrrev_b32_e32 v2, s44, v2
	v_and_b32_e32 v2, s50, v2
	v_lshl_add_u32 v3, v2, 4, v2
	v_add_lshl_u32 v26, v3, v42, 2
	v_and_b32_e32 v3, 1, v2
	v_add_co_u32_e32 v13, vcc, -1, v3
	v_addc_co_u32_e64 v15, s[18:19], 0, -1, vcc
	v_cmp_ne_u32_e32 vcc, 0, v3
	v_xor_b32_e32 v13, vcc_lo, v13
	v_xor_b32_e32 v3, vcc_hi, v15
	v_and_b32_e32 v15, exec_lo, v13
	v_lshlrev_b32_e32 v13, 30, v2
	v_cmp_gt_i64_e32 vcc, 0, v[12:13]
	v_not_b32_e32 v13, v13
	v_ashrrev_i32_e32 v13, 31, v13
	v_xor_b32_e32 v20, vcc_hi, v13
	v_xor_b32_e32 v13, vcc_lo, v13
	v_and_b32_e32 v15, v15, v13
	v_lshlrev_b32_e32 v13, 29, v2
	v_cmp_gt_i64_e32 vcc, 0, v[12:13]
	v_not_b32_e32 v13, v13
	v_and_b32_e32 v3, exec_hi, v3
	v_ashrrev_i32_e32 v13, 31, v13
	v_and_b32_e32 v3, v3, v20
	v_xor_b32_e32 v20, vcc_hi, v13
	v_xor_b32_e32 v13, vcc_lo, v13
	v_and_b32_e32 v15, v15, v13
	v_lshlrev_b32_e32 v13, 28, v2
	v_cmp_gt_i64_e32 vcc, 0, v[12:13]
	v_not_b32_e32 v13, v13
	v_ashrrev_i32_e32 v13, 31, v13
	v_and_b32_e32 v3, v3, v20
	v_xor_b32_e32 v20, vcc_hi, v13
	v_xor_b32_e32 v13, vcc_lo, v13
	v_and_b32_e32 v15, v15, v13
	v_lshlrev_b32_e32 v13, 27, v2
	v_cmp_gt_i64_e32 vcc, 0, v[12:13]
	v_not_b32_e32 v13, v13
	;; [unrolled: 8-line block ×4, first 2 shown]
	v_ashrrev_i32_e32 v13, 31, v13
	v_and_b32_e32 v3, v3, v20
	v_xor_b32_e32 v20, vcc_hi, v13
	v_xor_b32_e32 v13, vcc_lo, v13
	v_and_b32_e32 v15, v15, v13
	v_lshlrev_b32_e32 v13, 24, v2
	v_not_b32_e32 v2, v13
	v_cmp_gt_i64_e32 vcc, 0, v[12:13]
	v_ashrrev_i32_e32 v2, 31, v2
	v_xor_b32_e32 v12, vcc_hi, v2
	v_xor_b32_e32 v2, vcc_lo, v2
	; wave barrier
	ds_read_b32 v30, v26 offset:64
	v_and_b32_e32 v3, v3, v20
	v_and_b32_e32 v2, v15, v2
	;; [unrolled: 1-line block ×3, first 2 shown]
	v_mbcnt_lo_u32_b32 v12, v2, 0
	v_mbcnt_hi_u32_b32 v31, v3, v12
	v_cmp_eq_u32_e32 vcc, 0, v31
	v_cmp_ne_u64_e64 s[18:19], 0, v[2:3]
	s_and_b64 s[20:21], s[18:19], vcc
	; wave barrier
	s_and_saveexec_b64 s[18:19], s[20:21]
	s_cbranch_execz .LBB1865_21
; %bb.20:
	v_bcnt_u32_b32 v2, v2, 0
	v_bcnt_u32_b32 v2, v3, v2
	s_waitcnt lgkmcnt(0)
	v_add_u32_e32 v2, v30, v2
	ds_write_b32 v26, v2 offset:64
.LBB1865_21:
	s_or_b64 exec, exec, s[18:19]
	v_bfrev_b32_e32 v21, 1
	v_cmp_lt_i32_e32 vcc, -1, v4
	v_cndmask_b32_e32 v2, -1, v21, vcc
	v_xor_b32_e32 v15, v2, v4
	s_brev_b32 s20, -2
	v_cmp_ne_u32_e32 vcc, s20, v15
	v_cndmask_b32_e32 v2, v21, v15, vcc
	v_lshrrev_b32_e32 v2, s44, v2
	v_and_b32_e32 v4, s50, v2
	v_and_b32_e32 v3, 1, v4
	v_add_co_u32_e32 v12, vcc, -1, v3
	v_addc_co_u32_e64 v13, s[18:19], 0, -1, vcc
	v_cmp_ne_u32_e32 vcc, 0, v3
	v_lshl_add_u32 v2, v4, 4, v4
	v_xor_b32_e32 v3, vcc_hi, v13
	v_add_lshl_u32 v28, v2, v42, 2
	v_mov_b32_e32 v2, 0
	v_and_b32_e32 v13, exec_hi, v3
	v_lshlrev_b32_e32 v3, 30, v4
	v_xor_b32_e32 v12, vcc_lo, v12
	v_cmp_gt_i64_e32 vcc, 0, v[2:3]
	v_not_b32_e32 v3, v3
	v_ashrrev_i32_e32 v3, 31, v3
	v_and_b32_e32 v12, exec_lo, v12
	v_xor_b32_e32 v20, vcc_hi, v3
	v_xor_b32_e32 v3, vcc_lo, v3
	v_and_b32_e32 v12, v12, v3
	v_lshlrev_b32_e32 v3, 29, v4
	v_cmp_gt_i64_e32 vcc, 0, v[2:3]
	v_not_b32_e32 v3, v3
	v_ashrrev_i32_e32 v3, 31, v3
	v_and_b32_e32 v13, v13, v20
	v_xor_b32_e32 v20, vcc_hi, v3
	v_xor_b32_e32 v3, vcc_lo, v3
	v_and_b32_e32 v12, v12, v3
	v_lshlrev_b32_e32 v3, 28, v4
	v_cmp_gt_i64_e32 vcc, 0, v[2:3]
	v_not_b32_e32 v3, v3
	v_ashrrev_i32_e32 v3, 31, v3
	v_and_b32_e32 v13, v13, v20
	;; [unrolled: 8-line block ×5, first 2 shown]
	v_xor_b32_e32 v20, vcc_hi, v3
	v_xor_b32_e32 v3, vcc_lo, v3
	v_and_b32_e32 v12, v12, v3
	v_lshlrev_b32_e32 v3, 24, v4
	v_cmp_gt_i64_e32 vcc, 0, v[2:3]
	v_not_b32_e32 v3, v3
	v_ashrrev_i32_e32 v3, 31, v3
	v_xor_b32_e32 v4, vcc_hi, v3
	v_xor_b32_e32 v3, vcc_lo, v3
	; wave barrier
	ds_read_b32 v32, v28 offset:64
	v_and_b32_e32 v13, v13, v20
	v_and_b32_e32 v12, v12, v3
	;; [unrolled: 1-line block ×3, first 2 shown]
	v_mbcnt_lo_u32_b32 v3, v12, 0
	v_mbcnt_hi_u32_b32 v33, v13, v3
	v_cmp_eq_u32_e32 vcc, 0, v33
	v_cmp_ne_u64_e64 s[18:19], 0, v[12:13]
	s_and_b64 s[22:23], s[18:19], vcc
	; wave barrier
	s_and_saveexec_b64 s[18:19], s[22:23]
	s_cbranch_execz .LBB1865_23
; %bb.22:
	v_bcnt_u32_b32 v3, v12, 0
	v_bcnt_u32_b32 v3, v13, v3
	s_waitcnt lgkmcnt(0)
	v_add_u32_e32 v3, v32, v3
	ds_write_b32 v28, v3 offset:64
.LBB1865_23:
	s_or_b64 exec, exec, s[18:19]
	v_cmp_lt_i32_e32 vcc, -1, v5
	v_cndmask_b32_e32 v3, -1, v21, vcc
	v_xor_b32_e32 v20, v3, v5
	v_cmp_ne_u32_e32 vcc, s20, v20
	v_cndmask_b32_e32 v3, v21, v20, vcc
	v_lshrrev_b32_e32 v3, s44, v3
	v_and_b32_e32 v4, s50, v3
	v_lshl_add_u32 v3, v4, 4, v4
	v_add_lshl_u32 v12, v3, v42, 2
	v_and_b32_e32 v3, 1, v4
	v_add_co_u32_e32 v5, vcc, -1, v3
	v_addc_co_u32_e64 v13, s[18:19], 0, -1, vcc
	v_cmp_ne_u32_e32 vcc, 0, v3
	v_xor_b32_e32 v3, vcc_hi, v13
	v_and_b32_e32 v13, exec_hi, v3
	v_lshlrev_b32_e32 v3, 30, v4
	v_xor_b32_e32 v5, vcc_lo, v5
	v_cmp_gt_i64_e32 vcc, 0, v[2:3]
	v_not_b32_e32 v3, v3
	v_ashrrev_i32_e32 v3, 31, v3
	v_and_b32_e32 v5, exec_lo, v5
	v_xor_b32_e32 v21, vcc_hi, v3
	v_xor_b32_e32 v3, vcc_lo, v3
	v_and_b32_e32 v5, v5, v3
	v_lshlrev_b32_e32 v3, 29, v4
	v_cmp_gt_i64_e32 vcc, 0, v[2:3]
	v_not_b32_e32 v3, v3
	v_ashrrev_i32_e32 v3, 31, v3
	v_and_b32_e32 v13, v13, v21
	v_xor_b32_e32 v21, vcc_hi, v3
	v_xor_b32_e32 v3, vcc_lo, v3
	v_and_b32_e32 v5, v5, v3
	v_lshlrev_b32_e32 v3, 28, v4
	v_cmp_gt_i64_e32 vcc, 0, v[2:3]
	v_not_b32_e32 v3, v3
	v_ashrrev_i32_e32 v3, 31, v3
	v_and_b32_e32 v13, v13, v21
	;; [unrolled: 8-line block ×5, first 2 shown]
	v_xor_b32_e32 v21, vcc_hi, v3
	v_xor_b32_e32 v3, vcc_lo, v3
	v_and_b32_e32 v5, v5, v3
	v_lshlrev_b32_e32 v3, 24, v4
	v_cmp_gt_i64_e32 vcc, 0, v[2:3]
	v_not_b32_e32 v2, v3
	v_ashrrev_i32_e32 v2, 31, v2
	v_xor_b32_e32 v3, vcc_hi, v2
	v_xor_b32_e32 v2, vcc_lo, v2
	; wave barrier
	ds_read_b32 v34, v12 offset:64
	v_and_b32_e32 v13, v13, v21
	v_and_b32_e32 v2, v5, v2
	;; [unrolled: 1-line block ×3, first 2 shown]
	v_mbcnt_lo_u32_b32 v4, v2, 0
	v_mbcnt_hi_u32_b32 v35, v3, v4
	v_cmp_eq_u32_e32 vcc, 0, v35
	v_cmp_ne_u64_e64 s[18:19], 0, v[2:3]
	s_and_b64 s[20:21], s[18:19], vcc
	; wave barrier
	s_and_saveexec_b64 s[18:19], s[20:21]
	s_cbranch_execz .LBB1865_25
; %bb.24:
	v_bcnt_u32_b32 v2, v2, 0
	v_bcnt_u32_b32 v2, v3, v2
	s_waitcnt lgkmcnt(0)
	v_add_u32_e32 v2, v34, v2
	ds_write_b32 v12, v2 offset:64
.LBB1865_25:
	s_or_b64 exec, exec, s[18:19]
	v_bfrev_b32_e32 v13, 1
	v_cmp_lt_i32_e32 vcc, -1, v6
	v_cndmask_b32_e32 v2, -1, v13, vcc
	v_xor_b32_e32 v21, v2, v6
	s_brev_b32 s20, -2
	v_cmp_ne_u32_e32 vcc, s20, v21
	v_cndmask_b32_e32 v2, v13, v21, vcc
	v_lshrrev_b32_e32 v2, s44, v2
	v_and_b32_e32 v4, s50, v2
	v_and_b32_e32 v3, 1, v4
	v_add_co_u32_e32 v5, vcc, -1, v3
	v_addc_co_u32_e64 v24, s[18:19], 0, -1, vcc
	v_cmp_ne_u32_e32 vcc, 0, v3
	v_lshl_add_u32 v2, v4, 4, v4
	v_xor_b32_e32 v3, vcc_hi, v24
	v_add_lshl_u32 v6, v2, v42, 2
	v_mov_b32_e32 v2, 0
	v_and_b32_e32 v24, exec_hi, v3
	v_lshlrev_b32_e32 v3, 30, v4
	v_xor_b32_e32 v5, vcc_lo, v5
	v_cmp_gt_i64_e32 vcc, 0, v[2:3]
	v_not_b32_e32 v3, v3
	v_ashrrev_i32_e32 v3, 31, v3
	v_and_b32_e32 v5, exec_lo, v5
	v_xor_b32_e32 v27, vcc_hi, v3
	v_xor_b32_e32 v3, vcc_lo, v3
	v_and_b32_e32 v5, v5, v3
	v_lshlrev_b32_e32 v3, 29, v4
	v_cmp_gt_i64_e32 vcc, 0, v[2:3]
	v_not_b32_e32 v3, v3
	v_ashrrev_i32_e32 v3, 31, v3
	v_and_b32_e32 v24, v24, v27
	v_xor_b32_e32 v27, vcc_hi, v3
	v_xor_b32_e32 v3, vcc_lo, v3
	v_and_b32_e32 v5, v5, v3
	v_lshlrev_b32_e32 v3, 28, v4
	v_cmp_gt_i64_e32 vcc, 0, v[2:3]
	v_not_b32_e32 v3, v3
	v_ashrrev_i32_e32 v3, 31, v3
	v_and_b32_e32 v24, v24, v27
	v_xor_b32_e32 v27, vcc_hi, v3
	v_xor_b32_e32 v3, vcc_lo, v3
	v_and_b32_e32 v5, v5, v3
	v_lshlrev_b32_e32 v3, 27, v4
	v_cmp_gt_i64_e32 vcc, 0, v[2:3]
	v_not_b32_e32 v3, v3
	v_ashrrev_i32_e32 v3, 31, v3
	v_and_b32_e32 v24, v24, v27
	v_xor_b32_e32 v27, vcc_hi, v3
	v_xor_b32_e32 v3, vcc_lo, v3
	v_and_b32_e32 v5, v5, v3
	v_lshlrev_b32_e32 v3, 26, v4
	v_cmp_gt_i64_e32 vcc, 0, v[2:3]
	v_not_b32_e32 v3, v3
	v_ashrrev_i32_e32 v3, 31, v3
	v_and_b32_e32 v24, v24, v27
	v_xor_b32_e32 v27, vcc_hi, v3
	v_xor_b32_e32 v3, vcc_lo, v3
	v_and_b32_e32 v5, v5, v3
	v_lshlrev_b32_e32 v3, 25, v4
	v_cmp_gt_i64_e32 vcc, 0, v[2:3]
	v_not_b32_e32 v3, v3
	v_ashrrev_i32_e32 v3, 31, v3
	v_and_b32_e32 v24, v24, v27
	v_xor_b32_e32 v27, vcc_hi, v3
	v_xor_b32_e32 v3, vcc_lo, v3
	v_and_b32_e32 v24, v24, v27
	v_and_b32_e32 v27, v5, v3
	v_lshlrev_b32_e32 v3, 24, v4
	v_cmp_gt_i64_e32 vcc, 0, v[2:3]
	v_not_b32_e32 v3, v3
	v_ashrrev_i32_e32 v3, 31, v3
	v_xor_b32_e32 v4, vcc_hi, v3
	v_xor_b32_e32 v3, vcc_lo, v3
	; wave barrier
	ds_read_b32 v36, v6 offset:64
	v_and_b32_e32 v5, v24, v4
	v_and_b32_e32 v4, v27, v3
	v_mbcnt_lo_u32_b32 v3, v4, 0
	v_mbcnt_hi_u32_b32 v37, v5, v3
	v_cmp_eq_u32_e32 vcc, 0, v37
	v_cmp_ne_u64_e64 s[18:19], 0, v[4:5]
	s_and_b64 s[22:23], s[18:19], vcc
	; wave barrier
	s_and_saveexec_b64 s[18:19], s[22:23]
	s_cbranch_execz .LBB1865_27
; %bb.26:
	v_bcnt_u32_b32 v3, v4, 0
	v_bcnt_u32_b32 v3, v5, v3
	s_waitcnt lgkmcnt(0)
	v_add_u32_e32 v3, v36, v3
	ds_write_b32 v6, v3 offset:64
.LBB1865_27:
	s_or_b64 exec, exec, s[18:19]
	v_cmp_lt_i32_e32 vcc, -1, v7
	v_cndmask_b32_e32 v3, -1, v13, vcc
	v_xor_b32_e32 v24, v3, v7
	v_cmp_ne_u32_e32 vcc, s20, v24
	v_cndmask_b32_e32 v3, v13, v24, vcc
	v_lshrrev_b32_e32 v3, s44, v3
	v_and_b32_e32 v4, s50, v3
	v_lshl_add_u32 v3, v4, 4, v4
	v_add_lshl_u32 v7, v3, v42, 2
	v_and_b32_e32 v3, 1, v4
	v_add_co_u32_e32 v5, vcc, -1, v3
	v_addc_co_u32_e64 v13, s[18:19], 0, -1, vcc
	v_cmp_ne_u32_e32 vcc, 0, v3
	v_xor_b32_e32 v3, vcc_hi, v13
	v_and_b32_e32 v13, exec_hi, v3
	v_lshlrev_b32_e32 v3, 30, v4
	v_xor_b32_e32 v5, vcc_lo, v5
	v_cmp_gt_i64_e32 vcc, 0, v[2:3]
	v_not_b32_e32 v3, v3
	v_ashrrev_i32_e32 v3, 31, v3
	v_and_b32_e32 v5, exec_lo, v5
	v_xor_b32_e32 v27, vcc_hi, v3
	v_xor_b32_e32 v3, vcc_lo, v3
	v_and_b32_e32 v5, v5, v3
	v_lshlrev_b32_e32 v3, 29, v4
	v_cmp_gt_i64_e32 vcc, 0, v[2:3]
	v_not_b32_e32 v3, v3
	v_ashrrev_i32_e32 v3, 31, v3
	v_and_b32_e32 v13, v13, v27
	v_xor_b32_e32 v27, vcc_hi, v3
	v_xor_b32_e32 v3, vcc_lo, v3
	v_and_b32_e32 v5, v5, v3
	v_lshlrev_b32_e32 v3, 28, v4
	v_cmp_gt_i64_e32 vcc, 0, v[2:3]
	v_not_b32_e32 v3, v3
	v_ashrrev_i32_e32 v3, 31, v3
	v_and_b32_e32 v13, v13, v27
	;; [unrolled: 8-line block ×5, first 2 shown]
	v_xor_b32_e32 v27, vcc_hi, v3
	v_xor_b32_e32 v3, vcc_lo, v3
	v_and_b32_e32 v5, v5, v3
	v_lshlrev_b32_e32 v3, 24, v4
	v_cmp_gt_i64_e32 vcc, 0, v[2:3]
	v_not_b32_e32 v2, v3
	v_ashrrev_i32_e32 v2, 31, v2
	v_xor_b32_e32 v3, vcc_hi, v2
	v_xor_b32_e32 v2, vcc_lo, v2
	; wave barrier
	ds_read_b32 v38, v7 offset:64
	v_and_b32_e32 v13, v13, v27
	v_and_b32_e32 v2, v5, v2
	;; [unrolled: 1-line block ×3, first 2 shown]
	v_mbcnt_lo_u32_b32 v4, v2, 0
	v_mbcnt_hi_u32_b32 v39, v3, v4
	v_cmp_eq_u32_e32 vcc, 0, v39
	v_cmp_ne_u64_e64 s[18:19], 0, v[2:3]
	s_and_b64 s[20:21], s[18:19], vcc
	; wave barrier
	s_and_saveexec_b64 s[18:19], s[20:21]
	s_cbranch_execz .LBB1865_29
; %bb.28:
	v_bcnt_u32_b32 v2, v2, 0
	v_bcnt_u32_b32 v2, v3, v2
	s_waitcnt lgkmcnt(0)
	v_add_u32_e32 v2, v38, v2
	ds_write_b32 v7, v2 offset:64
.LBB1865_29:
	s_or_b64 exec, exec, s[18:19]
	v_bfrev_b32_e32 v43, 1
	v_cmp_lt_i32_e32 vcc, -1, v8
	v_cndmask_b32_e32 v2, -1, v43, vcc
	v_xor_b32_e32 v27, v2, v8
	s_brev_b32 s20, -2
	v_cmp_ne_u32_e32 vcc, s20, v27
	v_cndmask_b32_e32 v2, v43, v27, vcc
	v_lshrrev_b32_e32 v2, s44, v2
	v_and_b32_e32 v4, s50, v2
	v_and_b32_e32 v3, 1, v4
	v_add_co_u32_e32 v5, vcc, -1, v3
	v_addc_co_u32_e64 v13, s[18:19], 0, -1, vcc
	v_cmp_ne_u32_e32 vcc, 0, v3
	v_lshl_add_u32 v2, v4, 4, v4
	v_xor_b32_e32 v3, vcc_hi, v13
	v_add_lshl_u32 v8, v2, v42, 2
	v_mov_b32_e32 v2, 0
	v_and_b32_e32 v13, exec_hi, v3
	v_lshlrev_b32_e32 v3, 30, v4
	v_xor_b32_e32 v5, vcc_lo, v5
	v_cmp_gt_i64_e32 vcc, 0, v[2:3]
	v_not_b32_e32 v3, v3
	v_ashrrev_i32_e32 v3, 31, v3
	v_and_b32_e32 v5, exec_lo, v5
	v_xor_b32_e32 v29, vcc_hi, v3
	v_xor_b32_e32 v3, vcc_lo, v3
	v_and_b32_e32 v5, v5, v3
	v_lshlrev_b32_e32 v3, 29, v4
	v_cmp_gt_i64_e32 vcc, 0, v[2:3]
	v_not_b32_e32 v3, v3
	v_ashrrev_i32_e32 v3, 31, v3
	v_and_b32_e32 v13, v13, v29
	v_xor_b32_e32 v29, vcc_hi, v3
	v_xor_b32_e32 v3, vcc_lo, v3
	v_and_b32_e32 v5, v5, v3
	v_lshlrev_b32_e32 v3, 28, v4
	v_cmp_gt_i64_e32 vcc, 0, v[2:3]
	v_not_b32_e32 v3, v3
	v_ashrrev_i32_e32 v3, 31, v3
	v_and_b32_e32 v13, v13, v29
	;; [unrolled: 8-line block ×5, first 2 shown]
	v_xor_b32_e32 v29, vcc_hi, v3
	v_xor_b32_e32 v3, vcc_lo, v3
	v_and_b32_e32 v13, v13, v29
	v_and_b32_e32 v29, v5, v3
	v_lshlrev_b32_e32 v3, 24, v4
	v_cmp_gt_i64_e32 vcc, 0, v[2:3]
	v_not_b32_e32 v3, v3
	v_ashrrev_i32_e32 v3, 31, v3
	v_xor_b32_e32 v4, vcc_hi, v3
	v_xor_b32_e32 v3, vcc_lo, v3
	; wave barrier
	ds_read_b32 v40, v8 offset:64
	v_and_b32_e32 v5, v13, v4
	v_and_b32_e32 v4, v29, v3
	v_mbcnt_lo_u32_b32 v3, v4, 0
	v_mbcnt_hi_u32_b32 v41, v5, v3
	v_cmp_eq_u32_e32 vcc, 0, v41
	v_cmp_ne_u64_e64 s[18:19], 0, v[4:5]
	s_and_b64 s[22:23], s[18:19], vcc
	; wave barrier
	s_and_saveexec_b64 s[18:19], s[22:23]
	s_cbranch_execz .LBB1865_31
; %bb.30:
	v_bcnt_u32_b32 v3, v4, 0
	v_bcnt_u32_b32 v3, v5, v3
	s_waitcnt lgkmcnt(0)
	v_add_u32_e32 v3, v40, v3
	ds_write_b32 v8, v3 offset:64
.LBB1865_31:
	s_or_b64 exec, exec, s[18:19]
	v_cmp_lt_i32_e32 vcc, -1, v9
	v_cndmask_b32_e32 v3, -1, v43, vcc
	v_xor_b32_e32 v29, v3, v9
	v_cmp_ne_u32_e32 vcc, s20, v29
	v_cndmask_b32_e32 v3, v43, v29, vcc
	v_lshrrev_b32_e32 v3, s44, v3
	v_and_b32_e32 v4, s50, v3
	v_lshl_add_u32 v3, v4, 4, v4
	v_add_lshl_u32 v9, v3, v42, 2
	v_and_b32_e32 v3, 1, v4
	v_add_co_u32_e32 v5, vcc, -1, v3
	v_addc_co_u32_e64 v43, s[18:19], 0, -1, vcc
	v_cmp_ne_u32_e32 vcc, 0, v3
	v_xor_b32_e32 v3, vcc_hi, v43
	v_and_b32_e32 v43, exec_hi, v3
	v_lshlrev_b32_e32 v3, 30, v4
	v_xor_b32_e32 v5, vcc_lo, v5
	v_cmp_gt_i64_e32 vcc, 0, v[2:3]
	v_not_b32_e32 v3, v3
	v_ashrrev_i32_e32 v3, 31, v3
	v_and_b32_e32 v5, exec_lo, v5
	v_xor_b32_e32 v44, vcc_hi, v3
	v_xor_b32_e32 v3, vcc_lo, v3
	v_and_b32_e32 v5, v5, v3
	v_lshlrev_b32_e32 v3, 29, v4
	v_cmp_gt_i64_e32 vcc, 0, v[2:3]
	v_not_b32_e32 v3, v3
	v_ashrrev_i32_e32 v3, 31, v3
	v_and_b32_e32 v43, v43, v44
	v_xor_b32_e32 v44, vcc_hi, v3
	v_xor_b32_e32 v3, vcc_lo, v3
	v_and_b32_e32 v5, v5, v3
	v_lshlrev_b32_e32 v3, 28, v4
	v_cmp_gt_i64_e32 vcc, 0, v[2:3]
	v_not_b32_e32 v3, v3
	v_ashrrev_i32_e32 v3, 31, v3
	v_and_b32_e32 v43, v43, v44
	;; [unrolled: 8-line block ×5, first 2 shown]
	v_xor_b32_e32 v44, vcc_hi, v3
	v_xor_b32_e32 v3, vcc_lo, v3
	v_and_b32_e32 v5, v5, v3
	v_lshlrev_b32_e32 v3, 24, v4
	v_cmp_gt_i64_e32 vcc, 0, v[2:3]
	v_not_b32_e32 v2, v3
	v_ashrrev_i32_e32 v2, 31, v2
	v_xor_b32_e32 v3, vcc_hi, v2
	v_xor_b32_e32 v2, vcc_lo, v2
	; wave barrier
	ds_read_b32 v42, v9 offset:64
	v_and_b32_e32 v43, v43, v44
	v_and_b32_e32 v2, v5, v2
	;; [unrolled: 1-line block ×3, first 2 shown]
	v_mbcnt_lo_u32_b32 v4, v2, 0
	v_mbcnt_hi_u32_b32 v45, v3, v4
	v_cmp_eq_u32_e32 vcc, 0, v45
	v_cmp_ne_u64_e64 s[18:19], 0, v[2:3]
	v_add_u32_e32 v13, 64, v23
	s_and_b64 s[20:21], s[18:19], vcc
	; wave barrier
	s_and_saveexec_b64 s[18:19], s[20:21]
	s_cbranch_execz .LBB1865_33
; %bb.32:
	v_bcnt_u32_b32 v2, v2, 0
	v_bcnt_u32_b32 v2, v3, v2
	s_waitcnt lgkmcnt(0)
	v_add_u32_e32 v2, v42, v2
	ds_write_b32 v9, v2 offset:64
.LBB1865_33:
	s_or_b64 exec, exec, s[18:19]
	; wave barrier
	s_waitcnt lgkmcnt(0)
	s_barrier
	ds_read2_b32 v[4:5], v23 offset0:16 offset1:17
	ds_read2_b32 v[2:3], v13 offset0:2 offset1:3
	ds_read_b32 v43, v13 offset:16
	v_cmp_lt_u32_e64 s[26:27], 31, v19
	s_waitcnt lgkmcnt(1)
	v_add3_u32 v44, v5, v4, v2
	s_waitcnt lgkmcnt(0)
	v_add3_u32 v43, v44, v3, v43
	v_and_b32_e32 v44, 15, v19
	v_cmp_eq_u32_e32 vcc, 0, v44
	v_mov_b32_dpp v46, v43 row_shr:1 row_mask:0xf bank_mask:0xf
	v_cndmask_b32_e64 v46, v46, 0, vcc
	v_add_u32_e32 v43, v46, v43
	v_cmp_lt_u32_e64 s[18:19], 1, v44
	v_cmp_lt_u32_e64 s[20:21], 3, v44
	v_mov_b32_dpp v46, v43 row_shr:2 row_mask:0xf bank_mask:0xf
	v_cndmask_b32_e64 v46, 0, v46, s[18:19]
	v_add_u32_e32 v43, v43, v46
	v_cmp_lt_u32_e64 s[22:23], 7, v44
	s_nop 0
	v_mov_b32_dpp v46, v43 row_shr:4 row_mask:0xf bank_mask:0xf
	v_cndmask_b32_e64 v46, 0, v46, s[20:21]
	v_add_u32_e32 v43, v43, v46
	s_nop 1
	v_mov_b32_dpp v46, v43 row_shr:8 row_mask:0xf bank_mask:0xf
	v_cndmask_b32_e64 v44, 0, v46, s[22:23]
	v_add_u32_e32 v43, v43, v44
	v_bfe_i32 v46, v19, 4, 1
	s_nop 0
	v_mov_b32_dpp v44, v43 row_bcast:15 row_mask:0xf bank_mask:0xf
	v_and_b32_e32 v44, v46, v44
	v_add_u32_e32 v43, v43, v44
	v_and_b32_e32 v46, 63, v10
	s_nop 0
	v_mov_b32_dpp v44, v43 row_bcast:31 row_mask:0xf bank_mask:0xf
	v_cndmask_b32_e64 v44, 0, v44, s[26:27]
	v_add_u32_e32 v43, v43, v44
	v_lshrrev_b32_e32 v44, 6, v10
	v_cmp_eq_u32_e64 s[26:27], 63, v46
	s_and_saveexec_b64 s[48:49], s[26:27]
	s_cbranch_execz .LBB1865_35
; %bb.34:
	v_lshlrev_b32_e32 v46, 2, v44
	ds_write_b32 v46, v43
.LBB1865_35:
	s_or_b64 exec, exec, s[48:49]
	v_cmp_gt_u32_e64 s[26:27], 16, v10
	v_lshlrev_b32_e32 v54, 2, v10
	s_waitcnt lgkmcnt(0)
	s_barrier
	s_and_saveexec_b64 s[48:49], s[26:27]
	s_cbranch_execz .LBB1865_37
; %bb.36:
	ds_read_b32 v46, v54
	s_waitcnt lgkmcnt(0)
	s_nop 0
	v_mov_b32_dpp v47, v46 row_shr:1 row_mask:0xf bank_mask:0xf
	v_cndmask_b32_e64 v47, v47, 0, vcc
	v_add_u32_e32 v46, v47, v46
	s_nop 1
	v_mov_b32_dpp v47, v46 row_shr:2 row_mask:0xf bank_mask:0xf
	v_cndmask_b32_e64 v47, 0, v47, s[18:19]
	v_add_u32_e32 v46, v46, v47
	s_nop 1
	v_mov_b32_dpp v47, v46 row_shr:4 row_mask:0xf bank_mask:0xf
	v_cndmask_b32_e64 v47, 0, v47, s[20:21]
	v_add_u32_e32 v46, v46, v47
	s_nop 1
	v_mov_b32_dpp v47, v46 row_shr:8 row_mask:0xf bank_mask:0xf
	v_cndmask_b32_e64 v47, 0, v47, s[22:23]
	v_add_u32_e32 v46, v46, v47
	ds_write_b32 v54, v46
.LBB1865_37:
	s_or_b64 exec, exec, s[48:49]
	v_cmp_lt_u32_e32 vcc, 63, v10
	v_mov_b32_e32 v46, 0
	s_waitcnt lgkmcnt(0)
	s_barrier
	s_and_saveexec_b64 s[18:19], vcc
	s_cbranch_execz .LBB1865_39
; %bb.38:
	v_lshl_add_u32 v44, v44, 2, -4
	ds_read_b32 v46, v44
.LBB1865_39:
	s_or_b64 exec, exec, s[18:19]
	v_add_u32_e32 v44, -1, v19
	v_and_b32_e32 v47, 64, v19
	v_cmp_lt_i32_e32 vcc, v44, v47
	v_cndmask_b32_e32 v44, v44, v19, vcc
	s_waitcnt lgkmcnt(0)
	v_add_u32_e32 v43, v46, v43
	v_lshlrev_b32_e32 v44, 2, v44
	ds_bpermute_b32 v43, v44, v43
	v_cmp_eq_u32_e32 vcc, 0, v19
	s_movk_i32 s18, 0x100
	v_cmp_gt_u32_e64 s[18:19], s18, v10
                                        ; implicit-def: $vgpr44
	s_waitcnt lgkmcnt(0)
	v_cndmask_b32_e32 v19, v43, v46, vcc
	v_cmp_ne_u32_e32 vcc, 0, v10
	v_cndmask_b32_e32 v19, 0, v19, vcc
	v_add_u32_e32 v4, v19, v4
	v_add_u32_e32 v5, v4, v5
	;; [unrolled: 1-line block ×4, first 2 shown]
	ds_write2_b32 v23, v19, v4 offset0:16 offset1:17
	ds_write2_b32 v13, v5, v2 offset0:2 offset1:3
	ds_write_b32 v13, v3 offset:16
	s_waitcnt lgkmcnt(0)
	s_barrier
	ds_read_b32 v13, v25 offset:64
	ds_read_b32 v46, v26 offset:64
	;; [unrolled: 1-line block ×8, first 2 shown]
                                        ; implicit-def: $vgpr43
	s_and_saveexec_b64 s[20:21], s[18:19]
	s_cbranch_execz .LBB1865_43
; %bb.40:
	v_mul_u32_u24_e32 v2, 17, v10
	v_lshlrev_b32_e32 v3, 2, v2
	ds_read_b32 v43, v3 offset:64
	s_movk_i32 s22, 0xff
	v_cmp_ne_u32_e32 vcc, s22, v10
	v_mov_b32_e32 v2, 0x2000
	s_and_saveexec_b64 s[22:23], vcc
	s_cbranch_execz .LBB1865_42
; %bb.41:
	ds_read_b32 v2, v3 offset:132
.LBB1865_42:
	s_or_b64 exec, exec, s[22:23]
	s_waitcnt lgkmcnt(0)
	v_sub_u32_e32 v44, v2, v43
.LBB1865_43:
	s_or_b64 exec, exec, s[20:21]
	s_waitcnt lgkmcnt(0)
	s_barrier
	s_and_saveexec_b64 s[20:21], s[18:19]
	s_cbranch_execz .LBB1865_53
; %bb.44:
	v_lshl_or_b32 v2, s6, 8, v10
	v_mov_b32_e32 v3, 0
	v_lshlrev_b64 v[4:5], 2, v[2:3]
	v_mov_b32_e32 v8, s35
	v_add_co_u32_e32 v4, vcc, s34, v4
	v_addc_co_u32_e32 v5, vcc, v8, v5, vcc
	v_or_b32_e32 v2, 2.0, v44
	s_mov_b64 s[22:23], 0
	s_brev_b32 s51, 1
	s_mov_b32 s52, s6
	v_mov_b32_e32 v9, 0
	global_store_dword v[4:5], v2, off
                                        ; implicit-def: $sgpr26_sgpr27
	s_branch .LBB1865_46
.LBB1865_45:                            ;   in Loop: Header=BB1865_46 Depth=1
	s_or_b64 exec, exec, s[26:27]
	v_and_b32_e32 v6, 0x3fffffff, v12
	v_add_u32_e32 v9, v6, v9
	v_cmp_eq_u32_e64 s[26:27], s51, v2
	s_and_b64 s[48:49], exec, s[26:27]
	s_or_b64 s[22:23], s[48:49], s[22:23]
	s_andn2_b64 exec, exec, s[22:23]
	s_cbranch_execz .LBB1865_52
.LBB1865_46:                            ; =>This Loop Header: Depth=1
                                        ;     Child Loop BB1865_49 Depth 2
	s_or_b64 s[26:27], s[26:27], exec
	s_cmp_eq_u32 s52, 0
	s_cbranch_scc1 .LBB1865_51
; %bb.47:                               ;   in Loop: Header=BB1865_46 Depth=1
	s_add_i32 s52, s52, -1
	v_lshl_or_b32 v2, s52, 8, v10
	v_lshlrev_b64 v[6:7], 2, v[2:3]
	v_add_co_u32_e32 v6, vcc, s34, v6
	v_addc_co_u32_e32 v7, vcc, v8, v7, vcc
	global_load_dword v12, v[6:7], off glc
	s_waitcnt vmcnt(0)
	v_and_b32_e32 v2, -2.0, v12
	v_cmp_eq_u32_e32 vcc, 0, v2
	s_and_saveexec_b64 s[26:27], vcc
	s_cbranch_execz .LBB1865_45
; %bb.48:                               ;   in Loop: Header=BB1865_46 Depth=1
	s_mov_b64 s[48:49], 0
.LBB1865_49:                            ;   Parent Loop BB1865_46 Depth=1
                                        ; =>  This Inner Loop Header: Depth=2
	global_load_dword v12, v[6:7], off glc
	s_waitcnt vmcnt(0)
	v_and_b32_e32 v2, -2.0, v12
	v_cmp_ne_u32_e32 vcc, 0, v2
	s_or_b64 s[48:49], vcc, s[48:49]
	s_andn2_b64 exec, exec, s[48:49]
	s_cbranch_execnz .LBB1865_49
; %bb.50:                               ;   in Loop: Header=BB1865_46 Depth=1
	s_or_b64 exec, exec, s[48:49]
	s_branch .LBB1865_45
.LBB1865_51:                            ;   in Loop: Header=BB1865_46 Depth=1
                                        ; implicit-def: $sgpr52
	s_and_b64 s[48:49], exec, s[26:27]
	s_or_b64 s[22:23], s[48:49], s[22:23]
	s_andn2_b64 exec, exec, s[22:23]
	s_cbranch_execnz .LBB1865_46
.LBB1865_52:
	s_or_b64 exec, exec, s[22:23]
	v_add_u32_e32 v2, v9, v44
	v_or_b32_e32 v2, 0x80000000, v2
	global_store_dword v[4:5], v2, off
	global_load_dword v2, v54, s[28:29]
	v_sub_u32_e32 v3, v9, v43
	s_waitcnt vmcnt(0)
	v_add_u32_e32 v2, v3, v2
	ds_write_b32 v54, v2
.LBB1865_53:
	s_or_b64 exec, exec, s[20:21]
	v_add_u32_e32 v53, v13, v22
	v_add3_u32 v19, v31, v30, v46
	v_add3_u32 v22, v33, v32, v47
	;; [unrolled: 1-line block ×7, first 2 shown]
	s_movk_i32 s26, 0x400
	v_add_u32_e32 v56, 0x400, v54
	s_mov_b32 s52, 0
	s_mov_b64 s[20:21], -1
	s_brev_b32 s27, -2
	v_mov_b32_e32 v13, 0
	s_movk_i32 s48, 0x800
	s_movk_i32 s49, 0xc00
	v_bfrev_b32_e32 v57, 1
	v_mov_b32_e32 v58, v53
	s_mov_b32 s51, 0
                                        ; implicit-def: $vgpr2_vgpr3_vgpr4_vgpr5_vgpr6_vgpr7_vgpr8_vgpr9
	s_branch .LBB1865_55
.LBB1865_54:                            ;   in Loop: Header=BB1865_55 Depth=1
	s_or_b64 exec, exec, s[22:23]
	s_xor_b64 s[22:23], s[20:21], -1
	s_addk_i32 s51, 0x1000
	v_add_u32_e32 v55, 0xfffff000, v55
	v_add_u32_e32 v28, 0xfffff000, v28
	;; [unrolled: 1-line block ×8, first 2 shown]
	s_mov_b32 s52, 4
	s_mov_b64 s[20:21], 0
	s_and_b64 vcc, exec, s[22:23]
	s_barrier
	s_cbranch_vccnz .LBB1865_64
.LBB1865_55:                            ; =>This Inner Loop Header: Depth=1
	v_min_u32_e32 v12, 0x1000, v58
	v_lshlrev_b32_e32 v12, 2, v12
	ds_write_b32 v12, v18 offset:1024
	v_min_u32_e32 v12, 0x1000, v19
	v_lshlrev_b32_e32 v12, 2, v12
	ds_write_b32 v12, v14 offset:1024
	;; [unrolled: 3-line block ×7, first 2 shown]
	v_min_u32_e32 v12, 0x1000, v55
	v_add_u32_e32 v59, s51, v10
	v_lshlrev_b32_e32 v12, 2, v12
	v_cmp_gt_u32_e32 vcc, s7, v59
	ds_write_b32 v12, v29 offset:1024
	s_waitcnt lgkmcnt(0)
	s_barrier
	s_and_saveexec_b64 s[22:23], vcc
	s_cbranch_execz .LBB1865_57
; %bb.56:                               ;   in Loop: Header=BB1865_55 Depth=1
	ds_read_b32 v12, v54 offset:1024
	v_mov_b32_e32 v63, s39
	s_cmp_eq_u32 s52, 7
	s_waitcnt lgkmcnt(0)
	v_cmp_ne_u32_e32 vcc, s27, v12
	v_cndmask_b32_e32 v60, v57, v12, vcc
	v_lshrrev_b32_e32 v60, s44, v60
	v_and_b32_e32 v62, s50, v60
	v_lshlrev_b32_e32 v60, 2, v62
	ds_read_b32 v60, v60
	v_cmp_lt_i32_e32 vcc, -1, v12
	v_cndmask_b32_e64 v61, v57, -1, vcc
	v_xor_b32_e32 v64, v61, v12
	s_waitcnt lgkmcnt(0)
	v_add_u32_e32 v12, v59, v60
	v_lshlrev_b64 v[60:61], 2, v[12:13]
	v_add_co_u32_e32 v60, vcc, s38, v60
	v_addc_co_u32_e32 v61, vcc, v63, v61, vcc
	s_cselect_b64 vcc, -1, 0
	s_cmp_eq_u32 s52, 6
	v_cndmask_b32_e32 v9, v9, v62, vcc
	s_cselect_b64 vcc, -1, 0
	s_cmp_eq_u32 s52, 5
	v_cndmask_b32_e32 v8, v8, v62, vcc
	;; [unrolled: 3-line block ×7, first 2 shown]
	s_cselect_b64 vcc, -1, 0
	v_cndmask_b32_e32 v2, v2, v62, vcc
	global_store_dword v[60:61], v64, off
.LBB1865_57:                            ;   in Loop: Header=BB1865_55 Depth=1
	s_or_b64 exec, exec, s[22:23]
	v_add_u32_e32 v12, 0x400, v59
	v_cmp_gt_u32_e32 vcc, s7, v12
	s_and_saveexec_b64 s[22:23], vcc
	s_cbranch_execz .LBB1865_59
; %bb.58:                               ;   in Loop: Header=BB1865_55 Depth=1
	ds_read_b32 v12, v56 offset:4096
	v_mov_b32_e32 v63, s39
	s_or_b32 s53, s52, 1
	s_cmp_eq_u32 s53, 7
	s_waitcnt lgkmcnt(0)
	v_cmp_ne_u32_e32 vcc, s27, v12
	v_cndmask_b32_e32 v60, v57, v12, vcc
	v_lshrrev_b32_e32 v60, s44, v60
	v_and_b32_e32 v62, s50, v60
	v_lshlrev_b32_e32 v60, 2, v62
	ds_read_b32 v60, v60
	v_cmp_lt_i32_e32 vcc, -1, v12
	v_cndmask_b32_e64 v61, v57, -1, vcc
	v_xor_b32_e32 v64, v61, v12
	s_waitcnt lgkmcnt(0)
	v_add3_u32 v12, v59, v60, s26
	v_lshlrev_b64 v[60:61], 2, v[12:13]
	v_add_co_u32_e32 v60, vcc, s38, v60
	v_addc_co_u32_e32 v61, vcc, v63, v61, vcc
	s_cselect_b64 vcc, -1, 0
	s_cmp_eq_u32 s53, 6
	v_cndmask_b32_e32 v9, v9, v62, vcc
	s_cselect_b64 vcc, -1, 0
	s_cmp_eq_u32 s53, 5
	v_cndmask_b32_e32 v8, v8, v62, vcc
	;; [unrolled: 3-line block ×7, first 2 shown]
	s_cselect_b64 vcc, -1, 0
	v_cndmask_b32_e32 v2, v2, v62, vcc
	global_store_dword v[60:61], v64, off
.LBB1865_59:                            ;   in Loop: Header=BB1865_55 Depth=1
	s_or_b64 exec, exec, s[22:23]
	v_add_u32_e32 v12, 0x800, v59
	v_cmp_gt_u32_e32 vcc, s7, v12
	s_and_saveexec_b64 s[22:23], vcc
	s_cbranch_execz .LBB1865_61
; %bb.60:                               ;   in Loop: Header=BB1865_55 Depth=1
	ds_read_b32 v12, v56 offset:8192
	v_mov_b32_e32 v63, s39
	s_or_b32 s53, s52, 2
	s_cmp_eq_u32 s53, 7
	s_waitcnt lgkmcnt(0)
	v_cmp_ne_u32_e32 vcc, s27, v12
	v_cndmask_b32_e32 v60, v57, v12, vcc
	v_lshrrev_b32_e32 v60, s44, v60
	v_and_b32_e32 v62, s50, v60
	v_lshlrev_b32_e32 v60, 2, v62
	ds_read_b32 v60, v60
	v_cmp_lt_i32_e32 vcc, -1, v12
	v_cndmask_b32_e64 v61, v57, -1, vcc
	v_xor_b32_e32 v64, v61, v12
	s_waitcnt lgkmcnt(0)
	v_add3_u32 v12, v59, v60, s48
	v_lshlrev_b64 v[60:61], 2, v[12:13]
	v_add_co_u32_e32 v60, vcc, s38, v60
	v_addc_co_u32_e32 v61, vcc, v63, v61, vcc
	s_cselect_b64 vcc, -1, 0
	s_cmp_eq_u32 s53, 6
	v_cndmask_b32_e32 v9, v9, v62, vcc
	s_cselect_b64 vcc, -1, 0
	s_cmp_eq_u32 s53, 5
	v_cndmask_b32_e32 v8, v8, v62, vcc
	;; [unrolled: 3-line block ×7, first 2 shown]
	s_cselect_b64 vcc, -1, 0
	v_cndmask_b32_e32 v2, v2, v62, vcc
	global_store_dword v[60:61], v64, off
.LBB1865_61:                            ;   in Loop: Header=BB1865_55 Depth=1
	s_or_b64 exec, exec, s[22:23]
	v_add_u32_e32 v12, 0xc00, v59
	v_cmp_gt_u32_e32 vcc, s7, v12
	s_and_saveexec_b64 s[22:23], vcc
	s_cbranch_execz .LBB1865_54
; %bb.62:                               ;   in Loop: Header=BB1865_55 Depth=1
	ds_read_b32 v12, v56 offset:12288
	v_mov_b32_e32 v63, s39
	s_or_b32 s52, s52, 3
	s_cmp_eq_u32 s52, 7
	s_waitcnt lgkmcnt(0)
	v_cmp_ne_u32_e32 vcc, s27, v12
	v_cndmask_b32_e32 v60, v57, v12, vcc
	v_lshrrev_b32_e32 v60, s44, v60
	v_and_b32_e32 v62, s50, v60
	v_lshlrev_b32_e32 v60, 2, v62
	ds_read_b32 v60, v60
	v_cmp_lt_i32_e32 vcc, -1, v12
	v_cndmask_b32_e64 v61, v57, -1, vcc
	v_xor_b32_e32 v64, v61, v12
	s_waitcnt lgkmcnt(0)
	v_add3_u32 v12, v59, v60, s49
	v_lshlrev_b64 v[60:61], 2, v[12:13]
	v_add_co_u32_e32 v60, vcc, s38, v60
	v_addc_co_u32_e32 v61, vcc, v63, v61, vcc
	s_cselect_b64 vcc, -1, 0
	s_cmp_eq_u32 s52, 6
	v_cndmask_b32_e32 v9, v9, v62, vcc
	s_cselect_b64 vcc, -1, 0
	s_cmp_eq_u32 s52, 5
	v_cndmask_b32_e32 v8, v8, v62, vcc
	;; [unrolled: 3-line block ×7, first 2 shown]
	s_cselect_b64 vcc, -1, 0
	v_cndmask_b32_e32 v2, v2, v62, vcc
	global_store_dword v[60:61], v64, off
	s_branch .LBB1865_54
.LBB1865_63:
	s_mov_b64 s[10:11], 0
                                        ; implicit-def: $vgpr2
                                        ; implicit-def: $vgpr10
	s_cbranch_execnz .LBB1865_82
	s_branch .LBB1865_125
.LBB1865_64:
	s_lshl_b64 s[20:21], s[46:47], 3
	s_add_u32 s20, s40, s20
	s_addc_u32 s21, s41, s21
	v_lshlrev_b32_e32 v12, 3, v17
	v_mov_b32_e32 v13, s21
	v_add_co_u32_e32 v12, vcc, s20, v12
	v_addc_co_u32_e32 v13, vcc, 0, v13, vcc
	v_lshlrev_b32_e32 v14, 3, v16
	v_add_co_u32_e32 v28, vcc, v12, v14
	v_addc_co_u32_e32 v29, vcc, 0, v13, vcc
                                        ; implicit-def: $vgpr12_vgpr13
	s_and_saveexec_b64 s[20:21], s[0:1]
	s_cbranch_execnz .LBB1865_128
; %bb.65:
	s_or_b64 exec, exec, s[20:21]
                                        ; implicit-def: $vgpr14_vgpr15
	s_and_saveexec_b64 s[0:1], s[2:3]
	s_cbranch_execnz .LBB1865_129
.LBB1865_66:
	s_or_b64 exec, exec, s[0:1]
                                        ; implicit-def: $vgpr16_vgpr17
	s_and_saveexec_b64 s[0:1], s[24:25]
	s_cbranch_execnz .LBB1865_130
.LBB1865_67:
	s_or_b64 exec, exec, s[0:1]
                                        ; implicit-def: $vgpr18_vgpr19
	s_and_saveexec_b64 s[0:1], s[8:9]
	s_cbranch_execnz .LBB1865_131
.LBB1865_68:
	s_or_b64 exec, exec, s[0:1]
                                        ; implicit-def: $vgpr20_vgpr21
	s_and_saveexec_b64 s[0:1], s[10:11]
	s_cbranch_execnz .LBB1865_132
.LBB1865_69:
	s_or_b64 exec, exec, s[0:1]
                                        ; implicit-def: $vgpr22_vgpr23
	s_and_saveexec_b64 s[0:1], s[12:13]
	s_cbranch_execnz .LBB1865_133
.LBB1865_70:
	s_or_b64 exec, exec, s[0:1]
                                        ; implicit-def: $vgpr24_vgpr25
	s_and_saveexec_b64 s[0:1], s[14:15]
	s_cbranch_execnz .LBB1865_134
.LBB1865_71:
	s_or_b64 exec, exec, s[0:1]
                                        ; implicit-def: $vgpr26_vgpr27
	s_and_saveexec_b64 s[0:1], s[16:17]
	s_cbranch_execz .LBB1865_73
.LBB1865_72:
	global_load_dwordx2 v[26:27], v[28:29], off offset:3584
.LBB1865_73:
	s_or_b64 exec, exec, s[0:1]
	s_movk_i32 s2, 0x400
	v_add_u32_e32 v54, 0x400, v11
	v_add3_u32 v42, v45, v52, v42
	v_add3_u32 v40, v41, v51, v40
	;; [unrolled: 1-line block ×7, first 2 shown]
	s_mov_b32 s3, 0
	v_mov_b32_e32 v29, 0
	s_mov_b32 s8, 0
	v_mov_b32_e32 v31, v10
	s_waitcnt vmcnt(0)
	s_branch .LBB1865_75
.LBB1865_74:                            ;   in Loop: Header=BB1865_75 Depth=1
	s_or_b64 exec, exec, s[0:1]
	s_addk_i32 s8, 0xf800
	s_add_i32 s3, s3, 2
	s_cmpk_eq_i32 s8, 0xe000
	v_add_u32_e32 v31, 0x800, v31
	s_barrier
	s_cbranch_scc1 .LBB1865_79
.LBB1865_75:                            ; =>This Inner Loop Header: Depth=1
	v_add_u32_e32 v28, s8, v53
	v_min_u32_e32 v28, 0x800, v28
	v_lshlrev_b32_e32 v28, 3, v28
	ds_write_b64 v28, v[12:13] offset:1024
	v_add_u32_e32 v28, s8, v30
	v_min_u32_e32 v28, 0x800, v28
	v_lshlrev_b32_e32 v28, 3, v28
	ds_write_b64 v28, v[14:15] offset:1024
	;; [unrolled: 4-line block ×7, first 2 shown]
	v_add_u32_e32 v28, s8, v42
	v_min_u32_e32 v28, 0x800, v28
	v_lshlrev_b32_e32 v28, 3, v28
	v_cmp_gt_u32_e32 vcc, s7, v31
	ds_write_b64 v28, v[26:27] offset:1024
	s_waitcnt lgkmcnt(0)
	s_barrier
	s_and_saveexec_b64 s[0:1], vcc
	s_cbranch_execz .LBB1865_77
; %bb.76:                               ;   in Loop: Header=BB1865_75 Depth=1
	s_cmp_eq_u32 s3, 1
	s_cselect_b64 vcc, -1, 0
	s_cmp_eq_u32 s3, 2
	v_cndmask_b32_e32 v28, v2, v3, vcc
	s_cselect_b64 vcc, -1, 0
	s_cmp_eq_u32 s3, 3
	v_cndmask_b32_e32 v28, v28, v4, vcc
	;; [unrolled: 3-line block ×6, first 2 shown]
	s_cselect_b64 vcc, -1, 0
	v_cndmask_b32_e32 v28, v28, v9, vcc
	v_lshlrev_b32_e32 v28, 2, v28
	ds_read_b32 v28, v28
	ds_read_b64 v[46:47], v11 offset:1024
	s_waitcnt lgkmcnt(1)
	v_add_u32_e32 v28, v31, v28
	v_lshlrev_b64 v[48:49], 3, v[28:29]
	v_mov_b32_e32 v28, s43
	v_add_co_u32_e32 v48, vcc, s42, v48
	v_addc_co_u32_e32 v49, vcc, v28, v49, vcc
	s_waitcnt lgkmcnt(0)
	global_store_dwordx2 v[48:49], v[46:47], off
.LBB1865_77:                            ;   in Loop: Header=BB1865_75 Depth=1
	s_or_b64 exec, exec, s[0:1]
	v_add_u32_e32 v28, 0x400, v31
	v_cmp_gt_u32_e32 vcc, s7, v28
	s_and_saveexec_b64 s[0:1], vcc
	s_cbranch_execz .LBB1865_74
; %bb.78:                               ;   in Loop: Header=BB1865_75 Depth=1
	s_add_i32 s9, s3, 1
	s_cmp_eq_u32 s9, 1
	s_cselect_b64 vcc, -1, 0
	s_cmp_eq_u32 s9, 2
	v_cndmask_b32_e32 v28, v2, v3, vcc
	s_cselect_b64 vcc, -1, 0
	s_cmp_eq_u32 s9, 3
	v_cndmask_b32_e32 v28, v28, v4, vcc
	;; [unrolled: 3-line block ×6, first 2 shown]
	s_cselect_b64 vcc, -1, 0
	v_cndmask_b32_e32 v28, v28, v9, vcc
	v_lshlrev_b32_e32 v28, 2, v28
	ds_read_b32 v28, v28
	ds_read_b64 v[46:47], v54 offset:8192
	s_waitcnt lgkmcnt(1)
	v_add3_u32 v28, v31, v28, s2
	v_lshlrev_b64 v[48:49], 3, v[28:29]
	v_mov_b32_e32 v28, s43
	v_add_co_u32_e32 v48, vcc, s42, v48
	v_addc_co_u32_e32 v49, vcc, v28, v49, vcc
	s_waitcnt lgkmcnt(0)
	global_store_dwordx2 v[48:49], v[46:47], off
	s_branch .LBB1865_74
.LBB1865_79:
	s_add_i32 s33, s33, -1
	s_cmp_eq_u32 s33, s6
	s_cselect_b64 s[0:1], -1, 0
	s_and_b64 s[2:3], s[18:19], s[0:1]
	s_mov_b64 s[0:1], 0
	s_mov_b64 s[10:11], 0
                                        ; implicit-def: $vgpr2
	s_and_saveexec_b64 s[8:9], s[2:3]
	s_xor_b64 s[2:3], exec, s[8:9]
; %bb.80:
	s_mov_b64 s[10:11], exec
	v_add_u32_e32 v2, v43, v44
; %bb.81:
	s_or_b64 exec, exec, s[2:3]
	s_and_b64 vcc, exec, s[0:1]
	s_cbranch_vccz .LBB1865_125
.LBB1865_82:
	s_lshl_b32 s12, s6, 13
	s_mov_b32 s13, 0
	v_mbcnt_hi_u32_b32 v4, -1, v1
	s_lshl_b64 s[0:1], s[12:13], 2
	v_and_b32_e32 v7, 63, v4
	s_add_u32 s0, s36, s0
	v_lshlrev_b32_e32 v1, 2, v7
	v_and_b32_e32 v10, 0x3ff, v0
	v_add_co_u32_e32 v1, vcc, s0, v1
	s_load_dword s7, s[4:5], 0x58
	s_load_dword s0, s[4:5], 0x64
	s_addc_u32 s1, s37, s1
	v_lshlrev_b32_e32 v11, 3, v10
	v_and_b32_e32 v6, 0x1e00, v11
	v_mov_b32_e32 v3, s1
	v_addc_co_u32_e32 v3, vcc, 0, v3, vcc
	v_lshlrev_b32_e32 v5, 2, v6
	v_add_co_u32_e32 v18, vcc, v1, v5
	s_add_u32 s1, s4, 0x58
	v_addc_co_u32_e32 v19, vcc, 0, v3, vcc
	s_addc_u32 s2, s5, 0
	s_waitcnt lgkmcnt(0)
	s_lshr_b32 s3, s0, 16
	global_load_dword v1, v[18:19], off
	s_cmp_lt_u32 s6, s7
	s_cselect_b32 s0, 12, 18
	s_add_u32 s0, s1, s0
	v_mov_b32_e32 v2, 0
	s_addc_u32 s1, s2, 0
	global_load_ushort v3, v2, s[0:1]
	v_mul_u32_u24_e32 v5, 5, v10
	v_lshlrev_b32_e32 v5, 2, v5
	ds_write2_b32 v5, v2, v2 offset0:16 offset1:17
	ds_write2_b32 v5, v2, v2 offset0:18 offset1:19
	ds_write_b32 v5, v2 offset:80
	global_load_dword v9, v[18:19], off offset:256
	global_load_dword v12, v[18:19], off offset:512
	;; [unrolled: 1-line block ×7, first 2 shown]
	v_bfrev_b32_e32 v16, 1
	v_bfe_u32 v8, v0, 10, 10
	v_bfe_u32 v0, v0, 20, 10
	v_mad_u32_u24 v0, v0, s3, v8
	s_brev_b32 s2, -2
	s_lshl_b32 s0, -1, s45
	s_not_b32 s16, s0
	s_waitcnt lgkmcnt(0)
	s_barrier
	s_waitcnt lgkmcnt(0)
	; wave barrier
	s_waitcnt vmcnt(8)
	v_cmp_lt_i32_e32 vcc, -1, v1
	v_cndmask_b32_e32 v8, -1, v16, vcc
	v_xor_b32_e32 v8, v8, v1
	v_cmp_ne_u32_e32 vcc, s2, v8
	v_cndmask_b32_e32 v15, v16, v8, vcc
	s_waitcnt vmcnt(7)
	v_mad_u64_u32 v[0:1], s[0:1], v0, v3, v[10:11]
	v_lshrrev_b32_e32 v1, s44, v15
	v_lshrrev_b32_e32 v26, 6, v0
	v_and_b32_e32 v0, s16, v1
	v_lshl_add_u32 v1, v0, 4, v0
	v_and_b32_e32 v15, 1, v0
	v_add_lshl_u32 v18, v26, v1, 2
	v_add_co_u32_e32 v1, vcc, -1, v15
	v_lshlrev_b32_e32 v3, 30, v0
	v_addc_co_u32_e64 v19, s[0:1], 0, -1, vcc
	v_cmp_ne_u32_e32 vcc, 0, v15
	v_cmp_gt_i64_e64 s[0:1], 0, v[2:3]
	v_not_b32_e32 v15, v3
	v_lshlrev_b32_e32 v3, 29, v0
	v_xor_b32_e32 v19, vcc_hi, v19
	v_xor_b32_e32 v1, vcc_lo, v1
	v_ashrrev_i32_e32 v15, 31, v15
	v_cmp_gt_i64_e32 vcc, 0, v[2:3]
	v_not_b32_e32 v20, v3
	v_lshlrev_b32_e32 v3, 28, v0
	v_and_b32_e32 v19, exec_hi, v19
	v_and_b32_e32 v1, exec_lo, v1
	v_xor_b32_e32 v22, s1, v15
	v_xor_b32_e32 v15, s0, v15
	v_ashrrev_i32_e32 v20, 31, v20
	v_cmp_gt_i64_e64 s[0:1], 0, v[2:3]
	v_not_b32_e32 v3, v3
	v_and_b32_e32 v19, v19, v22
	v_and_b32_e32 v1, v1, v15
	v_xor_b32_e32 v15, vcc_hi, v20
	v_xor_b32_e32 v20, vcc_lo, v20
	v_ashrrev_i32_e32 v3, 31, v3
	v_and_b32_e32 v15, v19, v15
	v_and_b32_e32 v1, v1, v20
	v_xor_b32_e32 v19, s1, v3
	v_xor_b32_e32 v3, s0, v3
	v_and_b32_e32 v1, v1, v3
	v_lshlrev_b32_e32 v3, 27, v0
	v_cmp_gt_i64_e32 vcc, 0, v[2:3]
	v_not_b32_e32 v3, v3
	v_ashrrev_i32_e32 v3, 31, v3
	v_and_b32_e32 v15, v15, v19
	v_xor_b32_e32 v19, vcc_hi, v3
	v_xor_b32_e32 v3, vcc_lo, v3
	v_and_b32_e32 v1, v1, v3
	v_lshlrev_b32_e32 v3, 26, v0
	v_cmp_gt_i64_e32 vcc, 0, v[2:3]
	v_not_b32_e32 v3, v3
	v_ashrrev_i32_e32 v3, 31, v3
	v_and_b32_e32 v15, v15, v19
	v_xor_b32_e32 v19, vcc_hi, v3
	v_xor_b32_e32 v3, vcc_lo, v3
	v_and_b32_e32 v1, v1, v3
	v_lshlrev_b32_e32 v3, 25, v0
	v_cmp_gt_i64_e32 vcc, 0, v[2:3]
	v_not_b32_e32 v3, v3
	v_ashrrev_i32_e32 v3, 31, v3
	v_and_b32_e32 v15, v15, v19
	v_xor_b32_e32 v19, vcc_hi, v3
	v_xor_b32_e32 v3, vcc_lo, v3
	v_and_b32_e32 v15, v15, v19
	v_and_b32_e32 v19, v1, v3
	v_lshlrev_b32_e32 v3, 24, v0
	v_not_b32_e32 v0, v3
	v_cmp_gt_i64_e32 vcc, 0, v[2:3]
	v_ashrrev_i32_e32 v0, 31, v0
	v_xor_b32_e32 v1, vcc_hi, v0
	v_xor_b32_e32 v0, vcc_lo, v0
	v_and_b32_e32 v0, v19, v0
	v_and_b32_e32 v1, v15, v1
	v_mbcnt_lo_u32_b32 v3, v0, 0
	v_mbcnt_hi_u32_b32 v15, v1, v3
	v_cmp_eq_u32_e32 vcc, 0, v15
	v_cmp_ne_u64_e64 s[0:1], 0, v[0:1]
	s_and_b64 s[4:5], s[0:1], vcc
	s_and_saveexec_b64 s[0:1], s[4:5]
	s_cbranch_execz .LBB1865_84
; %bb.83:
	v_bcnt_u32_b32 v0, v0, 0
	v_bcnt_u32_b32 v0, v1, v0
	ds_write_b32 v18, v0 offset:64
.LBB1865_84:
	s_or_b64 exec, exec, s[0:1]
	s_waitcnt vmcnt(6)
	v_cmp_lt_i32_e32 vcc, -1, v9
	v_cndmask_b32_e32 v0, -1, v16, vcc
	v_xor_b32_e32 v9, v0, v9
	v_cmp_ne_u32_e32 vcc, s2, v9
	v_cndmask_b32_e32 v0, v16, v9, vcc
	v_lshrrev_b32_e32 v0, s44, v0
	v_and_b32_e32 v0, s16, v0
	v_lshl_add_u32 v1, v0, 4, v0
	v_add_lshl_u32 v22, v26, v1, 2
	v_and_b32_e32 v1, 1, v0
	v_add_co_u32_e32 v3, vcc, -1, v1
	v_addc_co_u32_e64 v19, s[0:1], 0, -1, vcc
	v_cmp_ne_u32_e32 vcc, 0, v1
	v_xor_b32_e32 v3, vcc_lo, v3
	v_xor_b32_e32 v1, vcc_hi, v19
	v_and_b32_e32 v19, exec_lo, v3
	v_lshlrev_b32_e32 v3, 30, v0
	v_cmp_gt_i64_e32 vcc, 0, v[2:3]
	v_not_b32_e32 v3, v3
	v_ashrrev_i32_e32 v3, 31, v3
	v_xor_b32_e32 v20, vcc_hi, v3
	v_xor_b32_e32 v3, vcc_lo, v3
	v_and_b32_e32 v19, v19, v3
	v_lshlrev_b32_e32 v3, 29, v0
	v_cmp_gt_i64_e32 vcc, 0, v[2:3]
	v_not_b32_e32 v3, v3
	v_and_b32_e32 v1, exec_hi, v1
	v_ashrrev_i32_e32 v3, 31, v3
	v_and_b32_e32 v1, v1, v20
	v_xor_b32_e32 v20, vcc_hi, v3
	v_xor_b32_e32 v3, vcc_lo, v3
	v_and_b32_e32 v19, v19, v3
	v_lshlrev_b32_e32 v3, 28, v0
	v_cmp_gt_i64_e32 vcc, 0, v[2:3]
	v_not_b32_e32 v3, v3
	v_ashrrev_i32_e32 v3, 31, v3
	v_and_b32_e32 v1, v1, v20
	v_xor_b32_e32 v20, vcc_hi, v3
	v_xor_b32_e32 v3, vcc_lo, v3
	v_and_b32_e32 v19, v19, v3
	v_lshlrev_b32_e32 v3, 27, v0
	v_cmp_gt_i64_e32 vcc, 0, v[2:3]
	v_not_b32_e32 v3, v3
	;; [unrolled: 8-line block ×4, first 2 shown]
	v_ashrrev_i32_e32 v3, 31, v3
	v_and_b32_e32 v1, v1, v20
	v_xor_b32_e32 v20, vcc_hi, v3
	v_xor_b32_e32 v3, vcc_lo, v3
	v_and_b32_e32 v19, v19, v3
	v_lshlrev_b32_e32 v3, 24, v0
	v_not_b32_e32 v0, v3
	v_cmp_gt_i64_e32 vcc, 0, v[2:3]
	v_ashrrev_i32_e32 v0, 31, v0
	v_xor_b32_e32 v2, vcc_hi, v0
	v_xor_b32_e32 v0, vcc_lo, v0
	; wave barrier
	ds_read_b32 v16, v22 offset:64
	v_and_b32_e32 v1, v1, v20
	v_and_b32_e32 v0, v19, v0
	;; [unrolled: 1-line block ×3, first 2 shown]
	v_mbcnt_lo_u32_b32 v2, v0, 0
	v_mbcnt_hi_u32_b32 v19, v1, v2
	v_cmp_eq_u32_e32 vcc, 0, v19
	v_cmp_ne_u64_e64 s[0:1], 0, v[0:1]
	s_and_b64 s[2:3], s[0:1], vcc
	; wave barrier
	s_and_saveexec_b64 s[0:1], s[2:3]
	s_cbranch_execz .LBB1865_86
; %bb.85:
	v_bcnt_u32_b32 v0, v0, 0
	v_bcnt_u32_b32 v0, v1, v0
	s_waitcnt lgkmcnt(0)
	v_add_u32_e32 v0, v16, v0
	ds_write_b32 v22, v0 offset:64
.LBB1865_86:
	s_or_b64 exec, exec, s[0:1]
	v_bfrev_b32_e32 v24, 1
	s_waitcnt vmcnt(5)
	v_cmp_lt_i32_e32 vcc, -1, v12
	v_cndmask_b32_e32 v0, -1, v24, vcc
	v_xor_b32_e32 v12, v0, v12
	s_brev_b32 s2, -2
	v_cmp_ne_u32_e32 vcc, s2, v12
	v_cndmask_b32_e32 v0, v24, v12, vcc
	v_lshrrev_b32_e32 v0, s44, v0
	v_and_b32_e32 v2, s16, v0
	v_and_b32_e32 v1, 1, v2
	v_add_co_u32_e32 v3, vcc, -1, v1
	v_addc_co_u32_e64 v23, s[0:1], 0, -1, vcc
	v_cmp_ne_u32_e32 vcc, 0, v1
	v_lshl_add_u32 v0, v2, 4, v2
	v_xor_b32_e32 v1, vcc_hi, v23
	v_add_lshl_u32 v27, v26, v0, 2
	v_mov_b32_e32 v0, 0
	v_and_b32_e32 v23, exec_hi, v1
	v_lshlrev_b32_e32 v1, 30, v2
	v_xor_b32_e32 v3, vcc_lo, v3
	v_cmp_gt_i64_e32 vcc, 0, v[0:1]
	v_not_b32_e32 v1, v1
	v_ashrrev_i32_e32 v1, 31, v1
	v_and_b32_e32 v3, exec_lo, v3
	v_xor_b32_e32 v28, vcc_hi, v1
	v_xor_b32_e32 v1, vcc_lo, v1
	v_and_b32_e32 v3, v3, v1
	v_lshlrev_b32_e32 v1, 29, v2
	v_cmp_gt_i64_e32 vcc, 0, v[0:1]
	v_not_b32_e32 v1, v1
	v_ashrrev_i32_e32 v1, 31, v1
	v_and_b32_e32 v23, v23, v28
	v_xor_b32_e32 v28, vcc_hi, v1
	v_xor_b32_e32 v1, vcc_lo, v1
	v_and_b32_e32 v3, v3, v1
	v_lshlrev_b32_e32 v1, 28, v2
	v_cmp_gt_i64_e32 vcc, 0, v[0:1]
	v_not_b32_e32 v1, v1
	v_ashrrev_i32_e32 v1, 31, v1
	v_and_b32_e32 v23, v23, v28
	;; [unrolled: 8-line block ×5, first 2 shown]
	v_xor_b32_e32 v28, vcc_hi, v1
	v_xor_b32_e32 v1, vcc_lo, v1
	v_and_b32_e32 v23, v23, v28
	v_and_b32_e32 v28, v3, v1
	v_lshlrev_b32_e32 v1, 24, v2
	v_cmp_gt_i64_e32 vcc, 0, v[0:1]
	v_not_b32_e32 v1, v1
	v_ashrrev_i32_e32 v1, 31, v1
	v_xor_b32_e32 v2, vcc_hi, v1
	v_xor_b32_e32 v1, vcc_lo, v1
	; wave barrier
	ds_read_b32 v20, v27 offset:64
	v_and_b32_e32 v3, v23, v2
	v_and_b32_e32 v2, v28, v1
	v_mbcnt_lo_u32_b32 v1, v2, 0
	v_mbcnt_hi_u32_b32 v23, v3, v1
	v_cmp_eq_u32_e32 vcc, 0, v23
	v_cmp_ne_u64_e64 s[0:1], 0, v[2:3]
	s_and_b64 s[4:5], s[0:1], vcc
	; wave barrier
	s_and_saveexec_b64 s[0:1], s[4:5]
	s_cbranch_execz .LBB1865_88
; %bb.87:
	v_bcnt_u32_b32 v1, v2, 0
	v_bcnt_u32_b32 v1, v3, v1
	s_waitcnt lgkmcnt(0)
	v_add_u32_e32 v1, v20, v1
	ds_write_b32 v27, v1 offset:64
.LBB1865_88:
	s_or_b64 exec, exec, s[0:1]
	s_waitcnt vmcnt(4)
	v_cmp_lt_i32_e32 vcc, -1, v13
	v_cndmask_b32_e32 v1, -1, v24, vcc
	v_xor_b32_e32 v13, v1, v13
	v_cmp_ne_u32_e32 vcc, s2, v13
	v_cndmask_b32_e32 v1, v24, v13, vcc
	v_lshrrev_b32_e32 v1, s44, v1
	v_and_b32_e32 v2, s16, v1
	v_lshl_add_u32 v1, v2, 4, v2
	v_add_lshl_u32 v30, v26, v1, 2
	v_and_b32_e32 v1, 1, v2
	v_add_co_u32_e32 v3, vcc, -1, v1
	v_addc_co_u32_e64 v28, s[0:1], 0, -1, vcc
	v_cmp_ne_u32_e32 vcc, 0, v1
	v_xor_b32_e32 v1, vcc_hi, v28
	v_and_b32_e32 v28, exec_hi, v1
	v_lshlrev_b32_e32 v1, 30, v2
	v_xor_b32_e32 v3, vcc_lo, v3
	v_cmp_gt_i64_e32 vcc, 0, v[0:1]
	v_not_b32_e32 v1, v1
	v_ashrrev_i32_e32 v1, 31, v1
	v_and_b32_e32 v3, exec_lo, v3
	v_xor_b32_e32 v29, vcc_hi, v1
	v_xor_b32_e32 v1, vcc_lo, v1
	v_and_b32_e32 v3, v3, v1
	v_lshlrev_b32_e32 v1, 29, v2
	v_cmp_gt_i64_e32 vcc, 0, v[0:1]
	v_not_b32_e32 v1, v1
	v_ashrrev_i32_e32 v1, 31, v1
	v_and_b32_e32 v28, v28, v29
	v_xor_b32_e32 v29, vcc_hi, v1
	v_xor_b32_e32 v1, vcc_lo, v1
	v_and_b32_e32 v3, v3, v1
	v_lshlrev_b32_e32 v1, 28, v2
	v_cmp_gt_i64_e32 vcc, 0, v[0:1]
	v_not_b32_e32 v1, v1
	v_ashrrev_i32_e32 v1, 31, v1
	v_and_b32_e32 v28, v28, v29
	;; [unrolled: 8-line block ×5, first 2 shown]
	v_xor_b32_e32 v29, vcc_hi, v1
	v_xor_b32_e32 v1, vcc_lo, v1
	v_and_b32_e32 v3, v3, v1
	v_lshlrev_b32_e32 v1, 24, v2
	v_cmp_gt_i64_e32 vcc, 0, v[0:1]
	v_not_b32_e32 v0, v1
	v_ashrrev_i32_e32 v0, 31, v0
	v_xor_b32_e32 v1, vcc_hi, v0
	v_xor_b32_e32 v0, vcc_lo, v0
	; wave barrier
	ds_read_b32 v24, v30 offset:64
	v_and_b32_e32 v28, v28, v29
	v_and_b32_e32 v0, v3, v0
	;; [unrolled: 1-line block ×3, first 2 shown]
	v_mbcnt_lo_u32_b32 v2, v0, 0
	v_mbcnt_hi_u32_b32 v28, v1, v2
	v_cmp_eq_u32_e32 vcc, 0, v28
	v_cmp_ne_u64_e64 s[0:1], 0, v[0:1]
	s_and_b64 s[2:3], s[0:1], vcc
	; wave barrier
	s_and_saveexec_b64 s[0:1], s[2:3]
	s_cbranch_execz .LBB1865_90
; %bb.89:
	v_bcnt_u32_b32 v0, v0, 0
	v_bcnt_u32_b32 v0, v1, v0
	s_waitcnt lgkmcnt(0)
	v_add_u32_e32 v0, v24, v0
	ds_write_b32 v30, v0 offset:64
.LBB1865_90:
	s_or_b64 exec, exec, s[0:1]
	v_bfrev_b32_e32 v31, 1
	s_waitcnt vmcnt(3)
	v_cmp_lt_i32_e32 vcc, -1, v14
	v_cndmask_b32_e32 v0, -1, v31, vcc
	v_xor_b32_e32 v14, v0, v14
	s_brev_b32 s2, -2
	v_cmp_ne_u32_e32 vcc, s2, v14
	v_cndmask_b32_e32 v0, v31, v14, vcc
	v_lshrrev_b32_e32 v0, s44, v0
	v_and_b32_e32 v2, s16, v0
	v_and_b32_e32 v1, 1, v2
	v_add_co_u32_e32 v3, vcc, -1, v1
	v_addc_co_u32_e64 v33, s[0:1], 0, -1, vcc
	v_cmp_ne_u32_e32 vcc, 0, v1
	v_lshl_add_u32 v0, v2, 4, v2
	v_xor_b32_e32 v1, vcc_hi, v33
	v_add_lshl_u32 v32, v26, v0, 2
	v_mov_b32_e32 v0, 0
	v_and_b32_e32 v33, exec_hi, v1
	v_lshlrev_b32_e32 v1, 30, v2
	v_xor_b32_e32 v3, vcc_lo, v3
	v_cmp_gt_i64_e32 vcc, 0, v[0:1]
	v_not_b32_e32 v1, v1
	v_ashrrev_i32_e32 v1, 31, v1
	v_and_b32_e32 v3, exec_lo, v3
	v_xor_b32_e32 v34, vcc_hi, v1
	v_xor_b32_e32 v1, vcc_lo, v1
	v_and_b32_e32 v3, v3, v1
	v_lshlrev_b32_e32 v1, 29, v2
	v_cmp_gt_i64_e32 vcc, 0, v[0:1]
	v_not_b32_e32 v1, v1
	v_ashrrev_i32_e32 v1, 31, v1
	v_and_b32_e32 v33, v33, v34
	v_xor_b32_e32 v34, vcc_hi, v1
	v_xor_b32_e32 v1, vcc_lo, v1
	v_and_b32_e32 v3, v3, v1
	v_lshlrev_b32_e32 v1, 28, v2
	v_cmp_gt_i64_e32 vcc, 0, v[0:1]
	v_not_b32_e32 v1, v1
	v_ashrrev_i32_e32 v1, 31, v1
	v_and_b32_e32 v33, v33, v34
	;; [unrolled: 8-line block ×5, first 2 shown]
	v_xor_b32_e32 v34, vcc_hi, v1
	v_xor_b32_e32 v1, vcc_lo, v1
	v_and_b32_e32 v33, v33, v34
	v_and_b32_e32 v34, v3, v1
	v_lshlrev_b32_e32 v1, 24, v2
	v_cmp_gt_i64_e32 vcc, 0, v[0:1]
	v_not_b32_e32 v1, v1
	v_ashrrev_i32_e32 v1, 31, v1
	v_xor_b32_e32 v2, vcc_hi, v1
	v_xor_b32_e32 v1, vcc_lo, v1
	; wave barrier
	ds_read_b32 v29, v32 offset:64
	v_and_b32_e32 v3, v33, v2
	v_and_b32_e32 v2, v34, v1
	v_mbcnt_lo_u32_b32 v1, v2, 0
	v_mbcnt_hi_u32_b32 v34, v3, v1
	v_cmp_eq_u32_e32 vcc, 0, v34
	v_cmp_ne_u64_e64 s[0:1], 0, v[2:3]
	s_and_b64 s[4:5], s[0:1], vcc
	; wave barrier
	s_and_saveexec_b64 s[0:1], s[4:5]
	s_cbranch_execz .LBB1865_92
; %bb.91:
	v_bcnt_u32_b32 v1, v2, 0
	v_bcnt_u32_b32 v1, v3, v1
	s_waitcnt lgkmcnt(0)
	v_add_u32_e32 v1, v29, v1
	ds_write_b32 v32, v1 offset:64
.LBB1865_92:
	s_or_b64 exec, exec, s[0:1]
	s_waitcnt vmcnt(2)
	v_cmp_lt_i32_e32 vcc, -1, v17
	v_cndmask_b32_e32 v1, -1, v31, vcc
	v_xor_b32_e32 v17, v1, v17
	v_cmp_ne_u32_e32 vcc, s2, v17
	v_cndmask_b32_e32 v1, v31, v17, vcc
	v_lshrrev_b32_e32 v1, s44, v1
	v_and_b32_e32 v2, s16, v1
	v_lshl_add_u32 v1, v2, 4, v2
	v_add_lshl_u32 v37, v26, v1, 2
	v_and_b32_e32 v1, 1, v2
	v_add_co_u32_e32 v3, vcc, -1, v1
	v_addc_co_u32_e64 v31, s[0:1], 0, -1, vcc
	v_cmp_ne_u32_e32 vcc, 0, v1
	v_xor_b32_e32 v1, vcc_hi, v31
	v_and_b32_e32 v31, exec_hi, v1
	v_lshlrev_b32_e32 v1, 30, v2
	v_xor_b32_e32 v3, vcc_lo, v3
	v_cmp_gt_i64_e32 vcc, 0, v[0:1]
	v_not_b32_e32 v1, v1
	v_ashrrev_i32_e32 v1, 31, v1
	v_and_b32_e32 v3, exec_lo, v3
	v_xor_b32_e32 v35, vcc_hi, v1
	v_xor_b32_e32 v1, vcc_lo, v1
	v_and_b32_e32 v3, v3, v1
	v_lshlrev_b32_e32 v1, 29, v2
	v_cmp_gt_i64_e32 vcc, 0, v[0:1]
	v_not_b32_e32 v1, v1
	v_ashrrev_i32_e32 v1, 31, v1
	v_and_b32_e32 v31, v31, v35
	v_xor_b32_e32 v35, vcc_hi, v1
	v_xor_b32_e32 v1, vcc_lo, v1
	v_and_b32_e32 v3, v3, v1
	v_lshlrev_b32_e32 v1, 28, v2
	v_cmp_gt_i64_e32 vcc, 0, v[0:1]
	v_not_b32_e32 v1, v1
	v_ashrrev_i32_e32 v1, 31, v1
	v_and_b32_e32 v31, v31, v35
	;; [unrolled: 8-line block ×5, first 2 shown]
	v_xor_b32_e32 v35, vcc_hi, v1
	v_xor_b32_e32 v1, vcc_lo, v1
	v_and_b32_e32 v3, v3, v1
	v_lshlrev_b32_e32 v1, 24, v2
	v_cmp_gt_i64_e32 vcc, 0, v[0:1]
	v_not_b32_e32 v0, v1
	v_ashrrev_i32_e32 v0, 31, v0
	v_xor_b32_e32 v1, vcc_hi, v0
	v_xor_b32_e32 v0, vcc_lo, v0
	; wave barrier
	ds_read_b32 v33, v37 offset:64
	v_and_b32_e32 v31, v31, v35
	v_and_b32_e32 v0, v3, v0
	;; [unrolled: 1-line block ×3, first 2 shown]
	v_mbcnt_lo_u32_b32 v2, v0, 0
	v_mbcnt_hi_u32_b32 v35, v1, v2
	v_cmp_eq_u32_e32 vcc, 0, v35
	v_cmp_ne_u64_e64 s[0:1], 0, v[0:1]
	s_and_b64 s[2:3], s[0:1], vcc
	; wave barrier
	s_and_saveexec_b64 s[0:1], s[2:3]
	s_cbranch_execz .LBB1865_94
; %bb.93:
	v_bcnt_u32_b32 v0, v0, 0
	v_bcnt_u32_b32 v0, v1, v0
	s_waitcnt lgkmcnt(0)
	v_add_u32_e32 v0, v33, v0
	ds_write_b32 v37, v0 offset:64
.LBB1865_94:
	s_or_b64 exec, exec, s[0:1]
	v_bfrev_b32_e32 v31, 1
	s_waitcnt vmcnt(1)
	v_cmp_lt_i32_e32 vcc, -1, v21
	v_cndmask_b32_e32 v0, -1, v31, vcc
	v_xor_b32_e32 v21, v0, v21
	s_brev_b32 s2, -2
	v_cmp_ne_u32_e32 vcc, s2, v21
	v_cndmask_b32_e32 v0, v31, v21, vcc
	v_lshrrev_b32_e32 v0, s44, v0
	v_and_b32_e32 v2, s16, v0
	v_and_b32_e32 v1, 1, v2
	v_add_co_u32_e32 v3, vcc, -1, v1
	v_addc_co_u32_e64 v38, s[0:1], 0, -1, vcc
	v_cmp_ne_u32_e32 vcc, 0, v1
	v_lshl_add_u32 v0, v2, 4, v2
	v_xor_b32_e32 v1, vcc_hi, v38
	v_add_lshl_u32 v40, v26, v0, 2
	v_mov_b32_e32 v0, 0
	v_and_b32_e32 v38, exec_hi, v1
	v_lshlrev_b32_e32 v1, 30, v2
	v_xor_b32_e32 v3, vcc_lo, v3
	v_cmp_gt_i64_e32 vcc, 0, v[0:1]
	v_not_b32_e32 v1, v1
	v_ashrrev_i32_e32 v1, 31, v1
	v_and_b32_e32 v3, exec_lo, v3
	v_xor_b32_e32 v39, vcc_hi, v1
	v_xor_b32_e32 v1, vcc_lo, v1
	v_and_b32_e32 v3, v3, v1
	v_lshlrev_b32_e32 v1, 29, v2
	v_cmp_gt_i64_e32 vcc, 0, v[0:1]
	v_not_b32_e32 v1, v1
	v_ashrrev_i32_e32 v1, 31, v1
	v_and_b32_e32 v38, v38, v39
	v_xor_b32_e32 v39, vcc_hi, v1
	v_xor_b32_e32 v1, vcc_lo, v1
	v_and_b32_e32 v3, v3, v1
	v_lshlrev_b32_e32 v1, 28, v2
	v_cmp_gt_i64_e32 vcc, 0, v[0:1]
	v_not_b32_e32 v1, v1
	v_ashrrev_i32_e32 v1, 31, v1
	v_and_b32_e32 v38, v38, v39
	v_xor_b32_e32 v39, vcc_hi, v1
	v_xor_b32_e32 v1, vcc_lo, v1
	v_and_b32_e32 v3, v3, v1
	v_lshlrev_b32_e32 v1, 27, v2
	v_cmp_gt_i64_e32 vcc, 0, v[0:1]
	v_not_b32_e32 v1, v1
	v_ashrrev_i32_e32 v1, 31, v1
	v_and_b32_e32 v38, v38, v39
	v_xor_b32_e32 v39, vcc_hi, v1
	v_xor_b32_e32 v1, vcc_lo, v1
	v_and_b32_e32 v3, v3, v1
	v_lshlrev_b32_e32 v1, 26, v2
	v_cmp_gt_i64_e32 vcc, 0, v[0:1]
	v_not_b32_e32 v1, v1
	v_ashrrev_i32_e32 v1, 31, v1
	v_and_b32_e32 v38, v38, v39
	v_xor_b32_e32 v39, vcc_hi, v1
	v_xor_b32_e32 v1, vcc_lo, v1
	v_and_b32_e32 v3, v3, v1
	v_lshlrev_b32_e32 v1, 25, v2
	v_cmp_gt_i64_e32 vcc, 0, v[0:1]
	v_not_b32_e32 v1, v1
	v_ashrrev_i32_e32 v1, 31, v1
	v_and_b32_e32 v38, v38, v39
	v_xor_b32_e32 v39, vcc_hi, v1
	v_xor_b32_e32 v1, vcc_lo, v1
	v_and_b32_e32 v38, v38, v39
	v_and_b32_e32 v39, v3, v1
	v_lshlrev_b32_e32 v1, 24, v2
	v_cmp_gt_i64_e32 vcc, 0, v[0:1]
	v_not_b32_e32 v1, v1
	v_ashrrev_i32_e32 v1, 31, v1
	v_xor_b32_e32 v2, vcc_hi, v1
	v_xor_b32_e32 v1, vcc_lo, v1
	; wave barrier
	ds_read_b32 v36, v40 offset:64
	v_and_b32_e32 v3, v38, v2
	v_and_b32_e32 v2, v39, v1
	v_mbcnt_lo_u32_b32 v1, v2, 0
	v_mbcnt_hi_u32_b32 v38, v3, v1
	v_cmp_eq_u32_e32 vcc, 0, v38
	v_cmp_ne_u64_e64 s[0:1], 0, v[2:3]
	s_and_b64 s[4:5], s[0:1], vcc
	; wave barrier
	s_and_saveexec_b64 s[0:1], s[4:5]
	s_cbranch_execz .LBB1865_96
; %bb.95:
	v_bcnt_u32_b32 v1, v2, 0
	v_bcnt_u32_b32 v1, v3, v1
	s_waitcnt lgkmcnt(0)
	v_add_u32_e32 v1, v36, v1
	ds_write_b32 v40, v1 offset:64
.LBB1865_96:
	s_or_b64 exec, exec, s[0:1]
	s_waitcnt vmcnt(0)
	v_cmp_lt_i32_e32 vcc, -1, v25
	v_cndmask_b32_e32 v1, -1, v31, vcc
	v_xor_b32_e32 v25, v1, v25
	v_cmp_ne_u32_e32 vcc, s2, v25
	v_cndmask_b32_e32 v1, v31, v25, vcc
	v_lshrrev_b32_e32 v1, s44, v1
	v_and_b32_e32 v2, s16, v1
	v_lshl_add_u32 v1, v2, 4, v2
	v_add_lshl_u32 v26, v1, v26, 2
	v_and_b32_e32 v1, 1, v2
	v_add_co_u32_e32 v3, vcc, -1, v1
	v_addc_co_u32_e64 v31, s[0:1], 0, -1, vcc
	v_cmp_ne_u32_e32 vcc, 0, v1
	v_xor_b32_e32 v1, vcc_hi, v31
	v_and_b32_e32 v31, exec_hi, v1
	v_lshlrev_b32_e32 v1, 30, v2
	v_xor_b32_e32 v3, vcc_lo, v3
	v_cmp_gt_i64_e32 vcc, 0, v[0:1]
	v_not_b32_e32 v1, v1
	v_ashrrev_i32_e32 v1, 31, v1
	v_and_b32_e32 v3, exec_lo, v3
	v_xor_b32_e32 v41, vcc_hi, v1
	v_xor_b32_e32 v1, vcc_lo, v1
	v_and_b32_e32 v3, v3, v1
	v_lshlrev_b32_e32 v1, 29, v2
	v_cmp_gt_i64_e32 vcc, 0, v[0:1]
	v_not_b32_e32 v1, v1
	v_ashrrev_i32_e32 v1, 31, v1
	v_and_b32_e32 v31, v31, v41
	v_xor_b32_e32 v41, vcc_hi, v1
	v_xor_b32_e32 v1, vcc_lo, v1
	v_and_b32_e32 v3, v3, v1
	v_lshlrev_b32_e32 v1, 28, v2
	v_cmp_gt_i64_e32 vcc, 0, v[0:1]
	v_not_b32_e32 v1, v1
	v_ashrrev_i32_e32 v1, 31, v1
	v_and_b32_e32 v31, v31, v41
	;; [unrolled: 8-line block ×5, first 2 shown]
	v_xor_b32_e32 v41, vcc_hi, v1
	v_xor_b32_e32 v1, vcc_lo, v1
	v_and_b32_e32 v3, v3, v1
	v_lshlrev_b32_e32 v1, 24, v2
	v_cmp_gt_i64_e32 vcc, 0, v[0:1]
	v_not_b32_e32 v0, v1
	v_ashrrev_i32_e32 v0, 31, v0
	v_xor_b32_e32 v1, vcc_hi, v0
	v_xor_b32_e32 v0, vcc_lo, v0
	; wave barrier
	ds_read_b32 v39, v26 offset:64
	v_and_b32_e32 v31, v31, v41
	v_and_b32_e32 v0, v3, v0
	;; [unrolled: 1-line block ×3, first 2 shown]
	v_mbcnt_lo_u32_b32 v2, v0, 0
	v_mbcnt_hi_u32_b32 v41, v1, v2
	v_cmp_eq_u32_e32 vcc, 0, v41
	v_cmp_ne_u64_e64 s[0:1], 0, v[0:1]
	v_add_u32_e32 v42, 64, v5
	s_and_b64 s[2:3], s[0:1], vcc
	; wave barrier
	s_and_saveexec_b64 s[0:1], s[2:3]
	s_cbranch_execz .LBB1865_98
; %bb.97:
	v_bcnt_u32_b32 v0, v0, 0
	v_bcnt_u32_b32 v0, v1, v0
	s_waitcnt lgkmcnt(0)
	v_add_u32_e32 v0, v39, v0
	ds_write_b32 v26, v0 offset:64
.LBB1865_98:
	s_or_b64 exec, exec, s[0:1]
	; wave barrier
	s_waitcnt lgkmcnt(0)
	s_barrier
	ds_read2_b32 v[2:3], v5 offset0:16 offset1:17
	ds_read2_b32 v[0:1], v42 offset0:2 offset1:3
	ds_read_b32 v31, v42 offset:16
	v_cmp_lt_u32_e64 s[8:9], 31, v4
	s_waitcnt lgkmcnt(1)
	v_add3_u32 v43, v3, v2, v0
	s_waitcnt lgkmcnt(0)
	v_add3_u32 v31, v43, v1, v31
	v_and_b32_e32 v43, 15, v4
	v_cmp_eq_u32_e32 vcc, 0, v43
	v_mov_b32_dpp v44, v31 row_shr:1 row_mask:0xf bank_mask:0xf
	v_cndmask_b32_e64 v44, v44, 0, vcc
	v_add_u32_e32 v31, v44, v31
	v_cmp_lt_u32_e64 s[0:1], 1, v43
	v_cmp_lt_u32_e64 s[2:3], 3, v43
	v_mov_b32_dpp v44, v31 row_shr:2 row_mask:0xf bank_mask:0xf
	v_cndmask_b32_e64 v44, 0, v44, s[0:1]
	v_add_u32_e32 v31, v31, v44
	v_cmp_lt_u32_e64 s[4:5], 7, v43
	s_nop 0
	v_mov_b32_dpp v44, v31 row_shr:4 row_mask:0xf bank_mask:0xf
	v_cndmask_b32_e64 v44, 0, v44, s[2:3]
	v_add_u32_e32 v31, v31, v44
	s_nop 1
	v_mov_b32_dpp v44, v31 row_shr:8 row_mask:0xf bank_mask:0xf
	v_cndmask_b32_e64 v43, 0, v44, s[4:5]
	v_add_u32_e32 v31, v31, v43
	v_bfe_i32 v44, v4, 4, 1
	s_nop 0
	v_mov_b32_dpp v43, v31 row_bcast:15 row_mask:0xf bank_mask:0xf
	v_and_b32_e32 v43, v44, v43
	v_add_u32_e32 v31, v31, v43
	v_lshrrev_b32_e32 v44, 6, v10
	s_nop 0
	v_mov_b32_dpp v43, v31 row_bcast:31 row_mask:0xf bank_mask:0xf
	v_cndmask_b32_e64 v43, 0, v43, s[8:9]
	v_add_u32_e32 v43, v31, v43
	v_and_b32_e32 v31, 63, v10
	v_cmp_eq_u32_e64 s[8:9], 63, v31
	s_and_saveexec_b64 s[14:15], s[8:9]
	s_cbranch_execz .LBB1865_100
; %bb.99:
	v_lshlrev_b32_e32 v31, 2, v44
	ds_write_b32 v31, v43
.LBB1865_100:
	s_or_b64 exec, exec, s[14:15]
	v_cmp_gt_u32_e64 s[8:9], 16, v10
	v_lshlrev_b32_e32 v31, 2, v10
	s_waitcnt lgkmcnt(0)
	s_barrier
	s_and_saveexec_b64 s[14:15], s[8:9]
	s_cbranch_execz .LBB1865_102
; %bb.101:
	ds_read_b32 v45, v31
	s_waitcnt lgkmcnt(0)
	s_nop 0
	v_mov_b32_dpp v46, v45 row_shr:1 row_mask:0xf bank_mask:0xf
	v_cndmask_b32_e64 v46, v46, 0, vcc
	v_add_u32_e32 v45, v46, v45
	s_nop 1
	v_mov_b32_dpp v46, v45 row_shr:2 row_mask:0xf bank_mask:0xf
	v_cndmask_b32_e64 v46, 0, v46, s[0:1]
	v_add_u32_e32 v45, v45, v46
	s_nop 1
	v_mov_b32_dpp v46, v45 row_shr:4 row_mask:0xf bank_mask:0xf
	v_cndmask_b32_e64 v46, 0, v46, s[2:3]
	;; [unrolled: 4-line block ×3, first 2 shown]
	v_add_u32_e32 v45, v45, v46
	ds_write_b32 v31, v45
.LBB1865_102:
	s_or_b64 exec, exec, s[14:15]
	v_cmp_lt_u32_e32 vcc, 63, v10
	v_mov_b32_e32 v45, 0
	s_waitcnt lgkmcnt(0)
	s_barrier
	s_and_saveexec_b64 s[0:1], vcc
	s_cbranch_execz .LBB1865_104
; %bb.103:
	v_lshl_add_u32 v44, v44, 2, -4
	ds_read_b32 v45, v44
.LBB1865_104:
	s_or_b64 exec, exec, s[0:1]
	v_add_u32_e32 v44, -1, v4
	v_and_b32_e32 v46, 64, v4
	v_cmp_lt_i32_e32 vcc, v44, v46
	v_cndmask_b32_e32 v44, v44, v4, vcc
	s_waitcnt lgkmcnt(0)
	v_add_u32_e32 v43, v45, v43
	v_lshlrev_b32_e32 v44, 2, v44
	ds_bpermute_b32 v43, v44, v43
	v_cmp_eq_u32_e32 vcc, 0, v4
	s_movk_i32 s0, 0x100
	v_cmp_gt_u32_e64 s[0:1], s0, v10
	s_waitcnt lgkmcnt(0)
	v_cndmask_b32_e32 v4, v43, v45, vcc
	v_cmp_ne_u32_e32 vcc, 0, v10
	v_cndmask_b32_e32 v4, 0, v4, vcc
	v_add_u32_e32 v2, v4, v2
	v_add_u32_e32 v3, v2, v3
	;; [unrolled: 1-line block ×4, first 2 shown]
	ds_write2_b32 v5, v4, v2 offset0:16 offset1:17
	ds_write2_b32 v42, v3, v0 offset0:2 offset1:3
	ds_write_b32 v42, v1 offset:16
	s_waitcnt lgkmcnt(0)
	s_barrier
	ds_read_b32 v45, v18 offset:64
	ds_read_b32 v18, v22 offset:64
	;; [unrolled: 1-line block ×8, first 2 shown]
                                        ; implicit-def: $vgpr22
                                        ; implicit-def: $vgpr26
	s_and_saveexec_b64 s[2:3], s[0:1]
	s_cbranch_execz .LBB1865_108
; %bb.105:
	v_mul_u32_u24_e32 v0, 17, v10
	v_lshlrev_b32_e32 v1, 2, v0
	ds_read_b32 v22, v1 offset:64
	s_movk_i32 s4, 0xff
	v_cmp_ne_u32_e32 vcc, s4, v10
	v_mov_b32_e32 v0, 0x2000
	s_and_saveexec_b64 s[4:5], vcc
	s_cbranch_execz .LBB1865_107
; %bb.106:
	ds_read_b32 v0, v1 offset:132
.LBB1865_107:
	s_or_b64 exec, exec, s[4:5]
	s_waitcnt lgkmcnt(0)
	v_sub_u32_e32 v26, v0, v22
.LBB1865_108:
	s_or_b64 exec, exec, s[2:3]
	s_waitcnt lgkmcnt(0)
	s_barrier
	s_and_saveexec_b64 s[2:3], s[0:1]
	s_cbranch_execz .LBB1865_118
; %bb.109:
	v_lshl_or_b32 v0, s6, 8, v10
	v_mov_b32_e32 v1, 0
	v_lshlrev_b64 v[2:3], 2, v[0:1]
	v_mov_b32_e32 v27, s35
	v_add_co_u32_e32 v2, vcc, s34, v2
	v_addc_co_u32_e32 v3, vcc, v27, v3, vcc
	v_or_b32_e32 v0, 2.0, v26
	s_mov_b64 s[4:5], 0
	s_brev_b32 s17, 1
	s_mov_b32 s18, s6
	v_mov_b32_e32 v40, 0
	global_store_dword v[2:3], v0, off
                                        ; implicit-def: $sgpr8_sgpr9
	s_branch .LBB1865_112
.LBB1865_110:                           ;   in Loop: Header=BB1865_112 Depth=1
	s_or_b64 exec, exec, s[14:15]
.LBB1865_111:                           ;   in Loop: Header=BB1865_112 Depth=1
	s_or_b64 exec, exec, s[8:9]
	v_and_b32_e32 v4, 0x3fffffff, v46
	v_add_u32_e32 v40, v4, v40
	v_cmp_eq_u32_e64 s[8:9], s17, v0
	s_and_b64 s[14:15], exec, s[8:9]
	s_or_b64 s[4:5], s[14:15], s[4:5]
	s_andn2_b64 exec, exec, s[4:5]
	s_cbranch_execz .LBB1865_117
.LBB1865_112:                           ; =>This Loop Header: Depth=1
                                        ;     Child Loop BB1865_115 Depth 2
	s_or_b64 s[8:9], s[8:9], exec
	s_cmp_eq_u32 s18, 0
	s_cbranch_scc1 .LBB1865_116
; %bb.113:                              ;   in Loop: Header=BB1865_112 Depth=1
	s_add_i32 s18, s18, -1
	v_lshl_or_b32 v0, s18, 8, v10
	v_lshlrev_b64 v[4:5], 2, v[0:1]
	v_add_co_u32_e32 v4, vcc, s34, v4
	v_addc_co_u32_e32 v5, vcc, v27, v5, vcc
	global_load_dword v46, v[4:5], off glc
	s_waitcnt vmcnt(0)
	v_and_b32_e32 v0, -2.0, v46
	v_cmp_eq_u32_e32 vcc, 0, v0
	s_and_saveexec_b64 s[8:9], vcc
	s_cbranch_execz .LBB1865_111
; %bb.114:                              ;   in Loop: Header=BB1865_112 Depth=1
	s_mov_b64 s[14:15], 0
.LBB1865_115:                           ;   Parent Loop BB1865_112 Depth=1
                                        ; =>  This Inner Loop Header: Depth=2
	global_load_dword v46, v[4:5], off glc
	s_waitcnt vmcnt(0)
	v_and_b32_e32 v0, -2.0, v46
	v_cmp_ne_u32_e32 vcc, 0, v0
	s_or_b64 s[14:15], vcc, s[14:15]
	s_andn2_b64 exec, exec, s[14:15]
	s_cbranch_execnz .LBB1865_115
	s_branch .LBB1865_110
.LBB1865_116:                           ;   in Loop: Header=BB1865_112 Depth=1
                                        ; implicit-def: $sgpr18
	s_and_b64 s[14:15], exec, s[8:9]
	s_or_b64 s[4:5], s[14:15], s[4:5]
	s_andn2_b64 exec, exec, s[4:5]
	s_cbranch_execnz .LBB1865_112
.LBB1865_117:
	s_or_b64 exec, exec, s[4:5]
	v_add_u32_e32 v0, v40, v26
	v_or_b32_e32 v0, 0x80000000, v0
	global_store_dword v[2:3], v0, off
	global_load_dword v0, v31, s[28:29]
	v_sub_u32_e32 v1, v40, v22
	s_waitcnt vmcnt(0)
	v_add_u32_e32 v0, v1, v0
	ds_write_b32 v31, v0
.LBB1865_118:
	s_or_b64 exec, exec, s[2:3]
	v_add_u32_e32 v27, v45, v15
	s_movk_i32 s4, 0x400
	v_add_u32_e32 v2, 0x400, v31
	v_add3_u32 v30, v41, v30, v39
	v_add3_u32 v32, v38, v32, v36
	;; [unrolled: 1-line block ×7, first 2 shown]
	s_mov_b64 s[2:3], -1
	s_mov_b32 s5, 0
	s_brev_b32 s8, -2
	v_bfrev_b32_e32 v3, 1
	v_mov_b32_e32 v4, s39
	s_movk_i32 s9, 0x800
	s_movk_i32 s14, 0xc00
	v_mov_b32_e32 v1, 0
	v_mov_b32_e32 v5, v10
	s_mov_b32 s15, 0
                                        ; implicit-def: $vgpr40
                                        ; implicit-def: $vgpr39
                                        ; implicit-def: $vgpr38
                                        ; implicit-def: $vgpr37
                                        ; implicit-def: $vgpr36
                                        ; implicit-def: $vgpr35
                                        ; implicit-def: $vgpr34
                                        ; implicit-def: $vgpr28
.LBB1865_119:                           ; =>This Inner Loop Header: Depth=1
	v_add_u32_e32 v0, s5, v27
	v_add_u32_e32 v18, s5, v24
	;; [unrolled: 1-line block ×8, first 2 shown]
	v_min_u32_e32 v0, 0x1000, v0
	v_min_u32_e32 v18, 0x1000, v18
	;; [unrolled: 1-line block ×8, first 2 shown]
	v_lshlrev_b32_e32 v0, 2, v0
	v_lshlrev_b32_e32 v18, 2, v18
	;; [unrolled: 1-line block ×8, first 2 shown]
	ds_write_b32 v0, v8 offset:1024
	ds_write_b32 v15, v9 offset:1024
	;; [unrolled: 1-line block ×8, first 2 shown]
	s_waitcnt lgkmcnt(0)
	s_barrier
	ds_read_b32 v0, v31 offset:1024
	ds_read2st64_b32 v[18:19], v2 offset0:16 offset1:32
	s_cmp_eq_u32 s15, 0
	s_waitcnt lgkmcnt(1)
	v_cmp_ne_u32_e32 vcc, s8, v0
	v_cndmask_b32_e32 v15, v3, v0, vcc
	v_cmp_lt_i32_e32 vcc, -1, v0
	v_cndmask_b32_e64 v16, v3, -1, vcc
	s_waitcnt lgkmcnt(0)
	v_cmp_ne_u32_e32 vcc, s8, v18
	v_cndmask_b32_e32 v41, v3, v18, vcc
	v_cmp_lt_i32_e32 vcc, -1, v18
	v_cndmask_b32_e64 v42, v3, -1, vcc
	v_cmp_ne_u32_e32 vcc, s8, v19
	v_cndmask_b32_e32 v43, v3, v19, vcc
	v_cmp_lt_i32_e32 vcc, -1, v19
	v_lshrrev_b32_e32 v15, s44, v15
	v_cndmask_b32_e64 v44, v3, -1, vcc
	v_xor_b32_e32 v16, v16, v0
	v_lshrrev_b32_e32 v0, s44, v41
	v_and_b32_e32 v15, s16, v15
	s_cselect_b64 vcc, -1, 0
	s_cmp_eq_u32 s15, 1
	v_xor_b32_e32 v41, v42, v18
	v_lshrrev_b32_e32 v18, s44, v43
	v_and_b32_e32 v43, s16, v0
	v_cndmask_b32_e32 v40, v40, v15, vcc
	s_cselect_b64 vcc, -1, 0
	s_cmp_eq_u32 s15, 2
	v_xor_b32_e32 v42, v44, v19
	v_and_b32_e32 v44, s16, v18
	v_lshlrev_b32_e32 v0, 2, v15
	v_cndmask_b32_e32 v39, v39, v15, vcc
	v_lshlrev_b32_e32 v18, 2, v43
	s_cselect_b64 vcc, -1, 0
	s_cmp_eq_u32 s15, 3
	v_lshlrev_b32_e32 v19, 2, v44
	v_cndmask_b32_e32 v38, v38, v15, vcc
	ds_read_b32 v45, v18
	ds_read_b32 v46, v19
	;; [unrolled: 1-line block ×3, first 2 shown]
	ds_read_b32 v47, v2 offset:12288
	s_cselect_b64 vcc, -1, 0
	s_cmp_eq_u32 s15, 4
	v_cndmask_b32_e32 v37, v37, v15, vcc
	s_cselect_b64 vcc, -1, 0
	s_cmp_eq_u32 s15, 5
	v_cndmask_b32_e32 v36, v36, v15, vcc
	;; [unrolled: 3-line block ×4, first 2 shown]
	s_cselect_b64 vcc, -1, 0
	s_waitcnt lgkmcnt(1)
	v_add_u32_e32 v0, v5, v0
	v_cndmask_b32_e32 v15, v28, v15, vcc
	s_waitcnt lgkmcnt(0)
	v_cmp_ne_u32_e32 vcc, s8, v47
	v_cndmask_b32_e32 v28, v3, v47, vcc
	v_cmp_lt_i32_e32 vcc, -1, v47
	v_lshlrev_b64 v[18:19], 2, v[0:1]
	s_or_b32 s17, s15, 1
	v_cndmask_b32_e64 v34, v3, -1, vcc
	v_add_co_u32_e32 v18, vcc, s38, v18
	v_add3_u32 v0, v5, v45, s4
	s_cmp_eq_u32 s17, 7
	v_addc_co_u32_e32 v19, vcc, v4, v19, vcc
	v_xor_b32_e32 v45, v34, v47
	v_lshlrev_b64 v[34:35], 2, v[0:1]
	s_cselect_b64 vcc, -1, 0
	v_cndmask_b32_e32 v15, v15, v43, vcc
	global_store_dword v[18:19], v16, off
	v_add_co_u32_e32 v18, vcc, s38, v34
	s_cmp_eq_u32 s17, 6
	v_addc_co_u32_e32 v19, vcc, v4, v35, vcc
	v_add3_u32 v0, v5, v46, s9
	s_cselect_b64 vcc, -1, 0
	s_cmp_eq_u32 s17, 5
	v_lshrrev_b32_e32 v28, s44, v28
	v_cndmask_b32_e32 v16, v49, v43, vcc
	v_lshlrev_b64 v[34:35], 2, v[0:1]
	s_cselect_b64 vcc, -1, 0
	v_and_b32_e32 v46, s16, v28
	global_store_dword v[18:19], v41, off
	v_cndmask_b32_e32 v28, v48, v43, vcc
	v_add_co_u32_e32 v18, vcc, s38, v34
	v_lshlrev_b32_e32 v0, 2, v46
	s_cmp_eq_u32 s17, 4
	v_addc_co_u32_e32 v19, vcc, v4, v35, vcc
	ds_read_b32 v0, v0
	s_cselect_b64 vcc, -1, 0
	s_cmp_eq_u32 s17, 3
	v_cndmask_b32_e32 v34, v36, v43, vcc
	s_cselect_b64 vcc, -1, 0
	s_cmp_eq_u32 s17, 2
	v_cndmask_b32_e32 v35, v37, v43, vcc
	s_cselect_b64 vcc, -1, 0
	s_cmp_eq_u32 s17, 1
	v_cndmask_b32_e32 v36, v38, v43, vcc
	s_cselect_b64 vcc, -1, 0
	s_cmp_eq_u32 s17, 0
	v_cndmask_b32_e32 v37, v39, v43, vcc
	s_cselect_b64 vcc, -1, 0
	s_or_b32 s17, s15, 2
	s_waitcnt lgkmcnt(0)
	v_add3_u32 v0, v5, v0, s14
	s_cmp_eq_u32 s17, 0
	global_store_dword v[18:19], v42, off
	v_cndmask_b32_e32 v38, v40, v43, vcc
	v_lshlrev_b64 v[18:19], 2, v[0:1]
	s_cselect_b64 vcc, -1, 0
	v_cndmask_b32_e32 v0, v38, v44, vcc
	v_add_co_u32_e32 v18, vcc, s38, v18
	s_cmp_eq_u32 s17, 1
	v_addc_co_u32_e32 v19, vcc, v4, v19, vcc
	s_cselect_b64 vcc, -1, 0
	s_cmp_eq_u32 s17, 2
	v_cndmask_b32_e32 v39, v37, v44, vcc
	s_cselect_b64 vcc, -1, 0
	s_cmp_eq_u32 s17, 3
	global_store_dword v[18:19], v45, off
	v_cndmask_b32_e32 v18, v36, v44, vcc
	s_cselect_b64 vcc, -1, 0
	s_cmp_eq_u32 s17, 4
	v_cndmask_b32_e32 v19, v35, v44, vcc
	s_cselect_b64 vcc, -1, 0
	s_cmp_eq_u32 s17, 5
	;; [unrolled: 3-line block ×4, first 2 shown]
	v_cndmask_b32_e32 v16, v16, v44, vcc
	s_cselect_b64 vcc, -1, 0
	s_or_b32 s17, s15, 3
	s_cmp_eq_u32 s17, 7
	v_cndmask_b32_e32 v15, v15, v44, vcc
	s_cselect_b64 vcc, -1, 0
	s_cmp_eq_u32 s17, 6
	v_cndmask_b32_e32 v28, v15, v46, vcc
	s_cselect_b64 vcc, -1, 0
	;; [unrolled: 3-line block ×8, first 2 shown]
	v_add_u32_e32 v5, 0x1000, v5
	s_mov_b32 s15, 4
	v_cndmask_b32_e32 v40, v0, v46, vcc
	s_addk_i32 s5, 0xf000
	s_and_b64 vcc, exec, s[2:3]
	s_mov_b64 s[2:3], 0
	s_barrier
	s_cbranch_vccnz .LBB1865_119
; %bb.120:
	s_lshl_b64 s[2:3], s[12:13], 3
	s_add_u32 s2, s40, s2
	s_addc_u32 s3, s41, s3
	v_lshlrev_b32_e32 v0, 3, v7
	v_mov_b32_e32 v1, s3
	v_add_co_u32_e32 v0, vcc, s2, v0
	v_addc_co_u32_e32 v1, vcc, 0, v1, vcc
	v_lshlrev_b32_e32 v2, 3, v6
	v_add_co_u32_e32 v18, vcc, v0, v2
	v_addc_co_u32_e32 v19, vcc, 0, v1, vcc
	global_load_dwordx2 v[0:1], v[18:19], off
	global_load_dwordx2 v[2:3], v[18:19], off offset:512
	global_load_dwordx2 v[4:5], v[18:19], off offset:1024
	;; [unrolled: 1-line block ×7, first 2 shown]
	s_mov_b32 s2, 0
	s_movk_i32 s3, 0x400
	v_add_u32_e32 v21, 0x400, v11
	s_mov_b32 s4, 1
	v_mov_b32_e32 v19, 0
	v_mov_b32_e32 v25, v10
	s_waitcnt vmcnt(0)
.LBB1865_121:                           ; =>This Inner Loop Header: Depth=1
	s_add_i32 s5, s4, -1
	v_add_u32_e32 v18, s2, v27
	s_cmp_eq_u32 s5, 1
	v_add_u32_e32 v31, s2, v23
	v_add_u32_e32 v41, s2, v20
	;; [unrolled: 1-line block ×7, first 2 shown]
	v_min_u32_e32 v18, 0x800, v18
	s_cselect_b64 vcc, -1, 0
	s_cmp_eq_u32 s5, 2
	v_min_u32_e32 v31, 0x800, v31
	v_min_u32_e32 v41, 0x800, v41
	;; [unrolled: 1-line block ×7, first 2 shown]
	v_lshlrev_b32_e32 v18, 3, v18
	v_cndmask_b32_e32 v47, v40, v39, vcc
	s_cselect_b64 vcc, -1, 0
	s_cmp_eq_u32 s5, 3
	v_lshlrev_b32_e32 v31, 3, v31
	v_lshlrev_b32_e32 v41, 3, v41
	;; [unrolled: 1-line block ×7, first 2 shown]
	ds_write_b64 v18, v[0:1] offset:1024
	ds_write_b64 v31, v[2:3] offset:1024
	;; [unrolled: 1-line block ×8, first 2 shown]
	v_cndmask_b32_e32 v18, v47, v38, vcc
	s_cselect_b64 vcc, -1, 0
	s_cmp_eq_u32 s5, 4
	v_cndmask_b32_e32 v18, v18, v37, vcc
	s_cselect_b64 vcc, -1, 0
	s_cmp_eq_u32 s5, 5
	;; [unrolled: 3-line block ×10, first 2 shown]
	v_lshlrev_b32_e32 v18, 2, v18
	v_cndmask_b32_e32 v31, v31, v35, vcc
	s_cselect_b64 vcc, -1, 0
	s_cmp_eq_u32 s4, 7
	s_waitcnt lgkmcnt(0)
	s_barrier
	ds_read_b64 v[42:43], v11 offset:1024
	ds_read_b32 v18, v18
	ds_read_b64 v[44:45], v21 offset:8192
	v_cndmask_b32_e32 v31, v31, v34, vcc
	s_cselect_b64 vcc, -1, 0
	v_cndmask_b32_e32 v31, v31, v28, vcc
	v_lshlrev_b32_e32 v31, 2, v31
	ds_read_b32 v31, v31
	s_waitcnt lgkmcnt(2)
	v_add_u32_e32 v18, v25, v18
	v_lshlrev_b64 v[46:47], 3, v[18:19]
	v_mov_b32_e32 v48, s43
	v_add_co_u32_e32 v46, vcc, s42, v46
	v_addc_co_u32_e32 v47, vcc, v48, v47, vcc
	s_waitcnt lgkmcnt(0)
	v_add3_u32 v18, v25, v31, s3
	global_store_dwordx2 v[46:47], v[42:43], off
	v_lshlrev_b64 v[42:43], 3, v[18:19]
	s_addk_i32 s2, 0xf800
	s_add_i32 s4, s4, 2
	v_add_co_u32_e32 v42, vcc, s42, v42
	s_cmpk_lg_i32 s2, 0xe000
	v_add_u32_e32 v25, 0x800, v25
	v_addc_co_u32_e32 v43, vcc, v48, v43, vcc
	global_store_dwordx2 v[42:43], v[44:45], off
	s_barrier
	s_cbranch_scc1 .LBB1865_121
; %bb.122:
	s_add_i32 s7, s7, -1
	s_cmp_eq_u32 s7, s6
	s_cselect_b64 s[2:3], -1, 0
	s_and_b64 s[2:3], s[0:1], s[2:3]
                                        ; implicit-def: $vgpr2
	s_and_saveexec_b64 s[0:1], s[2:3]
; %bb.123:
	v_add_u32_e32 v2, v22, v26
	s_or_b64 s[10:11], s[10:11], exec
; %bb.124:
	s_or_b64 exec, exec, s[0:1]
.LBB1865_125:
	s_and_saveexec_b64 s[0:1], s[10:11]
	s_cbranch_execnz .LBB1865_127
; %bb.126:
	s_endpgm
.LBB1865_127:
	v_lshlrev_b32_e32 v3, 2, v10
	ds_read_b32 v3, v3
	v_mov_b32_e32 v11, 0
	v_lshlrev_b64 v[0:1], 2, v[10:11]
	v_mov_b32_e32 v4, s31
	v_add_co_u32_e32 v0, vcc, s30, v0
	v_addc_co_u32_e32 v1, vcc, v4, v1, vcc
	s_waitcnt lgkmcnt(0)
	v_add_u32_e32 v2, v3, v2
	global_store_dword v[0:1], v2, off
	s_endpgm
.LBB1865_128:
	global_load_dwordx2 v[12:13], v[28:29], off
	s_or_b64 exec, exec, s[20:21]
                                        ; implicit-def: $vgpr14_vgpr15
	s_and_saveexec_b64 s[0:1], s[2:3]
	s_cbranch_execz .LBB1865_66
.LBB1865_129:
	global_load_dwordx2 v[14:15], v[28:29], off offset:512
	s_or_b64 exec, exec, s[0:1]
                                        ; implicit-def: $vgpr16_vgpr17
	s_and_saveexec_b64 s[0:1], s[24:25]
	s_cbranch_execz .LBB1865_67
.LBB1865_130:
	global_load_dwordx2 v[16:17], v[28:29], off offset:1024
	s_or_b64 exec, exec, s[0:1]
                                        ; implicit-def: $vgpr18_vgpr19
	s_and_saveexec_b64 s[0:1], s[8:9]
	s_cbranch_execz .LBB1865_68
.LBB1865_131:
	global_load_dwordx2 v[18:19], v[28:29], off offset:1536
	s_or_b64 exec, exec, s[0:1]
                                        ; implicit-def: $vgpr20_vgpr21
	s_and_saveexec_b64 s[0:1], s[10:11]
	s_cbranch_execz .LBB1865_69
.LBB1865_132:
	global_load_dwordx2 v[20:21], v[28:29], off offset:2048
	s_or_b64 exec, exec, s[0:1]
                                        ; implicit-def: $vgpr22_vgpr23
	s_and_saveexec_b64 s[0:1], s[12:13]
	s_cbranch_execz .LBB1865_70
.LBB1865_133:
	global_load_dwordx2 v[22:23], v[28:29], off offset:2560
	s_or_b64 exec, exec, s[0:1]
                                        ; implicit-def: $vgpr24_vgpr25
	s_and_saveexec_b64 s[0:1], s[14:15]
	s_cbranch_execz .LBB1865_71
.LBB1865_134:
	global_load_dwordx2 v[24:25], v[28:29], off offset:3072
	s_or_b64 exec, exec, s[0:1]
                                        ; implicit-def: $vgpr26_vgpr27
	s_and_saveexec_b64 s[0:1], s[16:17]
	s_cbranch_execnz .LBB1865_72
	s_branch .LBB1865_73
	.section	.rodata,"a",@progbits
	.p2align	6, 0x0
	.amdhsa_kernel _ZN7rocprim17ROCPRIM_400000_NS6detail17trampoline_kernelINS0_14default_configENS1_35radix_sort_onesweep_config_selectorIflEEZZNS1_29radix_sort_onesweep_iterationIS3_Lb0EPfS7_N6thrust23THRUST_200600_302600_NS10device_ptrIlEESB_jNS0_19identity_decomposerENS1_16block_id_wrapperIjLb0EEEEE10hipError_tT1_PNSt15iterator_traitsISG_E10value_typeET2_T3_PNSH_ISM_E10value_typeET4_T5_PSR_SS_PNS1_23onesweep_lookback_stateEbbT6_jjT7_P12ihipStream_tbENKUlT_T0_SG_SL_E_clIS7_S7_SB_SB_EEDaSZ_S10_SG_SL_EUlSZ_E_NS1_11comp_targetILNS1_3genE4ELNS1_11target_archE910ELNS1_3gpuE8ELNS1_3repE0EEENS1_47radix_sort_onesweep_sort_config_static_selectorELNS0_4arch9wavefront6targetE1EEEvSG_
		.amdhsa_group_segment_fixed_size 20552
		.amdhsa_private_segment_fixed_size 0
		.amdhsa_kernarg_size 344
		.amdhsa_user_sgpr_count 6
		.amdhsa_user_sgpr_private_segment_buffer 1
		.amdhsa_user_sgpr_dispatch_ptr 0
		.amdhsa_user_sgpr_queue_ptr 0
		.amdhsa_user_sgpr_kernarg_segment_ptr 1
		.amdhsa_user_sgpr_dispatch_id 0
		.amdhsa_user_sgpr_flat_scratch_init 0
		.amdhsa_user_sgpr_kernarg_preload_length 0
		.amdhsa_user_sgpr_kernarg_preload_offset 0
		.amdhsa_user_sgpr_private_segment_size 0
		.amdhsa_uses_dynamic_stack 0
		.amdhsa_system_sgpr_private_segment_wavefront_offset 0
		.amdhsa_system_sgpr_workgroup_id_x 1
		.amdhsa_system_sgpr_workgroup_id_y 0
		.amdhsa_system_sgpr_workgroup_id_z 0
		.amdhsa_system_sgpr_workgroup_info 0
		.amdhsa_system_vgpr_workitem_id 2
		.amdhsa_next_free_vgpr 65
		.amdhsa_next_free_sgpr 54
		.amdhsa_accum_offset 68
		.amdhsa_reserve_vcc 1
		.amdhsa_reserve_flat_scratch 0
		.amdhsa_float_round_mode_32 0
		.amdhsa_float_round_mode_16_64 0
		.amdhsa_float_denorm_mode_32 3
		.amdhsa_float_denorm_mode_16_64 3
		.amdhsa_dx10_clamp 1
		.amdhsa_ieee_mode 1
		.amdhsa_fp16_overflow 0
		.amdhsa_tg_split 0
		.amdhsa_exception_fp_ieee_invalid_op 0
		.amdhsa_exception_fp_denorm_src 0
		.amdhsa_exception_fp_ieee_div_zero 0
		.amdhsa_exception_fp_ieee_overflow 0
		.amdhsa_exception_fp_ieee_underflow 0
		.amdhsa_exception_fp_ieee_inexact 0
		.amdhsa_exception_int_div_zero 0
	.end_amdhsa_kernel
	.section	.text._ZN7rocprim17ROCPRIM_400000_NS6detail17trampoline_kernelINS0_14default_configENS1_35radix_sort_onesweep_config_selectorIflEEZZNS1_29radix_sort_onesweep_iterationIS3_Lb0EPfS7_N6thrust23THRUST_200600_302600_NS10device_ptrIlEESB_jNS0_19identity_decomposerENS1_16block_id_wrapperIjLb0EEEEE10hipError_tT1_PNSt15iterator_traitsISG_E10value_typeET2_T3_PNSH_ISM_E10value_typeET4_T5_PSR_SS_PNS1_23onesweep_lookback_stateEbbT6_jjT7_P12ihipStream_tbENKUlT_T0_SG_SL_E_clIS7_S7_SB_SB_EEDaSZ_S10_SG_SL_EUlSZ_E_NS1_11comp_targetILNS1_3genE4ELNS1_11target_archE910ELNS1_3gpuE8ELNS1_3repE0EEENS1_47radix_sort_onesweep_sort_config_static_selectorELNS0_4arch9wavefront6targetE1EEEvSG_,"axG",@progbits,_ZN7rocprim17ROCPRIM_400000_NS6detail17trampoline_kernelINS0_14default_configENS1_35radix_sort_onesweep_config_selectorIflEEZZNS1_29radix_sort_onesweep_iterationIS3_Lb0EPfS7_N6thrust23THRUST_200600_302600_NS10device_ptrIlEESB_jNS0_19identity_decomposerENS1_16block_id_wrapperIjLb0EEEEE10hipError_tT1_PNSt15iterator_traitsISG_E10value_typeET2_T3_PNSH_ISM_E10value_typeET4_T5_PSR_SS_PNS1_23onesweep_lookback_stateEbbT6_jjT7_P12ihipStream_tbENKUlT_T0_SG_SL_E_clIS7_S7_SB_SB_EEDaSZ_S10_SG_SL_EUlSZ_E_NS1_11comp_targetILNS1_3genE4ELNS1_11target_archE910ELNS1_3gpuE8ELNS1_3repE0EEENS1_47radix_sort_onesweep_sort_config_static_selectorELNS0_4arch9wavefront6targetE1EEEvSG_,comdat
.Lfunc_end1865:
	.size	_ZN7rocprim17ROCPRIM_400000_NS6detail17trampoline_kernelINS0_14default_configENS1_35radix_sort_onesweep_config_selectorIflEEZZNS1_29radix_sort_onesweep_iterationIS3_Lb0EPfS7_N6thrust23THRUST_200600_302600_NS10device_ptrIlEESB_jNS0_19identity_decomposerENS1_16block_id_wrapperIjLb0EEEEE10hipError_tT1_PNSt15iterator_traitsISG_E10value_typeET2_T3_PNSH_ISM_E10value_typeET4_T5_PSR_SS_PNS1_23onesweep_lookback_stateEbbT6_jjT7_P12ihipStream_tbENKUlT_T0_SG_SL_E_clIS7_S7_SB_SB_EEDaSZ_S10_SG_SL_EUlSZ_E_NS1_11comp_targetILNS1_3genE4ELNS1_11target_archE910ELNS1_3gpuE8ELNS1_3repE0EEENS1_47radix_sort_onesweep_sort_config_static_selectorELNS0_4arch9wavefront6targetE1EEEvSG_, .Lfunc_end1865-_ZN7rocprim17ROCPRIM_400000_NS6detail17trampoline_kernelINS0_14default_configENS1_35radix_sort_onesweep_config_selectorIflEEZZNS1_29radix_sort_onesweep_iterationIS3_Lb0EPfS7_N6thrust23THRUST_200600_302600_NS10device_ptrIlEESB_jNS0_19identity_decomposerENS1_16block_id_wrapperIjLb0EEEEE10hipError_tT1_PNSt15iterator_traitsISG_E10value_typeET2_T3_PNSH_ISM_E10value_typeET4_T5_PSR_SS_PNS1_23onesweep_lookback_stateEbbT6_jjT7_P12ihipStream_tbENKUlT_T0_SG_SL_E_clIS7_S7_SB_SB_EEDaSZ_S10_SG_SL_EUlSZ_E_NS1_11comp_targetILNS1_3genE4ELNS1_11target_archE910ELNS1_3gpuE8ELNS1_3repE0EEENS1_47radix_sort_onesweep_sort_config_static_selectorELNS0_4arch9wavefront6targetE1EEEvSG_
                                        ; -- End function
	.section	.AMDGPU.csdata,"",@progbits
; Kernel info:
; codeLenInByte = 13444
; NumSgprs: 58
; NumVgprs: 65
; NumAgprs: 0
; TotalNumVgprs: 65
; ScratchSize: 0
; MemoryBound: 0
; FloatMode: 240
; IeeeMode: 1
; LDSByteSize: 20552 bytes/workgroup (compile time only)
; SGPRBlocks: 7
; VGPRBlocks: 8
; NumSGPRsForWavesPerEU: 58
; NumVGPRsForWavesPerEU: 65
; AccumOffset: 68
; Occupancy: 7
; WaveLimiterHint : 1
; COMPUTE_PGM_RSRC2:SCRATCH_EN: 0
; COMPUTE_PGM_RSRC2:USER_SGPR: 6
; COMPUTE_PGM_RSRC2:TRAP_HANDLER: 0
; COMPUTE_PGM_RSRC2:TGID_X_EN: 1
; COMPUTE_PGM_RSRC2:TGID_Y_EN: 0
; COMPUTE_PGM_RSRC2:TGID_Z_EN: 0
; COMPUTE_PGM_RSRC2:TIDIG_COMP_CNT: 2
; COMPUTE_PGM_RSRC3_GFX90A:ACCUM_OFFSET: 16
; COMPUTE_PGM_RSRC3_GFX90A:TG_SPLIT: 0
	.section	.text._ZN7rocprim17ROCPRIM_400000_NS6detail17trampoline_kernelINS0_14default_configENS1_35radix_sort_onesweep_config_selectorIflEEZZNS1_29radix_sort_onesweep_iterationIS3_Lb0EPfS7_N6thrust23THRUST_200600_302600_NS10device_ptrIlEESB_jNS0_19identity_decomposerENS1_16block_id_wrapperIjLb0EEEEE10hipError_tT1_PNSt15iterator_traitsISG_E10value_typeET2_T3_PNSH_ISM_E10value_typeET4_T5_PSR_SS_PNS1_23onesweep_lookback_stateEbbT6_jjT7_P12ihipStream_tbENKUlT_T0_SG_SL_E_clIS7_S7_SB_SB_EEDaSZ_S10_SG_SL_EUlSZ_E_NS1_11comp_targetILNS1_3genE3ELNS1_11target_archE908ELNS1_3gpuE7ELNS1_3repE0EEENS1_47radix_sort_onesweep_sort_config_static_selectorELNS0_4arch9wavefront6targetE1EEEvSG_,"axG",@progbits,_ZN7rocprim17ROCPRIM_400000_NS6detail17trampoline_kernelINS0_14default_configENS1_35radix_sort_onesweep_config_selectorIflEEZZNS1_29radix_sort_onesweep_iterationIS3_Lb0EPfS7_N6thrust23THRUST_200600_302600_NS10device_ptrIlEESB_jNS0_19identity_decomposerENS1_16block_id_wrapperIjLb0EEEEE10hipError_tT1_PNSt15iterator_traitsISG_E10value_typeET2_T3_PNSH_ISM_E10value_typeET4_T5_PSR_SS_PNS1_23onesweep_lookback_stateEbbT6_jjT7_P12ihipStream_tbENKUlT_T0_SG_SL_E_clIS7_S7_SB_SB_EEDaSZ_S10_SG_SL_EUlSZ_E_NS1_11comp_targetILNS1_3genE3ELNS1_11target_archE908ELNS1_3gpuE7ELNS1_3repE0EEENS1_47radix_sort_onesweep_sort_config_static_selectorELNS0_4arch9wavefront6targetE1EEEvSG_,comdat
	.protected	_ZN7rocprim17ROCPRIM_400000_NS6detail17trampoline_kernelINS0_14default_configENS1_35radix_sort_onesweep_config_selectorIflEEZZNS1_29radix_sort_onesweep_iterationIS3_Lb0EPfS7_N6thrust23THRUST_200600_302600_NS10device_ptrIlEESB_jNS0_19identity_decomposerENS1_16block_id_wrapperIjLb0EEEEE10hipError_tT1_PNSt15iterator_traitsISG_E10value_typeET2_T3_PNSH_ISM_E10value_typeET4_T5_PSR_SS_PNS1_23onesweep_lookback_stateEbbT6_jjT7_P12ihipStream_tbENKUlT_T0_SG_SL_E_clIS7_S7_SB_SB_EEDaSZ_S10_SG_SL_EUlSZ_E_NS1_11comp_targetILNS1_3genE3ELNS1_11target_archE908ELNS1_3gpuE7ELNS1_3repE0EEENS1_47radix_sort_onesweep_sort_config_static_selectorELNS0_4arch9wavefront6targetE1EEEvSG_ ; -- Begin function _ZN7rocprim17ROCPRIM_400000_NS6detail17trampoline_kernelINS0_14default_configENS1_35radix_sort_onesweep_config_selectorIflEEZZNS1_29radix_sort_onesweep_iterationIS3_Lb0EPfS7_N6thrust23THRUST_200600_302600_NS10device_ptrIlEESB_jNS0_19identity_decomposerENS1_16block_id_wrapperIjLb0EEEEE10hipError_tT1_PNSt15iterator_traitsISG_E10value_typeET2_T3_PNSH_ISM_E10value_typeET4_T5_PSR_SS_PNS1_23onesweep_lookback_stateEbbT6_jjT7_P12ihipStream_tbENKUlT_T0_SG_SL_E_clIS7_S7_SB_SB_EEDaSZ_S10_SG_SL_EUlSZ_E_NS1_11comp_targetILNS1_3genE3ELNS1_11target_archE908ELNS1_3gpuE7ELNS1_3repE0EEENS1_47radix_sort_onesweep_sort_config_static_selectorELNS0_4arch9wavefront6targetE1EEEvSG_
	.globl	_ZN7rocprim17ROCPRIM_400000_NS6detail17trampoline_kernelINS0_14default_configENS1_35radix_sort_onesweep_config_selectorIflEEZZNS1_29radix_sort_onesweep_iterationIS3_Lb0EPfS7_N6thrust23THRUST_200600_302600_NS10device_ptrIlEESB_jNS0_19identity_decomposerENS1_16block_id_wrapperIjLb0EEEEE10hipError_tT1_PNSt15iterator_traitsISG_E10value_typeET2_T3_PNSH_ISM_E10value_typeET4_T5_PSR_SS_PNS1_23onesweep_lookback_stateEbbT6_jjT7_P12ihipStream_tbENKUlT_T0_SG_SL_E_clIS7_S7_SB_SB_EEDaSZ_S10_SG_SL_EUlSZ_E_NS1_11comp_targetILNS1_3genE3ELNS1_11target_archE908ELNS1_3gpuE7ELNS1_3repE0EEENS1_47radix_sort_onesweep_sort_config_static_selectorELNS0_4arch9wavefront6targetE1EEEvSG_
	.p2align	8
	.type	_ZN7rocprim17ROCPRIM_400000_NS6detail17trampoline_kernelINS0_14default_configENS1_35radix_sort_onesweep_config_selectorIflEEZZNS1_29radix_sort_onesweep_iterationIS3_Lb0EPfS7_N6thrust23THRUST_200600_302600_NS10device_ptrIlEESB_jNS0_19identity_decomposerENS1_16block_id_wrapperIjLb0EEEEE10hipError_tT1_PNSt15iterator_traitsISG_E10value_typeET2_T3_PNSH_ISM_E10value_typeET4_T5_PSR_SS_PNS1_23onesweep_lookback_stateEbbT6_jjT7_P12ihipStream_tbENKUlT_T0_SG_SL_E_clIS7_S7_SB_SB_EEDaSZ_S10_SG_SL_EUlSZ_E_NS1_11comp_targetILNS1_3genE3ELNS1_11target_archE908ELNS1_3gpuE7ELNS1_3repE0EEENS1_47radix_sort_onesweep_sort_config_static_selectorELNS0_4arch9wavefront6targetE1EEEvSG_,@function
_ZN7rocprim17ROCPRIM_400000_NS6detail17trampoline_kernelINS0_14default_configENS1_35radix_sort_onesweep_config_selectorIflEEZZNS1_29radix_sort_onesweep_iterationIS3_Lb0EPfS7_N6thrust23THRUST_200600_302600_NS10device_ptrIlEESB_jNS0_19identity_decomposerENS1_16block_id_wrapperIjLb0EEEEE10hipError_tT1_PNSt15iterator_traitsISG_E10value_typeET2_T3_PNSH_ISM_E10value_typeET4_T5_PSR_SS_PNS1_23onesweep_lookback_stateEbbT6_jjT7_P12ihipStream_tbENKUlT_T0_SG_SL_E_clIS7_S7_SB_SB_EEDaSZ_S10_SG_SL_EUlSZ_E_NS1_11comp_targetILNS1_3genE3ELNS1_11target_archE908ELNS1_3gpuE7ELNS1_3repE0EEENS1_47radix_sort_onesweep_sort_config_static_selectorELNS0_4arch9wavefront6targetE1EEEvSG_: ; @_ZN7rocprim17ROCPRIM_400000_NS6detail17trampoline_kernelINS0_14default_configENS1_35radix_sort_onesweep_config_selectorIflEEZZNS1_29radix_sort_onesweep_iterationIS3_Lb0EPfS7_N6thrust23THRUST_200600_302600_NS10device_ptrIlEESB_jNS0_19identity_decomposerENS1_16block_id_wrapperIjLb0EEEEE10hipError_tT1_PNSt15iterator_traitsISG_E10value_typeET2_T3_PNSH_ISM_E10value_typeET4_T5_PSR_SS_PNS1_23onesweep_lookback_stateEbbT6_jjT7_P12ihipStream_tbENKUlT_T0_SG_SL_E_clIS7_S7_SB_SB_EEDaSZ_S10_SG_SL_EUlSZ_E_NS1_11comp_targetILNS1_3genE3ELNS1_11target_archE908ELNS1_3gpuE7ELNS1_3repE0EEENS1_47radix_sort_onesweep_sort_config_static_selectorELNS0_4arch9wavefront6targetE1EEEvSG_
; %bb.0:
	.section	.rodata,"a",@progbits
	.p2align	6, 0x0
	.amdhsa_kernel _ZN7rocprim17ROCPRIM_400000_NS6detail17trampoline_kernelINS0_14default_configENS1_35radix_sort_onesweep_config_selectorIflEEZZNS1_29radix_sort_onesweep_iterationIS3_Lb0EPfS7_N6thrust23THRUST_200600_302600_NS10device_ptrIlEESB_jNS0_19identity_decomposerENS1_16block_id_wrapperIjLb0EEEEE10hipError_tT1_PNSt15iterator_traitsISG_E10value_typeET2_T3_PNSH_ISM_E10value_typeET4_T5_PSR_SS_PNS1_23onesweep_lookback_stateEbbT6_jjT7_P12ihipStream_tbENKUlT_T0_SG_SL_E_clIS7_S7_SB_SB_EEDaSZ_S10_SG_SL_EUlSZ_E_NS1_11comp_targetILNS1_3genE3ELNS1_11target_archE908ELNS1_3gpuE7ELNS1_3repE0EEENS1_47radix_sort_onesweep_sort_config_static_selectorELNS0_4arch9wavefront6targetE1EEEvSG_
		.amdhsa_group_segment_fixed_size 0
		.amdhsa_private_segment_fixed_size 0
		.amdhsa_kernarg_size 88
		.amdhsa_user_sgpr_count 6
		.amdhsa_user_sgpr_private_segment_buffer 1
		.amdhsa_user_sgpr_dispatch_ptr 0
		.amdhsa_user_sgpr_queue_ptr 0
		.amdhsa_user_sgpr_kernarg_segment_ptr 1
		.amdhsa_user_sgpr_dispatch_id 0
		.amdhsa_user_sgpr_flat_scratch_init 0
		.amdhsa_user_sgpr_kernarg_preload_length 0
		.amdhsa_user_sgpr_kernarg_preload_offset 0
		.amdhsa_user_sgpr_private_segment_size 0
		.amdhsa_uses_dynamic_stack 0
		.amdhsa_system_sgpr_private_segment_wavefront_offset 0
		.amdhsa_system_sgpr_workgroup_id_x 1
		.amdhsa_system_sgpr_workgroup_id_y 0
		.amdhsa_system_sgpr_workgroup_id_z 0
		.amdhsa_system_sgpr_workgroup_info 0
		.amdhsa_system_vgpr_workitem_id 0
		.amdhsa_next_free_vgpr 1
		.amdhsa_next_free_sgpr 0
		.amdhsa_accum_offset 4
		.amdhsa_reserve_vcc 0
		.amdhsa_reserve_flat_scratch 0
		.amdhsa_float_round_mode_32 0
		.amdhsa_float_round_mode_16_64 0
		.amdhsa_float_denorm_mode_32 3
		.amdhsa_float_denorm_mode_16_64 3
		.amdhsa_dx10_clamp 1
		.amdhsa_ieee_mode 1
		.amdhsa_fp16_overflow 0
		.amdhsa_tg_split 0
		.amdhsa_exception_fp_ieee_invalid_op 0
		.amdhsa_exception_fp_denorm_src 0
		.amdhsa_exception_fp_ieee_div_zero 0
		.amdhsa_exception_fp_ieee_overflow 0
		.amdhsa_exception_fp_ieee_underflow 0
		.amdhsa_exception_fp_ieee_inexact 0
		.amdhsa_exception_int_div_zero 0
	.end_amdhsa_kernel
	.section	.text._ZN7rocprim17ROCPRIM_400000_NS6detail17trampoline_kernelINS0_14default_configENS1_35radix_sort_onesweep_config_selectorIflEEZZNS1_29radix_sort_onesweep_iterationIS3_Lb0EPfS7_N6thrust23THRUST_200600_302600_NS10device_ptrIlEESB_jNS0_19identity_decomposerENS1_16block_id_wrapperIjLb0EEEEE10hipError_tT1_PNSt15iterator_traitsISG_E10value_typeET2_T3_PNSH_ISM_E10value_typeET4_T5_PSR_SS_PNS1_23onesweep_lookback_stateEbbT6_jjT7_P12ihipStream_tbENKUlT_T0_SG_SL_E_clIS7_S7_SB_SB_EEDaSZ_S10_SG_SL_EUlSZ_E_NS1_11comp_targetILNS1_3genE3ELNS1_11target_archE908ELNS1_3gpuE7ELNS1_3repE0EEENS1_47radix_sort_onesweep_sort_config_static_selectorELNS0_4arch9wavefront6targetE1EEEvSG_,"axG",@progbits,_ZN7rocprim17ROCPRIM_400000_NS6detail17trampoline_kernelINS0_14default_configENS1_35radix_sort_onesweep_config_selectorIflEEZZNS1_29radix_sort_onesweep_iterationIS3_Lb0EPfS7_N6thrust23THRUST_200600_302600_NS10device_ptrIlEESB_jNS0_19identity_decomposerENS1_16block_id_wrapperIjLb0EEEEE10hipError_tT1_PNSt15iterator_traitsISG_E10value_typeET2_T3_PNSH_ISM_E10value_typeET4_T5_PSR_SS_PNS1_23onesweep_lookback_stateEbbT6_jjT7_P12ihipStream_tbENKUlT_T0_SG_SL_E_clIS7_S7_SB_SB_EEDaSZ_S10_SG_SL_EUlSZ_E_NS1_11comp_targetILNS1_3genE3ELNS1_11target_archE908ELNS1_3gpuE7ELNS1_3repE0EEENS1_47radix_sort_onesweep_sort_config_static_selectorELNS0_4arch9wavefront6targetE1EEEvSG_,comdat
.Lfunc_end1866:
	.size	_ZN7rocprim17ROCPRIM_400000_NS6detail17trampoline_kernelINS0_14default_configENS1_35radix_sort_onesweep_config_selectorIflEEZZNS1_29radix_sort_onesweep_iterationIS3_Lb0EPfS7_N6thrust23THRUST_200600_302600_NS10device_ptrIlEESB_jNS0_19identity_decomposerENS1_16block_id_wrapperIjLb0EEEEE10hipError_tT1_PNSt15iterator_traitsISG_E10value_typeET2_T3_PNSH_ISM_E10value_typeET4_T5_PSR_SS_PNS1_23onesweep_lookback_stateEbbT6_jjT7_P12ihipStream_tbENKUlT_T0_SG_SL_E_clIS7_S7_SB_SB_EEDaSZ_S10_SG_SL_EUlSZ_E_NS1_11comp_targetILNS1_3genE3ELNS1_11target_archE908ELNS1_3gpuE7ELNS1_3repE0EEENS1_47radix_sort_onesweep_sort_config_static_selectorELNS0_4arch9wavefront6targetE1EEEvSG_, .Lfunc_end1866-_ZN7rocprim17ROCPRIM_400000_NS6detail17trampoline_kernelINS0_14default_configENS1_35radix_sort_onesweep_config_selectorIflEEZZNS1_29radix_sort_onesweep_iterationIS3_Lb0EPfS7_N6thrust23THRUST_200600_302600_NS10device_ptrIlEESB_jNS0_19identity_decomposerENS1_16block_id_wrapperIjLb0EEEEE10hipError_tT1_PNSt15iterator_traitsISG_E10value_typeET2_T3_PNSH_ISM_E10value_typeET4_T5_PSR_SS_PNS1_23onesweep_lookback_stateEbbT6_jjT7_P12ihipStream_tbENKUlT_T0_SG_SL_E_clIS7_S7_SB_SB_EEDaSZ_S10_SG_SL_EUlSZ_E_NS1_11comp_targetILNS1_3genE3ELNS1_11target_archE908ELNS1_3gpuE7ELNS1_3repE0EEENS1_47radix_sort_onesweep_sort_config_static_selectorELNS0_4arch9wavefront6targetE1EEEvSG_
                                        ; -- End function
	.section	.AMDGPU.csdata,"",@progbits
; Kernel info:
; codeLenInByte = 0
; NumSgprs: 4
; NumVgprs: 0
; NumAgprs: 0
; TotalNumVgprs: 0
; ScratchSize: 0
; MemoryBound: 0
; FloatMode: 240
; IeeeMode: 1
; LDSByteSize: 0 bytes/workgroup (compile time only)
; SGPRBlocks: 0
; VGPRBlocks: 0
; NumSGPRsForWavesPerEU: 4
; NumVGPRsForWavesPerEU: 1
; AccumOffset: 4
; Occupancy: 8
; WaveLimiterHint : 0
; COMPUTE_PGM_RSRC2:SCRATCH_EN: 0
; COMPUTE_PGM_RSRC2:USER_SGPR: 6
; COMPUTE_PGM_RSRC2:TRAP_HANDLER: 0
; COMPUTE_PGM_RSRC2:TGID_X_EN: 1
; COMPUTE_PGM_RSRC2:TGID_Y_EN: 0
; COMPUTE_PGM_RSRC2:TGID_Z_EN: 0
; COMPUTE_PGM_RSRC2:TIDIG_COMP_CNT: 0
; COMPUTE_PGM_RSRC3_GFX90A:ACCUM_OFFSET: 0
; COMPUTE_PGM_RSRC3_GFX90A:TG_SPLIT: 0
	.section	.text._ZN7rocprim17ROCPRIM_400000_NS6detail17trampoline_kernelINS0_14default_configENS1_35radix_sort_onesweep_config_selectorIflEEZZNS1_29radix_sort_onesweep_iterationIS3_Lb0EPfS7_N6thrust23THRUST_200600_302600_NS10device_ptrIlEESB_jNS0_19identity_decomposerENS1_16block_id_wrapperIjLb0EEEEE10hipError_tT1_PNSt15iterator_traitsISG_E10value_typeET2_T3_PNSH_ISM_E10value_typeET4_T5_PSR_SS_PNS1_23onesweep_lookback_stateEbbT6_jjT7_P12ihipStream_tbENKUlT_T0_SG_SL_E_clIS7_S7_SB_SB_EEDaSZ_S10_SG_SL_EUlSZ_E_NS1_11comp_targetILNS1_3genE10ELNS1_11target_archE1201ELNS1_3gpuE5ELNS1_3repE0EEENS1_47radix_sort_onesweep_sort_config_static_selectorELNS0_4arch9wavefront6targetE1EEEvSG_,"axG",@progbits,_ZN7rocprim17ROCPRIM_400000_NS6detail17trampoline_kernelINS0_14default_configENS1_35radix_sort_onesweep_config_selectorIflEEZZNS1_29radix_sort_onesweep_iterationIS3_Lb0EPfS7_N6thrust23THRUST_200600_302600_NS10device_ptrIlEESB_jNS0_19identity_decomposerENS1_16block_id_wrapperIjLb0EEEEE10hipError_tT1_PNSt15iterator_traitsISG_E10value_typeET2_T3_PNSH_ISM_E10value_typeET4_T5_PSR_SS_PNS1_23onesweep_lookback_stateEbbT6_jjT7_P12ihipStream_tbENKUlT_T0_SG_SL_E_clIS7_S7_SB_SB_EEDaSZ_S10_SG_SL_EUlSZ_E_NS1_11comp_targetILNS1_3genE10ELNS1_11target_archE1201ELNS1_3gpuE5ELNS1_3repE0EEENS1_47radix_sort_onesweep_sort_config_static_selectorELNS0_4arch9wavefront6targetE1EEEvSG_,comdat
	.protected	_ZN7rocprim17ROCPRIM_400000_NS6detail17trampoline_kernelINS0_14default_configENS1_35radix_sort_onesweep_config_selectorIflEEZZNS1_29radix_sort_onesweep_iterationIS3_Lb0EPfS7_N6thrust23THRUST_200600_302600_NS10device_ptrIlEESB_jNS0_19identity_decomposerENS1_16block_id_wrapperIjLb0EEEEE10hipError_tT1_PNSt15iterator_traitsISG_E10value_typeET2_T3_PNSH_ISM_E10value_typeET4_T5_PSR_SS_PNS1_23onesweep_lookback_stateEbbT6_jjT7_P12ihipStream_tbENKUlT_T0_SG_SL_E_clIS7_S7_SB_SB_EEDaSZ_S10_SG_SL_EUlSZ_E_NS1_11comp_targetILNS1_3genE10ELNS1_11target_archE1201ELNS1_3gpuE5ELNS1_3repE0EEENS1_47radix_sort_onesweep_sort_config_static_selectorELNS0_4arch9wavefront6targetE1EEEvSG_ ; -- Begin function _ZN7rocprim17ROCPRIM_400000_NS6detail17trampoline_kernelINS0_14default_configENS1_35radix_sort_onesweep_config_selectorIflEEZZNS1_29radix_sort_onesweep_iterationIS3_Lb0EPfS7_N6thrust23THRUST_200600_302600_NS10device_ptrIlEESB_jNS0_19identity_decomposerENS1_16block_id_wrapperIjLb0EEEEE10hipError_tT1_PNSt15iterator_traitsISG_E10value_typeET2_T3_PNSH_ISM_E10value_typeET4_T5_PSR_SS_PNS1_23onesweep_lookback_stateEbbT6_jjT7_P12ihipStream_tbENKUlT_T0_SG_SL_E_clIS7_S7_SB_SB_EEDaSZ_S10_SG_SL_EUlSZ_E_NS1_11comp_targetILNS1_3genE10ELNS1_11target_archE1201ELNS1_3gpuE5ELNS1_3repE0EEENS1_47radix_sort_onesweep_sort_config_static_selectorELNS0_4arch9wavefront6targetE1EEEvSG_
	.globl	_ZN7rocprim17ROCPRIM_400000_NS6detail17trampoline_kernelINS0_14default_configENS1_35radix_sort_onesweep_config_selectorIflEEZZNS1_29radix_sort_onesweep_iterationIS3_Lb0EPfS7_N6thrust23THRUST_200600_302600_NS10device_ptrIlEESB_jNS0_19identity_decomposerENS1_16block_id_wrapperIjLb0EEEEE10hipError_tT1_PNSt15iterator_traitsISG_E10value_typeET2_T3_PNSH_ISM_E10value_typeET4_T5_PSR_SS_PNS1_23onesweep_lookback_stateEbbT6_jjT7_P12ihipStream_tbENKUlT_T0_SG_SL_E_clIS7_S7_SB_SB_EEDaSZ_S10_SG_SL_EUlSZ_E_NS1_11comp_targetILNS1_3genE10ELNS1_11target_archE1201ELNS1_3gpuE5ELNS1_3repE0EEENS1_47radix_sort_onesweep_sort_config_static_selectorELNS0_4arch9wavefront6targetE1EEEvSG_
	.p2align	8
	.type	_ZN7rocprim17ROCPRIM_400000_NS6detail17trampoline_kernelINS0_14default_configENS1_35radix_sort_onesweep_config_selectorIflEEZZNS1_29radix_sort_onesweep_iterationIS3_Lb0EPfS7_N6thrust23THRUST_200600_302600_NS10device_ptrIlEESB_jNS0_19identity_decomposerENS1_16block_id_wrapperIjLb0EEEEE10hipError_tT1_PNSt15iterator_traitsISG_E10value_typeET2_T3_PNSH_ISM_E10value_typeET4_T5_PSR_SS_PNS1_23onesweep_lookback_stateEbbT6_jjT7_P12ihipStream_tbENKUlT_T0_SG_SL_E_clIS7_S7_SB_SB_EEDaSZ_S10_SG_SL_EUlSZ_E_NS1_11comp_targetILNS1_3genE10ELNS1_11target_archE1201ELNS1_3gpuE5ELNS1_3repE0EEENS1_47radix_sort_onesweep_sort_config_static_selectorELNS0_4arch9wavefront6targetE1EEEvSG_,@function
_ZN7rocprim17ROCPRIM_400000_NS6detail17trampoline_kernelINS0_14default_configENS1_35radix_sort_onesweep_config_selectorIflEEZZNS1_29radix_sort_onesweep_iterationIS3_Lb0EPfS7_N6thrust23THRUST_200600_302600_NS10device_ptrIlEESB_jNS0_19identity_decomposerENS1_16block_id_wrapperIjLb0EEEEE10hipError_tT1_PNSt15iterator_traitsISG_E10value_typeET2_T3_PNSH_ISM_E10value_typeET4_T5_PSR_SS_PNS1_23onesweep_lookback_stateEbbT6_jjT7_P12ihipStream_tbENKUlT_T0_SG_SL_E_clIS7_S7_SB_SB_EEDaSZ_S10_SG_SL_EUlSZ_E_NS1_11comp_targetILNS1_3genE10ELNS1_11target_archE1201ELNS1_3gpuE5ELNS1_3repE0EEENS1_47radix_sort_onesweep_sort_config_static_selectorELNS0_4arch9wavefront6targetE1EEEvSG_: ; @_ZN7rocprim17ROCPRIM_400000_NS6detail17trampoline_kernelINS0_14default_configENS1_35radix_sort_onesweep_config_selectorIflEEZZNS1_29radix_sort_onesweep_iterationIS3_Lb0EPfS7_N6thrust23THRUST_200600_302600_NS10device_ptrIlEESB_jNS0_19identity_decomposerENS1_16block_id_wrapperIjLb0EEEEE10hipError_tT1_PNSt15iterator_traitsISG_E10value_typeET2_T3_PNSH_ISM_E10value_typeET4_T5_PSR_SS_PNS1_23onesweep_lookback_stateEbbT6_jjT7_P12ihipStream_tbENKUlT_T0_SG_SL_E_clIS7_S7_SB_SB_EEDaSZ_S10_SG_SL_EUlSZ_E_NS1_11comp_targetILNS1_3genE10ELNS1_11target_archE1201ELNS1_3gpuE5ELNS1_3repE0EEENS1_47radix_sort_onesweep_sort_config_static_selectorELNS0_4arch9wavefront6targetE1EEEvSG_
; %bb.0:
	.section	.rodata,"a",@progbits
	.p2align	6, 0x0
	.amdhsa_kernel _ZN7rocprim17ROCPRIM_400000_NS6detail17trampoline_kernelINS0_14default_configENS1_35radix_sort_onesweep_config_selectorIflEEZZNS1_29radix_sort_onesweep_iterationIS3_Lb0EPfS7_N6thrust23THRUST_200600_302600_NS10device_ptrIlEESB_jNS0_19identity_decomposerENS1_16block_id_wrapperIjLb0EEEEE10hipError_tT1_PNSt15iterator_traitsISG_E10value_typeET2_T3_PNSH_ISM_E10value_typeET4_T5_PSR_SS_PNS1_23onesweep_lookback_stateEbbT6_jjT7_P12ihipStream_tbENKUlT_T0_SG_SL_E_clIS7_S7_SB_SB_EEDaSZ_S10_SG_SL_EUlSZ_E_NS1_11comp_targetILNS1_3genE10ELNS1_11target_archE1201ELNS1_3gpuE5ELNS1_3repE0EEENS1_47radix_sort_onesweep_sort_config_static_selectorELNS0_4arch9wavefront6targetE1EEEvSG_
		.amdhsa_group_segment_fixed_size 0
		.amdhsa_private_segment_fixed_size 0
		.amdhsa_kernarg_size 88
		.amdhsa_user_sgpr_count 6
		.amdhsa_user_sgpr_private_segment_buffer 1
		.amdhsa_user_sgpr_dispatch_ptr 0
		.amdhsa_user_sgpr_queue_ptr 0
		.amdhsa_user_sgpr_kernarg_segment_ptr 1
		.amdhsa_user_sgpr_dispatch_id 0
		.amdhsa_user_sgpr_flat_scratch_init 0
		.amdhsa_user_sgpr_kernarg_preload_length 0
		.amdhsa_user_sgpr_kernarg_preload_offset 0
		.amdhsa_user_sgpr_private_segment_size 0
		.amdhsa_uses_dynamic_stack 0
		.amdhsa_system_sgpr_private_segment_wavefront_offset 0
		.amdhsa_system_sgpr_workgroup_id_x 1
		.amdhsa_system_sgpr_workgroup_id_y 0
		.amdhsa_system_sgpr_workgroup_id_z 0
		.amdhsa_system_sgpr_workgroup_info 0
		.amdhsa_system_vgpr_workitem_id 0
		.amdhsa_next_free_vgpr 1
		.amdhsa_next_free_sgpr 0
		.amdhsa_accum_offset 4
		.amdhsa_reserve_vcc 0
		.amdhsa_reserve_flat_scratch 0
		.amdhsa_float_round_mode_32 0
		.amdhsa_float_round_mode_16_64 0
		.amdhsa_float_denorm_mode_32 3
		.amdhsa_float_denorm_mode_16_64 3
		.amdhsa_dx10_clamp 1
		.amdhsa_ieee_mode 1
		.amdhsa_fp16_overflow 0
		.amdhsa_tg_split 0
		.amdhsa_exception_fp_ieee_invalid_op 0
		.amdhsa_exception_fp_denorm_src 0
		.amdhsa_exception_fp_ieee_div_zero 0
		.amdhsa_exception_fp_ieee_overflow 0
		.amdhsa_exception_fp_ieee_underflow 0
		.amdhsa_exception_fp_ieee_inexact 0
		.amdhsa_exception_int_div_zero 0
	.end_amdhsa_kernel
	.section	.text._ZN7rocprim17ROCPRIM_400000_NS6detail17trampoline_kernelINS0_14default_configENS1_35radix_sort_onesweep_config_selectorIflEEZZNS1_29radix_sort_onesweep_iterationIS3_Lb0EPfS7_N6thrust23THRUST_200600_302600_NS10device_ptrIlEESB_jNS0_19identity_decomposerENS1_16block_id_wrapperIjLb0EEEEE10hipError_tT1_PNSt15iterator_traitsISG_E10value_typeET2_T3_PNSH_ISM_E10value_typeET4_T5_PSR_SS_PNS1_23onesweep_lookback_stateEbbT6_jjT7_P12ihipStream_tbENKUlT_T0_SG_SL_E_clIS7_S7_SB_SB_EEDaSZ_S10_SG_SL_EUlSZ_E_NS1_11comp_targetILNS1_3genE10ELNS1_11target_archE1201ELNS1_3gpuE5ELNS1_3repE0EEENS1_47radix_sort_onesweep_sort_config_static_selectorELNS0_4arch9wavefront6targetE1EEEvSG_,"axG",@progbits,_ZN7rocprim17ROCPRIM_400000_NS6detail17trampoline_kernelINS0_14default_configENS1_35radix_sort_onesweep_config_selectorIflEEZZNS1_29radix_sort_onesweep_iterationIS3_Lb0EPfS7_N6thrust23THRUST_200600_302600_NS10device_ptrIlEESB_jNS0_19identity_decomposerENS1_16block_id_wrapperIjLb0EEEEE10hipError_tT1_PNSt15iterator_traitsISG_E10value_typeET2_T3_PNSH_ISM_E10value_typeET4_T5_PSR_SS_PNS1_23onesweep_lookback_stateEbbT6_jjT7_P12ihipStream_tbENKUlT_T0_SG_SL_E_clIS7_S7_SB_SB_EEDaSZ_S10_SG_SL_EUlSZ_E_NS1_11comp_targetILNS1_3genE10ELNS1_11target_archE1201ELNS1_3gpuE5ELNS1_3repE0EEENS1_47radix_sort_onesweep_sort_config_static_selectorELNS0_4arch9wavefront6targetE1EEEvSG_,comdat
.Lfunc_end1867:
	.size	_ZN7rocprim17ROCPRIM_400000_NS6detail17trampoline_kernelINS0_14default_configENS1_35radix_sort_onesweep_config_selectorIflEEZZNS1_29radix_sort_onesweep_iterationIS3_Lb0EPfS7_N6thrust23THRUST_200600_302600_NS10device_ptrIlEESB_jNS0_19identity_decomposerENS1_16block_id_wrapperIjLb0EEEEE10hipError_tT1_PNSt15iterator_traitsISG_E10value_typeET2_T3_PNSH_ISM_E10value_typeET4_T5_PSR_SS_PNS1_23onesweep_lookback_stateEbbT6_jjT7_P12ihipStream_tbENKUlT_T0_SG_SL_E_clIS7_S7_SB_SB_EEDaSZ_S10_SG_SL_EUlSZ_E_NS1_11comp_targetILNS1_3genE10ELNS1_11target_archE1201ELNS1_3gpuE5ELNS1_3repE0EEENS1_47radix_sort_onesweep_sort_config_static_selectorELNS0_4arch9wavefront6targetE1EEEvSG_, .Lfunc_end1867-_ZN7rocprim17ROCPRIM_400000_NS6detail17trampoline_kernelINS0_14default_configENS1_35radix_sort_onesweep_config_selectorIflEEZZNS1_29radix_sort_onesweep_iterationIS3_Lb0EPfS7_N6thrust23THRUST_200600_302600_NS10device_ptrIlEESB_jNS0_19identity_decomposerENS1_16block_id_wrapperIjLb0EEEEE10hipError_tT1_PNSt15iterator_traitsISG_E10value_typeET2_T3_PNSH_ISM_E10value_typeET4_T5_PSR_SS_PNS1_23onesweep_lookback_stateEbbT6_jjT7_P12ihipStream_tbENKUlT_T0_SG_SL_E_clIS7_S7_SB_SB_EEDaSZ_S10_SG_SL_EUlSZ_E_NS1_11comp_targetILNS1_3genE10ELNS1_11target_archE1201ELNS1_3gpuE5ELNS1_3repE0EEENS1_47radix_sort_onesweep_sort_config_static_selectorELNS0_4arch9wavefront6targetE1EEEvSG_
                                        ; -- End function
	.section	.AMDGPU.csdata,"",@progbits
; Kernel info:
; codeLenInByte = 0
; NumSgprs: 4
; NumVgprs: 0
; NumAgprs: 0
; TotalNumVgprs: 0
; ScratchSize: 0
; MemoryBound: 0
; FloatMode: 240
; IeeeMode: 1
; LDSByteSize: 0 bytes/workgroup (compile time only)
; SGPRBlocks: 0
; VGPRBlocks: 0
; NumSGPRsForWavesPerEU: 4
; NumVGPRsForWavesPerEU: 1
; AccumOffset: 4
; Occupancy: 8
; WaveLimiterHint : 0
; COMPUTE_PGM_RSRC2:SCRATCH_EN: 0
; COMPUTE_PGM_RSRC2:USER_SGPR: 6
; COMPUTE_PGM_RSRC2:TRAP_HANDLER: 0
; COMPUTE_PGM_RSRC2:TGID_X_EN: 1
; COMPUTE_PGM_RSRC2:TGID_Y_EN: 0
; COMPUTE_PGM_RSRC2:TGID_Z_EN: 0
; COMPUTE_PGM_RSRC2:TIDIG_COMP_CNT: 0
; COMPUTE_PGM_RSRC3_GFX90A:ACCUM_OFFSET: 0
; COMPUTE_PGM_RSRC3_GFX90A:TG_SPLIT: 0
	.section	.text._ZN7rocprim17ROCPRIM_400000_NS6detail17trampoline_kernelINS0_14default_configENS1_35radix_sort_onesweep_config_selectorIflEEZZNS1_29radix_sort_onesweep_iterationIS3_Lb0EPfS7_N6thrust23THRUST_200600_302600_NS10device_ptrIlEESB_jNS0_19identity_decomposerENS1_16block_id_wrapperIjLb0EEEEE10hipError_tT1_PNSt15iterator_traitsISG_E10value_typeET2_T3_PNSH_ISM_E10value_typeET4_T5_PSR_SS_PNS1_23onesweep_lookback_stateEbbT6_jjT7_P12ihipStream_tbENKUlT_T0_SG_SL_E_clIS7_S7_SB_SB_EEDaSZ_S10_SG_SL_EUlSZ_E_NS1_11comp_targetILNS1_3genE9ELNS1_11target_archE1100ELNS1_3gpuE3ELNS1_3repE0EEENS1_47radix_sort_onesweep_sort_config_static_selectorELNS0_4arch9wavefront6targetE1EEEvSG_,"axG",@progbits,_ZN7rocprim17ROCPRIM_400000_NS6detail17trampoline_kernelINS0_14default_configENS1_35radix_sort_onesweep_config_selectorIflEEZZNS1_29radix_sort_onesweep_iterationIS3_Lb0EPfS7_N6thrust23THRUST_200600_302600_NS10device_ptrIlEESB_jNS0_19identity_decomposerENS1_16block_id_wrapperIjLb0EEEEE10hipError_tT1_PNSt15iterator_traitsISG_E10value_typeET2_T3_PNSH_ISM_E10value_typeET4_T5_PSR_SS_PNS1_23onesweep_lookback_stateEbbT6_jjT7_P12ihipStream_tbENKUlT_T0_SG_SL_E_clIS7_S7_SB_SB_EEDaSZ_S10_SG_SL_EUlSZ_E_NS1_11comp_targetILNS1_3genE9ELNS1_11target_archE1100ELNS1_3gpuE3ELNS1_3repE0EEENS1_47radix_sort_onesweep_sort_config_static_selectorELNS0_4arch9wavefront6targetE1EEEvSG_,comdat
	.protected	_ZN7rocprim17ROCPRIM_400000_NS6detail17trampoline_kernelINS0_14default_configENS1_35radix_sort_onesweep_config_selectorIflEEZZNS1_29radix_sort_onesweep_iterationIS3_Lb0EPfS7_N6thrust23THRUST_200600_302600_NS10device_ptrIlEESB_jNS0_19identity_decomposerENS1_16block_id_wrapperIjLb0EEEEE10hipError_tT1_PNSt15iterator_traitsISG_E10value_typeET2_T3_PNSH_ISM_E10value_typeET4_T5_PSR_SS_PNS1_23onesweep_lookback_stateEbbT6_jjT7_P12ihipStream_tbENKUlT_T0_SG_SL_E_clIS7_S7_SB_SB_EEDaSZ_S10_SG_SL_EUlSZ_E_NS1_11comp_targetILNS1_3genE9ELNS1_11target_archE1100ELNS1_3gpuE3ELNS1_3repE0EEENS1_47radix_sort_onesweep_sort_config_static_selectorELNS0_4arch9wavefront6targetE1EEEvSG_ ; -- Begin function _ZN7rocprim17ROCPRIM_400000_NS6detail17trampoline_kernelINS0_14default_configENS1_35radix_sort_onesweep_config_selectorIflEEZZNS1_29radix_sort_onesweep_iterationIS3_Lb0EPfS7_N6thrust23THRUST_200600_302600_NS10device_ptrIlEESB_jNS0_19identity_decomposerENS1_16block_id_wrapperIjLb0EEEEE10hipError_tT1_PNSt15iterator_traitsISG_E10value_typeET2_T3_PNSH_ISM_E10value_typeET4_T5_PSR_SS_PNS1_23onesweep_lookback_stateEbbT6_jjT7_P12ihipStream_tbENKUlT_T0_SG_SL_E_clIS7_S7_SB_SB_EEDaSZ_S10_SG_SL_EUlSZ_E_NS1_11comp_targetILNS1_3genE9ELNS1_11target_archE1100ELNS1_3gpuE3ELNS1_3repE0EEENS1_47radix_sort_onesweep_sort_config_static_selectorELNS0_4arch9wavefront6targetE1EEEvSG_
	.globl	_ZN7rocprim17ROCPRIM_400000_NS6detail17trampoline_kernelINS0_14default_configENS1_35radix_sort_onesweep_config_selectorIflEEZZNS1_29radix_sort_onesweep_iterationIS3_Lb0EPfS7_N6thrust23THRUST_200600_302600_NS10device_ptrIlEESB_jNS0_19identity_decomposerENS1_16block_id_wrapperIjLb0EEEEE10hipError_tT1_PNSt15iterator_traitsISG_E10value_typeET2_T3_PNSH_ISM_E10value_typeET4_T5_PSR_SS_PNS1_23onesweep_lookback_stateEbbT6_jjT7_P12ihipStream_tbENKUlT_T0_SG_SL_E_clIS7_S7_SB_SB_EEDaSZ_S10_SG_SL_EUlSZ_E_NS1_11comp_targetILNS1_3genE9ELNS1_11target_archE1100ELNS1_3gpuE3ELNS1_3repE0EEENS1_47radix_sort_onesweep_sort_config_static_selectorELNS0_4arch9wavefront6targetE1EEEvSG_
	.p2align	8
	.type	_ZN7rocprim17ROCPRIM_400000_NS6detail17trampoline_kernelINS0_14default_configENS1_35radix_sort_onesweep_config_selectorIflEEZZNS1_29radix_sort_onesweep_iterationIS3_Lb0EPfS7_N6thrust23THRUST_200600_302600_NS10device_ptrIlEESB_jNS0_19identity_decomposerENS1_16block_id_wrapperIjLb0EEEEE10hipError_tT1_PNSt15iterator_traitsISG_E10value_typeET2_T3_PNSH_ISM_E10value_typeET4_T5_PSR_SS_PNS1_23onesweep_lookback_stateEbbT6_jjT7_P12ihipStream_tbENKUlT_T0_SG_SL_E_clIS7_S7_SB_SB_EEDaSZ_S10_SG_SL_EUlSZ_E_NS1_11comp_targetILNS1_3genE9ELNS1_11target_archE1100ELNS1_3gpuE3ELNS1_3repE0EEENS1_47radix_sort_onesweep_sort_config_static_selectorELNS0_4arch9wavefront6targetE1EEEvSG_,@function
_ZN7rocprim17ROCPRIM_400000_NS6detail17trampoline_kernelINS0_14default_configENS1_35radix_sort_onesweep_config_selectorIflEEZZNS1_29radix_sort_onesweep_iterationIS3_Lb0EPfS7_N6thrust23THRUST_200600_302600_NS10device_ptrIlEESB_jNS0_19identity_decomposerENS1_16block_id_wrapperIjLb0EEEEE10hipError_tT1_PNSt15iterator_traitsISG_E10value_typeET2_T3_PNSH_ISM_E10value_typeET4_T5_PSR_SS_PNS1_23onesweep_lookback_stateEbbT6_jjT7_P12ihipStream_tbENKUlT_T0_SG_SL_E_clIS7_S7_SB_SB_EEDaSZ_S10_SG_SL_EUlSZ_E_NS1_11comp_targetILNS1_3genE9ELNS1_11target_archE1100ELNS1_3gpuE3ELNS1_3repE0EEENS1_47radix_sort_onesweep_sort_config_static_selectorELNS0_4arch9wavefront6targetE1EEEvSG_: ; @_ZN7rocprim17ROCPRIM_400000_NS6detail17trampoline_kernelINS0_14default_configENS1_35radix_sort_onesweep_config_selectorIflEEZZNS1_29radix_sort_onesweep_iterationIS3_Lb0EPfS7_N6thrust23THRUST_200600_302600_NS10device_ptrIlEESB_jNS0_19identity_decomposerENS1_16block_id_wrapperIjLb0EEEEE10hipError_tT1_PNSt15iterator_traitsISG_E10value_typeET2_T3_PNSH_ISM_E10value_typeET4_T5_PSR_SS_PNS1_23onesweep_lookback_stateEbbT6_jjT7_P12ihipStream_tbENKUlT_T0_SG_SL_E_clIS7_S7_SB_SB_EEDaSZ_S10_SG_SL_EUlSZ_E_NS1_11comp_targetILNS1_3genE9ELNS1_11target_archE1100ELNS1_3gpuE3ELNS1_3repE0EEENS1_47radix_sort_onesweep_sort_config_static_selectorELNS0_4arch9wavefront6targetE1EEEvSG_
; %bb.0:
	.section	.rodata,"a",@progbits
	.p2align	6, 0x0
	.amdhsa_kernel _ZN7rocprim17ROCPRIM_400000_NS6detail17trampoline_kernelINS0_14default_configENS1_35radix_sort_onesweep_config_selectorIflEEZZNS1_29radix_sort_onesweep_iterationIS3_Lb0EPfS7_N6thrust23THRUST_200600_302600_NS10device_ptrIlEESB_jNS0_19identity_decomposerENS1_16block_id_wrapperIjLb0EEEEE10hipError_tT1_PNSt15iterator_traitsISG_E10value_typeET2_T3_PNSH_ISM_E10value_typeET4_T5_PSR_SS_PNS1_23onesweep_lookback_stateEbbT6_jjT7_P12ihipStream_tbENKUlT_T0_SG_SL_E_clIS7_S7_SB_SB_EEDaSZ_S10_SG_SL_EUlSZ_E_NS1_11comp_targetILNS1_3genE9ELNS1_11target_archE1100ELNS1_3gpuE3ELNS1_3repE0EEENS1_47radix_sort_onesweep_sort_config_static_selectorELNS0_4arch9wavefront6targetE1EEEvSG_
		.amdhsa_group_segment_fixed_size 0
		.amdhsa_private_segment_fixed_size 0
		.amdhsa_kernarg_size 88
		.amdhsa_user_sgpr_count 6
		.amdhsa_user_sgpr_private_segment_buffer 1
		.amdhsa_user_sgpr_dispatch_ptr 0
		.amdhsa_user_sgpr_queue_ptr 0
		.amdhsa_user_sgpr_kernarg_segment_ptr 1
		.amdhsa_user_sgpr_dispatch_id 0
		.amdhsa_user_sgpr_flat_scratch_init 0
		.amdhsa_user_sgpr_kernarg_preload_length 0
		.amdhsa_user_sgpr_kernarg_preload_offset 0
		.amdhsa_user_sgpr_private_segment_size 0
		.amdhsa_uses_dynamic_stack 0
		.amdhsa_system_sgpr_private_segment_wavefront_offset 0
		.amdhsa_system_sgpr_workgroup_id_x 1
		.amdhsa_system_sgpr_workgroup_id_y 0
		.amdhsa_system_sgpr_workgroup_id_z 0
		.amdhsa_system_sgpr_workgroup_info 0
		.amdhsa_system_vgpr_workitem_id 0
		.amdhsa_next_free_vgpr 1
		.amdhsa_next_free_sgpr 0
		.amdhsa_accum_offset 4
		.amdhsa_reserve_vcc 0
		.amdhsa_reserve_flat_scratch 0
		.amdhsa_float_round_mode_32 0
		.amdhsa_float_round_mode_16_64 0
		.amdhsa_float_denorm_mode_32 3
		.amdhsa_float_denorm_mode_16_64 3
		.amdhsa_dx10_clamp 1
		.amdhsa_ieee_mode 1
		.amdhsa_fp16_overflow 0
		.amdhsa_tg_split 0
		.amdhsa_exception_fp_ieee_invalid_op 0
		.amdhsa_exception_fp_denorm_src 0
		.amdhsa_exception_fp_ieee_div_zero 0
		.amdhsa_exception_fp_ieee_overflow 0
		.amdhsa_exception_fp_ieee_underflow 0
		.amdhsa_exception_fp_ieee_inexact 0
		.amdhsa_exception_int_div_zero 0
	.end_amdhsa_kernel
	.section	.text._ZN7rocprim17ROCPRIM_400000_NS6detail17trampoline_kernelINS0_14default_configENS1_35radix_sort_onesweep_config_selectorIflEEZZNS1_29radix_sort_onesweep_iterationIS3_Lb0EPfS7_N6thrust23THRUST_200600_302600_NS10device_ptrIlEESB_jNS0_19identity_decomposerENS1_16block_id_wrapperIjLb0EEEEE10hipError_tT1_PNSt15iterator_traitsISG_E10value_typeET2_T3_PNSH_ISM_E10value_typeET4_T5_PSR_SS_PNS1_23onesweep_lookback_stateEbbT6_jjT7_P12ihipStream_tbENKUlT_T0_SG_SL_E_clIS7_S7_SB_SB_EEDaSZ_S10_SG_SL_EUlSZ_E_NS1_11comp_targetILNS1_3genE9ELNS1_11target_archE1100ELNS1_3gpuE3ELNS1_3repE0EEENS1_47radix_sort_onesweep_sort_config_static_selectorELNS0_4arch9wavefront6targetE1EEEvSG_,"axG",@progbits,_ZN7rocprim17ROCPRIM_400000_NS6detail17trampoline_kernelINS0_14default_configENS1_35radix_sort_onesweep_config_selectorIflEEZZNS1_29radix_sort_onesweep_iterationIS3_Lb0EPfS7_N6thrust23THRUST_200600_302600_NS10device_ptrIlEESB_jNS0_19identity_decomposerENS1_16block_id_wrapperIjLb0EEEEE10hipError_tT1_PNSt15iterator_traitsISG_E10value_typeET2_T3_PNSH_ISM_E10value_typeET4_T5_PSR_SS_PNS1_23onesweep_lookback_stateEbbT6_jjT7_P12ihipStream_tbENKUlT_T0_SG_SL_E_clIS7_S7_SB_SB_EEDaSZ_S10_SG_SL_EUlSZ_E_NS1_11comp_targetILNS1_3genE9ELNS1_11target_archE1100ELNS1_3gpuE3ELNS1_3repE0EEENS1_47radix_sort_onesweep_sort_config_static_selectorELNS0_4arch9wavefront6targetE1EEEvSG_,comdat
.Lfunc_end1868:
	.size	_ZN7rocprim17ROCPRIM_400000_NS6detail17trampoline_kernelINS0_14default_configENS1_35radix_sort_onesweep_config_selectorIflEEZZNS1_29radix_sort_onesweep_iterationIS3_Lb0EPfS7_N6thrust23THRUST_200600_302600_NS10device_ptrIlEESB_jNS0_19identity_decomposerENS1_16block_id_wrapperIjLb0EEEEE10hipError_tT1_PNSt15iterator_traitsISG_E10value_typeET2_T3_PNSH_ISM_E10value_typeET4_T5_PSR_SS_PNS1_23onesweep_lookback_stateEbbT6_jjT7_P12ihipStream_tbENKUlT_T0_SG_SL_E_clIS7_S7_SB_SB_EEDaSZ_S10_SG_SL_EUlSZ_E_NS1_11comp_targetILNS1_3genE9ELNS1_11target_archE1100ELNS1_3gpuE3ELNS1_3repE0EEENS1_47radix_sort_onesweep_sort_config_static_selectorELNS0_4arch9wavefront6targetE1EEEvSG_, .Lfunc_end1868-_ZN7rocprim17ROCPRIM_400000_NS6detail17trampoline_kernelINS0_14default_configENS1_35radix_sort_onesweep_config_selectorIflEEZZNS1_29radix_sort_onesweep_iterationIS3_Lb0EPfS7_N6thrust23THRUST_200600_302600_NS10device_ptrIlEESB_jNS0_19identity_decomposerENS1_16block_id_wrapperIjLb0EEEEE10hipError_tT1_PNSt15iterator_traitsISG_E10value_typeET2_T3_PNSH_ISM_E10value_typeET4_T5_PSR_SS_PNS1_23onesweep_lookback_stateEbbT6_jjT7_P12ihipStream_tbENKUlT_T0_SG_SL_E_clIS7_S7_SB_SB_EEDaSZ_S10_SG_SL_EUlSZ_E_NS1_11comp_targetILNS1_3genE9ELNS1_11target_archE1100ELNS1_3gpuE3ELNS1_3repE0EEENS1_47radix_sort_onesweep_sort_config_static_selectorELNS0_4arch9wavefront6targetE1EEEvSG_
                                        ; -- End function
	.section	.AMDGPU.csdata,"",@progbits
; Kernel info:
; codeLenInByte = 0
; NumSgprs: 4
; NumVgprs: 0
; NumAgprs: 0
; TotalNumVgprs: 0
; ScratchSize: 0
; MemoryBound: 0
; FloatMode: 240
; IeeeMode: 1
; LDSByteSize: 0 bytes/workgroup (compile time only)
; SGPRBlocks: 0
; VGPRBlocks: 0
; NumSGPRsForWavesPerEU: 4
; NumVGPRsForWavesPerEU: 1
; AccumOffset: 4
; Occupancy: 8
; WaveLimiterHint : 0
; COMPUTE_PGM_RSRC2:SCRATCH_EN: 0
; COMPUTE_PGM_RSRC2:USER_SGPR: 6
; COMPUTE_PGM_RSRC2:TRAP_HANDLER: 0
; COMPUTE_PGM_RSRC2:TGID_X_EN: 1
; COMPUTE_PGM_RSRC2:TGID_Y_EN: 0
; COMPUTE_PGM_RSRC2:TGID_Z_EN: 0
; COMPUTE_PGM_RSRC2:TIDIG_COMP_CNT: 0
; COMPUTE_PGM_RSRC3_GFX90A:ACCUM_OFFSET: 0
; COMPUTE_PGM_RSRC3_GFX90A:TG_SPLIT: 0
	.section	.text._ZN7rocprim17ROCPRIM_400000_NS6detail17trampoline_kernelINS0_14default_configENS1_35radix_sort_onesweep_config_selectorIflEEZZNS1_29radix_sort_onesweep_iterationIS3_Lb0EPfS7_N6thrust23THRUST_200600_302600_NS10device_ptrIlEESB_jNS0_19identity_decomposerENS1_16block_id_wrapperIjLb0EEEEE10hipError_tT1_PNSt15iterator_traitsISG_E10value_typeET2_T3_PNSH_ISM_E10value_typeET4_T5_PSR_SS_PNS1_23onesweep_lookback_stateEbbT6_jjT7_P12ihipStream_tbENKUlT_T0_SG_SL_E_clIS7_S7_SB_SB_EEDaSZ_S10_SG_SL_EUlSZ_E_NS1_11comp_targetILNS1_3genE8ELNS1_11target_archE1030ELNS1_3gpuE2ELNS1_3repE0EEENS1_47radix_sort_onesweep_sort_config_static_selectorELNS0_4arch9wavefront6targetE1EEEvSG_,"axG",@progbits,_ZN7rocprim17ROCPRIM_400000_NS6detail17trampoline_kernelINS0_14default_configENS1_35radix_sort_onesweep_config_selectorIflEEZZNS1_29radix_sort_onesweep_iterationIS3_Lb0EPfS7_N6thrust23THRUST_200600_302600_NS10device_ptrIlEESB_jNS0_19identity_decomposerENS1_16block_id_wrapperIjLb0EEEEE10hipError_tT1_PNSt15iterator_traitsISG_E10value_typeET2_T3_PNSH_ISM_E10value_typeET4_T5_PSR_SS_PNS1_23onesweep_lookback_stateEbbT6_jjT7_P12ihipStream_tbENKUlT_T0_SG_SL_E_clIS7_S7_SB_SB_EEDaSZ_S10_SG_SL_EUlSZ_E_NS1_11comp_targetILNS1_3genE8ELNS1_11target_archE1030ELNS1_3gpuE2ELNS1_3repE0EEENS1_47radix_sort_onesweep_sort_config_static_selectorELNS0_4arch9wavefront6targetE1EEEvSG_,comdat
	.protected	_ZN7rocprim17ROCPRIM_400000_NS6detail17trampoline_kernelINS0_14default_configENS1_35radix_sort_onesweep_config_selectorIflEEZZNS1_29radix_sort_onesweep_iterationIS3_Lb0EPfS7_N6thrust23THRUST_200600_302600_NS10device_ptrIlEESB_jNS0_19identity_decomposerENS1_16block_id_wrapperIjLb0EEEEE10hipError_tT1_PNSt15iterator_traitsISG_E10value_typeET2_T3_PNSH_ISM_E10value_typeET4_T5_PSR_SS_PNS1_23onesweep_lookback_stateEbbT6_jjT7_P12ihipStream_tbENKUlT_T0_SG_SL_E_clIS7_S7_SB_SB_EEDaSZ_S10_SG_SL_EUlSZ_E_NS1_11comp_targetILNS1_3genE8ELNS1_11target_archE1030ELNS1_3gpuE2ELNS1_3repE0EEENS1_47radix_sort_onesweep_sort_config_static_selectorELNS0_4arch9wavefront6targetE1EEEvSG_ ; -- Begin function _ZN7rocprim17ROCPRIM_400000_NS6detail17trampoline_kernelINS0_14default_configENS1_35radix_sort_onesweep_config_selectorIflEEZZNS1_29radix_sort_onesweep_iterationIS3_Lb0EPfS7_N6thrust23THRUST_200600_302600_NS10device_ptrIlEESB_jNS0_19identity_decomposerENS1_16block_id_wrapperIjLb0EEEEE10hipError_tT1_PNSt15iterator_traitsISG_E10value_typeET2_T3_PNSH_ISM_E10value_typeET4_T5_PSR_SS_PNS1_23onesweep_lookback_stateEbbT6_jjT7_P12ihipStream_tbENKUlT_T0_SG_SL_E_clIS7_S7_SB_SB_EEDaSZ_S10_SG_SL_EUlSZ_E_NS1_11comp_targetILNS1_3genE8ELNS1_11target_archE1030ELNS1_3gpuE2ELNS1_3repE0EEENS1_47radix_sort_onesweep_sort_config_static_selectorELNS0_4arch9wavefront6targetE1EEEvSG_
	.globl	_ZN7rocprim17ROCPRIM_400000_NS6detail17trampoline_kernelINS0_14default_configENS1_35radix_sort_onesweep_config_selectorIflEEZZNS1_29radix_sort_onesweep_iterationIS3_Lb0EPfS7_N6thrust23THRUST_200600_302600_NS10device_ptrIlEESB_jNS0_19identity_decomposerENS1_16block_id_wrapperIjLb0EEEEE10hipError_tT1_PNSt15iterator_traitsISG_E10value_typeET2_T3_PNSH_ISM_E10value_typeET4_T5_PSR_SS_PNS1_23onesweep_lookback_stateEbbT6_jjT7_P12ihipStream_tbENKUlT_T0_SG_SL_E_clIS7_S7_SB_SB_EEDaSZ_S10_SG_SL_EUlSZ_E_NS1_11comp_targetILNS1_3genE8ELNS1_11target_archE1030ELNS1_3gpuE2ELNS1_3repE0EEENS1_47radix_sort_onesweep_sort_config_static_selectorELNS0_4arch9wavefront6targetE1EEEvSG_
	.p2align	8
	.type	_ZN7rocprim17ROCPRIM_400000_NS6detail17trampoline_kernelINS0_14default_configENS1_35radix_sort_onesweep_config_selectorIflEEZZNS1_29radix_sort_onesweep_iterationIS3_Lb0EPfS7_N6thrust23THRUST_200600_302600_NS10device_ptrIlEESB_jNS0_19identity_decomposerENS1_16block_id_wrapperIjLb0EEEEE10hipError_tT1_PNSt15iterator_traitsISG_E10value_typeET2_T3_PNSH_ISM_E10value_typeET4_T5_PSR_SS_PNS1_23onesweep_lookback_stateEbbT6_jjT7_P12ihipStream_tbENKUlT_T0_SG_SL_E_clIS7_S7_SB_SB_EEDaSZ_S10_SG_SL_EUlSZ_E_NS1_11comp_targetILNS1_3genE8ELNS1_11target_archE1030ELNS1_3gpuE2ELNS1_3repE0EEENS1_47radix_sort_onesweep_sort_config_static_selectorELNS0_4arch9wavefront6targetE1EEEvSG_,@function
_ZN7rocprim17ROCPRIM_400000_NS6detail17trampoline_kernelINS0_14default_configENS1_35radix_sort_onesweep_config_selectorIflEEZZNS1_29radix_sort_onesweep_iterationIS3_Lb0EPfS7_N6thrust23THRUST_200600_302600_NS10device_ptrIlEESB_jNS0_19identity_decomposerENS1_16block_id_wrapperIjLb0EEEEE10hipError_tT1_PNSt15iterator_traitsISG_E10value_typeET2_T3_PNSH_ISM_E10value_typeET4_T5_PSR_SS_PNS1_23onesweep_lookback_stateEbbT6_jjT7_P12ihipStream_tbENKUlT_T0_SG_SL_E_clIS7_S7_SB_SB_EEDaSZ_S10_SG_SL_EUlSZ_E_NS1_11comp_targetILNS1_3genE8ELNS1_11target_archE1030ELNS1_3gpuE2ELNS1_3repE0EEENS1_47radix_sort_onesweep_sort_config_static_selectorELNS0_4arch9wavefront6targetE1EEEvSG_: ; @_ZN7rocprim17ROCPRIM_400000_NS6detail17trampoline_kernelINS0_14default_configENS1_35radix_sort_onesweep_config_selectorIflEEZZNS1_29radix_sort_onesweep_iterationIS3_Lb0EPfS7_N6thrust23THRUST_200600_302600_NS10device_ptrIlEESB_jNS0_19identity_decomposerENS1_16block_id_wrapperIjLb0EEEEE10hipError_tT1_PNSt15iterator_traitsISG_E10value_typeET2_T3_PNSH_ISM_E10value_typeET4_T5_PSR_SS_PNS1_23onesweep_lookback_stateEbbT6_jjT7_P12ihipStream_tbENKUlT_T0_SG_SL_E_clIS7_S7_SB_SB_EEDaSZ_S10_SG_SL_EUlSZ_E_NS1_11comp_targetILNS1_3genE8ELNS1_11target_archE1030ELNS1_3gpuE2ELNS1_3repE0EEENS1_47radix_sort_onesweep_sort_config_static_selectorELNS0_4arch9wavefront6targetE1EEEvSG_
; %bb.0:
	.section	.rodata,"a",@progbits
	.p2align	6, 0x0
	.amdhsa_kernel _ZN7rocprim17ROCPRIM_400000_NS6detail17trampoline_kernelINS0_14default_configENS1_35radix_sort_onesweep_config_selectorIflEEZZNS1_29radix_sort_onesweep_iterationIS3_Lb0EPfS7_N6thrust23THRUST_200600_302600_NS10device_ptrIlEESB_jNS0_19identity_decomposerENS1_16block_id_wrapperIjLb0EEEEE10hipError_tT1_PNSt15iterator_traitsISG_E10value_typeET2_T3_PNSH_ISM_E10value_typeET4_T5_PSR_SS_PNS1_23onesweep_lookback_stateEbbT6_jjT7_P12ihipStream_tbENKUlT_T0_SG_SL_E_clIS7_S7_SB_SB_EEDaSZ_S10_SG_SL_EUlSZ_E_NS1_11comp_targetILNS1_3genE8ELNS1_11target_archE1030ELNS1_3gpuE2ELNS1_3repE0EEENS1_47radix_sort_onesweep_sort_config_static_selectorELNS0_4arch9wavefront6targetE1EEEvSG_
		.amdhsa_group_segment_fixed_size 0
		.amdhsa_private_segment_fixed_size 0
		.amdhsa_kernarg_size 88
		.amdhsa_user_sgpr_count 6
		.amdhsa_user_sgpr_private_segment_buffer 1
		.amdhsa_user_sgpr_dispatch_ptr 0
		.amdhsa_user_sgpr_queue_ptr 0
		.amdhsa_user_sgpr_kernarg_segment_ptr 1
		.amdhsa_user_sgpr_dispatch_id 0
		.amdhsa_user_sgpr_flat_scratch_init 0
		.amdhsa_user_sgpr_kernarg_preload_length 0
		.amdhsa_user_sgpr_kernarg_preload_offset 0
		.amdhsa_user_sgpr_private_segment_size 0
		.amdhsa_uses_dynamic_stack 0
		.amdhsa_system_sgpr_private_segment_wavefront_offset 0
		.amdhsa_system_sgpr_workgroup_id_x 1
		.amdhsa_system_sgpr_workgroup_id_y 0
		.amdhsa_system_sgpr_workgroup_id_z 0
		.amdhsa_system_sgpr_workgroup_info 0
		.amdhsa_system_vgpr_workitem_id 0
		.amdhsa_next_free_vgpr 1
		.amdhsa_next_free_sgpr 0
		.amdhsa_accum_offset 4
		.amdhsa_reserve_vcc 0
		.amdhsa_reserve_flat_scratch 0
		.amdhsa_float_round_mode_32 0
		.amdhsa_float_round_mode_16_64 0
		.amdhsa_float_denorm_mode_32 3
		.amdhsa_float_denorm_mode_16_64 3
		.amdhsa_dx10_clamp 1
		.amdhsa_ieee_mode 1
		.amdhsa_fp16_overflow 0
		.amdhsa_tg_split 0
		.amdhsa_exception_fp_ieee_invalid_op 0
		.amdhsa_exception_fp_denorm_src 0
		.amdhsa_exception_fp_ieee_div_zero 0
		.amdhsa_exception_fp_ieee_overflow 0
		.amdhsa_exception_fp_ieee_underflow 0
		.amdhsa_exception_fp_ieee_inexact 0
		.amdhsa_exception_int_div_zero 0
	.end_amdhsa_kernel
	.section	.text._ZN7rocprim17ROCPRIM_400000_NS6detail17trampoline_kernelINS0_14default_configENS1_35radix_sort_onesweep_config_selectorIflEEZZNS1_29radix_sort_onesweep_iterationIS3_Lb0EPfS7_N6thrust23THRUST_200600_302600_NS10device_ptrIlEESB_jNS0_19identity_decomposerENS1_16block_id_wrapperIjLb0EEEEE10hipError_tT1_PNSt15iterator_traitsISG_E10value_typeET2_T3_PNSH_ISM_E10value_typeET4_T5_PSR_SS_PNS1_23onesweep_lookback_stateEbbT6_jjT7_P12ihipStream_tbENKUlT_T0_SG_SL_E_clIS7_S7_SB_SB_EEDaSZ_S10_SG_SL_EUlSZ_E_NS1_11comp_targetILNS1_3genE8ELNS1_11target_archE1030ELNS1_3gpuE2ELNS1_3repE0EEENS1_47radix_sort_onesweep_sort_config_static_selectorELNS0_4arch9wavefront6targetE1EEEvSG_,"axG",@progbits,_ZN7rocprim17ROCPRIM_400000_NS6detail17trampoline_kernelINS0_14default_configENS1_35radix_sort_onesweep_config_selectorIflEEZZNS1_29radix_sort_onesweep_iterationIS3_Lb0EPfS7_N6thrust23THRUST_200600_302600_NS10device_ptrIlEESB_jNS0_19identity_decomposerENS1_16block_id_wrapperIjLb0EEEEE10hipError_tT1_PNSt15iterator_traitsISG_E10value_typeET2_T3_PNSH_ISM_E10value_typeET4_T5_PSR_SS_PNS1_23onesweep_lookback_stateEbbT6_jjT7_P12ihipStream_tbENKUlT_T0_SG_SL_E_clIS7_S7_SB_SB_EEDaSZ_S10_SG_SL_EUlSZ_E_NS1_11comp_targetILNS1_3genE8ELNS1_11target_archE1030ELNS1_3gpuE2ELNS1_3repE0EEENS1_47radix_sort_onesweep_sort_config_static_selectorELNS0_4arch9wavefront6targetE1EEEvSG_,comdat
.Lfunc_end1869:
	.size	_ZN7rocprim17ROCPRIM_400000_NS6detail17trampoline_kernelINS0_14default_configENS1_35radix_sort_onesweep_config_selectorIflEEZZNS1_29radix_sort_onesweep_iterationIS3_Lb0EPfS7_N6thrust23THRUST_200600_302600_NS10device_ptrIlEESB_jNS0_19identity_decomposerENS1_16block_id_wrapperIjLb0EEEEE10hipError_tT1_PNSt15iterator_traitsISG_E10value_typeET2_T3_PNSH_ISM_E10value_typeET4_T5_PSR_SS_PNS1_23onesweep_lookback_stateEbbT6_jjT7_P12ihipStream_tbENKUlT_T0_SG_SL_E_clIS7_S7_SB_SB_EEDaSZ_S10_SG_SL_EUlSZ_E_NS1_11comp_targetILNS1_3genE8ELNS1_11target_archE1030ELNS1_3gpuE2ELNS1_3repE0EEENS1_47radix_sort_onesweep_sort_config_static_selectorELNS0_4arch9wavefront6targetE1EEEvSG_, .Lfunc_end1869-_ZN7rocprim17ROCPRIM_400000_NS6detail17trampoline_kernelINS0_14default_configENS1_35radix_sort_onesweep_config_selectorIflEEZZNS1_29radix_sort_onesweep_iterationIS3_Lb0EPfS7_N6thrust23THRUST_200600_302600_NS10device_ptrIlEESB_jNS0_19identity_decomposerENS1_16block_id_wrapperIjLb0EEEEE10hipError_tT1_PNSt15iterator_traitsISG_E10value_typeET2_T3_PNSH_ISM_E10value_typeET4_T5_PSR_SS_PNS1_23onesweep_lookback_stateEbbT6_jjT7_P12ihipStream_tbENKUlT_T0_SG_SL_E_clIS7_S7_SB_SB_EEDaSZ_S10_SG_SL_EUlSZ_E_NS1_11comp_targetILNS1_3genE8ELNS1_11target_archE1030ELNS1_3gpuE2ELNS1_3repE0EEENS1_47radix_sort_onesweep_sort_config_static_selectorELNS0_4arch9wavefront6targetE1EEEvSG_
                                        ; -- End function
	.section	.AMDGPU.csdata,"",@progbits
; Kernel info:
; codeLenInByte = 0
; NumSgprs: 4
; NumVgprs: 0
; NumAgprs: 0
; TotalNumVgprs: 0
; ScratchSize: 0
; MemoryBound: 0
; FloatMode: 240
; IeeeMode: 1
; LDSByteSize: 0 bytes/workgroup (compile time only)
; SGPRBlocks: 0
; VGPRBlocks: 0
; NumSGPRsForWavesPerEU: 4
; NumVGPRsForWavesPerEU: 1
; AccumOffset: 4
; Occupancy: 8
; WaveLimiterHint : 0
; COMPUTE_PGM_RSRC2:SCRATCH_EN: 0
; COMPUTE_PGM_RSRC2:USER_SGPR: 6
; COMPUTE_PGM_RSRC2:TRAP_HANDLER: 0
; COMPUTE_PGM_RSRC2:TGID_X_EN: 1
; COMPUTE_PGM_RSRC2:TGID_Y_EN: 0
; COMPUTE_PGM_RSRC2:TGID_Z_EN: 0
; COMPUTE_PGM_RSRC2:TIDIG_COMP_CNT: 0
; COMPUTE_PGM_RSRC3_GFX90A:ACCUM_OFFSET: 0
; COMPUTE_PGM_RSRC3_GFX90A:TG_SPLIT: 0
	.section	.text._ZN7rocprim17ROCPRIM_400000_NS6detail17trampoline_kernelINS0_14default_configENS1_35radix_sort_onesweep_config_selectorIflEEZZNS1_29radix_sort_onesweep_iterationIS3_Lb0EPfS7_N6thrust23THRUST_200600_302600_NS10device_ptrIlEESB_jNS0_19identity_decomposerENS1_16block_id_wrapperIjLb0EEEEE10hipError_tT1_PNSt15iterator_traitsISG_E10value_typeET2_T3_PNSH_ISM_E10value_typeET4_T5_PSR_SS_PNS1_23onesweep_lookback_stateEbbT6_jjT7_P12ihipStream_tbENKUlT_T0_SG_SL_E_clIS7_S7_SB_PlEEDaSZ_S10_SG_SL_EUlSZ_E_NS1_11comp_targetILNS1_3genE0ELNS1_11target_archE4294967295ELNS1_3gpuE0ELNS1_3repE0EEENS1_47radix_sort_onesweep_sort_config_static_selectorELNS0_4arch9wavefront6targetE1EEEvSG_,"axG",@progbits,_ZN7rocprim17ROCPRIM_400000_NS6detail17trampoline_kernelINS0_14default_configENS1_35radix_sort_onesweep_config_selectorIflEEZZNS1_29radix_sort_onesweep_iterationIS3_Lb0EPfS7_N6thrust23THRUST_200600_302600_NS10device_ptrIlEESB_jNS0_19identity_decomposerENS1_16block_id_wrapperIjLb0EEEEE10hipError_tT1_PNSt15iterator_traitsISG_E10value_typeET2_T3_PNSH_ISM_E10value_typeET4_T5_PSR_SS_PNS1_23onesweep_lookback_stateEbbT6_jjT7_P12ihipStream_tbENKUlT_T0_SG_SL_E_clIS7_S7_SB_PlEEDaSZ_S10_SG_SL_EUlSZ_E_NS1_11comp_targetILNS1_3genE0ELNS1_11target_archE4294967295ELNS1_3gpuE0ELNS1_3repE0EEENS1_47radix_sort_onesweep_sort_config_static_selectorELNS0_4arch9wavefront6targetE1EEEvSG_,comdat
	.protected	_ZN7rocprim17ROCPRIM_400000_NS6detail17trampoline_kernelINS0_14default_configENS1_35radix_sort_onesweep_config_selectorIflEEZZNS1_29radix_sort_onesweep_iterationIS3_Lb0EPfS7_N6thrust23THRUST_200600_302600_NS10device_ptrIlEESB_jNS0_19identity_decomposerENS1_16block_id_wrapperIjLb0EEEEE10hipError_tT1_PNSt15iterator_traitsISG_E10value_typeET2_T3_PNSH_ISM_E10value_typeET4_T5_PSR_SS_PNS1_23onesweep_lookback_stateEbbT6_jjT7_P12ihipStream_tbENKUlT_T0_SG_SL_E_clIS7_S7_SB_PlEEDaSZ_S10_SG_SL_EUlSZ_E_NS1_11comp_targetILNS1_3genE0ELNS1_11target_archE4294967295ELNS1_3gpuE0ELNS1_3repE0EEENS1_47radix_sort_onesweep_sort_config_static_selectorELNS0_4arch9wavefront6targetE1EEEvSG_ ; -- Begin function _ZN7rocprim17ROCPRIM_400000_NS6detail17trampoline_kernelINS0_14default_configENS1_35radix_sort_onesweep_config_selectorIflEEZZNS1_29radix_sort_onesweep_iterationIS3_Lb0EPfS7_N6thrust23THRUST_200600_302600_NS10device_ptrIlEESB_jNS0_19identity_decomposerENS1_16block_id_wrapperIjLb0EEEEE10hipError_tT1_PNSt15iterator_traitsISG_E10value_typeET2_T3_PNSH_ISM_E10value_typeET4_T5_PSR_SS_PNS1_23onesweep_lookback_stateEbbT6_jjT7_P12ihipStream_tbENKUlT_T0_SG_SL_E_clIS7_S7_SB_PlEEDaSZ_S10_SG_SL_EUlSZ_E_NS1_11comp_targetILNS1_3genE0ELNS1_11target_archE4294967295ELNS1_3gpuE0ELNS1_3repE0EEENS1_47radix_sort_onesweep_sort_config_static_selectorELNS0_4arch9wavefront6targetE1EEEvSG_
	.globl	_ZN7rocprim17ROCPRIM_400000_NS6detail17trampoline_kernelINS0_14default_configENS1_35radix_sort_onesweep_config_selectorIflEEZZNS1_29radix_sort_onesweep_iterationIS3_Lb0EPfS7_N6thrust23THRUST_200600_302600_NS10device_ptrIlEESB_jNS0_19identity_decomposerENS1_16block_id_wrapperIjLb0EEEEE10hipError_tT1_PNSt15iterator_traitsISG_E10value_typeET2_T3_PNSH_ISM_E10value_typeET4_T5_PSR_SS_PNS1_23onesweep_lookback_stateEbbT6_jjT7_P12ihipStream_tbENKUlT_T0_SG_SL_E_clIS7_S7_SB_PlEEDaSZ_S10_SG_SL_EUlSZ_E_NS1_11comp_targetILNS1_3genE0ELNS1_11target_archE4294967295ELNS1_3gpuE0ELNS1_3repE0EEENS1_47radix_sort_onesweep_sort_config_static_selectorELNS0_4arch9wavefront6targetE1EEEvSG_
	.p2align	8
	.type	_ZN7rocprim17ROCPRIM_400000_NS6detail17trampoline_kernelINS0_14default_configENS1_35radix_sort_onesweep_config_selectorIflEEZZNS1_29radix_sort_onesweep_iterationIS3_Lb0EPfS7_N6thrust23THRUST_200600_302600_NS10device_ptrIlEESB_jNS0_19identity_decomposerENS1_16block_id_wrapperIjLb0EEEEE10hipError_tT1_PNSt15iterator_traitsISG_E10value_typeET2_T3_PNSH_ISM_E10value_typeET4_T5_PSR_SS_PNS1_23onesweep_lookback_stateEbbT6_jjT7_P12ihipStream_tbENKUlT_T0_SG_SL_E_clIS7_S7_SB_PlEEDaSZ_S10_SG_SL_EUlSZ_E_NS1_11comp_targetILNS1_3genE0ELNS1_11target_archE4294967295ELNS1_3gpuE0ELNS1_3repE0EEENS1_47radix_sort_onesweep_sort_config_static_selectorELNS0_4arch9wavefront6targetE1EEEvSG_,@function
_ZN7rocprim17ROCPRIM_400000_NS6detail17trampoline_kernelINS0_14default_configENS1_35radix_sort_onesweep_config_selectorIflEEZZNS1_29radix_sort_onesweep_iterationIS3_Lb0EPfS7_N6thrust23THRUST_200600_302600_NS10device_ptrIlEESB_jNS0_19identity_decomposerENS1_16block_id_wrapperIjLb0EEEEE10hipError_tT1_PNSt15iterator_traitsISG_E10value_typeET2_T3_PNSH_ISM_E10value_typeET4_T5_PSR_SS_PNS1_23onesweep_lookback_stateEbbT6_jjT7_P12ihipStream_tbENKUlT_T0_SG_SL_E_clIS7_S7_SB_PlEEDaSZ_S10_SG_SL_EUlSZ_E_NS1_11comp_targetILNS1_3genE0ELNS1_11target_archE4294967295ELNS1_3gpuE0ELNS1_3repE0EEENS1_47radix_sort_onesweep_sort_config_static_selectorELNS0_4arch9wavefront6targetE1EEEvSG_: ; @_ZN7rocprim17ROCPRIM_400000_NS6detail17trampoline_kernelINS0_14default_configENS1_35radix_sort_onesweep_config_selectorIflEEZZNS1_29radix_sort_onesweep_iterationIS3_Lb0EPfS7_N6thrust23THRUST_200600_302600_NS10device_ptrIlEESB_jNS0_19identity_decomposerENS1_16block_id_wrapperIjLb0EEEEE10hipError_tT1_PNSt15iterator_traitsISG_E10value_typeET2_T3_PNSH_ISM_E10value_typeET4_T5_PSR_SS_PNS1_23onesweep_lookback_stateEbbT6_jjT7_P12ihipStream_tbENKUlT_T0_SG_SL_E_clIS7_S7_SB_PlEEDaSZ_S10_SG_SL_EUlSZ_E_NS1_11comp_targetILNS1_3genE0ELNS1_11target_archE4294967295ELNS1_3gpuE0ELNS1_3repE0EEENS1_47radix_sort_onesweep_sort_config_static_selectorELNS0_4arch9wavefront6targetE1EEEvSG_
; %bb.0:
	.section	.rodata,"a",@progbits
	.p2align	6, 0x0
	.amdhsa_kernel _ZN7rocprim17ROCPRIM_400000_NS6detail17trampoline_kernelINS0_14default_configENS1_35radix_sort_onesweep_config_selectorIflEEZZNS1_29radix_sort_onesweep_iterationIS3_Lb0EPfS7_N6thrust23THRUST_200600_302600_NS10device_ptrIlEESB_jNS0_19identity_decomposerENS1_16block_id_wrapperIjLb0EEEEE10hipError_tT1_PNSt15iterator_traitsISG_E10value_typeET2_T3_PNSH_ISM_E10value_typeET4_T5_PSR_SS_PNS1_23onesweep_lookback_stateEbbT6_jjT7_P12ihipStream_tbENKUlT_T0_SG_SL_E_clIS7_S7_SB_PlEEDaSZ_S10_SG_SL_EUlSZ_E_NS1_11comp_targetILNS1_3genE0ELNS1_11target_archE4294967295ELNS1_3gpuE0ELNS1_3repE0EEENS1_47radix_sort_onesweep_sort_config_static_selectorELNS0_4arch9wavefront6targetE1EEEvSG_
		.amdhsa_group_segment_fixed_size 0
		.amdhsa_private_segment_fixed_size 0
		.amdhsa_kernarg_size 88
		.amdhsa_user_sgpr_count 6
		.amdhsa_user_sgpr_private_segment_buffer 1
		.amdhsa_user_sgpr_dispatch_ptr 0
		.amdhsa_user_sgpr_queue_ptr 0
		.amdhsa_user_sgpr_kernarg_segment_ptr 1
		.amdhsa_user_sgpr_dispatch_id 0
		.amdhsa_user_sgpr_flat_scratch_init 0
		.amdhsa_user_sgpr_kernarg_preload_length 0
		.amdhsa_user_sgpr_kernarg_preload_offset 0
		.amdhsa_user_sgpr_private_segment_size 0
		.amdhsa_uses_dynamic_stack 0
		.amdhsa_system_sgpr_private_segment_wavefront_offset 0
		.amdhsa_system_sgpr_workgroup_id_x 1
		.amdhsa_system_sgpr_workgroup_id_y 0
		.amdhsa_system_sgpr_workgroup_id_z 0
		.amdhsa_system_sgpr_workgroup_info 0
		.amdhsa_system_vgpr_workitem_id 0
		.amdhsa_next_free_vgpr 1
		.amdhsa_next_free_sgpr 0
		.amdhsa_accum_offset 4
		.amdhsa_reserve_vcc 0
		.amdhsa_reserve_flat_scratch 0
		.amdhsa_float_round_mode_32 0
		.amdhsa_float_round_mode_16_64 0
		.amdhsa_float_denorm_mode_32 3
		.amdhsa_float_denorm_mode_16_64 3
		.amdhsa_dx10_clamp 1
		.amdhsa_ieee_mode 1
		.amdhsa_fp16_overflow 0
		.amdhsa_tg_split 0
		.amdhsa_exception_fp_ieee_invalid_op 0
		.amdhsa_exception_fp_denorm_src 0
		.amdhsa_exception_fp_ieee_div_zero 0
		.amdhsa_exception_fp_ieee_overflow 0
		.amdhsa_exception_fp_ieee_underflow 0
		.amdhsa_exception_fp_ieee_inexact 0
		.amdhsa_exception_int_div_zero 0
	.end_amdhsa_kernel
	.section	.text._ZN7rocprim17ROCPRIM_400000_NS6detail17trampoline_kernelINS0_14default_configENS1_35radix_sort_onesweep_config_selectorIflEEZZNS1_29radix_sort_onesweep_iterationIS3_Lb0EPfS7_N6thrust23THRUST_200600_302600_NS10device_ptrIlEESB_jNS0_19identity_decomposerENS1_16block_id_wrapperIjLb0EEEEE10hipError_tT1_PNSt15iterator_traitsISG_E10value_typeET2_T3_PNSH_ISM_E10value_typeET4_T5_PSR_SS_PNS1_23onesweep_lookback_stateEbbT6_jjT7_P12ihipStream_tbENKUlT_T0_SG_SL_E_clIS7_S7_SB_PlEEDaSZ_S10_SG_SL_EUlSZ_E_NS1_11comp_targetILNS1_3genE0ELNS1_11target_archE4294967295ELNS1_3gpuE0ELNS1_3repE0EEENS1_47radix_sort_onesweep_sort_config_static_selectorELNS0_4arch9wavefront6targetE1EEEvSG_,"axG",@progbits,_ZN7rocprim17ROCPRIM_400000_NS6detail17trampoline_kernelINS0_14default_configENS1_35radix_sort_onesweep_config_selectorIflEEZZNS1_29radix_sort_onesweep_iterationIS3_Lb0EPfS7_N6thrust23THRUST_200600_302600_NS10device_ptrIlEESB_jNS0_19identity_decomposerENS1_16block_id_wrapperIjLb0EEEEE10hipError_tT1_PNSt15iterator_traitsISG_E10value_typeET2_T3_PNSH_ISM_E10value_typeET4_T5_PSR_SS_PNS1_23onesweep_lookback_stateEbbT6_jjT7_P12ihipStream_tbENKUlT_T0_SG_SL_E_clIS7_S7_SB_PlEEDaSZ_S10_SG_SL_EUlSZ_E_NS1_11comp_targetILNS1_3genE0ELNS1_11target_archE4294967295ELNS1_3gpuE0ELNS1_3repE0EEENS1_47radix_sort_onesweep_sort_config_static_selectorELNS0_4arch9wavefront6targetE1EEEvSG_,comdat
.Lfunc_end1870:
	.size	_ZN7rocprim17ROCPRIM_400000_NS6detail17trampoline_kernelINS0_14default_configENS1_35radix_sort_onesweep_config_selectorIflEEZZNS1_29radix_sort_onesweep_iterationIS3_Lb0EPfS7_N6thrust23THRUST_200600_302600_NS10device_ptrIlEESB_jNS0_19identity_decomposerENS1_16block_id_wrapperIjLb0EEEEE10hipError_tT1_PNSt15iterator_traitsISG_E10value_typeET2_T3_PNSH_ISM_E10value_typeET4_T5_PSR_SS_PNS1_23onesweep_lookback_stateEbbT6_jjT7_P12ihipStream_tbENKUlT_T0_SG_SL_E_clIS7_S7_SB_PlEEDaSZ_S10_SG_SL_EUlSZ_E_NS1_11comp_targetILNS1_3genE0ELNS1_11target_archE4294967295ELNS1_3gpuE0ELNS1_3repE0EEENS1_47radix_sort_onesweep_sort_config_static_selectorELNS0_4arch9wavefront6targetE1EEEvSG_, .Lfunc_end1870-_ZN7rocprim17ROCPRIM_400000_NS6detail17trampoline_kernelINS0_14default_configENS1_35radix_sort_onesweep_config_selectorIflEEZZNS1_29radix_sort_onesweep_iterationIS3_Lb0EPfS7_N6thrust23THRUST_200600_302600_NS10device_ptrIlEESB_jNS0_19identity_decomposerENS1_16block_id_wrapperIjLb0EEEEE10hipError_tT1_PNSt15iterator_traitsISG_E10value_typeET2_T3_PNSH_ISM_E10value_typeET4_T5_PSR_SS_PNS1_23onesweep_lookback_stateEbbT6_jjT7_P12ihipStream_tbENKUlT_T0_SG_SL_E_clIS7_S7_SB_PlEEDaSZ_S10_SG_SL_EUlSZ_E_NS1_11comp_targetILNS1_3genE0ELNS1_11target_archE4294967295ELNS1_3gpuE0ELNS1_3repE0EEENS1_47radix_sort_onesweep_sort_config_static_selectorELNS0_4arch9wavefront6targetE1EEEvSG_
                                        ; -- End function
	.section	.AMDGPU.csdata,"",@progbits
; Kernel info:
; codeLenInByte = 0
; NumSgprs: 4
; NumVgprs: 0
; NumAgprs: 0
; TotalNumVgprs: 0
; ScratchSize: 0
; MemoryBound: 0
; FloatMode: 240
; IeeeMode: 1
; LDSByteSize: 0 bytes/workgroup (compile time only)
; SGPRBlocks: 0
; VGPRBlocks: 0
; NumSGPRsForWavesPerEU: 4
; NumVGPRsForWavesPerEU: 1
; AccumOffset: 4
; Occupancy: 8
; WaveLimiterHint : 0
; COMPUTE_PGM_RSRC2:SCRATCH_EN: 0
; COMPUTE_PGM_RSRC2:USER_SGPR: 6
; COMPUTE_PGM_RSRC2:TRAP_HANDLER: 0
; COMPUTE_PGM_RSRC2:TGID_X_EN: 1
; COMPUTE_PGM_RSRC2:TGID_Y_EN: 0
; COMPUTE_PGM_RSRC2:TGID_Z_EN: 0
; COMPUTE_PGM_RSRC2:TIDIG_COMP_CNT: 0
; COMPUTE_PGM_RSRC3_GFX90A:ACCUM_OFFSET: 0
; COMPUTE_PGM_RSRC3_GFX90A:TG_SPLIT: 0
	.section	.text._ZN7rocprim17ROCPRIM_400000_NS6detail17trampoline_kernelINS0_14default_configENS1_35radix_sort_onesweep_config_selectorIflEEZZNS1_29radix_sort_onesweep_iterationIS3_Lb0EPfS7_N6thrust23THRUST_200600_302600_NS10device_ptrIlEESB_jNS0_19identity_decomposerENS1_16block_id_wrapperIjLb0EEEEE10hipError_tT1_PNSt15iterator_traitsISG_E10value_typeET2_T3_PNSH_ISM_E10value_typeET4_T5_PSR_SS_PNS1_23onesweep_lookback_stateEbbT6_jjT7_P12ihipStream_tbENKUlT_T0_SG_SL_E_clIS7_S7_SB_PlEEDaSZ_S10_SG_SL_EUlSZ_E_NS1_11comp_targetILNS1_3genE6ELNS1_11target_archE950ELNS1_3gpuE13ELNS1_3repE0EEENS1_47radix_sort_onesweep_sort_config_static_selectorELNS0_4arch9wavefront6targetE1EEEvSG_,"axG",@progbits,_ZN7rocprim17ROCPRIM_400000_NS6detail17trampoline_kernelINS0_14default_configENS1_35radix_sort_onesweep_config_selectorIflEEZZNS1_29radix_sort_onesweep_iterationIS3_Lb0EPfS7_N6thrust23THRUST_200600_302600_NS10device_ptrIlEESB_jNS0_19identity_decomposerENS1_16block_id_wrapperIjLb0EEEEE10hipError_tT1_PNSt15iterator_traitsISG_E10value_typeET2_T3_PNSH_ISM_E10value_typeET4_T5_PSR_SS_PNS1_23onesweep_lookback_stateEbbT6_jjT7_P12ihipStream_tbENKUlT_T0_SG_SL_E_clIS7_S7_SB_PlEEDaSZ_S10_SG_SL_EUlSZ_E_NS1_11comp_targetILNS1_3genE6ELNS1_11target_archE950ELNS1_3gpuE13ELNS1_3repE0EEENS1_47radix_sort_onesweep_sort_config_static_selectorELNS0_4arch9wavefront6targetE1EEEvSG_,comdat
	.protected	_ZN7rocprim17ROCPRIM_400000_NS6detail17trampoline_kernelINS0_14default_configENS1_35radix_sort_onesweep_config_selectorIflEEZZNS1_29radix_sort_onesweep_iterationIS3_Lb0EPfS7_N6thrust23THRUST_200600_302600_NS10device_ptrIlEESB_jNS0_19identity_decomposerENS1_16block_id_wrapperIjLb0EEEEE10hipError_tT1_PNSt15iterator_traitsISG_E10value_typeET2_T3_PNSH_ISM_E10value_typeET4_T5_PSR_SS_PNS1_23onesweep_lookback_stateEbbT6_jjT7_P12ihipStream_tbENKUlT_T0_SG_SL_E_clIS7_S7_SB_PlEEDaSZ_S10_SG_SL_EUlSZ_E_NS1_11comp_targetILNS1_3genE6ELNS1_11target_archE950ELNS1_3gpuE13ELNS1_3repE0EEENS1_47radix_sort_onesweep_sort_config_static_selectorELNS0_4arch9wavefront6targetE1EEEvSG_ ; -- Begin function _ZN7rocprim17ROCPRIM_400000_NS6detail17trampoline_kernelINS0_14default_configENS1_35radix_sort_onesweep_config_selectorIflEEZZNS1_29radix_sort_onesweep_iterationIS3_Lb0EPfS7_N6thrust23THRUST_200600_302600_NS10device_ptrIlEESB_jNS0_19identity_decomposerENS1_16block_id_wrapperIjLb0EEEEE10hipError_tT1_PNSt15iterator_traitsISG_E10value_typeET2_T3_PNSH_ISM_E10value_typeET4_T5_PSR_SS_PNS1_23onesweep_lookback_stateEbbT6_jjT7_P12ihipStream_tbENKUlT_T0_SG_SL_E_clIS7_S7_SB_PlEEDaSZ_S10_SG_SL_EUlSZ_E_NS1_11comp_targetILNS1_3genE6ELNS1_11target_archE950ELNS1_3gpuE13ELNS1_3repE0EEENS1_47radix_sort_onesweep_sort_config_static_selectorELNS0_4arch9wavefront6targetE1EEEvSG_
	.globl	_ZN7rocprim17ROCPRIM_400000_NS6detail17trampoline_kernelINS0_14default_configENS1_35radix_sort_onesweep_config_selectorIflEEZZNS1_29radix_sort_onesweep_iterationIS3_Lb0EPfS7_N6thrust23THRUST_200600_302600_NS10device_ptrIlEESB_jNS0_19identity_decomposerENS1_16block_id_wrapperIjLb0EEEEE10hipError_tT1_PNSt15iterator_traitsISG_E10value_typeET2_T3_PNSH_ISM_E10value_typeET4_T5_PSR_SS_PNS1_23onesweep_lookback_stateEbbT6_jjT7_P12ihipStream_tbENKUlT_T0_SG_SL_E_clIS7_S7_SB_PlEEDaSZ_S10_SG_SL_EUlSZ_E_NS1_11comp_targetILNS1_3genE6ELNS1_11target_archE950ELNS1_3gpuE13ELNS1_3repE0EEENS1_47radix_sort_onesweep_sort_config_static_selectorELNS0_4arch9wavefront6targetE1EEEvSG_
	.p2align	8
	.type	_ZN7rocprim17ROCPRIM_400000_NS6detail17trampoline_kernelINS0_14default_configENS1_35radix_sort_onesweep_config_selectorIflEEZZNS1_29radix_sort_onesweep_iterationIS3_Lb0EPfS7_N6thrust23THRUST_200600_302600_NS10device_ptrIlEESB_jNS0_19identity_decomposerENS1_16block_id_wrapperIjLb0EEEEE10hipError_tT1_PNSt15iterator_traitsISG_E10value_typeET2_T3_PNSH_ISM_E10value_typeET4_T5_PSR_SS_PNS1_23onesweep_lookback_stateEbbT6_jjT7_P12ihipStream_tbENKUlT_T0_SG_SL_E_clIS7_S7_SB_PlEEDaSZ_S10_SG_SL_EUlSZ_E_NS1_11comp_targetILNS1_3genE6ELNS1_11target_archE950ELNS1_3gpuE13ELNS1_3repE0EEENS1_47radix_sort_onesweep_sort_config_static_selectorELNS0_4arch9wavefront6targetE1EEEvSG_,@function
_ZN7rocprim17ROCPRIM_400000_NS6detail17trampoline_kernelINS0_14default_configENS1_35radix_sort_onesweep_config_selectorIflEEZZNS1_29radix_sort_onesweep_iterationIS3_Lb0EPfS7_N6thrust23THRUST_200600_302600_NS10device_ptrIlEESB_jNS0_19identity_decomposerENS1_16block_id_wrapperIjLb0EEEEE10hipError_tT1_PNSt15iterator_traitsISG_E10value_typeET2_T3_PNSH_ISM_E10value_typeET4_T5_PSR_SS_PNS1_23onesweep_lookback_stateEbbT6_jjT7_P12ihipStream_tbENKUlT_T0_SG_SL_E_clIS7_S7_SB_PlEEDaSZ_S10_SG_SL_EUlSZ_E_NS1_11comp_targetILNS1_3genE6ELNS1_11target_archE950ELNS1_3gpuE13ELNS1_3repE0EEENS1_47radix_sort_onesweep_sort_config_static_selectorELNS0_4arch9wavefront6targetE1EEEvSG_: ; @_ZN7rocprim17ROCPRIM_400000_NS6detail17trampoline_kernelINS0_14default_configENS1_35radix_sort_onesweep_config_selectorIflEEZZNS1_29radix_sort_onesweep_iterationIS3_Lb0EPfS7_N6thrust23THRUST_200600_302600_NS10device_ptrIlEESB_jNS0_19identity_decomposerENS1_16block_id_wrapperIjLb0EEEEE10hipError_tT1_PNSt15iterator_traitsISG_E10value_typeET2_T3_PNSH_ISM_E10value_typeET4_T5_PSR_SS_PNS1_23onesweep_lookback_stateEbbT6_jjT7_P12ihipStream_tbENKUlT_T0_SG_SL_E_clIS7_S7_SB_PlEEDaSZ_S10_SG_SL_EUlSZ_E_NS1_11comp_targetILNS1_3genE6ELNS1_11target_archE950ELNS1_3gpuE13ELNS1_3repE0EEENS1_47radix_sort_onesweep_sort_config_static_selectorELNS0_4arch9wavefront6targetE1EEEvSG_
; %bb.0:
	.section	.rodata,"a",@progbits
	.p2align	6, 0x0
	.amdhsa_kernel _ZN7rocprim17ROCPRIM_400000_NS6detail17trampoline_kernelINS0_14default_configENS1_35radix_sort_onesweep_config_selectorIflEEZZNS1_29radix_sort_onesweep_iterationIS3_Lb0EPfS7_N6thrust23THRUST_200600_302600_NS10device_ptrIlEESB_jNS0_19identity_decomposerENS1_16block_id_wrapperIjLb0EEEEE10hipError_tT1_PNSt15iterator_traitsISG_E10value_typeET2_T3_PNSH_ISM_E10value_typeET4_T5_PSR_SS_PNS1_23onesweep_lookback_stateEbbT6_jjT7_P12ihipStream_tbENKUlT_T0_SG_SL_E_clIS7_S7_SB_PlEEDaSZ_S10_SG_SL_EUlSZ_E_NS1_11comp_targetILNS1_3genE6ELNS1_11target_archE950ELNS1_3gpuE13ELNS1_3repE0EEENS1_47radix_sort_onesweep_sort_config_static_selectorELNS0_4arch9wavefront6targetE1EEEvSG_
		.amdhsa_group_segment_fixed_size 0
		.amdhsa_private_segment_fixed_size 0
		.amdhsa_kernarg_size 88
		.amdhsa_user_sgpr_count 6
		.amdhsa_user_sgpr_private_segment_buffer 1
		.amdhsa_user_sgpr_dispatch_ptr 0
		.amdhsa_user_sgpr_queue_ptr 0
		.amdhsa_user_sgpr_kernarg_segment_ptr 1
		.amdhsa_user_sgpr_dispatch_id 0
		.amdhsa_user_sgpr_flat_scratch_init 0
		.amdhsa_user_sgpr_kernarg_preload_length 0
		.amdhsa_user_sgpr_kernarg_preload_offset 0
		.amdhsa_user_sgpr_private_segment_size 0
		.amdhsa_uses_dynamic_stack 0
		.amdhsa_system_sgpr_private_segment_wavefront_offset 0
		.amdhsa_system_sgpr_workgroup_id_x 1
		.amdhsa_system_sgpr_workgroup_id_y 0
		.amdhsa_system_sgpr_workgroup_id_z 0
		.amdhsa_system_sgpr_workgroup_info 0
		.amdhsa_system_vgpr_workitem_id 0
		.amdhsa_next_free_vgpr 1
		.amdhsa_next_free_sgpr 0
		.amdhsa_accum_offset 4
		.amdhsa_reserve_vcc 0
		.amdhsa_reserve_flat_scratch 0
		.amdhsa_float_round_mode_32 0
		.amdhsa_float_round_mode_16_64 0
		.amdhsa_float_denorm_mode_32 3
		.amdhsa_float_denorm_mode_16_64 3
		.amdhsa_dx10_clamp 1
		.amdhsa_ieee_mode 1
		.amdhsa_fp16_overflow 0
		.amdhsa_tg_split 0
		.amdhsa_exception_fp_ieee_invalid_op 0
		.amdhsa_exception_fp_denorm_src 0
		.amdhsa_exception_fp_ieee_div_zero 0
		.amdhsa_exception_fp_ieee_overflow 0
		.amdhsa_exception_fp_ieee_underflow 0
		.amdhsa_exception_fp_ieee_inexact 0
		.amdhsa_exception_int_div_zero 0
	.end_amdhsa_kernel
	.section	.text._ZN7rocprim17ROCPRIM_400000_NS6detail17trampoline_kernelINS0_14default_configENS1_35radix_sort_onesweep_config_selectorIflEEZZNS1_29radix_sort_onesweep_iterationIS3_Lb0EPfS7_N6thrust23THRUST_200600_302600_NS10device_ptrIlEESB_jNS0_19identity_decomposerENS1_16block_id_wrapperIjLb0EEEEE10hipError_tT1_PNSt15iterator_traitsISG_E10value_typeET2_T3_PNSH_ISM_E10value_typeET4_T5_PSR_SS_PNS1_23onesweep_lookback_stateEbbT6_jjT7_P12ihipStream_tbENKUlT_T0_SG_SL_E_clIS7_S7_SB_PlEEDaSZ_S10_SG_SL_EUlSZ_E_NS1_11comp_targetILNS1_3genE6ELNS1_11target_archE950ELNS1_3gpuE13ELNS1_3repE0EEENS1_47radix_sort_onesweep_sort_config_static_selectorELNS0_4arch9wavefront6targetE1EEEvSG_,"axG",@progbits,_ZN7rocprim17ROCPRIM_400000_NS6detail17trampoline_kernelINS0_14default_configENS1_35radix_sort_onesweep_config_selectorIflEEZZNS1_29radix_sort_onesweep_iterationIS3_Lb0EPfS7_N6thrust23THRUST_200600_302600_NS10device_ptrIlEESB_jNS0_19identity_decomposerENS1_16block_id_wrapperIjLb0EEEEE10hipError_tT1_PNSt15iterator_traitsISG_E10value_typeET2_T3_PNSH_ISM_E10value_typeET4_T5_PSR_SS_PNS1_23onesweep_lookback_stateEbbT6_jjT7_P12ihipStream_tbENKUlT_T0_SG_SL_E_clIS7_S7_SB_PlEEDaSZ_S10_SG_SL_EUlSZ_E_NS1_11comp_targetILNS1_3genE6ELNS1_11target_archE950ELNS1_3gpuE13ELNS1_3repE0EEENS1_47radix_sort_onesweep_sort_config_static_selectorELNS0_4arch9wavefront6targetE1EEEvSG_,comdat
.Lfunc_end1871:
	.size	_ZN7rocprim17ROCPRIM_400000_NS6detail17trampoline_kernelINS0_14default_configENS1_35radix_sort_onesweep_config_selectorIflEEZZNS1_29radix_sort_onesweep_iterationIS3_Lb0EPfS7_N6thrust23THRUST_200600_302600_NS10device_ptrIlEESB_jNS0_19identity_decomposerENS1_16block_id_wrapperIjLb0EEEEE10hipError_tT1_PNSt15iterator_traitsISG_E10value_typeET2_T3_PNSH_ISM_E10value_typeET4_T5_PSR_SS_PNS1_23onesweep_lookback_stateEbbT6_jjT7_P12ihipStream_tbENKUlT_T0_SG_SL_E_clIS7_S7_SB_PlEEDaSZ_S10_SG_SL_EUlSZ_E_NS1_11comp_targetILNS1_3genE6ELNS1_11target_archE950ELNS1_3gpuE13ELNS1_3repE0EEENS1_47radix_sort_onesweep_sort_config_static_selectorELNS0_4arch9wavefront6targetE1EEEvSG_, .Lfunc_end1871-_ZN7rocprim17ROCPRIM_400000_NS6detail17trampoline_kernelINS0_14default_configENS1_35radix_sort_onesweep_config_selectorIflEEZZNS1_29radix_sort_onesweep_iterationIS3_Lb0EPfS7_N6thrust23THRUST_200600_302600_NS10device_ptrIlEESB_jNS0_19identity_decomposerENS1_16block_id_wrapperIjLb0EEEEE10hipError_tT1_PNSt15iterator_traitsISG_E10value_typeET2_T3_PNSH_ISM_E10value_typeET4_T5_PSR_SS_PNS1_23onesweep_lookback_stateEbbT6_jjT7_P12ihipStream_tbENKUlT_T0_SG_SL_E_clIS7_S7_SB_PlEEDaSZ_S10_SG_SL_EUlSZ_E_NS1_11comp_targetILNS1_3genE6ELNS1_11target_archE950ELNS1_3gpuE13ELNS1_3repE0EEENS1_47radix_sort_onesweep_sort_config_static_selectorELNS0_4arch9wavefront6targetE1EEEvSG_
                                        ; -- End function
	.section	.AMDGPU.csdata,"",@progbits
; Kernel info:
; codeLenInByte = 0
; NumSgprs: 4
; NumVgprs: 0
; NumAgprs: 0
; TotalNumVgprs: 0
; ScratchSize: 0
; MemoryBound: 0
; FloatMode: 240
; IeeeMode: 1
; LDSByteSize: 0 bytes/workgroup (compile time only)
; SGPRBlocks: 0
; VGPRBlocks: 0
; NumSGPRsForWavesPerEU: 4
; NumVGPRsForWavesPerEU: 1
; AccumOffset: 4
; Occupancy: 8
; WaveLimiterHint : 0
; COMPUTE_PGM_RSRC2:SCRATCH_EN: 0
; COMPUTE_PGM_RSRC2:USER_SGPR: 6
; COMPUTE_PGM_RSRC2:TRAP_HANDLER: 0
; COMPUTE_PGM_RSRC2:TGID_X_EN: 1
; COMPUTE_PGM_RSRC2:TGID_Y_EN: 0
; COMPUTE_PGM_RSRC2:TGID_Z_EN: 0
; COMPUTE_PGM_RSRC2:TIDIG_COMP_CNT: 0
; COMPUTE_PGM_RSRC3_GFX90A:ACCUM_OFFSET: 0
; COMPUTE_PGM_RSRC3_GFX90A:TG_SPLIT: 0
	.section	.text._ZN7rocprim17ROCPRIM_400000_NS6detail17trampoline_kernelINS0_14default_configENS1_35radix_sort_onesweep_config_selectorIflEEZZNS1_29radix_sort_onesweep_iterationIS3_Lb0EPfS7_N6thrust23THRUST_200600_302600_NS10device_ptrIlEESB_jNS0_19identity_decomposerENS1_16block_id_wrapperIjLb0EEEEE10hipError_tT1_PNSt15iterator_traitsISG_E10value_typeET2_T3_PNSH_ISM_E10value_typeET4_T5_PSR_SS_PNS1_23onesweep_lookback_stateEbbT6_jjT7_P12ihipStream_tbENKUlT_T0_SG_SL_E_clIS7_S7_SB_PlEEDaSZ_S10_SG_SL_EUlSZ_E_NS1_11comp_targetILNS1_3genE5ELNS1_11target_archE942ELNS1_3gpuE9ELNS1_3repE0EEENS1_47radix_sort_onesweep_sort_config_static_selectorELNS0_4arch9wavefront6targetE1EEEvSG_,"axG",@progbits,_ZN7rocprim17ROCPRIM_400000_NS6detail17trampoline_kernelINS0_14default_configENS1_35radix_sort_onesweep_config_selectorIflEEZZNS1_29radix_sort_onesweep_iterationIS3_Lb0EPfS7_N6thrust23THRUST_200600_302600_NS10device_ptrIlEESB_jNS0_19identity_decomposerENS1_16block_id_wrapperIjLb0EEEEE10hipError_tT1_PNSt15iterator_traitsISG_E10value_typeET2_T3_PNSH_ISM_E10value_typeET4_T5_PSR_SS_PNS1_23onesweep_lookback_stateEbbT6_jjT7_P12ihipStream_tbENKUlT_T0_SG_SL_E_clIS7_S7_SB_PlEEDaSZ_S10_SG_SL_EUlSZ_E_NS1_11comp_targetILNS1_3genE5ELNS1_11target_archE942ELNS1_3gpuE9ELNS1_3repE0EEENS1_47radix_sort_onesweep_sort_config_static_selectorELNS0_4arch9wavefront6targetE1EEEvSG_,comdat
	.protected	_ZN7rocprim17ROCPRIM_400000_NS6detail17trampoline_kernelINS0_14default_configENS1_35radix_sort_onesweep_config_selectorIflEEZZNS1_29radix_sort_onesweep_iterationIS3_Lb0EPfS7_N6thrust23THRUST_200600_302600_NS10device_ptrIlEESB_jNS0_19identity_decomposerENS1_16block_id_wrapperIjLb0EEEEE10hipError_tT1_PNSt15iterator_traitsISG_E10value_typeET2_T3_PNSH_ISM_E10value_typeET4_T5_PSR_SS_PNS1_23onesweep_lookback_stateEbbT6_jjT7_P12ihipStream_tbENKUlT_T0_SG_SL_E_clIS7_S7_SB_PlEEDaSZ_S10_SG_SL_EUlSZ_E_NS1_11comp_targetILNS1_3genE5ELNS1_11target_archE942ELNS1_3gpuE9ELNS1_3repE0EEENS1_47radix_sort_onesweep_sort_config_static_selectorELNS0_4arch9wavefront6targetE1EEEvSG_ ; -- Begin function _ZN7rocprim17ROCPRIM_400000_NS6detail17trampoline_kernelINS0_14default_configENS1_35radix_sort_onesweep_config_selectorIflEEZZNS1_29radix_sort_onesweep_iterationIS3_Lb0EPfS7_N6thrust23THRUST_200600_302600_NS10device_ptrIlEESB_jNS0_19identity_decomposerENS1_16block_id_wrapperIjLb0EEEEE10hipError_tT1_PNSt15iterator_traitsISG_E10value_typeET2_T3_PNSH_ISM_E10value_typeET4_T5_PSR_SS_PNS1_23onesweep_lookback_stateEbbT6_jjT7_P12ihipStream_tbENKUlT_T0_SG_SL_E_clIS7_S7_SB_PlEEDaSZ_S10_SG_SL_EUlSZ_E_NS1_11comp_targetILNS1_3genE5ELNS1_11target_archE942ELNS1_3gpuE9ELNS1_3repE0EEENS1_47radix_sort_onesweep_sort_config_static_selectorELNS0_4arch9wavefront6targetE1EEEvSG_
	.globl	_ZN7rocprim17ROCPRIM_400000_NS6detail17trampoline_kernelINS0_14default_configENS1_35radix_sort_onesweep_config_selectorIflEEZZNS1_29radix_sort_onesweep_iterationIS3_Lb0EPfS7_N6thrust23THRUST_200600_302600_NS10device_ptrIlEESB_jNS0_19identity_decomposerENS1_16block_id_wrapperIjLb0EEEEE10hipError_tT1_PNSt15iterator_traitsISG_E10value_typeET2_T3_PNSH_ISM_E10value_typeET4_T5_PSR_SS_PNS1_23onesweep_lookback_stateEbbT6_jjT7_P12ihipStream_tbENKUlT_T0_SG_SL_E_clIS7_S7_SB_PlEEDaSZ_S10_SG_SL_EUlSZ_E_NS1_11comp_targetILNS1_3genE5ELNS1_11target_archE942ELNS1_3gpuE9ELNS1_3repE0EEENS1_47radix_sort_onesweep_sort_config_static_selectorELNS0_4arch9wavefront6targetE1EEEvSG_
	.p2align	8
	.type	_ZN7rocprim17ROCPRIM_400000_NS6detail17trampoline_kernelINS0_14default_configENS1_35radix_sort_onesweep_config_selectorIflEEZZNS1_29radix_sort_onesweep_iterationIS3_Lb0EPfS7_N6thrust23THRUST_200600_302600_NS10device_ptrIlEESB_jNS0_19identity_decomposerENS1_16block_id_wrapperIjLb0EEEEE10hipError_tT1_PNSt15iterator_traitsISG_E10value_typeET2_T3_PNSH_ISM_E10value_typeET4_T5_PSR_SS_PNS1_23onesweep_lookback_stateEbbT6_jjT7_P12ihipStream_tbENKUlT_T0_SG_SL_E_clIS7_S7_SB_PlEEDaSZ_S10_SG_SL_EUlSZ_E_NS1_11comp_targetILNS1_3genE5ELNS1_11target_archE942ELNS1_3gpuE9ELNS1_3repE0EEENS1_47radix_sort_onesweep_sort_config_static_selectorELNS0_4arch9wavefront6targetE1EEEvSG_,@function
_ZN7rocprim17ROCPRIM_400000_NS6detail17trampoline_kernelINS0_14default_configENS1_35radix_sort_onesweep_config_selectorIflEEZZNS1_29radix_sort_onesweep_iterationIS3_Lb0EPfS7_N6thrust23THRUST_200600_302600_NS10device_ptrIlEESB_jNS0_19identity_decomposerENS1_16block_id_wrapperIjLb0EEEEE10hipError_tT1_PNSt15iterator_traitsISG_E10value_typeET2_T3_PNSH_ISM_E10value_typeET4_T5_PSR_SS_PNS1_23onesweep_lookback_stateEbbT6_jjT7_P12ihipStream_tbENKUlT_T0_SG_SL_E_clIS7_S7_SB_PlEEDaSZ_S10_SG_SL_EUlSZ_E_NS1_11comp_targetILNS1_3genE5ELNS1_11target_archE942ELNS1_3gpuE9ELNS1_3repE0EEENS1_47radix_sort_onesweep_sort_config_static_selectorELNS0_4arch9wavefront6targetE1EEEvSG_: ; @_ZN7rocprim17ROCPRIM_400000_NS6detail17trampoline_kernelINS0_14default_configENS1_35radix_sort_onesweep_config_selectorIflEEZZNS1_29radix_sort_onesweep_iterationIS3_Lb0EPfS7_N6thrust23THRUST_200600_302600_NS10device_ptrIlEESB_jNS0_19identity_decomposerENS1_16block_id_wrapperIjLb0EEEEE10hipError_tT1_PNSt15iterator_traitsISG_E10value_typeET2_T3_PNSH_ISM_E10value_typeET4_T5_PSR_SS_PNS1_23onesweep_lookback_stateEbbT6_jjT7_P12ihipStream_tbENKUlT_T0_SG_SL_E_clIS7_S7_SB_PlEEDaSZ_S10_SG_SL_EUlSZ_E_NS1_11comp_targetILNS1_3genE5ELNS1_11target_archE942ELNS1_3gpuE9ELNS1_3repE0EEENS1_47radix_sort_onesweep_sort_config_static_selectorELNS0_4arch9wavefront6targetE1EEEvSG_
; %bb.0:
	.section	.rodata,"a",@progbits
	.p2align	6, 0x0
	.amdhsa_kernel _ZN7rocprim17ROCPRIM_400000_NS6detail17trampoline_kernelINS0_14default_configENS1_35radix_sort_onesweep_config_selectorIflEEZZNS1_29radix_sort_onesweep_iterationIS3_Lb0EPfS7_N6thrust23THRUST_200600_302600_NS10device_ptrIlEESB_jNS0_19identity_decomposerENS1_16block_id_wrapperIjLb0EEEEE10hipError_tT1_PNSt15iterator_traitsISG_E10value_typeET2_T3_PNSH_ISM_E10value_typeET4_T5_PSR_SS_PNS1_23onesweep_lookback_stateEbbT6_jjT7_P12ihipStream_tbENKUlT_T0_SG_SL_E_clIS7_S7_SB_PlEEDaSZ_S10_SG_SL_EUlSZ_E_NS1_11comp_targetILNS1_3genE5ELNS1_11target_archE942ELNS1_3gpuE9ELNS1_3repE0EEENS1_47radix_sort_onesweep_sort_config_static_selectorELNS0_4arch9wavefront6targetE1EEEvSG_
		.amdhsa_group_segment_fixed_size 0
		.amdhsa_private_segment_fixed_size 0
		.amdhsa_kernarg_size 88
		.amdhsa_user_sgpr_count 6
		.amdhsa_user_sgpr_private_segment_buffer 1
		.amdhsa_user_sgpr_dispatch_ptr 0
		.amdhsa_user_sgpr_queue_ptr 0
		.amdhsa_user_sgpr_kernarg_segment_ptr 1
		.amdhsa_user_sgpr_dispatch_id 0
		.amdhsa_user_sgpr_flat_scratch_init 0
		.amdhsa_user_sgpr_kernarg_preload_length 0
		.amdhsa_user_sgpr_kernarg_preload_offset 0
		.amdhsa_user_sgpr_private_segment_size 0
		.amdhsa_uses_dynamic_stack 0
		.amdhsa_system_sgpr_private_segment_wavefront_offset 0
		.amdhsa_system_sgpr_workgroup_id_x 1
		.amdhsa_system_sgpr_workgroup_id_y 0
		.amdhsa_system_sgpr_workgroup_id_z 0
		.amdhsa_system_sgpr_workgroup_info 0
		.amdhsa_system_vgpr_workitem_id 0
		.amdhsa_next_free_vgpr 1
		.amdhsa_next_free_sgpr 0
		.amdhsa_accum_offset 4
		.amdhsa_reserve_vcc 0
		.amdhsa_reserve_flat_scratch 0
		.amdhsa_float_round_mode_32 0
		.amdhsa_float_round_mode_16_64 0
		.amdhsa_float_denorm_mode_32 3
		.amdhsa_float_denorm_mode_16_64 3
		.amdhsa_dx10_clamp 1
		.amdhsa_ieee_mode 1
		.amdhsa_fp16_overflow 0
		.amdhsa_tg_split 0
		.amdhsa_exception_fp_ieee_invalid_op 0
		.amdhsa_exception_fp_denorm_src 0
		.amdhsa_exception_fp_ieee_div_zero 0
		.amdhsa_exception_fp_ieee_overflow 0
		.amdhsa_exception_fp_ieee_underflow 0
		.amdhsa_exception_fp_ieee_inexact 0
		.amdhsa_exception_int_div_zero 0
	.end_amdhsa_kernel
	.section	.text._ZN7rocprim17ROCPRIM_400000_NS6detail17trampoline_kernelINS0_14default_configENS1_35radix_sort_onesweep_config_selectorIflEEZZNS1_29radix_sort_onesweep_iterationIS3_Lb0EPfS7_N6thrust23THRUST_200600_302600_NS10device_ptrIlEESB_jNS0_19identity_decomposerENS1_16block_id_wrapperIjLb0EEEEE10hipError_tT1_PNSt15iterator_traitsISG_E10value_typeET2_T3_PNSH_ISM_E10value_typeET4_T5_PSR_SS_PNS1_23onesweep_lookback_stateEbbT6_jjT7_P12ihipStream_tbENKUlT_T0_SG_SL_E_clIS7_S7_SB_PlEEDaSZ_S10_SG_SL_EUlSZ_E_NS1_11comp_targetILNS1_3genE5ELNS1_11target_archE942ELNS1_3gpuE9ELNS1_3repE0EEENS1_47radix_sort_onesweep_sort_config_static_selectorELNS0_4arch9wavefront6targetE1EEEvSG_,"axG",@progbits,_ZN7rocprim17ROCPRIM_400000_NS6detail17trampoline_kernelINS0_14default_configENS1_35radix_sort_onesweep_config_selectorIflEEZZNS1_29radix_sort_onesweep_iterationIS3_Lb0EPfS7_N6thrust23THRUST_200600_302600_NS10device_ptrIlEESB_jNS0_19identity_decomposerENS1_16block_id_wrapperIjLb0EEEEE10hipError_tT1_PNSt15iterator_traitsISG_E10value_typeET2_T3_PNSH_ISM_E10value_typeET4_T5_PSR_SS_PNS1_23onesweep_lookback_stateEbbT6_jjT7_P12ihipStream_tbENKUlT_T0_SG_SL_E_clIS7_S7_SB_PlEEDaSZ_S10_SG_SL_EUlSZ_E_NS1_11comp_targetILNS1_3genE5ELNS1_11target_archE942ELNS1_3gpuE9ELNS1_3repE0EEENS1_47radix_sort_onesweep_sort_config_static_selectorELNS0_4arch9wavefront6targetE1EEEvSG_,comdat
.Lfunc_end1872:
	.size	_ZN7rocprim17ROCPRIM_400000_NS6detail17trampoline_kernelINS0_14default_configENS1_35radix_sort_onesweep_config_selectorIflEEZZNS1_29radix_sort_onesweep_iterationIS3_Lb0EPfS7_N6thrust23THRUST_200600_302600_NS10device_ptrIlEESB_jNS0_19identity_decomposerENS1_16block_id_wrapperIjLb0EEEEE10hipError_tT1_PNSt15iterator_traitsISG_E10value_typeET2_T3_PNSH_ISM_E10value_typeET4_T5_PSR_SS_PNS1_23onesweep_lookback_stateEbbT6_jjT7_P12ihipStream_tbENKUlT_T0_SG_SL_E_clIS7_S7_SB_PlEEDaSZ_S10_SG_SL_EUlSZ_E_NS1_11comp_targetILNS1_3genE5ELNS1_11target_archE942ELNS1_3gpuE9ELNS1_3repE0EEENS1_47radix_sort_onesweep_sort_config_static_selectorELNS0_4arch9wavefront6targetE1EEEvSG_, .Lfunc_end1872-_ZN7rocprim17ROCPRIM_400000_NS6detail17trampoline_kernelINS0_14default_configENS1_35radix_sort_onesweep_config_selectorIflEEZZNS1_29radix_sort_onesweep_iterationIS3_Lb0EPfS7_N6thrust23THRUST_200600_302600_NS10device_ptrIlEESB_jNS0_19identity_decomposerENS1_16block_id_wrapperIjLb0EEEEE10hipError_tT1_PNSt15iterator_traitsISG_E10value_typeET2_T3_PNSH_ISM_E10value_typeET4_T5_PSR_SS_PNS1_23onesweep_lookback_stateEbbT6_jjT7_P12ihipStream_tbENKUlT_T0_SG_SL_E_clIS7_S7_SB_PlEEDaSZ_S10_SG_SL_EUlSZ_E_NS1_11comp_targetILNS1_3genE5ELNS1_11target_archE942ELNS1_3gpuE9ELNS1_3repE0EEENS1_47radix_sort_onesweep_sort_config_static_selectorELNS0_4arch9wavefront6targetE1EEEvSG_
                                        ; -- End function
	.section	.AMDGPU.csdata,"",@progbits
; Kernel info:
; codeLenInByte = 0
; NumSgprs: 4
; NumVgprs: 0
; NumAgprs: 0
; TotalNumVgprs: 0
; ScratchSize: 0
; MemoryBound: 0
; FloatMode: 240
; IeeeMode: 1
; LDSByteSize: 0 bytes/workgroup (compile time only)
; SGPRBlocks: 0
; VGPRBlocks: 0
; NumSGPRsForWavesPerEU: 4
; NumVGPRsForWavesPerEU: 1
; AccumOffset: 4
; Occupancy: 8
; WaveLimiterHint : 0
; COMPUTE_PGM_RSRC2:SCRATCH_EN: 0
; COMPUTE_PGM_RSRC2:USER_SGPR: 6
; COMPUTE_PGM_RSRC2:TRAP_HANDLER: 0
; COMPUTE_PGM_RSRC2:TGID_X_EN: 1
; COMPUTE_PGM_RSRC2:TGID_Y_EN: 0
; COMPUTE_PGM_RSRC2:TGID_Z_EN: 0
; COMPUTE_PGM_RSRC2:TIDIG_COMP_CNT: 0
; COMPUTE_PGM_RSRC3_GFX90A:ACCUM_OFFSET: 0
; COMPUTE_PGM_RSRC3_GFX90A:TG_SPLIT: 0
	.section	.text._ZN7rocprim17ROCPRIM_400000_NS6detail17trampoline_kernelINS0_14default_configENS1_35radix_sort_onesweep_config_selectorIflEEZZNS1_29radix_sort_onesweep_iterationIS3_Lb0EPfS7_N6thrust23THRUST_200600_302600_NS10device_ptrIlEESB_jNS0_19identity_decomposerENS1_16block_id_wrapperIjLb0EEEEE10hipError_tT1_PNSt15iterator_traitsISG_E10value_typeET2_T3_PNSH_ISM_E10value_typeET4_T5_PSR_SS_PNS1_23onesweep_lookback_stateEbbT6_jjT7_P12ihipStream_tbENKUlT_T0_SG_SL_E_clIS7_S7_SB_PlEEDaSZ_S10_SG_SL_EUlSZ_E_NS1_11comp_targetILNS1_3genE2ELNS1_11target_archE906ELNS1_3gpuE6ELNS1_3repE0EEENS1_47radix_sort_onesweep_sort_config_static_selectorELNS0_4arch9wavefront6targetE1EEEvSG_,"axG",@progbits,_ZN7rocprim17ROCPRIM_400000_NS6detail17trampoline_kernelINS0_14default_configENS1_35radix_sort_onesweep_config_selectorIflEEZZNS1_29radix_sort_onesweep_iterationIS3_Lb0EPfS7_N6thrust23THRUST_200600_302600_NS10device_ptrIlEESB_jNS0_19identity_decomposerENS1_16block_id_wrapperIjLb0EEEEE10hipError_tT1_PNSt15iterator_traitsISG_E10value_typeET2_T3_PNSH_ISM_E10value_typeET4_T5_PSR_SS_PNS1_23onesweep_lookback_stateEbbT6_jjT7_P12ihipStream_tbENKUlT_T0_SG_SL_E_clIS7_S7_SB_PlEEDaSZ_S10_SG_SL_EUlSZ_E_NS1_11comp_targetILNS1_3genE2ELNS1_11target_archE906ELNS1_3gpuE6ELNS1_3repE0EEENS1_47radix_sort_onesweep_sort_config_static_selectorELNS0_4arch9wavefront6targetE1EEEvSG_,comdat
	.protected	_ZN7rocprim17ROCPRIM_400000_NS6detail17trampoline_kernelINS0_14default_configENS1_35radix_sort_onesweep_config_selectorIflEEZZNS1_29radix_sort_onesweep_iterationIS3_Lb0EPfS7_N6thrust23THRUST_200600_302600_NS10device_ptrIlEESB_jNS0_19identity_decomposerENS1_16block_id_wrapperIjLb0EEEEE10hipError_tT1_PNSt15iterator_traitsISG_E10value_typeET2_T3_PNSH_ISM_E10value_typeET4_T5_PSR_SS_PNS1_23onesweep_lookback_stateEbbT6_jjT7_P12ihipStream_tbENKUlT_T0_SG_SL_E_clIS7_S7_SB_PlEEDaSZ_S10_SG_SL_EUlSZ_E_NS1_11comp_targetILNS1_3genE2ELNS1_11target_archE906ELNS1_3gpuE6ELNS1_3repE0EEENS1_47radix_sort_onesweep_sort_config_static_selectorELNS0_4arch9wavefront6targetE1EEEvSG_ ; -- Begin function _ZN7rocprim17ROCPRIM_400000_NS6detail17trampoline_kernelINS0_14default_configENS1_35radix_sort_onesweep_config_selectorIflEEZZNS1_29radix_sort_onesweep_iterationIS3_Lb0EPfS7_N6thrust23THRUST_200600_302600_NS10device_ptrIlEESB_jNS0_19identity_decomposerENS1_16block_id_wrapperIjLb0EEEEE10hipError_tT1_PNSt15iterator_traitsISG_E10value_typeET2_T3_PNSH_ISM_E10value_typeET4_T5_PSR_SS_PNS1_23onesweep_lookback_stateEbbT6_jjT7_P12ihipStream_tbENKUlT_T0_SG_SL_E_clIS7_S7_SB_PlEEDaSZ_S10_SG_SL_EUlSZ_E_NS1_11comp_targetILNS1_3genE2ELNS1_11target_archE906ELNS1_3gpuE6ELNS1_3repE0EEENS1_47radix_sort_onesweep_sort_config_static_selectorELNS0_4arch9wavefront6targetE1EEEvSG_
	.globl	_ZN7rocprim17ROCPRIM_400000_NS6detail17trampoline_kernelINS0_14default_configENS1_35radix_sort_onesweep_config_selectorIflEEZZNS1_29radix_sort_onesweep_iterationIS3_Lb0EPfS7_N6thrust23THRUST_200600_302600_NS10device_ptrIlEESB_jNS0_19identity_decomposerENS1_16block_id_wrapperIjLb0EEEEE10hipError_tT1_PNSt15iterator_traitsISG_E10value_typeET2_T3_PNSH_ISM_E10value_typeET4_T5_PSR_SS_PNS1_23onesweep_lookback_stateEbbT6_jjT7_P12ihipStream_tbENKUlT_T0_SG_SL_E_clIS7_S7_SB_PlEEDaSZ_S10_SG_SL_EUlSZ_E_NS1_11comp_targetILNS1_3genE2ELNS1_11target_archE906ELNS1_3gpuE6ELNS1_3repE0EEENS1_47radix_sort_onesweep_sort_config_static_selectorELNS0_4arch9wavefront6targetE1EEEvSG_
	.p2align	8
	.type	_ZN7rocprim17ROCPRIM_400000_NS6detail17trampoline_kernelINS0_14default_configENS1_35radix_sort_onesweep_config_selectorIflEEZZNS1_29radix_sort_onesweep_iterationIS3_Lb0EPfS7_N6thrust23THRUST_200600_302600_NS10device_ptrIlEESB_jNS0_19identity_decomposerENS1_16block_id_wrapperIjLb0EEEEE10hipError_tT1_PNSt15iterator_traitsISG_E10value_typeET2_T3_PNSH_ISM_E10value_typeET4_T5_PSR_SS_PNS1_23onesweep_lookback_stateEbbT6_jjT7_P12ihipStream_tbENKUlT_T0_SG_SL_E_clIS7_S7_SB_PlEEDaSZ_S10_SG_SL_EUlSZ_E_NS1_11comp_targetILNS1_3genE2ELNS1_11target_archE906ELNS1_3gpuE6ELNS1_3repE0EEENS1_47radix_sort_onesweep_sort_config_static_selectorELNS0_4arch9wavefront6targetE1EEEvSG_,@function
_ZN7rocprim17ROCPRIM_400000_NS6detail17trampoline_kernelINS0_14default_configENS1_35radix_sort_onesweep_config_selectorIflEEZZNS1_29radix_sort_onesweep_iterationIS3_Lb0EPfS7_N6thrust23THRUST_200600_302600_NS10device_ptrIlEESB_jNS0_19identity_decomposerENS1_16block_id_wrapperIjLb0EEEEE10hipError_tT1_PNSt15iterator_traitsISG_E10value_typeET2_T3_PNSH_ISM_E10value_typeET4_T5_PSR_SS_PNS1_23onesweep_lookback_stateEbbT6_jjT7_P12ihipStream_tbENKUlT_T0_SG_SL_E_clIS7_S7_SB_PlEEDaSZ_S10_SG_SL_EUlSZ_E_NS1_11comp_targetILNS1_3genE2ELNS1_11target_archE906ELNS1_3gpuE6ELNS1_3repE0EEENS1_47radix_sort_onesweep_sort_config_static_selectorELNS0_4arch9wavefront6targetE1EEEvSG_: ; @_ZN7rocprim17ROCPRIM_400000_NS6detail17trampoline_kernelINS0_14default_configENS1_35radix_sort_onesweep_config_selectorIflEEZZNS1_29radix_sort_onesweep_iterationIS3_Lb0EPfS7_N6thrust23THRUST_200600_302600_NS10device_ptrIlEESB_jNS0_19identity_decomposerENS1_16block_id_wrapperIjLb0EEEEE10hipError_tT1_PNSt15iterator_traitsISG_E10value_typeET2_T3_PNSH_ISM_E10value_typeET4_T5_PSR_SS_PNS1_23onesweep_lookback_stateEbbT6_jjT7_P12ihipStream_tbENKUlT_T0_SG_SL_E_clIS7_S7_SB_PlEEDaSZ_S10_SG_SL_EUlSZ_E_NS1_11comp_targetILNS1_3genE2ELNS1_11target_archE906ELNS1_3gpuE6ELNS1_3repE0EEENS1_47radix_sort_onesweep_sort_config_static_selectorELNS0_4arch9wavefront6targetE1EEEvSG_
; %bb.0:
	.section	.rodata,"a",@progbits
	.p2align	6, 0x0
	.amdhsa_kernel _ZN7rocprim17ROCPRIM_400000_NS6detail17trampoline_kernelINS0_14default_configENS1_35radix_sort_onesweep_config_selectorIflEEZZNS1_29radix_sort_onesweep_iterationIS3_Lb0EPfS7_N6thrust23THRUST_200600_302600_NS10device_ptrIlEESB_jNS0_19identity_decomposerENS1_16block_id_wrapperIjLb0EEEEE10hipError_tT1_PNSt15iterator_traitsISG_E10value_typeET2_T3_PNSH_ISM_E10value_typeET4_T5_PSR_SS_PNS1_23onesweep_lookback_stateEbbT6_jjT7_P12ihipStream_tbENKUlT_T0_SG_SL_E_clIS7_S7_SB_PlEEDaSZ_S10_SG_SL_EUlSZ_E_NS1_11comp_targetILNS1_3genE2ELNS1_11target_archE906ELNS1_3gpuE6ELNS1_3repE0EEENS1_47radix_sort_onesweep_sort_config_static_selectorELNS0_4arch9wavefront6targetE1EEEvSG_
		.amdhsa_group_segment_fixed_size 0
		.amdhsa_private_segment_fixed_size 0
		.amdhsa_kernarg_size 88
		.amdhsa_user_sgpr_count 6
		.amdhsa_user_sgpr_private_segment_buffer 1
		.amdhsa_user_sgpr_dispatch_ptr 0
		.amdhsa_user_sgpr_queue_ptr 0
		.amdhsa_user_sgpr_kernarg_segment_ptr 1
		.amdhsa_user_sgpr_dispatch_id 0
		.amdhsa_user_sgpr_flat_scratch_init 0
		.amdhsa_user_sgpr_kernarg_preload_length 0
		.amdhsa_user_sgpr_kernarg_preload_offset 0
		.amdhsa_user_sgpr_private_segment_size 0
		.amdhsa_uses_dynamic_stack 0
		.amdhsa_system_sgpr_private_segment_wavefront_offset 0
		.amdhsa_system_sgpr_workgroup_id_x 1
		.amdhsa_system_sgpr_workgroup_id_y 0
		.amdhsa_system_sgpr_workgroup_id_z 0
		.amdhsa_system_sgpr_workgroup_info 0
		.amdhsa_system_vgpr_workitem_id 0
		.amdhsa_next_free_vgpr 1
		.amdhsa_next_free_sgpr 0
		.amdhsa_accum_offset 4
		.amdhsa_reserve_vcc 0
		.amdhsa_reserve_flat_scratch 0
		.amdhsa_float_round_mode_32 0
		.amdhsa_float_round_mode_16_64 0
		.amdhsa_float_denorm_mode_32 3
		.amdhsa_float_denorm_mode_16_64 3
		.amdhsa_dx10_clamp 1
		.amdhsa_ieee_mode 1
		.amdhsa_fp16_overflow 0
		.amdhsa_tg_split 0
		.amdhsa_exception_fp_ieee_invalid_op 0
		.amdhsa_exception_fp_denorm_src 0
		.amdhsa_exception_fp_ieee_div_zero 0
		.amdhsa_exception_fp_ieee_overflow 0
		.amdhsa_exception_fp_ieee_underflow 0
		.amdhsa_exception_fp_ieee_inexact 0
		.amdhsa_exception_int_div_zero 0
	.end_amdhsa_kernel
	.section	.text._ZN7rocprim17ROCPRIM_400000_NS6detail17trampoline_kernelINS0_14default_configENS1_35radix_sort_onesweep_config_selectorIflEEZZNS1_29radix_sort_onesweep_iterationIS3_Lb0EPfS7_N6thrust23THRUST_200600_302600_NS10device_ptrIlEESB_jNS0_19identity_decomposerENS1_16block_id_wrapperIjLb0EEEEE10hipError_tT1_PNSt15iterator_traitsISG_E10value_typeET2_T3_PNSH_ISM_E10value_typeET4_T5_PSR_SS_PNS1_23onesweep_lookback_stateEbbT6_jjT7_P12ihipStream_tbENKUlT_T0_SG_SL_E_clIS7_S7_SB_PlEEDaSZ_S10_SG_SL_EUlSZ_E_NS1_11comp_targetILNS1_3genE2ELNS1_11target_archE906ELNS1_3gpuE6ELNS1_3repE0EEENS1_47radix_sort_onesweep_sort_config_static_selectorELNS0_4arch9wavefront6targetE1EEEvSG_,"axG",@progbits,_ZN7rocprim17ROCPRIM_400000_NS6detail17trampoline_kernelINS0_14default_configENS1_35radix_sort_onesweep_config_selectorIflEEZZNS1_29radix_sort_onesweep_iterationIS3_Lb0EPfS7_N6thrust23THRUST_200600_302600_NS10device_ptrIlEESB_jNS0_19identity_decomposerENS1_16block_id_wrapperIjLb0EEEEE10hipError_tT1_PNSt15iterator_traitsISG_E10value_typeET2_T3_PNSH_ISM_E10value_typeET4_T5_PSR_SS_PNS1_23onesweep_lookback_stateEbbT6_jjT7_P12ihipStream_tbENKUlT_T0_SG_SL_E_clIS7_S7_SB_PlEEDaSZ_S10_SG_SL_EUlSZ_E_NS1_11comp_targetILNS1_3genE2ELNS1_11target_archE906ELNS1_3gpuE6ELNS1_3repE0EEENS1_47radix_sort_onesweep_sort_config_static_selectorELNS0_4arch9wavefront6targetE1EEEvSG_,comdat
.Lfunc_end1873:
	.size	_ZN7rocprim17ROCPRIM_400000_NS6detail17trampoline_kernelINS0_14default_configENS1_35radix_sort_onesweep_config_selectorIflEEZZNS1_29radix_sort_onesweep_iterationIS3_Lb0EPfS7_N6thrust23THRUST_200600_302600_NS10device_ptrIlEESB_jNS0_19identity_decomposerENS1_16block_id_wrapperIjLb0EEEEE10hipError_tT1_PNSt15iterator_traitsISG_E10value_typeET2_T3_PNSH_ISM_E10value_typeET4_T5_PSR_SS_PNS1_23onesweep_lookback_stateEbbT6_jjT7_P12ihipStream_tbENKUlT_T0_SG_SL_E_clIS7_S7_SB_PlEEDaSZ_S10_SG_SL_EUlSZ_E_NS1_11comp_targetILNS1_3genE2ELNS1_11target_archE906ELNS1_3gpuE6ELNS1_3repE0EEENS1_47radix_sort_onesweep_sort_config_static_selectorELNS0_4arch9wavefront6targetE1EEEvSG_, .Lfunc_end1873-_ZN7rocprim17ROCPRIM_400000_NS6detail17trampoline_kernelINS0_14default_configENS1_35radix_sort_onesweep_config_selectorIflEEZZNS1_29radix_sort_onesweep_iterationIS3_Lb0EPfS7_N6thrust23THRUST_200600_302600_NS10device_ptrIlEESB_jNS0_19identity_decomposerENS1_16block_id_wrapperIjLb0EEEEE10hipError_tT1_PNSt15iterator_traitsISG_E10value_typeET2_T3_PNSH_ISM_E10value_typeET4_T5_PSR_SS_PNS1_23onesweep_lookback_stateEbbT6_jjT7_P12ihipStream_tbENKUlT_T0_SG_SL_E_clIS7_S7_SB_PlEEDaSZ_S10_SG_SL_EUlSZ_E_NS1_11comp_targetILNS1_3genE2ELNS1_11target_archE906ELNS1_3gpuE6ELNS1_3repE0EEENS1_47radix_sort_onesweep_sort_config_static_selectorELNS0_4arch9wavefront6targetE1EEEvSG_
                                        ; -- End function
	.section	.AMDGPU.csdata,"",@progbits
; Kernel info:
; codeLenInByte = 0
; NumSgprs: 4
; NumVgprs: 0
; NumAgprs: 0
; TotalNumVgprs: 0
; ScratchSize: 0
; MemoryBound: 0
; FloatMode: 240
; IeeeMode: 1
; LDSByteSize: 0 bytes/workgroup (compile time only)
; SGPRBlocks: 0
; VGPRBlocks: 0
; NumSGPRsForWavesPerEU: 4
; NumVGPRsForWavesPerEU: 1
; AccumOffset: 4
; Occupancy: 8
; WaveLimiterHint : 0
; COMPUTE_PGM_RSRC2:SCRATCH_EN: 0
; COMPUTE_PGM_RSRC2:USER_SGPR: 6
; COMPUTE_PGM_RSRC2:TRAP_HANDLER: 0
; COMPUTE_PGM_RSRC2:TGID_X_EN: 1
; COMPUTE_PGM_RSRC2:TGID_Y_EN: 0
; COMPUTE_PGM_RSRC2:TGID_Z_EN: 0
; COMPUTE_PGM_RSRC2:TIDIG_COMP_CNT: 0
; COMPUTE_PGM_RSRC3_GFX90A:ACCUM_OFFSET: 0
; COMPUTE_PGM_RSRC3_GFX90A:TG_SPLIT: 0
	.section	.text._ZN7rocprim17ROCPRIM_400000_NS6detail17trampoline_kernelINS0_14default_configENS1_35radix_sort_onesweep_config_selectorIflEEZZNS1_29radix_sort_onesweep_iterationIS3_Lb0EPfS7_N6thrust23THRUST_200600_302600_NS10device_ptrIlEESB_jNS0_19identity_decomposerENS1_16block_id_wrapperIjLb0EEEEE10hipError_tT1_PNSt15iterator_traitsISG_E10value_typeET2_T3_PNSH_ISM_E10value_typeET4_T5_PSR_SS_PNS1_23onesweep_lookback_stateEbbT6_jjT7_P12ihipStream_tbENKUlT_T0_SG_SL_E_clIS7_S7_SB_PlEEDaSZ_S10_SG_SL_EUlSZ_E_NS1_11comp_targetILNS1_3genE4ELNS1_11target_archE910ELNS1_3gpuE8ELNS1_3repE0EEENS1_47radix_sort_onesweep_sort_config_static_selectorELNS0_4arch9wavefront6targetE1EEEvSG_,"axG",@progbits,_ZN7rocprim17ROCPRIM_400000_NS6detail17trampoline_kernelINS0_14default_configENS1_35radix_sort_onesweep_config_selectorIflEEZZNS1_29radix_sort_onesweep_iterationIS3_Lb0EPfS7_N6thrust23THRUST_200600_302600_NS10device_ptrIlEESB_jNS0_19identity_decomposerENS1_16block_id_wrapperIjLb0EEEEE10hipError_tT1_PNSt15iterator_traitsISG_E10value_typeET2_T3_PNSH_ISM_E10value_typeET4_T5_PSR_SS_PNS1_23onesweep_lookback_stateEbbT6_jjT7_P12ihipStream_tbENKUlT_T0_SG_SL_E_clIS7_S7_SB_PlEEDaSZ_S10_SG_SL_EUlSZ_E_NS1_11comp_targetILNS1_3genE4ELNS1_11target_archE910ELNS1_3gpuE8ELNS1_3repE0EEENS1_47radix_sort_onesweep_sort_config_static_selectorELNS0_4arch9wavefront6targetE1EEEvSG_,comdat
	.protected	_ZN7rocprim17ROCPRIM_400000_NS6detail17trampoline_kernelINS0_14default_configENS1_35radix_sort_onesweep_config_selectorIflEEZZNS1_29radix_sort_onesweep_iterationIS3_Lb0EPfS7_N6thrust23THRUST_200600_302600_NS10device_ptrIlEESB_jNS0_19identity_decomposerENS1_16block_id_wrapperIjLb0EEEEE10hipError_tT1_PNSt15iterator_traitsISG_E10value_typeET2_T3_PNSH_ISM_E10value_typeET4_T5_PSR_SS_PNS1_23onesweep_lookback_stateEbbT6_jjT7_P12ihipStream_tbENKUlT_T0_SG_SL_E_clIS7_S7_SB_PlEEDaSZ_S10_SG_SL_EUlSZ_E_NS1_11comp_targetILNS1_3genE4ELNS1_11target_archE910ELNS1_3gpuE8ELNS1_3repE0EEENS1_47radix_sort_onesweep_sort_config_static_selectorELNS0_4arch9wavefront6targetE1EEEvSG_ ; -- Begin function _ZN7rocprim17ROCPRIM_400000_NS6detail17trampoline_kernelINS0_14default_configENS1_35radix_sort_onesweep_config_selectorIflEEZZNS1_29radix_sort_onesweep_iterationIS3_Lb0EPfS7_N6thrust23THRUST_200600_302600_NS10device_ptrIlEESB_jNS0_19identity_decomposerENS1_16block_id_wrapperIjLb0EEEEE10hipError_tT1_PNSt15iterator_traitsISG_E10value_typeET2_T3_PNSH_ISM_E10value_typeET4_T5_PSR_SS_PNS1_23onesweep_lookback_stateEbbT6_jjT7_P12ihipStream_tbENKUlT_T0_SG_SL_E_clIS7_S7_SB_PlEEDaSZ_S10_SG_SL_EUlSZ_E_NS1_11comp_targetILNS1_3genE4ELNS1_11target_archE910ELNS1_3gpuE8ELNS1_3repE0EEENS1_47radix_sort_onesweep_sort_config_static_selectorELNS0_4arch9wavefront6targetE1EEEvSG_
	.globl	_ZN7rocprim17ROCPRIM_400000_NS6detail17trampoline_kernelINS0_14default_configENS1_35radix_sort_onesweep_config_selectorIflEEZZNS1_29radix_sort_onesweep_iterationIS3_Lb0EPfS7_N6thrust23THRUST_200600_302600_NS10device_ptrIlEESB_jNS0_19identity_decomposerENS1_16block_id_wrapperIjLb0EEEEE10hipError_tT1_PNSt15iterator_traitsISG_E10value_typeET2_T3_PNSH_ISM_E10value_typeET4_T5_PSR_SS_PNS1_23onesweep_lookback_stateEbbT6_jjT7_P12ihipStream_tbENKUlT_T0_SG_SL_E_clIS7_S7_SB_PlEEDaSZ_S10_SG_SL_EUlSZ_E_NS1_11comp_targetILNS1_3genE4ELNS1_11target_archE910ELNS1_3gpuE8ELNS1_3repE0EEENS1_47radix_sort_onesweep_sort_config_static_selectorELNS0_4arch9wavefront6targetE1EEEvSG_
	.p2align	8
	.type	_ZN7rocprim17ROCPRIM_400000_NS6detail17trampoline_kernelINS0_14default_configENS1_35radix_sort_onesweep_config_selectorIflEEZZNS1_29radix_sort_onesweep_iterationIS3_Lb0EPfS7_N6thrust23THRUST_200600_302600_NS10device_ptrIlEESB_jNS0_19identity_decomposerENS1_16block_id_wrapperIjLb0EEEEE10hipError_tT1_PNSt15iterator_traitsISG_E10value_typeET2_T3_PNSH_ISM_E10value_typeET4_T5_PSR_SS_PNS1_23onesweep_lookback_stateEbbT6_jjT7_P12ihipStream_tbENKUlT_T0_SG_SL_E_clIS7_S7_SB_PlEEDaSZ_S10_SG_SL_EUlSZ_E_NS1_11comp_targetILNS1_3genE4ELNS1_11target_archE910ELNS1_3gpuE8ELNS1_3repE0EEENS1_47radix_sort_onesweep_sort_config_static_selectorELNS0_4arch9wavefront6targetE1EEEvSG_,@function
_ZN7rocprim17ROCPRIM_400000_NS6detail17trampoline_kernelINS0_14default_configENS1_35radix_sort_onesweep_config_selectorIflEEZZNS1_29radix_sort_onesweep_iterationIS3_Lb0EPfS7_N6thrust23THRUST_200600_302600_NS10device_ptrIlEESB_jNS0_19identity_decomposerENS1_16block_id_wrapperIjLb0EEEEE10hipError_tT1_PNSt15iterator_traitsISG_E10value_typeET2_T3_PNSH_ISM_E10value_typeET4_T5_PSR_SS_PNS1_23onesweep_lookback_stateEbbT6_jjT7_P12ihipStream_tbENKUlT_T0_SG_SL_E_clIS7_S7_SB_PlEEDaSZ_S10_SG_SL_EUlSZ_E_NS1_11comp_targetILNS1_3genE4ELNS1_11target_archE910ELNS1_3gpuE8ELNS1_3repE0EEENS1_47radix_sort_onesweep_sort_config_static_selectorELNS0_4arch9wavefront6targetE1EEEvSG_: ; @_ZN7rocprim17ROCPRIM_400000_NS6detail17trampoline_kernelINS0_14default_configENS1_35radix_sort_onesweep_config_selectorIflEEZZNS1_29radix_sort_onesweep_iterationIS3_Lb0EPfS7_N6thrust23THRUST_200600_302600_NS10device_ptrIlEESB_jNS0_19identity_decomposerENS1_16block_id_wrapperIjLb0EEEEE10hipError_tT1_PNSt15iterator_traitsISG_E10value_typeET2_T3_PNSH_ISM_E10value_typeET4_T5_PSR_SS_PNS1_23onesweep_lookback_stateEbbT6_jjT7_P12ihipStream_tbENKUlT_T0_SG_SL_E_clIS7_S7_SB_PlEEDaSZ_S10_SG_SL_EUlSZ_E_NS1_11comp_targetILNS1_3genE4ELNS1_11target_archE910ELNS1_3gpuE8ELNS1_3repE0EEENS1_47radix_sort_onesweep_sort_config_static_selectorELNS0_4arch9wavefront6targetE1EEEvSG_
; %bb.0:
	s_load_dwordx8 s[36:43], s[4:5], 0x0
	s_load_dwordx4 s[44:47], s[4:5], 0x44
	s_load_dwordx4 s[28:31], s[4:5], 0x28
	s_load_dwordx2 s[34:35], s[4:5], 0x38
	v_mbcnt_lo_u32_b32 v1, -1, 0
	s_waitcnt lgkmcnt(0)
	s_cmp_ge_u32 s6, s46
	s_cbranch_scc0 .LBB1874_63
; %bb.1:
	s_load_dword s0, s[4:5], 0x20
	s_lshl_b32 s1, s46, 13
	s_lshl_b32 s46, s6, 13
	s_mov_b32 s47, 0
	v_mbcnt_hi_u32_b32 v19, -1, v1
	s_waitcnt lgkmcnt(0)
	s_sub_i32 s7, s0, s1
	s_lshl_b64 s[0:1], s[46:47], 2
	v_and_b32_e32 v10, 0x3ff, v0
	s_add_u32 s0, s36, s0
	v_and_b32_e32 v17, 63, v19
	s_addc_u32 s1, s37, s1
	v_lshlrev_b32_e32 v11, 3, v10
	v_lshlrev_b32_e32 v2, 2, v17
	v_and_b32_e32 v16, 0x1e00, v11
	v_mov_b32_e32 v3, s1
	v_add_co_u32_e32 v2, vcc, s0, v2
	v_addc_co_u32_e32 v3, vcc, 0, v3, vcc
	v_lshlrev_b32_e32 v4, 2, v16
	s_brev_b32 s8, -2
	v_add_co_u32_e32 v12, vcc, v2, v4
	s_mov_b32 s9, s8
	v_addc_co_u32_e32 v13, vcc, 0, v3, vcc
	v_or_b32_e32 v14, v17, v16
	s_mov_b32 s10, s8
	s_mov_b32 s11, s8
	;; [unrolled: 1-line block ×6, first 2 shown]
	v_pk_mov_b32 v[2:3], s[8:9], s[8:9] op_sel:[0,1]
	v_cmp_gt_u32_e64 s[0:1], s7, v14
	v_pk_mov_b32 v[4:5], s[10:11], s[10:11] op_sel:[0,1]
	v_pk_mov_b32 v[6:7], s[12:13], s[12:13] op_sel:[0,1]
	;; [unrolled: 1-line block ×3, first 2 shown]
	s_and_saveexec_b64 s[2:3], s[0:1]
	s_cbranch_execz .LBB1874_3
; %bb.2:
	global_load_dword v2, v[12:13], off
	v_bfrev_b32_e32 v3, -2
	v_mov_b32_e32 v4, v3
	v_mov_b32_e32 v5, v3
	;; [unrolled: 1-line block ×6, first 2 shown]
.LBB1874_3:
	s_or_b64 exec, exec, s[2:3]
	v_or_b32_e32 v15, 64, v14
	v_cmp_gt_u32_e64 s[2:3], s7, v15
	s_and_saveexec_b64 s[8:9], s[2:3]
	s_cbranch_execz .LBB1874_5
; %bb.4:
	global_load_dword v3, v[12:13], off offset:256
.LBB1874_5:
	s_or_b64 exec, exec, s[8:9]
	v_or_b32_e32 v15, 0x80, v14
	v_cmp_gt_u32_e64 s[24:25], s7, v15
	s_and_saveexec_b64 s[8:9], s[24:25]
	s_cbranch_execz .LBB1874_7
; %bb.6:
	global_load_dword v4, v[12:13], off offset:512
.LBB1874_7:
	;; [unrolled: 8-line block ×7, first 2 shown]
	s_or_b64 exec, exec, s[18:19]
	s_load_dword s18, s[4:5], 0x64
	s_load_dword s33, s[4:5], 0x58
	s_add_u32 s19, s4, 0x58
	s_addc_u32 s20, s5, 0
	v_mov_b32_e32 v12, 0
	s_waitcnt lgkmcnt(0)
	s_lshr_b32 s21, s18, 16
	s_cmp_lt_u32 s6, s33
	s_cselect_b32 s18, 12, 18
	s_add_u32 s18, s19, s18
	s_addc_u32 s19, s20, 0
	global_load_ushort v14, v12, s[18:19]
	v_bfrev_b32_e32 v20, 1
	s_waitcnt vmcnt(1)
	v_cmp_lt_i32_e32 vcc, -1, v2
	v_mul_u32_u24_e32 v18, 5, v10
	v_cndmask_b32_e32 v21, -1, v20, vcc
	s_brev_b32 s20, -2
	v_lshlrev_b32_e32 v23, 2, v18
	v_xor_b32_e32 v18, v21, v2
	v_cmp_ne_u32_e32 vcc, s20, v18
	v_cndmask_b32_e32 v2, v20, v18, vcc
	s_lshl_b32 s18, -1, s45
	v_lshrrev_b32_e32 v2, s44, v2
	s_not_b32 s50, s18
	v_and_b32_e32 v2, s50, v2
	v_and_b32_e32 v22, 1, v2
	v_bfe_u32 v13, v0, 10, 10
	v_bfe_u32 v15, v0, 20, 10
	v_add_co_u32_e32 v24, vcc, -1, v22
	v_mad_u32_u24 v15, v15, s21, v13
	v_lshlrev_b32_e32 v13, 30, v2
	v_addc_co_u32_e64 v25, s[18:19], 0, -1, vcc
	v_cmp_ne_u32_e32 vcc, 0, v22
	v_cmp_gt_i64_e64 s[18:19], 0, v[12:13]
	v_not_b32_e32 v22, v13
	v_lshlrev_b32_e32 v13, 29, v2
	v_xor_b32_e32 v25, vcc_hi, v25
	v_xor_b32_e32 v24, vcc_lo, v24
	v_ashrrev_i32_e32 v22, 31, v22
	v_cmp_gt_i64_e32 vcc, 0, v[12:13]
	v_not_b32_e32 v26, v13
	v_lshlrev_b32_e32 v13, 28, v2
	v_and_b32_e32 v25, exec_hi, v25
	v_and_b32_e32 v24, exec_lo, v24
	v_xor_b32_e32 v27, s19, v22
	v_xor_b32_e32 v22, s18, v22
	v_ashrrev_i32_e32 v26, 31, v26
	v_cmp_gt_i64_e64 s[18:19], 0, v[12:13]
	v_not_b32_e32 v28, v13
	v_lshlrev_b32_e32 v13, 27, v2
	v_and_b32_e32 v25, v25, v27
	v_and_b32_e32 v22, v24, v22
	v_xor_b32_e32 v24, vcc_hi, v26
	v_xor_b32_e32 v26, vcc_lo, v26
	v_ashrrev_i32_e32 v27, 31, v28
	v_cmp_gt_i64_e32 vcc, 0, v[12:13]
	v_not_b32_e32 v28, v13
	v_lshlrev_b32_e32 v13, 26, v2
	v_and_b32_e32 v24, v25, v24
	v_and_b32_e32 v22, v22, v26
	v_xor_b32_e32 v25, s19, v27
	v_xor_b32_e32 v26, s18, v27
	v_ashrrev_i32_e32 v27, 31, v28
	v_cmp_gt_i64_e64 s[18:19], 0, v[12:13]
	v_not_b32_e32 v28, v13
	v_lshlrev_b32_e32 v13, 25, v2
	v_and_b32_e32 v24, v24, v25
	v_and_b32_e32 v22, v22, v26
	v_xor_b32_e32 v25, vcc_hi, v27
	v_xor_b32_e32 v26, vcc_lo, v27
	v_ashrrev_i32_e32 v27, 31, v28
	v_cmp_gt_i64_e32 vcc, 0, v[12:13]
	v_not_b32_e32 v13, v13
	v_and_b32_e32 v24, v24, v25
	v_and_b32_e32 v22, v22, v26
	v_xor_b32_e32 v25, s19, v27
	v_xor_b32_e32 v26, s18, v27
	v_ashrrev_i32_e32 v13, 31, v13
	v_lshl_add_u32 v21, v2, 4, v2
	v_and_b32_e32 v22, v22, v26
	v_xor_b32_e32 v26, vcc_hi, v13
	v_xor_b32_e32 v13, vcc_lo, v13
	v_and_b32_e32 v24, v24, v25
	ds_write2_b32 v23, v12, v12 offset0:16 offset1:17
	ds_write2_b32 v23, v12, v12 offset0:18 offset1:19
	ds_write_b32 v23, v12 offset:80
	s_waitcnt lgkmcnt(0)
	s_barrier
	s_waitcnt lgkmcnt(0)
	; wave barrier
	s_waitcnt vmcnt(0)
	v_mad_u64_u32 v[14:15], s[18:19], v15, v14, v[10:11]
	v_lshrrev_b32_e32 v42, 6, v14
	v_add_lshl_u32 v25, v21, v42, 2
	v_and_b32_e32 v21, v22, v13
	v_lshlrev_b32_e32 v13, 24, v2
	v_not_b32_e32 v2, v13
	v_cmp_gt_i64_e32 vcc, 0, v[12:13]
	v_ashrrev_i32_e32 v2, 31, v2
	v_and_b32_e32 v14, v24, v26
	v_xor_b32_e32 v13, vcc_hi, v2
	v_xor_b32_e32 v2, vcc_lo, v2
	v_and_b32_e32 v15, v14, v13
	v_and_b32_e32 v14, v21, v2
	v_mbcnt_lo_u32_b32 v2, v14, 0
	v_mbcnt_hi_u32_b32 v22, v15, v2
	v_cmp_eq_u32_e32 vcc, 0, v22
	v_cmp_ne_u64_e64 s[18:19], 0, v[14:15]
	s_and_b64 s[22:23], s[18:19], vcc
	s_and_saveexec_b64 s[18:19], s[22:23]
	s_cbranch_execz .LBB1874_19
; %bb.18:
	v_bcnt_u32_b32 v2, v14, 0
	v_bcnt_u32_b32 v2, v15, v2
	ds_write_b32 v25, v2 offset:64
.LBB1874_19:
	s_or_b64 exec, exec, s[18:19]
	v_cmp_lt_i32_e32 vcc, -1, v3
	v_cndmask_b32_e32 v2, -1, v20, vcc
	v_xor_b32_e32 v14, v2, v3
	v_cmp_ne_u32_e32 vcc, s20, v14
	v_cndmask_b32_e32 v2, v20, v14, vcc
	v_lshrrev_b32_e32 v2, s44, v2
	v_and_b32_e32 v2, s50, v2
	v_lshl_add_u32 v3, v2, 4, v2
	v_add_lshl_u32 v26, v3, v42, 2
	v_and_b32_e32 v3, 1, v2
	v_add_co_u32_e32 v13, vcc, -1, v3
	v_addc_co_u32_e64 v15, s[18:19], 0, -1, vcc
	v_cmp_ne_u32_e32 vcc, 0, v3
	v_xor_b32_e32 v13, vcc_lo, v13
	v_xor_b32_e32 v3, vcc_hi, v15
	v_and_b32_e32 v15, exec_lo, v13
	v_lshlrev_b32_e32 v13, 30, v2
	v_cmp_gt_i64_e32 vcc, 0, v[12:13]
	v_not_b32_e32 v13, v13
	v_ashrrev_i32_e32 v13, 31, v13
	v_xor_b32_e32 v20, vcc_hi, v13
	v_xor_b32_e32 v13, vcc_lo, v13
	v_and_b32_e32 v15, v15, v13
	v_lshlrev_b32_e32 v13, 29, v2
	v_cmp_gt_i64_e32 vcc, 0, v[12:13]
	v_not_b32_e32 v13, v13
	v_and_b32_e32 v3, exec_hi, v3
	v_ashrrev_i32_e32 v13, 31, v13
	v_and_b32_e32 v3, v3, v20
	v_xor_b32_e32 v20, vcc_hi, v13
	v_xor_b32_e32 v13, vcc_lo, v13
	v_and_b32_e32 v15, v15, v13
	v_lshlrev_b32_e32 v13, 28, v2
	v_cmp_gt_i64_e32 vcc, 0, v[12:13]
	v_not_b32_e32 v13, v13
	v_ashrrev_i32_e32 v13, 31, v13
	v_and_b32_e32 v3, v3, v20
	v_xor_b32_e32 v20, vcc_hi, v13
	v_xor_b32_e32 v13, vcc_lo, v13
	v_and_b32_e32 v15, v15, v13
	v_lshlrev_b32_e32 v13, 27, v2
	v_cmp_gt_i64_e32 vcc, 0, v[12:13]
	v_not_b32_e32 v13, v13
	v_ashrrev_i32_e32 v13, 31, v13
	v_and_b32_e32 v3, v3, v20
	v_xor_b32_e32 v20, vcc_hi, v13
	v_xor_b32_e32 v13, vcc_lo, v13
	v_and_b32_e32 v15, v15, v13
	v_lshlrev_b32_e32 v13, 26, v2
	v_cmp_gt_i64_e32 vcc, 0, v[12:13]
	v_not_b32_e32 v13, v13
	v_ashrrev_i32_e32 v13, 31, v13
	v_and_b32_e32 v3, v3, v20
	v_xor_b32_e32 v20, vcc_hi, v13
	v_xor_b32_e32 v13, vcc_lo, v13
	v_and_b32_e32 v15, v15, v13
	v_lshlrev_b32_e32 v13, 25, v2
	v_cmp_gt_i64_e32 vcc, 0, v[12:13]
	v_not_b32_e32 v13, v13
	v_ashrrev_i32_e32 v13, 31, v13
	v_and_b32_e32 v3, v3, v20
	v_xor_b32_e32 v20, vcc_hi, v13
	v_xor_b32_e32 v13, vcc_lo, v13
	v_and_b32_e32 v15, v15, v13
	v_lshlrev_b32_e32 v13, 24, v2
	v_not_b32_e32 v2, v13
	v_cmp_gt_i64_e32 vcc, 0, v[12:13]
	v_ashrrev_i32_e32 v2, 31, v2
	v_xor_b32_e32 v12, vcc_hi, v2
	v_xor_b32_e32 v2, vcc_lo, v2
	; wave barrier
	ds_read_b32 v30, v26 offset:64
	v_and_b32_e32 v3, v3, v20
	v_and_b32_e32 v2, v15, v2
	;; [unrolled: 1-line block ×3, first 2 shown]
	v_mbcnt_lo_u32_b32 v12, v2, 0
	v_mbcnt_hi_u32_b32 v31, v3, v12
	v_cmp_eq_u32_e32 vcc, 0, v31
	v_cmp_ne_u64_e64 s[18:19], 0, v[2:3]
	s_and_b64 s[20:21], s[18:19], vcc
	; wave barrier
	s_and_saveexec_b64 s[18:19], s[20:21]
	s_cbranch_execz .LBB1874_21
; %bb.20:
	v_bcnt_u32_b32 v2, v2, 0
	v_bcnt_u32_b32 v2, v3, v2
	s_waitcnt lgkmcnt(0)
	v_add_u32_e32 v2, v30, v2
	ds_write_b32 v26, v2 offset:64
.LBB1874_21:
	s_or_b64 exec, exec, s[18:19]
	v_bfrev_b32_e32 v21, 1
	v_cmp_lt_i32_e32 vcc, -1, v4
	v_cndmask_b32_e32 v2, -1, v21, vcc
	v_xor_b32_e32 v15, v2, v4
	s_brev_b32 s20, -2
	v_cmp_ne_u32_e32 vcc, s20, v15
	v_cndmask_b32_e32 v2, v21, v15, vcc
	v_lshrrev_b32_e32 v2, s44, v2
	v_and_b32_e32 v4, s50, v2
	v_and_b32_e32 v3, 1, v4
	v_add_co_u32_e32 v12, vcc, -1, v3
	v_addc_co_u32_e64 v13, s[18:19], 0, -1, vcc
	v_cmp_ne_u32_e32 vcc, 0, v3
	v_lshl_add_u32 v2, v4, 4, v4
	v_xor_b32_e32 v3, vcc_hi, v13
	v_add_lshl_u32 v28, v2, v42, 2
	v_mov_b32_e32 v2, 0
	v_and_b32_e32 v13, exec_hi, v3
	v_lshlrev_b32_e32 v3, 30, v4
	v_xor_b32_e32 v12, vcc_lo, v12
	v_cmp_gt_i64_e32 vcc, 0, v[2:3]
	v_not_b32_e32 v3, v3
	v_ashrrev_i32_e32 v3, 31, v3
	v_and_b32_e32 v12, exec_lo, v12
	v_xor_b32_e32 v20, vcc_hi, v3
	v_xor_b32_e32 v3, vcc_lo, v3
	v_and_b32_e32 v12, v12, v3
	v_lshlrev_b32_e32 v3, 29, v4
	v_cmp_gt_i64_e32 vcc, 0, v[2:3]
	v_not_b32_e32 v3, v3
	v_ashrrev_i32_e32 v3, 31, v3
	v_and_b32_e32 v13, v13, v20
	v_xor_b32_e32 v20, vcc_hi, v3
	v_xor_b32_e32 v3, vcc_lo, v3
	v_and_b32_e32 v12, v12, v3
	v_lshlrev_b32_e32 v3, 28, v4
	v_cmp_gt_i64_e32 vcc, 0, v[2:3]
	v_not_b32_e32 v3, v3
	v_ashrrev_i32_e32 v3, 31, v3
	v_and_b32_e32 v13, v13, v20
	;; [unrolled: 8-line block ×5, first 2 shown]
	v_xor_b32_e32 v20, vcc_hi, v3
	v_xor_b32_e32 v3, vcc_lo, v3
	v_and_b32_e32 v12, v12, v3
	v_lshlrev_b32_e32 v3, 24, v4
	v_cmp_gt_i64_e32 vcc, 0, v[2:3]
	v_not_b32_e32 v3, v3
	v_ashrrev_i32_e32 v3, 31, v3
	v_xor_b32_e32 v4, vcc_hi, v3
	v_xor_b32_e32 v3, vcc_lo, v3
	; wave barrier
	ds_read_b32 v32, v28 offset:64
	v_and_b32_e32 v13, v13, v20
	v_and_b32_e32 v12, v12, v3
	;; [unrolled: 1-line block ×3, first 2 shown]
	v_mbcnt_lo_u32_b32 v3, v12, 0
	v_mbcnt_hi_u32_b32 v33, v13, v3
	v_cmp_eq_u32_e32 vcc, 0, v33
	v_cmp_ne_u64_e64 s[18:19], 0, v[12:13]
	s_and_b64 s[22:23], s[18:19], vcc
	; wave barrier
	s_and_saveexec_b64 s[18:19], s[22:23]
	s_cbranch_execz .LBB1874_23
; %bb.22:
	v_bcnt_u32_b32 v3, v12, 0
	v_bcnt_u32_b32 v3, v13, v3
	s_waitcnt lgkmcnt(0)
	v_add_u32_e32 v3, v32, v3
	ds_write_b32 v28, v3 offset:64
.LBB1874_23:
	s_or_b64 exec, exec, s[18:19]
	v_cmp_lt_i32_e32 vcc, -1, v5
	v_cndmask_b32_e32 v3, -1, v21, vcc
	v_xor_b32_e32 v20, v3, v5
	v_cmp_ne_u32_e32 vcc, s20, v20
	v_cndmask_b32_e32 v3, v21, v20, vcc
	v_lshrrev_b32_e32 v3, s44, v3
	v_and_b32_e32 v4, s50, v3
	v_lshl_add_u32 v3, v4, 4, v4
	v_add_lshl_u32 v12, v3, v42, 2
	v_and_b32_e32 v3, 1, v4
	v_add_co_u32_e32 v5, vcc, -1, v3
	v_addc_co_u32_e64 v13, s[18:19], 0, -1, vcc
	v_cmp_ne_u32_e32 vcc, 0, v3
	v_xor_b32_e32 v3, vcc_hi, v13
	v_and_b32_e32 v13, exec_hi, v3
	v_lshlrev_b32_e32 v3, 30, v4
	v_xor_b32_e32 v5, vcc_lo, v5
	v_cmp_gt_i64_e32 vcc, 0, v[2:3]
	v_not_b32_e32 v3, v3
	v_ashrrev_i32_e32 v3, 31, v3
	v_and_b32_e32 v5, exec_lo, v5
	v_xor_b32_e32 v21, vcc_hi, v3
	v_xor_b32_e32 v3, vcc_lo, v3
	v_and_b32_e32 v5, v5, v3
	v_lshlrev_b32_e32 v3, 29, v4
	v_cmp_gt_i64_e32 vcc, 0, v[2:3]
	v_not_b32_e32 v3, v3
	v_ashrrev_i32_e32 v3, 31, v3
	v_and_b32_e32 v13, v13, v21
	v_xor_b32_e32 v21, vcc_hi, v3
	v_xor_b32_e32 v3, vcc_lo, v3
	v_and_b32_e32 v5, v5, v3
	v_lshlrev_b32_e32 v3, 28, v4
	v_cmp_gt_i64_e32 vcc, 0, v[2:3]
	v_not_b32_e32 v3, v3
	v_ashrrev_i32_e32 v3, 31, v3
	v_and_b32_e32 v13, v13, v21
	;; [unrolled: 8-line block ×5, first 2 shown]
	v_xor_b32_e32 v21, vcc_hi, v3
	v_xor_b32_e32 v3, vcc_lo, v3
	v_and_b32_e32 v5, v5, v3
	v_lshlrev_b32_e32 v3, 24, v4
	v_cmp_gt_i64_e32 vcc, 0, v[2:3]
	v_not_b32_e32 v2, v3
	v_ashrrev_i32_e32 v2, 31, v2
	v_xor_b32_e32 v3, vcc_hi, v2
	v_xor_b32_e32 v2, vcc_lo, v2
	; wave barrier
	ds_read_b32 v34, v12 offset:64
	v_and_b32_e32 v13, v13, v21
	v_and_b32_e32 v2, v5, v2
	;; [unrolled: 1-line block ×3, first 2 shown]
	v_mbcnt_lo_u32_b32 v4, v2, 0
	v_mbcnt_hi_u32_b32 v35, v3, v4
	v_cmp_eq_u32_e32 vcc, 0, v35
	v_cmp_ne_u64_e64 s[18:19], 0, v[2:3]
	s_and_b64 s[20:21], s[18:19], vcc
	; wave barrier
	s_and_saveexec_b64 s[18:19], s[20:21]
	s_cbranch_execz .LBB1874_25
; %bb.24:
	v_bcnt_u32_b32 v2, v2, 0
	v_bcnt_u32_b32 v2, v3, v2
	s_waitcnt lgkmcnt(0)
	v_add_u32_e32 v2, v34, v2
	ds_write_b32 v12, v2 offset:64
.LBB1874_25:
	s_or_b64 exec, exec, s[18:19]
	v_bfrev_b32_e32 v13, 1
	v_cmp_lt_i32_e32 vcc, -1, v6
	v_cndmask_b32_e32 v2, -1, v13, vcc
	v_xor_b32_e32 v21, v2, v6
	s_brev_b32 s20, -2
	v_cmp_ne_u32_e32 vcc, s20, v21
	v_cndmask_b32_e32 v2, v13, v21, vcc
	v_lshrrev_b32_e32 v2, s44, v2
	v_and_b32_e32 v4, s50, v2
	v_and_b32_e32 v3, 1, v4
	v_add_co_u32_e32 v5, vcc, -1, v3
	v_addc_co_u32_e64 v24, s[18:19], 0, -1, vcc
	v_cmp_ne_u32_e32 vcc, 0, v3
	v_lshl_add_u32 v2, v4, 4, v4
	v_xor_b32_e32 v3, vcc_hi, v24
	v_add_lshl_u32 v6, v2, v42, 2
	v_mov_b32_e32 v2, 0
	v_and_b32_e32 v24, exec_hi, v3
	v_lshlrev_b32_e32 v3, 30, v4
	v_xor_b32_e32 v5, vcc_lo, v5
	v_cmp_gt_i64_e32 vcc, 0, v[2:3]
	v_not_b32_e32 v3, v3
	v_ashrrev_i32_e32 v3, 31, v3
	v_and_b32_e32 v5, exec_lo, v5
	v_xor_b32_e32 v27, vcc_hi, v3
	v_xor_b32_e32 v3, vcc_lo, v3
	v_and_b32_e32 v5, v5, v3
	v_lshlrev_b32_e32 v3, 29, v4
	v_cmp_gt_i64_e32 vcc, 0, v[2:3]
	v_not_b32_e32 v3, v3
	v_ashrrev_i32_e32 v3, 31, v3
	v_and_b32_e32 v24, v24, v27
	v_xor_b32_e32 v27, vcc_hi, v3
	v_xor_b32_e32 v3, vcc_lo, v3
	v_and_b32_e32 v5, v5, v3
	v_lshlrev_b32_e32 v3, 28, v4
	v_cmp_gt_i64_e32 vcc, 0, v[2:3]
	v_not_b32_e32 v3, v3
	v_ashrrev_i32_e32 v3, 31, v3
	v_and_b32_e32 v24, v24, v27
	;; [unrolled: 8-line block ×5, first 2 shown]
	v_xor_b32_e32 v27, vcc_hi, v3
	v_xor_b32_e32 v3, vcc_lo, v3
	v_and_b32_e32 v24, v24, v27
	v_and_b32_e32 v27, v5, v3
	v_lshlrev_b32_e32 v3, 24, v4
	v_cmp_gt_i64_e32 vcc, 0, v[2:3]
	v_not_b32_e32 v3, v3
	v_ashrrev_i32_e32 v3, 31, v3
	v_xor_b32_e32 v4, vcc_hi, v3
	v_xor_b32_e32 v3, vcc_lo, v3
	; wave barrier
	ds_read_b32 v36, v6 offset:64
	v_and_b32_e32 v5, v24, v4
	v_and_b32_e32 v4, v27, v3
	v_mbcnt_lo_u32_b32 v3, v4, 0
	v_mbcnt_hi_u32_b32 v37, v5, v3
	v_cmp_eq_u32_e32 vcc, 0, v37
	v_cmp_ne_u64_e64 s[18:19], 0, v[4:5]
	s_and_b64 s[22:23], s[18:19], vcc
	; wave barrier
	s_and_saveexec_b64 s[18:19], s[22:23]
	s_cbranch_execz .LBB1874_27
; %bb.26:
	v_bcnt_u32_b32 v3, v4, 0
	v_bcnt_u32_b32 v3, v5, v3
	s_waitcnt lgkmcnt(0)
	v_add_u32_e32 v3, v36, v3
	ds_write_b32 v6, v3 offset:64
.LBB1874_27:
	s_or_b64 exec, exec, s[18:19]
	v_cmp_lt_i32_e32 vcc, -1, v7
	v_cndmask_b32_e32 v3, -1, v13, vcc
	v_xor_b32_e32 v24, v3, v7
	v_cmp_ne_u32_e32 vcc, s20, v24
	v_cndmask_b32_e32 v3, v13, v24, vcc
	v_lshrrev_b32_e32 v3, s44, v3
	v_and_b32_e32 v4, s50, v3
	v_lshl_add_u32 v3, v4, 4, v4
	v_add_lshl_u32 v7, v3, v42, 2
	v_and_b32_e32 v3, 1, v4
	v_add_co_u32_e32 v5, vcc, -1, v3
	v_addc_co_u32_e64 v13, s[18:19], 0, -1, vcc
	v_cmp_ne_u32_e32 vcc, 0, v3
	v_xor_b32_e32 v3, vcc_hi, v13
	v_and_b32_e32 v13, exec_hi, v3
	v_lshlrev_b32_e32 v3, 30, v4
	v_xor_b32_e32 v5, vcc_lo, v5
	v_cmp_gt_i64_e32 vcc, 0, v[2:3]
	v_not_b32_e32 v3, v3
	v_ashrrev_i32_e32 v3, 31, v3
	v_and_b32_e32 v5, exec_lo, v5
	v_xor_b32_e32 v27, vcc_hi, v3
	v_xor_b32_e32 v3, vcc_lo, v3
	v_and_b32_e32 v5, v5, v3
	v_lshlrev_b32_e32 v3, 29, v4
	v_cmp_gt_i64_e32 vcc, 0, v[2:3]
	v_not_b32_e32 v3, v3
	v_ashrrev_i32_e32 v3, 31, v3
	v_and_b32_e32 v13, v13, v27
	v_xor_b32_e32 v27, vcc_hi, v3
	v_xor_b32_e32 v3, vcc_lo, v3
	v_and_b32_e32 v5, v5, v3
	v_lshlrev_b32_e32 v3, 28, v4
	v_cmp_gt_i64_e32 vcc, 0, v[2:3]
	v_not_b32_e32 v3, v3
	v_ashrrev_i32_e32 v3, 31, v3
	v_and_b32_e32 v13, v13, v27
	;; [unrolled: 8-line block ×5, first 2 shown]
	v_xor_b32_e32 v27, vcc_hi, v3
	v_xor_b32_e32 v3, vcc_lo, v3
	v_and_b32_e32 v5, v5, v3
	v_lshlrev_b32_e32 v3, 24, v4
	v_cmp_gt_i64_e32 vcc, 0, v[2:3]
	v_not_b32_e32 v2, v3
	v_ashrrev_i32_e32 v2, 31, v2
	v_xor_b32_e32 v3, vcc_hi, v2
	v_xor_b32_e32 v2, vcc_lo, v2
	; wave barrier
	ds_read_b32 v38, v7 offset:64
	v_and_b32_e32 v13, v13, v27
	v_and_b32_e32 v2, v5, v2
	;; [unrolled: 1-line block ×3, first 2 shown]
	v_mbcnt_lo_u32_b32 v4, v2, 0
	v_mbcnt_hi_u32_b32 v39, v3, v4
	v_cmp_eq_u32_e32 vcc, 0, v39
	v_cmp_ne_u64_e64 s[18:19], 0, v[2:3]
	s_and_b64 s[20:21], s[18:19], vcc
	; wave barrier
	s_and_saveexec_b64 s[18:19], s[20:21]
	s_cbranch_execz .LBB1874_29
; %bb.28:
	v_bcnt_u32_b32 v2, v2, 0
	v_bcnt_u32_b32 v2, v3, v2
	s_waitcnt lgkmcnt(0)
	v_add_u32_e32 v2, v38, v2
	ds_write_b32 v7, v2 offset:64
.LBB1874_29:
	s_or_b64 exec, exec, s[18:19]
	v_bfrev_b32_e32 v43, 1
	v_cmp_lt_i32_e32 vcc, -1, v8
	v_cndmask_b32_e32 v2, -1, v43, vcc
	v_xor_b32_e32 v27, v2, v8
	s_brev_b32 s20, -2
	v_cmp_ne_u32_e32 vcc, s20, v27
	v_cndmask_b32_e32 v2, v43, v27, vcc
	v_lshrrev_b32_e32 v2, s44, v2
	v_and_b32_e32 v4, s50, v2
	v_and_b32_e32 v3, 1, v4
	v_add_co_u32_e32 v5, vcc, -1, v3
	v_addc_co_u32_e64 v13, s[18:19], 0, -1, vcc
	v_cmp_ne_u32_e32 vcc, 0, v3
	v_lshl_add_u32 v2, v4, 4, v4
	v_xor_b32_e32 v3, vcc_hi, v13
	v_add_lshl_u32 v8, v2, v42, 2
	v_mov_b32_e32 v2, 0
	v_and_b32_e32 v13, exec_hi, v3
	v_lshlrev_b32_e32 v3, 30, v4
	v_xor_b32_e32 v5, vcc_lo, v5
	v_cmp_gt_i64_e32 vcc, 0, v[2:3]
	v_not_b32_e32 v3, v3
	v_ashrrev_i32_e32 v3, 31, v3
	v_and_b32_e32 v5, exec_lo, v5
	v_xor_b32_e32 v29, vcc_hi, v3
	v_xor_b32_e32 v3, vcc_lo, v3
	v_and_b32_e32 v5, v5, v3
	v_lshlrev_b32_e32 v3, 29, v4
	v_cmp_gt_i64_e32 vcc, 0, v[2:3]
	v_not_b32_e32 v3, v3
	v_ashrrev_i32_e32 v3, 31, v3
	v_and_b32_e32 v13, v13, v29
	v_xor_b32_e32 v29, vcc_hi, v3
	v_xor_b32_e32 v3, vcc_lo, v3
	v_and_b32_e32 v5, v5, v3
	v_lshlrev_b32_e32 v3, 28, v4
	v_cmp_gt_i64_e32 vcc, 0, v[2:3]
	v_not_b32_e32 v3, v3
	v_ashrrev_i32_e32 v3, 31, v3
	v_and_b32_e32 v13, v13, v29
	;; [unrolled: 8-line block ×5, first 2 shown]
	v_xor_b32_e32 v29, vcc_hi, v3
	v_xor_b32_e32 v3, vcc_lo, v3
	v_and_b32_e32 v13, v13, v29
	v_and_b32_e32 v29, v5, v3
	v_lshlrev_b32_e32 v3, 24, v4
	v_cmp_gt_i64_e32 vcc, 0, v[2:3]
	v_not_b32_e32 v3, v3
	v_ashrrev_i32_e32 v3, 31, v3
	v_xor_b32_e32 v4, vcc_hi, v3
	v_xor_b32_e32 v3, vcc_lo, v3
	; wave barrier
	ds_read_b32 v40, v8 offset:64
	v_and_b32_e32 v5, v13, v4
	v_and_b32_e32 v4, v29, v3
	v_mbcnt_lo_u32_b32 v3, v4, 0
	v_mbcnt_hi_u32_b32 v41, v5, v3
	v_cmp_eq_u32_e32 vcc, 0, v41
	v_cmp_ne_u64_e64 s[18:19], 0, v[4:5]
	s_and_b64 s[22:23], s[18:19], vcc
	; wave barrier
	s_and_saveexec_b64 s[18:19], s[22:23]
	s_cbranch_execz .LBB1874_31
; %bb.30:
	v_bcnt_u32_b32 v3, v4, 0
	v_bcnt_u32_b32 v3, v5, v3
	s_waitcnt lgkmcnt(0)
	v_add_u32_e32 v3, v40, v3
	ds_write_b32 v8, v3 offset:64
.LBB1874_31:
	s_or_b64 exec, exec, s[18:19]
	v_cmp_lt_i32_e32 vcc, -1, v9
	v_cndmask_b32_e32 v3, -1, v43, vcc
	v_xor_b32_e32 v29, v3, v9
	v_cmp_ne_u32_e32 vcc, s20, v29
	v_cndmask_b32_e32 v3, v43, v29, vcc
	v_lshrrev_b32_e32 v3, s44, v3
	v_and_b32_e32 v4, s50, v3
	v_lshl_add_u32 v3, v4, 4, v4
	v_add_lshl_u32 v9, v3, v42, 2
	v_and_b32_e32 v3, 1, v4
	v_add_co_u32_e32 v5, vcc, -1, v3
	v_addc_co_u32_e64 v43, s[18:19], 0, -1, vcc
	v_cmp_ne_u32_e32 vcc, 0, v3
	v_xor_b32_e32 v3, vcc_hi, v43
	v_and_b32_e32 v43, exec_hi, v3
	v_lshlrev_b32_e32 v3, 30, v4
	v_xor_b32_e32 v5, vcc_lo, v5
	v_cmp_gt_i64_e32 vcc, 0, v[2:3]
	v_not_b32_e32 v3, v3
	v_ashrrev_i32_e32 v3, 31, v3
	v_and_b32_e32 v5, exec_lo, v5
	v_xor_b32_e32 v44, vcc_hi, v3
	v_xor_b32_e32 v3, vcc_lo, v3
	v_and_b32_e32 v5, v5, v3
	v_lshlrev_b32_e32 v3, 29, v4
	v_cmp_gt_i64_e32 vcc, 0, v[2:3]
	v_not_b32_e32 v3, v3
	v_ashrrev_i32_e32 v3, 31, v3
	v_and_b32_e32 v43, v43, v44
	v_xor_b32_e32 v44, vcc_hi, v3
	v_xor_b32_e32 v3, vcc_lo, v3
	v_and_b32_e32 v5, v5, v3
	v_lshlrev_b32_e32 v3, 28, v4
	v_cmp_gt_i64_e32 vcc, 0, v[2:3]
	v_not_b32_e32 v3, v3
	v_ashrrev_i32_e32 v3, 31, v3
	v_and_b32_e32 v43, v43, v44
	v_xor_b32_e32 v44, vcc_hi, v3
	v_xor_b32_e32 v3, vcc_lo, v3
	v_and_b32_e32 v5, v5, v3
	v_lshlrev_b32_e32 v3, 27, v4
	v_cmp_gt_i64_e32 vcc, 0, v[2:3]
	v_not_b32_e32 v3, v3
	v_ashrrev_i32_e32 v3, 31, v3
	v_and_b32_e32 v43, v43, v44
	v_xor_b32_e32 v44, vcc_hi, v3
	v_xor_b32_e32 v3, vcc_lo, v3
	v_and_b32_e32 v5, v5, v3
	v_lshlrev_b32_e32 v3, 26, v4
	v_cmp_gt_i64_e32 vcc, 0, v[2:3]
	v_not_b32_e32 v3, v3
	v_ashrrev_i32_e32 v3, 31, v3
	v_and_b32_e32 v43, v43, v44
	v_xor_b32_e32 v44, vcc_hi, v3
	v_xor_b32_e32 v3, vcc_lo, v3
	v_and_b32_e32 v5, v5, v3
	v_lshlrev_b32_e32 v3, 25, v4
	v_cmp_gt_i64_e32 vcc, 0, v[2:3]
	v_not_b32_e32 v3, v3
	v_ashrrev_i32_e32 v3, 31, v3
	v_and_b32_e32 v43, v43, v44
	v_xor_b32_e32 v44, vcc_hi, v3
	v_xor_b32_e32 v3, vcc_lo, v3
	v_and_b32_e32 v5, v5, v3
	v_lshlrev_b32_e32 v3, 24, v4
	v_cmp_gt_i64_e32 vcc, 0, v[2:3]
	v_not_b32_e32 v2, v3
	v_ashrrev_i32_e32 v2, 31, v2
	v_xor_b32_e32 v3, vcc_hi, v2
	v_xor_b32_e32 v2, vcc_lo, v2
	; wave barrier
	ds_read_b32 v42, v9 offset:64
	v_and_b32_e32 v43, v43, v44
	v_and_b32_e32 v2, v5, v2
	;; [unrolled: 1-line block ×3, first 2 shown]
	v_mbcnt_lo_u32_b32 v4, v2, 0
	v_mbcnt_hi_u32_b32 v45, v3, v4
	v_cmp_eq_u32_e32 vcc, 0, v45
	v_cmp_ne_u64_e64 s[18:19], 0, v[2:3]
	v_add_u32_e32 v13, 64, v23
	s_and_b64 s[20:21], s[18:19], vcc
	; wave barrier
	s_and_saveexec_b64 s[18:19], s[20:21]
	s_cbranch_execz .LBB1874_33
; %bb.32:
	v_bcnt_u32_b32 v2, v2, 0
	v_bcnt_u32_b32 v2, v3, v2
	s_waitcnt lgkmcnt(0)
	v_add_u32_e32 v2, v42, v2
	ds_write_b32 v9, v2 offset:64
.LBB1874_33:
	s_or_b64 exec, exec, s[18:19]
	; wave barrier
	s_waitcnt lgkmcnt(0)
	s_barrier
	ds_read2_b32 v[4:5], v23 offset0:16 offset1:17
	ds_read2_b32 v[2:3], v13 offset0:2 offset1:3
	ds_read_b32 v43, v13 offset:16
	v_cmp_lt_u32_e64 s[26:27], 31, v19
	s_waitcnt lgkmcnt(1)
	v_add3_u32 v44, v5, v4, v2
	s_waitcnt lgkmcnt(0)
	v_add3_u32 v43, v44, v3, v43
	v_and_b32_e32 v44, 15, v19
	v_cmp_eq_u32_e32 vcc, 0, v44
	v_mov_b32_dpp v46, v43 row_shr:1 row_mask:0xf bank_mask:0xf
	v_cndmask_b32_e64 v46, v46, 0, vcc
	v_add_u32_e32 v43, v46, v43
	v_cmp_lt_u32_e64 s[18:19], 1, v44
	v_cmp_lt_u32_e64 s[20:21], 3, v44
	v_mov_b32_dpp v46, v43 row_shr:2 row_mask:0xf bank_mask:0xf
	v_cndmask_b32_e64 v46, 0, v46, s[18:19]
	v_add_u32_e32 v43, v43, v46
	v_cmp_lt_u32_e64 s[22:23], 7, v44
	s_nop 0
	v_mov_b32_dpp v46, v43 row_shr:4 row_mask:0xf bank_mask:0xf
	v_cndmask_b32_e64 v46, 0, v46, s[20:21]
	v_add_u32_e32 v43, v43, v46
	s_nop 1
	v_mov_b32_dpp v46, v43 row_shr:8 row_mask:0xf bank_mask:0xf
	v_cndmask_b32_e64 v44, 0, v46, s[22:23]
	v_add_u32_e32 v43, v43, v44
	v_bfe_i32 v46, v19, 4, 1
	s_nop 0
	v_mov_b32_dpp v44, v43 row_bcast:15 row_mask:0xf bank_mask:0xf
	v_and_b32_e32 v44, v46, v44
	v_add_u32_e32 v43, v43, v44
	v_and_b32_e32 v46, 63, v10
	s_nop 0
	v_mov_b32_dpp v44, v43 row_bcast:31 row_mask:0xf bank_mask:0xf
	v_cndmask_b32_e64 v44, 0, v44, s[26:27]
	v_add_u32_e32 v43, v43, v44
	v_lshrrev_b32_e32 v44, 6, v10
	v_cmp_eq_u32_e64 s[26:27], 63, v46
	s_and_saveexec_b64 s[48:49], s[26:27]
	s_cbranch_execz .LBB1874_35
; %bb.34:
	v_lshlrev_b32_e32 v46, 2, v44
	ds_write_b32 v46, v43
.LBB1874_35:
	s_or_b64 exec, exec, s[48:49]
	v_cmp_gt_u32_e64 s[26:27], 16, v10
	v_lshlrev_b32_e32 v54, 2, v10
	s_waitcnt lgkmcnt(0)
	s_barrier
	s_and_saveexec_b64 s[48:49], s[26:27]
	s_cbranch_execz .LBB1874_37
; %bb.36:
	ds_read_b32 v46, v54
	s_waitcnt lgkmcnt(0)
	s_nop 0
	v_mov_b32_dpp v47, v46 row_shr:1 row_mask:0xf bank_mask:0xf
	v_cndmask_b32_e64 v47, v47, 0, vcc
	v_add_u32_e32 v46, v47, v46
	s_nop 1
	v_mov_b32_dpp v47, v46 row_shr:2 row_mask:0xf bank_mask:0xf
	v_cndmask_b32_e64 v47, 0, v47, s[18:19]
	v_add_u32_e32 v46, v46, v47
	s_nop 1
	v_mov_b32_dpp v47, v46 row_shr:4 row_mask:0xf bank_mask:0xf
	v_cndmask_b32_e64 v47, 0, v47, s[20:21]
	;; [unrolled: 4-line block ×3, first 2 shown]
	v_add_u32_e32 v46, v46, v47
	ds_write_b32 v54, v46
.LBB1874_37:
	s_or_b64 exec, exec, s[48:49]
	v_cmp_lt_u32_e32 vcc, 63, v10
	v_mov_b32_e32 v46, 0
	s_waitcnt lgkmcnt(0)
	s_barrier
	s_and_saveexec_b64 s[18:19], vcc
	s_cbranch_execz .LBB1874_39
; %bb.38:
	v_lshl_add_u32 v44, v44, 2, -4
	ds_read_b32 v46, v44
.LBB1874_39:
	s_or_b64 exec, exec, s[18:19]
	v_add_u32_e32 v44, -1, v19
	v_and_b32_e32 v47, 64, v19
	v_cmp_lt_i32_e32 vcc, v44, v47
	v_cndmask_b32_e32 v44, v44, v19, vcc
	s_waitcnt lgkmcnt(0)
	v_add_u32_e32 v43, v46, v43
	v_lshlrev_b32_e32 v44, 2, v44
	ds_bpermute_b32 v43, v44, v43
	v_cmp_eq_u32_e32 vcc, 0, v19
	s_movk_i32 s18, 0x100
	v_cmp_gt_u32_e64 s[18:19], s18, v10
                                        ; implicit-def: $vgpr44
	s_waitcnt lgkmcnt(0)
	v_cndmask_b32_e32 v19, v43, v46, vcc
	v_cmp_ne_u32_e32 vcc, 0, v10
	v_cndmask_b32_e32 v19, 0, v19, vcc
	v_add_u32_e32 v4, v19, v4
	v_add_u32_e32 v5, v4, v5
	;; [unrolled: 1-line block ×4, first 2 shown]
	ds_write2_b32 v23, v19, v4 offset0:16 offset1:17
	ds_write2_b32 v13, v5, v2 offset0:2 offset1:3
	ds_write_b32 v13, v3 offset:16
	s_waitcnt lgkmcnt(0)
	s_barrier
	ds_read_b32 v13, v25 offset:64
	ds_read_b32 v46, v26 offset:64
	;; [unrolled: 1-line block ×8, first 2 shown]
                                        ; implicit-def: $vgpr43
	s_and_saveexec_b64 s[20:21], s[18:19]
	s_cbranch_execz .LBB1874_43
; %bb.40:
	v_mul_u32_u24_e32 v2, 17, v10
	v_lshlrev_b32_e32 v3, 2, v2
	ds_read_b32 v43, v3 offset:64
	s_movk_i32 s22, 0xff
	v_cmp_ne_u32_e32 vcc, s22, v10
	v_mov_b32_e32 v2, 0x2000
	s_and_saveexec_b64 s[22:23], vcc
	s_cbranch_execz .LBB1874_42
; %bb.41:
	ds_read_b32 v2, v3 offset:132
.LBB1874_42:
	s_or_b64 exec, exec, s[22:23]
	s_waitcnt lgkmcnt(0)
	v_sub_u32_e32 v44, v2, v43
.LBB1874_43:
	s_or_b64 exec, exec, s[20:21]
	s_waitcnt lgkmcnt(0)
	s_barrier
	s_and_saveexec_b64 s[20:21], s[18:19]
	s_cbranch_execz .LBB1874_53
; %bb.44:
	v_lshl_or_b32 v2, s6, 8, v10
	v_mov_b32_e32 v3, 0
	v_lshlrev_b64 v[4:5], 2, v[2:3]
	v_mov_b32_e32 v8, s35
	v_add_co_u32_e32 v4, vcc, s34, v4
	v_addc_co_u32_e32 v5, vcc, v8, v5, vcc
	v_or_b32_e32 v2, 2.0, v44
	s_mov_b64 s[22:23], 0
	s_brev_b32 s51, 1
	s_mov_b32 s52, s6
	v_mov_b32_e32 v9, 0
	global_store_dword v[4:5], v2, off
                                        ; implicit-def: $sgpr26_sgpr27
	s_branch .LBB1874_46
.LBB1874_45:                            ;   in Loop: Header=BB1874_46 Depth=1
	s_or_b64 exec, exec, s[26:27]
	v_and_b32_e32 v6, 0x3fffffff, v12
	v_add_u32_e32 v9, v6, v9
	v_cmp_eq_u32_e64 s[26:27], s51, v2
	s_and_b64 s[48:49], exec, s[26:27]
	s_or_b64 s[22:23], s[48:49], s[22:23]
	s_andn2_b64 exec, exec, s[22:23]
	s_cbranch_execz .LBB1874_52
.LBB1874_46:                            ; =>This Loop Header: Depth=1
                                        ;     Child Loop BB1874_49 Depth 2
	s_or_b64 s[26:27], s[26:27], exec
	s_cmp_eq_u32 s52, 0
	s_cbranch_scc1 .LBB1874_51
; %bb.47:                               ;   in Loop: Header=BB1874_46 Depth=1
	s_add_i32 s52, s52, -1
	v_lshl_or_b32 v2, s52, 8, v10
	v_lshlrev_b64 v[6:7], 2, v[2:3]
	v_add_co_u32_e32 v6, vcc, s34, v6
	v_addc_co_u32_e32 v7, vcc, v8, v7, vcc
	global_load_dword v12, v[6:7], off glc
	s_waitcnt vmcnt(0)
	v_and_b32_e32 v2, -2.0, v12
	v_cmp_eq_u32_e32 vcc, 0, v2
	s_and_saveexec_b64 s[26:27], vcc
	s_cbranch_execz .LBB1874_45
; %bb.48:                               ;   in Loop: Header=BB1874_46 Depth=1
	s_mov_b64 s[48:49], 0
.LBB1874_49:                            ;   Parent Loop BB1874_46 Depth=1
                                        ; =>  This Inner Loop Header: Depth=2
	global_load_dword v12, v[6:7], off glc
	s_waitcnt vmcnt(0)
	v_and_b32_e32 v2, -2.0, v12
	v_cmp_ne_u32_e32 vcc, 0, v2
	s_or_b64 s[48:49], vcc, s[48:49]
	s_andn2_b64 exec, exec, s[48:49]
	s_cbranch_execnz .LBB1874_49
; %bb.50:                               ;   in Loop: Header=BB1874_46 Depth=1
	s_or_b64 exec, exec, s[48:49]
	s_branch .LBB1874_45
.LBB1874_51:                            ;   in Loop: Header=BB1874_46 Depth=1
                                        ; implicit-def: $sgpr52
	s_and_b64 s[48:49], exec, s[26:27]
	s_or_b64 s[22:23], s[48:49], s[22:23]
	s_andn2_b64 exec, exec, s[22:23]
	s_cbranch_execnz .LBB1874_46
.LBB1874_52:
	s_or_b64 exec, exec, s[22:23]
	v_add_u32_e32 v2, v9, v44
	v_or_b32_e32 v2, 0x80000000, v2
	global_store_dword v[4:5], v2, off
	global_load_dword v2, v54, s[28:29]
	v_sub_u32_e32 v3, v9, v43
	s_waitcnt vmcnt(0)
	v_add_u32_e32 v2, v3, v2
	ds_write_b32 v54, v2
.LBB1874_53:
	s_or_b64 exec, exec, s[20:21]
	v_add_u32_e32 v53, v13, v22
	v_add3_u32 v19, v31, v30, v46
	v_add3_u32 v22, v33, v32, v47
	;; [unrolled: 1-line block ×7, first 2 shown]
	s_movk_i32 s26, 0x400
	v_add_u32_e32 v56, 0x400, v54
	s_mov_b32 s52, 0
	s_mov_b64 s[20:21], -1
	s_brev_b32 s27, -2
	v_mov_b32_e32 v13, 0
	s_movk_i32 s48, 0x800
	s_movk_i32 s49, 0xc00
	v_bfrev_b32_e32 v57, 1
	v_mov_b32_e32 v58, v53
	s_mov_b32 s51, 0
                                        ; implicit-def: $vgpr2_vgpr3_vgpr4_vgpr5_vgpr6_vgpr7_vgpr8_vgpr9
	s_branch .LBB1874_55
.LBB1874_54:                            ;   in Loop: Header=BB1874_55 Depth=1
	s_or_b64 exec, exec, s[22:23]
	s_xor_b64 s[22:23], s[20:21], -1
	s_addk_i32 s51, 0x1000
	v_add_u32_e32 v55, 0xfffff000, v55
	v_add_u32_e32 v28, 0xfffff000, v28
	v_add_u32_e32 v26, 0xfffff000, v26
	v_add_u32_e32 v25, 0xfffff000, v25
	v_add_u32_e32 v23, 0xfffff000, v23
	v_add_u32_e32 v22, 0xfffff000, v22
	v_add_u32_e32 v19, 0xfffff000, v19
	v_add_u32_e32 v58, 0xfffff000, v58
	s_mov_b32 s52, 4
	s_mov_b64 s[20:21], 0
	s_and_b64 vcc, exec, s[22:23]
	s_barrier
	s_cbranch_vccnz .LBB1874_64
.LBB1874_55:                            ; =>This Inner Loop Header: Depth=1
	v_min_u32_e32 v12, 0x1000, v58
	v_lshlrev_b32_e32 v12, 2, v12
	ds_write_b32 v12, v18 offset:1024
	v_min_u32_e32 v12, 0x1000, v19
	v_lshlrev_b32_e32 v12, 2, v12
	ds_write_b32 v12, v14 offset:1024
	;; [unrolled: 3-line block ×7, first 2 shown]
	v_min_u32_e32 v12, 0x1000, v55
	v_add_u32_e32 v59, s51, v10
	v_lshlrev_b32_e32 v12, 2, v12
	v_cmp_gt_u32_e32 vcc, s7, v59
	ds_write_b32 v12, v29 offset:1024
	s_waitcnt lgkmcnt(0)
	s_barrier
	s_and_saveexec_b64 s[22:23], vcc
	s_cbranch_execz .LBB1874_57
; %bb.56:                               ;   in Loop: Header=BB1874_55 Depth=1
	ds_read_b32 v12, v54 offset:1024
	v_mov_b32_e32 v63, s39
	s_cmp_eq_u32 s52, 7
	s_waitcnt lgkmcnt(0)
	v_cmp_ne_u32_e32 vcc, s27, v12
	v_cndmask_b32_e32 v60, v57, v12, vcc
	v_lshrrev_b32_e32 v60, s44, v60
	v_and_b32_e32 v62, s50, v60
	v_lshlrev_b32_e32 v60, 2, v62
	ds_read_b32 v60, v60
	v_cmp_lt_i32_e32 vcc, -1, v12
	v_cndmask_b32_e64 v61, v57, -1, vcc
	v_xor_b32_e32 v64, v61, v12
	s_waitcnt lgkmcnt(0)
	v_add_u32_e32 v12, v59, v60
	v_lshlrev_b64 v[60:61], 2, v[12:13]
	v_add_co_u32_e32 v60, vcc, s38, v60
	v_addc_co_u32_e32 v61, vcc, v63, v61, vcc
	s_cselect_b64 vcc, -1, 0
	s_cmp_eq_u32 s52, 6
	v_cndmask_b32_e32 v9, v9, v62, vcc
	s_cselect_b64 vcc, -1, 0
	s_cmp_eq_u32 s52, 5
	v_cndmask_b32_e32 v8, v8, v62, vcc
	;; [unrolled: 3-line block ×7, first 2 shown]
	s_cselect_b64 vcc, -1, 0
	v_cndmask_b32_e32 v2, v2, v62, vcc
	global_store_dword v[60:61], v64, off
.LBB1874_57:                            ;   in Loop: Header=BB1874_55 Depth=1
	s_or_b64 exec, exec, s[22:23]
	v_add_u32_e32 v12, 0x400, v59
	v_cmp_gt_u32_e32 vcc, s7, v12
	s_and_saveexec_b64 s[22:23], vcc
	s_cbranch_execz .LBB1874_59
; %bb.58:                               ;   in Loop: Header=BB1874_55 Depth=1
	ds_read_b32 v12, v56 offset:4096
	v_mov_b32_e32 v63, s39
	s_or_b32 s53, s52, 1
	s_cmp_eq_u32 s53, 7
	s_waitcnt lgkmcnt(0)
	v_cmp_ne_u32_e32 vcc, s27, v12
	v_cndmask_b32_e32 v60, v57, v12, vcc
	v_lshrrev_b32_e32 v60, s44, v60
	v_and_b32_e32 v62, s50, v60
	v_lshlrev_b32_e32 v60, 2, v62
	ds_read_b32 v60, v60
	v_cmp_lt_i32_e32 vcc, -1, v12
	v_cndmask_b32_e64 v61, v57, -1, vcc
	v_xor_b32_e32 v64, v61, v12
	s_waitcnt lgkmcnt(0)
	v_add3_u32 v12, v59, v60, s26
	v_lshlrev_b64 v[60:61], 2, v[12:13]
	v_add_co_u32_e32 v60, vcc, s38, v60
	v_addc_co_u32_e32 v61, vcc, v63, v61, vcc
	s_cselect_b64 vcc, -1, 0
	s_cmp_eq_u32 s53, 6
	v_cndmask_b32_e32 v9, v9, v62, vcc
	s_cselect_b64 vcc, -1, 0
	s_cmp_eq_u32 s53, 5
	v_cndmask_b32_e32 v8, v8, v62, vcc
	s_cselect_b64 vcc, -1, 0
	s_cmp_eq_u32 s53, 4
	v_cndmask_b32_e32 v7, v7, v62, vcc
	s_cselect_b64 vcc, -1, 0
	s_cmp_eq_u32 s53, 3
	v_cndmask_b32_e32 v6, v6, v62, vcc
	s_cselect_b64 vcc, -1, 0
	s_cmp_eq_u32 s53, 2
	v_cndmask_b32_e32 v5, v5, v62, vcc
	s_cselect_b64 vcc, -1, 0
	s_cmp_eq_u32 s53, 1
	v_cndmask_b32_e32 v4, v4, v62, vcc
	s_cselect_b64 vcc, -1, 0
	s_cmp_eq_u32 s53, 0
	v_cndmask_b32_e32 v3, v3, v62, vcc
	s_cselect_b64 vcc, -1, 0
	v_cndmask_b32_e32 v2, v2, v62, vcc
	global_store_dword v[60:61], v64, off
.LBB1874_59:                            ;   in Loop: Header=BB1874_55 Depth=1
	s_or_b64 exec, exec, s[22:23]
	v_add_u32_e32 v12, 0x800, v59
	v_cmp_gt_u32_e32 vcc, s7, v12
	s_and_saveexec_b64 s[22:23], vcc
	s_cbranch_execz .LBB1874_61
; %bb.60:                               ;   in Loop: Header=BB1874_55 Depth=1
	ds_read_b32 v12, v56 offset:8192
	v_mov_b32_e32 v63, s39
	s_or_b32 s53, s52, 2
	s_cmp_eq_u32 s53, 7
	s_waitcnt lgkmcnt(0)
	v_cmp_ne_u32_e32 vcc, s27, v12
	v_cndmask_b32_e32 v60, v57, v12, vcc
	v_lshrrev_b32_e32 v60, s44, v60
	v_and_b32_e32 v62, s50, v60
	v_lshlrev_b32_e32 v60, 2, v62
	ds_read_b32 v60, v60
	v_cmp_lt_i32_e32 vcc, -1, v12
	v_cndmask_b32_e64 v61, v57, -1, vcc
	v_xor_b32_e32 v64, v61, v12
	s_waitcnt lgkmcnt(0)
	v_add3_u32 v12, v59, v60, s48
	v_lshlrev_b64 v[60:61], 2, v[12:13]
	v_add_co_u32_e32 v60, vcc, s38, v60
	v_addc_co_u32_e32 v61, vcc, v63, v61, vcc
	s_cselect_b64 vcc, -1, 0
	s_cmp_eq_u32 s53, 6
	v_cndmask_b32_e32 v9, v9, v62, vcc
	s_cselect_b64 vcc, -1, 0
	s_cmp_eq_u32 s53, 5
	v_cndmask_b32_e32 v8, v8, v62, vcc
	;; [unrolled: 3-line block ×7, first 2 shown]
	s_cselect_b64 vcc, -1, 0
	v_cndmask_b32_e32 v2, v2, v62, vcc
	global_store_dword v[60:61], v64, off
.LBB1874_61:                            ;   in Loop: Header=BB1874_55 Depth=1
	s_or_b64 exec, exec, s[22:23]
	v_add_u32_e32 v12, 0xc00, v59
	v_cmp_gt_u32_e32 vcc, s7, v12
	s_and_saveexec_b64 s[22:23], vcc
	s_cbranch_execz .LBB1874_54
; %bb.62:                               ;   in Loop: Header=BB1874_55 Depth=1
	ds_read_b32 v12, v56 offset:12288
	v_mov_b32_e32 v63, s39
	s_or_b32 s52, s52, 3
	s_cmp_eq_u32 s52, 7
	s_waitcnt lgkmcnt(0)
	v_cmp_ne_u32_e32 vcc, s27, v12
	v_cndmask_b32_e32 v60, v57, v12, vcc
	v_lshrrev_b32_e32 v60, s44, v60
	v_and_b32_e32 v62, s50, v60
	v_lshlrev_b32_e32 v60, 2, v62
	ds_read_b32 v60, v60
	v_cmp_lt_i32_e32 vcc, -1, v12
	v_cndmask_b32_e64 v61, v57, -1, vcc
	v_xor_b32_e32 v64, v61, v12
	s_waitcnt lgkmcnt(0)
	v_add3_u32 v12, v59, v60, s49
	v_lshlrev_b64 v[60:61], 2, v[12:13]
	v_add_co_u32_e32 v60, vcc, s38, v60
	v_addc_co_u32_e32 v61, vcc, v63, v61, vcc
	s_cselect_b64 vcc, -1, 0
	s_cmp_eq_u32 s52, 6
	v_cndmask_b32_e32 v9, v9, v62, vcc
	s_cselect_b64 vcc, -1, 0
	s_cmp_eq_u32 s52, 5
	v_cndmask_b32_e32 v8, v8, v62, vcc
	s_cselect_b64 vcc, -1, 0
	s_cmp_eq_u32 s52, 4
	v_cndmask_b32_e32 v7, v7, v62, vcc
	s_cselect_b64 vcc, -1, 0
	s_cmp_eq_u32 s52, 3
	v_cndmask_b32_e32 v6, v6, v62, vcc
	s_cselect_b64 vcc, -1, 0
	s_cmp_eq_u32 s52, 2
	v_cndmask_b32_e32 v5, v5, v62, vcc
	s_cselect_b64 vcc, -1, 0
	s_cmp_eq_u32 s52, 1
	v_cndmask_b32_e32 v4, v4, v62, vcc
	s_cselect_b64 vcc, -1, 0
	s_cmp_eq_u32 s52, 0
	v_cndmask_b32_e32 v3, v3, v62, vcc
	s_cselect_b64 vcc, -1, 0
	v_cndmask_b32_e32 v2, v2, v62, vcc
	global_store_dword v[60:61], v64, off
	s_branch .LBB1874_54
.LBB1874_63:
	s_mov_b64 s[10:11], 0
                                        ; implicit-def: $vgpr2
                                        ; implicit-def: $vgpr10
	s_cbranch_execnz .LBB1874_82
	s_branch .LBB1874_125
.LBB1874_64:
	s_lshl_b64 s[20:21], s[46:47], 3
	s_add_u32 s20, s40, s20
	s_addc_u32 s21, s41, s21
	v_lshlrev_b32_e32 v12, 3, v17
	v_mov_b32_e32 v13, s21
	v_add_co_u32_e32 v12, vcc, s20, v12
	v_addc_co_u32_e32 v13, vcc, 0, v13, vcc
	v_lshlrev_b32_e32 v14, 3, v16
	v_add_co_u32_e32 v28, vcc, v12, v14
	v_addc_co_u32_e32 v29, vcc, 0, v13, vcc
                                        ; implicit-def: $vgpr12_vgpr13
	s_and_saveexec_b64 s[20:21], s[0:1]
	s_cbranch_execnz .LBB1874_128
; %bb.65:
	s_or_b64 exec, exec, s[20:21]
                                        ; implicit-def: $vgpr14_vgpr15
	s_and_saveexec_b64 s[0:1], s[2:3]
	s_cbranch_execnz .LBB1874_129
.LBB1874_66:
	s_or_b64 exec, exec, s[0:1]
                                        ; implicit-def: $vgpr16_vgpr17
	s_and_saveexec_b64 s[0:1], s[24:25]
	s_cbranch_execnz .LBB1874_130
.LBB1874_67:
	s_or_b64 exec, exec, s[0:1]
                                        ; implicit-def: $vgpr18_vgpr19
	s_and_saveexec_b64 s[0:1], s[8:9]
	s_cbranch_execnz .LBB1874_131
.LBB1874_68:
	s_or_b64 exec, exec, s[0:1]
                                        ; implicit-def: $vgpr20_vgpr21
	s_and_saveexec_b64 s[0:1], s[10:11]
	s_cbranch_execnz .LBB1874_132
.LBB1874_69:
	s_or_b64 exec, exec, s[0:1]
                                        ; implicit-def: $vgpr22_vgpr23
	s_and_saveexec_b64 s[0:1], s[12:13]
	s_cbranch_execnz .LBB1874_133
.LBB1874_70:
	s_or_b64 exec, exec, s[0:1]
                                        ; implicit-def: $vgpr24_vgpr25
	s_and_saveexec_b64 s[0:1], s[14:15]
	s_cbranch_execnz .LBB1874_134
.LBB1874_71:
	s_or_b64 exec, exec, s[0:1]
                                        ; implicit-def: $vgpr26_vgpr27
	s_and_saveexec_b64 s[0:1], s[16:17]
	s_cbranch_execz .LBB1874_73
.LBB1874_72:
	global_load_dwordx2 v[26:27], v[28:29], off offset:3584
.LBB1874_73:
	s_or_b64 exec, exec, s[0:1]
	s_movk_i32 s2, 0x400
	v_add_u32_e32 v54, 0x400, v11
	v_add3_u32 v42, v45, v52, v42
	v_add3_u32 v40, v41, v51, v40
	;; [unrolled: 1-line block ×7, first 2 shown]
	s_mov_b32 s3, 0
	v_mov_b32_e32 v29, 0
	s_mov_b32 s8, 0
	v_mov_b32_e32 v31, v10
	s_waitcnt vmcnt(0)
	s_branch .LBB1874_75
.LBB1874_74:                            ;   in Loop: Header=BB1874_75 Depth=1
	s_or_b64 exec, exec, s[0:1]
	s_addk_i32 s8, 0xf800
	s_add_i32 s3, s3, 2
	s_cmpk_eq_i32 s8, 0xe000
	v_add_u32_e32 v31, 0x800, v31
	s_barrier
	s_cbranch_scc1 .LBB1874_79
.LBB1874_75:                            ; =>This Inner Loop Header: Depth=1
	v_add_u32_e32 v28, s8, v53
	v_min_u32_e32 v28, 0x800, v28
	v_lshlrev_b32_e32 v28, 3, v28
	ds_write_b64 v28, v[12:13] offset:1024
	v_add_u32_e32 v28, s8, v30
	v_min_u32_e32 v28, 0x800, v28
	v_lshlrev_b32_e32 v28, 3, v28
	ds_write_b64 v28, v[14:15] offset:1024
	;; [unrolled: 4-line block ×7, first 2 shown]
	v_add_u32_e32 v28, s8, v42
	v_min_u32_e32 v28, 0x800, v28
	v_lshlrev_b32_e32 v28, 3, v28
	v_cmp_gt_u32_e32 vcc, s7, v31
	ds_write_b64 v28, v[26:27] offset:1024
	s_waitcnt lgkmcnt(0)
	s_barrier
	s_and_saveexec_b64 s[0:1], vcc
	s_cbranch_execz .LBB1874_77
; %bb.76:                               ;   in Loop: Header=BB1874_75 Depth=1
	s_cmp_eq_u32 s3, 1
	s_cselect_b64 vcc, -1, 0
	s_cmp_eq_u32 s3, 2
	v_cndmask_b32_e32 v28, v2, v3, vcc
	s_cselect_b64 vcc, -1, 0
	s_cmp_eq_u32 s3, 3
	v_cndmask_b32_e32 v28, v28, v4, vcc
	;; [unrolled: 3-line block ×6, first 2 shown]
	s_cselect_b64 vcc, -1, 0
	v_cndmask_b32_e32 v28, v28, v9, vcc
	v_lshlrev_b32_e32 v28, 2, v28
	ds_read_b32 v28, v28
	ds_read_b64 v[46:47], v11 offset:1024
	s_waitcnt lgkmcnt(1)
	v_add_u32_e32 v28, v31, v28
	v_lshlrev_b64 v[48:49], 3, v[28:29]
	v_mov_b32_e32 v28, s43
	v_add_co_u32_e32 v48, vcc, s42, v48
	v_addc_co_u32_e32 v49, vcc, v28, v49, vcc
	s_waitcnt lgkmcnt(0)
	global_store_dwordx2 v[48:49], v[46:47], off
.LBB1874_77:                            ;   in Loop: Header=BB1874_75 Depth=1
	s_or_b64 exec, exec, s[0:1]
	v_add_u32_e32 v28, 0x400, v31
	v_cmp_gt_u32_e32 vcc, s7, v28
	s_and_saveexec_b64 s[0:1], vcc
	s_cbranch_execz .LBB1874_74
; %bb.78:                               ;   in Loop: Header=BB1874_75 Depth=1
	s_add_i32 s9, s3, 1
	s_cmp_eq_u32 s9, 1
	s_cselect_b64 vcc, -1, 0
	s_cmp_eq_u32 s9, 2
	v_cndmask_b32_e32 v28, v2, v3, vcc
	s_cselect_b64 vcc, -1, 0
	s_cmp_eq_u32 s9, 3
	v_cndmask_b32_e32 v28, v28, v4, vcc
	;; [unrolled: 3-line block ×6, first 2 shown]
	s_cselect_b64 vcc, -1, 0
	v_cndmask_b32_e32 v28, v28, v9, vcc
	v_lshlrev_b32_e32 v28, 2, v28
	ds_read_b32 v28, v28
	ds_read_b64 v[46:47], v54 offset:8192
	s_waitcnt lgkmcnt(1)
	v_add3_u32 v28, v31, v28, s2
	v_lshlrev_b64 v[48:49], 3, v[28:29]
	v_mov_b32_e32 v28, s43
	v_add_co_u32_e32 v48, vcc, s42, v48
	v_addc_co_u32_e32 v49, vcc, v28, v49, vcc
	s_waitcnt lgkmcnt(0)
	global_store_dwordx2 v[48:49], v[46:47], off
	s_branch .LBB1874_74
.LBB1874_79:
	s_add_i32 s33, s33, -1
	s_cmp_eq_u32 s33, s6
	s_cselect_b64 s[0:1], -1, 0
	s_and_b64 s[2:3], s[18:19], s[0:1]
	s_mov_b64 s[0:1], 0
	s_mov_b64 s[10:11], 0
                                        ; implicit-def: $vgpr2
	s_and_saveexec_b64 s[8:9], s[2:3]
	s_xor_b64 s[2:3], exec, s[8:9]
; %bb.80:
	s_mov_b64 s[10:11], exec
	v_add_u32_e32 v2, v43, v44
; %bb.81:
	s_or_b64 exec, exec, s[2:3]
	s_and_b64 vcc, exec, s[0:1]
	s_cbranch_vccz .LBB1874_125
.LBB1874_82:
	s_lshl_b32 s12, s6, 13
	s_mov_b32 s13, 0
	v_mbcnt_hi_u32_b32 v4, -1, v1
	s_lshl_b64 s[0:1], s[12:13], 2
	v_and_b32_e32 v7, 63, v4
	s_add_u32 s0, s36, s0
	v_lshlrev_b32_e32 v1, 2, v7
	v_and_b32_e32 v10, 0x3ff, v0
	v_add_co_u32_e32 v1, vcc, s0, v1
	s_load_dword s7, s[4:5], 0x58
	s_load_dword s0, s[4:5], 0x64
	s_addc_u32 s1, s37, s1
	v_lshlrev_b32_e32 v11, 3, v10
	v_and_b32_e32 v6, 0x1e00, v11
	v_mov_b32_e32 v3, s1
	v_addc_co_u32_e32 v3, vcc, 0, v3, vcc
	v_lshlrev_b32_e32 v5, 2, v6
	v_add_co_u32_e32 v18, vcc, v1, v5
	s_add_u32 s1, s4, 0x58
	v_addc_co_u32_e32 v19, vcc, 0, v3, vcc
	s_addc_u32 s2, s5, 0
	s_waitcnt lgkmcnt(0)
	s_lshr_b32 s3, s0, 16
	global_load_dword v1, v[18:19], off
	s_cmp_lt_u32 s6, s7
	s_cselect_b32 s0, 12, 18
	s_add_u32 s0, s1, s0
	v_mov_b32_e32 v2, 0
	s_addc_u32 s1, s2, 0
	global_load_ushort v3, v2, s[0:1]
	v_mul_u32_u24_e32 v5, 5, v10
	v_lshlrev_b32_e32 v5, 2, v5
	ds_write2_b32 v5, v2, v2 offset0:16 offset1:17
	ds_write2_b32 v5, v2, v2 offset0:18 offset1:19
	ds_write_b32 v5, v2 offset:80
	global_load_dword v9, v[18:19], off offset:256
	global_load_dword v12, v[18:19], off offset:512
	;; [unrolled: 1-line block ×7, first 2 shown]
	v_bfrev_b32_e32 v16, 1
	v_bfe_u32 v8, v0, 10, 10
	v_bfe_u32 v0, v0, 20, 10
	v_mad_u32_u24 v0, v0, s3, v8
	s_brev_b32 s2, -2
	s_lshl_b32 s0, -1, s45
	s_not_b32 s16, s0
	s_waitcnt lgkmcnt(0)
	s_barrier
	s_waitcnt lgkmcnt(0)
	; wave barrier
	s_waitcnt vmcnt(8)
	v_cmp_lt_i32_e32 vcc, -1, v1
	v_cndmask_b32_e32 v8, -1, v16, vcc
	v_xor_b32_e32 v8, v8, v1
	v_cmp_ne_u32_e32 vcc, s2, v8
	v_cndmask_b32_e32 v15, v16, v8, vcc
	s_waitcnt vmcnt(7)
	v_mad_u64_u32 v[0:1], s[0:1], v0, v3, v[10:11]
	v_lshrrev_b32_e32 v1, s44, v15
	v_lshrrev_b32_e32 v26, 6, v0
	v_and_b32_e32 v0, s16, v1
	v_lshl_add_u32 v1, v0, 4, v0
	v_and_b32_e32 v15, 1, v0
	v_add_lshl_u32 v18, v26, v1, 2
	v_add_co_u32_e32 v1, vcc, -1, v15
	v_lshlrev_b32_e32 v3, 30, v0
	v_addc_co_u32_e64 v19, s[0:1], 0, -1, vcc
	v_cmp_ne_u32_e32 vcc, 0, v15
	v_cmp_gt_i64_e64 s[0:1], 0, v[2:3]
	v_not_b32_e32 v15, v3
	v_lshlrev_b32_e32 v3, 29, v0
	v_xor_b32_e32 v19, vcc_hi, v19
	v_xor_b32_e32 v1, vcc_lo, v1
	v_ashrrev_i32_e32 v15, 31, v15
	v_cmp_gt_i64_e32 vcc, 0, v[2:3]
	v_not_b32_e32 v20, v3
	v_lshlrev_b32_e32 v3, 28, v0
	v_and_b32_e32 v19, exec_hi, v19
	v_and_b32_e32 v1, exec_lo, v1
	v_xor_b32_e32 v22, s1, v15
	v_xor_b32_e32 v15, s0, v15
	v_ashrrev_i32_e32 v20, 31, v20
	v_cmp_gt_i64_e64 s[0:1], 0, v[2:3]
	v_not_b32_e32 v3, v3
	v_and_b32_e32 v19, v19, v22
	v_and_b32_e32 v1, v1, v15
	v_xor_b32_e32 v15, vcc_hi, v20
	v_xor_b32_e32 v20, vcc_lo, v20
	v_ashrrev_i32_e32 v3, 31, v3
	v_and_b32_e32 v15, v19, v15
	v_and_b32_e32 v1, v1, v20
	v_xor_b32_e32 v19, s1, v3
	v_xor_b32_e32 v3, s0, v3
	v_and_b32_e32 v1, v1, v3
	v_lshlrev_b32_e32 v3, 27, v0
	v_cmp_gt_i64_e32 vcc, 0, v[2:3]
	v_not_b32_e32 v3, v3
	v_ashrrev_i32_e32 v3, 31, v3
	v_and_b32_e32 v15, v15, v19
	v_xor_b32_e32 v19, vcc_hi, v3
	v_xor_b32_e32 v3, vcc_lo, v3
	v_and_b32_e32 v1, v1, v3
	v_lshlrev_b32_e32 v3, 26, v0
	v_cmp_gt_i64_e32 vcc, 0, v[2:3]
	v_not_b32_e32 v3, v3
	v_ashrrev_i32_e32 v3, 31, v3
	v_and_b32_e32 v15, v15, v19
	v_xor_b32_e32 v19, vcc_hi, v3
	v_xor_b32_e32 v3, vcc_lo, v3
	;; [unrolled: 8-line block ×3, first 2 shown]
	v_and_b32_e32 v15, v15, v19
	v_and_b32_e32 v19, v1, v3
	v_lshlrev_b32_e32 v3, 24, v0
	v_not_b32_e32 v0, v3
	v_cmp_gt_i64_e32 vcc, 0, v[2:3]
	v_ashrrev_i32_e32 v0, 31, v0
	v_xor_b32_e32 v1, vcc_hi, v0
	v_xor_b32_e32 v0, vcc_lo, v0
	v_and_b32_e32 v0, v19, v0
	v_and_b32_e32 v1, v15, v1
	v_mbcnt_lo_u32_b32 v3, v0, 0
	v_mbcnt_hi_u32_b32 v15, v1, v3
	v_cmp_eq_u32_e32 vcc, 0, v15
	v_cmp_ne_u64_e64 s[0:1], 0, v[0:1]
	s_and_b64 s[4:5], s[0:1], vcc
	s_and_saveexec_b64 s[0:1], s[4:5]
	s_cbranch_execz .LBB1874_84
; %bb.83:
	v_bcnt_u32_b32 v0, v0, 0
	v_bcnt_u32_b32 v0, v1, v0
	ds_write_b32 v18, v0 offset:64
.LBB1874_84:
	s_or_b64 exec, exec, s[0:1]
	s_waitcnt vmcnt(6)
	v_cmp_lt_i32_e32 vcc, -1, v9
	v_cndmask_b32_e32 v0, -1, v16, vcc
	v_xor_b32_e32 v9, v0, v9
	v_cmp_ne_u32_e32 vcc, s2, v9
	v_cndmask_b32_e32 v0, v16, v9, vcc
	v_lshrrev_b32_e32 v0, s44, v0
	v_and_b32_e32 v0, s16, v0
	v_lshl_add_u32 v1, v0, 4, v0
	v_add_lshl_u32 v22, v26, v1, 2
	v_and_b32_e32 v1, 1, v0
	v_add_co_u32_e32 v3, vcc, -1, v1
	v_addc_co_u32_e64 v19, s[0:1], 0, -1, vcc
	v_cmp_ne_u32_e32 vcc, 0, v1
	v_xor_b32_e32 v3, vcc_lo, v3
	v_xor_b32_e32 v1, vcc_hi, v19
	v_and_b32_e32 v19, exec_lo, v3
	v_lshlrev_b32_e32 v3, 30, v0
	v_cmp_gt_i64_e32 vcc, 0, v[2:3]
	v_not_b32_e32 v3, v3
	v_ashrrev_i32_e32 v3, 31, v3
	v_xor_b32_e32 v20, vcc_hi, v3
	v_xor_b32_e32 v3, vcc_lo, v3
	v_and_b32_e32 v19, v19, v3
	v_lshlrev_b32_e32 v3, 29, v0
	v_cmp_gt_i64_e32 vcc, 0, v[2:3]
	v_not_b32_e32 v3, v3
	v_and_b32_e32 v1, exec_hi, v1
	v_ashrrev_i32_e32 v3, 31, v3
	v_and_b32_e32 v1, v1, v20
	v_xor_b32_e32 v20, vcc_hi, v3
	v_xor_b32_e32 v3, vcc_lo, v3
	v_and_b32_e32 v19, v19, v3
	v_lshlrev_b32_e32 v3, 28, v0
	v_cmp_gt_i64_e32 vcc, 0, v[2:3]
	v_not_b32_e32 v3, v3
	v_ashrrev_i32_e32 v3, 31, v3
	v_and_b32_e32 v1, v1, v20
	v_xor_b32_e32 v20, vcc_hi, v3
	v_xor_b32_e32 v3, vcc_lo, v3
	v_and_b32_e32 v19, v19, v3
	v_lshlrev_b32_e32 v3, 27, v0
	v_cmp_gt_i64_e32 vcc, 0, v[2:3]
	v_not_b32_e32 v3, v3
	;; [unrolled: 8-line block ×4, first 2 shown]
	v_ashrrev_i32_e32 v3, 31, v3
	v_and_b32_e32 v1, v1, v20
	v_xor_b32_e32 v20, vcc_hi, v3
	v_xor_b32_e32 v3, vcc_lo, v3
	v_and_b32_e32 v19, v19, v3
	v_lshlrev_b32_e32 v3, 24, v0
	v_not_b32_e32 v0, v3
	v_cmp_gt_i64_e32 vcc, 0, v[2:3]
	v_ashrrev_i32_e32 v0, 31, v0
	v_xor_b32_e32 v2, vcc_hi, v0
	v_xor_b32_e32 v0, vcc_lo, v0
	; wave barrier
	ds_read_b32 v16, v22 offset:64
	v_and_b32_e32 v1, v1, v20
	v_and_b32_e32 v0, v19, v0
	;; [unrolled: 1-line block ×3, first 2 shown]
	v_mbcnt_lo_u32_b32 v2, v0, 0
	v_mbcnt_hi_u32_b32 v19, v1, v2
	v_cmp_eq_u32_e32 vcc, 0, v19
	v_cmp_ne_u64_e64 s[0:1], 0, v[0:1]
	s_and_b64 s[2:3], s[0:1], vcc
	; wave barrier
	s_and_saveexec_b64 s[0:1], s[2:3]
	s_cbranch_execz .LBB1874_86
; %bb.85:
	v_bcnt_u32_b32 v0, v0, 0
	v_bcnt_u32_b32 v0, v1, v0
	s_waitcnt lgkmcnt(0)
	v_add_u32_e32 v0, v16, v0
	ds_write_b32 v22, v0 offset:64
.LBB1874_86:
	s_or_b64 exec, exec, s[0:1]
	v_bfrev_b32_e32 v24, 1
	s_waitcnt vmcnt(5)
	v_cmp_lt_i32_e32 vcc, -1, v12
	v_cndmask_b32_e32 v0, -1, v24, vcc
	v_xor_b32_e32 v12, v0, v12
	s_brev_b32 s2, -2
	v_cmp_ne_u32_e32 vcc, s2, v12
	v_cndmask_b32_e32 v0, v24, v12, vcc
	v_lshrrev_b32_e32 v0, s44, v0
	v_and_b32_e32 v2, s16, v0
	v_and_b32_e32 v1, 1, v2
	v_add_co_u32_e32 v3, vcc, -1, v1
	v_addc_co_u32_e64 v23, s[0:1], 0, -1, vcc
	v_cmp_ne_u32_e32 vcc, 0, v1
	v_lshl_add_u32 v0, v2, 4, v2
	v_xor_b32_e32 v1, vcc_hi, v23
	v_add_lshl_u32 v27, v26, v0, 2
	v_mov_b32_e32 v0, 0
	v_and_b32_e32 v23, exec_hi, v1
	v_lshlrev_b32_e32 v1, 30, v2
	v_xor_b32_e32 v3, vcc_lo, v3
	v_cmp_gt_i64_e32 vcc, 0, v[0:1]
	v_not_b32_e32 v1, v1
	v_ashrrev_i32_e32 v1, 31, v1
	v_and_b32_e32 v3, exec_lo, v3
	v_xor_b32_e32 v28, vcc_hi, v1
	v_xor_b32_e32 v1, vcc_lo, v1
	v_and_b32_e32 v3, v3, v1
	v_lshlrev_b32_e32 v1, 29, v2
	v_cmp_gt_i64_e32 vcc, 0, v[0:1]
	v_not_b32_e32 v1, v1
	v_ashrrev_i32_e32 v1, 31, v1
	v_and_b32_e32 v23, v23, v28
	v_xor_b32_e32 v28, vcc_hi, v1
	v_xor_b32_e32 v1, vcc_lo, v1
	v_and_b32_e32 v3, v3, v1
	v_lshlrev_b32_e32 v1, 28, v2
	v_cmp_gt_i64_e32 vcc, 0, v[0:1]
	v_not_b32_e32 v1, v1
	v_ashrrev_i32_e32 v1, 31, v1
	v_and_b32_e32 v23, v23, v28
	;; [unrolled: 8-line block ×5, first 2 shown]
	v_xor_b32_e32 v28, vcc_hi, v1
	v_xor_b32_e32 v1, vcc_lo, v1
	v_and_b32_e32 v23, v23, v28
	v_and_b32_e32 v28, v3, v1
	v_lshlrev_b32_e32 v1, 24, v2
	v_cmp_gt_i64_e32 vcc, 0, v[0:1]
	v_not_b32_e32 v1, v1
	v_ashrrev_i32_e32 v1, 31, v1
	v_xor_b32_e32 v2, vcc_hi, v1
	v_xor_b32_e32 v1, vcc_lo, v1
	; wave barrier
	ds_read_b32 v20, v27 offset:64
	v_and_b32_e32 v3, v23, v2
	v_and_b32_e32 v2, v28, v1
	v_mbcnt_lo_u32_b32 v1, v2, 0
	v_mbcnt_hi_u32_b32 v23, v3, v1
	v_cmp_eq_u32_e32 vcc, 0, v23
	v_cmp_ne_u64_e64 s[0:1], 0, v[2:3]
	s_and_b64 s[4:5], s[0:1], vcc
	; wave barrier
	s_and_saveexec_b64 s[0:1], s[4:5]
	s_cbranch_execz .LBB1874_88
; %bb.87:
	v_bcnt_u32_b32 v1, v2, 0
	v_bcnt_u32_b32 v1, v3, v1
	s_waitcnt lgkmcnt(0)
	v_add_u32_e32 v1, v20, v1
	ds_write_b32 v27, v1 offset:64
.LBB1874_88:
	s_or_b64 exec, exec, s[0:1]
	s_waitcnt vmcnt(4)
	v_cmp_lt_i32_e32 vcc, -1, v13
	v_cndmask_b32_e32 v1, -1, v24, vcc
	v_xor_b32_e32 v13, v1, v13
	v_cmp_ne_u32_e32 vcc, s2, v13
	v_cndmask_b32_e32 v1, v24, v13, vcc
	v_lshrrev_b32_e32 v1, s44, v1
	v_and_b32_e32 v2, s16, v1
	v_lshl_add_u32 v1, v2, 4, v2
	v_add_lshl_u32 v30, v26, v1, 2
	v_and_b32_e32 v1, 1, v2
	v_add_co_u32_e32 v3, vcc, -1, v1
	v_addc_co_u32_e64 v28, s[0:1], 0, -1, vcc
	v_cmp_ne_u32_e32 vcc, 0, v1
	v_xor_b32_e32 v1, vcc_hi, v28
	v_and_b32_e32 v28, exec_hi, v1
	v_lshlrev_b32_e32 v1, 30, v2
	v_xor_b32_e32 v3, vcc_lo, v3
	v_cmp_gt_i64_e32 vcc, 0, v[0:1]
	v_not_b32_e32 v1, v1
	v_ashrrev_i32_e32 v1, 31, v1
	v_and_b32_e32 v3, exec_lo, v3
	v_xor_b32_e32 v29, vcc_hi, v1
	v_xor_b32_e32 v1, vcc_lo, v1
	v_and_b32_e32 v3, v3, v1
	v_lshlrev_b32_e32 v1, 29, v2
	v_cmp_gt_i64_e32 vcc, 0, v[0:1]
	v_not_b32_e32 v1, v1
	v_ashrrev_i32_e32 v1, 31, v1
	v_and_b32_e32 v28, v28, v29
	v_xor_b32_e32 v29, vcc_hi, v1
	v_xor_b32_e32 v1, vcc_lo, v1
	v_and_b32_e32 v3, v3, v1
	v_lshlrev_b32_e32 v1, 28, v2
	v_cmp_gt_i64_e32 vcc, 0, v[0:1]
	v_not_b32_e32 v1, v1
	v_ashrrev_i32_e32 v1, 31, v1
	v_and_b32_e32 v28, v28, v29
	;; [unrolled: 8-line block ×5, first 2 shown]
	v_xor_b32_e32 v29, vcc_hi, v1
	v_xor_b32_e32 v1, vcc_lo, v1
	v_and_b32_e32 v3, v3, v1
	v_lshlrev_b32_e32 v1, 24, v2
	v_cmp_gt_i64_e32 vcc, 0, v[0:1]
	v_not_b32_e32 v0, v1
	v_ashrrev_i32_e32 v0, 31, v0
	v_xor_b32_e32 v1, vcc_hi, v0
	v_xor_b32_e32 v0, vcc_lo, v0
	; wave barrier
	ds_read_b32 v24, v30 offset:64
	v_and_b32_e32 v28, v28, v29
	v_and_b32_e32 v0, v3, v0
	v_and_b32_e32 v1, v28, v1
	v_mbcnt_lo_u32_b32 v2, v0, 0
	v_mbcnt_hi_u32_b32 v28, v1, v2
	v_cmp_eq_u32_e32 vcc, 0, v28
	v_cmp_ne_u64_e64 s[0:1], 0, v[0:1]
	s_and_b64 s[2:3], s[0:1], vcc
	; wave barrier
	s_and_saveexec_b64 s[0:1], s[2:3]
	s_cbranch_execz .LBB1874_90
; %bb.89:
	v_bcnt_u32_b32 v0, v0, 0
	v_bcnt_u32_b32 v0, v1, v0
	s_waitcnt lgkmcnt(0)
	v_add_u32_e32 v0, v24, v0
	ds_write_b32 v30, v0 offset:64
.LBB1874_90:
	s_or_b64 exec, exec, s[0:1]
	v_bfrev_b32_e32 v31, 1
	s_waitcnt vmcnt(3)
	v_cmp_lt_i32_e32 vcc, -1, v14
	v_cndmask_b32_e32 v0, -1, v31, vcc
	v_xor_b32_e32 v14, v0, v14
	s_brev_b32 s2, -2
	v_cmp_ne_u32_e32 vcc, s2, v14
	v_cndmask_b32_e32 v0, v31, v14, vcc
	v_lshrrev_b32_e32 v0, s44, v0
	v_and_b32_e32 v2, s16, v0
	v_and_b32_e32 v1, 1, v2
	v_add_co_u32_e32 v3, vcc, -1, v1
	v_addc_co_u32_e64 v33, s[0:1], 0, -1, vcc
	v_cmp_ne_u32_e32 vcc, 0, v1
	v_lshl_add_u32 v0, v2, 4, v2
	v_xor_b32_e32 v1, vcc_hi, v33
	v_add_lshl_u32 v32, v26, v0, 2
	v_mov_b32_e32 v0, 0
	v_and_b32_e32 v33, exec_hi, v1
	v_lshlrev_b32_e32 v1, 30, v2
	v_xor_b32_e32 v3, vcc_lo, v3
	v_cmp_gt_i64_e32 vcc, 0, v[0:1]
	v_not_b32_e32 v1, v1
	v_ashrrev_i32_e32 v1, 31, v1
	v_and_b32_e32 v3, exec_lo, v3
	v_xor_b32_e32 v34, vcc_hi, v1
	v_xor_b32_e32 v1, vcc_lo, v1
	v_and_b32_e32 v3, v3, v1
	v_lshlrev_b32_e32 v1, 29, v2
	v_cmp_gt_i64_e32 vcc, 0, v[0:1]
	v_not_b32_e32 v1, v1
	v_ashrrev_i32_e32 v1, 31, v1
	v_and_b32_e32 v33, v33, v34
	v_xor_b32_e32 v34, vcc_hi, v1
	v_xor_b32_e32 v1, vcc_lo, v1
	v_and_b32_e32 v3, v3, v1
	v_lshlrev_b32_e32 v1, 28, v2
	v_cmp_gt_i64_e32 vcc, 0, v[0:1]
	v_not_b32_e32 v1, v1
	v_ashrrev_i32_e32 v1, 31, v1
	v_and_b32_e32 v33, v33, v34
	;; [unrolled: 8-line block ×5, first 2 shown]
	v_xor_b32_e32 v34, vcc_hi, v1
	v_xor_b32_e32 v1, vcc_lo, v1
	v_and_b32_e32 v33, v33, v34
	v_and_b32_e32 v34, v3, v1
	v_lshlrev_b32_e32 v1, 24, v2
	v_cmp_gt_i64_e32 vcc, 0, v[0:1]
	v_not_b32_e32 v1, v1
	v_ashrrev_i32_e32 v1, 31, v1
	v_xor_b32_e32 v2, vcc_hi, v1
	v_xor_b32_e32 v1, vcc_lo, v1
	; wave barrier
	ds_read_b32 v29, v32 offset:64
	v_and_b32_e32 v3, v33, v2
	v_and_b32_e32 v2, v34, v1
	v_mbcnt_lo_u32_b32 v1, v2, 0
	v_mbcnt_hi_u32_b32 v34, v3, v1
	v_cmp_eq_u32_e32 vcc, 0, v34
	v_cmp_ne_u64_e64 s[0:1], 0, v[2:3]
	s_and_b64 s[4:5], s[0:1], vcc
	; wave barrier
	s_and_saveexec_b64 s[0:1], s[4:5]
	s_cbranch_execz .LBB1874_92
; %bb.91:
	v_bcnt_u32_b32 v1, v2, 0
	v_bcnt_u32_b32 v1, v3, v1
	s_waitcnt lgkmcnt(0)
	v_add_u32_e32 v1, v29, v1
	ds_write_b32 v32, v1 offset:64
.LBB1874_92:
	s_or_b64 exec, exec, s[0:1]
	s_waitcnt vmcnt(2)
	v_cmp_lt_i32_e32 vcc, -1, v17
	v_cndmask_b32_e32 v1, -1, v31, vcc
	v_xor_b32_e32 v17, v1, v17
	v_cmp_ne_u32_e32 vcc, s2, v17
	v_cndmask_b32_e32 v1, v31, v17, vcc
	v_lshrrev_b32_e32 v1, s44, v1
	v_and_b32_e32 v2, s16, v1
	v_lshl_add_u32 v1, v2, 4, v2
	v_add_lshl_u32 v37, v26, v1, 2
	v_and_b32_e32 v1, 1, v2
	v_add_co_u32_e32 v3, vcc, -1, v1
	v_addc_co_u32_e64 v31, s[0:1], 0, -1, vcc
	v_cmp_ne_u32_e32 vcc, 0, v1
	v_xor_b32_e32 v1, vcc_hi, v31
	v_and_b32_e32 v31, exec_hi, v1
	v_lshlrev_b32_e32 v1, 30, v2
	v_xor_b32_e32 v3, vcc_lo, v3
	v_cmp_gt_i64_e32 vcc, 0, v[0:1]
	v_not_b32_e32 v1, v1
	v_ashrrev_i32_e32 v1, 31, v1
	v_and_b32_e32 v3, exec_lo, v3
	v_xor_b32_e32 v35, vcc_hi, v1
	v_xor_b32_e32 v1, vcc_lo, v1
	v_and_b32_e32 v3, v3, v1
	v_lshlrev_b32_e32 v1, 29, v2
	v_cmp_gt_i64_e32 vcc, 0, v[0:1]
	v_not_b32_e32 v1, v1
	v_ashrrev_i32_e32 v1, 31, v1
	v_and_b32_e32 v31, v31, v35
	v_xor_b32_e32 v35, vcc_hi, v1
	v_xor_b32_e32 v1, vcc_lo, v1
	v_and_b32_e32 v3, v3, v1
	v_lshlrev_b32_e32 v1, 28, v2
	v_cmp_gt_i64_e32 vcc, 0, v[0:1]
	v_not_b32_e32 v1, v1
	v_ashrrev_i32_e32 v1, 31, v1
	v_and_b32_e32 v31, v31, v35
	;; [unrolled: 8-line block ×5, first 2 shown]
	v_xor_b32_e32 v35, vcc_hi, v1
	v_xor_b32_e32 v1, vcc_lo, v1
	v_and_b32_e32 v3, v3, v1
	v_lshlrev_b32_e32 v1, 24, v2
	v_cmp_gt_i64_e32 vcc, 0, v[0:1]
	v_not_b32_e32 v0, v1
	v_ashrrev_i32_e32 v0, 31, v0
	v_xor_b32_e32 v1, vcc_hi, v0
	v_xor_b32_e32 v0, vcc_lo, v0
	; wave barrier
	ds_read_b32 v33, v37 offset:64
	v_and_b32_e32 v31, v31, v35
	v_and_b32_e32 v0, v3, v0
	;; [unrolled: 1-line block ×3, first 2 shown]
	v_mbcnt_lo_u32_b32 v2, v0, 0
	v_mbcnt_hi_u32_b32 v35, v1, v2
	v_cmp_eq_u32_e32 vcc, 0, v35
	v_cmp_ne_u64_e64 s[0:1], 0, v[0:1]
	s_and_b64 s[2:3], s[0:1], vcc
	; wave barrier
	s_and_saveexec_b64 s[0:1], s[2:3]
	s_cbranch_execz .LBB1874_94
; %bb.93:
	v_bcnt_u32_b32 v0, v0, 0
	v_bcnt_u32_b32 v0, v1, v0
	s_waitcnt lgkmcnt(0)
	v_add_u32_e32 v0, v33, v0
	ds_write_b32 v37, v0 offset:64
.LBB1874_94:
	s_or_b64 exec, exec, s[0:1]
	v_bfrev_b32_e32 v31, 1
	s_waitcnt vmcnt(1)
	v_cmp_lt_i32_e32 vcc, -1, v21
	v_cndmask_b32_e32 v0, -1, v31, vcc
	v_xor_b32_e32 v21, v0, v21
	s_brev_b32 s2, -2
	v_cmp_ne_u32_e32 vcc, s2, v21
	v_cndmask_b32_e32 v0, v31, v21, vcc
	v_lshrrev_b32_e32 v0, s44, v0
	v_and_b32_e32 v2, s16, v0
	v_and_b32_e32 v1, 1, v2
	v_add_co_u32_e32 v3, vcc, -1, v1
	v_addc_co_u32_e64 v38, s[0:1], 0, -1, vcc
	v_cmp_ne_u32_e32 vcc, 0, v1
	v_lshl_add_u32 v0, v2, 4, v2
	v_xor_b32_e32 v1, vcc_hi, v38
	v_add_lshl_u32 v40, v26, v0, 2
	v_mov_b32_e32 v0, 0
	v_and_b32_e32 v38, exec_hi, v1
	v_lshlrev_b32_e32 v1, 30, v2
	v_xor_b32_e32 v3, vcc_lo, v3
	v_cmp_gt_i64_e32 vcc, 0, v[0:1]
	v_not_b32_e32 v1, v1
	v_ashrrev_i32_e32 v1, 31, v1
	v_and_b32_e32 v3, exec_lo, v3
	v_xor_b32_e32 v39, vcc_hi, v1
	v_xor_b32_e32 v1, vcc_lo, v1
	v_and_b32_e32 v3, v3, v1
	v_lshlrev_b32_e32 v1, 29, v2
	v_cmp_gt_i64_e32 vcc, 0, v[0:1]
	v_not_b32_e32 v1, v1
	v_ashrrev_i32_e32 v1, 31, v1
	v_and_b32_e32 v38, v38, v39
	v_xor_b32_e32 v39, vcc_hi, v1
	v_xor_b32_e32 v1, vcc_lo, v1
	v_and_b32_e32 v3, v3, v1
	v_lshlrev_b32_e32 v1, 28, v2
	v_cmp_gt_i64_e32 vcc, 0, v[0:1]
	v_not_b32_e32 v1, v1
	v_ashrrev_i32_e32 v1, 31, v1
	v_and_b32_e32 v38, v38, v39
	v_xor_b32_e32 v39, vcc_hi, v1
	v_xor_b32_e32 v1, vcc_lo, v1
	v_and_b32_e32 v3, v3, v1
	v_lshlrev_b32_e32 v1, 27, v2
	v_cmp_gt_i64_e32 vcc, 0, v[0:1]
	v_not_b32_e32 v1, v1
	v_ashrrev_i32_e32 v1, 31, v1
	v_and_b32_e32 v38, v38, v39
	v_xor_b32_e32 v39, vcc_hi, v1
	v_xor_b32_e32 v1, vcc_lo, v1
	v_and_b32_e32 v3, v3, v1
	v_lshlrev_b32_e32 v1, 26, v2
	v_cmp_gt_i64_e32 vcc, 0, v[0:1]
	v_not_b32_e32 v1, v1
	v_ashrrev_i32_e32 v1, 31, v1
	v_and_b32_e32 v38, v38, v39
	v_xor_b32_e32 v39, vcc_hi, v1
	v_xor_b32_e32 v1, vcc_lo, v1
	v_and_b32_e32 v3, v3, v1
	v_lshlrev_b32_e32 v1, 25, v2
	v_cmp_gt_i64_e32 vcc, 0, v[0:1]
	v_not_b32_e32 v1, v1
	v_ashrrev_i32_e32 v1, 31, v1
	v_and_b32_e32 v38, v38, v39
	v_xor_b32_e32 v39, vcc_hi, v1
	v_xor_b32_e32 v1, vcc_lo, v1
	v_and_b32_e32 v38, v38, v39
	v_and_b32_e32 v39, v3, v1
	v_lshlrev_b32_e32 v1, 24, v2
	v_cmp_gt_i64_e32 vcc, 0, v[0:1]
	v_not_b32_e32 v1, v1
	v_ashrrev_i32_e32 v1, 31, v1
	v_xor_b32_e32 v2, vcc_hi, v1
	v_xor_b32_e32 v1, vcc_lo, v1
	; wave barrier
	ds_read_b32 v36, v40 offset:64
	v_and_b32_e32 v3, v38, v2
	v_and_b32_e32 v2, v39, v1
	v_mbcnt_lo_u32_b32 v1, v2, 0
	v_mbcnt_hi_u32_b32 v38, v3, v1
	v_cmp_eq_u32_e32 vcc, 0, v38
	v_cmp_ne_u64_e64 s[0:1], 0, v[2:3]
	s_and_b64 s[4:5], s[0:1], vcc
	; wave barrier
	s_and_saveexec_b64 s[0:1], s[4:5]
	s_cbranch_execz .LBB1874_96
; %bb.95:
	v_bcnt_u32_b32 v1, v2, 0
	v_bcnt_u32_b32 v1, v3, v1
	s_waitcnt lgkmcnt(0)
	v_add_u32_e32 v1, v36, v1
	ds_write_b32 v40, v1 offset:64
.LBB1874_96:
	s_or_b64 exec, exec, s[0:1]
	s_waitcnt vmcnt(0)
	v_cmp_lt_i32_e32 vcc, -1, v25
	v_cndmask_b32_e32 v1, -1, v31, vcc
	v_xor_b32_e32 v25, v1, v25
	v_cmp_ne_u32_e32 vcc, s2, v25
	v_cndmask_b32_e32 v1, v31, v25, vcc
	v_lshrrev_b32_e32 v1, s44, v1
	v_and_b32_e32 v2, s16, v1
	v_lshl_add_u32 v1, v2, 4, v2
	v_add_lshl_u32 v26, v1, v26, 2
	v_and_b32_e32 v1, 1, v2
	v_add_co_u32_e32 v3, vcc, -1, v1
	v_addc_co_u32_e64 v31, s[0:1], 0, -1, vcc
	v_cmp_ne_u32_e32 vcc, 0, v1
	v_xor_b32_e32 v1, vcc_hi, v31
	v_and_b32_e32 v31, exec_hi, v1
	v_lshlrev_b32_e32 v1, 30, v2
	v_xor_b32_e32 v3, vcc_lo, v3
	v_cmp_gt_i64_e32 vcc, 0, v[0:1]
	v_not_b32_e32 v1, v1
	v_ashrrev_i32_e32 v1, 31, v1
	v_and_b32_e32 v3, exec_lo, v3
	v_xor_b32_e32 v41, vcc_hi, v1
	v_xor_b32_e32 v1, vcc_lo, v1
	v_and_b32_e32 v3, v3, v1
	v_lshlrev_b32_e32 v1, 29, v2
	v_cmp_gt_i64_e32 vcc, 0, v[0:1]
	v_not_b32_e32 v1, v1
	v_ashrrev_i32_e32 v1, 31, v1
	v_and_b32_e32 v31, v31, v41
	v_xor_b32_e32 v41, vcc_hi, v1
	v_xor_b32_e32 v1, vcc_lo, v1
	v_and_b32_e32 v3, v3, v1
	v_lshlrev_b32_e32 v1, 28, v2
	v_cmp_gt_i64_e32 vcc, 0, v[0:1]
	v_not_b32_e32 v1, v1
	v_ashrrev_i32_e32 v1, 31, v1
	v_and_b32_e32 v31, v31, v41
	;; [unrolled: 8-line block ×5, first 2 shown]
	v_xor_b32_e32 v41, vcc_hi, v1
	v_xor_b32_e32 v1, vcc_lo, v1
	v_and_b32_e32 v3, v3, v1
	v_lshlrev_b32_e32 v1, 24, v2
	v_cmp_gt_i64_e32 vcc, 0, v[0:1]
	v_not_b32_e32 v0, v1
	v_ashrrev_i32_e32 v0, 31, v0
	v_xor_b32_e32 v1, vcc_hi, v0
	v_xor_b32_e32 v0, vcc_lo, v0
	; wave barrier
	ds_read_b32 v39, v26 offset:64
	v_and_b32_e32 v31, v31, v41
	v_and_b32_e32 v0, v3, v0
	;; [unrolled: 1-line block ×3, first 2 shown]
	v_mbcnt_lo_u32_b32 v2, v0, 0
	v_mbcnt_hi_u32_b32 v41, v1, v2
	v_cmp_eq_u32_e32 vcc, 0, v41
	v_cmp_ne_u64_e64 s[0:1], 0, v[0:1]
	v_add_u32_e32 v42, 64, v5
	s_and_b64 s[2:3], s[0:1], vcc
	; wave barrier
	s_and_saveexec_b64 s[0:1], s[2:3]
	s_cbranch_execz .LBB1874_98
; %bb.97:
	v_bcnt_u32_b32 v0, v0, 0
	v_bcnt_u32_b32 v0, v1, v0
	s_waitcnt lgkmcnt(0)
	v_add_u32_e32 v0, v39, v0
	ds_write_b32 v26, v0 offset:64
.LBB1874_98:
	s_or_b64 exec, exec, s[0:1]
	; wave barrier
	s_waitcnt lgkmcnt(0)
	s_barrier
	ds_read2_b32 v[2:3], v5 offset0:16 offset1:17
	ds_read2_b32 v[0:1], v42 offset0:2 offset1:3
	ds_read_b32 v31, v42 offset:16
	v_cmp_lt_u32_e64 s[8:9], 31, v4
	s_waitcnt lgkmcnt(1)
	v_add3_u32 v43, v3, v2, v0
	s_waitcnt lgkmcnt(0)
	v_add3_u32 v31, v43, v1, v31
	v_and_b32_e32 v43, 15, v4
	v_cmp_eq_u32_e32 vcc, 0, v43
	v_mov_b32_dpp v44, v31 row_shr:1 row_mask:0xf bank_mask:0xf
	v_cndmask_b32_e64 v44, v44, 0, vcc
	v_add_u32_e32 v31, v44, v31
	v_cmp_lt_u32_e64 s[0:1], 1, v43
	v_cmp_lt_u32_e64 s[2:3], 3, v43
	v_mov_b32_dpp v44, v31 row_shr:2 row_mask:0xf bank_mask:0xf
	v_cndmask_b32_e64 v44, 0, v44, s[0:1]
	v_add_u32_e32 v31, v31, v44
	v_cmp_lt_u32_e64 s[4:5], 7, v43
	s_nop 0
	v_mov_b32_dpp v44, v31 row_shr:4 row_mask:0xf bank_mask:0xf
	v_cndmask_b32_e64 v44, 0, v44, s[2:3]
	v_add_u32_e32 v31, v31, v44
	s_nop 1
	v_mov_b32_dpp v44, v31 row_shr:8 row_mask:0xf bank_mask:0xf
	v_cndmask_b32_e64 v43, 0, v44, s[4:5]
	v_add_u32_e32 v31, v31, v43
	v_bfe_i32 v44, v4, 4, 1
	s_nop 0
	v_mov_b32_dpp v43, v31 row_bcast:15 row_mask:0xf bank_mask:0xf
	v_and_b32_e32 v43, v44, v43
	v_add_u32_e32 v31, v31, v43
	v_lshrrev_b32_e32 v44, 6, v10
	s_nop 0
	v_mov_b32_dpp v43, v31 row_bcast:31 row_mask:0xf bank_mask:0xf
	v_cndmask_b32_e64 v43, 0, v43, s[8:9]
	v_add_u32_e32 v43, v31, v43
	v_and_b32_e32 v31, 63, v10
	v_cmp_eq_u32_e64 s[8:9], 63, v31
	s_and_saveexec_b64 s[14:15], s[8:9]
	s_cbranch_execz .LBB1874_100
; %bb.99:
	v_lshlrev_b32_e32 v31, 2, v44
	ds_write_b32 v31, v43
.LBB1874_100:
	s_or_b64 exec, exec, s[14:15]
	v_cmp_gt_u32_e64 s[8:9], 16, v10
	v_lshlrev_b32_e32 v31, 2, v10
	s_waitcnt lgkmcnt(0)
	s_barrier
	s_and_saveexec_b64 s[14:15], s[8:9]
	s_cbranch_execz .LBB1874_102
; %bb.101:
	ds_read_b32 v45, v31
	s_waitcnt lgkmcnt(0)
	s_nop 0
	v_mov_b32_dpp v46, v45 row_shr:1 row_mask:0xf bank_mask:0xf
	v_cndmask_b32_e64 v46, v46, 0, vcc
	v_add_u32_e32 v45, v46, v45
	s_nop 1
	v_mov_b32_dpp v46, v45 row_shr:2 row_mask:0xf bank_mask:0xf
	v_cndmask_b32_e64 v46, 0, v46, s[0:1]
	v_add_u32_e32 v45, v45, v46
	s_nop 1
	v_mov_b32_dpp v46, v45 row_shr:4 row_mask:0xf bank_mask:0xf
	v_cndmask_b32_e64 v46, 0, v46, s[2:3]
	;; [unrolled: 4-line block ×3, first 2 shown]
	v_add_u32_e32 v45, v45, v46
	ds_write_b32 v31, v45
.LBB1874_102:
	s_or_b64 exec, exec, s[14:15]
	v_cmp_lt_u32_e32 vcc, 63, v10
	v_mov_b32_e32 v45, 0
	s_waitcnt lgkmcnt(0)
	s_barrier
	s_and_saveexec_b64 s[0:1], vcc
	s_cbranch_execz .LBB1874_104
; %bb.103:
	v_lshl_add_u32 v44, v44, 2, -4
	ds_read_b32 v45, v44
.LBB1874_104:
	s_or_b64 exec, exec, s[0:1]
	v_add_u32_e32 v44, -1, v4
	v_and_b32_e32 v46, 64, v4
	v_cmp_lt_i32_e32 vcc, v44, v46
	v_cndmask_b32_e32 v44, v44, v4, vcc
	s_waitcnt lgkmcnt(0)
	v_add_u32_e32 v43, v45, v43
	v_lshlrev_b32_e32 v44, 2, v44
	ds_bpermute_b32 v43, v44, v43
	v_cmp_eq_u32_e32 vcc, 0, v4
	s_movk_i32 s0, 0x100
	v_cmp_gt_u32_e64 s[0:1], s0, v10
	s_waitcnt lgkmcnt(0)
	v_cndmask_b32_e32 v4, v43, v45, vcc
	v_cmp_ne_u32_e32 vcc, 0, v10
	v_cndmask_b32_e32 v4, 0, v4, vcc
	v_add_u32_e32 v2, v4, v2
	v_add_u32_e32 v3, v2, v3
	v_add_u32_e32 v0, v3, v0
	v_add_u32_e32 v1, v0, v1
	ds_write2_b32 v5, v4, v2 offset0:16 offset1:17
	ds_write2_b32 v42, v3, v0 offset0:2 offset1:3
	ds_write_b32 v42, v1 offset:16
	s_waitcnt lgkmcnt(0)
	s_barrier
	ds_read_b32 v45, v18 offset:64
	ds_read_b32 v18, v22 offset:64
	;; [unrolled: 1-line block ×8, first 2 shown]
                                        ; implicit-def: $vgpr22
                                        ; implicit-def: $vgpr26
	s_and_saveexec_b64 s[2:3], s[0:1]
	s_cbranch_execz .LBB1874_108
; %bb.105:
	v_mul_u32_u24_e32 v0, 17, v10
	v_lshlrev_b32_e32 v1, 2, v0
	ds_read_b32 v22, v1 offset:64
	s_movk_i32 s4, 0xff
	v_cmp_ne_u32_e32 vcc, s4, v10
	v_mov_b32_e32 v0, 0x2000
	s_and_saveexec_b64 s[4:5], vcc
	s_cbranch_execz .LBB1874_107
; %bb.106:
	ds_read_b32 v0, v1 offset:132
.LBB1874_107:
	s_or_b64 exec, exec, s[4:5]
	s_waitcnt lgkmcnt(0)
	v_sub_u32_e32 v26, v0, v22
.LBB1874_108:
	s_or_b64 exec, exec, s[2:3]
	s_waitcnt lgkmcnt(0)
	s_barrier
	s_and_saveexec_b64 s[2:3], s[0:1]
	s_cbranch_execz .LBB1874_118
; %bb.109:
	v_lshl_or_b32 v0, s6, 8, v10
	v_mov_b32_e32 v1, 0
	v_lshlrev_b64 v[2:3], 2, v[0:1]
	v_mov_b32_e32 v27, s35
	v_add_co_u32_e32 v2, vcc, s34, v2
	v_addc_co_u32_e32 v3, vcc, v27, v3, vcc
	v_or_b32_e32 v0, 2.0, v26
	s_mov_b64 s[4:5], 0
	s_brev_b32 s17, 1
	s_mov_b32 s18, s6
	v_mov_b32_e32 v40, 0
	global_store_dword v[2:3], v0, off
                                        ; implicit-def: $sgpr8_sgpr9
	s_branch .LBB1874_112
.LBB1874_110:                           ;   in Loop: Header=BB1874_112 Depth=1
	s_or_b64 exec, exec, s[14:15]
.LBB1874_111:                           ;   in Loop: Header=BB1874_112 Depth=1
	s_or_b64 exec, exec, s[8:9]
	v_and_b32_e32 v4, 0x3fffffff, v46
	v_add_u32_e32 v40, v4, v40
	v_cmp_eq_u32_e64 s[8:9], s17, v0
	s_and_b64 s[14:15], exec, s[8:9]
	s_or_b64 s[4:5], s[14:15], s[4:5]
	s_andn2_b64 exec, exec, s[4:5]
	s_cbranch_execz .LBB1874_117
.LBB1874_112:                           ; =>This Loop Header: Depth=1
                                        ;     Child Loop BB1874_115 Depth 2
	s_or_b64 s[8:9], s[8:9], exec
	s_cmp_eq_u32 s18, 0
	s_cbranch_scc1 .LBB1874_116
; %bb.113:                              ;   in Loop: Header=BB1874_112 Depth=1
	s_add_i32 s18, s18, -1
	v_lshl_or_b32 v0, s18, 8, v10
	v_lshlrev_b64 v[4:5], 2, v[0:1]
	v_add_co_u32_e32 v4, vcc, s34, v4
	v_addc_co_u32_e32 v5, vcc, v27, v5, vcc
	global_load_dword v46, v[4:5], off glc
	s_waitcnt vmcnt(0)
	v_and_b32_e32 v0, -2.0, v46
	v_cmp_eq_u32_e32 vcc, 0, v0
	s_and_saveexec_b64 s[8:9], vcc
	s_cbranch_execz .LBB1874_111
; %bb.114:                              ;   in Loop: Header=BB1874_112 Depth=1
	s_mov_b64 s[14:15], 0
.LBB1874_115:                           ;   Parent Loop BB1874_112 Depth=1
                                        ; =>  This Inner Loop Header: Depth=2
	global_load_dword v46, v[4:5], off glc
	s_waitcnt vmcnt(0)
	v_and_b32_e32 v0, -2.0, v46
	v_cmp_ne_u32_e32 vcc, 0, v0
	s_or_b64 s[14:15], vcc, s[14:15]
	s_andn2_b64 exec, exec, s[14:15]
	s_cbranch_execnz .LBB1874_115
	s_branch .LBB1874_110
.LBB1874_116:                           ;   in Loop: Header=BB1874_112 Depth=1
                                        ; implicit-def: $sgpr18
	s_and_b64 s[14:15], exec, s[8:9]
	s_or_b64 s[4:5], s[14:15], s[4:5]
	s_andn2_b64 exec, exec, s[4:5]
	s_cbranch_execnz .LBB1874_112
.LBB1874_117:
	s_or_b64 exec, exec, s[4:5]
	v_add_u32_e32 v0, v40, v26
	v_or_b32_e32 v0, 0x80000000, v0
	global_store_dword v[2:3], v0, off
	global_load_dword v0, v31, s[28:29]
	v_sub_u32_e32 v1, v40, v22
	s_waitcnt vmcnt(0)
	v_add_u32_e32 v0, v1, v0
	ds_write_b32 v31, v0
.LBB1874_118:
	s_or_b64 exec, exec, s[2:3]
	v_add_u32_e32 v27, v45, v15
	s_movk_i32 s4, 0x400
	v_add_u32_e32 v2, 0x400, v31
	v_add3_u32 v30, v41, v30, v39
	v_add3_u32 v32, v38, v32, v36
	;; [unrolled: 1-line block ×7, first 2 shown]
	s_mov_b64 s[2:3], -1
	s_mov_b32 s5, 0
	s_brev_b32 s8, -2
	v_bfrev_b32_e32 v3, 1
	v_mov_b32_e32 v4, s39
	s_movk_i32 s9, 0x800
	s_movk_i32 s14, 0xc00
	v_mov_b32_e32 v1, 0
	v_mov_b32_e32 v5, v10
	s_mov_b32 s15, 0
                                        ; implicit-def: $vgpr40
                                        ; implicit-def: $vgpr39
                                        ; implicit-def: $vgpr38
                                        ; implicit-def: $vgpr37
                                        ; implicit-def: $vgpr36
                                        ; implicit-def: $vgpr35
                                        ; implicit-def: $vgpr34
                                        ; implicit-def: $vgpr28
.LBB1874_119:                           ; =>This Inner Loop Header: Depth=1
	v_add_u32_e32 v0, s5, v27
	v_add_u32_e32 v18, s5, v24
	;; [unrolled: 1-line block ×8, first 2 shown]
	v_min_u32_e32 v0, 0x1000, v0
	v_min_u32_e32 v18, 0x1000, v18
	;; [unrolled: 1-line block ×8, first 2 shown]
	v_lshlrev_b32_e32 v0, 2, v0
	v_lshlrev_b32_e32 v18, 2, v18
	;; [unrolled: 1-line block ×8, first 2 shown]
	ds_write_b32 v0, v8 offset:1024
	ds_write_b32 v15, v9 offset:1024
	;; [unrolled: 1-line block ×8, first 2 shown]
	s_waitcnt lgkmcnt(0)
	s_barrier
	ds_read_b32 v0, v31 offset:1024
	ds_read2st64_b32 v[18:19], v2 offset0:16 offset1:32
	s_cmp_eq_u32 s15, 0
	s_waitcnt lgkmcnt(1)
	v_cmp_ne_u32_e32 vcc, s8, v0
	v_cndmask_b32_e32 v15, v3, v0, vcc
	v_cmp_lt_i32_e32 vcc, -1, v0
	v_cndmask_b32_e64 v16, v3, -1, vcc
	s_waitcnt lgkmcnt(0)
	v_cmp_ne_u32_e32 vcc, s8, v18
	v_cndmask_b32_e32 v41, v3, v18, vcc
	v_cmp_lt_i32_e32 vcc, -1, v18
	v_cndmask_b32_e64 v42, v3, -1, vcc
	v_cmp_ne_u32_e32 vcc, s8, v19
	v_cndmask_b32_e32 v43, v3, v19, vcc
	v_cmp_lt_i32_e32 vcc, -1, v19
	v_lshrrev_b32_e32 v15, s44, v15
	v_cndmask_b32_e64 v44, v3, -1, vcc
	v_xor_b32_e32 v16, v16, v0
	v_lshrrev_b32_e32 v0, s44, v41
	v_and_b32_e32 v15, s16, v15
	s_cselect_b64 vcc, -1, 0
	s_cmp_eq_u32 s15, 1
	v_xor_b32_e32 v41, v42, v18
	v_lshrrev_b32_e32 v18, s44, v43
	v_and_b32_e32 v43, s16, v0
	v_cndmask_b32_e32 v40, v40, v15, vcc
	s_cselect_b64 vcc, -1, 0
	s_cmp_eq_u32 s15, 2
	v_xor_b32_e32 v42, v44, v19
	v_and_b32_e32 v44, s16, v18
	v_lshlrev_b32_e32 v0, 2, v15
	v_cndmask_b32_e32 v39, v39, v15, vcc
	v_lshlrev_b32_e32 v18, 2, v43
	s_cselect_b64 vcc, -1, 0
	s_cmp_eq_u32 s15, 3
	v_lshlrev_b32_e32 v19, 2, v44
	v_cndmask_b32_e32 v38, v38, v15, vcc
	ds_read_b32 v45, v18
	ds_read_b32 v46, v19
	ds_read_b32 v0, v0
	ds_read_b32 v47, v2 offset:12288
	s_cselect_b64 vcc, -1, 0
	s_cmp_eq_u32 s15, 4
	v_cndmask_b32_e32 v37, v37, v15, vcc
	s_cselect_b64 vcc, -1, 0
	s_cmp_eq_u32 s15, 5
	v_cndmask_b32_e32 v36, v36, v15, vcc
	;; [unrolled: 3-line block ×4, first 2 shown]
	s_cselect_b64 vcc, -1, 0
	s_waitcnt lgkmcnt(1)
	v_add_u32_e32 v0, v5, v0
	v_cndmask_b32_e32 v15, v28, v15, vcc
	s_waitcnt lgkmcnt(0)
	v_cmp_ne_u32_e32 vcc, s8, v47
	v_cndmask_b32_e32 v28, v3, v47, vcc
	v_cmp_lt_i32_e32 vcc, -1, v47
	v_lshlrev_b64 v[18:19], 2, v[0:1]
	s_or_b32 s17, s15, 1
	v_cndmask_b32_e64 v34, v3, -1, vcc
	v_add_co_u32_e32 v18, vcc, s38, v18
	v_add3_u32 v0, v5, v45, s4
	s_cmp_eq_u32 s17, 7
	v_addc_co_u32_e32 v19, vcc, v4, v19, vcc
	v_xor_b32_e32 v45, v34, v47
	v_lshlrev_b64 v[34:35], 2, v[0:1]
	s_cselect_b64 vcc, -1, 0
	v_cndmask_b32_e32 v15, v15, v43, vcc
	global_store_dword v[18:19], v16, off
	v_add_co_u32_e32 v18, vcc, s38, v34
	s_cmp_eq_u32 s17, 6
	v_addc_co_u32_e32 v19, vcc, v4, v35, vcc
	v_add3_u32 v0, v5, v46, s9
	s_cselect_b64 vcc, -1, 0
	s_cmp_eq_u32 s17, 5
	v_lshrrev_b32_e32 v28, s44, v28
	v_cndmask_b32_e32 v16, v49, v43, vcc
	v_lshlrev_b64 v[34:35], 2, v[0:1]
	s_cselect_b64 vcc, -1, 0
	v_and_b32_e32 v46, s16, v28
	global_store_dword v[18:19], v41, off
	v_cndmask_b32_e32 v28, v48, v43, vcc
	v_add_co_u32_e32 v18, vcc, s38, v34
	v_lshlrev_b32_e32 v0, 2, v46
	s_cmp_eq_u32 s17, 4
	v_addc_co_u32_e32 v19, vcc, v4, v35, vcc
	ds_read_b32 v0, v0
	s_cselect_b64 vcc, -1, 0
	s_cmp_eq_u32 s17, 3
	v_cndmask_b32_e32 v34, v36, v43, vcc
	s_cselect_b64 vcc, -1, 0
	s_cmp_eq_u32 s17, 2
	v_cndmask_b32_e32 v35, v37, v43, vcc
	;; [unrolled: 3-line block ×4, first 2 shown]
	s_cselect_b64 vcc, -1, 0
	s_or_b32 s17, s15, 2
	s_waitcnt lgkmcnt(0)
	v_add3_u32 v0, v5, v0, s14
	s_cmp_eq_u32 s17, 0
	global_store_dword v[18:19], v42, off
	v_cndmask_b32_e32 v38, v40, v43, vcc
	v_lshlrev_b64 v[18:19], 2, v[0:1]
	s_cselect_b64 vcc, -1, 0
	v_cndmask_b32_e32 v0, v38, v44, vcc
	v_add_co_u32_e32 v18, vcc, s38, v18
	s_cmp_eq_u32 s17, 1
	v_addc_co_u32_e32 v19, vcc, v4, v19, vcc
	s_cselect_b64 vcc, -1, 0
	s_cmp_eq_u32 s17, 2
	v_cndmask_b32_e32 v39, v37, v44, vcc
	s_cselect_b64 vcc, -1, 0
	s_cmp_eq_u32 s17, 3
	global_store_dword v[18:19], v45, off
	v_cndmask_b32_e32 v18, v36, v44, vcc
	s_cselect_b64 vcc, -1, 0
	s_cmp_eq_u32 s17, 4
	v_cndmask_b32_e32 v19, v35, v44, vcc
	s_cselect_b64 vcc, -1, 0
	s_cmp_eq_u32 s17, 5
	;; [unrolled: 3-line block ×4, first 2 shown]
	v_cndmask_b32_e32 v16, v16, v44, vcc
	s_cselect_b64 vcc, -1, 0
	s_or_b32 s17, s15, 3
	s_cmp_eq_u32 s17, 7
	v_cndmask_b32_e32 v15, v15, v44, vcc
	s_cselect_b64 vcc, -1, 0
	s_cmp_eq_u32 s17, 6
	v_cndmask_b32_e32 v28, v15, v46, vcc
	s_cselect_b64 vcc, -1, 0
	;; [unrolled: 3-line block ×8, first 2 shown]
	v_add_u32_e32 v5, 0x1000, v5
	s_mov_b32 s15, 4
	v_cndmask_b32_e32 v40, v0, v46, vcc
	s_addk_i32 s5, 0xf000
	s_and_b64 vcc, exec, s[2:3]
	s_mov_b64 s[2:3], 0
	s_barrier
	s_cbranch_vccnz .LBB1874_119
; %bb.120:
	s_lshl_b64 s[2:3], s[12:13], 3
	s_add_u32 s2, s40, s2
	s_addc_u32 s3, s41, s3
	v_lshlrev_b32_e32 v0, 3, v7
	v_mov_b32_e32 v1, s3
	v_add_co_u32_e32 v0, vcc, s2, v0
	v_addc_co_u32_e32 v1, vcc, 0, v1, vcc
	v_lshlrev_b32_e32 v2, 3, v6
	v_add_co_u32_e32 v18, vcc, v0, v2
	v_addc_co_u32_e32 v19, vcc, 0, v1, vcc
	global_load_dwordx2 v[0:1], v[18:19], off
	global_load_dwordx2 v[2:3], v[18:19], off offset:512
	global_load_dwordx2 v[4:5], v[18:19], off offset:1024
	;; [unrolled: 1-line block ×7, first 2 shown]
	s_mov_b32 s2, 0
	s_movk_i32 s3, 0x400
	v_add_u32_e32 v21, 0x400, v11
	s_mov_b32 s4, 1
	v_mov_b32_e32 v19, 0
	v_mov_b32_e32 v25, v10
	s_waitcnt vmcnt(0)
.LBB1874_121:                           ; =>This Inner Loop Header: Depth=1
	s_add_i32 s5, s4, -1
	v_add_u32_e32 v18, s2, v27
	s_cmp_eq_u32 s5, 1
	v_add_u32_e32 v31, s2, v23
	v_add_u32_e32 v41, s2, v20
	;; [unrolled: 1-line block ×7, first 2 shown]
	v_min_u32_e32 v18, 0x800, v18
	s_cselect_b64 vcc, -1, 0
	s_cmp_eq_u32 s5, 2
	v_min_u32_e32 v31, 0x800, v31
	v_min_u32_e32 v41, 0x800, v41
	;; [unrolled: 1-line block ×7, first 2 shown]
	v_lshlrev_b32_e32 v18, 3, v18
	v_cndmask_b32_e32 v47, v40, v39, vcc
	s_cselect_b64 vcc, -1, 0
	s_cmp_eq_u32 s5, 3
	v_lshlrev_b32_e32 v31, 3, v31
	v_lshlrev_b32_e32 v41, 3, v41
	;; [unrolled: 1-line block ×7, first 2 shown]
	ds_write_b64 v18, v[0:1] offset:1024
	ds_write_b64 v31, v[2:3] offset:1024
	;; [unrolled: 1-line block ×8, first 2 shown]
	v_cndmask_b32_e32 v18, v47, v38, vcc
	s_cselect_b64 vcc, -1, 0
	s_cmp_eq_u32 s5, 4
	v_cndmask_b32_e32 v18, v18, v37, vcc
	s_cselect_b64 vcc, -1, 0
	s_cmp_eq_u32 s5, 5
	;; [unrolled: 3-line block ×10, first 2 shown]
	v_lshlrev_b32_e32 v18, 2, v18
	v_cndmask_b32_e32 v31, v31, v35, vcc
	s_cselect_b64 vcc, -1, 0
	s_cmp_eq_u32 s4, 7
	s_waitcnt lgkmcnt(0)
	s_barrier
	ds_read_b64 v[42:43], v11 offset:1024
	ds_read_b32 v18, v18
	ds_read_b64 v[44:45], v21 offset:8192
	v_cndmask_b32_e32 v31, v31, v34, vcc
	s_cselect_b64 vcc, -1, 0
	v_cndmask_b32_e32 v31, v31, v28, vcc
	v_lshlrev_b32_e32 v31, 2, v31
	ds_read_b32 v31, v31
	s_waitcnt lgkmcnt(2)
	v_add_u32_e32 v18, v25, v18
	v_lshlrev_b64 v[46:47], 3, v[18:19]
	v_mov_b32_e32 v48, s43
	v_add_co_u32_e32 v46, vcc, s42, v46
	v_addc_co_u32_e32 v47, vcc, v48, v47, vcc
	s_waitcnt lgkmcnt(0)
	v_add3_u32 v18, v25, v31, s3
	global_store_dwordx2 v[46:47], v[42:43], off
	v_lshlrev_b64 v[42:43], 3, v[18:19]
	s_addk_i32 s2, 0xf800
	s_add_i32 s4, s4, 2
	v_add_co_u32_e32 v42, vcc, s42, v42
	s_cmpk_lg_i32 s2, 0xe000
	v_add_u32_e32 v25, 0x800, v25
	v_addc_co_u32_e32 v43, vcc, v48, v43, vcc
	global_store_dwordx2 v[42:43], v[44:45], off
	s_barrier
	s_cbranch_scc1 .LBB1874_121
; %bb.122:
	s_add_i32 s7, s7, -1
	s_cmp_eq_u32 s7, s6
	s_cselect_b64 s[2:3], -1, 0
	s_and_b64 s[2:3], s[0:1], s[2:3]
                                        ; implicit-def: $vgpr2
	s_and_saveexec_b64 s[0:1], s[2:3]
; %bb.123:
	v_add_u32_e32 v2, v22, v26
	s_or_b64 s[10:11], s[10:11], exec
; %bb.124:
	s_or_b64 exec, exec, s[0:1]
.LBB1874_125:
	s_and_saveexec_b64 s[0:1], s[10:11]
	s_cbranch_execnz .LBB1874_127
; %bb.126:
	s_endpgm
.LBB1874_127:
	v_lshlrev_b32_e32 v3, 2, v10
	ds_read_b32 v3, v3
	v_mov_b32_e32 v11, 0
	v_lshlrev_b64 v[0:1], 2, v[10:11]
	v_mov_b32_e32 v4, s31
	v_add_co_u32_e32 v0, vcc, s30, v0
	v_addc_co_u32_e32 v1, vcc, v4, v1, vcc
	s_waitcnt lgkmcnt(0)
	v_add_u32_e32 v2, v3, v2
	global_store_dword v[0:1], v2, off
	s_endpgm
.LBB1874_128:
	global_load_dwordx2 v[12:13], v[28:29], off
	s_or_b64 exec, exec, s[20:21]
                                        ; implicit-def: $vgpr14_vgpr15
	s_and_saveexec_b64 s[0:1], s[2:3]
	s_cbranch_execz .LBB1874_66
.LBB1874_129:
	global_load_dwordx2 v[14:15], v[28:29], off offset:512
	s_or_b64 exec, exec, s[0:1]
                                        ; implicit-def: $vgpr16_vgpr17
	s_and_saveexec_b64 s[0:1], s[24:25]
	s_cbranch_execz .LBB1874_67
.LBB1874_130:
	global_load_dwordx2 v[16:17], v[28:29], off offset:1024
	s_or_b64 exec, exec, s[0:1]
                                        ; implicit-def: $vgpr18_vgpr19
	s_and_saveexec_b64 s[0:1], s[8:9]
	s_cbranch_execz .LBB1874_68
.LBB1874_131:
	global_load_dwordx2 v[18:19], v[28:29], off offset:1536
	s_or_b64 exec, exec, s[0:1]
                                        ; implicit-def: $vgpr20_vgpr21
	s_and_saveexec_b64 s[0:1], s[10:11]
	s_cbranch_execz .LBB1874_69
.LBB1874_132:
	global_load_dwordx2 v[20:21], v[28:29], off offset:2048
	s_or_b64 exec, exec, s[0:1]
                                        ; implicit-def: $vgpr22_vgpr23
	s_and_saveexec_b64 s[0:1], s[12:13]
	s_cbranch_execz .LBB1874_70
.LBB1874_133:
	global_load_dwordx2 v[22:23], v[28:29], off offset:2560
	s_or_b64 exec, exec, s[0:1]
                                        ; implicit-def: $vgpr24_vgpr25
	s_and_saveexec_b64 s[0:1], s[14:15]
	s_cbranch_execz .LBB1874_71
.LBB1874_134:
	global_load_dwordx2 v[24:25], v[28:29], off offset:3072
	s_or_b64 exec, exec, s[0:1]
                                        ; implicit-def: $vgpr26_vgpr27
	s_and_saveexec_b64 s[0:1], s[16:17]
	s_cbranch_execnz .LBB1874_72
	s_branch .LBB1874_73
	.section	.rodata,"a",@progbits
	.p2align	6, 0x0
	.amdhsa_kernel _ZN7rocprim17ROCPRIM_400000_NS6detail17trampoline_kernelINS0_14default_configENS1_35radix_sort_onesweep_config_selectorIflEEZZNS1_29radix_sort_onesweep_iterationIS3_Lb0EPfS7_N6thrust23THRUST_200600_302600_NS10device_ptrIlEESB_jNS0_19identity_decomposerENS1_16block_id_wrapperIjLb0EEEEE10hipError_tT1_PNSt15iterator_traitsISG_E10value_typeET2_T3_PNSH_ISM_E10value_typeET4_T5_PSR_SS_PNS1_23onesweep_lookback_stateEbbT6_jjT7_P12ihipStream_tbENKUlT_T0_SG_SL_E_clIS7_S7_SB_PlEEDaSZ_S10_SG_SL_EUlSZ_E_NS1_11comp_targetILNS1_3genE4ELNS1_11target_archE910ELNS1_3gpuE8ELNS1_3repE0EEENS1_47radix_sort_onesweep_sort_config_static_selectorELNS0_4arch9wavefront6targetE1EEEvSG_
		.amdhsa_group_segment_fixed_size 20552
		.amdhsa_private_segment_fixed_size 0
		.amdhsa_kernarg_size 344
		.amdhsa_user_sgpr_count 6
		.amdhsa_user_sgpr_private_segment_buffer 1
		.amdhsa_user_sgpr_dispatch_ptr 0
		.amdhsa_user_sgpr_queue_ptr 0
		.amdhsa_user_sgpr_kernarg_segment_ptr 1
		.amdhsa_user_sgpr_dispatch_id 0
		.amdhsa_user_sgpr_flat_scratch_init 0
		.amdhsa_user_sgpr_kernarg_preload_length 0
		.amdhsa_user_sgpr_kernarg_preload_offset 0
		.amdhsa_user_sgpr_private_segment_size 0
		.amdhsa_uses_dynamic_stack 0
		.amdhsa_system_sgpr_private_segment_wavefront_offset 0
		.amdhsa_system_sgpr_workgroup_id_x 1
		.amdhsa_system_sgpr_workgroup_id_y 0
		.amdhsa_system_sgpr_workgroup_id_z 0
		.amdhsa_system_sgpr_workgroup_info 0
		.amdhsa_system_vgpr_workitem_id 2
		.amdhsa_next_free_vgpr 65
		.amdhsa_next_free_sgpr 54
		.amdhsa_accum_offset 68
		.amdhsa_reserve_vcc 1
		.amdhsa_reserve_flat_scratch 0
		.amdhsa_float_round_mode_32 0
		.amdhsa_float_round_mode_16_64 0
		.amdhsa_float_denorm_mode_32 3
		.amdhsa_float_denorm_mode_16_64 3
		.amdhsa_dx10_clamp 1
		.amdhsa_ieee_mode 1
		.amdhsa_fp16_overflow 0
		.amdhsa_tg_split 0
		.amdhsa_exception_fp_ieee_invalid_op 0
		.amdhsa_exception_fp_denorm_src 0
		.amdhsa_exception_fp_ieee_div_zero 0
		.amdhsa_exception_fp_ieee_overflow 0
		.amdhsa_exception_fp_ieee_underflow 0
		.amdhsa_exception_fp_ieee_inexact 0
		.amdhsa_exception_int_div_zero 0
	.end_amdhsa_kernel
	.section	.text._ZN7rocprim17ROCPRIM_400000_NS6detail17trampoline_kernelINS0_14default_configENS1_35radix_sort_onesweep_config_selectorIflEEZZNS1_29radix_sort_onesweep_iterationIS3_Lb0EPfS7_N6thrust23THRUST_200600_302600_NS10device_ptrIlEESB_jNS0_19identity_decomposerENS1_16block_id_wrapperIjLb0EEEEE10hipError_tT1_PNSt15iterator_traitsISG_E10value_typeET2_T3_PNSH_ISM_E10value_typeET4_T5_PSR_SS_PNS1_23onesweep_lookback_stateEbbT6_jjT7_P12ihipStream_tbENKUlT_T0_SG_SL_E_clIS7_S7_SB_PlEEDaSZ_S10_SG_SL_EUlSZ_E_NS1_11comp_targetILNS1_3genE4ELNS1_11target_archE910ELNS1_3gpuE8ELNS1_3repE0EEENS1_47radix_sort_onesweep_sort_config_static_selectorELNS0_4arch9wavefront6targetE1EEEvSG_,"axG",@progbits,_ZN7rocprim17ROCPRIM_400000_NS6detail17trampoline_kernelINS0_14default_configENS1_35radix_sort_onesweep_config_selectorIflEEZZNS1_29radix_sort_onesweep_iterationIS3_Lb0EPfS7_N6thrust23THRUST_200600_302600_NS10device_ptrIlEESB_jNS0_19identity_decomposerENS1_16block_id_wrapperIjLb0EEEEE10hipError_tT1_PNSt15iterator_traitsISG_E10value_typeET2_T3_PNSH_ISM_E10value_typeET4_T5_PSR_SS_PNS1_23onesweep_lookback_stateEbbT6_jjT7_P12ihipStream_tbENKUlT_T0_SG_SL_E_clIS7_S7_SB_PlEEDaSZ_S10_SG_SL_EUlSZ_E_NS1_11comp_targetILNS1_3genE4ELNS1_11target_archE910ELNS1_3gpuE8ELNS1_3repE0EEENS1_47radix_sort_onesweep_sort_config_static_selectorELNS0_4arch9wavefront6targetE1EEEvSG_,comdat
.Lfunc_end1874:
	.size	_ZN7rocprim17ROCPRIM_400000_NS6detail17trampoline_kernelINS0_14default_configENS1_35radix_sort_onesweep_config_selectorIflEEZZNS1_29radix_sort_onesweep_iterationIS3_Lb0EPfS7_N6thrust23THRUST_200600_302600_NS10device_ptrIlEESB_jNS0_19identity_decomposerENS1_16block_id_wrapperIjLb0EEEEE10hipError_tT1_PNSt15iterator_traitsISG_E10value_typeET2_T3_PNSH_ISM_E10value_typeET4_T5_PSR_SS_PNS1_23onesweep_lookback_stateEbbT6_jjT7_P12ihipStream_tbENKUlT_T0_SG_SL_E_clIS7_S7_SB_PlEEDaSZ_S10_SG_SL_EUlSZ_E_NS1_11comp_targetILNS1_3genE4ELNS1_11target_archE910ELNS1_3gpuE8ELNS1_3repE0EEENS1_47radix_sort_onesweep_sort_config_static_selectorELNS0_4arch9wavefront6targetE1EEEvSG_, .Lfunc_end1874-_ZN7rocprim17ROCPRIM_400000_NS6detail17trampoline_kernelINS0_14default_configENS1_35radix_sort_onesweep_config_selectorIflEEZZNS1_29radix_sort_onesweep_iterationIS3_Lb0EPfS7_N6thrust23THRUST_200600_302600_NS10device_ptrIlEESB_jNS0_19identity_decomposerENS1_16block_id_wrapperIjLb0EEEEE10hipError_tT1_PNSt15iterator_traitsISG_E10value_typeET2_T3_PNSH_ISM_E10value_typeET4_T5_PSR_SS_PNS1_23onesweep_lookback_stateEbbT6_jjT7_P12ihipStream_tbENKUlT_T0_SG_SL_E_clIS7_S7_SB_PlEEDaSZ_S10_SG_SL_EUlSZ_E_NS1_11comp_targetILNS1_3genE4ELNS1_11target_archE910ELNS1_3gpuE8ELNS1_3repE0EEENS1_47radix_sort_onesweep_sort_config_static_selectorELNS0_4arch9wavefront6targetE1EEEvSG_
                                        ; -- End function
	.section	.AMDGPU.csdata,"",@progbits
; Kernel info:
; codeLenInByte = 13444
; NumSgprs: 58
; NumVgprs: 65
; NumAgprs: 0
; TotalNumVgprs: 65
; ScratchSize: 0
; MemoryBound: 0
; FloatMode: 240
; IeeeMode: 1
; LDSByteSize: 20552 bytes/workgroup (compile time only)
; SGPRBlocks: 7
; VGPRBlocks: 8
; NumSGPRsForWavesPerEU: 58
; NumVGPRsForWavesPerEU: 65
; AccumOffset: 68
; Occupancy: 7
; WaveLimiterHint : 1
; COMPUTE_PGM_RSRC2:SCRATCH_EN: 0
; COMPUTE_PGM_RSRC2:USER_SGPR: 6
; COMPUTE_PGM_RSRC2:TRAP_HANDLER: 0
; COMPUTE_PGM_RSRC2:TGID_X_EN: 1
; COMPUTE_PGM_RSRC2:TGID_Y_EN: 0
; COMPUTE_PGM_RSRC2:TGID_Z_EN: 0
; COMPUTE_PGM_RSRC2:TIDIG_COMP_CNT: 2
; COMPUTE_PGM_RSRC3_GFX90A:ACCUM_OFFSET: 16
; COMPUTE_PGM_RSRC3_GFX90A:TG_SPLIT: 0
	.section	.text._ZN7rocprim17ROCPRIM_400000_NS6detail17trampoline_kernelINS0_14default_configENS1_35radix_sort_onesweep_config_selectorIflEEZZNS1_29radix_sort_onesweep_iterationIS3_Lb0EPfS7_N6thrust23THRUST_200600_302600_NS10device_ptrIlEESB_jNS0_19identity_decomposerENS1_16block_id_wrapperIjLb0EEEEE10hipError_tT1_PNSt15iterator_traitsISG_E10value_typeET2_T3_PNSH_ISM_E10value_typeET4_T5_PSR_SS_PNS1_23onesweep_lookback_stateEbbT6_jjT7_P12ihipStream_tbENKUlT_T0_SG_SL_E_clIS7_S7_SB_PlEEDaSZ_S10_SG_SL_EUlSZ_E_NS1_11comp_targetILNS1_3genE3ELNS1_11target_archE908ELNS1_3gpuE7ELNS1_3repE0EEENS1_47radix_sort_onesweep_sort_config_static_selectorELNS0_4arch9wavefront6targetE1EEEvSG_,"axG",@progbits,_ZN7rocprim17ROCPRIM_400000_NS6detail17trampoline_kernelINS0_14default_configENS1_35radix_sort_onesweep_config_selectorIflEEZZNS1_29radix_sort_onesweep_iterationIS3_Lb0EPfS7_N6thrust23THRUST_200600_302600_NS10device_ptrIlEESB_jNS0_19identity_decomposerENS1_16block_id_wrapperIjLb0EEEEE10hipError_tT1_PNSt15iterator_traitsISG_E10value_typeET2_T3_PNSH_ISM_E10value_typeET4_T5_PSR_SS_PNS1_23onesweep_lookback_stateEbbT6_jjT7_P12ihipStream_tbENKUlT_T0_SG_SL_E_clIS7_S7_SB_PlEEDaSZ_S10_SG_SL_EUlSZ_E_NS1_11comp_targetILNS1_3genE3ELNS1_11target_archE908ELNS1_3gpuE7ELNS1_3repE0EEENS1_47radix_sort_onesweep_sort_config_static_selectorELNS0_4arch9wavefront6targetE1EEEvSG_,comdat
	.protected	_ZN7rocprim17ROCPRIM_400000_NS6detail17trampoline_kernelINS0_14default_configENS1_35radix_sort_onesweep_config_selectorIflEEZZNS1_29radix_sort_onesweep_iterationIS3_Lb0EPfS7_N6thrust23THRUST_200600_302600_NS10device_ptrIlEESB_jNS0_19identity_decomposerENS1_16block_id_wrapperIjLb0EEEEE10hipError_tT1_PNSt15iterator_traitsISG_E10value_typeET2_T3_PNSH_ISM_E10value_typeET4_T5_PSR_SS_PNS1_23onesweep_lookback_stateEbbT6_jjT7_P12ihipStream_tbENKUlT_T0_SG_SL_E_clIS7_S7_SB_PlEEDaSZ_S10_SG_SL_EUlSZ_E_NS1_11comp_targetILNS1_3genE3ELNS1_11target_archE908ELNS1_3gpuE7ELNS1_3repE0EEENS1_47radix_sort_onesweep_sort_config_static_selectorELNS0_4arch9wavefront6targetE1EEEvSG_ ; -- Begin function _ZN7rocprim17ROCPRIM_400000_NS6detail17trampoline_kernelINS0_14default_configENS1_35radix_sort_onesweep_config_selectorIflEEZZNS1_29radix_sort_onesweep_iterationIS3_Lb0EPfS7_N6thrust23THRUST_200600_302600_NS10device_ptrIlEESB_jNS0_19identity_decomposerENS1_16block_id_wrapperIjLb0EEEEE10hipError_tT1_PNSt15iterator_traitsISG_E10value_typeET2_T3_PNSH_ISM_E10value_typeET4_T5_PSR_SS_PNS1_23onesweep_lookback_stateEbbT6_jjT7_P12ihipStream_tbENKUlT_T0_SG_SL_E_clIS7_S7_SB_PlEEDaSZ_S10_SG_SL_EUlSZ_E_NS1_11comp_targetILNS1_3genE3ELNS1_11target_archE908ELNS1_3gpuE7ELNS1_3repE0EEENS1_47radix_sort_onesweep_sort_config_static_selectorELNS0_4arch9wavefront6targetE1EEEvSG_
	.globl	_ZN7rocprim17ROCPRIM_400000_NS6detail17trampoline_kernelINS0_14default_configENS1_35radix_sort_onesweep_config_selectorIflEEZZNS1_29radix_sort_onesweep_iterationIS3_Lb0EPfS7_N6thrust23THRUST_200600_302600_NS10device_ptrIlEESB_jNS0_19identity_decomposerENS1_16block_id_wrapperIjLb0EEEEE10hipError_tT1_PNSt15iterator_traitsISG_E10value_typeET2_T3_PNSH_ISM_E10value_typeET4_T5_PSR_SS_PNS1_23onesweep_lookback_stateEbbT6_jjT7_P12ihipStream_tbENKUlT_T0_SG_SL_E_clIS7_S7_SB_PlEEDaSZ_S10_SG_SL_EUlSZ_E_NS1_11comp_targetILNS1_3genE3ELNS1_11target_archE908ELNS1_3gpuE7ELNS1_3repE0EEENS1_47radix_sort_onesweep_sort_config_static_selectorELNS0_4arch9wavefront6targetE1EEEvSG_
	.p2align	8
	.type	_ZN7rocprim17ROCPRIM_400000_NS6detail17trampoline_kernelINS0_14default_configENS1_35radix_sort_onesweep_config_selectorIflEEZZNS1_29radix_sort_onesweep_iterationIS3_Lb0EPfS7_N6thrust23THRUST_200600_302600_NS10device_ptrIlEESB_jNS0_19identity_decomposerENS1_16block_id_wrapperIjLb0EEEEE10hipError_tT1_PNSt15iterator_traitsISG_E10value_typeET2_T3_PNSH_ISM_E10value_typeET4_T5_PSR_SS_PNS1_23onesweep_lookback_stateEbbT6_jjT7_P12ihipStream_tbENKUlT_T0_SG_SL_E_clIS7_S7_SB_PlEEDaSZ_S10_SG_SL_EUlSZ_E_NS1_11comp_targetILNS1_3genE3ELNS1_11target_archE908ELNS1_3gpuE7ELNS1_3repE0EEENS1_47radix_sort_onesweep_sort_config_static_selectorELNS0_4arch9wavefront6targetE1EEEvSG_,@function
_ZN7rocprim17ROCPRIM_400000_NS6detail17trampoline_kernelINS0_14default_configENS1_35radix_sort_onesweep_config_selectorIflEEZZNS1_29radix_sort_onesweep_iterationIS3_Lb0EPfS7_N6thrust23THRUST_200600_302600_NS10device_ptrIlEESB_jNS0_19identity_decomposerENS1_16block_id_wrapperIjLb0EEEEE10hipError_tT1_PNSt15iterator_traitsISG_E10value_typeET2_T3_PNSH_ISM_E10value_typeET4_T5_PSR_SS_PNS1_23onesweep_lookback_stateEbbT6_jjT7_P12ihipStream_tbENKUlT_T0_SG_SL_E_clIS7_S7_SB_PlEEDaSZ_S10_SG_SL_EUlSZ_E_NS1_11comp_targetILNS1_3genE3ELNS1_11target_archE908ELNS1_3gpuE7ELNS1_3repE0EEENS1_47radix_sort_onesweep_sort_config_static_selectorELNS0_4arch9wavefront6targetE1EEEvSG_: ; @_ZN7rocprim17ROCPRIM_400000_NS6detail17trampoline_kernelINS0_14default_configENS1_35radix_sort_onesweep_config_selectorIflEEZZNS1_29radix_sort_onesweep_iterationIS3_Lb0EPfS7_N6thrust23THRUST_200600_302600_NS10device_ptrIlEESB_jNS0_19identity_decomposerENS1_16block_id_wrapperIjLb0EEEEE10hipError_tT1_PNSt15iterator_traitsISG_E10value_typeET2_T3_PNSH_ISM_E10value_typeET4_T5_PSR_SS_PNS1_23onesweep_lookback_stateEbbT6_jjT7_P12ihipStream_tbENKUlT_T0_SG_SL_E_clIS7_S7_SB_PlEEDaSZ_S10_SG_SL_EUlSZ_E_NS1_11comp_targetILNS1_3genE3ELNS1_11target_archE908ELNS1_3gpuE7ELNS1_3repE0EEENS1_47radix_sort_onesweep_sort_config_static_selectorELNS0_4arch9wavefront6targetE1EEEvSG_
; %bb.0:
	.section	.rodata,"a",@progbits
	.p2align	6, 0x0
	.amdhsa_kernel _ZN7rocprim17ROCPRIM_400000_NS6detail17trampoline_kernelINS0_14default_configENS1_35radix_sort_onesweep_config_selectorIflEEZZNS1_29radix_sort_onesweep_iterationIS3_Lb0EPfS7_N6thrust23THRUST_200600_302600_NS10device_ptrIlEESB_jNS0_19identity_decomposerENS1_16block_id_wrapperIjLb0EEEEE10hipError_tT1_PNSt15iterator_traitsISG_E10value_typeET2_T3_PNSH_ISM_E10value_typeET4_T5_PSR_SS_PNS1_23onesweep_lookback_stateEbbT6_jjT7_P12ihipStream_tbENKUlT_T0_SG_SL_E_clIS7_S7_SB_PlEEDaSZ_S10_SG_SL_EUlSZ_E_NS1_11comp_targetILNS1_3genE3ELNS1_11target_archE908ELNS1_3gpuE7ELNS1_3repE0EEENS1_47radix_sort_onesweep_sort_config_static_selectorELNS0_4arch9wavefront6targetE1EEEvSG_
		.amdhsa_group_segment_fixed_size 0
		.amdhsa_private_segment_fixed_size 0
		.amdhsa_kernarg_size 88
		.amdhsa_user_sgpr_count 6
		.amdhsa_user_sgpr_private_segment_buffer 1
		.amdhsa_user_sgpr_dispatch_ptr 0
		.amdhsa_user_sgpr_queue_ptr 0
		.amdhsa_user_sgpr_kernarg_segment_ptr 1
		.amdhsa_user_sgpr_dispatch_id 0
		.amdhsa_user_sgpr_flat_scratch_init 0
		.amdhsa_user_sgpr_kernarg_preload_length 0
		.amdhsa_user_sgpr_kernarg_preload_offset 0
		.amdhsa_user_sgpr_private_segment_size 0
		.amdhsa_uses_dynamic_stack 0
		.amdhsa_system_sgpr_private_segment_wavefront_offset 0
		.amdhsa_system_sgpr_workgroup_id_x 1
		.amdhsa_system_sgpr_workgroup_id_y 0
		.amdhsa_system_sgpr_workgroup_id_z 0
		.amdhsa_system_sgpr_workgroup_info 0
		.amdhsa_system_vgpr_workitem_id 0
		.amdhsa_next_free_vgpr 1
		.amdhsa_next_free_sgpr 0
		.amdhsa_accum_offset 4
		.amdhsa_reserve_vcc 0
		.amdhsa_reserve_flat_scratch 0
		.amdhsa_float_round_mode_32 0
		.amdhsa_float_round_mode_16_64 0
		.amdhsa_float_denorm_mode_32 3
		.amdhsa_float_denorm_mode_16_64 3
		.amdhsa_dx10_clamp 1
		.amdhsa_ieee_mode 1
		.amdhsa_fp16_overflow 0
		.amdhsa_tg_split 0
		.amdhsa_exception_fp_ieee_invalid_op 0
		.amdhsa_exception_fp_denorm_src 0
		.amdhsa_exception_fp_ieee_div_zero 0
		.amdhsa_exception_fp_ieee_overflow 0
		.amdhsa_exception_fp_ieee_underflow 0
		.amdhsa_exception_fp_ieee_inexact 0
		.amdhsa_exception_int_div_zero 0
	.end_amdhsa_kernel
	.section	.text._ZN7rocprim17ROCPRIM_400000_NS6detail17trampoline_kernelINS0_14default_configENS1_35radix_sort_onesweep_config_selectorIflEEZZNS1_29radix_sort_onesweep_iterationIS3_Lb0EPfS7_N6thrust23THRUST_200600_302600_NS10device_ptrIlEESB_jNS0_19identity_decomposerENS1_16block_id_wrapperIjLb0EEEEE10hipError_tT1_PNSt15iterator_traitsISG_E10value_typeET2_T3_PNSH_ISM_E10value_typeET4_T5_PSR_SS_PNS1_23onesweep_lookback_stateEbbT6_jjT7_P12ihipStream_tbENKUlT_T0_SG_SL_E_clIS7_S7_SB_PlEEDaSZ_S10_SG_SL_EUlSZ_E_NS1_11comp_targetILNS1_3genE3ELNS1_11target_archE908ELNS1_3gpuE7ELNS1_3repE0EEENS1_47radix_sort_onesweep_sort_config_static_selectorELNS0_4arch9wavefront6targetE1EEEvSG_,"axG",@progbits,_ZN7rocprim17ROCPRIM_400000_NS6detail17trampoline_kernelINS0_14default_configENS1_35radix_sort_onesweep_config_selectorIflEEZZNS1_29radix_sort_onesweep_iterationIS3_Lb0EPfS7_N6thrust23THRUST_200600_302600_NS10device_ptrIlEESB_jNS0_19identity_decomposerENS1_16block_id_wrapperIjLb0EEEEE10hipError_tT1_PNSt15iterator_traitsISG_E10value_typeET2_T3_PNSH_ISM_E10value_typeET4_T5_PSR_SS_PNS1_23onesweep_lookback_stateEbbT6_jjT7_P12ihipStream_tbENKUlT_T0_SG_SL_E_clIS7_S7_SB_PlEEDaSZ_S10_SG_SL_EUlSZ_E_NS1_11comp_targetILNS1_3genE3ELNS1_11target_archE908ELNS1_3gpuE7ELNS1_3repE0EEENS1_47radix_sort_onesweep_sort_config_static_selectorELNS0_4arch9wavefront6targetE1EEEvSG_,comdat
.Lfunc_end1875:
	.size	_ZN7rocprim17ROCPRIM_400000_NS6detail17trampoline_kernelINS0_14default_configENS1_35radix_sort_onesweep_config_selectorIflEEZZNS1_29radix_sort_onesweep_iterationIS3_Lb0EPfS7_N6thrust23THRUST_200600_302600_NS10device_ptrIlEESB_jNS0_19identity_decomposerENS1_16block_id_wrapperIjLb0EEEEE10hipError_tT1_PNSt15iterator_traitsISG_E10value_typeET2_T3_PNSH_ISM_E10value_typeET4_T5_PSR_SS_PNS1_23onesweep_lookback_stateEbbT6_jjT7_P12ihipStream_tbENKUlT_T0_SG_SL_E_clIS7_S7_SB_PlEEDaSZ_S10_SG_SL_EUlSZ_E_NS1_11comp_targetILNS1_3genE3ELNS1_11target_archE908ELNS1_3gpuE7ELNS1_3repE0EEENS1_47radix_sort_onesweep_sort_config_static_selectorELNS0_4arch9wavefront6targetE1EEEvSG_, .Lfunc_end1875-_ZN7rocprim17ROCPRIM_400000_NS6detail17trampoline_kernelINS0_14default_configENS1_35radix_sort_onesweep_config_selectorIflEEZZNS1_29radix_sort_onesweep_iterationIS3_Lb0EPfS7_N6thrust23THRUST_200600_302600_NS10device_ptrIlEESB_jNS0_19identity_decomposerENS1_16block_id_wrapperIjLb0EEEEE10hipError_tT1_PNSt15iterator_traitsISG_E10value_typeET2_T3_PNSH_ISM_E10value_typeET4_T5_PSR_SS_PNS1_23onesweep_lookback_stateEbbT6_jjT7_P12ihipStream_tbENKUlT_T0_SG_SL_E_clIS7_S7_SB_PlEEDaSZ_S10_SG_SL_EUlSZ_E_NS1_11comp_targetILNS1_3genE3ELNS1_11target_archE908ELNS1_3gpuE7ELNS1_3repE0EEENS1_47radix_sort_onesweep_sort_config_static_selectorELNS0_4arch9wavefront6targetE1EEEvSG_
                                        ; -- End function
	.section	.AMDGPU.csdata,"",@progbits
; Kernel info:
; codeLenInByte = 0
; NumSgprs: 4
; NumVgprs: 0
; NumAgprs: 0
; TotalNumVgprs: 0
; ScratchSize: 0
; MemoryBound: 0
; FloatMode: 240
; IeeeMode: 1
; LDSByteSize: 0 bytes/workgroup (compile time only)
; SGPRBlocks: 0
; VGPRBlocks: 0
; NumSGPRsForWavesPerEU: 4
; NumVGPRsForWavesPerEU: 1
; AccumOffset: 4
; Occupancy: 8
; WaveLimiterHint : 0
; COMPUTE_PGM_RSRC2:SCRATCH_EN: 0
; COMPUTE_PGM_RSRC2:USER_SGPR: 6
; COMPUTE_PGM_RSRC2:TRAP_HANDLER: 0
; COMPUTE_PGM_RSRC2:TGID_X_EN: 1
; COMPUTE_PGM_RSRC2:TGID_Y_EN: 0
; COMPUTE_PGM_RSRC2:TGID_Z_EN: 0
; COMPUTE_PGM_RSRC2:TIDIG_COMP_CNT: 0
; COMPUTE_PGM_RSRC3_GFX90A:ACCUM_OFFSET: 0
; COMPUTE_PGM_RSRC3_GFX90A:TG_SPLIT: 0
	.section	.text._ZN7rocprim17ROCPRIM_400000_NS6detail17trampoline_kernelINS0_14default_configENS1_35radix_sort_onesweep_config_selectorIflEEZZNS1_29radix_sort_onesweep_iterationIS3_Lb0EPfS7_N6thrust23THRUST_200600_302600_NS10device_ptrIlEESB_jNS0_19identity_decomposerENS1_16block_id_wrapperIjLb0EEEEE10hipError_tT1_PNSt15iterator_traitsISG_E10value_typeET2_T3_PNSH_ISM_E10value_typeET4_T5_PSR_SS_PNS1_23onesweep_lookback_stateEbbT6_jjT7_P12ihipStream_tbENKUlT_T0_SG_SL_E_clIS7_S7_SB_PlEEDaSZ_S10_SG_SL_EUlSZ_E_NS1_11comp_targetILNS1_3genE10ELNS1_11target_archE1201ELNS1_3gpuE5ELNS1_3repE0EEENS1_47radix_sort_onesweep_sort_config_static_selectorELNS0_4arch9wavefront6targetE1EEEvSG_,"axG",@progbits,_ZN7rocprim17ROCPRIM_400000_NS6detail17trampoline_kernelINS0_14default_configENS1_35radix_sort_onesweep_config_selectorIflEEZZNS1_29radix_sort_onesweep_iterationIS3_Lb0EPfS7_N6thrust23THRUST_200600_302600_NS10device_ptrIlEESB_jNS0_19identity_decomposerENS1_16block_id_wrapperIjLb0EEEEE10hipError_tT1_PNSt15iterator_traitsISG_E10value_typeET2_T3_PNSH_ISM_E10value_typeET4_T5_PSR_SS_PNS1_23onesweep_lookback_stateEbbT6_jjT7_P12ihipStream_tbENKUlT_T0_SG_SL_E_clIS7_S7_SB_PlEEDaSZ_S10_SG_SL_EUlSZ_E_NS1_11comp_targetILNS1_3genE10ELNS1_11target_archE1201ELNS1_3gpuE5ELNS1_3repE0EEENS1_47radix_sort_onesweep_sort_config_static_selectorELNS0_4arch9wavefront6targetE1EEEvSG_,comdat
	.protected	_ZN7rocprim17ROCPRIM_400000_NS6detail17trampoline_kernelINS0_14default_configENS1_35radix_sort_onesweep_config_selectorIflEEZZNS1_29radix_sort_onesweep_iterationIS3_Lb0EPfS7_N6thrust23THRUST_200600_302600_NS10device_ptrIlEESB_jNS0_19identity_decomposerENS1_16block_id_wrapperIjLb0EEEEE10hipError_tT1_PNSt15iterator_traitsISG_E10value_typeET2_T3_PNSH_ISM_E10value_typeET4_T5_PSR_SS_PNS1_23onesweep_lookback_stateEbbT6_jjT7_P12ihipStream_tbENKUlT_T0_SG_SL_E_clIS7_S7_SB_PlEEDaSZ_S10_SG_SL_EUlSZ_E_NS1_11comp_targetILNS1_3genE10ELNS1_11target_archE1201ELNS1_3gpuE5ELNS1_3repE0EEENS1_47radix_sort_onesweep_sort_config_static_selectorELNS0_4arch9wavefront6targetE1EEEvSG_ ; -- Begin function _ZN7rocprim17ROCPRIM_400000_NS6detail17trampoline_kernelINS0_14default_configENS1_35radix_sort_onesweep_config_selectorIflEEZZNS1_29radix_sort_onesweep_iterationIS3_Lb0EPfS7_N6thrust23THRUST_200600_302600_NS10device_ptrIlEESB_jNS0_19identity_decomposerENS1_16block_id_wrapperIjLb0EEEEE10hipError_tT1_PNSt15iterator_traitsISG_E10value_typeET2_T3_PNSH_ISM_E10value_typeET4_T5_PSR_SS_PNS1_23onesweep_lookback_stateEbbT6_jjT7_P12ihipStream_tbENKUlT_T0_SG_SL_E_clIS7_S7_SB_PlEEDaSZ_S10_SG_SL_EUlSZ_E_NS1_11comp_targetILNS1_3genE10ELNS1_11target_archE1201ELNS1_3gpuE5ELNS1_3repE0EEENS1_47radix_sort_onesweep_sort_config_static_selectorELNS0_4arch9wavefront6targetE1EEEvSG_
	.globl	_ZN7rocprim17ROCPRIM_400000_NS6detail17trampoline_kernelINS0_14default_configENS1_35radix_sort_onesweep_config_selectorIflEEZZNS1_29radix_sort_onesweep_iterationIS3_Lb0EPfS7_N6thrust23THRUST_200600_302600_NS10device_ptrIlEESB_jNS0_19identity_decomposerENS1_16block_id_wrapperIjLb0EEEEE10hipError_tT1_PNSt15iterator_traitsISG_E10value_typeET2_T3_PNSH_ISM_E10value_typeET4_T5_PSR_SS_PNS1_23onesweep_lookback_stateEbbT6_jjT7_P12ihipStream_tbENKUlT_T0_SG_SL_E_clIS7_S7_SB_PlEEDaSZ_S10_SG_SL_EUlSZ_E_NS1_11comp_targetILNS1_3genE10ELNS1_11target_archE1201ELNS1_3gpuE5ELNS1_3repE0EEENS1_47radix_sort_onesweep_sort_config_static_selectorELNS0_4arch9wavefront6targetE1EEEvSG_
	.p2align	8
	.type	_ZN7rocprim17ROCPRIM_400000_NS6detail17trampoline_kernelINS0_14default_configENS1_35radix_sort_onesweep_config_selectorIflEEZZNS1_29radix_sort_onesweep_iterationIS3_Lb0EPfS7_N6thrust23THRUST_200600_302600_NS10device_ptrIlEESB_jNS0_19identity_decomposerENS1_16block_id_wrapperIjLb0EEEEE10hipError_tT1_PNSt15iterator_traitsISG_E10value_typeET2_T3_PNSH_ISM_E10value_typeET4_T5_PSR_SS_PNS1_23onesweep_lookback_stateEbbT6_jjT7_P12ihipStream_tbENKUlT_T0_SG_SL_E_clIS7_S7_SB_PlEEDaSZ_S10_SG_SL_EUlSZ_E_NS1_11comp_targetILNS1_3genE10ELNS1_11target_archE1201ELNS1_3gpuE5ELNS1_3repE0EEENS1_47radix_sort_onesweep_sort_config_static_selectorELNS0_4arch9wavefront6targetE1EEEvSG_,@function
_ZN7rocprim17ROCPRIM_400000_NS6detail17trampoline_kernelINS0_14default_configENS1_35radix_sort_onesweep_config_selectorIflEEZZNS1_29radix_sort_onesweep_iterationIS3_Lb0EPfS7_N6thrust23THRUST_200600_302600_NS10device_ptrIlEESB_jNS0_19identity_decomposerENS1_16block_id_wrapperIjLb0EEEEE10hipError_tT1_PNSt15iterator_traitsISG_E10value_typeET2_T3_PNSH_ISM_E10value_typeET4_T5_PSR_SS_PNS1_23onesweep_lookback_stateEbbT6_jjT7_P12ihipStream_tbENKUlT_T0_SG_SL_E_clIS7_S7_SB_PlEEDaSZ_S10_SG_SL_EUlSZ_E_NS1_11comp_targetILNS1_3genE10ELNS1_11target_archE1201ELNS1_3gpuE5ELNS1_3repE0EEENS1_47radix_sort_onesweep_sort_config_static_selectorELNS0_4arch9wavefront6targetE1EEEvSG_: ; @_ZN7rocprim17ROCPRIM_400000_NS6detail17trampoline_kernelINS0_14default_configENS1_35radix_sort_onesweep_config_selectorIflEEZZNS1_29radix_sort_onesweep_iterationIS3_Lb0EPfS7_N6thrust23THRUST_200600_302600_NS10device_ptrIlEESB_jNS0_19identity_decomposerENS1_16block_id_wrapperIjLb0EEEEE10hipError_tT1_PNSt15iterator_traitsISG_E10value_typeET2_T3_PNSH_ISM_E10value_typeET4_T5_PSR_SS_PNS1_23onesweep_lookback_stateEbbT6_jjT7_P12ihipStream_tbENKUlT_T0_SG_SL_E_clIS7_S7_SB_PlEEDaSZ_S10_SG_SL_EUlSZ_E_NS1_11comp_targetILNS1_3genE10ELNS1_11target_archE1201ELNS1_3gpuE5ELNS1_3repE0EEENS1_47radix_sort_onesweep_sort_config_static_selectorELNS0_4arch9wavefront6targetE1EEEvSG_
; %bb.0:
	.section	.rodata,"a",@progbits
	.p2align	6, 0x0
	.amdhsa_kernel _ZN7rocprim17ROCPRIM_400000_NS6detail17trampoline_kernelINS0_14default_configENS1_35radix_sort_onesweep_config_selectorIflEEZZNS1_29radix_sort_onesweep_iterationIS3_Lb0EPfS7_N6thrust23THRUST_200600_302600_NS10device_ptrIlEESB_jNS0_19identity_decomposerENS1_16block_id_wrapperIjLb0EEEEE10hipError_tT1_PNSt15iterator_traitsISG_E10value_typeET2_T3_PNSH_ISM_E10value_typeET4_T5_PSR_SS_PNS1_23onesweep_lookback_stateEbbT6_jjT7_P12ihipStream_tbENKUlT_T0_SG_SL_E_clIS7_S7_SB_PlEEDaSZ_S10_SG_SL_EUlSZ_E_NS1_11comp_targetILNS1_3genE10ELNS1_11target_archE1201ELNS1_3gpuE5ELNS1_3repE0EEENS1_47radix_sort_onesweep_sort_config_static_selectorELNS0_4arch9wavefront6targetE1EEEvSG_
		.amdhsa_group_segment_fixed_size 0
		.amdhsa_private_segment_fixed_size 0
		.amdhsa_kernarg_size 88
		.amdhsa_user_sgpr_count 6
		.amdhsa_user_sgpr_private_segment_buffer 1
		.amdhsa_user_sgpr_dispatch_ptr 0
		.amdhsa_user_sgpr_queue_ptr 0
		.amdhsa_user_sgpr_kernarg_segment_ptr 1
		.amdhsa_user_sgpr_dispatch_id 0
		.amdhsa_user_sgpr_flat_scratch_init 0
		.amdhsa_user_sgpr_kernarg_preload_length 0
		.amdhsa_user_sgpr_kernarg_preload_offset 0
		.amdhsa_user_sgpr_private_segment_size 0
		.amdhsa_uses_dynamic_stack 0
		.amdhsa_system_sgpr_private_segment_wavefront_offset 0
		.amdhsa_system_sgpr_workgroup_id_x 1
		.amdhsa_system_sgpr_workgroup_id_y 0
		.amdhsa_system_sgpr_workgroup_id_z 0
		.amdhsa_system_sgpr_workgroup_info 0
		.amdhsa_system_vgpr_workitem_id 0
		.amdhsa_next_free_vgpr 1
		.amdhsa_next_free_sgpr 0
		.amdhsa_accum_offset 4
		.amdhsa_reserve_vcc 0
		.amdhsa_reserve_flat_scratch 0
		.amdhsa_float_round_mode_32 0
		.amdhsa_float_round_mode_16_64 0
		.amdhsa_float_denorm_mode_32 3
		.amdhsa_float_denorm_mode_16_64 3
		.amdhsa_dx10_clamp 1
		.amdhsa_ieee_mode 1
		.amdhsa_fp16_overflow 0
		.amdhsa_tg_split 0
		.amdhsa_exception_fp_ieee_invalid_op 0
		.amdhsa_exception_fp_denorm_src 0
		.amdhsa_exception_fp_ieee_div_zero 0
		.amdhsa_exception_fp_ieee_overflow 0
		.amdhsa_exception_fp_ieee_underflow 0
		.amdhsa_exception_fp_ieee_inexact 0
		.amdhsa_exception_int_div_zero 0
	.end_amdhsa_kernel
	.section	.text._ZN7rocprim17ROCPRIM_400000_NS6detail17trampoline_kernelINS0_14default_configENS1_35radix_sort_onesweep_config_selectorIflEEZZNS1_29radix_sort_onesweep_iterationIS3_Lb0EPfS7_N6thrust23THRUST_200600_302600_NS10device_ptrIlEESB_jNS0_19identity_decomposerENS1_16block_id_wrapperIjLb0EEEEE10hipError_tT1_PNSt15iterator_traitsISG_E10value_typeET2_T3_PNSH_ISM_E10value_typeET4_T5_PSR_SS_PNS1_23onesweep_lookback_stateEbbT6_jjT7_P12ihipStream_tbENKUlT_T0_SG_SL_E_clIS7_S7_SB_PlEEDaSZ_S10_SG_SL_EUlSZ_E_NS1_11comp_targetILNS1_3genE10ELNS1_11target_archE1201ELNS1_3gpuE5ELNS1_3repE0EEENS1_47radix_sort_onesweep_sort_config_static_selectorELNS0_4arch9wavefront6targetE1EEEvSG_,"axG",@progbits,_ZN7rocprim17ROCPRIM_400000_NS6detail17trampoline_kernelINS0_14default_configENS1_35radix_sort_onesweep_config_selectorIflEEZZNS1_29radix_sort_onesweep_iterationIS3_Lb0EPfS7_N6thrust23THRUST_200600_302600_NS10device_ptrIlEESB_jNS0_19identity_decomposerENS1_16block_id_wrapperIjLb0EEEEE10hipError_tT1_PNSt15iterator_traitsISG_E10value_typeET2_T3_PNSH_ISM_E10value_typeET4_T5_PSR_SS_PNS1_23onesweep_lookback_stateEbbT6_jjT7_P12ihipStream_tbENKUlT_T0_SG_SL_E_clIS7_S7_SB_PlEEDaSZ_S10_SG_SL_EUlSZ_E_NS1_11comp_targetILNS1_3genE10ELNS1_11target_archE1201ELNS1_3gpuE5ELNS1_3repE0EEENS1_47radix_sort_onesweep_sort_config_static_selectorELNS0_4arch9wavefront6targetE1EEEvSG_,comdat
.Lfunc_end1876:
	.size	_ZN7rocprim17ROCPRIM_400000_NS6detail17trampoline_kernelINS0_14default_configENS1_35radix_sort_onesweep_config_selectorIflEEZZNS1_29radix_sort_onesweep_iterationIS3_Lb0EPfS7_N6thrust23THRUST_200600_302600_NS10device_ptrIlEESB_jNS0_19identity_decomposerENS1_16block_id_wrapperIjLb0EEEEE10hipError_tT1_PNSt15iterator_traitsISG_E10value_typeET2_T3_PNSH_ISM_E10value_typeET4_T5_PSR_SS_PNS1_23onesweep_lookback_stateEbbT6_jjT7_P12ihipStream_tbENKUlT_T0_SG_SL_E_clIS7_S7_SB_PlEEDaSZ_S10_SG_SL_EUlSZ_E_NS1_11comp_targetILNS1_3genE10ELNS1_11target_archE1201ELNS1_3gpuE5ELNS1_3repE0EEENS1_47radix_sort_onesweep_sort_config_static_selectorELNS0_4arch9wavefront6targetE1EEEvSG_, .Lfunc_end1876-_ZN7rocprim17ROCPRIM_400000_NS6detail17trampoline_kernelINS0_14default_configENS1_35radix_sort_onesweep_config_selectorIflEEZZNS1_29radix_sort_onesweep_iterationIS3_Lb0EPfS7_N6thrust23THRUST_200600_302600_NS10device_ptrIlEESB_jNS0_19identity_decomposerENS1_16block_id_wrapperIjLb0EEEEE10hipError_tT1_PNSt15iterator_traitsISG_E10value_typeET2_T3_PNSH_ISM_E10value_typeET4_T5_PSR_SS_PNS1_23onesweep_lookback_stateEbbT6_jjT7_P12ihipStream_tbENKUlT_T0_SG_SL_E_clIS7_S7_SB_PlEEDaSZ_S10_SG_SL_EUlSZ_E_NS1_11comp_targetILNS1_3genE10ELNS1_11target_archE1201ELNS1_3gpuE5ELNS1_3repE0EEENS1_47radix_sort_onesweep_sort_config_static_selectorELNS0_4arch9wavefront6targetE1EEEvSG_
                                        ; -- End function
	.section	.AMDGPU.csdata,"",@progbits
; Kernel info:
; codeLenInByte = 0
; NumSgprs: 4
; NumVgprs: 0
; NumAgprs: 0
; TotalNumVgprs: 0
; ScratchSize: 0
; MemoryBound: 0
; FloatMode: 240
; IeeeMode: 1
; LDSByteSize: 0 bytes/workgroup (compile time only)
; SGPRBlocks: 0
; VGPRBlocks: 0
; NumSGPRsForWavesPerEU: 4
; NumVGPRsForWavesPerEU: 1
; AccumOffset: 4
; Occupancy: 8
; WaveLimiterHint : 0
; COMPUTE_PGM_RSRC2:SCRATCH_EN: 0
; COMPUTE_PGM_RSRC2:USER_SGPR: 6
; COMPUTE_PGM_RSRC2:TRAP_HANDLER: 0
; COMPUTE_PGM_RSRC2:TGID_X_EN: 1
; COMPUTE_PGM_RSRC2:TGID_Y_EN: 0
; COMPUTE_PGM_RSRC2:TGID_Z_EN: 0
; COMPUTE_PGM_RSRC2:TIDIG_COMP_CNT: 0
; COMPUTE_PGM_RSRC3_GFX90A:ACCUM_OFFSET: 0
; COMPUTE_PGM_RSRC3_GFX90A:TG_SPLIT: 0
	.section	.text._ZN7rocprim17ROCPRIM_400000_NS6detail17trampoline_kernelINS0_14default_configENS1_35radix_sort_onesweep_config_selectorIflEEZZNS1_29radix_sort_onesweep_iterationIS3_Lb0EPfS7_N6thrust23THRUST_200600_302600_NS10device_ptrIlEESB_jNS0_19identity_decomposerENS1_16block_id_wrapperIjLb0EEEEE10hipError_tT1_PNSt15iterator_traitsISG_E10value_typeET2_T3_PNSH_ISM_E10value_typeET4_T5_PSR_SS_PNS1_23onesweep_lookback_stateEbbT6_jjT7_P12ihipStream_tbENKUlT_T0_SG_SL_E_clIS7_S7_SB_PlEEDaSZ_S10_SG_SL_EUlSZ_E_NS1_11comp_targetILNS1_3genE9ELNS1_11target_archE1100ELNS1_3gpuE3ELNS1_3repE0EEENS1_47radix_sort_onesweep_sort_config_static_selectorELNS0_4arch9wavefront6targetE1EEEvSG_,"axG",@progbits,_ZN7rocprim17ROCPRIM_400000_NS6detail17trampoline_kernelINS0_14default_configENS1_35radix_sort_onesweep_config_selectorIflEEZZNS1_29radix_sort_onesweep_iterationIS3_Lb0EPfS7_N6thrust23THRUST_200600_302600_NS10device_ptrIlEESB_jNS0_19identity_decomposerENS1_16block_id_wrapperIjLb0EEEEE10hipError_tT1_PNSt15iterator_traitsISG_E10value_typeET2_T3_PNSH_ISM_E10value_typeET4_T5_PSR_SS_PNS1_23onesweep_lookback_stateEbbT6_jjT7_P12ihipStream_tbENKUlT_T0_SG_SL_E_clIS7_S7_SB_PlEEDaSZ_S10_SG_SL_EUlSZ_E_NS1_11comp_targetILNS1_3genE9ELNS1_11target_archE1100ELNS1_3gpuE3ELNS1_3repE0EEENS1_47radix_sort_onesweep_sort_config_static_selectorELNS0_4arch9wavefront6targetE1EEEvSG_,comdat
	.protected	_ZN7rocprim17ROCPRIM_400000_NS6detail17trampoline_kernelINS0_14default_configENS1_35radix_sort_onesweep_config_selectorIflEEZZNS1_29radix_sort_onesweep_iterationIS3_Lb0EPfS7_N6thrust23THRUST_200600_302600_NS10device_ptrIlEESB_jNS0_19identity_decomposerENS1_16block_id_wrapperIjLb0EEEEE10hipError_tT1_PNSt15iterator_traitsISG_E10value_typeET2_T3_PNSH_ISM_E10value_typeET4_T5_PSR_SS_PNS1_23onesweep_lookback_stateEbbT6_jjT7_P12ihipStream_tbENKUlT_T0_SG_SL_E_clIS7_S7_SB_PlEEDaSZ_S10_SG_SL_EUlSZ_E_NS1_11comp_targetILNS1_3genE9ELNS1_11target_archE1100ELNS1_3gpuE3ELNS1_3repE0EEENS1_47radix_sort_onesweep_sort_config_static_selectorELNS0_4arch9wavefront6targetE1EEEvSG_ ; -- Begin function _ZN7rocprim17ROCPRIM_400000_NS6detail17trampoline_kernelINS0_14default_configENS1_35radix_sort_onesweep_config_selectorIflEEZZNS1_29radix_sort_onesweep_iterationIS3_Lb0EPfS7_N6thrust23THRUST_200600_302600_NS10device_ptrIlEESB_jNS0_19identity_decomposerENS1_16block_id_wrapperIjLb0EEEEE10hipError_tT1_PNSt15iterator_traitsISG_E10value_typeET2_T3_PNSH_ISM_E10value_typeET4_T5_PSR_SS_PNS1_23onesweep_lookback_stateEbbT6_jjT7_P12ihipStream_tbENKUlT_T0_SG_SL_E_clIS7_S7_SB_PlEEDaSZ_S10_SG_SL_EUlSZ_E_NS1_11comp_targetILNS1_3genE9ELNS1_11target_archE1100ELNS1_3gpuE3ELNS1_3repE0EEENS1_47radix_sort_onesweep_sort_config_static_selectorELNS0_4arch9wavefront6targetE1EEEvSG_
	.globl	_ZN7rocprim17ROCPRIM_400000_NS6detail17trampoline_kernelINS0_14default_configENS1_35radix_sort_onesweep_config_selectorIflEEZZNS1_29radix_sort_onesweep_iterationIS3_Lb0EPfS7_N6thrust23THRUST_200600_302600_NS10device_ptrIlEESB_jNS0_19identity_decomposerENS1_16block_id_wrapperIjLb0EEEEE10hipError_tT1_PNSt15iterator_traitsISG_E10value_typeET2_T3_PNSH_ISM_E10value_typeET4_T5_PSR_SS_PNS1_23onesweep_lookback_stateEbbT6_jjT7_P12ihipStream_tbENKUlT_T0_SG_SL_E_clIS7_S7_SB_PlEEDaSZ_S10_SG_SL_EUlSZ_E_NS1_11comp_targetILNS1_3genE9ELNS1_11target_archE1100ELNS1_3gpuE3ELNS1_3repE0EEENS1_47radix_sort_onesweep_sort_config_static_selectorELNS0_4arch9wavefront6targetE1EEEvSG_
	.p2align	8
	.type	_ZN7rocprim17ROCPRIM_400000_NS6detail17trampoline_kernelINS0_14default_configENS1_35radix_sort_onesweep_config_selectorIflEEZZNS1_29radix_sort_onesweep_iterationIS3_Lb0EPfS7_N6thrust23THRUST_200600_302600_NS10device_ptrIlEESB_jNS0_19identity_decomposerENS1_16block_id_wrapperIjLb0EEEEE10hipError_tT1_PNSt15iterator_traitsISG_E10value_typeET2_T3_PNSH_ISM_E10value_typeET4_T5_PSR_SS_PNS1_23onesweep_lookback_stateEbbT6_jjT7_P12ihipStream_tbENKUlT_T0_SG_SL_E_clIS7_S7_SB_PlEEDaSZ_S10_SG_SL_EUlSZ_E_NS1_11comp_targetILNS1_3genE9ELNS1_11target_archE1100ELNS1_3gpuE3ELNS1_3repE0EEENS1_47radix_sort_onesweep_sort_config_static_selectorELNS0_4arch9wavefront6targetE1EEEvSG_,@function
_ZN7rocprim17ROCPRIM_400000_NS6detail17trampoline_kernelINS0_14default_configENS1_35radix_sort_onesweep_config_selectorIflEEZZNS1_29radix_sort_onesweep_iterationIS3_Lb0EPfS7_N6thrust23THRUST_200600_302600_NS10device_ptrIlEESB_jNS0_19identity_decomposerENS1_16block_id_wrapperIjLb0EEEEE10hipError_tT1_PNSt15iterator_traitsISG_E10value_typeET2_T3_PNSH_ISM_E10value_typeET4_T5_PSR_SS_PNS1_23onesweep_lookback_stateEbbT6_jjT7_P12ihipStream_tbENKUlT_T0_SG_SL_E_clIS7_S7_SB_PlEEDaSZ_S10_SG_SL_EUlSZ_E_NS1_11comp_targetILNS1_3genE9ELNS1_11target_archE1100ELNS1_3gpuE3ELNS1_3repE0EEENS1_47radix_sort_onesweep_sort_config_static_selectorELNS0_4arch9wavefront6targetE1EEEvSG_: ; @_ZN7rocprim17ROCPRIM_400000_NS6detail17trampoline_kernelINS0_14default_configENS1_35radix_sort_onesweep_config_selectorIflEEZZNS1_29radix_sort_onesweep_iterationIS3_Lb0EPfS7_N6thrust23THRUST_200600_302600_NS10device_ptrIlEESB_jNS0_19identity_decomposerENS1_16block_id_wrapperIjLb0EEEEE10hipError_tT1_PNSt15iterator_traitsISG_E10value_typeET2_T3_PNSH_ISM_E10value_typeET4_T5_PSR_SS_PNS1_23onesweep_lookback_stateEbbT6_jjT7_P12ihipStream_tbENKUlT_T0_SG_SL_E_clIS7_S7_SB_PlEEDaSZ_S10_SG_SL_EUlSZ_E_NS1_11comp_targetILNS1_3genE9ELNS1_11target_archE1100ELNS1_3gpuE3ELNS1_3repE0EEENS1_47radix_sort_onesweep_sort_config_static_selectorELNS0_4arch9wavefront6targetE1EEEvSG_
; %bb.0:
	.section	.rodata,"a",@progbits
	.p2align	6, 0x0
	.amdhsa_kernel _ZN7rocprim17ROCPRIM_400000_NS6detail17trampoline_kernelINS0_14default_configENS1_35radix_sort_onesweep_config_selectorIflEEZZNS1_29radix_sort_onesweep_iterationIS3_Lb0EPfS7_N6thrust23THRUST_200600_302600_NS10device_ptrIlEESB_jNS0_19identity_decomposerENS1_16block_id_wrapperIjLb0EEEEE10hipError_tT1_PNSt15iterator_traitsISG_E10value_typeET2_T3_PNSH_ISM_E10value_typeET4_T5_PSR_SS_PNS1_23onesweep_lookback_stateEbbT6_jjT7_P12ihipStream_tbENKUlT_T0_SG_SL_E_clIS7_S7_SB_PlEEDaSZ_S10_SG_SL_EUlSZ_E_NS1_11comp_targetILNS1_3genE9ELNS1_11target_archE1100ELNS1_3gpuE3ELNS1_3repE0EEENS1_47radix_sort_onesweep_sort_config_static_selectorELNS0_4arch9wavefront6targetE1EEEvSG_
		.amdhsa_group_segment_fixed_size 0
		.amdhsa_private_segment_fixed_size 0
		.amdhsa_kernarg_size 88
		.amdhsa_user_sgpr_count 6
		.amdhsa_user_sgpr_private_segment_buffer 1
		.amdhsa_user_sgpr_dispatch_ptr 0
		.amdhsa_user_sgpr_queue_ptr 0
		.amdhsa_user_sgpr_kernarg_segment_ptr 1
		.amdhsa_user_sgpr_dispatch_id 0
		.amdhsa_user_sgpr_flat_scratch_init 0
		.amdhsa_user_sgpr_kernarg_preload_length 0
		.amdhsa_user_sgpr_kernarg_preload_offset 0
		.amdhsa_user_sgpr_private_segment_size 0
		.amdhsa_uses_dynamic_stack 0
		.amdhsa_system_sgpr_private_segment_wavefront_offset 0
		.amdhsa_system_sgpr_workgroup_id_x 1
		.amdhsa_system_sgpr_workgroup_id_y 0
		.amdhsa_system_sgpr_workgroup_id_z 0
		.amdhsa_system_sgpr_workgroup_info 0
		.amdhsa_system_vgpr_workitem_id 0
		.amdhsa_next_free_vgpr 1
		.amdhsa_next_free_sgpr 0
		.amdhsa_accum_offset 4
		.amdhsa_reserve_vcc 0
		.amdhsa_reserve_flat_scratch 0
		.amdhsa_float_round_mode_32 0
		.amdhsa_float_round_mode_16_64 0
		.amdhsa_float_denorm_mode_32 3
		.amdhsa_float_denorm_mode_16_64 3
		.amdhsa_dx10_clamp 1
		.amdhsa_ieee_mode 1
		.amdhsa_fp16_overflow 0
		.amdhsa_tg_split 0
		.amdhsa_exception_fp_ieee_invalid_op 0
		.amdhsa_exception_fp_denorm_src 0
		.amdhsa_exception_fp_ieee_div_zero 0
		.amdhsa_exception_fp_ieee_overflow 0
		.amdhsa_exception_fp_ieee_underflow 0
		.amdhsa_exception_fp_ieee_inexact 0
		.amdhsa_exception_int_div_zero 0
	.end_amdhsa_kernel
	.section	.text._ZN7rocprim17ROCPRIM_400000_NS6detail17trampoline_kernelINS0_14default_configENS1_35radix_sort_onesweep_config_selectorIflEEZZNS1_29radix_sort_onesweep_iterationIS3_Lb0EPfS7_N6thrust23THRUST_200600_302600_NS10device_ptrIlEESB_jNS0_19identity_decomposerENS1_16block_id_wrapperIjLb0EEEEE10hipError_tT1_PNSt15iterator_traitsISG_E10value_typeET2_T3_PNSH_ISM_E10value_typeET4_T5_PSR_SS_PNS1_23onesweep_lookback_stateEbbT6_jjT7_P12ihipStream_tbENKUlT_T0_SG_SL_E_clIS7_S7_SB_PlEEDaSZ_S10_SG_SL_EUlSZ_E_NS1_11comp_targetILNS1_3genE9ELNS1_11target_archE1100ELNS1_3gpuE3ELNS1_3repE0EEENS1_47radix_sort_onesweep_sort_config_static_selectorELNS0_4arch9wavefront6targetE1EEEvSG_,"axG",@progbits,_ZN7rocprim17ROCPRIM_400000_NS6detail17trampoline_kernelINS0_14default_configENS1_35radix_sort_onesweep_config_selectorIflEEZZNS1_29radix_sort_onesweep_iterationIS3_Lb0EPfS7_N6thrust23THRUST_200600_302600_NS10device_ptrIlEESB_jNS0_19identity_decomposerENS1_16block_id_wrapperIjLb0EEEEE10hipError_tT1_PNSt15iterator_traitsISG_E10value_typeET2_T3_PNSH_ISM_E10value_typeET4_T5_PSR_SS_PNS1_23onesweep_lookback_stateEbbT6_jjT7_P12ihipStream_tbENKUlT_T0_SG_SL_E_clIS7_S7_SB_PlEEDaSZ_S10_SG_SL_EUlSZ_E_NS1_11comp_targetILNS1_3genE9ELNS1_11target_archE1100ELNS1_3gpuE3ELNS1_3repE0EEENS1_47radix_sort_onesweep_sort_config_static_selectorELNS0_4arch9wavefront6targetE1EEEvSG_,comdat
.Lfunc_end1877:
	.size	_ZN7rocprim17ROCPRIM_400000_NS6detail17trampoline_kernelINS0_14default_configENS1_35radix_sort_onesweep_config_selectorIflEEZZNS1_29radix_sort_onesweep_iterationIS3_Lb0EPfS7_N6thrust23THRUST_200600_302600_NS10device_ptrIlEESB_jNS0_19identity_decomposerENS1_16block_id_wrapperIjLb0EEEEE10hipError_tT1_PNSt15iterator_traitsISG_E10value_typeET2_T3_PNSH_ISM_E10value_typeET4_T5_PSR_SS_PNS1_23onesweep_lookback_stateEbbT6_jjT7_P12ihipStream_tbENKUlT_T0_SG_SL_E_clIS7_S7_SB_PlEEDaSZ_S10_SG_SL_EUlSZ_E_NS1_11comp_targetILNS1_3genE9ELNS1_11target_archE1100ELNS1_3gpuE3ELNS1_3repE0EEENS1_47radix_sort_onesweep_sort_config_static_selectorELNS0_4arch9wavefront6targetE1EEEvSG_, .Lfunc_end1877-_ZN7rocprim17ROCPRIM_400000_NS6detail17trampoline_kernelINS0_14default_configENS1_35radix_sort_onesweep_config_selectorIflEEZZNS1_29radix_sort_onesweep_iterationIS3_Lb0EPfS7_N6thrust23THRUST_200600_302600_NS10device_ptrIlEESB_jNS0_19identity_decomposerENS1_16block_id_wrapperIjLb0EEEEE10hipError_tT1_PNSt15iterator_traitsISG_E10value_typeET2_T3_PNSH_ISM_E10value_typeET4_T5_PSR_SS_PNS1_23onesweep_lookback_stateEbbT6_jjT7_P12ihipStream_tbENKUlT_T0_SG_SL_E_clIS7_S7_SB_PlEEDaSZ_S10_SG_SL_EUlSZ_E_NS1_11comp_targetILNS1_3genE9ELNS1_11target_archE1100ELNS1_3gpuE3ELNS1_3repE0EEENS1_47radix_sort_onesweep_sort_config_static_selectorELNS0_4arch9wavefront6targetE1EEEvSG_
                                        ; -- End function
	.section	.AMDGPU.csdata,"",@progbits
; Kernel info:
; codeLenInByte = 0
; NumSgprs: 4
; NumVgprs: 0
; NumAgprs: 0
; TotalNumVgprs: 0
; ScratchSize: 0
; MemoryBound: 0
; FloatMode: 240
; IeeeMode: 1
; LDSByteSize: 0 bytes/workgroup (compile time only)
; SGPRBlocks: 0
; VGPRBlocks: 0
; NumSGPRsForWavesPerEU: 4
; NumVGPRsForWavesPerEU: 1
; AccumOffset: 4
; Occupancy: 8
; WaveLimiterHint : 0
; COMPUTE_PGM_RSRC2:SCRATCH_EN: 0
; COMPUTE_PGM_RSRC2:USER_SGPR: 6
; COMPUTE_PGM_RSRC2:TRAP_HANDLER: 0
; COMPUTE_PGM_RSRC2:TGID_X_EN: 1
; COMPUTE_PGM_RSRC2:TGID_Y_EN: 0
; COMPUTE_PGM_RSRC2:TGID_Z_EN: 0
; COMPUTE_PGM_RSRC2:TIDIG_COMP_CNT: 0
; COMPUTE_PGM_RSRC3_GFX90A:ACCUM_OFFSET: 0
; COMPUTE_PGM_RSRC3_GFX90A:TG_SPLIT: 0
	.section	.text._ZN7rocprim17ROCPRIM_400000_NS6detail17trampoline_kernelINS0_14default_configENS1_35radix_sort_onesweep_config_selectorIflEEZZNS1_29radix_sort_onesweep_iterationIS3_Lb0EPfS7_N6thrust23THRUST_200600_302600_NS10device_ptrIlEESB_jNS0_19identity_decomposerENS1_16block_id_wrapperIjLb0EEEEE10hipError_tT1_PNSt15iterator_traitsISG_E10value_typeET2_T3_PNSH_ISM_E10value_typeET4_T5_PSR_SS_PNS1_23onesweep_lookback_stateEbbT6_jjT7_P12ihipStream_tbENKUlT_T0_SG_SL_E_clIS7_S7_SB_PlEEDaSZ_S10_SG_SL_EUlSZ_E_NS1_11comp_targetILNS1_3genE8ELNS1_11target_archE1030ELNS1_3gpuE2ELNS1_3repE0EEENS1_47radix_sort_onesweep_sort_config_static_selectorELNS0_4arch9wavefront6targetE1EEEvSG_,"axG",@progbits,_ZN7rocprim17ROCPRIM_400000_NS6detail17trampoline_kernelINS0_14default_configENS1_35radix_sort_onesweep_config_selectorIflEEZZNS1_29radix_sort_onesweep_iterationIS3_Lb0EPfS7_N6thrust23THRUST_200600_302600_NS10device_ptrIlEESB_jNS0_19identity_decomposerENS1_16block_id_wrapperIjLb0EEEEE10hipError_tT1_PNSt15iterator_traitsISG_E10value_typeET2_T3_PNSH_ISM_E10value_typeET4_T5_PSR_SS_PNS1_23onesweep_lookback_stateEbbT6_jjT7_P12ihipStream_tbENKUlT_T0_SG_SL_E_clIS7_S7_SB_PlEEDaSZ_S10_SG_SL_EUlSZ_E_NS1_11comp_targetILNS1_3genE8ELNS1_11target_archE1030ELNS1_3gpuE2ELNS1_3repE0EEENS1_47radix_sort_onesweep_sort_config_static_selectorELNS0_4arch9wavefront6targetE1EEEvSG_,comdat
	.protected	_ZN7rocprim17ROCPRIM_400000_NS6detail17trampoline_kernelINS0_14default_configENS1_35radix_sort_onesweep_config_selectorIflEEZZNS1_29radix_sort_onesweep_iterationIS3_Lb0EPfS7_N6thrust23THRUST_200600_302600_NS10device_ptrIlEESB_jNS0_19identity_decomposerENS1_16block_id_wrapperIjLb0EEEEE10hipError_tT1_PNSt15iterator_traitsISG_E10value_typeET2_T3_PNSH_ISM_E10value_typeET4_T5_PSR_SS_PNS1_23onesweep_lookback_stateEbbT6_jjT7_P12ihipStream_tbENKUlT_T0_SG_SL_E_clIS7_S7_SB_PlEEDaSZ_S10_SG_SL_EUlSZ_E_NS1_11comp_targetILNS1_3genE8ELNS1_11target_archE1030ELNS1_3gpuE2ELNS1_3repE0EEENS1_47radix_sort_onesweep_sort_config_static_selectorELNS0_4arch9wavefront6targetE1EEEvSG_ ; -- Begin function _ZN7rocprim17ROCPRIM_400000_NS6detail17trampoline_kernelINS0_14default_configENS1_35radix_sort_onesweep_config_selectorIflEEZZNS1_29radix_sort_onesweep_iterationIS3_Lb0EPfS7_N6thrust23THRUST_200600_302600_NS10device_ptrIlEESB_jNS0_19identity_decomposerENS1_16block_id_wrapperIjLb0EEEEE10hipError_tT1_PNSt15iterator_traitsISG_E10value_typeET2_T3_PNSH_ISM_E10value_typeET4_T5_PSR_SS_PNS1_23onesweep_lookback_stateEbbT6_jjT7_P12ihipStream_tbENKUlT_T0_SG_SL_E_clIS7_S7_SB_PlEEDaSZ_S10_SG_SL_EUlSZ_E_NS1_11comp_targetILNS1_3genE8ELNS1_11target_archE1030ELNS1_3gpuE2ELNS1_3repE0EEENS1_47radix_sort_onesweep_sort_config_static_selectorELNS0_4arch9wavefront6targetE1EEEvSG_
	.globl	_ZN7rocprim17ROCPRIM_400000_NS6detail17trampoline_kernelINS0_14default_configENS1_35radix_sort_onesweep_config_selectorIflEEZZNS1_29radix_sort_onesweep_iterationIS3_Lb0EPfS7_N6thrust23THRUST_200600_302600_NS10device_ptrIlEESB_jNS0_19identity_decomposerENS1_16block_id_wrapperIjLb0EEEEE10hipError_tT1_PNSt15iterator_traitsISG_E10value_typeET2_T3_PNSH_ISM_E10value_typeET4_T5_PSR_SS_PNS1_23onesweep_lookback_stateEbbT6_jjT7_P12ihipStream_tbENKUlT_T0_SG_SL_E_clIS7_S7_SB_PlEEDaSZ_S10_SG_SL_EUlSZ_E_NS1_11comp_targetILNS1_3genE8ELNS1_11target_archE1030ELNS1_3gpuE2ELNS1_3repE0EEENS1_47radix_sort_onesweep_sort_config_static_selectorELNS0_4arch9wavefront6targetE1EEEvSG_
	.p2align	8
	.type	_ZN7rocprim17ROCPRIM_400000_NS6detail17trampoline_kernelINS0_14default_configENS1_35radix_sort_onesweep_config_selectorIflEEZZNS1_29radix_sort_onesweep_iterationIS3_Lb0EPfS7_N6thrust23THRUST_200600_302600_NS10device_ptrIlEESB_jNS0_19identity_decomposerENS1_16block_id_wrapperIjLb0EEEEE10hipError_tT1_PNSt15iterator_traitsISG_E10value_typeET2_T3_PNSH_ISM_E10value_typeET4_T5_PSR_SS_PNS1_23onesweep_lookback_stateEbbT6_jjT7_P12ihipStream_tbENKUlT_T0_SG_SL_E_clIS7_S7_SB_PlEEDaSZ_S10_SG_SL_EUlSZ_E_NS1_11comp_targetILNS1_3genE8ELNS1_11target_archE1030ELNS1_3gpuE2ELNS1_3repE0EEENS1_47radix_sort_onesweep_sort_config_static_selectorELNS0_4arch9wavefront6targetE1EEEvSG_,@function
_ZN7rocprim17ROCPRIM_400000_NS6detail17trampoline_kernelINS0_14default_configENS1_35radix_sort_onesweep_config_selectorIflEEZZNS1_29radix_sort_onesweep_iterationIS3_Lb0EPfS7_N6thrust23THRUST_200600_302600_NS10device_ptrIlEESB_jNS0_19identity_decomposerENS1_16block_id_wrapperIjLb0EEEEE10hipError_tT1_PNSt15iterator_traitsISG_E10value_typeET2_T3_PNSH_ISM_E10value_typeET4_T5_PSR_SS_PNS1_23onesweep_lookback_stateEbbT6_jjT7_P12ihipStream_tbENKUlT_T0_SG_SL_E_clIS7_S7_SB_PlEEDaSZ_S10_SG_SL_EUlSZ_E_NS1_11comp_targetILNS1_3genE8ELNS1_11target_archE1030ELNS1_3gpuE2ELNS1_3repE0EEENS1_47radix_sort_onesweep_sort_config_static_selectorELNS0_4arch9wavefront6targetE1EEEvSG_: ; @_ZN7rocprim17ROCPRIM_400000_NS6detail17trampoline_kernelINS0_14default_configENS1_35radix_sort_onesweep_config_selectorIflEEZZNS1_29radix_sort_onesweep_iterationIS3_Lb0EPfS7_N6thrust23THRUST_200600_302600_NS10device_ptrIlEESB_jNS0_19identity_decomposerENS1_16block_id_wrapperIjLb0EEEEE10hipError_tT1_PNSt15iterator_traitsISG_E10value_typeET2_T3_PNSH_ISM_E10value_typeET4_T5_PSR_SS_PNS1_23onesweep_lookback_stateEbbT6_jjT7_P12ihipStream_tbENKUlT_T0_SG_SL_E_clIS7_S7_SB_PlEEDaSZ_S10_SG_SL_EUlSZ_E_NS1_11comp_targetILNS1_3genE8ELNS1_11target_archE1030ELNS1_3gpuE2ELNS1_3repE0EEENS1_47radix_sort_onesweep_sort_config_static_selectorELNS0_4arch9wavefront6targetE1EEEvSG_
; %bb.0:
	.section	.rodata,"a",@progbits
	.p2align	6, 0x0
	.amdhsa_kernel _ZN7rocprim17ROCPRIM_400000_NS6detail17trampoline_kernelINS0_14default_configENS1_35radix_sort_onesweep_config_selectorIflEEZZNS1_29radix_sort_onesweep_iterationIS3_Lb0EPfS7_N6thrust23THRUST_200600_302600_NS10device_ptrIlEESB_jNS0_19identity_decomposerENS1_16block_id_wrapperIjLb0EEEEE10hipError_tT1_PNSt15iterator_traitsISG_E10value_typeET2_T3_PNSH_ISM_E10value_typeET4_T5_PSR_SS_PNS1_23onesweep_lookback_stateEbbT6_jjT7_P12ihipStream_tbENKUlT_T0_SG_SL_E_clIS7_S7_SB_PlEEDaSZ_S10_SG_SL_EUlSZ_E_NS1_11comp_targetILNS1_3genE8ELNS1_11target_archE1030ELNS1_3gpuE2ELNS1_3repE0EEENS1_47radix_sort_onesweep_sort_config_static_selectorELNS0_4arch9wavefront6targetE1EEEvSG_
		.amdhsa_group_segment_fixed_size 0
		.amdhsa_private_segment_fixed_size 0
		.amdhsa_kernarg_size 88
		.amdhsa_user_sgpr_count 6
		.amdhsa_user_sgpr_private_segment_buffer 1
		.amdhsa_user_sgpr_dispatch_ptr 0
		.amdhsa_user_sgpr_queue_ptr 0
		.amdhsa_user_sgpr_kernarg_segment_ptr 1
		.amdhsa_user_sgpr_dispatch_id 0
		.amdhsa_user_sgpr_flat_scratch_init 0
		.amdhsa_user_sgpr_kernarg_preload_length 0
		.amdhsa_user_sgpr_kernarg_preload_offset 0
		.amdhsa_user_sgpr_private_segment_size 0
		.amdhsa_uses_dynamic_stack 0
		.amdhsa_system_sgpr_private_segment_wavefront_offset 0
		.amdhsa_system_sgpr_workgroup_id_x 1
		.amdhsa_system_sgpr_workgroup_id_y 0
		.amdhsa_system_sgpr_workgroup_id_z 0
		.amdhsa_system_sgpr_workgroup_info 0
		.amdhsa_system_vgpr_workitem_id 0
		.amdhsa_next_free_vgpr 1
		.amdhsa_next_free_sgpr 0
		.amdhsa_accum_offset 4
		.amdhsa_reserve_vcc 0
		.amdhsa_reserve_flat_scratch 0
		.amdhsa_float_round_mode_32 0
		.amdhsa_float_round_mode_16_64 0
		.amdhsa_float_denorm_mode_32 3
		.amdhsa_float_denorm_mode_16_64 3
		.amdhsa_dx10_clamp 1
		.amdhsa_ieee_mode 1
		.amdhsa_fp16_overflow 0
		.amdhsa_tg_split 0
		.amdhsa_exception_fp_ieee_invalid_op 0
		.amdhsa_exception_fp_denorm_src 0
		.amdhsa_exception_fp_ieee_div_zero 0
		.amdhsa_exception_fp_ieee_overflow 0
		.amdhsa_exception_fp_ieee_underflow 0
		.amdhsa_exception_fp_ieee_inexact 0
		.amdhsa_exception_int_div_zero 0
	.end_amdhsa_kernel
	.section	.text._ZN7rocprim17ROCPRIM_400000_NS6detail17trampoline_kernelINS0_14default_configENS1_35radix_sort_onesweep_config_selectorIflEEZZNS1_29radix_sort_onesweep_iterationIS3_Lb0EPfS7_N6thrust23THRUST_200600_302600_NS10device_ptrIlEESB_jNS0_19identity_decomposerENS1_16block_id_wrapperIjLb0EEEEE10hipError_tT1_PNSt15iterator_traitsISG_E10value_typeET2_T3_PNSH_ISM_E10value_typeET4_T5_PSR_SS_PNS1_23onesweep_lookback_stateEbbT6_jjT7_P12ihipStream_tbENKUlT_T0_SG_SL_E_clIS7_S7_SB_PlEEDaSZ_S10_SG_SL_EUlSZ_E_NS1_11comp_targetILNS1_3genE8ELNS1_11target_archE1030ELNS1_3gpuE2ELNS1_3repE0EEENS1_47radix_sort_onesweep_sort_config_static_selectorELNS0_4arch9wavefront6targetE1EEEvSG_,"axG",@progbits,_ZN7rocprim17ROCPRIM_400000_NS6detail17trampoline_kernelINS0_14default_configENS1_35radix_sort_onesweep_config_selectorIflEEZZNS1_29radix_sort_onesweep_iterationIS3_Lb0EPfS7_N6thrust23THRUST_200600_302600_NS10device_ptrIlEESB_jNS0_19identity_decomposerENS1_16block_id_wrapperIjLb0EEEEE10hipError_tT1_PNSt15iterator_traitsISG_E10value_typeET2_T3_PNSH_ISM_E10value_typeET4_T5_PSR_SS_PNS1_23onesweep_lookback_stateEbbT6_jjT7_P12ihipStream_tbENKUlT_T0_SG_SL_E_clIS7_S7_SB_PlEEDaSZ_S10_SG_SL_EUlSZ_E_NS1_11comp_targetILNS1_3genE8ELNS1_11target_archE1030ELNS1_3gpuE2ELNS1_3repE0EEENS1_47radix_sort_onesweep_sort_config_static_selectorELNS0_4arch9wavefront6targetE1EEEvSG_,comdat
.Lfunc_end1878:
	.size	_ZN7rocprim17ROCPRIM_400000_NS6detail17trampoline_kernelINS0_14default_configENS1_35radix_sort_onesweep_config_selectorIflEEZZNS1_29radix_sort_onesweep_iterationIS3_Lb0EPfS7_N6thrust23THRUST_200600_302600_NS10device_ptrIlEESB_jNS0_19identity_decomposerENS1_16block_id_wrapperIjLb0EEEEE10hipError_tT1_PNSt15iterator_traitsISG_E10value_typeET2_T3_PNSH_ISM_E10value_typeET4_T5_PSR_SS_PNS1_23onesweep_lookback_stateEbbT6_jjT7_P12ihipStream_tbENKUlT_T0_SG_SL_E_clIS7_S7_SB_PlEEDaSZ_S10_SG_SL_EUlSZ_E_NS1_11comp_targetILNS1_3genE8ELNS1_11target_archE1030ELNS1_3gpuE2ELNS1_3repE0EEENS1_47radix_sort_onesweep_sort_config_static_selectorELNS0_4arch9wavefront6targetE1EEEvSG_, .Lfunc_end1878-_ZN7rocprim17ROCPRIM_400000_NS6detail17trampoline_kernelINS0_14default_configENS1_35radix_sort_onesweep_config_selectorIflEEZZNS1_29radix_sort_onesweep_iterationIS3_Lb0EPfS7_N6thrust23THRUST_200600_302600_NS10device_ptrIlEESB_jNS0_19identity_decomposerENS1_16block_id_wrapperIjLb0EEEEE10hipError_tT1_PNSt15iterator_traitsISG_E10value_typeET2_T3_PNSH_ISM_E10value_typeET4_T5_PSR_SS_PNS1_23onesweep_lookback_stateEbbT6_jjT7_P12ihipStream_tbENKUlT_T0_SG_SL_E_clIS7_S7_SB_PlEEDaSZ_S10_SG_SL_EUlSZ_E_NS1_11comp_targetILNS1_3genE8ELNS1_11target_archE1030ELNS1_3gpuE2ELNS1_3repE0EEENS1_47radix_sort_onesweep_sort_config_static_selectorELNS0_4arch9wavefront6targetE1EEEvSG_
                                        ; -- End function
	.section	.AMDGPU.csdata,"",@progbits
; Kernel info:
; codeLenInByte = 0
; NumSgprs: 4
; NumVgprs: 0
; NumAgprs: 0
; TotalNumVgprs: 0
; ScratchSize: 0
; MemoryBound: 0
; FloatMode: 240
; IeeeMode: 1
; LDSByteSize: 0 bytes/workgroup (compile time only)
; SGPRBlocks: 0
; VGPRBlocks: 0
; NumSGPRsForWavesPerEU: 4
; NumVGPRsForWavesPerEU: 1
; AccumOffset: 4
; Occupancy: 8
; WaveLimiterHint : 0
; COMPUTE_PGM_RSRC2:SCRATCH_EN: 0
; COMPUTE_PGM_RSRC2:USER_SGPR: 6
; COMPUTE_PGM_RSRC2:TRAP_HANDLER: 0
; COMPUTE_PGM_RSRC2:TGID_X_EN: 1
; COMPUTE_PGM_RSRC2:TGID_Y_EN: 0
; COMPUTE_PGM_RSRC2:TGID_Z_EN: 0
; COMPUTE_PGM_RSRC2:TIDIG_COMP_CNT: 0
; COMPUTE_PGM_RSRC3_GFX90A:ACCUM_OFFSET: 0
; COMPUTE_PGM_RSRC3_GFX90A:TG_SPLIT: 0
	.section	.text._ZN7rocprim17ROCPRIM_400000_NS6detail17trampoline_kernelINS0_14default_configENS1_35radix_sort_onesweep_config_selectorIflEEZZNS1_29radix_sort_onesweep_iterationIS3_Lb0EPfS7_N6thrust23THRUST_200600_302600_NS10device_ptrIlEESB_jNS0_19identity_decomposerENS1_16block_id_wrapperIjLb0EEEEE10hipError_tT1_PNSt15iterator_traitsISG_E10value_typeET2_T3_PNSH_ISM_E10value_typeET4_T5_PSR_SS_PNS1_23onesweep_lookback_stateEbbT6_jjT7_P12ihipStream_tbENKUlT_T0_SG_SL_E_clIS7_S7_PlSB_EEDaSZ_S10_SG_SL_EUlSZ_E_NS1_11comp_targetILNS1_3genE0ELNS1_11target_archE4294967295ELNS1_3gpuE0ELNS1_3repE0EEENS1_47radix_sort_onesweep_sort_config_static_selectorELNS0_4arch9wavefront6targetE1EEEvSG_,"axG",@progbits,_ZN7rocprim17ROCPRIM_400000_NS6detail17trampoline_kernelINS0_14default_configENS1_35radix_sort_onesweep_config_selectorIflEEZZNS1_29radix_sort_onesweep_iterationIS3_Lb0EPfS7_N6thrust23THRUST_200600_302600_NS10device_ptrIlEESB_jNS0_19identity_decomposerENS1_16block_id_wrapperIjLb0EEEEE10hipError_tT1_PNSt15iterator_traitsISG_E10value_typeET2_T3_PNSH_ISM_E10value_typeET4_T5_PSR_SS_PNS1_23onesweep_lookback_stateEbbT6_jjT7_P12ihipStream_tbENKUlT_T0_SG_SL_E_clIS7_S7_PlSB_EEDaSZ_S10_SG_SL_EUlSZ_E_NS1_11comp_targetILNS1_3genE0ELNS1_11target_archE4294967295ELNS1_3gpuE0ELNS1_3repE0EEENS1_47radix_sort_onesweep_sort_config_static_selectorELNS0_4arch9wavefront6targetE1EEEvSG_,comdat
	.protected	_ZN7rocprim17ROCPRIM_400000_NS6detail17trampoline_kernelINS0_14default_configENS1_35radix_sort_onesweep_config_selectorIflEEZZNS1_29radix_sort_onesweep_iterationIS3_Lb0EPfS7_N6thrust23THRUST_200600_302600_NS10device_ptrIlEESB_jNS0_19identity_decomposerENS1_16block_id_wrapperIjLb0EEEEE10hipError_tT1_PNSt15iterator_traitsISG_E10value_typeET2_T3_PNSH_ISM_E10value_typeET4_T5_PSR_SS_PNS1_23onesweep_lookback_stateEbbT6_jjT7_P12ihipStream_tbENKUlT_T0_SG_SL_E_clIS7_S7_PlSB_EEDaSZ_S10_SG_SL_EUlSZ_E_NS1_11comp_targetILNS1_3genE0ELNS1_11target_archE4294967295ELNS1_3gpuE0ELNS1_3repE0EEENS1_47radix_sort_onesweep_sort_config_static_selectorELNS0_4arch9wavefront6targetE1EEEvSG_ ; -- Begin function _ZN7rocprim17ROCPRIM_400000_NS6detail17trampoline_kernelINS0_14default_configENS1_35radix_sort_onesweep_config_selectorIflEEZZNS1_29radix_sort_onesweep_iterationIS3_Lb0EPfS7_N6thrust23THRUST_200600_302600_NS10device_ptrIlEESB_jNS0_19identity_decomposerENS1_16block_id_wrapperIjLb0EEEEE10hipError_tT1_PNSt15iterator_traitsISG_E10value_typeET2_T3_PNSH_ISM_E10value_typeET4_T5_PSR_SS_PNS1_23onesweep_lookback_stateEbbT6_jjT7_P12ihipStream_tbENKUlT_T0_SG_SL_E_clIS7_S7_PlSB_EEDaSZ_S10_SG_SL_EUlSZ_E_NS1_11comp_targetILNS1_3genE0ELNS1_11target_archE4294967295ELNS1_3gpuE0ELNS1_3repE0EEENS1_47radix_sort_onesweep_sort_config_static_selectorELNS0_4arch9wavefront6targetE1EEEvSG_
	.globl	_ZN7rocprim17ROCPRIM_400000_NS6detail17trampoline_kernelINS0_14default_configENS1_35radix_sort_onesweep_config_selectorIflEEZZNS1_29radix_sort_onesweep_iterationIS3_Lb0EPfS7_N6thrust23THRUST_200600_302600_NS10device_ptrIlEESB_jNS0_19identity_decomposerENS1_16block_id_wrapperIjLb0EEEEE10hipError_tT1_PNSt15iterator_traitsISG_E10value_typeET2_T3_PNSH_ISM_E10value_typeET4_T5_PSR_SS_PNS1_23onesweep_lookback_stateEbbT6_jjT7_P12ihipStream_tbENKUlT_T0_SG_SL_E_clIS7_S7_PlSB_EEDaSZ_S10_SG_SL_EUlSZ_E_NS1_11comp_targetILNS1_3genE0ELNS1_11target_archE4294967295ELNS1_3gpuE0ELNS1_3repE0EEENS1_47radix_sort_onesweep_sort_config_static_selectorELNS0_4arch9wavefront6targetE1EEEvSG_
	.p2align	8
	.type	_ZN7rocprim17ROCPRIM_400000_NS6detail17trampoline_kernelINS0_14default_configENS1_35radix_sort_onesweep_config_selectorIflEEZZNS1_29radix_sort_onesweep_iterationIS3_Lb0EPfS7_N6thrust23THRUST_200600_302600_NS10device_ptrIlEESB_jNS0_19identity_decomposerENS1_16block_id_wrapperIjLb0EEEEE10hipError_tT1_PNSt15iterator_traitsISG_E10value_typeET2_T3_PNSH_ISM_E10value_typeET4_T5_PSR_SS_PNS1_23onesweep_lookback_stateEbbT6_jjT7_P12ihipStream_tbENKUlT_T0_SG_SL_E_clIS7_S7_PlSB_EEDaSZ_S10_SG_SL_EUlSZ_E_NS1_11comp_targetILNS1_3genE0ELNS1_11target_archE4294967295ELNS1_3gpuE0ELNS1_3repE0EEENS1_47radix_sort_onesweep_sort_config_static_selectorELNS0_4arch9wavefront6targetE1EEEvSG_,@function
_ZN7rocprim17ROCPRIM_400000_NS6detail17trampoline_kernelINS0_14default_configENS1_35radix_sort_onesweep_config_selectorIflEEZZNS1_29radix_sort_onesweep_iterationIS3_Lb0EPfS7_N6thrust23THRUST_200600_302600_NS10device_ptrIlEESB_jNS0_19identity_decomposerENS1_16block_id_wrapperIjLb0EEEEE10hipError_tT1_PNSt15iterator_traitsISG_E10value_typeET2_T3_PNSH_ISM_E10value_typeET4_T5_PSR_SS_PNS1_23onesweep_lookback_stateEbbT6_jjT7_P12ihipStream_tbENKUlT_T0_SG_SL_E_clIS7_S7_PlSB_EEDaSZ_S10_SG_SL_EUlSZ_E_NS1_11comp_targetILNS1_3genE0ELNS1_11target_archE4294967295ELNS1_3gpuE0ELNS1_3repE0EEENS1_47radix_sort_onesweep_sort_config_static_selectorELNS0_4arch9wavefront6targetE1EEEvSG_: ; @_ZN7rocprim17ROCPRIM_400000_NS6detail17trampoline_kernelINS0_14default_configENS1_35radix_sort_onesweep_config_selectorIflEEZZNS1_29radix_sort_onesweep_iterationIS3_Lb0EPfS7_N6thrust23THRUST_200600_302600_NS10device_ptrIlEESB_jNS0_19identity_decomposerENS1_16block_id_wrapperIjLb0EEEEE10hipError_tT1_PNSt15iterator_traitsISG_E10value_typeET2_T3_PNSH_ISM_E10value_typeET4_T5_PSR_SS_PNS1_23onesweep_lookback_stateEbbT6_jjT7_P12ihipStream_tbENKUlT_T0_SG_SL_E_clIS7_S7_PlSB_EEDaSZ_S10_SG_SL_EUlSZ_E_NS1_11comp_targetILNS1_3genE0ELNS1_11target_archE4294967295ELNS1_3gpuE0ELNS1_3repE0EEENS1_47radix_sort_onesweep_sort_config_static_selectorELNS0_4arch9wavefront6targetE1EEEvSG_
; %bb.0:
	.section	.rodata,"a",@progbits
	.p2align	6, 0x0
	.amdhsa_kernel _ZN7rocprim17ROCPRIM_400000_NS6detail17trampoline_kernelINS0_14default_configENS1_35radix_sort_onesweep_config_selectorIflEEZZNS1_29radix_sort_onesweep_iterationIS3_Lb0EPfS7_N6thrust23THRUST_200600_302600_NS10device_ptrIlEESB_jNS0_19identity_decomposerENS1_16block_id_wrapperIjLb0EEEEE10hipError_tT1_PNSt15iterator_traitsISG_E10value_typeET2_T3_PNSH_ISM_E10value_typeET4_T5_PSR_SS_PNS1_23onesweep_lookback_stateEbbT6_jjT7_P12ihipStream_tbENKUlT_T0_SG_SL_E_clIS7_S7_PlSB_EEDaSZ_S10_SG_SL_EUlSZ_E_NS1_11comp_targetILNS1_3genE0ELNS1_11target_archE4294967295ELNS1_3gpuE0ELNS1_3repE0EEENS1_47radix_sort_onesweep_sort_config_static_selectorELNS0_4arch9wavefront6targetE1EEEvSG_
		.amdhsa_group_segment_fixed_size 0
		.amdhsa_private_segment_fixed_size 0
		.amdhsa_kernarg_size 88
		.amdhsa_user_sgpr_count 6
		.amdhsa_user_sgpr_private_segment_buffer 1
		.amdhsa_user_sgpr_dispatch_ptr 0
		.amdhsa_user_sgpr_queue_ptr 0
		.amdhsa_user_sgpr_kernarg_segment_ptr 1
		.amdhsa_user_sgpr_dispatch_id 0
		.amdhsa_user_sgpr_flat_scratch_init 0
		.amdhsa_user_sgpr_kernarg_preload_length 0
		.amdhsa_user_sgpr_kernarg_preload_offset 0
		.amdhsa_user_sgpr_private_segment_size 0
		.amdhsa_uses_dynamic_stack 0
		.amdhsa_system_sgpr_private_segment_wavefront_offset 0
		.amdhsa_system_sgpr_workgroup_id_x 1
		.amdhsa_system_sgpr_workgroup_id_y 0
		.amdhsa_system_sgpr_workgroup_id_z 0
		.amdhsa_system_sgpr_workgroup_info 0
		.amdhsa_system_vgpr_workitem_id 0
		.amdhsa_next_free_vgpr 1
		.amdhsa_next_free_sgpr 0
		.amdhsa_accum_offset 4
		.amdhsa_reserve_vcc 0
		.amdhsa_reserve_flat_scratch 0
		.amdhsa_float_round_mode_32 0
		.amdhsa_float_round_mode_16_64 0
		.amdhsa_float_denorm_mode_32 3
		.amdhsa_float_denorm_mode_16_64 3
		.amdhsa_dx10_clamp 1
		.amdhsa_ieee_mode 1
		.amdhsa_fp16_overflow 0
		.amdhsa_tg_split 0
		.amdhsa_exception_fp_ieee_invalid_op 0
		.amdhsa_exception_fp_denorm_src 0
		.amdhsa_exception_fp_ieee_div_zero 0
		.amdhsa_exception_fp_ieee_overflow 0
		.amdhsa_exception_fp_ieee_underflow 0
		.amdhsa_exception_fp_ieee_inexact 0
		.amdhsa_exception_int_div_zero 0
	.end_amdhsa_kernel
	.section	.text._ZN7rocprim17ROCPRIM_400000_NS6detail17trampoline_kernelINS0_14default_configENS1_35radix_sort_onesweep_config_selectorIflEEZZNS1_29radix_sort_onesweep_iterationIS3_Lb0EPfS7_N6thrust23THRUST_200600_302600_NS10device_ptrIlEESB_jNS0_19identity_decomposerENS1_16block_id_wrapperIjLb0EEEEE10hipError_tT1_PNSt15iterator_traitsISG_E10value_typeET2_T3_PNSH_ISM_E10value_typeET4_T5_PSR_SS_PNS1_23onesweep_lookback_stateEbbT6_jjT7_P12ihipStream_tbENKUlT_T0_SG_SL_E_clIS7_S7_PlSB_EEDaSZ_S10_SG_SL_EUlSZ_E_NS1_11comp_targetILNS1_3genE0ELNS1_11target_archE4294967295ELNS1_3gpuE0ELNS1_3repE0EEENS1_47radix_sort_onesweep_sort_config_static_selectorELNS0_4arch9wavefront6targetE1EEEvSG_,"axG",@progbits,_ZN7rocprim17ROCPRIM_400000_NS6detail17trampoline_kernelINS0_14default_configENS1_35radix_sort_onesweep_config_selectorIflEEZZNS1_29radix_sort_onesweep_iterationIS3_Lb0EPfS7_N6thrust23THRUST_200600_302600_NS10device_ptrIlEESB_jNS0_19identity_decomposerENS1_16block_id_wrapperIjLb0EEEEE10hipError_tT1_PNSt15iterator_traitsISG_E10value_typeET2_T3_PNSH_ISM_E10value_typeET4_T5_PSR_SS_PNS1_23onesweep_lookback_stateEbbT6_jjT7_P12ihipStream_tbENKUlT_T0_SG_SL_E_clIS7_S7_PlSB_EEDaSZ_S10_SG_SL_EUlSZ_E_NS1_11comp_targetILNS1_3genE0ELNS1_11target_archE4294967295ELNS1_3gpuE0ELNS1_3repE0EEENS1_47radix_sort_onesweep_sort_config_static_selectorELNS0_4arch9wavefront6targetE1EEEvSG_,comdat
.Lfunc_end1879:
	.size	_ZN7rocprim17ROCPRIM_400000_NS6detail17trampoline_kernelINS0_14default_configENS1_35radix_sort_onesweep_config_selectorIflEEZZNS1_29radix_sort_onesweep_iterationIS3_Lb0EPfS7_N6thrust23THRUST_200600_302600_NS10device_ptrIlEESB_jNS0_19identity_decomposerENS1_16block_id_wrapperIjLb0EEEEE10hipError_tT1_PNSt15iterator_traitsISG_E10value_typeET2_T3_PNSH_ISM_E10value_typeET4_T5_PSR_SS_PNS1_23onesweep_lookback_stateEbbT6_jjT7_P12ihipStream_tbENKUlT_T0_SG_SL_E_clIS7_S7_PlSB_EEDaSZ_S10_SG_SL_EUlSZ_E_NS1_11comp_targetILNS1_3genE0ELNS1_11target_archE4294967295ELNS1_3gpuE0ELNS1_3repE0EEENS1_47radix_sort_onesweep_sort_config_static_selectorELNS0_4arch9wavefront6targetE1EEEvSG_, .Lfunc_end1879-_ZN7rocprim17ROCPRIM_400000_NS6detail17trampoline_kernelINS0_14default_configENS1_35radix_sort_onesweep_config_selectorIflEEZZNS1_29radix_sort_onesweep_iterationIS3_Lb0EPfS7_N6thrust23THRUST_200600_302600_NS10device_ptrIlEESB_jNS0_19identity_decomposerENS1_16block_id_wrapperIjLb0EEEEE10hipError_tT1_PNSt15iterator_traitsISG_E10value_typeET2_T3_PNSH_ISM_E10value_typeET4_T5_PSR_SS_PNS1_23onesweep_lookback_stateEbbT6_jjT7_P12ihipStream_tbENKUlT_T0_SG_SL_E_clIS7_S7_PlSB_EEDaSZ_S10_SG_SL_EUlSZ_E_NS1_11comp_targetILNS1_3genE0ELNS1_11target_archE4294967295ELNS1_3gpuE0ELNS1_3repE0EEENS1_47radix_sort_onesweep_sort_config_static_selectorELNS0_4arch9wavefront6targetE1EEEvSG_
                                        ; -- End function
	.section	.AMDGPU.csdata,"",@progbits
; Kernel info:
; codeLenInByte = 0
; NumSgprs: 4
; NumVgprs: 0
; NumAgprs: 0
; TotalNumVgprs: 0
; ScratchSize: 0
; MemoryBound: 0
; FloatMode: 240
; IeeeMode: 1
; LDSByteSize: 0 bytes/workgroup (compile time only)
; SGPRBlocks: 0
; VGPRBlocks: 0
; NumSGPRsForWavesPerEU: 4
; NumVGPRsForWavesPerEU: 1
; AccumOffset: 4
; Occupancy: 8
; WaveLimiterHint : 0
; COMPUTE_PGM_RSRC2:SCRATCH_EN: 0
; COMPUTE_PGM_RSRC2:USER_SGPR: 6
; COMPUTE_PGM_RSRC2:TRAP_HANDLER: 0
; COMPUTE_PGM_RSRC2:TGID_X_EN: 1
; COMPUTE_PGM_RSRC2:TGID_Y_EN: 0
; COMPUTE_PGM_RSRC2:TGID_Z_EN: 0
; COMPUTE_PGM_RSRC2:TIDIG_COMP_CNT: 0
; COMPUTE_PGM_RSRC3_GFX90A:ACCUM_OFFSET: 0
; COMPUTE_PGM_RSRC3_GFX90A:TG_SPLIT: 0
	.section	.text._ZN7rocprim17ROCPRIM_400000_NS6detail17trampoline_kernelINS0_14default_configENS1_35radix_sort_onesweep_config_selectorIflEEZZNS1_29radix_sort_onesweep_iterationIS3_Lb0EPfS7_N6thrust23THRUST_200600_302600_NS10device_ptrIlEESB_jNS0_19identity_decomposerENS1_16block_id_wrapperIjLb0EEEEE10hipError_tT1_PNSt15iterator_traitsISG_E10value_typeET2_T3_PNSH_ISM_E10value_typeET4_T5_PSR_SS_PNS1_23onesweep_lookback_stateEbbT6_jjT7_P12ihipStream_tbENKUlT_T0_SG_SL_E_clIS7_S7_PlSB_EEDaSZ_S10_SG_SL_EUlSZ_E_NS1_11comp_targetILNS1_3genE6ELNS1_11target_archE950ELNS1_3gpuE13ELNS1_3repE0EEENS1_47radix_sort_onesweep_sort_config_static_selectorELNS0_4arch9wavefront6targetE1EEEvSG_,"axG",@progbits,_ZN7rocprim17ROCPRIM_400000_NS6detail17trampoline_kernelINS0_14default_configENS1_35radix_sort_onesweep_config_selectorIflEEZZNS1_29radix_sort_onesweep_iterationIS3_Lb0EPfS7_N6thrust23THRUST_200600_302600_NS10device_ptrIlEESB_jNS0_19identity_decomposerENS1_16block_id_wrapperIjLb0EEEEE10hipError_tT1_PNSt15iterator_traitsISG_E10value_typeET2_T3_PNSH_ISM_E10value_typeET4_T5_PSR_SS_PNS1_23onesweep_lookback_stateEbbT6_jjT7_P12ihipStream_tbENKUlT_T0_SG_SL_E_clIS7_S7_PlSB_EEDaSZ_S10_SG_SL_EUlSZ_E_NS1_11comp_targetILNS1_3genE6ELNS1_11target_archE950ELNS1_3gpuE13ELNS1_3repE0EEENS1_47radix_sort_onesweep_sort_config_static_selectorELNS0_4arch9wavefront6targetE1EEEvSG_,comdat
	.protected	_ZN7rocprim17ROCPRIM_400000_NS6detail17trampoline_kernelINS0_14default_configENS1_35radix_sort_onesweep_config_selectorIflEEZZNS1_29radix_sort_onesweep_iterationIS3_Lb0EPfS7_N6thrust23THRUST_200600_302600_NS10device_ptrIlEESB_jNS0_19identity_decomposerENS1_16block_id_wrapperIjLb0EEEEE10hipError_tT1_PNSt15iterator_traitsISG_E10value_typeET2_T3_PNSH_ISM_E10value_typeET4_T5_PSR_SS_PNS1_23onesweep_lookback_stateEbbT6_jjT7_P12ihipStream_tbENKUlT_T0_SG_SL_E_clIS7_S7_PlSB_EEDaSZ_S10_SG_SL_EUlSZ_E_NS1_11comp_targetILNS1_3genE6ELNS1_11target_archE950ELNS1_3gpuE13ELNS1_3repE0EEENS1_47radix_sort_onesweep_sort_config_static_selectorELNS0_4arch9wavefront6targetE1EEEvSG_ ; -- Begin function _ZN7rocprim17ROCPRIM_400000_NS6detail17trampoline_kernelINS0_14default_configENS1_35radix_sort_onesweep_config_selectorIflEEZZNS1_29radix_sort_onesweep_iterationIS3_Lb0EPfS7_N6thrust23THRUST_200600_302600_NS10device_ptrIlEESB_jNS0_19identity_decomposerENS1_16block_id_wrapperIjLb0EEEEE10hipError_tT1_PNSt15iterator_traitsISG_E10value_typeET2_T3_PNSH_ISM_E10value_typeET4_T5_PSR_SS_PNS1_23onesweep_lookback_stateEbbT6_jjT7_P12ihipStream_tbENKUlT_T0_SG_SL_E_clIS7_S7_PlSB_EEDaSZ_S10_SG_SL_EUlSZ_E_NS1_11comp_targetILNS1_3genE6ELNS1_11target_archE950ELNS1_3gpuE13ELNS1_3repE0EEENS1_47radix_sort_onesweep_sort_config_static_selectorELNS0_4arch9wavefront6targetE1EEEvSG_
	.globl	_ZN7rocprim17ROCPRIM_400000_NS6detail17trampoline_kernelINS0_14default_configENS1_35radix_sort_onesweep_config_selectorIflEEZZNS1_29radix_sort_onesweep_iterationIS3_Lb0EPfS7_N6thrust23THRUST_200600_302600_NS10device_ptrIlEESB_jNS0_19identity_decomposerENS1_16block_id_wrapperIjLb0EEEEE10hipError_tT1_PNSt15iterator_traitsISG_E10value_typeET2_T3_PNSH_ISM_E10value_typeET4_T5_PSR_SS_PNS1_23onesweep_lookback_stateEbbT6_jjT7_P12ihipStream_tbENKUlT_T0_SG_SL_E_clIS7_S7_PlSB_EEDaSZ_S10_SG_SL_EUlSZ_E_NS1_11comp_targetILNS1_3genE6ELNS1_11target_archE950ELNS1_3gpuE13ELNS1_3repE0EEENS1_47radix_sort_onesweep_sort_config_static_selectorELNS0_4arch9wavefront6targetE1EEEvSG_
	.p2align	8
	.type	_ZN7rocprim17ROCPRIM_400000_NS6detail17trampoline_kernelINS0_14default_configENS1_35radix_sort_onesweep_config_selectorIflEEZZNS1_29radix_sort_onesweep_iterationIS3_Lb0EPfS7_N6thrust23THRUST_200600_302600_NS10device_ptrIlEESB_jNS0_19identity_decomposerENS1_16block_id_wrapperIjLb0EEEEE10hipError_tT1_PNSt15iterator_traitsISG_E10value_typeET2_T3_PNSH_ISM_E10value_typeET4_T5_PSR_SS_PNS1_23onesweep_lookback_stateEbbT6_jjT7_P12ihipStream_tbENKUlT_T0_SG_SL_E_clIS7_S7_PlSB_EEDaSZ_S10_SG_SL_EUlSZ_E_NS1_11comp_targetILNS1_3genE6ELNS1_11target_archE950ELNS1_3gpuE13ELNS1_3repE0EEENS1_47radix_sort_onesweep_sort_config_static_selectorELNS0_4arch9wavefront6targetE1EEEvSG_,@function
_ZN7rocprim17ROCPRIM_400000_NS6detail17trampoline_kernelINS0_14default_configENS1_35radix_sort_onesweep_config_selectorIflEEZZNS1_29radix_sort_onesweep_iterationIS3_Lb0EPfS7_N6thrust23THRUST_200600_302600_NS10device_ptrIlEESB_jNS0_19identity_decomposerENS1_16block_id_wrapperIjLb0EEEEE10hipError_tT1_PNSt15iterator_traitsISG_E10value_typeET2_T3_PNSH_ISM_E10value_typeET4_T5_PSR_SS_PNS1_23onesweep_lookback_stateEbbT6_jjT7_P12ihipStream_tbENKUlT_T0_SG_SL_E_clIS7_S7_PlSB_EEDaSZ_S10_SG_SL_EUlSZ_E_NS1_11comp_targetILNS1_3genE6ELNS1_11target_archE950ELNS1_3gpuE13ELNS1_3repE0EEENS1_47radix_sort_onesweep_sort_config_static_selectorELNS0_4arch9wavefront6targetE1EEEvSG_: ; @_ZN7rocprim17ROCPRIM_400000_NS6detail17trampoline_kernelINS0_14default_configENS1_35radix_sort_onesweep_config_selectorIflEEZZNS1_29radix_sort_onesweep_iterationIS3_Lb0EPfS7_N6thrust23THRUST_200600_302600_NS10device_ptrIlEESB_jNS0_19identity_decomposerENS1_16block_id_wrapperIjLb0EEEEE10hipError_tT1_PNSt15iterator_traitsISG_E10value_typeET2_T3_PNSH_ISM_E10value_typeET4_T5_PSR_SS_PNS1_23onesweep_lookback_stateEbbT6_jjT7_P12ihipStream_tbENKUlT_T0_SG_SL_E_clIS7_S7_PlSB_EEDaSZ_S10_SG_SL_EUlSZ_E_NS1_11comp_targetILNS1_3genE6ELNS1_11target_archE950ELNS1_3gpuE13ELNS1_3repE0EEENS1_47radix_sort_onesweep_sort_config_static_selectorELNS0_4arch9wavefront6targetE1EEEvSG_
; %bb.0:
	.section	.rodata,"a",@progbits
	.p2align	6, 0x0
	.amdhsa_kernel _ZN7rocprim17ROCPRIM_400000_NS6detail17trampoline_kernelINS0_14default_configENS1_35radix_sort_onesweep_config_selectorIflEEZZNS1_29radix_sort_onesweep_iterationIS3_Lb0EPfS7_N6thrust23THRUST_200600_302600_NS10device_ptrIlEESB_jNS0_19identity_decomposerENS1_16block_id_wrapperIjLb0EEEEE10hipError_tT1_PNSt15iterator_traitsISG_E10value_typeET2_T3_PNSH_ISM_E10value_typeET4_T5_PSR_SS_PNS1_23onesweep_lookback_stateEbbT6_jjT7_P12ihipStream_tbENKUlT_T0_SG_SL_E_clIS7_S7_PlSB_EEDaSZ_S10_SG_SL_EUlSZ_E_NS1_11comp_targetILNS1_3genE6ELNS1_11target_archE950ELNS1_3gpuE13ELNS1_3repE0EEENS1_47radix_sort_onesweep_sort_config_static_selectorELNS0_4arch9wavefront6targetE1EEEvSG_
		.amdhsa_group_segment_fixed_size 0
		.amdhsa_private_segment_fixed_size 0
		.amdhsa_kernarg_size 88
		.amdhsa_user_sgpr_count 6
		.amdhsa_user_sgpr_private_segment_buffer 1
		.amdhsa_user_sgpr_dispatch_ptr 0
		.amdhsa_user_sgpr_queue_ptr 0
		.amdhsa_user_sgpr_kernarg_segment_ptr 1
		.amdhsa_user_sgpr_dispatch_id 0
		.amdhsa_user_sgpr_flat_scratch_init 0
		.amdhsa_user_sgpr_kernarg_preload_length 0
		.amdhsa_user_sgpr_kernarg_preload_offset 0
		.amdhsa_user_sgpr_private_segment_size 0
		.amdhsa_uses_dynamic_stack 0
		.amdhsa_system_sgpr_private_segment_wavefront_offset 0
		.amdhsa_system_sgpr_workgroup_id_x 1
		.amdhsa_system_sgpr_workgroup_id_y 0
		.amdhsa_system_sgpr_workgroup_id_z 0
		.amdhsa_system_sgpr_workgroup_info 0
		.amdhsa_system_vgpr_workitem_id 0
		.amdhsa_next_free_vgpr 1
		.amdhsa_next_free_sgpr 0
		.amdhsa_accum_offset 4
		.amdhsa_reserve_vcc 0
		.amdhsa_reserve_flat_scratch 0
		.amdhsa_float_round_mode_32 0
		.amdhsa_float_round_mode_16_64 0
		.amdhsa_float_denorm_mode_32 3
		.amdhsa_float_denorm_mode_16_64 3
		.amdhsa_dx10_clamp 1
		.amdhsa_ieee_mode 1
		.amdhsa_fp16_overflow 0
		.amdhsa_tg_split 0
		.amdhsa_exception_fp_ieee_invalid_op 0
		.amdhsa_exception_fp_denorm_src 0
		.amdhsa_exception_fp_ieee_div_zero 0
		.amdhsa_exception_fp_ieee_overflow 0
		.amdhsa_exception_fp_ieee_underflow 0
		.amdhsa_exception_fp_ieee_inexact 0
		.amdhsa_exception_int_div_zero 0
	.end_amdhsa_kernel
	.section	.text._ZN7rocprim17ROCPRIM_400000_NS6detail17trampoline_kernelINS0_14default_configENS1_35radix_sort_onesweep_config_selectorIflEEZZNS1_29radix_sort_onesweep_iterationIS3_Lb0EPfS7_N6thrust23THRUST_200600_302600_NS10device_ptrIlEESB_jNS0_19identity_decomposerENS1_16block_id_wrapperIjLb0EEEEE10hipError_tT1_PNSt15iterator_traitsISG_E10value_typeET2_T3_PNSH_ISM_E10value_typeET4_T5_PSR_SS_PNS1_23onesweep_lookback_stateEbbT6_jjT7_P12ihipStream_tbENKUlT_T0_SG_SL_E_clIS7_S7_PlSB_EEDaSZ_S10_SG_SL_EUlSZ_E_NS1_11comp_targetILNS1_3genE6ELNS1_11target_archE950ELNS1_3gpuE13ELNS1_3repE0EEENS1_47radix_sort_onesweep_sort_config_static_selectorELNS0_4arch9wavefront6targetE1EEEvSG_,"axG",@progbits,_ZN7rocprim17ROCPRIM_400000_NS6detail17trampoline_kernelINS0_14default_configENS1_35radix_sort_onesweep_config_selectorIflEEZZNS1_29radix_sort_onesweep_iterationIS3_Lb0EPfS7_N6thrust23THRUST_200600_302600_NS10device_ptrIlEESB_jNS0_19identity_decomposerENS1_16block_id_wrapperIjLb0EEEEE10hipError_tT1_PNSt15iterator_traitsISG_E10value_typeET2_T3_PNSH_ISM_E10value_typeET4_T5_PSR_SS_PNS1_23onesweep_lookback_stateEbbT6_jjT7_P12ihipStream_tbENKUlT_T0_SG_SL_E_clIS7_S7_PlSB_EEDaSZ_S10_SG_SL_EUlSZ_E_NS1_11comp_targetILNS1_3genE6ELNS1_11target_archE950ELNS1_3gpuE13ELNS1_3repE0EEENS1_47radix_sort_onesweep_sort_config_static_selectorELNS0_4arch9wavefront6targetE1EEEvSG_,comdat
.Lfunc_end1880:
	.size	_ZN7rocprim17ROCPRIM_400000_NS6detail17trampoline_kernelINS0_14default_configENS1_35radix_sort_onesweep_config_selectorIflEEZZNS1_29radix_sort_onesweep_iterationIS3_Lb0EPfS7_N6thrust23THRUST_200600_302600_NS10device_ptrIlEESB_jNS0_19identity_decomposerENS1_16block_id_wrapperIjLb0EEEEE10hipError_tT1_PNSt15iterator_traitsISG_E10value_typeET2_T3_PNSH_ISM_E10value_typeET4_T5_PSR_SS_PNS1_23onesweep_lookback_stateEbbT6_jjT7_P12ihipStream_tbENKUlT_T0_SG_SL_E_clIS7_S7_PlSB_EEDaSZ_S10_SG_SL_EUlSZ_E_NS1_11comp_targetILNS1_3genE6ELNS1_11target_archE950ELNS1_3gpuE13ELNS1_3repE0EEENS1_47radix_sort_onesweep_sort_config_static_selectorELNS0_4arch9wavefront6targetE1EEEvSG_, .Lfunc_end1880-_ZN7rocprim17ROCPRIM_400000_NS6detail17trampoline_kernelINS0_14default_configENS1_35radix_sort_onesweep_config_selectorIflEEZZNS1_29radix_sort_onesweep_iterationIS3_Lb0EPfS7_N6thrust23THRUST_200600_302600_NS10device_ptrIlEESB_jNS0_19identity_decomposerENS1_16block_id_wrapperIjLb0EEEEE10hipError_tT1_PNSt15iterator_traitsISG_E10value_typeET2_T3_PNSH_ISM_E10value_typeET4_T5_PSR_SS_PNS1_23onesweep_lookback_stateEbbT6_jjT7_P12ihipStream_tbENKUlT_T0_SG_SL_E_clIS7_S7_PlSB_EEDaSZ_S10_SG_SL_EUlSZ_E_NS1_11comp_targetILNS1_3genE6ELNS1_11target_archE950ELNS1_3gpuE13ELNS1_3repE0EEENS1_47radix_sort_onesweep_sort_config_static_selectorELNS0_4arch9wavefront6targetE1EEEvSG_
                                        ; -- End function
	.section	.AMDGPU.csdata,"",@progbits
; Kernel info:
; codeLenInByte = 0
; NumSgprs: 4
; NumVgprs: 0
; NumAgprs: 0
; TotalNumVgprs: 0
; ScratchSize: 0
; MemoryBound: 0
; FloatMode: 240
; IeeeMode: 1
; LDSByteSize: 0 bytes/workgroup (compile time only)
; SGPRBlocks: 0
; VGPRBlocks: 0
; NumSGPRsForWavesPerEU: 4
; NumVGPRsForWavesPerEU: 1
; AccumOffset: 4
; Occupancy: 8
; WaveLimiterHint : 0
; COMPUTE_PGM_RSRC2:SCRATCH_EN: 0
; COMPUTE_PGM_RSRC2:USER_SGPR: 6
; COMPUTE_PGM_RSRC2:TRAP_HANDLER: 0
; COMPUTE_PGM_RSRC2:TGID_X_EN: 1
; COMPUTE_PGM_RSRC2:TGID_Y_EN: 0
; COMPUTE_PGM_RSRC2:TGID_Z_EN: 0
; COMPUTE_PGM_RSRC2:TIDIG_COMP_CNT: 0
; COMPUTE_PGM_RSRC3_GFX90A:ACCUM_OFFSET: 0
; COMPUTE_PGM_RSRC3_GFX90A:TG_SPLIT: 0
	.section	.text._ZN7rocprim17ROCPRIM_400000_NS6detail17trampoline_kernelINS0_14default_configENS1_35radix_sort_onesweep_config_selectorIflEEZZNS1_29radix_sort_onesweep_iterationIS3_Lb0EPfS7_N6thrust23THRUST_200600_302600_NS10device_ptrIlEESB_jNS0_19identity_decomposerENS1_16block_id_wrapperIjLb0EEEEE10hipError_tT1_PNSt15iterator_traitsISG_E10value_typeET2_T3_PNSH_ISM_E10value_typeET4_T5_PSR_SS_PNS1_23onesweep_lookback_stateEbbT6_jjT7_P12ihipStream_tbENKUlT_T0_SG_SL_E_clIS7_S7_PlSB_EEDaSZ_S10_SG_SL_EUlSZ_E_NS1_11comp_targetILNS1_3genE5ELNS1_11target_archE942ELNS1_3gpuE9ELNS1_3repE0EEENS1_47radix_sort_onesweep_sort_config_static_selectorELNS0_4arch9wavefront6targetE1EEEvSG_,"axG",@progbits,_ZN7rocprim17ROCPRIM_400000_NS6detail17trampoline_kernelINS0_14default_configENS1_35radix_sort_onesweep_config_selectorIflEEZZNS1_29radix_sort_onesweep_iterationIS3_Lb0EPfS7_N6thrust23THRUST_200600_302600_NS10device_ptrIlEESB_jNS0_19identity_decomposerENS1_16block_id_wrapperIjLb0EEEEE10hipError_tT1_PNSt15iterator_traitsISG_E10value_typeET2_T3_PNSH_ISM_E10value_typeET4_T5_PSR_SS_PNS1_23onesweep_lookback_stateEbbT6_jjT7_P12ihipStream_tbENKUlT_T0_SG_SL_E_clIS7_S7_PlSB_EEDaSZ_S10_SG_SL_EUlSZ_E_NS1_11comp_targetILNS1_3genE5ELNS1_11target_archE942ELNS1_3gpuE9ELNS1_3repE0EEENS1_47radix_sort_onesweep_sort_config_static_selectorELNS0_4arch9wavefront6targetE1EEEvSG_,comdat
	.protected	_ZN7rocprim17ROCPRIM_400000_NS6detail17trampoline_kernelINS0_14default_configENS1_35radix_sort_onesweep_config_selectorIflEEZZNS1_29radix_sort_onesweep_iterationIS3_Lb0EPfS7_N6thrust23THRUST_200600_302600_NS10device_ptrIlEESB_jNS0_19identity_decomposerENS1_16block_id_wrapperIjLb0EEEEE10hipError_tT1_PNSt15iterator_traitsISG_E10value_typeET2_T3_PNSH_ISM_E10value_typeET4_T5_PSR_SS_PNS1_23onesweep_lookback_stateEbbT6_jjT7_P12ihipStream_tbENKUlT_T0_SG_SL_E_clIS7_S7_PlSB_EEDaSZ_S10_SG_SL_EUlSZ_E_NS1_11comp_targetILNS1_3genE5ELNS1_11target_archE942ELNS1_3gpuE9ELNS1_3repE0EEENS1_47radix_sort_onesweep_sort_config_static_selectorELNS0_4arch9wavefront6targetE1EEEvSG_ ; -- Begin function _ZN7rocprim17ROCPRIM_400000_NS6detail17trampoline_kernelINS0_14default_configENS1_35radix_sort_onesweep_config_selectorIflEEZZNS1_29radix_sort_onesweep_iterationIS3_Lb0EPfS7_N6thrust23THRUST_200600_302600_NS10device_ptrIlEESB_jNS0_19identity_decomposerENS1_16block_id_wrapperIjLb0EEEEE10hipError_tT1_PNSt15iterator_traitsISG_E10value_typeET2_T3_PNSH_ISM_E10value_typeET4_T5_PSR_SS_PNS1_23onesweep_lookback_stateEbbT6_jjT7_P12ihipStream_tbENKUlT_T0_SG_SL_E_clIS7_S7_PlSB_EEDaSZ_S10_SG_SL_EUlSZ_E_NS1_11comp_targetILNS1_3genE5ELNS1_11target_archE942ELNS1_3gpuE9ELNS1_3repE0EEENS1_47radix_sort_onesweep_sort_config_static_selectorELNS0_4arch9wavefront6targetE1EEEvSG_
	.globl	_ZN7rocprim17ROCPRIM_400000_NS6detail17trampoline_kernelINS0_14default_configENS1_35radix_sort_onesweep_config_selectorIflEEZZNS1_29radix_sort_onesweep_iterationIS3_Lb0EPfS7_N6thrust23THRUST_200600_302600_NS10device_ptrIlEESB_jNS0_19identity_decomposerENS1_16block_id_wrapperIjLb0EEEEE10hipError_tT1_PNSt15iterator_traitsISG_E10value_typeET2_T3_PNSH_ISM_E10value_typeET4_T5_PSR_SS_PNS1_23onesweep_lookback_stateEbbT6_jjT7_P12ihipStream_tbENKUlT_T0_SG_SL_E_clIS7_S7_PlSB_EEDaSZ_S10_SG_SL_EUlSZ_E_NS1_11comp_targetILNS1_3genE5ELNS1_11target_archE942ELNS1_3gpuE9ELNS1_3repE0EEENS1_47radix_sort_onesweep_sort_config_static_selectorELNS0_4arch9wavefront6targetE1EEEvSG_
	.p2align	8
	.type	_ZN7rocprim17ROCPRIM_400000_NS6detail17trampoline_kernelINS0_14default_configENS1_35radix_sort_onesweep_config_selectorIflEEZZNS1_29radix_sort_onesweep_iterationIS3_Lb0EPfS7_N6thrust23THRUST_200600_302600_NS10device_ptrIlEESB_jNS0_19identity_decomposerENS1_16block_id_wrapperIjLb0EEEEE10hipError_tT1_PNSt15iterator_traitsISG_E10value_typeET2_T3_PNSH_ISM_E10value_typeET4_T5_PSR_SS_PNS1_23onesweep_lookback_stateEbbT6_jjT7_P12ihipStream_tbENKUlT_T0_SG_SL_E_clIS7_S7_PlSB_EEDaSZ_S10_SG_SL_EUlSZ_E_NS1_11comp_targetILNS1_3genE5ELNS1_11target_archE942ELNS1_3gpuE9ELNS1_3repE0EEENS1_47radix_sort_onesweep_sort_config_static_selectorELNS0_4arch9wavefront6targetE1EEEvSG_,@function
_ZN7rocprim17ROCPRIM_400000_NS6detail17trampoline_kernelINS0_14default_configENS1_35radix_sort_onesweep_config_selectorIflEEZZNS1_29radix_sort_onesweep_iterationIS3_Lb0EPfS7_N6thrust23THRUST_200600_302600_NS10device_ptrIlEESB_jNS0_19identity_decomposerENS1_16block_id_wrapperIjLb0EEEEE10hipError_tT1_PNSt15iterator_traitsISG_E10value_typeET2_T3_PNSH_ISM_E10value_typeET4_T5_PSR_SS_PNS1_23onesweep_lookback_stateEbbT6_jjT7_P12ihipStream_tbENKUlT_T0_SG_SL_E_clIS7_S7_PlSB_EEDaSZ_S10_SG_SL_EUlSZ_E_NS1_11comp_targetILNS1_3genE5ELNS1_11target_archE942ELNS1_3gpuE9ELNS1_3repE0EEENS1_47radix_sort_onesweep_sort_config_static_selectorELNS0_4arch9wavefront6targetE1EEEvSG_: ; @_ZN7rocprim17ROCPRIM_400000_NS6detail17trampoline_kernelINS0_14default_configENS1_35radix_sort_onesweep_config_selectorIflEEZZNS1_29radix_sort_onesweep_iterationIS3_Lb0EPfS7_N6thrust23THRUST_200600_302600_NS10device_ptrIlEESB_jNS0_19identity_decomposerENS1_16block_id_wrapperIjLb0EEEEE10hipError_tT1_PNSt15iterator_traitsISG_E10value_typeET2_T3_PNSH_ISM_E10value_typeET4_T5_PSR_SS_PNS1_23onesweep_lookback_stateEbbT6_jjT7_P12ihipStream_tbENKUlT_T0_SG_SL_E_clIS7_S7_PlSB_EEDaSZ_S10_SG_SL_EUlSZ_E_NS1_11comp_targetILNS1_3genE5ELNS1_11target_archE942ELNS1_3gpuE9ELNS1_3repE0EEENS1_47radix_sort_onesweep_sort_config_static_selectorELNS0_4arch9wavefront6targetE1EEEvSG_
; %bb.0:
	.section	.rodata,"a",@progbits
	.p2align	6, 0x0
	.amdhsa_kernel _ZN7rocprim17ROCPRIM_400000_NS6detail17trampoline_kernelINS0_14default_configENS1_35radix_sort_onesweep_config_selectorIflEEZZNS1_29radix_sort_onesweep_iterationIS3_Lb0EPfS7_N6thrust23THRUST_200600_302600_NS10device_ptrIlEESB_jNS0_19identity_decomposerENS1_16block_id_wrapperIjLb0EEEEE10hipError_tT1_PNSt15iterator_traitsISG_E10value_typeET2_T3_PNSH_ISM_E10value_typeET4_T5_PSR_SS_PNS1_23onesweep_lookback_stateEbbT6_jjT7_P12ihipStream_tbENKUlT_T0_SG_SL_E_clIS7_S7_PlSB_EEDaSZ_S10_SG_SL_EUlSZ_E_NS1_11comp_targetILNS1_3genE5ELNS1_11target_archE942ELNS1_3gpuE9ELNS1_3repE0EEENS1_47radix_sort_onesweep_sort_config_static_selectorELNS0_4arch9wavefront6targetE1EEEvSG_
		.amdhsa_group_segment_fixed_size 0
		.amdhsa_private_segment_fixed_size 0
		.amdhsa_kernarg_size 88
		.amdhsa_user_sgpr_count 6
		.amdhsa_user_sgpr_private_segment_buffer 1
		.amdhsa_user_sgpr_dispatch_ptr 0
		.amdhsa_user_sgpr_queue_ptr 0
		.amdhsa_user_sgpr_kernarg_segment_ptr 1
		.amdhsa_user_sgpr_dispatch_id 0
		.amdhsa_user_sgpr_flat_scratch_init 0
		.amdhsa_user_sgpr_kernarg_preload_length 0
		.amdhsa_user_sgpr_kernarg_preload_offset 0
		.amdhsa_user_sgpr_private_segment_size 0
		.amdhsa_uses_dynamic_stack 0
		.amdhsa_system_sgpr_private_segment_wavefront_offset 0
		.amdhsa_system_sgpr_workgroup_id_x 1
		.amdhsa_system_sgpr_workgroup_id_y 0
		.amdhsa_system_sgpr_workgroup_id_z 0
		.amdhsa_system_sgpr_workgroup_info 0
		.amdhsa_system_vgpr_workitem_id 0
		.amdhsa_next_free_vgpr 1
		.amdhsa_next_free_sgpr 0
		.amdhsa_accum_offset 4
		.amdhsa_reserve_vcc 0
		.amdhsa_reserve_flat_scratch 0
		.amdhsa_float_round_mode_32 0
		.amdhsa_float_round_mode_16_64 0
		.amdhsa_float_denorm_mode_32 3
		.amdhsa_float_denorm_mode_16_64 3
		.amdhsa_dx10_clamp 1
		.amdhsa_ieee_mode 1
		.amdhsa_fp16_overflow 0
		.amdhsa_tg_split 0
		.amdhsa_exception_fp_ieee_invalid_op 0
		.amdhsa_exception_fp_denorm_src 0
		.amdhsa_exception_fp_ieee_div_zero 0
		.amdhsa_exception_fp_ieee_overflow 0
		.amdhsa_exception_fp_ieee_underflow 0
		.amdhsa_exception_fp_ieee_inexact 0
		.amdhsa_exception_int_div_zero 0
	.end_amdhsa_kernel
	.section	.text._ZN7rocprim17ROCPRIM_400000_NS6detail17trampoline_kernelINS0_14default_configENS1_35radix_sort_onesweep_config_selectorIflEEZZNS1_29radix_sort_onesweep_iterationIS3_Lb0EPfS7_N6thrust23THRUST_200600_302600_NS10device_ptrIlEESB_jNS0_19identity_decomposerENS1_16block_id_wrapperIjLb0EEEEE10hipError_tT1_PNSt15iterator_traitsISG_E10value_typeET2_T3_PNSH_ISM_E10value_typeET4_T5_PSR_SS_PNS1_23onesweep_lookback_stateEbbT6_jjT7_P12ihipStream_tbENKUlT_T0_SG_SL_E_clIS7_S7_PlSB_EEDaSZ_S10_SG_SL_EUlSZ_E_NS1_11comp_targetILNS1_3genE5ELNS1_11target_archE942ELNS1_3gpuE9ELNS1_3repE0EEENS1_47radix_sort_onesweep_sort_config_static_selectorELNS0_4arch9wavefront6targetE1EEEvSG_,"axG",@progbits,_ZN7rocprim17ROCPRIM_400000_NS6detail17trampoline_kernelINS0_14default_configENS1_35radix_sort_onesweep_config_selectorIflEEZZNS1_29radix_sort_onesweep_iterationIS3_Lb0EPfS7_N6thrust23THRUST_200600_302600_NS10device_ptrIlEESB_jNS0_19identity_decomposerENS1_16block_id_wrapperIjLb0EEEEE10hipError_tT1_PNSt15iterator_traitsISG_E10value_typeET2_T3_PNSH_ISM_E10value_typeET4_T5_PSR_SS_PNS1_23onesweep_lookback_stateEbbT6_jjT7_P12ihipStream_tbENKUlT_T0_SG_SL_E_clIS7_S7_PlSB_EEDaSZ_S10_SG_SL_EUlSZ_E_NS1_11comp_targetILNS1_3genE5ELNS1_11target_archE942ELNS1_3gpuE9ELNS1_3repE0EEENS1_47radix_sort_onesweep_sort_config_static_selectorELNS0_4arch9wavefront6targetE1EEEvSG_,comdat
.Lfunc_end1881:
	.size	_ZN7rocprim17ROCPRIM_400000_NS6detail17trampoline_kernelINS0_14default_configENS1_35radix_sort_onesweep_config_selectorIflEEZZNS1_29radix_sort_onesweep_iterationIS3_Lb0EPfS7_N6thrust23THRUST_200600_302600_NS10device_ptrIlEESB_jNS0_19identity_decomposerENS1_16block_id_wrapperIjLb0EEEEE10hipError_tT1_PNSt15iterator_traitsISG_E10value_typeET2_T3_PNSH_ISM_E10value_typeET4_T5_PSR_SS_PNS1_23onesweep_lookback_stateEbbT6_jjT7_P12ihipStream_tbENKUlT_T0_SG_SL_E_clIS7_S7_PlSB_EEDaSZ_S10_SG_SL_EUlSZ_E_NS1_11comp_targetILNS1_3genE5ELNS1_11target_archE942ELNS1_3gpuE9ELNS1_3repE0EEENS1_47radix_sort_onesweep_sort_config_static_selectorELNS0_4arch9wavefront6targetE1EEEvSG_, .Lfunc_end1881-_ZN7rocprim17ROCPRIM_400000_NS6detail17trampoline_kernelINS0_14default_configENS1_35radix_sort_onesweep_config_selectorIflEEZZNS1_29radix_sort_onesweep_iterationIS3_Lb0EPfS7_N6thrust23THRUST_200600_302600_NS10device_ptrIlEESB_jNS0_19identity_decomposerENS1_16block_id_wrapperIjLb0EEEEE10hipError_tT1_PNSt15iterator_traitsISG_E10value_typeET2_T3_PNSH_ISM_E10value_typeET4_T5_PSR_SS_PNS1_23onesweep_lookback_stateEbbT6_jjT7_P12ihipStream_tbENKUlT_T0_SG_SL_E_clIS7_S7_PlSB_EEDaSZ_S10_SG_SL_EUlSZ_E_NS1_11comp_targetILNS1_3genE5ELNS1_11target_archE942ELNS1_3gpuE9ELNS1_3repE0EEENS1_47radix_sort_onesweep_sort_config_static_selectorELNS0_4arch9wavefront6targetE1EEEvSG_
                                        ; -- End function
	.section	.AMDGPU.csdata,"",@progbits
; Kernel info:
; codeLenInByte = 0
; NumSgprs: 4
; NumVgprs: 0
; NumAgprs: 0
; TotalNumVgprs: 0
; ScratchSize: 0
; MemoryBound: 0
; FloatMode: 240
; IeeeMode: 1
; LDSByteSize: 0 bytes/workgroup (compile time only)
; SGPRBlocks: 0
; VGPRBlocks: 0
; NumSGPRsForWavesPerEU: 4
; NumVGPRsForWavesPerEU: 1
; AccumOffset: 4
; Occupancy: 8
; WaveLimiterHint : 0
; COMPUTE_PGM_RSRC2:SCRATCH_EN: 0
; COMPUTE_PGM_RSRC2:USER_SGPR: 6
; COMPUTE_PGM_RSRC2:TRAP_HANDLER: 0
; COMPUTE_PGM_RSRC2:TGID_X_EN: 1
; COMPUTE_PGM_RSRC2:TGID_Y_EN: 0
; COMPUTE_PGM_RSRC2:TGID_Z_EN: 0
; COMPUTE_PGM_RSRC2:TIDIG_COMP_CNT: 0
; COMPUTE_PGM_RSRC3_GFX90A:ACCUM_OFFSET: 0
; COMPUTE_PGM_RSRC3_GFX90A:TG_SPLIT: 0
	.section	.text._ZN7rocprim17ROCPRIM_400000_NS6detail17trampoline_kernelINS0_14default_configENS1_35radix_sort_onesweep_config_selectorIflEEZZNS1_29radix_sort_onesweep_iterationIS3_Lb0EPfS7_N6thrust23THRUST_200600_302600_NS10device_ptrIlEESB_jNS0_19identity_decomposerENS1_16block_id_wrapperIjLb0EEEEE10hipError_tT1_PNSt15iterator_traitsISG_E10value_typeET2_T3_PNSH_ISM_E10value_typeET4_T5_PSR_SS_PNS1_23onesweep_lookback_stateEbbT6_jjT7_P12ihipStream_tbENKUlT_T0_SG_SL_E_clIS7_S7_PlSB_EEDaSZ_S10_SG_SL_EUlSZ_E_NS1_11comp_targetILNS1_3genE2ELNS1_11target_archE906ELNS1_3gpuE6ELNS1_3repE0EEENS1_47radix_sort_onesweep_sort_config_static_selectorELNS0_4arch9wavefront6targetE1EEEvSG_,"axG",@progbits,_ZN7rocprim17ROCPRIM_400000_NS6detail17trampoline_kernelINS0_14default_configENS1_35radix_sort_onesweep_config_selectorIflEEZZNS1_29radix_sort_onesweep_iterationIS3_Lb0EPfS7_N6thrust23THRUST_200600_302600_NS10device_ptrIlEESB_jNS0_19identity_decomposerENS1_16block_id_wrapperIjLb0EEEEE10hipError_tT1_PNSt15iterator_traitsISG_E10value_typeET2_T3_PNSH_ISM_E10value_typeET4_T5_PSR_SS_PNS1_23onesweep_lookback_stateEbbT6_jjT7_P12ihipStream_tbENKUlT_T0_SG_SL_E_clIS7_S7_PlSB_EEDaSZ_S10_SG_SL_EUlSZ_E_NS1_11comp_targetILNS1_3genE2ELNS1_11target_archE906ELNS1_3gpuE6ELNS1_3repE0EEENS1_47radix_sort_onesweep_sort_config_static_selectorELNS0_4arch9wavefront6targetE1EEEvSG_,comdat
	.protected	_ZN7rocprim17ROCPRIM_400000_NS6detail17trampoline_kernelINS0_14default_configENS1_35radix_sort_onesweep_config_selectorIflEEZZNS1_29radix_sort_onesweep_iterationIS3_Lb0EPfS7_N6thrust23THRUST_200600_302600_NS10device_ptrIlEESB_jNS0_19identity_decomposerENS1_16block_id_wrapperIjLb0EEEEE10hipError_tT1_PNSt15iterator_traitsISG_E10value_typeET2_T3_PNSH_ISM_E10value_typeET4_T5_PSR_SS_PNS1_23onesweep_lookback_stateEbbT6_jjT7_P12ihipStream_tbENKUlT_T0_SG_SL_E_clIS7_S7_PlSB_EEDaSZ_S10_SG_SL_EUlSZ_E_NS1_11comp_targetILNS1_3genE2ELNS1_11target_archE906ELNS1_3gpuE6ELNS1_3repE0EEENS1_47radix_sort_onesweep_sort_config_static_selectorELNS0_4arch9wavefront6targetE1EEEvSG_ ; -- Begin function _ZN7rocprim17ROCPRIM_400000_NS6detail17trampoline_kernelINS0_14default_configENS1_35radix_sort_onesweep_config_selectorIflEEZZNS1_29radix_sort_onesweep_iterationIS3_Lb0EPfS7_N6thrust23THRUST_200600_302600_NS10device_ptrIlEESB_jNS0_19identity_decomposerENS1_16block_id_wrapperIjLb0EEEEE10hipError_tT1_PNSt15iterator_traitsISG_E10value_typeET2_T3_PNSH_ISM_E10value_typeET4_T5_PSR_SS_PNS1_23onesweep_lookback_stateEbbT6_jjT7_P12ihipStream_tbENKUlT_T0_SG_SL_E_clIS7_S7_PlSB_EEDaSZ_S10_SG_SL_EUlSZ_E_NS1_11comp_targetILNS1_3genE2ELNS1_11target_archE906ELNS1_3gpuE6ELNS1_3repE0EEENS1_47radix_sort_onesweep_sort_config_static_selectorELNS0_4arch9wavefront6targetE1EEEvSG_
	.globl	_ZN7rocprim17ROCPRIM_400000_NS6detail17trampoline_kernelINS0_14default_configENS1_35radix_sort_onesweep_config_selectorIflEEZZNS1_29radix_sort_onesweep_iterationIS3_Lb0EPfS7_N6thrust23THRUST_200600_302600_NS10device_ptrIlEESB_jNS0_19identity_decomposerENS1_16block_id_wrapperIjLb0EEEEE10hipError_tT1_PNSt15iterator_traitsISG_E10value_typeET2_T3_PNSH_ISM_E10value_typeET4_T5_PSR_SS_PNS1_23onesweep_lookback_stateEbbT6_jjT7_P12ihipStream_tbENKUlT_T0_SG_SL_E_clIS7_S7_PlSB_EEDaSZ_S10_SG_SL_EUlSZ_E_NS1_11comp_targetILNS1_3genE2ELNS1_11target_archE906ELNS1_3gpuE6ELNS1_3repE0EEENS1_47radix_sort_onesweep_sort_config_static_selectorELNS0_4arch9wavefront6targetE1EEEvSG_
	.p2align	8
	.type	_ZN7rocprim17ROCPRIM_400000_NS6detail17trampoline_kernelINS0_14default_configENS1_35radix_sort_onesweep_config_selectorIflEEZZNS1_29radix_sort_onesweep_iterationIS3_Lb0EPfS7_N6thrust23THRUST_200600_302600_NS10device_ptrIlEESB_jNS0_19identity_decomposerENS1_16block_id_wrapperIjLb0EEEEE10hipError_tT1_PNSt15iterator_traitsISG_E10value_typeET2_T3_PNSH_ISM_E10value_typeET4_T5_PSR_SS_PNS1_23onesweep_lookback_stateEbbT6_jjT7_P12ihipStream_tbENKUlT_T0_SG_SL_E_clIS7_S7_PlSB_EEDaSZ_S10_SG_SL_EUlSZ_E_NS1_11comp_targetILNS1_3genE2ELNS1_11target_archE906ELNS1_3gpuE6ELNS1_3repE0EEENS1_47radix_sort_onesweep_sort_config_static_selectorELNS0_4arch9wavefront6targetE1EEEvSG_,@function
_ZN7rocprim17ROCPRIM_400000_NS6detail17trampoline_kernelINS0_14default_configENS1_35radix_sort_onesweep_config_selectorIflEEZZNS1_29radix_sort_onesweep_iterationIS3_Lb0EPfS7_N6thrust23THRUST_200600_302600_NS10device_ptrIlEESB_jNS0_19identity_decomposerENS1_16block_id_wrapperIjLb0EEEEE10hipError_tT1_PNSt15iterator_traitsISG_E10value_typeET2_T3_PNSH_ISM_E10value_typeET4_T5_PSR_SS_PNS1_23onesweep_lookback_stateEbbT6_jjT7_P12ihipStream_tbENKUlT_T0_SG_SL_E_clIS7_S7_PlSB_EEDaSZ_S10_SG_SL_EUlSZ_E_NS1_11comp_targetILNS1_3genE2ELNS1_11target_archE906ELNS1_3gpuE6ELNS1_3repE0EEENS1_47radix_sort_onesweep_sort_config_static_selectorELNS0_4arch9wavefront6targetE1EEEvSG_: ; @_ZN7rocprim17ROCPRIM_400000_NS6detail17trampoline_kernelINS0_14default_configENS1_35radix_sort_onesweep_config_selectorIflEEZZNS1_29radix_sort_onesweep_iterationIS3_Lb0EPfS7_N6thrust23THRUST_200600_302600_NS10device_ptrIlEESB_jNS0_19identity_decomposerENS1_16block_id_wrapperIjLb0EEEEE10hipError_tT1_PNSt15iterator_traitsISG_E10value_typeET2_T3_PNSH_ISM_E10value_typeET4_T5_PSR_SS_PNS1_23onesweep_lookback_stateEbbT6_jjT7_P12ihipStream_tbENKUlT_T0_SG_SL_E_clIS7_S7_PlSB_EEDaSZ_S10_SG_SL_EUlSZ_E_NS1_11comp_targetILNS1_3genE2ELNS1_11target_archE906ELNS1_3gpuE6ELNS1_3repE0EEENS1_47radix_sort_onesweep_sort_config_static_selectorELNS0_4arch9wavefront6targetE1EEEvSG_
; %bb.0:
	.section	.rodata,"a",@progbits
	.p2align	6, 0x0
	.amdhsa_kernel _ZN7rocprim17ROCPRIM_400000_NS6detail17trampoline_kernelINS0_14default_configENS1_35radix_sort_onesweep_config_selectorIflEEZZNS1_29radix_sort_onesweep_iterationIS3_Lb0EPfS7_N6thrust23THRUST_200600_302600_NS10device_ptrIlEESB_jNS0_19identity_decomposerENS1_16block_id_wrapperIjLb0EEEEE10hipError_tT1_PNSt15iterator_traitsISG_E10value_typeET2_T3_PNSH_ISM_E10value_typeET4_T5_PSR_SS_PNS1_23onesweep_lookback_stateEbbT6_jjT7_P12ihipStream_tbENKUlT_T0_SG_SL_E_clIS7_S7_PlSB_EEDaSZ_S10_SG_SL_EUlSZ_E_NS1_11comp_targetILNS1_3genE2ELNS1_11target_archE906ELNS1_3gpuE6ELNS1_3repE0EEENS1_47radix_sort_onesweep_sort_config_static_selectorELNS0_4arch9wavefront6targetE1EEEvSG_
		.amdhsa_group_segment_fixed_size 0
		.amdhsa_private_segment_fixed_size 0
		.amdhsa_kernarg_size 88
		.amdhsa_user_sgpr_count 6
		.amdhsa_user_sgpr_private_segment_buffer 1
		.amdhsa_user_sgpr_dispatch_ptr 0
		.amdhsa_user_sgpr_queue_ptr 0
		.amdhsa_user_sgpr_kernarg_segment_ptr 1
		.amdhsa_user_sgpr_dispatch_id 0
		.amdhsa_user_sgpr_flat_scratch_init 0
		.amdhsa_user_sgpr_kernarg_preload_length 0
		.amdhsa_user_sgpr_kernarg_preload_offset 0
		.amdhsa_user_sgpr_private_segment_size 0
		.amdhsa_uses_dynamic_stack 0
		.amdhsa_system_sgpr_private_segment_wavefront_offset 0
		.amdhsa_system_sgpr_workgroup_id_x 1
		.amdhsa_system_sgpr_workgroup_id_y 0
		.amdhsa_system_sgpr_workgroup_id_z 0
		.amdhsa_system_sgpr_workgroup_info 0
		.amdhsa_system_vgpr_workitem_id 0
		.amdhsa_next_free_vgpr 1
		.amdhsa_next_free_sgpr 0
		.amdhsa_accum_offset 4
		.amdhsa_reserve_vcc 0
		.amdhsa_reserve_flat_scratch 0
		.amdhsa_float_round_mode_32 0
		.amdhsa_float_round_mode_16_64 0
		.amdhsa_float_denorm_mode_32 3
		.amdhsa_float_denorm_mode_16_64 3
		.amdhsa_dx10_clamp 1
		.amdhsa_ieee_mode 1
		.amdhsa_fp16_overflow 0
		.amdhsa_tg_split 0
		.amdhsa_exception_fp_ieee_invalid_op 0
		.amdhsa_exception_fp_denorm_src 0
		.amdhsa_exception_fp_ieee_div_zero 0
		.amdhsa_exception_fp_ieee_overflow 0
		.amdhsa_exception_fp_ieee_underflow 0
		.amdhsa_exception_fp_ieee_inexact 0
		.amdhsa_exception_int_div_zero 0
	.end_amdhsa_kernel
	.section	.text._ZN7rocprim17ROCPRIM_400000_NS6detail17trampoline_kernelINS0_14default_configENS1_35radix_sort_onesweep_config_selectorIflEEZZNS1_29radix_sort_onesweep_iterationIS3_Lb0EPfS7_N6thrust23THRUST_200600_302600_NS10device_ptrIlEESB_jNS0_19identity_decomposerENS1_16block_id_wrapperIjLb0EEEEE10hipError_tT1_PNSt15iterator_traitsISG_E10value_typeET2_T3_PNSH_ISM_E10value_typeET4_T5_PSR_SS_PNS1_23onesweep_lookback_stateEbbT6_jjT7_P12ihipStream_tbENKUlT_T0_SG_SL_E_clIS7_S7_PlSB_EEDaSZ_S10_SG_SL_EUlSZ_E_NS1_11comp_targetILNS1_3genE2ELNS1_11target_archE906ELNS1_3gpuE6ELNS1_3repE0EEENS1_47radix_sort_onesweep_sort_config_static_selectorELNS0_4arch9wavefront6targetE1EEEvSG_,"axG",@progbits,_ZN7rocprim17ROCPRIM_400000_NS6detail17trampoline_kernelINS0_14default_configENS1_35radix_sort_onesweep_config_selectorIflEEZZNS1_29radix_sort_onesweep_iterationIS3_Lb0EPfS7_N6thrust23THRUST_200600_302600_NS10device_ptrIlEESB_jNS0_19identity_decomposerENS1_16block_id_wrapperIjLb0EEEEE10hipError_tT1_PNSt15iterator_traitsISG_E10value_typeET2_T3_PNSH_ISM_E10value_typeET4_T5_PSR_SS_PNS1_23onesweep_lookback_stateEbbT6_jjT7_P12ihipStream_tbENKUlT_T0_SG_SL_E_clIS7_S7_PlSB_EEDaSZ_S10_SG_SL_EUlSZ_E_NS1_11comp_targetILNS1_3genE2ELNS1_11target_archE906ELNS1_3gpuE6ELNS1_3repE0EEENS1_47radix_sort_onesweep_sort_config_static_selectorELNS0_4arch9wavefront6targetE1EEEvSG_,comdat
.Lfunc_end1882:
	.size	_ZN7rocprim17ROCPRIM_400000_NS6detail17trampoline_kernelINS0_14default_configENS1_35radix_sort_onesweep_config_selectorIflEEZZNS1_29radix_sort_onesweep_iterationIS3_Lb0EPfS7_N6thrust23THRUST_200600_302600_NS10device_ptrIlEESB_jNS0_19identity_decomposerENS1_16block_id_wrapperIjLb0EEEEE10hipError_tT1_PNSt15iterator_traitsISG_E10value_typeET2_T3_PNSH_ISM_E10value_typeET4_T5_PSR_SS_PNS1_23onesweep_lookback_stateEbbT6_jjT7_P12ihipStream_tbENKUlT_T0_SG_SL_E_clIS7_S7_PlSB_EEDaSZ_S10_SG_SL_EUlSZ_E_NS1_11comp_targetILNS1_3genE2ELNS1_11target_archE906ELNS1_3gpuE6ELNS1_3repE0EEENS1_47radix_sort_onesweep_sort_config_static_selectorELNS0_4arch9wavefront6targetE1EEEvSG_, .Lfunc_end1882-_ZN7rocprim17ROCPRIM_400000_NS6detail17trampoline_kernelINS0_14default_configENS1_35radix_sort_onesweep_config_selectorIflEEZZNS1_29radix_sort_onesweep_iterationIS3_Lb0EPfS7_N6thrust23THRUST_200600_302600_NS10device_ptrIlEESB_jNS0_19identity_decomposerENS1_16block_id_wrapperIjLb0EEEEE10hipError_tT1_PNSt15iterator_traitsISG_E10value_typeET2_T3_PNSH_ISM_E10value_typeET4_T5_PSR_SS_PNS1_23onesweep_lookback_stateEbbT6_jjT7_P12ihipStream_tbENKUlT_T0_SG_SL_E_clIS7_S7_PlSB_EEDaSZ_S10_SG_SL_EUlSZ_E_NS1_11comp_targetILNS1_3genE2ELNS1_11target_archE906ELNS1_3gpuE6ELNS1_3repE0EEENS1_47radix_sort_onesweep_sort_config_static_selectorELNS0_4arch9wavefront6targetE1EEEvSG_
                                        ; -- End function
	.section	.AMDGPU.csdata,"",@progbits
; Kernel info:
; codeLenInByte = 0
; NumSgprs: 4
; NumVgprs: 0
; NumAgprs: 0
; TotalNumVgprs: 0
; ScratchSize: 0
; MemoryBound: 0
; FloatMode: 240
; IeeeMode: 1
; LDSByteSize: 0 bytes/workgroup (compile time only)
; SGPRBlocks: 0
; VGPRBlocks: 0
; NumSGPRsForWavesPerEU: 4
; NumVGPRsForWavesPerEU: 1
; AccumOffset: 4
; Occupancy: 8
; WaveLimiterHint : 0
; COMPUTE_PGM_RSRC2:SCRATCH_EN: 0
; COMPUTE_PGM_RSRC2:USER_SGPR: 6
; COMPUTE_PGM_RSRC2:TRAP_HANDLER: 0
; COMPUTE_PGM_RSRC2:TGID_X_EN: 1
; COMPUTE_PGM_RSRC2:TGID_Y_EN: 0
; COMPUTE_PGM_RSRC2:TGID_Z_EN: 0
; COMPUTE_PGM_RSRC2:TIDIG_COMP_CNT: 0
; COMPUTE_PGM_RSRC3_GFX90A:ACCUM_OFFSET: 0
; COMPUTE_PGM_RSRC3_GFX90A:TG_SPLIT: 0
	.section	.text._ZN7rocprim17ROCPRIM_400000_NS6detail17trampoline_kernelINS0_14default_configENS1_35radix_sort_onesweep_config_selectorIflEEZZNS1_29radix_sort_onesweep_iterationIS3_Lb0EPfS7_N6thrust23THRUST_200600_302600_NS10device_ptrIlEESB_jNS0_19identity_decomposerENS1_16block_id_wrapperIjLb0EEEEE10hipError_tT1_PNSt15iterator_traitsISG_E10value_typeET2_T3_PNSH_ISM_E10value_typeET4_T5_PSR_SS_PNS1_23onesweep_lookback_stateEbbT6_jjT7_P12ihipStream_tbENKUlT_T0_SG_SL_E_clIS7_S7_PlSB_EEDaSZ_S10_SG_SL_EUlSZ_E_NS1_11comp_targetILNS1_3genE4ELNS1_11target_archE910ELNS1_3gpuE8ELNS1_3repE0EEENS1_47radix_sort_onesweep_sort_config_static_selectorELNS0_4arch9wavefront6targetE1EEEvSG_,"axG",@progbits,_ZN7rocprim17ROCPRIM_400000_NS6detail17trampoline_kernelINS0_14default_configENS1_35radix_sort_onesweep_config_selectorIflEEZZNS1_29radix_sort_onesweep_iterationIS3_Lb0EPfS7_N6thrust23THRUST_200600_302600_NS10device_ptrIlEESB_jNS0_19identity_decomposerENS1_16block_id_wrapperIjLb0EEEEE10hipError_tT1_PNSt15iterator_traitsISG_E10value_typeET2_T3_PNSH_ISM_E10value_typeET4_T5_PSR_SS_PNS1_23onesweep_lookback_stateEbbT6_jjT7_P12ihipStream_tbENKUlT_T0_SG_SL_E_clIS7_S7_PlSB_EEDaSZ_S10_SG_SL_EUlSZ_E_NS1_11comp_targetILNS1_3genE4ELNS1_11target_archE910ELNS1_3gpuE8ELNS1_3repE0EEENS1_47radix_sort_onesweep_sort_config_static_selectorELNS0_4arch9wavefront6targetE1EEEvSG_,comdat
	.protected	_ZN7rocprim17ROCPRIM_400000_NS6detail17trampoline_kernelINS0_14default_configENS1_35radix_sort_onesweep_config_selectorIflEEZZNS1_29radix_sort_onesweep_iterationIS3_Lb0EPfS7_N6thrust23THRUST_200600_302600_NS10device_ptrIlEESB_jNS0_19identity_decomposerENS1_16block_id_wrapperIjLb0EEEEE10hipError_tT1_PNSt15iterator_traitsISG_E10value_typeET2_T3_PNSH_ISM_E10value_typeET4_T5_PSR_SS_PNS1_23onesweep_lookback_stateEbbT6_jjT7_P12ihipStream_tbENKUlT_T0_SG_SL_E_clIS7_S7_PlSB_EEDaSZ_S10_SG_SL_EUlSZ_E_NS1_11comp_targetILNS1_3genE4ELNS1_11target_archE910ELNS1_3gpuE8ELNS1_3repE0EEENS1_47radix_sort_onesweep_sort_config_static_selectorELNS0_4arch9wavefront6targetE1EEEvSG_ ; -- Begin function _ZN7rocprim17ROCPRIM_400000_NS6detail17trampoline_kernelINS0_14default_configENS1_35radix_sort_onesweep_config_selectorIflEEZZNS1_29radix_sort_onesweep_iterationIS3_Lb0EPfS7_N6thrust23THRUST_200600_302600_NS10device_ptrIlEESB_jNS0_19identity_decomposerENS1_16block_id_wrapperIjLb0EEEEE10hipError_tT1_PNSt15iterator_traitsISG_E10value_typeET2_T3_PNSH_ISM_E10value_typeET4_T5_PSR_SS_PNS1_23onesweep_lookback_stateEbbT6_jjT7_P12ihipStream_tbENKUlT_T0_SG_SL_E_clIS7_S7_PlSB_EEDaSZ_S10_SG_SL_EUlSZ_E_NS1_11comp_targetILNS1_3genE4ELNS1_11target_archE910ELNS1_3gpuE8ELNS1_3repE0EEENS1_47radix_sort_onesweep_sort_config_static_selectorELNS0_4arch9wavefront6targetE1EEEvSG_
	.globl	_ZN7rocprim17ROCPRIM_400000_NS6detail17trampoline_kernelINS0_14default_configENS1_35radix_sort_onesweep_config_selectorIflEEZZNS1_29radix_sort_onesweep_iterationIS3_Lb0EPfS7_N6thrust23THRUST_200600_302600_NS10device_ptrIlEESB_jNS0_19identity_decomposerENS1_16block_id_wrapperIjLb0EEEEE10hipError_tT1_PNSt15iterator_traitsISG_E10value_typeET2_T3_PNSH_ISM_E10value_typeET4_T5_PSR_SS_PNS1_23onesweep_lookback_stateEbbT6_jjT7_P12ihipStream_tbENKUlT_T0_SG_SL_E_clIS7_S7_PlSB_EEDaSZ_S10_SG_SL_EUlSZ_E_NS1_11comp_targetILNS1_3genE4ELNS1_11target_archE910ELNS1_3gpuE8ELNS1_3repE0EEENS1_47radix_sort_onesweep_sort_config_static_selectorELNS0_4arch9wavefront6targetE1EEEvSG_
	.p2align	8
	.type	_ZN7rocprim17ROCPRIM_400000_NS6detail17trampoline_kernelINS0_14default_configENS1_35radix_sort_onesweep_config_selectorIflEEZZNS1_29radix_sort_onesweep_iterationIS3_Lb0EPfS7_N6thrust23THRUST_200600_302600_NS10device_ptrIlEESB_jNS0_19identity_decomposerENS1_16block_id_wrapperIjLb0EEEEE10hipError_tT1_PNSt15iterator_traitsISG_E10value_typeET2_T3_PNSH_ISM_E10value_typeET4_T5_PSR_SS_PNS1_23onesweep_lookback_stateEbbT6_jjT7_P12ihipStream_tbENKUlT_T0_SG_SL_E_clIS7_S7_PlSB_EEDaSZ_S10_SG_SL_EUlSZ_E_NS1_11comp_targetILNS1_3genE4ELNS1_11target_archE910ELNS1_3gpuE8ELNS1_3repE0EEENS1_47radix_sort_onesweep_sort_config_static_selectorELNS0_4arch9wavefront6targetE1EEEvSG_,@function
_ZN7rocprim17ROCPRIM_400000_NS6detail17trampoline_kernelINS0_14default_configENS1_35radix_sort_onesweep_config_selectorIflEEZZNS1_29radix_sort_onesweep_iterationIS3_Lb0EPfS7_N6thrust23THRUST_200600_302600_NS10device_ptrIlEESB_jNS0_19identity_decomposerENS1_16block_id_wrapperIjLb0EEEEE10hipError_tT1_PNSt15iterator_traitsISG_E10value_typeET2_T3_PNSH_ISM_E10value_typeET4_T5_PSR_SS_PNS1_23onesweep_lookback_stateEbbT6_jjT7_P12ihipStream_tbENKUlT_T0_SG_SL_E_clIS7_S7_PlSB_EEDaSZ_S10_SG_SL_EUlSZ_E_NS1_11comp_targetILNS1_3genE4ELNS1_11target_archE910ELNS1_3gpuE8ELNS1_3repE0EEENS1_47radix_sort_onesweep_sort_config_static_selectorELNS0_4arch9wavefront6targetE1EEEvSG_: ; @_ZN7rocprim17ROCPRIM_400000_NS6detail17trampoline_kernelINS0_14default_configENS1_35radix_sort_onesweep_config_selectorIflEEZZNS1_29radix_sort_onesweep_iterationIS3_Lb0EPfS7_N6thrust23THRUST_200600_302600_NS10device_ptrIlEESB_jNS0_19identity_decomposerENS1_16block_id_wrapperIjLb0EEEEE10hipError_tT1_PNSt15iterator_traitsISG_E10value_typeET2_T3_PNSH_ISM_E10value_typeET4_T5_PSR_SS_PNS1_23onesweep_lookback_stateEbbT6_jjT7_P12ihipStream_tbENKUlT_T0_SG_SL_E_clIS7_S7_PlSB_EEDaSZ_S10_SG_SL_EUlSZ_E_NS1_11comp_targetILNS1_3genE4ELNS1_11target_archE910ELNS1_3gpuE8ELNS1_3repE0EEENS1_47radix_sort_onesweep_sort_config_static_selectorELNS0_4arch9wavefront6targetE1EEEvSG_
; %bb.0:
	s_load_dwordx8 s[36:43], s[4:5], 0x0
	s_load_dwordx4 s[44:47], s[4:5], 0x44
	s_load_dwordx4 s[28:31], s[4:5], 0x28
	s_load_dwordx2 s[34:35], s[4:5], 0x38
	v_mbcnt_lo_u32_b32 v1, -1, 0
	s_waitcnt lgkmcnt(0)
	s_cmp_ge_u32 s6, s46
	s_cbranch_scc0 .LBB1883_63
; %bb.1:
	s_load_dword s0, s[4:5], 0x20
	s_lshl_b32 s1, s46, 13
	s_lshl_b32 s46, s6, 13
	s_mov_b32 s47, 0
	v_mbcnt_hi_u32_b32 v19, -1, v1
	s_waitcnt lgkmcnt(0)
	s_sub_i32 s7, s0, s1
	s_lshl_b64 s[0:1], s[46:47], 2
	v_and_b32_e32 v10, 0x3ff, v0
	s_add_u32 s0, s36, s0
	v_and_b32_e32 v17, 63, v19
	s_addc_u32 s1, s37, s1
	v_lshlrev_b32_e32 v11, 3, v10
	v_lshlrev_b32_e32 v2, 2, v17
	v_and_b32_e32 v16, 0x1e00, v11
	v_mov_b32_e32 v3, s1
	v_add_co_u32_e32 v2, vcc, s0, v2
	v_addc_co_u32_e32 v3, vcc, 0, v3, vcc
	v_lshlrev_b32_e32 v4, 2, v16
	s_brev_b32 s8, -2
	v_add_co_u32_e32 v12, vcc, v2, v4
	s_mov_b32 s9, s8
	v_addc_co_u32_e32 v13, vcc, 0, v3, vcc
	v_or_b32_e32 v14, v17, v16
	s_mov_b32 s10, s8
	s_mov_b32 s11, s8
	;; [unrolled: 1-line block ×6, first 2 shown]
	v_pk_mov_b32 v[2:3], s[8:9], s[8:9] op_sel:[0,1]
	v_cmp_gt_u32_e64 s[0:1], s7, v14
	v_pk_mov_b32 v[4:5], s[10:11], s[10:11] op_sel:[0,1]
	v_pk_mov_b32 v[6:7], s[12:13], s[12:13] op_sel:[0,1]
	;; [unrolled: 1-line block ×3, first 2 shown]
	s_and_saveexec_b64 s[2:3], s[0:1]
	s_cbranch_execz .LBB1883_3
; %bb.2:
	global_load_dword v2, v[12:13], off
	v_bfrev_b32_e32 v3, -2
	v_mov_b32_e32 v4, v3
	v_mov_b32_e32 v5, v3
	;; [unrolled: 1-line block ×6, first 2 shown]
.LBB1883_3:
	s_or_b64 exec, exec, s[2:3]
	v_or_b32_e32 v15, 64, v14
	v_cmp_gt_u32_e64 s[2:3], s7, v15
	s_and_saveexec_b64 s[8:9], s[2:3]
	s_cbranch_execz .LBB1883_5
; %bb.4:
	global_load_dword v3, v[12:13], off offset:256
.LBB1883_5:
	s_or_b64 exec, exec, s[8:9]
	v_or_b32_e32 v15, 0x80, v14
	v_cmp_gt_u32_e64 s[24:25], s7, v15
	s_and_saveexec_b64 s[8:9], s[24:25]
	s_cbranch_execz .LBB1883_7
; %bb.6:
	global_load_dword v4, v[12:13], off offset:512
.LBB1883_7:
	;; [unrolled: 8-line block ×7, first 2 shown]
	s_or_b64 exec, exec, s[18:19]
	s_load_dword s18, s[4:5], 0x64
	s_load_dword s33, s[4:5], 0x58
	s_add_u32 s19, s4, 0x58
	s_addc_u32 s20, s5, 0
	v_mov_b32_e32 v12, 0
	s_waitcnt lgkmcnt(0)
	s_lshr_b32 s21, s18, 16
	s_cmp_lt_u32 s6, s33
	s_cselect_b32 s18, 12, 18
	s_add_u32 s18, s19, s18
	s_addc_u32 s19, s20, 0
	global_load_ushort v14, v12, s[18:19]
	v_bfrev_b32_e32 v20, 1
	s_waitcnt vmcnt(1)
	v_cmp_lt_i32_e32 vcc, -1, v2
	v_mul_u32_u24_e32 v18, 5, v10
	v_cndmask_b32_e32 v21, -1, v20, vcc
	s_brev_b32 s20, -2
	v_lshlrev_b32_e32 v23, 2, v18
	v_xor_b32_e32 v18, v21, v2
	v_cmp_ne_u32_e32 vcc, s20, v18
	v_cndmask_b32_e32 v2, v20, v18, vcc
	s_lshl_b32 s18, -1, s45
	v_lshrrev_b32_e32 v2, s44, v2
	s_not_b32 s50, s18
	v_and_b32_e32 v2, s50, v2
	v_and_b32_e32 v22, 1, v2
	v_bfe_u32 v13, v0, 10, 10
	v_bfe_u32 v15, v0, 20, 10
	v_add_co_u32_e32 v24, vcc, -1, v22
	v_mad_u32_u24 v15, v15, s21, v13
	v_lshlrev_b32_e32 v13, 30, v2
	v_addc_co_u32_e64 v25, s[18:19], 0, -1, vcc
	v_cmp_ne_u32_e32 vcc, 0, v22
	v_cmp_gt_i64_e64 s[18:19], 0, v[12:13]
	v_not_b32_e32 v22, v13
	v_lshlrev_b32_e32 v13, 29, v2
	v_xor_b32_e32 v25, vcc_hi, v25
	v_xor_b32_e32 v24, vcc_lo, v24
	v_ashrrev_i32_e32 v22, 31, v22
	v_cmp_gt_i64_e32 vcc, 0, v[12:13]
	v_not_b32_e32 v26, v13
	v_lshlrev_b32_e32 v13, 28, v2
	v_and_b32_e32 v25, exec_hi, v25
	v_and_b32_e32 v24, exec_lo, v24
	v_xor_b32_e32 v27, s19, v22
	v_xor_b32_e32 v22, s18, v22
	v_ashrrev_i32_e32 v26, 31, v26
	v_cmp_gt_i64_e64 s[18:19], 0, v[12:13]
	v_not_b32_e32 v28, v13
	v_lshlrev_b32_e32 v13, 27, v2
	v_and_b32_e32 v25, v25, v27
	v_and_b32_e32 v22, v24, v22
	v_xor_b32_e32 v24, vcc_hi, v26
	v_xor_b32_e32 v26, vcc_lo, v26
	v_ashrrev_i32_e32 v27, 31, v28
	v_cmp_gt_i64_e32 vcc, 0, v[12:13]
	v_not_b32_e32 v28, v13
	v_lshlrev_b32_e32 v13, 26, v2
	v_and_b32_e32 v24, v25, v24
	v_and_b32_e32 v22, v22, v26
	v_xor_b32_e32 v25, s19, v27
	v_xor_b32_e32 v26, s18, v27
	v_ashrrev_i32_e32 v27, 31, v28
	v_cmp_gt_i64_e64 s[18:19], 0, v[12:13]
	v_not_b32_e32 v28, v13
	v_lshlrev_b32_e32 v13, 25, v2
	v_and_b32_e32 v24, v24, v25
	v_and_b32_e32 v22, v22, v26
	v_xor_b32_e32 v25, vcc_hi, v27
	v_xor_b32_e32 v26, vcc_lo, v27
	v_ashrrev_i32_e32 v27, 31, v28
	v_cmp_gt_i64_e32 vcc, 0, v[12:13]
	v_not_b32_e32 v13, v13
	v_and_b32_e32 v24, v24, v25
	v_and_b32_e32 v22, v22, v26
	v_xor_b32_e32 v25, s19, v27
	v_xor_b32_e32 v26, s18, v27
	v_ashrrev_i32_e32 v13, 31, v13
	v_lshl_add_u32 v21, v2, 4, v2
	v_and_b32_e32 v22, v22, v26
	v_xor_b32_e32 v26, vcc_hi, v13
	v_xor_b32_e32 v13, vcc_lo, v13
	v_and_b32_e32 v24, v24, v25
	ds_write2_b32 v23, v12, v12 offset0:16 offset1:17
	ds_write2_b32 v23, v12, v12 offset0:18 offset1:19
	ds_write_b32 v23, v12 offset:80
	s_waitcnt lgkmcnt(0)
	s_barrier
	s_waitcnt lgkmcnt(0)
	; wave barrier
	s_waitcnt vmcnt(0)
	v_mad_u64_u32 v[14:15], s[18:19], v15, v14, v[10:11]
	v_lshrrev_b32_e32 v42, 6, v14
	v_add_lshl_u32 v25, v21, v42, 2
	v_and_b32_e32 v21, v22, v13
	v_lshlrev_b32_e32 v13, 24, v2
	v_not_b32_e32 v2, v13
	v_cmp_gt_i64_e32 vcc, 0, v[12:13]
	v_ashrrev_i32_e32 v2, 31, v2
	v_and_b32_e32 v14, v24, v26
	v_xor_b32_e32 v13, vcc_hi, v2
	v_xor_b32_e32 v2, vcc_lo, v2
	v_and_b32_e32 v15, v14, v13
	v_and_b32_e32 v14, v21, v2
	v_mbcnt_lo_u32_b32 v2, v14, 0
	v_mbcnt_hi_u32_b32 v22, v15, v2
	v_cmp_eq_u32_e32 vcc, 0, v22
	v_cmp_ne_u64_e64 s[18:19], 0, v[14:15]
	s_and_b64 s[22:23], s[18:19], vcc
	s_and_saveexec_b64 s[18:19], s[22:23]
	s_cbranch_execz .LBB1883_19
; %bb.18:
	v_bcnt_u32_b32 v2, v14, 0
	v_bcnt_u32_b32 v2, v15, v2
	ds_write_b32 v25, v2 offset:64
.LBB1883_19:
	s_or_b64 exec, exec, s[18:19]
	v_cmp_lt_i32_e32 vcc, -1, v3
	v_cndmask_b32_e32 v2, -1, v20, vcc
	v_xor_b32_e32 v14, v2, v3
	v_cmp_ne_u32_e32 vcc, s20, v14
	v_cndmask_b32_e32 v2, v20, v14, vcc
	v_lshrrev_b32_e32 v2, s44, v2
	v_and_b32_e32 v2, s50, v2
	v_lshl_add_u32 v3, v2, 4, v2
	v_add_lshl_u32 v26, v3, v42, 2
	v_and_b32_e32 v3, 1, v2
	v_add_co_u32_e32 v13, vcc, -1, v3
	v_addc_co_u32_e64 v15, s[18:19], 0, -1, vcc
	v_cmp_ne_u32_e32 vcc, 0, v3
	v_xor_b32_e32 v13, vcc_lo, v13
	v_xor_b32_e32 v3, vcc_hi, v15
	v_and_b32_e32 v15, exec_lo, v13
	v_lshlrev_b32_e32 v13, 30, v2
	v_cmp_gt_i64_e32 vcc, 0, v[12:13]
	v_not_b32_e32 v13, v13
	v_ashrrev_i32_e32 v13, 31, v13
	v_xor_b32_e32 v20, vcc_hi, v13
	v_xor_b32_e32 v13, vcc_lo, v13
	v_and_b32_e32 v15, v15, v13
	v_lshlrev_b32_e32 v13, 29, v2
	v_cmp_gt_i64_e32 vcc, 0, v[12:13]
	v_not_b32_e32 v13, v13
	v_and_b32_e32 v3, exec_hi, v3
	v_ashrrev_i32_e32 v13, 31, v13
	v_and_b32_e32 v3, v3, v20
	v_xor_b32_e32 v20, vcc_hi, v13
	v_xor_b32_e32 v13, vcc_lo, v13
	v_and_b32_e32 v15, v15, v13
	v_lshlrev_b32_e32 v13, 28, v2
	v_cmp_gt_i64_e32 vcc, 0, v[12:13]
	v_not_b32_e32 v13, v13
	v_ashrrev_i32_e32 v13, 31, v13
	v_and_b32_e32 v3, v3, v20
	v_xor_b32_e32 v20, vcc_hi, v13
	v_xor_b32_e32 v13, vcc_lo, v13
	v_and_b32_e32 v15, v15, v13
	v_lshlrev_b32_e32 v13, 27, v2
	v_cmp_gt_i64_e32 vcc, 0, v[12:13]
	v_not_b32_e32 v13, v13
	;; [unrolled: 8-line block ×4, first 2 shown]
	v_ashrrev_i32_e32 v13, 31, v13
	v_and_b32_e32 v3, v3, v20
	v_xor_b32_e32 v20, vcc_hi, v13
	v_xor_b32_e32 v13, vcc_lo, v13
	v_and_b32_e32 v15, v15, v13
	v_lshlrev_b32_e32 v13, 24, v2
	v_not_b32_e32 v2, v13
	v_cmp_gt_i64_e32 vcc, 0, v[12:13]
	v_ashrrev_i32_e32 v2, 31, v2
	v_xor_b32_e32 v12, vcc_hi, v2
	v_xor_b32_e32 v2, vcc_lo, v2
	; wave barrier
	ds_read_b32 v30, v26 offset:64
	v_and_b32_e32 v3, v3, v20
	v_and_b32_e32 v2, v15, v2
	;; [unrolled: 1-line block ×3, first 2 shown]
	v_mbcnt_lo_u32_b32 v12, v2, 0
	v_mbcnt_hi_u32_b32 v31, v3, v12
	v_cmp_eq_u32_e32 vcc, 0, v31
	v_cmp_ne_u64_e64 s[18:19], 0, v[2:3]
	s_and_b64 s[20:21], s[18:19], vcc
	; wave barrier
	s_and_saveexec_b64 s[18:19], s[20:21]
	s_cbranch_execz .LBB1883_21
; %bb.20:
	v_bcnt_u32_b32 v2, v2, 0
	v_bcnt_u32_b32 v2, v3, v2
	s_waitcnt lgkmcnt(0)
	v_add_u32_e32 v2, v30, v2
	ds_write_b32 v26, v2 offset:64
.LBB1883_21:
	s_or_b64 exec, exec, s[18:19]
	v_bfrev_b32_e32 v21, 1
	v_cmp_lt_i32_e32 vcc, -1, v4
	v_cndmask_b32_e32 v2, -1, v21, vcc
	v_xor_b32_e32 v15, v2, v4
	s_brev_b32 s20, -2
	v_cmp_ne_u32_e32 vcc, s20, v15
	v_cndmask_b32_e32 v2, v21, v15, vcc
	v_lshrrev_b32_e32 v2, s44, v2
	v_and_b32_e32 v4, s50, v2
	v_and_b32_e32 v3, 1, v4
	v_add_co_u32_e32 v12, vcc, -1, v3
	v_addc_co_u32_e64 v13, s[18:19], 0, -1, vcc
	v_cmp_ne_u32_e32 vcc, 0, v3
	v_lshl_add_u32 v2, v4, 4, v4
	v_xor_b32_e32 v3, vcc_hi, v13
	v_add_lshl_u32 v28, v2, v42, 2
	v_mov_b32_e32 v2, 0
	v_and_b32_e32 v13, exec_hi, v3
	v_lshlrev_b32_e32 v3, 30, v4
	v_xor_b32_e32 v12, vcc_lo, v12
	v_cmp_gt_i64_e32 vcc, 0, v[2:3]
	v_not_b32_e32 v3, v3
	v_ashrrev_i32_e32 v3, 31, v3
	v_and_b32_e32 v12, exec_lo, v12
	v_xor_b32_e32 v20, vcc_hi, v3
	v_xor_b32_e32 v3, vcc_lo, v3
	v_and_b32_e32 v12, v12, v3
	v_lshlrev_b32_e32 v3, 29, v4
	v_cmp_gt_i64_e32 vcc, 0, v[2:3]
	v_not_b32_e32 v3, v3
	v_ashrrev_i32_e32 v3, 31, v3
	v_and_b32_e32 v13, v13, v20
	v_xor_b32_e32 v20, vcc_hi, v3
	v_xor_b32_e32 v3, vcc_lo, v3
	v_and_b32_e32 v12, v12, v3
	v_lshlrev_b32_e32 v3, 28, v4
	v_cmp_gt_i64_e32 vcc, 0, v[2:3]
	v_not_b32_e32 v3, v3
	v_ashrrev_i32_e32 v3, 31, v3
	v_and_b32_e32 v13, v13, v20
	;; [unrolled: 8-line block ×5, first 2 shown]
	v_xor_b32_e32 v20, vcc_hi, v3
	v_xor_b32_e32 v3, vcc_lo, v3
	v_and_b32_e32 v12, v12, v3
	v_lshlrev_b32_e32 v3, 24, v4
	v_cmp_gt_i64_e32 vcc, 0, v[2:3]
	v_not_b32_e32 v3, v3
	v_ashrrev_i32_e32 v3, 31, v3
	v_xor_b32_e32 v4, vcc_hi, v3
	v_xor_b32_e32 v3, vcc_lo, v3
	; wave barrier
	ds_read_b32 v32, v28 offset:64
	v_and_b32_e32 v13, v13, v20
	v_and_b32_e32 v12, v12, v3
	;; [unrolled: 1-line block ×3, first 2 shown]
	v_mbcnt_lo_u32_b32 v3, v12, 0
	v_mbcnt_hi_u32_b32 v33, v13, v3
	v_cmp_eq_u32_e32 vcc, 0, v33
	v_cmp_ne_u64_e64 s[18:19], 0, v[12:13]
	s_and_b64 s[22:23], s[18:19], vcc
	; wave barrier
	s_and_saveexec_b64 s[18:19], s[22:23]
	s_cbranch_execz .LBB1883_23
; %bb.22:
	v_bcnt_u32_b32 v3, v12, 0
	v_bcnt_u32_b32 v3, v13, v3
	s_waitcnt lgkmcnt(0)
	v_add_u32_e32 v3, v32, v3
	ds_write_b32 v28, v3 offset:64
.LBB1883_23:
	s_or_b64 exec, exec, s[18:19]
	v_cmp_lt_i32_e32 vcc, -1, v5
	v_cndmask_b32_e32 v3, -1, v21, vcc
	v_xor_b32_e32 v20, v3, v5
	v_cmp_ne_u32_e32 vcc, s20, v20
	v_cndmask_b32_e32 v3, v21, v20, vcc
	v_lshrrev_b32_e32 v3, s44, v3
	v_and_b32_e32 v4, s50, v3
	v_lshl_add_u32 v3, v4, 4, v4
	v_add_lshl_u32 v12, v3, v42, 2
	v_and_b32_e32 v3, 1, v4
	v_add_co_u32_e32 v5, vcc, -1, v3
	v_addc_co_u32_e64 v13, s[18:19], 0, -1, vcc
	v_cmp_ne_u32_e32 vcc, 0, v3
	v_xor_b32_e32 v3, vcc_hi, v13
	v_and_b32_e32 v13, exec_hi, v3
	v_lshlrev_b32_e32 v3, 30, v4
	v_xor_b32_e32 v5, vcc_lo, v5
	v_cmp_gt_i64_e32 vcc, 0, v[2:3]
	v_not_b32_e32 v3, v3
	v_ashrrev_i32_e32 v3, 31, v3
	v_and_b32_e32 v5, exec_lo, v5
	v_xor_b32_e32 v21, vcc_hi, v3
	v_xor_b32_e32 v3, vcc_lo, v3
	v_and_b32_e32 v5, v5, v3
	v_lshlrev_b32_e32 v3, 29, v4
	v_cmp_gt_i64_e32 vcc, 0, v[2:3]
	v_not_b32_e32 v3, v3
	v_ashrrev_i32_e32 v3, 31, v3
	v_and_b32_e32 v13, v13, v21
	v_xor_b32_e32 v21, vcc_hi, v3
	v_xor_b32_e32 v3, vcc_lo, v3
	v_and_b32_e32 v5, v5, v3
	v_lshlrev_b32_e32 v3, 28, v4
	v_cmp_gt_i64_e32 vcc, 0, v[2:3]
	v_not_b32_e32 v3, v3
	v_ashrrev_i32_e32 v3, 31, v3
	v_and_b32_e32 v13, v13, v21
	;; [unrolled: 8-line block ×5, first 2 shown]
	v_xor_b32_e32 v21, vcc_hi, v3
	v_xor_b32_e32 v3, vcc_lo, v3
	v_and_b32_e32 v5, v5, v3
	v_lshlrev_b32_e32 v3, 24, v4
	v_cmp_gt_i64_e32 vcc, 0, v[2:3]
	v_not_b32_e32 v2, v3
	v_ashrrev_i32_e32 v2, 31, v2
	v_xor_b32_e32 v3, vcc_hi, v2
	v_xor_b32_e32 v2, vcc_lo, v2
	; wave barrier
	ds_read_b32 v34, v12 offset:64
	v_and_b32_e32 v13, v13, v21
	v_and_b32_e32 v2, v5, v2
	;; [unrolled: 1-line block ×3, first 2 shown]
	v_mbcnt_lo_u32_b32 v4, v2, 0
	v_mbcnt_hi_u32_b32 v35, v3, v4
	v_cmp_eq_u32_e32 vcc, 0, v35
	v_cmp_ne_u64_e64 s[18:19], 0, v[2:3]
	s_and_b64 s[20:21], s[18:19], vcc
	; wave barrier
	s_and_saveexec_b64 s[18:19], s[20:21]
	s_cbranch_execz .LBB1883_25
; %bb.24:
	v_bcnt_u32_b32 v2, v2, 0
	v_bcnt_u32_b32 v2, v3, v2
	s_waitcnt lgkmcnt(0)
	v_add_u32_e32 v2, v34, v2
	ds_write_b32 v12, v2 offset:64
.LBB1883_25:
	s_or_b64 exec, exec, s[18:19]
	v_bfrev_b32_e32 v13, 1
	v_cmp_lt_i32_e32 vcc, -1, v6
	v_cndmask_b32_e32 v2, -1, v13, vcc
	v_xor_b32_e32 v21, v2, v6
	s_brev_b32 s20, -2
	v_cmp_ne_u32_e32 vcc, s20, v21
	v_cndmask_b32_e32 v2, v13, v21, vcc
	v_lshrrev_b32_e32 v2, s44, v2
	v_and_b32_e32 v4, s50, v2
	v_and_b32_e32 v3, 1, v4
	v_add_co_u32_e32 v5, vcc, -1, v3
	v_addc_co_u32_e64 v24, s[18:19], 0, -1, vcc
	v_cmp_ne_u32_e32 vcc, 0, v3
	v_lshl_add_u32 v2, v4, 4, v4
	v_xor_b32_e32 v3, vcc_hi, v24
	v_add_lshl_u32 v6, v2, v42, 2
	v_mov_b32_e32 v2, 0
	v_and_b32_e32 v24, exec_hi, v3
	v_lshlrev_b32_e32 v3, 30, v4
	v_xor_b32_e32 v5, vcc_lo, v5
	v_cmp_gt_i64_e32 vcc, 0, v[2:3]
	v_not_b32_e32 v3, v3
	v_ashrrev_i32_e32 v3, 31, v3
	v_and_b32_e32 v5, exec_lo, v5
	v_xor_b32_e32 v27, vcc_hi, v3
	v_xor_b32_e32 v3, vcc_lo, v3
	v_and_b32_e32 v5, v5, v3
	v_lshlrev_b32_e32 v3, 29, v4
	v_cmp_gt_i64_e32 vcc, 0, v[2:3]
	v_not_b32_e32 v3, v3
	v_ashrrev_i32_e32 v3, 31, v3
	v_and_b32_e32 v24, v24, v27
	v_xor_b32_e32 v27, vcc_hi, v3
	v_xor_b32_e32 v3, vcc_lo, v3
	v_and_b32_e32 v5, v5, v3
	v_lshlrev_b32_e32 v3, 28, v4
	v_cmp_gt_i64_e32 vcc, 0, v[2:3]
	v_not_b32_e32 v3, v3
	v_ashrrev_i32_e32 v3, 31, v3
	v_and_b32_e32 v24, v24, v27
	;; [unrolled: 8-line block ×5, first 2 shown]
	v_xor_b32_e32 v27, vcc_hi, v3
	v_xor_b32_e32 v3, vcc_lo, v3
	v_and_b32_e32 v24, v24, v27
	v_and_b32_e32 v27, v5, v3
	v_lshlrev_b32_e32 v3, 24, v4
	v_cmp_gt_i64_e32 vcc, 0, v[2:3]
	v_not_b32_e32 v3, v3
	v_ashrrev_i32_e32 v3, 31, v3
	v_xor_b32_e32 v4, vcc_hi, v3
	v_xor_b32_e32 v3, vcc_lo, v3
	; wave barrier
	ds_read_b32 v36, v6 offset:64
	v_and_b32_e32 v5, v24, v4
	v_and_b32_e32 v4, v27, v3
	v_mbcnt_lo_u32_b32 v3, v4, 0
	v_mbcnt_hi_u32_b32 v37, v5, v3
	v_cmp_eq_u32_e32 vcc, 0, v37
	v_cmp_ne_u64_e64 s[18:19], 0, v[4:5]
	s_and_b64 s[22:23], s[18:19], vcc
	; wave barrier
	s_and_saveexec_b64 s[18:19], s[22:23]
	s_cbranch_execz .LBB1883_27
; %bb.26:
	v_bcnt_u32_b32 v3, v4, 0
	v_bcnt_u32_b32 v3, v5, v3
	s_waitcnt lgkmcnt(0)
	v_add_u32_e32 v3, v36, v3
	ds_write_b32 v6, v3 offset:64
.LBB1883_27:
	s_or_b64 exec, exec, s[18:19]
	v_cmp_lt_i32_e32 vcc, -1, v7
	v_cndmask_b32_e32 v3, -1, v13, vcc
	v_xor_b32_e32 v24, v3, v7
	v_cmp_ne_u32_e32 vcc, s20, v24
	v_cndmask_b32_e32 v3, v13, v24, vcc
	v_lshrrev_b32_e32 v3, s44, v3
	v_and_b32_e32 v4, s50, v3
	v_lshl_add_u32 v3, v4, 4, v4
	v_add_lshl_u32 v7, v3, v42, 2
	v_and_b32_e32 v3, 1, v4
	v_add_co_u32_e32 v5, vcc, -1, v3
	v_addc_co_u32_e64 v13, s[18:19], 0, -1, vcc
	v_cmp_ne_u32_e32 vcc, 0, v3
	v_xor_b32_e32 v3, vcc_hi, v13
	v_and_b32_e32 v13, exec_hi, v3
	v_lshlrev_b32_e32 v3, 30, v4
	v_xor_b32_e32 v5, vcc_lo, v5
	v_cmp_gt_i64_e32 vcc, 0, v[2:3]
	v_not_b32_e32 v3, v3
	v_ashrrev_i32_e32 v3, 31, v3
	v_and_b32_e32 v5, exec_lo, v5
	v_xor_b32_e32 v27, vcc_hi, v3
	v_xor_b32_e32 v3, vcc_lo, v3
	v_and_b32_e32 v5, v5, v3
	v_lshlrev_b32_e32 v3, 29, v4
	v_cmp_gt_i64_e32 vcc, 0, v[2:3]
	v_not_b32_e32 v3, v3
	v_ashrrev_i32_e32 v3, 31, v3
	v_and_b32_e32 v13, v13, v27
	v_xor_b32_e32 v27, vcc_hi, v3
	v_xor_b32_e32 v3, vcc_lo, v3
	v_and_b32_e32 v5, v5, v3
	v_lshlrev_b32_e32 v3, 28, v4
	v_cmp_gt_i64_e32 vcc, 0, v[2:3]
	v_not_b32_e32 v3, v3
	v_ashrrev_i32_e32 v3, 31, v3
	v_and_b32_e32 v13, v13, v27
	;; [unrolled: 8-line block ×5, first 2 shown]
	v_xor_b32_e32 v27, vcc_hi, v3
	v_xor_b32_e32 v3, vcc_lo, v3
	v_and_b32_e32 v5, v5, v3
	v_lshlrev_b32_e32 v3, 24, v4
	v_cmp_gt_i64_e32 vcc, 0, v[2:3]
	v_not_b32_e32 v2, v3
	v_ashrrev_i32_e32 v2, 31, v2
	v_xor_b32_e32 v3, vcc_hi, v2
	v_xor_b32_e32 v2, vcc_lo, v2
	; wave barrier
	ds_read_b32 v38, v7 offset:64
	v_and_b32_e32 v13, v13, v27
	v_and_b32_e32 v2, v5, v2
	;; [unrolled: 1-line block ×3, first 2 shown]
	v_mbcnt_lo_u32_b32 v4, v2, 0
	v_mbcnt_hi_u32_b32 v39, v3, v4
	v_cmp_eq_u32_e32 vcc, 0, v39
	v_cmp_ne_u64_e64 s[18:19], 0, v[2:3]
	s_and_b64 s[20:21], s[18:19], vcc
	; wave barrier
	s_and_saveexec_b64 s[18:19], s[20:21]
	s_cbranch_execz .LBB1883_29
; %bb.28:
	v_bcnt_u32_b32 v2, v2, 0
	v_bcnt_u32_b32 v2, v3, v2
	s_waitcnt lgkmcnt(0)
	v_add_u32_e32 v2, v38, v2
	ds_write_b32 v7, v2 offset:64
.LBB1883_29:
	s_or_b64 exec, exec, s[18:19]
	v_bfrev_b32_e32 v43, 1
	v_cmp_lt_i32_e32 vcc, -1, v8
	v_cndmask_b32_e32 v2, -1, v43, vcc
	v_xor_b32_e32 v27, v2, v8
	s_brev_b32 s20, -2
	v_cmp_ne_u32_e32 vcc, s20, v27
	v_cndmask_b32_e32 v2, v43, v27, vcc
	v_lshrrev_b32_e32 v2, s44, v2
	v_and_b32_e32 v4, s50, v2
	v_and_b32_e32 v3, 1, v4
	v_add_co_u32_e32 v5, vcc, -1, v3
	v_addc_co_u32_e64 v13, s[18:19], 0, -1, vcc
	v_cmp_ne_u32_e32 vcc, 0, v3
	v_lshl_add_u32 v2, v4, 4, v4
	v_xor_b32_e32 v3, vcc_hi, v13
	v_add_lshl_u32 v8, v2, v42, 2
	v_mov_b32_e32 v2, 0
	v_and_b32_e32 v13, exec_hi, v3
	v_lshlrev_b32_e32 v3, 30, v4
	v_xor_b32_e32 v5, vcc_lo, v5
	v_cmp_gt_i64_e32 vcc, 0, v[2:3]
	v_not_b32_e32 v3, v3
	v_ashrrev_i32_e32 v3, 31, v3
	v_and_b32_e32 v5, exec_lo, v5
	v_xor_b32_e32 v29, vcc_hi, v3
	v_xor_b32_e32 v3, vcc_lo, v3
	v_and_b32_e32 v5, v5, v3
	v_lshlrev_b32_e32 v3, 29, v4
	v_cmp_gt_i64_e32 vcc, 0, v[2:3]
	v_not_b32_e32 v3, v3
	v_ashrrev_i32_e32 v3, 31, v3
	v_and_b32_e32 v13, v13, v29
	v_xor_b32_e32 v29, vcc_hi, v3
	v_xor_b32_e32 v3, vcc_lo, v3
	v_and_b32_e32 v5, v5, v3
	v_lshlrev_b32_e32 v3, 28, v4
	v_cmp_gt_i64_e32 vcc, 0, v[2:3]
	v_not_b32_e32 v3, v3
	v_ashrrev_i32_e32 v3, 31, v3
	v_and_b32_e32 v13, v13, v29
	v_xor_b32_e32 v29, vcc_hi, v3
	v_xor_b32_e32 v3, vcc_lo, v3
	v_and_b32_e32 v5, v5, v3
	v_lshlrev_b32_e32 v3, 27, v4
	v_cmp_gt_i64_e32 vcc, 0, v[2:3]
	v_not_b32_e32 v3, v3
	v_ashrrev_i32_e32 v3, 31, v3
	v_and_b32_e32 v13, v13, v29
	v_xor_b32_e32 v29, vcc_hi, v3
	v_xor_b32_e32 v3, vcc_lo, v3
	v_and_b32_e32 v5, v5, v3
	v_lshlrev_b32_e32 v3, 26, v4
	v_cmp_gt_i64_e32 vcc, 0, v[2:3]
	v_not_b32_e32 v3, v3
	v_ashrrev_i32_e32 v3, 31, v3
	v_and_b32_e32 v13, v13, v29
	v_xor_b32_e32 v29, vcc_hi, v3
	v_xor_b32_e32 v3, vcc_lo, v3
	v_and_b32_e32 v5, v5, v3
	v_lshlrev_b32_e32 v3, 25, v4
	v_cmp_gt_i64_e32 vcc, 0, v[2:3]
	v_not_b32_e32 v3, v3
	v_ashrrev_i32_e32 v3, 31, v3
	v_and_b32_e32 v13, v13, v29
	v_xor_b32_e32 v29, vcc_hi, v3
	v_xor_b32_e32 v3, vcc_lo, v3
	v_and_b32_e32 v13, v13, v29
	v_and_b32_e32 v29, v5, v3
	v_lshlrev_b32_e32 v3, 24, v4
	v_cmp_gt_i64_e32 vcc, 0, v[2:3]
	v_not_b32_e32 v3, v3
	v_ashrrev_i32_e32 v3, 31, v3
	v_xor_b32_e32 v4, vcc_hi, v3
	v_xor_b32_e32 v3, vcc_lo, v3
	; wave barrier
	ds_read_b32 v40, v8 offset:64
	v_and_b32_e32 v5, v13, v4
	v_and_b32_e32 v4, v29, v3
	v_mbcnt_lo_u32_b32 v3, v4, 0
	v_mbcnt_hi_u32_b32 v41, v5, v3
	v_cmp_eq_u32_e32 vcc, 0, v41
	v_cmp_ne_u64_e64 s[18:19], 0, v[4:5]
	s_and_b64 s[22:23], s[18:19], vcc
	; wave barrier
	s_and_saveexec_b64 s[18:19], s[22:23]
	s_cbranch_execz .LBB1883_31
; %bb.30:
	v_bcnt_u32_b32 v3, v4, 0
	v_bcnt_u32_b32 v3, v5, v3
	s_waitcnt lgkmcnt(0)
	v_add_u32_e32 v3, v40, v3
	ds_write_b32 v8, v3 offset:64
.LBB1883_31:
	s_or_b64 exec, exec, s[18:19]
	v_cmp_lt_i32_e32 vcc, -1, v9
	v_cndmask_b32_e32 v3, -1, v43, vcc
	v_xor_b32_e32 v29, v3, v9
	v_cmp_ne_u32_e32 vcc, s20, v29
	v_cndmask_b32_e32 v3, v43, v29, vcc
	v_lshrrev_b32_e32 v3, s44, v3
	v_and_b32_e32 v4, s50, v3
	v_lshl_add_u32 v3, v4, 4, v4
	v_add_lshl_u32 v9, v3, v42, 2
	v_and_b32_e32 v3, 1, v4
	v_add_co_u32_e32 v5, vcc, -1, v3
	v_addc_co_u32_e64 v43, s[18:19], 0, -1, vcc
	v_cmp_ne_u32_e32 vcc, 0, v3
	v_xor_b32_e32 v3, vcc_hi, v43
	v_and_b32_e32 v43, exec_hi, v3
	v_lshlrev_b32_e32 v3, 30, v4
	v_xor_b32_e32 v5, vcc_lo, v5
	v_cmp_gt_i64_e32 vcc, 0, v[2:3]
	v_not_b32_e32 v3, v3
	v_ashrrev_i32_e32 v3, 31, v3
	v_and_b32_e32 v5, exec_lo, v5
	v_xor_b32_e32 v44, vcc_hi, v3
	v_xor_b32_e32 v3, vcc_lo, v3
	v_and_b32_e32 v5, v5, v3
	v_lshlrev_b32_e32 v3, 29, v4
	v_cmp_gt_i64_e32 vcc, 0, v[2:3]
	v_not_b32_e32 v3, v3
	v_ashrrev_i32_e32 v3, 31, v3
	v_and_b32_e32 v43, v43, v44
	v_xor_b32_e32 v44, vcc_hi, v3
	v_xor_b32_e32 v3, vcc_lo, v3
	v_and_b32_e32 v5, v5, v3
	v_lshlrev_b32_e32 v3, 28, v4
	v_cmp_gt_i64_e32 vcc, 0, v[2:3]
	v_not_b32_e32 v3, v3
	v_ashrrev_i32_e32 v3, 31, v3
	v_and_b32_e32 v43, v43, v44
	v_xor_b32_e32 v44, vcc_hi, v3
	v_xor_b32_e32 v3, vcc_lo, v3
	v_and_b32_e32 v5, v5, v3
	v_lshlrev_b32_e32 v3, 27, v4
	v_cmp_gt_i64_e32 vcc, 0, v[2:3]
	v_not_b32_e32 v3, v3
	v_ashrrev_i32_e32 v3, 31, v3
	v_and_b32_e32 v43, v43, v44
	v_xor_b32_e32 v44, vcc_hi, v3
	v_xor_b32_e32 v3, vcc_lo, v3
	v_and_b32_e32 v5, v5, v3
	v_lshlrev_b32_e32 v3, 26, v4
	v_cmp_gt_i64_e32 vcc, 0, v[2:3]
	v_not_b32_e32 v3, v3
	v_ashrrev_i32_e32 v3, 31, v3
	v_and_b32_e32 v43, v43, v44
	v_xor_b32_e32 v44, vcc_hi, v3
	v_xor_b32_e32 v3, vcc_lo, v3
	v_and_b32_e32 v5, v5, v3
	v_lshlrev_b32_e32 v3, 25, v4
	v_cmp_gt_i64_e32 vcc, 0, v[2:3]
	v_not_b32_e32 v3, v3
	v_ashrrev_i32_e32 v3, 31, v3
	v_and_b32_e32 v43, v43, v44
	v_xor_b32_e32 v44, vcc_hi, v3
	v_xor_b32_e32 v3, vcc_lo, v3
	v_and_b32_e32 v5, v5, v3
	v_lshlrev_b32_e32 v3, 24, v4
	v_cmp_gt_i64_e32 vcc, 0, v[2:3]
	v_not_b32_e32 v2, v3
	v_ashrrev_i32_e32 v2, 31, v2
	v_xor_b32_e32 v3, vcc_hi, v2
	v_xor_b32_e32 v2, vcc_lo, v2
	; wave barrier
	ds_read_b32 v42, v9 offset:64
	v_and_b32_e32 v43, v43, v44
	v_and_b32_e32 v2, v5, v2
	v_and_b32_e32 v3, v43, v3
	v_mbcnt_lo_u32_b32 v4, v2, 0
	v_mbcnt_hi_u32_b32 v45, v3, v4
	v_cmp_eq_u32_e32 vcc, 0, v45
	v_cmp_ne_u64_e64 s[18:19], 0, v[2:3]
	v_add_u32_e32 v13, 64, v23
	s_and_b64 s[20:21], s[18:19], vcc
	; wave barrier
	s_and_saveexec_b64 s[18:19], s[20:21]
	s_cbranch_execz .LBB1883_33
; %bb.32:
	v_bcnt_u32_b32 v2, v2, 0
	v_bcnt_u32_b32 v2, v3, v2
	s_waitcnt lgkmcnt(0)
	v_add_u32_e32 v2, v42, v2
	ds_write_b32 v9, v2 offset:64
.LBB1883_33:
	s_or_b64 exec, exec, s[18:19]
	; wave barrier
	s_waitcnt lgkmcnt(0)
	s_barrier
	ds_read2_b32 v[4:5], v23 offset0:16 offset1:17
	ds_read2_b32 v[2:3], v13 offset0:2 offset1:3
	ds_read_b32 v43, v13 offset:16
	v_cmp_lt_u32_e64 s[26:27], 31, v19
	s_waitcnt lgkmcnt(1)
	v_add3_u32 v44, v5, v4, v2
	s_waitcnt lgkmcnt(0)
	v_add3_u32 v43, v44, v3, v43
	v_and_b32_e32 v44, 15, v19
	v_cmp_eq_u32_e32 vcc, 0, v44
	v_mov_b32_dpp v46, v43 row_shr:1 row_mask:0xf bank_mask:0xf
	v_cndmask_b32_e64 v46, v46, 0, vcc
	v_add_u32_e32 v43, v46, v43
	v_cmp_lt_u32_e64 s[18:19], 1, v44
	v_cmp_lt_u32_e64 s[20:21], 3, v44
	v_mov_b32_dpp v46, v43 row_shr:2 row_mask:0xf bank_mask:0xf
	v_cndmask_b32_e64 v46, 0, v46, s[18:19]
	v_add_u32_e32 v43, v43, v46
	v_cmp_lt_u32_e64 s[22:23], 7, v44
	s_nop 0
	v_mov_b32_dpp v46, v43 row_shr:4 row_mask:0xf bank_mask:0xf
	v_cndmask_b32_e64 v46, 0, v46, s[20:21]
	v_add_u32_e32 v43, v43, v46
	s_nop 1
	v_mov_b32_dpp v46, v43 row_shr:8 row_mask:0xf bank_mask:0xf
	v_cndmask_b32_e64 v44, 0, v46, s[22:23]
	v_add_u32_e32 v43, v43, v44
	v_bfe_i32 v46, v19, 4, 1
	s_nop 0
	v_mov_b32_dpp v44, v43 row_bcast:15 row_mask:0xf bank_mask:0xf
	v_and_b32_e32 v44, v46, v44
	v_add_u32_e32 v43, v43, v44
	v_and_b32_e32 v46, 63, v10
	s_nop 0
	v_mov_b32_dpp v44, v43 row_bcast:31 row_mask:0xf bank_mask:0xf
	v_cndmask_b32_e64 v44, 0, v44, s[26:27]
	v_add_u32_e32 v43, v43, v44
	v_lshrrev_b32_e32 v44, 6, v10
	v_cmp_eq_u32_e64 s[26:27], 63, v46
	s_and_saveexec_b64 s[48:49], s[26:27]
	s_cbranch_execz .LBB1883_35
; %bb.34:
	v_lshlrev_b32_e32 v46, 2, v44
	ds_write_b32 v46, v43
.LBB1883_35:
	s_or_b64 exec, exec, s[48:49]
	v_cmp_gt_u32_e64 s[26:27], 16, v10
	v_lshlrev_b32_e32 v54, 2, v10
	s_waitcnt lgkmcnt(0)
	s_barrier
	s_and_saveexec_b64 s[48:49], s[26:27]
	s_cbranch_execz .LBB1883_37
; %bb.36:
	ds_read_b32 v46, v54
	s_waitcnt lgkmcnt(0)
	s_nop 0
	v_mov_b32_dpp v47, v46 row_shr:1 row_mask:0xf bank_mask:0xf
	v_cndmask_b32_e64 v47, v47, 0, vcc
	v_add_u32_e32 v46, v47, v46
	s_nop 1
	v_mov_b32_dpp v47, v46 row_shr:2 row_mask:0xf bank_mask:0xf
	v_cndmask_b32_e64 v47, 0, v47, s[18:19]
	v_add_u32_e32 v46, v46, v47
	s_nop 1
	v_mov_b32_dpp v47, v46 row_shr:4 row_mask:0xf bank_mask:0xf
	v_cndmask_b32_e64 v47, 0, v47, s[20:21]
	;; [unrolled: 4-line block ×3, first 2 shown]
	v_add_u32_e32 v46, v46, v47
	ds_write_b32 v54, v46
.LBB1883_37:
	s_or_b64 exec, exec, s[48:49]
	v_cmp_lt_u32_e32 vcc, 63, v10
	v_mov_b32_e32 v46, 0
	s_waitcnt lgkmcnt(0)
	s_barrier
	s_and_saveexec_b64 s[18:19], vcc
	s_cbranch_execz .LBB1883_39
; %bb.38:
	v_lshl_add_u32 v44, v44, 2, -4
	ds_read_b32 v46, v44
.LBB1883_39:
	s_or_b64 exec, exec, s[18:19]
	v_add_u32_e32 v44, -1, v19
	v_and_b32_e32 v47, 64, v19
	v_cmp_lt_i32_e32 vcc, v44, v47
	v_cndmask_b32_e32 v44, v44, v19, vcc
	s_waitcnt lgkmcnt(0)
	v_add_u32_e32 v43, v46, v43
	v_lshlrev_b32_e32 v44, 2, v44
	ds_bpermute_b32 v43, v44, v43
	v_cmp_eq_u32_e32 vcc, 0, v19
	s_movk_i32 s18, 0x100
	v_cmp_gt_u32_e64 s[18:19], s18, v10
                                        ; implicit-def: $vgpr44
	s_waitcnt lgkmcnt(0)
	v_cndmask_b32_e32 v19, v43, v46, vcc
	v_cmp_ne_u32_e32 vcc, 0, v10
	v_cndmask_b32_e32 v19, 0, v19, vcc
	v_add_u32_e32 v4, v19, v4
	v_add_u32_e32 v5, v4, v5
	;; [unrolled: 1-line block ×4, first 2 shown]
	ds_write2_b32 v23, v19, v4 offset0:16 offset1:17
	ds_write2_b32 v13, v5, v2 offset0:2 offset1:3
	ds_write_b32 v13, v3 offset:16
	s_waitcnt lgkmcnt(0)
	s_barrier
	ds_read_b32 v13, v25 offset:64
	ds_read_b32 v46, v26 offset:64
	;; [unrolled: 1-line block ×8, first 2 shown]
                                        ; implicit-def: $vgpr43
	s_and_saveexec_b64 s[20:21], s[18:19]
	s_cbranch_execz .LBB1883_43
; %bb.40:
	v_mul_u32_u24_e32 v2, 17, v10
	v_lshlrev_b32_e32 v3, 2, v2
	ds_read_b32 v43, v3 offset:64
	s_movk_i32 s22, 0xff
	v_cmp_ne_u32_e32 vcc, s22, v10
	v_mov_b32_e32 v2, 0x2000
	s_and_saveexec_b64 s[22:23], vcc
	s_cbranch_execz .LBB1883_42
; %bb.41:
	ds_read_b32 v2, v3 offset:132
.LBB1883_42:
	s_or_b64 exec, exec, s[22:23]
	s_waitcnt lgkmcnt(0)
	v_sub_u32_e32 v44, v2, v43
.LBB1883_43:
	s_or_b64 exec, exec, s[20:21]
	s_waitcnt lgkmcnt(0)
	s_barrier
	s_and_saveexec_b64 s[20:21], s[18:19]
	s_cbranch_execz .LBB1883_53
; %bb.44:
	v_lshl_or_b32 v2, s6, 8, v10
	v_mov_b32_e32 v3, 0
	v_lshlrev_b64 v[4:5], 2, v[2:3]
	v_mov_b32_e32 v8, s35
	v_add_co_u32_e32 v4, vcc, s34, v4
	v_addc_co_u32_e32 v5, vcc, v8, v5, vcc
	v_or_b32_e32 v2, 2.0, v44
	s_mov_b64 s[22:23], 0
	s_brev_b32 s51, 1
	s_mov_b32 s52, s6
	v_mov_b32_e32 v9, 0
	global_store_dword v[4:5], v2, off
                                        ; implicit-def: $sgpr26_sgpr27
	s_branch .LBB1883_46
.LBB1883_45:                            ;   in Loop: Header=BB1883_46 Depth=1
	s_or_b64 exec, exec, s[26:27]
	v_and_b32_e32 v6, 0x3fffffff, v12
	v_add_u32_e32 v9, v6, v9
	v_cmp_eq_u32_e64 s[26:27], s51, v2
	s_and_b64 s[48:49], exec, s[26:27]
	s_or_b64 s[22:23], s[48:49], s[22:23]
	s_andn2_b64 exec, exec, s[22:23]
	s_cbranch_execz .LBB1883_52
.LBB1883_46:                            ; =>This Loop Header: Depth=1
                                        ;     Child Loop BB1883_49 Depth 2
	s_or_b64 s[26:27], s[26:27], exec
	s_cmp_eq_u32 s52, 0
	s_cbranch_scc1 .LBB1883_51
; %bb.47:                               ;   in Loop: Header=BB1883_46 Depth=1
	s_add_i32 s52, s52, -1
	v_lshl_or_b32 v2, s52, 8, v10
	v_lshlrev_b64 v[6:7], 2, v[2:3]
	v_add_co_u32_e32 v6, vcc, s34, v6
	v_addc_co_u32_e32 v7, vcc, v8, v7, vcc
	global_load_dword v12, v[6:7], off glc
	s_waitcnt vmcnt(0)
	v_and_b32_e32 v2, -2.0, v12
	v_cmp_eq_u32_e32 vcc, 0, v2
	s_and_saveexec_b64 s[26:27], vcc
	s_cbranch_execz .LBB1883_45
; %bb.48:                               ;   in Loop: Header=BB1883_46 Depth=1
	s_mov_b64 s[48:49], 0
.LBB1883_49:                            ;   Parent Loop BB1883_46 Depth=1
                                        ; =>  This Inner Loop Header: Depth=2
	global_load_dword v12, v[6:7], off glc
	s_waitcnt vmcnt(0)
	v_and_b32_e32 v2, -2.0, v12
	v_cmp_ne_u32_e32 vcc, 0, v2
	s_or_b64 s[48:49], vcc, s[48:49]
	s_andn2_b64 exec, exec, s[48:49]
	s_cbranch_execnz .LBB1883_49
; %bb.50:                               ;   in Loop: Header=BB1883_46 Depth=1
	s_or_b64 exec, exec, s[48:49]
	s_branch .LBB1883_45
.LBB1883_51:                            ;   in Loop: Header=BB1883_46 Depth=1
                                        ; implicit-def: $sgpr52
	s_and_b64 s[48:49], exec, s[26:27]
	s_or_b64 s[22:23], s[48:49], s[22:23]
	s_andn2_b64 exec, exec, s[22:23]
	s_cbranch_execnz .LBB1883_46
.LBB1883_52:
	s_or_b64 exec, exec, s[22:23]
	v_add_u32_e32 v2, v9, v44
	v_or_b32_e32 v2, 0x80000000, v2
	global_store_dword v[4:5], v2, off
	global_load_dword v2, v54, s[28:29]
	v_sub_u32_e32 v3, v9, v43
	s_waitcnt vmcnt(0)
	v_add_u32_e32 v2, v3, v2
	ds_write_b32 v54, v2
.LBB1883_53:
	s_or_b64 exec, exec, s[20:21]
	v_add_u32_e32 v53, v13, v22
	v_add3_u32 v19, v31, v30, v46
	v_add3_u32 v22, v33, v32, v47
	;; [unrolled: 1-line block ×7, first 2 shown]
	s_movk_i32 s26, 0x400
	v_add_u32_e32 v56, 0x400, v54
	s_mov_b32 s52, 0
	s_mov_b64 s[20:21], -1
	s_brev_b32 s27, -2
	v_mov_b32_e32 v13, 0
	s_movk_i32 s48, 0x800
	s_movk_i32 s49, 0xc00
	v_bfrev_b32_e32 v57, 1
	v_mov_b32_e32 v58, v53
	s_mov_b32 s51, 0
                                        ; implicit-def: $vgpr2_vgpr3_vgpr4_vgpr5_vgpr6_vgpr7_vgpr8_vgpr9
	s_branch .LBB1883_55
.LBB1883_54:                            ;   in Loop: Header=BB1883_55 Depth=1
	s_or_b64 exec, exec, s[22:23]
	s_xor_b64 s[22:23], s[20:21], -1
	s_addk_i32 s51, 0x1000
	v_add_u32_e32 v55, 0xfffff000, v55
	v_add_u32_e32 v28, 0xfffff000, v28
	;; [unrolled: 1-line block ×8, first 2 shown]
	s_mov_b32 s52, 4
	s_mov_b64 s[20:21], 0
	s_and_b64 vcc, exec, s[22:23]
	s_barrier
	s_cbranch_vccnz .LBB1883_64
.LBB1883_55:                            ; =>This Inner Loop Header: Depth=1
	v_min_u32_e32 v12, 0x1000, v58
	v_lshlrev_b32_e32 v12, 2, v12
	ds_write_b32 v12, v18 offset:1024
	v_min_u32_e32 v12, 0x1000, v19
	v_lshlrev_b32_e32 v12, 2, v12
	ds_write_b32 v12, v14 offset:1024
	;; [unrolled: 3-line block ×7, first 2 shown]
	v_min_u32_e32 v12, 0x1000, v55
	v_add_u32_e32 v59, s51, v10
	v_lshlrev_b32_e32 v12, 2, v12
	v_cmp_gt_u32_e32 vcc, s7, v59
	ds_write_b32 v12, v29 offset:1024
	s_waitcnt lgkmcnt(0)
	s_barrier
	s_and_saveexec_b64 s[22:23], vcc
	s_cbranch_execz .LBB1883_57
; %bb.56:                               ;   in Loop: Header=BB1883_55 Depth=1
	ds_read_b32 v12, v54 offset:1024
	v_mov_b32_e32 v63, s39
	s_cmp_eq_u32 s52, 7
	s_waitcnt lgkmcnt(0)
	v_cmp_ne_u32_e32 vcc, s27, v12
	v_cndmask_b32_e32 v60, v57, v12, vcc
	v_lshrrev_b32_e32 v60, s44, v60
	v_and_b32_e32 v62, s50, v60
	v_lshlrev_b32_e32 v60, 2, v62
	ds_read_b32 v60, v60
	v_cmp_lt_i32_e32 vcc, -1, v12
	v_cndmask_b32_e64 v61, v57, -1, vcc
	v_xor_b32_e32 v64, v61, v12
	s_waitcnt lgkmcnt(0)
	v_add_u32_e32 v12, v59, v60
	v_lshlrev_b64 v[60:61], 2, v[12:13]
	v_add_co_u32_e32 v60, vcc, s38, v60
	v_addc_co_u32_e32 v61, vcc, v63, v61, vcc
	s_cselect_b64 vcc, -1, 0
	s_cmp_eq_u32 s52, 6
	v_cndmask_b32_e32 v9, v9, v62, vcc
	s_cselect_b64 vcc, -1, 0
	s_cmp_eq_u32 s52, 5
	v_cndmask_b32_e32 v8, v8, v62, vcc
	;; [unrolled: 3-line block ×7, first 2 shown]
	s_cselect_b64 vcc, -1, 0
	v_cndmask_b32_e32 v2, v2, v62, vcc
	global_store_dword v[60:61], v64, off
.LBB1883_57:                            ;   in Loop: Header=BB1883_55 Depth=1
	s_or_b64 exec, exec, s[22:23]
	v_add_u32_e32 v12, 0x400, v59
	v_cmp_gt_u32_e32 vcc, s7, v12
	s_and_saveexec_b64 s[22:23], vcc
	s_cbranch_execz .LBB1883_59
; %bb.58:                               ;   in Loop: Header=BB1883_55 Depth=1
	ds_read_b32 v12, v56 offset:4096
	v_mov_b32_e32 v63, s39
	s_or_b32 s53, s52, 1
	s_cmp_eq_u32 s53, 7
	s_waitcnt lgkmcnt(0)
	v_cmp_ne_u32_e32 vcc, s27, v12
	v_cndmask_b32_e32 v60, v57, v12, vcc
	v_lshrrev_b32_e32 v60, s44, v60
	v_and_b32_e32 v62, s50, v60
	v_lshlrev_b32_e32 v60, 2, v62
	ds_read_b32 v60, v60
	v_cmp_lt_i32_e32 vcc, -1, v12
	v_cndmask_b32_e64 v61, v57, -1, vcc
	v_xor_b32_e32 v64, v61, v12
	s_waitcnt lgkmcnt(0)
	v_add3_u32 v12, v59, v60, s26
	v_lshlrev_b64 v[60:61], 2, v[12:13]
	v_add_co_u32_e32 v60, vcc, s38, v60
	v_addc_co_u32_e32 v61, vcc, v63, v61, vcc
	s_cselect_b64 vcc, -1, 0
	s_cmp_eq_u32 s53, 6
	v_cndmask_b32_e32 v9, v9, v62, vcc
	s_cselect_b64 vcc, -1, 0
	s_cmp_eq_u32 s53, 5
	v_cndmask_b32_e32 v8, v8, v62, vcc
	;; [unrolled: 3-line block ×7, first 2 shown]
	s_cselect_b64 vcc, -1, 0
	v_cndmask_b32_e32 v2, v2, v62, vcc
	global_store_dword v[60:61], v64, off
.LBB1883_59:                            ;   in Loop: Header=BB1883_55 Depth=1
	s_or_b64 exec, exec, s[22:23]
	v_add_u32_e32 v12, 0x800, v59
	v_cmp_gt_u32_e32 vcc, s7, v12
	s_and_saveexec_b64 s[22:23], vcc
	s_cbranch_execz .LBB1883_61
; %bb.60:                               ;   in Loop: Header=BB1883_55 Depth=1
	ds_read_b32 v12, v56 offset:8192
	v_mov_b32_e32 v63, s39
	s_or_b32 s53, s52, 2
	s_cmp_eq_u32 s53, 7
	s_waitcnt lgkmcnt(0)
	v_cmp_ne_u32_e32 vcc, s27, v12
	v_cndmask_b32_e32 v60, v57, v12, vcc
	v_lshrrev_b32_e32 v60, s44, v60
	v_and_b32_e32 v62, s50, v60
	v_lshlrev_b32_e32 v60, 2, v62
	ds_read_b32 v60, v60
	v_cmp_lt_i32_e32 vcc, -1, v12
	v_cndmask_b32_e64 v61, v57, -1, vcc
	v_xor_b32_e32 v64, v61, v12
	s_waitcnt lgkmcnt(0)
	v_add3_u32 v12, v59, v60, s48
	v_lshlrev_b64 v[60:61], 2, v[12:13]
	v_add_co_u32_e32 v60, vcc, s38, v60
	v_addc_co_u32_e32 v61, vcc, v63, v61, vcc
	s_cselect_b64 vcc, -1, 0
	s_cmp_eq_u32 s53, 6
	v_cndmask_b32_e32 v9, v9, v62, vcc
	s_cselect_b64 vcc, -1, 0
	s_cmp_eq_u32 s53, 5
	v_cndmask_b32_e32 v8, v8, v62, vcc
	;; [unrolled: 3-line block ×7, first 2 shown]
	s_cselect_b64 vcc, -1, 0
	v_cndmask_b32_e32 v2, v2, v62, vcc
	global_store_dword v[60:61], v64, off
.LBB1883_61:                            ;   in Loop: Header=BB1883_55 Depth=1
	s_or_b64 exec, exec, s[22:23]
	v_add_u32_e32 v12, 0xc00, v59
	v_cmp_gt_u32_e32 vcc, s7, v12
	s_and_saveexec_b64 s[22:23], vcc
	s_cbranch_execz .LBB1883_54
; %bb.62:                               ;   in Loop: Header=BB1883_55 Depth=1
	ds_read_b32 v12, v56 offset:12288
	v_mov_b32_e32 v63, s39
	s_or_b32 s52, s52, 3
	s_cmp_eq_u32 s52, 7
	s_waitcnt lgkmcnt(0)
	v_cmp_ne_u32_e32 vcc, s27, v12
	v_cndmask_b32_e32 v60, v57, v12, vcc
	v_lshrrev_b32_e32 v60, s44, v60
	v_and_b32_e32 v62, s50, v60
	v_lshlrev_b32_e32 v60, 2, v62
	ds_read_b32 v60, v60
	v_cmp_lt_i32_e32 vcc, -1, v12
	v_cndmask_b32_e64 v61, v57, -1, vcc
	v_xor_b32_e32 v64, v61, v12
	s_waitcnt lgkmcnt(0)
	v_add3_u32 v12, v59, v60, s49
	v_lshlrev_b64 v[60:61], 2, v[12:13]
	v_add_co_u32_e32 v60, vcc, s38, v60
	v_addc_co_u32_e32 v61, vcc, v63, v61, vcc
	s_cselect_b64 vcc, -1, 0
	s_cmp_eq_u32 s52, 6
	v_cndmask_b32_e32 v9, v9, v62, vcc
	s_cselect_b64 vcc, -1, 0
	s_cmp_eq_u32 s52, 5
	v_cndmask_b32_e32 v8, v8, v62, vcc
	;; [unrolled: 3-line block ×7, first 2 shown]
	s_cselect_b64 vcc, -1, 0
	v_cndmask_b32_e32 v2, v2, v62, vcc
	global_store_dword v[60:61], v64, off
	s_branch .LBB1883_54
.LBB1883_63:
	s_mov_b64 s[10:11], 0
                                        ; implicit-def: $vgpr2
                                        ; implicit-def: $vgpr10
	s_cbranch_execnz .LBB1883_82
	s_branch .LBB1883_125
.LBB1883_64:
	s_lshl_b64 s[20:21], s[46:47], 3
	s_add_u32 s20, s40, s20
	s_addc_u32 s21, s41, s21
	v_lshlrev_b32_e32 v12, 3, v17
	v_mov_b32_e32 v13, s21
	v_add_co_u32_e32 v12, vcc, s20, v12
	v_addc_co_u32_e32 v13, vcc, 0, v13, vcc
	v_lshlrev_b32_e32 v14, 3, v16
	v_add_co_u32_e32 v28, vcc, v12, v14
	v_addc_co_u32_e32 v29, vcc, 0, v13, vcc
                                        ; implicit-def: $vgpr12_vgpr13
	s_and_saveexec_b64 s[20:21], s[0:1]
	s_cbranch_execnz .LBB1883_128
; %bb.65:
	s_or_b64 exec, exec, s[20:21]
                                        ; implicit-def: $vgpr14_vgpr15
	s_and_saveexec_b64 s[0:1], s[2:3]
	s_cbranch_execnz .LBB1883_129
.LBB1883_66:
	s_or_b64 exec, exec, s[0:1]
                                        ; implicit-def: $vgpr16_vgpr17
	s_and_saveexec_b64 s[0:1], s[24:25]
	s_cbranch_execnz .LBB1883_130
.LBB1883_67:
	s_or_b64 exec, exec, s[0:1]
                                        ; implicit-def: $vgpr18_vgpr19
	s_and_saveexec_b64 s[0:1], s[8:9]
	s_cbranch_execnz .LBB1883_131
.LBB1883_68:
	s_or_b64 exec, exec, s[0:1]
                                        ; implicit-def: $vgpr20_vgpr21
	s_and_saveexec_b64 s[0:1], s[10:11]
	s_cbranch_execnz .LBB1883_132
.LBB1883_69:
	s_or_b64 exec, exec, s[0:1]
                                        ; implicit-def: $vgpr22_vgpr23
	s_and_saveexec_b64 s[0:1], s[12:13]
	s_cbranch_execnz .LBB1883_133
.LBB1883_70:
	s_or_b64 exec, exec, s[0:1]
                                        ; implicit-def: $vgpr24_vgpr25
	s_and_saveexec_b64 s[0:1], s[14:15]
	s_cbranch_execnz .LBB1883_134
.LBB1883_71:
	s_or_b64 exec, exec, s[0:1]
                                        ; implicit-def: $vgpr26_vgpr27
	s_and_saveexec_b64 s[0:1], s[16:17]
	s_cbranch_execz .LBB1883_73
.LBB1883_72:
	global_load_dwordx2 v[26:27], v[28:29], off offset:3584
.LBB1883_73:
	s_or_b64 exec, exec, s[0:1]
	s_movk_i32 s2, 0x400
	v_add_u32_e32 v54, 0x400, v11
	v_add3_u32 v42, v45, v52, v42
	v_add3_u32 v40, v41, v51, v40
	;; [unrolled: 1-line block ×7, first 2 shown]
	s_mov_b32 s3, 0
	v_mov_b32_e32 v29, 0
	s_mov_b32 s8, 0
	v_mov_b32_e32 v31, v10
	s_waitcnt vmcnt(0)
	s_branch .LBB1883_75
.LBB1883_74:                            ;   in Loop: Header=BB1883_75 Depth=1
	s_or_b64 exec, exec, s[0:1]
	s_addk_i32 s8, 0xf800
	s_add_i32 s3, s3, 2
	s_cmpk_eq_i32 s8, 0xe000
	v_add_u32_e32 v31, 0x800, v31
	s_barrier
	s_cbranch_scc1 .LBB1883_79
.LBB1883_75:                            ; =>This Inner Loop Header: Depth=1
	v_add_u32_e32 v28, s8, v53
	v_min_u32_e32 v28, 0x800, v28
	v_lshlrev_b32_e32 v28, 3, v28
	ds_write_b64 v28, v[12:13] offset:1024
	v_add_u32_e32 v28, s8, v30
	v_min_u32_e32 v28, 0x800, v28
	v_lshlrev_b32_e32 v28, 3, v28
	ds_write_b64 v28, v[14:15] offset:1024
	;; [unrolled: 4-line block ×7, first 2 shown]
	v_add_u32_e32 v28, s8, v42
	v_min_u32_e32 v28, 0x800, v28
	v_lshlrev_b32_e32 v28, 3, v28
	v_cmp_gt_u32_e32 vcc, s7, v31
	ds_write_b64 v28, v[26:27] offset:1024
	s_waitcnt lgkmcnt(0)
	s_barrier
	s_and_saveexec_b64 s[0:1], vcc
	s_cbranch_execz .LBB1883_77
; %bb.76:                               ;   in Loop: Header=BB1883_75 Depth=1
	s_cmp_eq_u32 s3, 1
	s_cselect_b64 vcc, -1, 0
	s_cmp_eq_u32 s3, 2
	v_cndmask_b32_e32 v28, v2, v3, vcc
	s_cselect_b64 vcc, -1, 0
	s_cmp_eq_u32 s3, 3
	v_cndmask_b32_e32 v28, v28, v4, vcc
	;; [unrolled: 3-line block ×6, first 2 shown]
	s_cselect_b64 vcc, -1, 0
	v_cndmask_b32_e32 v28, v28, v9, vcc
	v_lshlrev_b32_e32 v28, 2, v28
	ds_read_b32 v28, v28
	ds_read_b64 v[46:47], v11 offset:1024
	s_waitcnt lgkmcnt(1)
	v_add_u32_e32 v28, v31, v28
	v_lshlrev_b64 v[48:49], 3, v[28:29]
	v_mov_b32_e32 v28, s43
	v_add_co_u32_e32 v48, vcc, s42, v48
	v_addc_co_u32_e32 v49, vcc, v28, v49, vcc
	s_waitcnt lgkmcnt(0)
	global_store_dwordx2 v[48:49], v[46:47], off
.LBB1883_77:                            ;   in Loop: Header=BB1883_75 Depth=1
	s_or_b64 exec, exec, s[0:1]
	v_add_u32_e32 v28, 0x400, v31
	v_cmp_gt_u32_e32 vcc, s7, v28
	s_and_saveexec_b64 s[0:1], vcc
	s_cbranch_execz .LBB1883_74
; %bb.78:                               ;   in Loop: Header=BB1883_75 Depth=1
	s_add_i32 s9, s3, 1
	s_cmp_eq_u32 s9, 1
	s_cselect_b64 vcc, -1, 0
	s_cmp_eq_u32 s9, 2
	v_cndmask_b32_e32 v28, v2, v3, vcc
	s_cselect_b64 vcc, -1, 0
	s_cmp_eq_u32 s9, 3
	v_cndmask_b32_e32 v28, v28, v4, vcc
	;; [unrolled: 3-line block ×6, first 2 shown]
	s_cselect_b64 vcc, -1, 0
	v_cndmask_b32_e32 v28, v28, v9, vcc
	v_lshlrev_b32_e32 v28, 2, v28
	ds_read_b32 v28, v28
	ds_read_b64 v[46:47], v54 offset:8192
	s_waitcnt lgkmcnt(1)
	v_add3_u32 v28, v31, v28, s2
	v_lshlrev_b64 v[48:49], 3, v[28:29]
	v_mov_b32_e32 v28, s43
	v_add_co_u32_e32 v48, vcc, s42, v48
	v_addc_co_u32_e32 v49, vcc, v28, v49, vcc
	s_waitcnt lgkmcnt(0)
	global_store_dwordx2 v[48:49], v[46:47], off
	s_branch .LBB1883_74
.LBB1883_79:
	s_add_i32 s33, s33, -1
	s_cmp_eq_u32 s33, s6
	s_cselect_b64 s[0:1], -1, 0
	s_and_b64 s[2:3], s[18:19], s[0:1]
	s_mov_b64 s[0:1], 0
	s_mov_b64 s[10:11], 0
                                        ; implicit-def: $vgpr2
	s_and_saveexec_b64 s[8:9], s[2:3]
	s_xor_b64 s[2:3], exec, s[8:9]
; %bb.80:
	s_mov_b64 s[10:11], exec
	v_add_u32_e32 v2, v43, v44
; %bb.81:
	s_or_b64 exec, exec, s[2:3]
	s_and_b64 vcc, exec, s[0:1]
	s_cbranch_vccz .LBB1883_125
.LBB1883_82:
	s_lshl_b32 s12, s6, 13
	s_mov_b32 s13, 0
	v_mbcnt_hi_u32_b32 v4, -1, v1
	s_lshl_b64 s[0:1], s[12:13], 2
	v_and_b32_e32 v7, 63, v4
	s_add_u32 s0, s36, s0
	v_lshlrev_b32_e32 v1, 2, v7
	v_and_b32_e32 v10, 0x3ff, v0
	v_add_co_u32_e32 v1, vcc, s0, v1
	s_load_dword s7, s[4:5], 0x58
	s_load_dword s0, s[4:5], 0x64
	s_addc_u32 s1, s37, s1
	v_lshlrev_b32_e32 v11, 3, v10
	v_and_b32_e32 v6, 0x1e00, v11
	v_mov_b32_e32 v3, s1
	v_addc_co_u32_e32 v3, vcc, 0, v3, vcc
	v_lshlrev_b32_e32 v5, 2, v6
	v_add_co_u32_e32 v18, vcc, v1, v5
	s_add_u32 s1, s4, 0x58
	v_addc_co_u32_e32 v19, vcc, 0, v3, vcc
	s_addc_u32 s2, s5, 0
	s_waitcnt lgkmcnt(0)
	s_lshr_b32 s3, s0, 16
	global_load_dword v1, v[18:19], off
	s_cmp_lt_u32 s6, s7
	s_cselect_b32 s0, 12, 18
	s_add_u32 s0, s1, s0
	v_mov_b32_e32 v2, 0
	s_addc_u32 s1, s2, 0
	global_load_ushort v3, v2, s[0:1]
	v_mul_u32_u24_e32 v5, 5, v10
	v_lshlrev_b32_e32 v5, 2, v5
	ds_write2_b32 v5, v2, v2 offset0:16 offset1:17
	ds_write2_b32 v5, v2, v2 offset0:18 offset1:19
	ds_write_b32 v5, v2 offset:80
	global_load_dword v9, v[18:19], off offset:256
	global_load_dword v12, v[18:19], off offset:512
	;; [unrolled: 1-line block ×7, first 2 shown]
	v_bfrev_b32_e32 v16, 1
	v_bfe_u32 v8, v0, 10, 10
	v_bfe_u32 v0, v0, 20, 10
	v_mad_u32_u24 v0, v0, s3, v8
	s_brev_b32 s2, -2
	s_lshl_b32 s0, -1, s45
	s_not_b32 s16, s0
	s_waitcnt lgkmcnt(0)
	s_barrier
	s_waitcnt lgkmcnt(0)
	; wave barrier
	s_waitcnt vmcnt(8)
	v_cmp_lt_i32_e32 vcc, -1, v1
	v_cndmask_b32_e32 v8, -1, v16, vcc
	v_xor_b32_e32 v8, v8, v1
	v_cmp_ne_u32_e32 vcc, s2, v8
	v_cndmask_b32_e32 v15, v16, v8, vcc
	s_waitcnt vmcnt(7)
	v_mad_u64_u32 v[0:1], s[0:1], v0, v3, v[10:11]
	v_lshrrev_b32_e32 v1, s44, v15
	v_lshrrev_b32_e32 v26, 6, v0
	v_and_b32_e32 v0, s16, v1
	v_lshl_add_u32 v1, v0, 4, v0
	v_and_b32_e32 v15, 1, v0
	v_add_lshl_u32 v18, v26, v1, 2
	v_add_co_u32_e32 v1, vcc, -1, v15
	v_lshlrev_b32_e32 v3, 30, v0
	v_addc_co_u32_e64 v19, s[0:1], 0, -1, vcc
	v_cmp_ne_u32_e32 vcc, 0, v15
	v_cmp_gt_i64_e64 s[0:1], 0, v[2:3]
	v_not_b32_e32 v15, v3
	v_lshlrev_b32_e32 v3, 29, v0
	v_xor_b32_e32 v19, vcc_hi, v19
	v_xor_b32_e32 v1, vcc_lo, v1
	v_ashrrev_i32_e32 v15, 31, v15
	v_cmp_gt_i64_e32 vcc, 0, v[2:3]
	v_not_b32_e32 v20, v3
	v_lshlrev_b32_e32 v3, 28, v0
	v_and_b32_e32 v19, exec_hi, v19
	v_and_b32_e32 v1, exec_lo, v1
	v_xor_b32_e32 v22, s1, v15
	v_xor_b32_e32 v15, s0, v15
	v_ashrrev_i32_e32 v20, 31, v20
	v_cmp_gt_i64_e64 s[0:1], 0, v[2:3]
	v_not_b32_e32 v3, v3
	v_and_b32_e32 v19, v19, v22
	v_and_b32_e32 v1, v1, v15
	v_xor_b32_e32 v15, vcc_hi, v20
	v_xor_b32_e32 v20, vcc_lo, v20
	v_ashrrev_i32_e32 v3, 31, v3
	v_and_b32_e32 v15, v19, v15
	v_and_b32_e32 v1, v1, v20
	v_xor_b32_e32 v19, s1, v3
	v_xor_b32_e32 v3, s0, v3
	v_and_b32_e32 v1, v1, v3
	v_lshlrev_b32_e32 v3, 27, v0
	v_cmp_gt_i64_e32 vcc, 0, v[2:3]
	v_not_b32_e32 v3, v3
	v_ashrrev_i32_e32 v3, 31, v3
	v_and_b32_e32 v15, v15, v19
	v_xor_b32_e32 v19, vcc_hi, v3
	v_xor_b32_e32 v3, vcc_lo, v3
	v_and_b32_e32 v1, v1, v3
	v_lshlrev_b32_e32 v3, 26, v0
	v_cmp_gt_i64_e32 vcc, 0, v[2:3]
	v_not_b32_e32 v3, v3
	v_ashrrev_i32_e32 v3, 31, v3
	v_and_b32_e32 v15, v15, v19
	v_xor_b32_e32 v19, vcc_hi, v3
	v_xor_b32_e32 v3, vcc_lo, v3
	;; [unrolled: 8-line block ×3, first 2 shown]
	v_and_b32_e32 v15, v15, v19
	v_and_b32_e32 v19, v1, v3
	v_lshlrev_b32_e32 v3, 24, v0
	v_not_b32_e32 v0, v3
	v_cmp_gt_i64_e32 vcc, 0, v[2:3]
	v_ashrrev_i32_e32 v0, 31, v0
	v_xor_b32_e32 v1, vcc_hi, v0
	v_xor_b32_e32 v0, vcc_lo, v0
	v_and_b32_e32 v0, v19, v0
	v_and_b32_e32 v1, v15, v1
	v_mbcnt_lo_u32_b32 v3, v0, 0
	v_mbcnt_hi_u32_b32 v15, v1, v3
	v_cmp_eq_u32_e32 vcc, 0, v15
	v_cmp_ne_u64_e64 s[0:1], 0, v[0:1]
	s_and_b64 s[4:5], s[0:1], vcc
	s_and_saveexec_b64 s[0:1], s[4:5]
	s_cbranch_execz .LBB1883_84
; %bb.83:
	v_bcnt_u32_b32 v0, v0, 0
	v_bcnt_u32_b32 v0, v1, v0
	ds_write_b32 v18, v0 offset:64
.LBB1883_84:
	s_or_b64 exec, exec, s[0:1]
	s_waitcnt vmcnt(6)
	v_cmp_lt_i32_e32 vcc, -1, v9
	v_cndmask_b32_e32 v0, -1, v16, vcc
	v_xor_b32_e32 v9, v0, v9
	v_cmp_ne_u32_e32 vcc, s2, v9
	v_cndmask_b32_e32 v0, v16, v9, vcc
	v_lshrrev_b32_e32 v0, s44, v0
	v_and_b32_e32 v0, s16, v0
	v_lshl_add_u32 v1, v0, 4, v0
	v_add_lshl_u32 v22, v26, v1, 2
	v_and_b32_e32 v1, 1, v0
	v_add_co_u32_e32 v3, vcc, -1, v1
	v_addc_co_u32_e64 v19, s[0:1], 0, -1, vcc
	v_cmp_ne_u32_e32 vcc, 0, v1
	v_xor_b32_e32 v3, vcc_lo, v3
	v_xor_b32_e32 v1, vcc_hi, v19
	v_and_b32_e32 v19, exec_lo, v3
	v_lshlrev_b32_e32 v3, 30, v0
	v_cmp_gt_i64_e32 vcc, 0, v[2:3]
	v_not_b32_e32 v3, v3
	v_ashrrev_i32_e32 v3, 31, v3
	v_xor_b32_e32 v20, vcc_hi, v3
	v_xor_b32_e32 v3, vcc_lo, v3
	v_and_b32_e32 v19, v19, v3
	v_lshlrev_b32_e32 v3, 29, v0
	v_cmp_gt_i64_e32 vcc, 0, v[2:3]
	v_not_b32_e32 v3, v3
	v_and_b32_e32 v1, exec_hi, v1
	v_ashrrev_i32_e32 v3, 31, v3
	v_and_b32_e32 v1, v1, v20
	v_xor_b32_e32 v20, vcc_hi, v3
	v_xor_b32_e32 v3, vcc_lo, v3
	v_and_b32_e32 v19, v19, v3
	v_lshlrev_b32_e32 v3, 28, v0
	v_cmp_gt_i64_e32 vcc, 0, v[2:3]
	v_not_b32_e32 v3, v3
	v_ashrrev_i32_e32 v3, 31, v3
	v_and_b32_e32 v1, v1, v20
	v_xor_b32_e32 v20, vcc_hi, v3
	v_xor_b32_e32 v3, vcc_lo, v3
	v_and_b32_e32 v19, v19, v3
	v_lshlrev_b32_e32 v3, 27, v0
	v_cmp_gt_i64_e32 vcc, 0, v[2:3]
	v_not_b32_e32 v3, v3
	;; [unrolled: 8-line block ×4, first 2 shown]
	v_ashrrev_i32_e32 v3, 31, v3
	v_and_b32_e32 v1, v1, v20
	v_xor_b32_e32 v20, vcc_hi, v3
	v_xor_b32_e32 v3, vcc_lo, v3
	v_and_b32_e32 v19, v19, v3
	v_lshlrev_b32_e32 v3, 24, v0
	v_not_b32_e32 v0, v3
	v_cmp_gt_i64_e32 vcc, 0, v[2:3]
	v_ashrrev_i32_e32 v0, 31, v0
	v_xor_b32_e32 v2, vcc_hi, v0
	v_xor_b32_e32 v0, vcc_lo, v0
	; wave barrier
	ds_read_b32 v16, v22 offset:64
	v_and_b32_e32 v1, v1, v20
	v_and_b32_e32 v0, v19, v0
	;; [unrolled: 1-line block ×3, first 2 shown]
	v_mbcnt_lo_u32_b32 v2, v0, 0
	v_mbcnt_hi_u32_b32 v19, v1, v2
	v_cmp_eq_u32_e32 vcc, 0, v19
	v_cmp_ne_u64_e64 s[0:1], 0, v[0:1]
	s_and_b64 s[2:3], s[0:1], vcc
	; wave barrier
	s_and_saveexec_b64 s[0:1], s[2:3]
	s_cbranch_execz .LBB1883_86
; %bb.85:
	v_bcnt_u32_b32 v0, v0, 0
	v_bcnt_u32_b32 v0, v1, v0
	s_waitcnt lgkmcnt(0)
	v_add_u32_e32 v0, v16, v0
	ds_write_b32 v22, v0 offset:64
.LBB1883_86:
	s_or_b64 exec, exec, s[0:1]
	v_bfrev_b32_e32 v24, 1
	s_waitcnt vmcnt(5)
	v_cmp_lt_i32_e32 vcc, -1, v12
	v_cndmask_b32_e32 v0, -1, v24, vcc
	v_xor_b32_e32 v12, v0, v12
	s_brev_b32 s2, -2
	v_cmp_ne_u32_e32 vcc, s2, v12
	v_cndmask_b32_e32 v0, v24, v12, vcc
	v_lshrrev_b32_e32 v0, s44, v0
	v_and_b32_e32 v2, s16, v0
	v_and_b32_e32 v1, 1, v2
	v_add_co_u32_e32 v3, vcc, -1, v1
	v_addc_co_u32_e64 v23, s[0:1], 0, -1, vcc
	v_cmp_ne_u32_e32 vcc, 0, v1
	v_lshl_add_u32 v0, v2, 4, v2
	v_xor_b32_e32 v1, vcc_hi, v23
	v_add_lshl_u32 v27, v26, v0, 2
	v_mov_b32_e32 v0, 0
	v_and_b32_e32 v23, exec_hi, v1
	v_lshlrev_b32_e32 v1, 30, v2
	v_xor_b32_e32 v3, vcc_lo, v3
	v_cmp_gt_i64_e32 vcc, 0, v[0:1]
	v_not_b32_e32 v1, v1
	v_ashrrev_i32_e32 v1, 31, v1
	v_and_b32_e32 v3, exec_lo, v3
	v_xor_b32_e32 v28, vcc_hi, v1
	v_xor_b32_e32 v1, vcc_lo, v1
	v_and_b32_e32 v3, v3, v1
	v_lshlrev_b32_e32 v1, 29, v2
	v_cmp_gt_i64_e32 vcc, 0, v[0:1]
	v_not_b32_e32 v1, v1
	v_ashrrev_i32_e32 v1, 31, v1
	v_and_b32_e32 v23, v23, v28
	v_xor_b32_e32 v28, vcc_hi, v1
	v_xor_b32_e32 v1, vcc_lo, v1
	v_and_b32_e32 v3, v3, v1
	v_lshlrev_b32_e32 v1, 28, v2
	v_cmp_gt_i64_e32 vcc, 0, v[0:1]
	v_not_b32_e32 v1, v1
	v_ashrrev_i32_e32 v1, 31, v1
	v_and_b32_e32 v23, v23, v28
	;; [unrolled: 8-line block ×5, first 2 shown]
	v_xor_b32_e32 v28, vcc_hi, v1
	v_xor_b32_e32 v1, vcc_lo, v1
	v_and_b32_e32 v23, v23, v28
	v_and_b32_e32 v28, v3, v1
	v_lshlrev_b32_e32 v1, 24, v2
	v_cmp_gt_i64_e32 vcc, 0, v[0:1]
	v_not_b32_e32 v1, v1
	v_ashrrev_i32_e32 v1, 31, v1
	v_xor_b32_e32 v2, vcc_hi, v1
	v_xor_b32_e32 v1, vcc_lo, v1
	; wave barrier
	ds_read_b32 v20, v27 offset:64
	v_and_b32_e32 v3, v23, v2
	v_and_b32_e32 v2, v28, v1
	v_mbcnt_lo_u32_b32 v1, v2, 0
	v_mbcnt_hi_u32_b32 v23, v3, v1
	v_cmp_eq_u32_e32 vcc, 0, v23
	v_cmp_ne_u64_e64 s[0:1], 0, v[2:3]
	s_and_b64 s[4:5], s[0:1], vcc
	; wave barrier
	s_and_saveexec_b64 s[0:1], s[4:5]
	s_cbranch_execz .LBB1883_88
; %bb.87:
	v_bcnt_u32_b32 v1, v2, 0
	v_bcnt_u32_b32 v1, v3, v1
	s_waitcnt lgkmcnt(0)
	v_add_u32_e32 v1, v20, v1
	ds_write_b32 v27, v1 offset:64
.LBB1883_88:
	s_or_b64 exec, exec, s[0:1]
	s_waitcnt vmcnt(4)
	v_cmp_lt_i32_e32 vcc, -1, v13
	v_cndmask_b32_e32 v1, -1, v24, vcc
	v_xor_b32_e32 v13, v1, v13
	v_cmp_ne_u32_e32 vcc, s2, v13
	v_cndmask_b32_e32 v1, v24, v13, vcc
	v_lshrrev_b32_e32 v1, s44, v1
	v_and_b32_e32 v2, s16, v1
	v_lshl_add_u32 v1, v2, 4, v2
	v_add_lshl_u32 v30, v26, v1, 2
	v_and_b32_e32 v1, 1, v2
	v_add_co_u32_e32 v3, vcc, -1, v1
	v_addc_co_u32_e64 v28, s[0:1], 0, -1, vcc
	v_cmp_ne_u32_e32 vcc, 0, v1
	v_xor_b32_e32 v1, vcc_hi, v28
	v_and_b32_e32 v28, exec_hi, v1
	v_lshlrev_b32_e32 v1, 30, v2
	v_xor_b32_e32 v3, vcc_lo, v3
	v_cmp_gt_i64_e32 vcc, 0, v[0:1]
	v_not_b32_e32 v1, v1
	v_ashrrev_i32_e32 v1, 31, v1
	v_and_b32_e32 v3, exec_lo, v3
	v_xor_b32_e32 v29, vcc_hi, v1
	v_xor_b32_e32 v1, vcc_lo, v1
	v_and_b32_e32 v3, v3, v1
	v_lshlrev_b32_e32 v1, 29, v2
	v_cmp_gt_i64_e32 vcc, 0, v[0:1]
	v_not_b32_e32 v1, v1
	v_ashrrev_i32_e32 v1, 31, v1
	v_and_b32_e32 v28, v28, v29
	v_xor_b32_e32 v29, vcc_hi, v1
	v_xor_b32_e32 v1, vcc_lo, v1
	v_and_b32_e32 v3, v3, v1
	v_lshlrev_b32_e32 v1, 28, v2
	v_cmp_gt_i64_e32 vcc, 0, v[0:1]
	v_not_b32_e32 v1, v1
	v_ashrrev_i32_e32 v1, 31, v1
	v_and_b32_e32 v28, v28, v29
	;; [unrolled: 8-line block ×5, first 2 shown]
	v_xor_b32_e32 v29, vcc_hi, v1
	v_xor_b32_e32 v1, vcc_lo, v1
	v_and_b32_e32 v3, v3, v1
	v_lshlrev_b32_e32 v1, 24, v2
	v_cmp_gt_i64_e32 vcc, 0, v[0:1]
	v_not_b32_e32 v0, v1
	v_ashrrev_i32_e32 v0, 31, v0
	v_xor_b32_e32 v1, vcc_hi, v0
	v_xor_b32_e32 v0, vcc_lo, v0
	; wave barrier
	ds_read_b32 v24, v30 offset:64
	v_and_b32_e32 v28, v28, v29
	v_and_b32_e32 v0, v3, v0
	;; [unrolled: 1-line block ×3, first 2 shown]
	v_mbcnt_lo_u32_b32 v2, v0, 0
	v_mbcnt_hi_u32_b32 v28, v1, v2
	v_cmp_eq_u32_e32 vcc, 0, v28
	v_cmp_ne_u64_e64 s[0:1], 0, v[0:1]
	s_and_b64 s[2:3], s[0:1], vcc
	; wave barrier
	s_and_saveexec_b64 s[0:1], s[2:3]
	s_cbranch_execz .LBB1883_90
; %bb.89:
	v_bcnt_u32_b32 v0, v0, 0
	v_bcnt_u32_b32 v0, v1, v0
	s_waitcnt lgkmcnt(0)
	v_add_u32_e32 v0, v24, v0
	ds_write_b32 v30, v0 offset:64
.LBB1883_90:
	s_or_b64 exec, exec, s[0:1]
	v_bfrev_b32_e32 v31, 1
	s_waitcnt vmcnt(3)
	v_cmp_lt_i32_e32 vcc, -1, v14
	v_cndmask_b32_e32 v0, -1, v31, vcc
	v_xor_b32_e32 v14, v0, v14
	s_brev_b32 s2, -2
	v_cmp_ne_u32_e32 vcc, s2, v14
	v_cndmask_b32_e32 v0, v31, v14, vcc
	v_lshrrev_b32_e32 v0, s44, v0
	v_and_b32_e32 v2, s16, v0
	v_and_b32_e32 v1, 1, v2
	v_add_co_u32_e32 v3, vcc, -1, v1
	v_addc_co_u32_e64 v33, s[0:1], 0, -1, vcc
	v_cmp_ne_u32_e32 vcc, 0, v1
	v_lshl_add_u32 v0, v2, 4, v2
	v_xor_b32_e32 v1, vcc_hi, v33
	v_add_lshl_u32 v32, v26, v0, 2
	v_mov_b32_e32 v0, 0
	v_and_b32_e32 v33, exec_hi, v1
	v_lshlrev_b32_e32 v1, 30, v2
	v_xor_b32_e32 v3, vcc_lo, v3
	v_cmp_gt_i64_e32 vcc, 0, v[0:1]
	v_not_b32_e32 v1, v1
	v_ashrrev_i32_e32 v1, 31, v1
	v_and_b32_e32 v3, exec_lo, v3
	v_xor_b32_e32 v34, vcc_hi, v1
	v_xor_b32_e32 v1, vcc_lo, v1
	v_and_b32_e32 v3, v3, v1
	v_lshlrev_b32_e32 v1, 29, v2
	v_cmp_gt_i64_e32 vcc, 0, v[0:1]
	v_not_b32_e32 v1, v1
	v_ashrrev_i32_e32 v1, 31, v1
	v_and_b32_e32 v33, v33, v34
	v_xor_b32_e32 v34, vcc_hi, v1
	v_xor_b32_e32 v1, vcc_lo, v1
	v_and_b32_e32 v3, v3, v1
	v_lshlrev_b32_e32 v1, 28, v2
	v_cmp_gt_i64_e32 vcc, 0, v[0:1]
	v_not_b32_e32 v1, v1
	v_ashrrev_i32_e32 v1, 31, v1
	v_and_b32_e32 v33, v33, v34
	;; [unrolled: 8-line block ×5, first 2 shown]
	v_xor_b32_e32 v34, vcc_hi, v1
	v_xor_b32_e32 v1, vcc_lo, v1
	v_and_b32_e32 v33, v33, v34
	v_and_b32_e32 v34, v3, v1
	v_lshlrev_b32_e32 v1, 24, v2
	v_cmp_gt_i64_e32 vcc, 0, v[0:1]
	v_not_b32_e32 v1, v1
	v_ashrrev_i32_e32 v1, 31, v1
	v_xor_b32_e32 v2, vcc_hi, v1
	v_xor_b32_e32 v1, vcc_lo, v1
	; wave barrier
	ds_read_b32 v29, v32 offset:64
	v_and_b32_e32 v3, v33, v2
	v_and_b32_e32 v2, v34, v1
	v_mbcnt_lo_u32_b32 v1, v2, 0
	v_mbcnt_hi_u32_b32 v34, v3, v1
	v_cmp_eq_u32_e32 vcc, 0, v34
	v_cmp_ne_u64_e64 s[0:1], 0, v[2:3]
	s_and_b64 s[4:5], s[0:1], vcc
	; wave barrier
	s_and_saveexec_b64 s[0:1], s[4:5]
	s_cbranch_execz .LBB1883_92
; %bb.91:
	v_bcnt_u32_b32 v1, v2, 0
	v_bcnt_u32_b32 v1, v3, v1
	s_waitcnt lgkmcnt(0)
	v_add_u32_e32 v1, v29, v1
	ds_write_b32 v32, v1 offset:64
.LBB1883_92:
	s_or_b64 exec, exec, s[0:1]
	s_waitcnt vmcnt(2)
	v_cmp_lt_i32_e32 vcc, -1, v17
	v_cndmask_b32_e32 v1, -1, v31, vcc
	v_xor_b32_e32 v17, v1, v17
	v_cmp_ne_u32_e32 vcc, s2, v17
	v_cndmask_b32_e32 v1, v31, v17, vcc
	v_lshrrev_b32_e32 v1, s44, v1
	v_and_b32_e32 v2, s16, v1
	v_lshl_add_u32 v1, v2, 4, v2
	v_add_lshl_u32 v37, v26, v1, 2
	v_and_b32_e32 v1, 1, v2
	v_add_co_u32_e32 v3, vcc, -1, v1
	v_addc_co_u32_e64 v31, s[0:1], 0, -1, vcc
	v_cmp_ne_u32_e32 vcc, 0, v1
	v_xor_b32_e32 v1, vcc_hi, v31
	v_and_b32_e32 v31, exec_hi, v1
	v_lshlrev_b32_e32 v1, 30, v2
	v_xor_b32_e32 v3, vcc_lo, v3
	v_cmp_gt_i64_e32 vcc, 0, v[0:1]
	v_not_b32_e32 v1, v1
	v_ashrrev_i32_e32 v1, 31, v1
	v_and_b32_e32 v3, exec_lo, v3
	v_xor_b32_e32 v35, vcc_hi, v1
	v_xor_b32_e32 v1, vcc_lo, v1
	v_and_b32_e32 v3, v3, v1
	v_lshlrev_b32_e32 v1, 29, v2
	v_cmp_gt_i64_e32 vcc, 0, v[0:1]
	v_not_b32_e32 v1, v1
	v_ashrrev_i32_e32 v1, 31, v1
	v_and_b32_e32 v31, v31, v35
	v_xor_b32_e32 v35, vcc_hi, v1
	v_xor_b32_e32 v1, vcc_lo, v1
	v_and_b32_e32 v3, v3, v1
	v_lshlrev_b32_e32 v1, 28, v2
	v_cmp_gt_i64_e32 vcc, 0, v[0:1]
	v_not_b32_e32 v1, v1
	v_ashrrev_i32_e32 v1, 31, v1
	v_and_b32_e32 v31, v31, v35
	;; [unrolled: 8-line block ×5, first 2 shown]
	v_xor_b32_e32 v35, vcc_hi, v1
	v_xor_b32_e32 v1, vcc_lo, v1
	v_and_b32_e32 v3, v3, v1
	v_lshlrev_b32_e32 v1, 24, v2
	v_cmp_gt_i64_e32 vcc, 0, v[0:1]
	v_not_b32_e32 v0, v1
	v_ashrrev_i32_e32 v0, 31, v0
	v_xor_b32_e32 v1, vcc_hi, v0
	v_xor_b32_e32 v0, vcc_lo, v0
	; wave barrier
	ds_read_b32 v33, v37 offset:64
	v_and_b32_e32 v31, v31, v35
	v_and_b32_e32 v0, v3, v0
	;; [unrolled: 1-line block ×3, first 2 shown]
	v_mbcnt_lo_u32_b32 v2, v0, 0
	v_mbcnt_hi_u32_b32 v35, v1, v2
	v_cmp_eq_u32_e32 vcc, 0, v35
	v_cmp_ne_u64_e64 s[0:1], 0, v[0:1]
	s_and_b64 s[2:3], s[0:1], vcc
	; wave barrier
	s_and_saveexec_b64 s[0:1], s[2:3]
	s_cbranch_execz .LBB1883_94
; %bb.93:
	v_bcnt_u32_b32 v0, v0, 0
	v_bcnt_u32_b32 v0, v1, v0
	s_waitcnt lgkmcnt(0)
	v_add_u32_e32 v0, v33, v0
	ds_write_b32 v37, v0 offset:64
.LBB1883_94:
	s_or_b64 exec, exec, s[0:1]
	v_bfrev_b32_e32 v31, 1
	s_waitcnt vmcnt(1)
	v_cmp_lt_i32_e32 vcc, -1, v21
	v_cndmask_b32_e32 v0, -1, v31, vcc
	v_xor_b32_e32 v21, v0, v21
	s_brev_b32 s2, -2
	v_cmp_ne_u32_e32 vcc, s2, v21
	v_cndmask_b32_e32 v0, v31, v21, vcc
	v_lshrrev_b32_e32 v0, s44, v0
	v_and_b32_e32 v2, s16, v0
	v_and_b32_e32 v1, 1, v2
	v_add_co_u32_e32 v3, vcc, -1, v1
	v_addc_co_u32_e64 v38, s[0:1], 0, -1, vcc
	v_cmp_ne_u32_e32 vcc, 0, v1
	v_lshl_add_u32 v0, v2, 4, v2
	v_xor_b32_e32 v1, vcc_hi, v38
	v_add_lshl_u32 v40, v26, v0, 2
	v_mov_b32_e32 v0, 0
	v_and_b32_e32 v38, exec_hi, v1
	v_lshlrev_b32_e32 v1, 30, v2
	v_xor_b32_e32 v3, vcc_lo, v3
	v_cmp_gt_i64_e32 vcc, 0, v[0:1]
	v_not_b32_e32 v1, v1
	v_ashrrev_i32_e32 v1, 31, v1
	v_and_b32_e32 v3, exec_lo, v3
	v_xor_b32_e32 v39, vcc_hi, v1
	v_xor_b32_e32 v1, vcc_lo, v1
	v_and_b32_e32 v3, v3, v1
	v_lshlrev_b32_e32 v1, 29, v2
	v_cmp_gt_i64_e32 vcc, 0, v[0:1]
	v_not_b32_e32 v1, v1
	v_ashrrev_i32_e32 v1, 31, v1
	v_and_b32_e32 v38, v38, v39
	v_xor_b32_e32 v39, vcc_hi, v1
	v_xor_b32_e32 v1, vcc_lo, v1
	v_and_b32_e32 v3, v3, v1
	v_lshlrev_b32_e32 v1, 28, v2
	v_cmp_gt_i64_e32 vcc, 0, v[0:1]
	v_not_b32_e32 v1, v1
	v_ashrrev_i32_e32 v1, 31, v1
	v_and_b32_e32 v38, v38, v39
	v_xor_b32_e32 v39, vcc_hi, v1
	v_xor_b32_e32 v1, vcc_lo, v1
	v_and_b32_e32 v3, v3, v1
	v_lshlrev_b32_e32 v1, 27, v2
	v_cmp_gt_i64_e32 vcc, 0, v[0:1]
	v_not_b32_e32 v1, v1
	v_ashrrev_i32_e32 v1, 31, v1
	v_and_b32_e32 v38, v38, v39
	v_xor_b32_e32 v39, vcc_hi, v1
	v_xor_b32_e32 v1, vcc_lo, v1
	v_and_b32_e32 v3, v3, v1
	v_lshlrev_b32_e32 v1, 26, v2
	v_cmp_gt_i64_e32 vcc, 0, v[0:1]
	v_not_b32_e32 v1, v1
	v_ashrrev_i32_e32 v1, 31, v1
	v_and_b32_e32 v38, v38, v39
	v_xor_b32_e32 v39, vcc_hi, v1
	v_xor_b32_e32 v1, vcc_lo, v1
	v_and_b32_e32 v3, v3, v1
	v_lshlrev_b32_e32 v1, 25, v2
	v_cmp_gt_i64_e32 vcc, 0, v[0:1]
	v_not_b32_e32 v1, v1
	v_ashrrev_i32_e32 v1, 31, v1
	v_and_b32_e32 v38, v38, v39
	v_xor_b32_e32 v39, vcc_hi, v1
	v_xor_b32_e32 v1, vcc_lo, v1
	v_and_b32_e32 v38, v38, v39
	v_and_b32_e32 v39, v3, v1
	v_lshlrev_b32_e32 v1, 24, v2
	v_cmp_gt_i64_e32 vcc, 0, v[0:1]
	v_not_b32_e32 v1, v1
	v_ashrrev_i32_e32 v1, 31, v1
	v_xor_b32_e32 v2, vcc_hi, v1
	v_xor_b32_e32 v1, vcc_lo, v1
	; wave barrier
	ds_read_b32 v36, v40 offset:64
	v_and_b32_e32 v3, v38, v2
	v_and_b32_e32 v2, v39, v1
	v_mbcnt_lo_u32_b32 v1, v2, 0
	v_mbcnt_hi_u32_b32 v38, v3, v1
	v_cmp_eq_u32_e32 vcc, 0, v38
	v_cmp_ne_u64_e64 s[0:1], 0, v[2:3]
	s_and_b64 s[4:5], s[0:1], vcc
	; wave barrier
	s_and_saveexec_b64 s[0:1], s[4:5]
	s_cbranch_execz .LBB1883_96
; %bb.95:
	v_bcnt_u32_b32 v1, v2, 0
	v_bcnt_u32_b32 v1, v3, v1
	s_waitcnt lgkmcnt(0)
	v_add_u32_e32 v1, v36, v1
	ds_write_b32 v40, v1 offset:64
.LBB1883_96:
	s_or_b64 exec, exec, s[0:1]
	s_waitcnt vmcnt(0)
	v_cmp_lt_i32_e32 vcc, -1, v25
	v_cndmask_b32_e32 v1, -1, v31, vcc
	v_xor_b32_e32 v25, v1, v25
	v_cmp_ne_u32_e32 vcc, s2, v25
	v_cndmask_b32_e32 v1, v31, v25, vcc
	v_lshrrev_b32_e32 v1, s44, v1
	v_and_b32_e32 v2, s16, v1
	v_lshl_add_u32 v1, v2, 4, v2
	v_add_lshl_u32 v26, v1, v26, 2
	v_and_b32_e32 v1, 1, v2
	v_add_co_u32_e32 v3, vcc, -1, v1
	v_addc_co_u32_e64 v31, s[0:1], 0, -1, vcc
	v_cmp_ne_u32_e32 vcc, 0, v1
	v_xor_b32_e32 v1, vcc_hi, v31
	v_and_b32_e32 v31, exec_hi, v1
	v_lshlrev_b32_e32 v1, 30, v2
	v_xor_b32_e32 v3, vcc_lo, v3
	v_cmp_gt_i64_e32 vcc, 0, v[0:1]
	v_not_b32_e32 v1, v1
	v_ashrrev_i32_e32 v1, 31, v1
	v_and_b32_e32 v3, exec_lo, v3
	v_xor_b32_e32 v41, vcc_hi, v1
	v_xor_b32_e32 v1, vcc_lo, v1
	v_and_b32_e32 v3, v3, v1
	v_lshlrev_b32_e32 v1, 29, v2
	v_cmp_gt_i64_e32 vcc, 0, v[0:1]
	v_not_b32_e32 v1, v1
	v_ashrrev_i32_e32 v1, 31, v1
	v_and_b32_e32 v31, v31, v41
	v_xor_b32_e32 v41, vcc_hi, v1
	v_xor_b32_e32 v1, vcc_lo, v1
	v_and_b32_e32 v3, v3, v1
	v_lshlrev_b32_e32 v1, 28, v2
	v_cmp_gt_i64_e32 vcc, 0, v[0:1]
	v_not_b32_e32 v1, v1
	v_ashrrev_i32_e32 v1, 31, v1
	v_and_b32_e32 v31, v31, v41
	;; [unrolled: 8-line block ×5, first 2 shown]
	v_xor_b32_e32 v41, vcc_hi, v1
	v_xor_b32_e32 v1, vcc_lo, v1
	v_and_b32_e32 v3, v3, v1
	v_lshlrev_b32_e32 v1, 24, v2
	v_cmp_gt_i64_e32 vcc, 0, v[0:1]
	v_not_b32_e32 v0, v1
	v_ashrrev_i32_e32 v0, 31, v0
	v_xor_b32_e32 v1, vcc_hi, v0
	v_xor_b32_e32 v0, vcc_lo, v0
	; wave barrier
	ds_read_b32 v39, v26 offset:64
	v_and_b32_e32 v31, v31, v41
	v_and_b32_e32 v0, v3, v0
	;; [unrolled: 1-line block ×3, first 2 shown]
	v_mbcnt_lo_u32_b32 v2, v0, 0
	v_mbcnt_hi_u32_b32 v41, v1, v2
	v_cmp_eq_u32_e32 vcc, 0, v41
	v_cmp_ne_u64_e64 s[0:1], 0, v[0:1]
	v_add_u32_e32 v42, 64, v5
	s_and_b64 s[2:3], s[0:1], vcc
	; wave barrier
	s_and_saveexec_b64 s[0:1], s[2:3]
	s_cbranch_execz .LBB1883_98
; %bb.97:
	v_bcnt_u32_b32 v0, v0, 0
	v_bcnt_u32_b32 v0, v1, v0
	s_waitcnt lgkmcnt(0)
	v_add_u32_e32 v0, v39, v0
	ds_write_b32 v26, v0 offset:64
.LBB1883_98:
	s_or_b64 exec, exec, s[0:1]
	; wave barrier
	s_waitcnt lgkmcnt(0)
	s_barrier
	ds_read2_b32 v[2:3], v5 offset0:16 offset1:17
	ds_read2_b32 v[0:1], v42 offset0:2 offset1:3
	ds_read_b32 v31, v42 offset:16
	v_cmp_lt_u32_e64 s[8:9], 31, v4
	s_waitcnt lgkmcnt(1)
	v_add3_u32 v43, v3, v2, v0
	s_waitcnt lgkmcnt(0)
	v_add3_u32 v31, v43, v1, v31
	v_and_b32_e32 v43, 15, v4
	v_cmp_eq_u32_e32 vcc, 0, v43
	v_mov_b32_dpp v44, v31 row_shr:1 row_mask:0xf bank_mask:0xf
	v_cndmask_b32_e64 v44, v44, 0, vcc
	v_add_u32_e32 v31, v44, v31
	v_cmp_lt_u32_e64 s[0:1], 1, v43
	v_cmp_lt_u32_e64 s[2:3], 3, v43
	v_mov_b32_dpp v44, v31 row_shr:2 row_mask:0xf bank_mask:0xf
	v_cndmask_b32_e64 v44, 0, v44, s[0:1]
	v_add_u32_e32 v31, v31, v44
	v_cmp_lt_u32_e64 s[4:5], 7, v43
	s_nop 0
	v_mov_b32_dpp v44, v31 row_shr:4 row_mask:0xf bank_mask:0xf
	v_cndmask_b32_e64 v44, 0, v44, s[2:3]
	v_add_u32_e32 v31, v31, v44
	s_nop 1
	v_mov_b32_dpp v44, v31 row_shr:8 row_mask:0xf bank_mask:0xf
	v_cndmask_b32_e64 v43, 0, v44, s[4:5]
	v_add_u32_e32 v31, v31, v43
	v_bfe_i32 v44, v4, 4, 1
	s_nop 0
	v_mov_b32_dpp v43, v31 row_bcast:15 row_mask:0xf bank_mask:0xf
	v_and_b32_e32 v43, v44, v43
	v_add_u32_e32 v31, v31, v43
	v_lshrrev_b32_e32 v44, 6, v10
	s_nop 0
	v_mov_b32_dpp v43, v31 row_bcast:31 row_mask:0xf bank_mask:0xf
	v_cndmask_b32_e64 v43, 0, v43, s[8:9]
	v_add_u32_e32 v43, v31, v43
	v_and_b32_e32 v31, 63, v10
	v_cmp_eq_u32_e64 s[8:9], 63, v31
	s_and_saveexec_b64 s[14:15], s[8:9]
	s_cbranch_execz .LBB1883_100
; %bb.99:
	v_lshlrev_b32_e32 v31, 2, v44
	ds_write_b32 v31, v43
.LBB1883_100:
	s_or_b64 exec, exec, s[14:15]
	v_cmp_gt_u32_e64 s[8:9], 16, v10
	v_lshlrev_b32_e32 v31, 2, v10
	s_waitcnt lgkmcnt(0)
	s_barrier
	s_and_saveexec_b64 s[14:15], s[8:9]
	s_cbranch_execz .LBB1883_102
; %bb.101:
	ds_read_b32 v45, v31
	s_waitcnt lgkmcnt(0)
	s_nop 0
	v_mov_b32_dpp v46, v45 row_shr:1 row_mask:0xf bank_mask:0xf
	v_cndmask_b32_e64 v46, v46, 0, vcc
	v_add_u32_e32 v45, v46, v45
	s_nop 1
	v_mov_b32_dpp v46, v45 row_shr:2 row_mask:0xf bank_mask:0xf
	v_cndmask_b32_e64 v46, 0, v46, s[0:1]
	v_add_u32_e32 v45, v45, v46
	s_nop 1
	v_mov_b32_dpp v46, v45 row_shr:4 row_mask:0xf bank_mask:0xf
	v_cndmask_b32_e64 v46, 0, v46, s[2:3]
	;; [unrolled: 4-line block ×3, first 2 shown]
	v_add_u32_e32 v45, v45, v46
	ds_write_b32 v31, v45
.LBB1883_102:
	s_or_b64 exec, exec, s[14:15]
	v_cmp_lt_u32_e32 vcc, 63, v10
	v_mov_b32_e32 v45, 0
	s_waitcnt lgkmcnt(0)
	s_barrier
	s_and_saveexec_b64 s[0:1], vcc
	s_cbranch_execz .LBB1883_104
; %bb.103:
	v_lshl_add_u32 v44, v44, 2, -4
	ds_read_b32 v45, v44
.LBB1883_104:
	s_or_b64 exec, exec, s[0:1]
	v_add_u32_e32 v44, -1, v4
	v_and_b32_e32 v46, 64, v4
	v_cmp_lt_i32_e32 vcc, v44, v46
	v_cndmask_b32_e32 v44, v44, v4, vcc
	s_waitcnt lgkmcnt(0)
	v_add_u32_e32 v43, v45, v43
	v_lshlrev_b32_e32 v44, 2, v44
	ds_bpermute_b32 v43, v44, v43
	v_cmp_eq_u32_e32 vcc, 0, v4
	s_movk_i32 s0, 0x100
	v_cmp_gt_u32_e64 s[0:1], s0, v10
	s_waitcnt lgkmcnt(0)
	v_cndmask_b32_e32 v4, v43, v45, vcc
	v_cmp_ne_u32_e32 vcc, 0, v10
	v_cndmask_b32_e32 v4, 0, v4, vcc
	v_add_u32_e32 v2, v4, v2
	v_add_u32_e32 v3, v2, v3
	;; [unrolled: 1-line block ×4, first 2 shown]
	ds_write2_b32 v5, v4, v2 offset0:16 offset1:17
	ds_write2_b32 v42, v3, v0 offset0:2 offset1:3
	ds_write_b32 v42, v1 offset:16
	s_waitcnt lgkmcnt(0)
	s_barrier
	ds_read_b32 v45, v18 offset:64
	ds_read_b32 v18, v22 offset:64
	;; [unrolled: 1-line block ×8, first 2 shown]
                                        ; implicit-def: $vgpr22
                                        ; implicit-def: $vgpr26
	s_and_saveexec_b64 s[2:3], s[0:1]
	s_cbranch_execz .LBB1883_108
; %bb.105:
	v_mul_u32_u24_e32 v0, 17, v10
	v_lshlrev_b32_e32 v1, 2, v0
	ds_read_b32 v22, v1 offset:64
	s_movk_i32 s4, 0xff
	v_cmp_ne_u32_e32 vcc, s4, v10
	v_mov_b32_e32 v0, 0x2000
	s_and_saveexec_b64 s[4:5], vcc
	s_cbranch_execz .LBB1883_107
; %bb.106:
	ds_read_b32 v0, v1 offset:132
.LBB1883_107:
	s_or_b64 exec, exec, s[4:5]
	s_waitcnt lgkmcnt(0)
	v_sub_u32_e32 v26, v0, v22
.LBB1883_108:
	s_or_b64 exec, exec, s[2:3]
	s_waitcnt lgkmcnt(0)
	s_barrier
	s_and_saveexec_b64 s[2:3], s[0:1]
	s_cbranch_execz .LBB1883_118
; %bb.109:
	v_lshl_or_b32 v0, s6, 8, v10
	v_mov_b32_e32 v1, 0
	v_lshlrev_b64 v[2:3], 2, v[0:1]
	v_mov_b32_e32 v27, s35
	v_add_co_u32_e32 v2, vcc, s34, v2
	v_addc_co_u32_e32 v3, vcc, v27, v3, vcc
	v_or_b32_e32 v0, 2.0, v26
	s_mov_b64 s[4:5], 0
	s_brev_b32 s17, 1
	s_mov_b32 s18, s6
	v_mov_b32_e32 v40, 0
	global_store_dword v[2:3], v0, off
                                        ; implicit-def: $sgpr8_sgpr9
	s_branch .LBB1883_112
.LBB1883_110:                           ;   in Loop: Header=BB1883_112 Depth=1
	s_or_b64 exec, exec, s[14:15]
.LBB1883_111:                           ;   in Loop: Header=BB1883_112 Depth=1
	s_or_b64 exec, exec, s[8:9]
	v_and_b32_e32 v4, 0x3fffffff, v46
	v_add_u32_e32 v40, v4, v40
	v_cmp_eq_u32_e64 s[8:9], s17, v0
	s_and_b64 s[14:15], exec, s[8:9]
	s_or_b64 s[4:5], s[14:15], s[4:5]
	s_andn2_b64 exec, exec, s[4:5]
	s_cbranch_execz .LBB1883_117
.LBB1883_112:                           ; =>This Loop Header: Depth=1
                                        ;     Child Loop BB1883_115 Depth 2
	s_or_b64 s[8:9], s[8:9], exec
	s_cmp_eq_u32 s18, 0
	s_cbranch_scc1 .LBB1883_116
; %bb.113:                              ;   in Loop: Header=BB1883_112 Depth=1
	s_add_i32 s18, s18, -1
	v_lshl_or_b32 v0, s18, 8, v10
	v_lshlrev_b64 v[4:5], 2, v[0:1]
	v_add_co_u32_e32 v4, vcc, s34, v4
	v_addc_co_u32_e32 v5, vcc, v27, v5, vcc
	global_load_dword v46, v[4:5], off glc
	s_waitcnt vmcnt(0)
	v_and_b32_e32 v0, -2.0, v46
	v_cmp_eq_u32_e32 vcc, 0, v0
	s_and_saveexec_b64 s[8:9], vcc
	s_cbranch_execz .LBB1883_111
; %bb.114:                              ;   in Loop: Header=BB1883_112 Depth=1
	s_mov_b64 s[14:15], 0
.LBB1883_115:                           ;   Parent Loop BB1883_112 Depth=1
                                        ; =>  This Inner Loop Header: Depth=2
	global_load_dword v46, v[4:5], off glc
	s_waitcnt vmcnt(0)
	v_and_b32_e32 v0, -2.0, v46
	v_cmp_ne_u32_e32 vcc, 0, v0
	s_or_b64 s[14:15], vcc, s[14:15]
	s_andn2_b64 exec, exec, s[14:15]
	s_cbranch_execnz .LBB1883_115
	s_branch .LBB1883_110
.LBB1883_116:                           ;   in Loop: Header=BB1883_112 Depth=1
                                        ; implicit-def: $sgpr18
	s_and_b64 s[14:15], exec, s[8:9]
	s_or_b64 s[4:5], s[14:15], s[4:5]
	s_andn2_b64 exec, exec, s[4:5]
	s_cbranch_execnz .LBB1883_112
.LBB1883_117:
	s_or_b64 exec, exec, s[4:5]
	v_add_u32_e32 v0, v40, v26
	v_or_b32_e32 v0, 0x80000000, v0
	global_store_dword v[2:3], v0, off
	global_load_dword v0, v31, s[28:29]
	v_sub_u32_e32 v1, v40, v22
	s_waitcnt vmcnt(0)
	v_add_u32_e32 v0, v1, v0
	ds_write_b32 v31, v0
.LBB1883_118:
	s_or_b64 exec, exec, s[2:3]
	v_add_u32_e32 v27, v45, v15
	s_movk_i32 s4, 0x400
	v_add_u32_e32 v2, 0x400, v31
	v_add3_u32 v30, v41, v30, v39
	v_add3_u32 v32, v38, v32, v36
	v_add3_u32 v33, v35, v37, v33
	v_add3_u32 v29, v34, v44, v29
	v_add3_u32 v24, v28, v43, v24
	v_add3_u32 v20, v23, v42, v20
	v_add3_u32 v23, v19, v18, v16
	s_mov_b64 s[2:3], -1
	s_mov_b32 s5, 0
	s_brev_b32 s8, -2
	v_bfrev_b32_e32 v3, 1
	v_mov_b32_e32 v4, s39
	s_movk_i32 s9, 0x800
	s_movk_i32 s14, 0xc00
	v_mov_b32_e32 v1, 0
	v_mov_b32_e32 v5, v10
	s_mov_b32 s15, 0
                                        ; implicit-def: $vgpr40
                                        ; implicit-def: $vgpr39
                                        ; implicit-def: $vgpr38
                                        ; implicit-def: $vgpr37
                                        ; implicit-def: $vgpr36
                                        ; implicit-def: $vgpr35
                                        ; implicit-def: $vgpr34
                                        ; implicit-def: $vgpr28
.LBB1883_119:                           ; =>This Inner Loop Header: Depth=1
	v_add_u32_e32 v0, s5, v27
	v_add_u32_e32 v18, s5, v24
	;; [unrolled: 1-line block ×8, first 2 shown]
	v_min_u32_e32 v0, 0x1000, v0
	v_min_u32_e32 v18, 0x1000, v18
	;; [unrolled: 1-line block ×8, first 2 shown]
	v_lshlrev_b32_e32 v0, 2, v0
	v_lshlrev_b32_e32 v18, 2, v18
	;; [unrolled: 1-line block ×8, first 2 shown]
	ds_write_b32 v0, v8 offset:1024
	ds_write_b32 v15, v9 offset:1024
	;; [unrolled: 1-line block ×8, first 2 shown]
	s_waitcnt lgkmcnt(0)
	s_barrier
	ds_read_b32 v0, v31 offset:1024
	ds_read2st64_b32 v[18:19], v2 offset0:16 offset1:32
	s_cmp_eq_u32 s15, 0
	s_waitcnt lgkmcnt(1)
	v_cmp_ne_u32_e32 vcc, s8, v0
	v_cndmask_b32_e32 v15, v3, v0, vcc
	v_cmp_lt_i32_e32 vcc, -1, v0
	v_cndmask_b32_e64 v16, v3, -1, vcc
	s_waitcnt lgkmcnt(0)
	v_cmp_ne_u32_e32 vcc, s8, v18
	v_cndmask_b32_e32 v41, v3, v18, vcc
	v_cmp_lt_i32_e32 vcc, -1, v18
	v_cndmask_b32_e64 v42, v3, -1, vcc
	v_cmp_ne_u32_e32 vcc, s8, v19
	v_cndmask_b32_e32 v43, v3, v19, vcc
	v_cmp_lt_i32_e32 vcc, -1, v19
	v_lshrrev_b32_e32 v15, s44, v15
	v_cndmask_b32_e64 v44, v3, -1, vcc
	v_xor_b32_e32 v16, v16, v0
	v_lshrrev_b32_e32 v0, s44, v41
	v_and_b32_e32 v15, s16, v15
	s_cselect_b64 vcc, -1, 0
	s_cmp_eq_u32 s15, 1
	v_xor_b32_e32 v41, v42, v18
	v_lshrrev_b32_e32 v18, s44, v43
	v_and_b32_e32 v43, s16, v0
	v_cndmask_b32_e32 v40, v40, v15, vcc
	s_cselect_b64 vcc, -1, 0
	s_cmp_eq_u32 s15, 2
	v_xor_b32_e32 v42, v44, v19
	v_and_b32_e32 v44, s16, v18
	v_lshlrev_b32_e32 v0, 2, v15
	v_cndmask_b32_e32 v39, v39, v15, vcc
	v_lshlrev_b32_e32 v18, 2, v43
	s_cselect_b64 vcc, -1, 0
	s_cmp_eq_u32 s15, 3
	v_lshlrev_b32_e32 v19, 2, v44
	v_cndmask_b32_e32 v38, v38, v15, vcc
	ds_read_b32 v45, v18
	ds_read_b32 v46, v19
	;; [unrolled: 1-line block ×3, first 2 shown]
	ds_read_b32 v47, v2 offset:12288
	s_cselect_b64 vcc, -1, 0
	s_cmp_eq_u32 s15, 4
	v_cndmask_b32_e32 v37, v37, v15, vcc
	s_cselect_b64 vcc, -1, 0
	s_cmp_eq_u32 s15, 5
	v_cndmask_b32_e32 v36, v36, v15, vcc
	;; [unrolled: 3-line block ×4, first 2 shown]
	s_cselect_b64 vcc, -1, 0
	s_waitcnt lgkmcnt(1)
	v_add_u32_e32 v0, v5, v0
	v_cndmask_b32_e32 v15, v28, v15, vcc
	s_waitcnt lgkmcnt(0)
	v_cmp_ne_u32_e32 vcc, s8, v47
	v_cndmask_b32_e32 v28, v3, v47, vcc
	v_cmp_lt_i32_e32 vcc, -1, v47
	v_lshlrev_b64 v[18:19], 2, v[0:1]
	s_or_b32 s17, s15, 1
	v_cndmask_b32_e64 v34, v3, -1, vcc
	v_add_co_u32_e32 v18, vcc, s38, v18
	v_add3_u32 v0, v5, v45, s4
	s_cmp_eq_u32 s17, 7
	v_addc_co_u32_e32 v19, vcc, v4, v19, vcc
	v_xor_b32_e32 v45, v34, v47
	v_lshlrev_b64 v[34:35], 2, v[0:1]
	s_cselect_b64 vcc, -1, 0
	v_cndmask_b32_e32 v15, v15, v43, vcc
	global_store_dword v[18:19], v16, off
	v_add_co_u32_e32 v18, vcc, s38, v34
	s_cmp_eq_u32 s17, 6
	v_addc_co_u32_e32 v19, vcc, v4, v35, vcc
	v_add3_u32 v0, v5, v46, s9
	s_cselect_b64 vcc, -1, 0
	s_cmp_eq_u32 s17, 5
	v_lshrrev_b32_e32 v28, s44, v28
	v_cndmask_b32_e32 v16, v49, v43, vcc
	v_lshlrev_b64 v[34:35], 2, v[0:1]
	s_cselect_b64 vcc, -1, 0
	v_and_b32_e32 v46, s16, v28
	global_store_dword v[18:19], v41, off
	v_cndmask_b32_e32 v28, v48, v43, vcc
	v_add_co_u32_e32 v18, vcc, s38, v34
	v_lshlrev_b32_e32 v0, 2, v46
	s_cmp_eq_u32 s17, 4
	v_addc_co_u32_e32 v19, vcc, v4, v35, vcc
	ds_read_b32 v0, v0
	s_cselect_b64 vcc, -1, 0
	s_cmp_eq_u32 s17, 3
	v_cndmask_b32_e32 v34, v36, v43, vcc
	s_cselect_b64 vcc, -1, 0
	s_cmp_eq_u32 s17, 2
	v_cndmask_b32_e32 v35, v37, v43, vcc
	;; [unrolled: 3-line block ×4, first 2 shown]
	s_cselect_b64 vcc, -1, 0
	s_or_b32 s17, s15, 2
	s_waitcnt lgkmcnt(0)
	v_add3_u32 v0, v5, v0, s14
	s_cmp_eq_u32 s17, 0
	global_store_dword v[18:19], v42, off
	v_cndmask_b32_e32 v38, v40, v43, vcc
	v_lshlrev_b64 v[18:19], 2, v[0:1]
	s_cselect_b64 vcc, -1, 0
	v_cndmask_b32_e32 v0, v38, v44, vcc
	v_add_co_u32_e32 v18, vcc, s38, v18
	s_cmp_eq_u32 s17, 1
	v_addc_co_u32_e32 v19, vcc, v4, v19, vcc
	s_cselect_b64 vcc, -1, 0
	s_cmp_eq_u32 s17, 2
	v_cndmask_b32_e32 v39, v37, v44, vcc
	s_cselect_b64 vcc, -1, 0
	s_cmp_eq_u32 s17, 3
	global_store_dword v[18:19], v45, off
	v_cndmask_b32_e32 v18, v36, v44, vcc
	s_cselect_b64 vcc, -1, 0
	s_cmp_eq_u32 s17, 4
	v_cndmask_b32_e32 v19, v35, v44, vcc
	s_cselect_b64 vcc, -1, 0
	s_cmp_eq_u32 s17, 5
	;; [unrolled: 3-line block ×4, first 2 shown]
	v_cndmask_b32_e32 v16, v16, v44, vcc
	s_cselect_b64 vcc, -1, 0
	s_or_b32 s17, s15, 3
	s_cmp_eq_u32 s17, 7
	v_cndmask_b32_e32 v15, v15, v44, vcc
	s_cselect_b64 vcc, -1, 0
	s_cmp_eq_u32 s17, 6
	v_cndmask_b32_e32 v28, v15, v46, vcc
	s_cselect_b64 vcc, -1, 0
	;; [unrolled: 3-line block ×8, first 2 shown]
	v_add_u32_e32 v5, 0x1000, v5
	s_mov_b32 s15, 4
	v_cndmask_b32_e32 v40, v0, v46, vcc
	s_addk_i32 s5, 0xf000
	s_and_b64 vcc, exec, s[2:3]
	s_mov_b64 s[2:3], 0
	s_barrier
	s_cbranch_vccnz .LBB1883_119
; %bb.120:
	s_lshl_b64 s[2:3], s[12:13], 3
	s_add_u32 s2, s40, s2
	s_addc_u32 s3, s41, s3
	v_lshlrev_b32_e32 v0, 3, v7
	v_mov_b32_e32 v1, s3
	v_add_co_u32_e32 v0, vcc, s2, v0
	v_addc_co_u32_e32 v1, vcc, 0, v1, vcc
	v_lshlrev_b32_e32 v2, 3, v6
	v_add_co_u32_e32 v18, vcc, v0, v2
	v_addc_co_u32_e32 v19, vcc, 0, v1, vcc
	global_load_dwordx2 v[0:1], v[18:19], off
	global_load_dwordx2 v[2:3], v[18:19], off offset:512
	global_load_dwordx2 v[4:5], v[18:19], off offset:1024
	;; [unrolled: 1-line block ×7, first 2 shown]
	s_mov_b32 s2, 0
	s_movk_i32 s3, 0x400
	v_add_u32_e32 v21, 0x400, v11
	s_mov_b32 s4, 1
	v_mov_b32_e32 v19, 0
	v_mov_b32_e32 v25, v10
	s_waitcnt vmcnt(0)
.LBB1883_121:                           ; =>This Inner Loop Header: Depth=1
	s_add_i32 s5, s4, -1
	v_add_u32_e32 v18, s2, v27
	s_cmp_eq_u32 s5, 1
	v_add_u32_e32 v31, s2, v23
	v_add_u32_e32 v41, s2, v20
	;; [unrolled: 1-line block ×7, first 2 shown]
	v_min_u32_e32 v18, 0x800, v18
	s_cselect_b64 vcc, -1, 0
	s_cmp_eq_u32 s5, 2
	v_min_u32_e32 v31, 0x800, v31
	v_min_u32_e32 v41, 0x800, v41
	;; [unrolled: 1-line block ×7, first 2 shown]
	v_lshlrev_b32_e32 v18, 3, v18
	v_cndmask_b32_e32 v47, v40, v39, vcc
	s_cselect_b64 vcc, -1, 0
	s_cmp_eq_u32 s5, 3
	v_lshlrev_b32_e32 v31, 3, v31
	v_lshlrev_b32_e32 v41, 3, v41
	;; [unrolled: 1-line block ×7, first 2 shown]
	ds_write_b64 v18, v[0:1] offset:1024
	ds_write_b64 v31, v[2:3] offset:1024
	;; [unrolled: 1-line block ×8, first 2 shown]
	v_cndmask_b32_e32 v18, v47, v38, vcc
	s_cselect_b64 vcc, -1, 0
	s_cmp_eq_u32 s5, 4
	v_cndmask_b32_e32 v18, v18, v37, vcc
	s_cselect_b64 vcc, -1, 0
	s_cmp_eq_u32 s5, 5
	;; [unrolled: 3-line block ×10, first 2 shown]
	v_lshlrev_b32_e32 v18, 2, v18
	v_cndmask_b32_e32 v31, v31, v35, vcc
	s_cselect_b64 vcc, -1, 0
	s_cmp_eq_u32 s4, 7
	s_waitcnt lgkmcnt(0)
	s_barrier
	ds_read_b64 v[42:43], v11 offset:1024
	ds_read_b32 v18, v18
	ds_read_b64 v[44:45], v21 offset:8192
	v_cndmask_b32_e32 v31, v31, v34, vcc
	s_cselect_b64 vcc, -1, 0
	v_cndmask_b32_e32 v31, v31, v28, vcc
	v_lshlrev_b32_e32 v31, 2, v31
	ds_read_b32 v31, v31
	s_waitcnt lgkmcnt(2)
	v_add_u32_e32 v18, v25, v18
	v_lshlrev_b64 v[46:47], 3, v[18:19]
	v_mov_b32_e32 v48, s43
	v_add_co_u32_e32 v46, vcc, s42, v46
	v_addc_co_u32_e32 v47, vcc, v48, v47, vcc
	s_waitcnt lgkmcnt(0)
	v_add3_u32 v18, v25, v31, s3
	global_store_dwordx2 v[46:47], v[42:43], off
	v_lshlrev_b64 v[42:43], 3, v[18:19]
	s_addk_i32 s2, 0xf800
	s_add_i32 s4, s4, 2
	v_add_co_u32_e32 v42, vcc, s42, v42
	s_cmpk_lg_i32 s2, 0xe000
	v_add_u32_e32 v25, 0x800, v25
	v_addc_co_u32_e32 v43, vcc, v48, v43, vcc
	global_store_dwordx2 v[42:43], v[44:45], off
	s_barrier
	s_cbranch_scc1 .LBB1883_121
; %bb.122:
	s_add_i32 s7, s7, -1
	s_cmp_eq_u32 s7, s6
	s_cselect_b64 s[2:3], -1, 0
	s_and_b64 s[2:3], s[0:1], s[2:3]
                                        ; implicit-def: $vgpr2
	s_and_saveexec_b64 s[0:1], s[2:3]
; %bb.123:
	v_add_u32_e32 v2, v22, v26
	s_or_b64 s[10:11], s[10:11], exec
; %bb.124:
	s_or_b64 exec, exec, s[0:1]
.LBB1883_125:
	s_and_saveexec_b64 s[0:1], s[10:11]
	s_cbranch_execnz .LBB1883_127
; %bb.126:
	s_endpgm
.LBB1883_127:
	v_lshlrev_b32_e32 v3, 2, v10
	ds_read_b32 v3, v3
	v_mov_b32_e32 v11, 0
	v_lshlrev_b64 v[0:1], 2, v[10:11]
	v_mov_b32_e32 v4, s31
	v_add_co_u32_e32 v0, vcc, s30, v0
	v_addc_co_u32_e32 v1, vcc, v4, v1, vcc
	s_waitcnt lgkmcnt(0)
	v_add_u32_e32 v2, v3, v2
	global_store_dword v[0:1], v2, off
	s_endpgm
.LBB1883_128:
	global_load_dwordx2 v[12:13], v[28:29], off
	s_or_b64 exec, exec, s[20:21]
                                        ; implicit-def: $vgpr14_vgpr15
	s_and_saveexec_b64 s[0:1], s[2:3]
	s_cbranch_execz .LBB1883_66
.LBB1883_129:
	global_load_dwordx2 v[14:15], v[28:29], off offset:512
	s_or_b64 exec, exec, s[0:1]
                                        ; implicit-def: $vgpr16_vgpr17
	s_and_saveexec_b64 s[0:1], s[24:25]
	s_cbranch_execz .LBB1883_67
.LBB1883_130:
	global_load_dwordx2 v[16:17], v[28:29], off offset:1024
	s_or_b64 exec, exec, s[0:1]
                                        ; implicit-def: $vgpr18_vgpr19
	s_and_saveexec_b64 s[0:1], s[8:9]
	s_cbranch_execz .LBB1883_68
.LBB1883_131:
	global_load_dwordx2 v[18:19], v[28:29], off offset:1536
	s_or_b64 exec, exec, s[0:1]
                                        ; implicit-def: $vgpr20_vgpr21
	s_and_saveexec_b64 s[0:1], s[10:11]
	s_cbranch_execz .LBB1883_69
.LBB1883_132:
	global_load_dwordx2 v[20:21], v[28:29], off offset:2048
	s_or_b64 exec, exec, s[0:1]
                                        ; implicit-def: $vgpr22_vgpr23
	s_and_saveexec_b64 s[0:1], s[12:13]
	s_cbranch_execz .LBB1883_70
.LBB1883_133:
	global_load_dwordx2 v[22:23], v[28:29], off offset:2560
	s_or_b64 exec, exec, s[0:1]
                                        ; implicit-def: $vgpr24_vgpr25
	s_and_saveexec_b64 s[0:1], s[14:15]
	s_cbranch_execz .LBB1883_71
.LBB1883_134:
	global_load_dwordx2 v[24:25], v[28:29], off offset:3072
	s_or_b64 exec, exec, s[0:1]
                                        ; implicit-def: $vgpr26_vgpr27
	s_and_saveexec_b64 s[0:1], s[16:17]
	s_cbranch_execnz .LBB1883_72
	s_branch .LBB1883_73
	.section	.rodata,"a",@progbits
	.p2align	6, 0x0
	.amdhsa_kernel _ZN7rocprim17ROCPRIM_400000_NS6detail17trampoline_kernelINS0_14default_configENS1_35radix_sort_onesweep_config_selectorIflEEZZNS1_29radix_sort_onesweep_iterationIS3_Lb0EPfS7_N6thrust23THRUST_200600_302600_NS10device_ptrIlEESB_jNS0_19identity_decomposerENS1_16block_id_wrapperIjLb0EEEEE10hipError_tT1_PNSt15iterator_traitsISG_E10value_typeET2_T3_PNSH_ISM_E10value_typeET4_T5_PSR_SS_PNS1_23onesweep_lookback_stateEbbT6_jjT7_P12ihipStream_tbENKUlT_T0_SG_SL_E_clIS7_S7_PlSB_EEDaSZ_S10_SG_SL_EUlSZ_E_NS1_11comp_targetILNS1_3genE4ELNS1_11target_archE910ELNS1_3gpuE8ELNS1_3repE0EEENS1_47radix_sort_onesweep_sort_config_static_selectorELNS0_4arch9wavefront6targetE1EEEvSG_
		.amdhsa_group_segment_fixed_size 20552
		.amdhsa_private_segment_fixed_size 0
		.amdhsa_kernarg_size 344
		.amdhsa_user_sgpr_count 6
		.amdhsa_user_sgpr_private_segment_buffer 1
		.amdhsa_user_sgpr_dispatch_ptr 0
		.amdhsa_user_sgpr_queue_ptr 0
		.amdhsa_user_sgpr_kernarg_segment_ptr 1
		.amdhsa_user_sgpr_dispatch_id 0
		.amdhsa_user_sgpr_flat_scratch_init 0
		.amdhsa_user_sgpr_kernarg_preload_length 0
		.amdhsa_user_sgpr_kernarg_preload_offset 0
		.amdhsa_user_sgpr_private_segment_size 0
		.amdhsa_uses_dynamic_stack 0
		.amdhsa_system_sgpr_private_segment_wavefront_offset 0
		.amdhsa_system_sgpr_workgroup_id_x 1
		.amdhsa_system_sgpr_workgroup_id_y 0
		.amdhsa_system_sgpr_workgroup_id_z 0
		.amdhsa_system_sgpr_workgroup_info 0
		.amdhsa_system_vgpr_workitem_id 2
		.amdhsa_next_free_vgpr 65
		.amdhsa_next_free_sgpr 54
		.amdhsa_accum_offset 68
		.amdhsa_reserve_vcc 1
		.amdhsa_reserve_flat_scratch 0
		.amdhsa_float_round_mode_32 0
		.amdhsa_float_round_mode_16_64 0
		.amdhsa_float_denorm_mode_32 3
		.amdhsa_float_denorm_mode_16_64 3
		.amdhsa_dx10_clamp 1
		.amdhsa_ieee_mode 1
		.amdhsa_fp16_overflow 0
		.amdhsa_tg_split 0
		.amdhsa_exception_fp_ieee_invalid_op 0
		.amdhsa_exception_fp_denorm_src 0
		.amdhsa_exception_fp_ieee_div_zero 0
		.amdhsa_exception_fp_ieee_overflow 0
		.amdhsa_exception_fp_ieee_underflow 0
		.amdhsa_exception_fp_ieee_inexact 0
		.amdhsa_exception_int_div_zero 0
	.end_amdhsa_kernel
	.section	.text._ZN7rocprim17ROCPRIM_400000_NS6detail17trampoline_kernelINS0_14default_configENS1_35radix_sort_onesweep_config_selectorIflEEZZNS1_29radix_sort_onesweep_iterationIS3_Lb0EPfS7_N6thrust23THRUST_200600_302600_NS10device_ptrIlEESB_jNS0_19identity_decomposerENS1_16block_id_wrapperIjLb0EEEEE10hipError_tT1_PNSt15iterator_traitsISG_E10value_typeET2_T3_PNSH_ISM_E10value_typeET4_T5_PSR_SS_PNS1_23onesweep_lookback_stateEbbT6_jjT7_P12ihipStream_tbENKUlT_T0_SG_SL_E_clIS7_S7_PlSB_EEDaSZ_S10_SG_SL_EUlSZ_E_NS1_11comp_targetILNS1_3genE4ELNS1_11target_archE910ELNS1_3gpuE8ELNS1_3repE0EEENS1_47radix_sort_onesweep_sort_config_static_selectorELNS0_4arch9wavefront6targetE1EEEvSG_,"axG",@progbits,_ZN7rocprim17ROCPRIM_400000_NS6detail17trampoline_kernelINS0_14default_configENS1_35radix_sort_onesweep_config_selectorIflEEZZNS1_29radix_sort_onesweep_iterationIS3_Lb0EPfS7_N6thrust23THRUST_200600_302600_NS10device_ptrIlEESB_jNS0_19identity_decomposerENS1_16block_id_wrapperIjLb0EEEEE10hipError_tT1_PNSt15iterator_traitsISG_E10value_typeET2_T3_PNSH_ISM_E10value_typeET4_T5_PSR_SS_PNS1_23onesweep_lookback_stateEbbT6_jjT7_P12ihipStream_tbENKUlT_T0_SG_SL_E_clIS7_S7_PlSB_EEDaSZ_S10_SG_SL_EUlSZ_E_NS1_11comp_targetILNS1_3genE4ELNS1_11target_archE910ELNS1_3gpuE8ELNS1_3repE0EEENS1_47radix_sort_onesweep_sort_config_static_selectorELNS0_4arch9wavefront6targetE1EEEvSG_,comdat
.Lfunc_end1883:
	.size	_ZN7rocprim17ROCPRIM_400000_NS6detail17trampoline_kernelINS0_14default_configENS1_35radix_sort_onesweep_config_selectorIflEEZZNS1_29radix_sort_onesweep_iterationIS3_Lb0EPfS7_N6thrust23THRUST_200600_302600_NS10device_ptrIlEESB_jNS0_19identity_decomposerENS1_16block_id_wrapperIjLb0EEEEE10hipError_tT1_PNSt15iterator_traitsISG_E10value_typeET2_T3_PNSH_ISM_E10value_typeET4_T5_PSR_SS_PNS1_23onesweep_lookback_stateEbbT6_jjT7_P12ihipStream_tbENKUlT_T0_SG_SL_E_clIS7_S7_PlSB_EEDaSZ_S10_SG_SL_EUlSZ_E_NS1_11comp_targetILNS1_3genE4ELNS1_11target_archE910ELNS1_3gpuE8ELNS1_3repE0EEENS1_47radix_sort_onesweep_sort_config_static_selectorELNS0_4arch9wavefront6targetE1EEEvSG_, .Lfunc_end1883-_ZN7rocprim17ROCPRIM_400000_NS6detail17trampoline_kernelINS0_14default_configENS1_35radix_sort_onesweep_config_selectorIflEEZZNS1_29radix_sort_onesweep_iterationIS3_Lb0EPfS7_N6thrust23THRUST_200600_302600_NS10device_ptrIlEESB_jNS0_19identity_decomposerENS1_16block_id_wrapperIjLb0EEEEE10hipError_tT1_PNSt15iterator_traitsISG_E10value_typeET2_T3_PNSH_ISM_E10value_typeET4_T5_PSR_SS_PNS1_23onesweep_lookback_stateEbbT6_jjT7_P12ihipStream_tbENKUlT_T0_SG_SL_E_clIS7_S7_PlSB_EEDaSZ_S10_SG_SL_EUlSZ_E_NS1_11comp_targetILNS1_3genE4ELNS1_11target_archE910ELNS1_3gpuE8ELNS1_3repE0EEENS1_47radix_sort_onesweep_sort_config_static_selectorELNS0_4arch9wavefront6targetE1EEEvSG_
                                        ; -- End function
	.section	.AMDGPU.csdata,"",@progbits
; Kernel info:
; codeLenInByte = 13444
; NumSgprs: 58
; NumVgprs: 65
; NumAgprs: 0
; TotalNumVgprs: 65
; ScratchSize: 0
; MemoryBound: 0
; FloatMode: 240
; IeeeMode: 1
; LDSByteSize: 20552 bytes/workgroup (compile time only)
; SGPRBlocks: 7
; VGPRBlocks: 8
; NumSGPRsForWavesPerEU: 58
; NumVGPRsForWavesPerEU: 65
; AccumOffset: 68
; Occupancy: 7
; WaveLimiterHint : 1
; COMPUTE_PGM_RSRC2:SCRATCH_EN: 0
; COMPUTE_PGM_RSRC2:USER_SGPR: 6
; COMPUTE_PGM_RSRC2:TRAP_HANDLER: 0
; COMPUTE_PGM_RSRC2:TGID_X_EN: 1
; COMPUTE_PGM_RSRC2:TGID_Y_EN: 0
; COMPUTE_PGM_RSRC2:TGID_Z_EN: 0
; COMPUTE_PGM_RSRC2:TIDIG_COMP_CNT: 2
; COMPUTE_PGM_RSRC3_GFX90A:ACCUM_OFFSET: 16
; COMPUTE_PGM_RSRC3_GFX90A:TG_SPLIT: 0
	.section	.text._ZN7rocprim17ROCPRIM_400000_NS6detail17trampoline_kernelINS0_14default_configENS1_35radix_sort_onesweep_config_selectorIflEEZZNS1_29radix_sort_onesweep_iterationIS3_Lb0EPfS7_N6thrust23THRUST_200600_302600_NS10device_ptrIlEESB_jNS0_19identity_decomposerENS1_16block_id_wrapperIjLb0EEEEE10hipError_tT1_PNSt15iterator_traitsISG_E10value_typeET2_T3_PNSH_ISM_E10value_typeET4_T5_PSR_SS_PNS1_23onesweep_lookback_stateEbbT6_jjT7_P12ihipStream_tbENKUlT_T0_SG_SL_E_clIS7_S7_PlSB_EEDaSZ_S10_SG_SL_EUlSZ_E_NS1_11comp_targetILNS1_3genE3ELNS1_11target_archE908ELNS1_3gpuE7ELNS1_3repE0EEENS1_47radix_sort_onesweep_sort_config_static_selectorELNS0_4arch9wavefront6targetE1EEEvSG_,"axG",@progbits,_ZN7rocprim17ROCPRIM_400000_NS6detail17trampoline_kernelINS0_14default_configENS1_35radix_sort_onesweep_config_selectorIflEEZZNS1_29radix_sort_onesweep_iterationIS3_Lb0EPfS7_N6thrust23THRUST_200600_302600_NS10device_ptrIlEESB_jNS0_19identity_decomposerENS1_16block_id_wrapperIjLb0EEEEE10hipError_tT1_PNSt15iterator_traitsISG_E10value_typeET2_T3_PNSH_ISM_E10value_typeET4_T5_PSR_SS_PNS1_23onesweep_lookback_stateEbbT6_jjT7_P12ihipStream_tbENKUlT_T0_SG_SL_E_clIS7_S7_PlSB_EEDaSZ_S10_SG_SL_EUlSZ_E_NS1_11comp_targetILNS1_3genE3ELNS1_11target_archE908ELNS1_3gpuE7ELNS1_3repE0EEENS1_47radix_sort_onesweep_sort_config_static_selectorELNS0_4arch9wavefront6targetE1EEEvSG_,comdat
	.protected	_ZN7rocprim17ROCPRIM_400000_NS6detail17trampoline_kernelINS0_14default_configENS1_35radix_sort_onesweep_config_selectorIflEEZZNS1_29radix_sort_onesweep_iterationIS3_Lb0EPfS7_N6thrust23THRUST_200600_302600_NS10device_ptrIlEESB_jNS0_19identity_decomposerENS1_16block_id_wrapperIjLb0EEEEE10hipError_tT1_PNSt15iterator_traitsISG_E10value_typeET2_T3_PNSH_ISM_E10value_typeET4_T5_PSR_SS_PNS1_23onesweep_lookback_stateEbbT6_jjT7_P12ihipStream_tbENKUlT_T0_SG_SL_E_clIS7_S7_PlSB_EEDaSZ_S10_SG_SL_EUlSZ_E_NS1_11comp_targetILNS1_3genE3ELNS1_11target_archE908ELNS1_3gpuE7ELNS1_3repE0EEENS1_47radix_sort_onesweep_sort_config_static_selectorELNS0_4arch9wavefront6targetE1EEEvSG_ ; -- Begin function _ZN7rocprim17ROCPRIM_400000_NS6detail17trampoline_kernelINS0_14default_configENS1_35radix_sort_onesweep_config_selectorIflEEZZNS1_29radix_sort_onesweep_iterationIS3_Lb0EPfS7_N6thrust23THRUST_200600_302600_NS10device_ptrIlEESB_jNS0_19identity_decomposerENS1_16block_id_wrapperIjLb0EEEEE10hipError_tT1_PNSt15iterator_traitsISG_E10value_typeET2_T3_PNSH_ISM_E10value_typeET4_T5_PSR_SS_PNS1_23onesweep_lookback_stateEbbT6_jjT7_P12ihipStream_tbENKUlT_T0_SG_SL_E_clIS7_S7_PlSB_EEDaSZ_S10_SG_SL_EUlSZ_E_NS1_11comp_targetILNS1_3genE3ELNS1_11target_archE908ELNS1_3gpuE7ELNS1_3repE0EEENS1_47radix_sort_onesweep_sort_config_static_selectorELNS0_4arch9wavefront6targetE1EEEvSG_
	.globl	_ZN7rocprim17ROCPRIM_400000_NS6detail17trampoline_kernelINS0_14default_configENS1_35radix_sort_onesweep_config_selectorIflEEZZNS1_29radix_sort_onesweep_iterationIS3_Lb0EPfS7_N6thrust23THRUST_200600_302600_NS10device_ptrIlEESB_jNS0_19identity_decomposerENS1_16block_id_wrapperIjLb0EEEEE10hipError_tT1_PNSt15iterator_traitsISG_E10value_typeET2_T3_PNSH_ISM_E10value_typeET4_T5_PSR_SS_PNS1_23onesweep_lookback_stateEbbT6_jjT7_P12ihipStream_tbENKUlT_T0_SG_SL_E_clIS7_S7_PlSB_EEDaSZ_S10_SG_SL_EUlSZ_E_NS1_11comp_targetILNS1_3genE3ELNS1_11target_archE908ELNS1_3gpuE7ELNS1_3repE0EEENS1_47radix_sort_onesweep_sort_config_static_selectorELNS0_4arch9wavefront6targetE1EEEvSG_
	.p2align	8
	.type	_ZN7rocprim17ROCPRIM_400000_NS6detail17trampoline_kernelINS0_14default_configENS1_35radix_sort_onesweep_config_selectorIflEEZZNS1_29radix_sort_onesweep_iterationIS3_Lb0EPfS7_N6thrust23THRUST_200600_302600_NS10device_ptrIlEESB_jNS0_19identity_decomposerENS1_16block_id_wrapperIjLb0EEEEE10hipError_tT1_PNSt15iterator_traitsISG_E10value_typeET2_T3_PNSH_ISM_E10value_typeET4_T5_PSR_SS_PNS1_23onesweep_lookback_stateEbbT6_jjT7_P12ihipStream_tbENKUlT_T0_SG_SL_E_clIS7_S7_PlSB_EEDaSZ_S10_SG_SL_EUlSZ_E_NS1_11comp_targetILNS1_3genE3ELNS1_11target_archE908ELNS1_3gpuE7ELNS1_3repE0EEENS1_47radix_sort_onesweep_sort_config_static_selectorELNS0_4arch9wavefront6targetE1EEEvSG_,@function
_ZN7rocprim17ROCPRIM_400000_NS6detail17trampoline_kernelINS0_14default_configENS1_35radix_sort_onesweep_config_selectorIflEEZZNS1_29radix_sort_onesweep_iterationIS3_Lb0EPfS7_N6thrust23THRUST_200600_302600_NS10device_ptrIlEESB_jNS0_19identity_decomposerENS1_16block_id_wrapperIjLb0EEEEE10hipError_tT1_PNSt15iterator_traitsISG_E10value_typeET2_T3_PNSH_ISM_E10value_typeET4_T5_PSR_SS_PNS1_23onesweep_lookback_stateEbbT6_jjT7_P12ihipStream_tbENKUlT_T0_SG_SL_E_clIS7_S7_PlSB_EEDaSZ_S10_SG_SL_EUlSZ_E_NS1_11comp_targetILNS1_3genE3ELNS1_11target_archE908ELNS1_3gpuE7ELNS1_3repE0EEENS1_47radix_sort_onesweep_sort_config_static_selectorELNS0_4arch9wavefront6targetE1EEEvSG_: ; @_ZN7rocprim17ROCPRIM_400000_NS6detail17trampoline_kernelINS0_14default_configENS1_35radix_sort_onesweep_config_selectorIflEEZZNS1_29radix_sort_onesweep_iterationIS3_Lb0EPfS7_N6thrust23THRUST_200600_302600_NS10device_ptrIlEESB_jNS0_19identity_decomposerENS1_16block_id_wrapperIjLb0EEEEE10hipError_tT1_PNSt15iterator_traitsISG_E10value_typeET2_T3_PNSH_ISM_E10value_typeET4_T5_PSR_SS_PNS1_23onesweep_lookback_stateEbbT6_jjT7_P12ihipStream_tbENKUlT_T0_SG_SL_E_clIS7_S7_PlSB_EEDaSZ_S10_SG_SL_EUlSZ_E_NS1_11comp_targetILNS1_3genE3ELNS1_11target_archE908ELNS1_3gpuE7ELNS1_3repE0EEENS1_47radix_sort_onesweep_sort_config_static_selectorELNS0_4arch9wavefront6targetE1EEEvSG_
; %bb.0:
	.section	.rodata,"a",@progbits
	.p2align	6, 0x0
	.amdhsa_kernel _ZN7rocprim17ROCPRIM_400000_NS6detail17trampoline_kernelINS0_14default_configENS1_35radix_sort_onesweep_config_selectorIflEEZZNS1_29radix_sort_onesweep_iterationIS3_Lb0EPfS7_N6thrust23THRUST_200600_302600_NS10device_ptrIlEESB_jNS0_19identity_decomposerENS1_16block_id_wrapperIjLb0EEEEE10hipError_tT1_PNSt15iterator_traitsISG_E10value_typeET2_T3_PNSH_ISM_E10value_typeET4_T5_PSR_SS_PNS1_23onesweep_lookback_stateEbbT6_jjT7_P12ihipStream_tbENKUlT_T0_SG_SL_E_clIS7_S7_PlSB_EEDaSZ_S10_SG_SL_EUlSZ_E_NS1_11comp_targetILNS1_3genE3ELNS1_11target_archE908ELNS1_3gpuE7ELNS1_3repE0EEENS1_47radix_sort_onesweep_sort_config_static_selectorELNS0_4arch9wavefront6targetE1EEEvSG_
		.amdhsa_group_segment_fixed_size 0
		.amdhsa_private_segment_fixed_size 0
		.amdhsa_kernarg_size 88
		.amdhsa_user_sgpr_count 6
		.amdhsa_user_sgpr_private_segment_buffer 1
		.amdhsa_user_sgpr_dispatch_ptr 0
		.amdhsa_user_sgpr_queue_ptr 0
		.amdhsa_user_sgpr_kernarg_segment_ptr 1
		.amdhsa_user_sgpr_dispatch_id 0
		.amdhsa_user_sgpr_flat_scratch_init 0
		.amdhsa_user_sgpr_kernarg_preload_length 0
		.amdhsa_user_sgpr_kernarg_preload_offset 0
		.amdhsa_user_sgpr_private_segment_size 0
		.amdhsa_uses_dynamic_stack 0
		.amdhsa_system_sgpr_private_segment_wavefront_offset 0
		.amdhsa_system_sgpr_workgroup_id_x 1
		.amdhsa_system_sgpr_workgroup_id_y 0
		.amdhsa_system_sgpr_workgroup_id_z 0
		.amdhsa_system_sgpr_workgroup_info 0
		.amdhsa_system_vgpr_workitem_id 0
		.amdhsa_next_free_vgpr 1
		.amdhsa_next_free_sgpr 0
		.amdhsa_accum_offset 4
		.amdhsa_reserve_vcc 0
		.amdhsa_reserve_flat_scratch 0
		.amdhsa_float_round_mode_32 0
		.amdhsa_float_round_mode_16_64 0
		.amdhsa_float_denorm_mode_32 3
		.amdhsa_float_denorm_mode_16_64 3
		.amdhsa_dx10_clamp 1
		.amdhsa_ieee_mode 1
		.amdhsa_fp16_overflow 0
		.amdhsa_tg_split 0
		.amdhsa_exception_fp_ieee_invalid_op 0
		.amdhsa_exception_fp_denorm_src 0
		.amdhsa_exception_fp_ieee_div_zero 0
		.amdhsa_exception_fp_ieee_overflow 0
		.amdhsa_exception_fp_ieee_underflow 0
		.amdhsa_exception_fp_ieee_inexact 0
		.amdhsa_exception_int_div_zero 0
	.end_amdhsa_kernel
	.section	.text._ZN7rocprim17ROCPRIM_400000_NS6detail17trampoline_kernelINS0_14default_configENS1_35radix_sort_onesweep_config_selectorIflEEZZNS1_29radix_sort_onesweep_iterationIS3_Lb0EPfS7_N6thrust23THRUST_200600_302600_NS10device_ptrIlEESB_jNS0_19identity_decomposerENS1_16block_id_wrapperIjLb0EEEEE10hipError_tT1_PNSt15iterator_traitsISG_E10value_typeET2_T3_PNSH_ISM_E10value_typeET4_T5_PSR_SS_PNS1_23onesweep_lookback_stateEbbT6_jjT7_P12ihipStream_tbENKUlT_T0_SG_SL_E_clIS7_S7_PlSB_EEDaSZ_S10_SG_SL_EUlSZ_E_NS1_11comp_targetILNS1_3genE3ELNS1_11target_archE908ELNS1_3gpuE7ELNS1_3repE0EEENS1_47radix_sort_onesweep_sort_config_static_selectorELNS0_4arch9wavefront6targetE1EEEvSG_,"axG",@progbits,_ZN7rocprim17ROCPRIM_400000_NS6detail17trampoline_kernelINS0_14default_configENS1_35radix_sort_onesweep_config_selectorIflEEZZNS1_29radix_sort_onesweep_iterationIS3_Lb0EPfS7_N6thrust23THRUST_200600_302600_NS10device_ptrIlEESB_jNS0_19identity_decomposerENS1_16block_id_wrapperIjLb0EEEEE10hipError_tT1_PNSt15iterator_traitsISG_E10value_typeET2_T3_PNSH_ISM_E10value_typeET4_T5_PSR_SS_PNS1_23onesweep_lookback_stateEbbT6_jjT7_P12ihipStream_tbENKUlT_T0_SG_SL_E_clIS7_S7_PlSB_EEDaSZ_S10_SG_SL_EUlSZ_E_NS1_11comp_targetILNS1_3genE3ELNS1_11target_archE908ELNS1_3gpuE7ELNS1_3repE0EEENS1_47radix_sort_onesweep_sort_config_static_selectorELNS0_4arch9wavefront6targetE1EEEvSG_,comdat
.Lfunc_end1884:
	.size	_ZN7rocprim17ROCPRIM_400000_NS6detail17trampoline_kernelINS0_14default_configENS1_35radix_sort_onesweep_config_selectorIflEEZZNS1_29radix_sort_onesweep_iterationIS3_Lb0EPfS7_N6thrust23THRUST_200600_302600_NS10device_ptrIlEESB_jNS0_19identity_decomposerENS1_16block_id_wrapperIjLb0EEEEE10hipError_tT1_PNSt15iterator_traitsISG_E10value_typeET2_T3_PNSH_ISM_E10value_typeET4_T5_PSR_SS_PNS1_23onesweep_lookback_stateEbbT6_jjT7_P12ihipStream_tbENKUlT_T0_SG_SL_E_clIS7_S7_PlSB_EEDaSZ_S10_SG_SL_EUlSZ_E_NS1_11comp_targetILNS1_3genE3ELNS1_11target_archE908ELNS1_3gpuE7ELNS1_3repE0EEENS1_47radix_sort_onesweep_sort_config_static_selectorELNS0_4arch9wavefront6targetE1EEEvSG_, .Lfunc_end1884-_ZN7rocprim17ROCPRIM_400000_NS6detail17trampoline_kernelINS0_14default_configENS1_35radix_sort_onesweep_config_selectorIflEEZZNS1_29radix_sort_onesweep_iterationIS3_Lb0EPfS7_N6thrust23THRUST_200600_302600_NS10device_ptrIlEESB_jNS0_19identity_decomposerENS1_16block_id_wrapperIjLb0EEEEE10hipError_tT1_PNSt15iterator_traitsISG_E10value_typeET2_T3_PNSH_ISM_E10value_typeET4_T5_PSR_SS_PNS1_23onesweep_lookback_stateEbbT6_jjT7_P12ihipStream_tbENKUlT_T0_SG_SL_E_clIS7_S7_PlSB_EEDaSZ_S10_SG_SL_EUlSZ_E_NS1_11comp_targetILNS1_3genE3ELNS1_11target_archE908ELNS1_3gpuE7ELNS1_3repE0EEENS1_47radix_sort_onesweep_sort_config_static_selectorELNS0_4arch9wavefront6targetE1EEEvSG_
                                        ; -- End function
	.section	.AMDGPU.csdata,"",@progbits
; Kernel info:
; codeLenInByte = 0
; NumSgprs: 4
; NumVgprs: 0
; NumAgprs: 0
; TotalNumVgprs: 0
; ScratchSize: 0
; MemoryBound: 0
; FloatMode: 240
; IeeeMode: 1
; LDSByteSize: 0 bytes/workgroup (compile time only)
; SGPRBlocks: 0
; VGPRBlocks: 0
; NumSGPRsForWavesPerEU: 4
; NumVGPRsForWavesPerEU: 1
; AccumOffset: 4
; Occupancy: 8
; WaveLimiterHint : 0
; COMPUTE_PGM_RSRC2:SCRATCH_EN: 0
; COMPUTE_PGM_RSRC2:USER_SGPR: 6
; COMPUTE_PGM_RSRC2:TRAP_HANDLER: 0
; COMPUTE_PGM_RSRC2:TGID_X_EN: 1
; COMPUTE_PGM_RSRC2:TGID_Y_EN: 0
; COMPUTE_PGM_RSRC2:TGID_Z_EN: 0
; COMPUTE_PGM_RSRC2:TIDIG_COMP_CNT: 0
; COMPUTE_PGM_RSRC3_GFX90A:ACCUM_OFFSET: 0
; COMPUTE_PGM_RSRC3_GFX90A:TG_SPLIT: 0
	.section	.text._ZN7rocprim17ROCPRIM_400000_NS6detail17trampoline_kernelINS0_14default_configENS1_35radix_sort_onesweep_config_selectorIflEEZZNS1_29radix_sort_onesweep_iterationIS3_Lb0EPfS7_N6thrust23THRUST_200600_302600_NS10device_ptrIlEESB_jNS0_19identity_decomposerENS1_16block_id_wrapperIjLb0EEEEE10hipError_tT1_PNSt15iterator_traitsISG_E10value_typeET2_T3_PNSH_ISM_E10value_typeET4_T5_PSR_SS_PNS1_23onesweep_lookback_stateEbbT6_jjT7_P12ihipStream_tbENKUlT_T0_SG_SL_E_clIS7_S7_PlSB_EEDaSZ_S10_SG_SL_EUlSZ_E_NS1_11comp_targetILNS1_3genE10ELNS1_11target_archE1201ELNS1_3gpuE5ELNS1_3repE0EEENS1_47radix_sort_onesweep_sort_config_static_selectorELNS0_4arch9wavefront6targetE1EEEvSG_,"axG",@progbits,_ZN7rocprim17ROCPRIM_400000_NS6detail17trampoline_kernelINS0_14default_configENS1_35radix_sort_onesweep_config_selectorIflEEZZNS1_29radix_sort_onesweep_iterationIS3_Lb0EPfS7_N6thrust23THRUST_200600_302600_NS10device_ptrIlEESB_jNS0_19identity_decomposerENS1_16block_id_wrapperIjLb0EEEEE10hipError_tT1_PNSt15iterator_traitsISG_E10value_typeET2_T3_PNSH_ISM_E10value_typeET4_T5_PSR_SS_PNS1_23onesweep_lookback_stateEbbT6_jjT7_P12ihipStream_tbENKUlT_T0_SG_SL_E_clIS7_S7_PlSB_EEDaSZ_S10_SG_SL_EUlSZ_E_NS1_11comp_targetILNS1_3genE10ELNS1_11target_archE1201ELNS1_3gpuE5ELNS1_3repE0EEENS1_47radix_sort_onesweep_sort_config_static_selectorELNS0_4arch9wavefront6targetE1EEEvSG_,comdat
	.protected	_ZN7rocprim17ROCPRIM_400000_NS6detail17trampoline_kernelINS0_14default_configENS1_35radix_sort_onesweep_config_selectorIflEEZZNS1_29radix_sort_onesweep_iterationIS3_Lb0EPfS7_N6thrust23THRUST_200600_302600_NS10device_ptrIlEESB_jNS0_19identity_decomposerENS1_16block_id_wrapperIjLb0EEEEE10hipError_tT1_PNSt15iterator_traitsISG_E10value_typeET2_T3_PNSH_ISM_E10value_typeET4_T5_PSR_SS_PNS1_23onesweep_lookback_stateEbbT6_jjT7_P12ihipStream_tbENKUlT_T0_SG_SL_E_clIS7_S7_PlSB_EEDaSZ_S10_SG_SL_EUlSZ_E_NS1_11comp_targetILNS1_3genE10ELNS1_11target_archE1201ELNS1_3gpuE5ELNS1_3repE0EEENS1_47radix_sort_onesweep_sort_config_static_selectorELNS0_4arch9wavefront6targetE1EEEvSG_ ; -- Begin function _ZN7rocprim17ROCPRIM_400000_NS6detail17trampoline_kernelINS0_14default_configENS1_35radix_sort_onesweep_config_selectorIflEEZZNS1_29radix_sort_onesweep_iterationIS3_Lb0EPfS7_N6thrust23THRUST_200600_302600_NS10device_ptrIlEESB_jNS0_19identity_decomposerENS1_16block_id_wrapperIjLb0EEEEE10hipError_tT1_PNSt15iterator_traitsISG_E10value_typeET2_T3_PNSH_ISM_E10value_typeET4_T5_PSR_SS_PNS1_23onesweep_lookback_stateEbbT6_jjT7_P12ihipStream_tbENKUlT_T0_SG_SL_E_clIS7_S7_PlSB_EEDaSZ_S10_SG_SL_EUlSZ_E_NS1_11comp_targetILNS1_3genE10ELNS1_11target_archE1201ELNS1_3gpuE5ELNS1_3repE0EEENS1_47radix_sort_onesweep_sort_config_static_selectorELNS0_4arch9wavefront6targetE1EEEvSG_
	.globl	_ZN7rocprim17ROCPRIM_400000_NS6detail17trampoline_kernelINS0_14default_configENS1_35radix_sort_onesweep_config_selectorIflEEZZNS1_29radix_sort_onesweep_iterationIS3_Lb0EPfS7_N6thrust23THRUST_200600_302600_NS10device_ptrIlEESB_jNS0_19identity_decomposerENS1_16block_id_wrapperIjLb0EEEEE10hipError_tT1_PNSt15iterator_traitsISG_E10value_typeET2_T3_PNSH_ISM_E10value_typeET4_T5_PSR_SS_PNS1_23onesweep_lookback_stateEbbT6_jjT7_P12ihipStream_tbENKUlT_T0_SG_SL_E_clIS7_S7_PlSB_EEDaSZ_S10_SG_SL_EUlSZ_E_NS1_11comp_targetILNS1_3genE10ELNS1_11target_archE1201ELNS1_3gpuE5ELNS1_3repE0EEENS1_47radix_sort_onesweep_sort_config_static_selectorELNS0_4arch9wavefront6targetE1EEEvSG_
	.p2align	8
	.type	_ZN7rocprim17ROCPRIM_400000_NS6detail17trampoline_kernelINS0_14default_configENS1_35radix_sort_onesweep_config_selectorIflEEZZNS1_29radix_sort_onesweep_iterationIS3_Lb0EPfS7_N6thrust23THRUST_200600_302600_NS10device_ptrIlEESB_jNS0_19identity_decomposerENS1_16block_id_wrapperIjLb0EEEEE10hipError_tT1_PNSt15iterator_traitsISG_E10value_typeET2_T3_PNSH_ISM_E10value_typeET4_T5_PSR_SS_PNS1_23onesweep_lookback_stateEbbT6_jjT7_P12ihipStream_tbENKUlT_T0_SG_SL_E_clIS7_S7_PlSB_EEDaSZ_S10_SG_SL_EUlSZ_E_NS1_11comp_targetILNS1_3genE10ELNS1_11target_archE1201ELNS1_3gpuE5ELNS1_3repE0EEENS1_47radix_sort_onesweep_sort_config_static_selectorELNS0_4arch9wavefront6targetE1EEEvSG_,@function
_ZN7rocprim17ROCPRIM_400000_NS6detail17trampoline_kernelINS0_14default_configENS1_35radix_sort_onesweep_config_selectorIflEEZZNS1_29radix_sort_onesweep_iterationIS3_Lb0EPfS7_N6thrust23THRUST_200600_302600_NS10device_ptrIlEESB_jNS0_19identity_decomposerENS1_16block_id_wrapperIjLb0EEEEE10hipError_tT1_PNSt15iterator_traitsISG_E10value_typeET2_T3_PNSH_ISM_E10value_typeET4_T5_PSR_SS_PNS1_23onesweep_lookback_stateEbbT6_jjT7_P12ihipStream_tbENKUlT_T0_SG_SL_E_clIS7_S7_PlSB_EEDaSZ_S10_SG_SL_EUlSZ_E_NS1_11comp_targetILNS1_3genE10ELNS1_11target_archE1201ELNS1_3gpuE5ELNS1_3repE0EEENS1_47radix_sort_onesweep_sort_config_static_selectorELNS0_4arch9wavefront6targetE1EEEvSG_: ; @_ZN7rocprim17ROCPRIM_400000_NS6detail17trampoline_kernelINS0_14default_configENS1_35radix_sort_onesweep_config_selectorIflEEZZNS1_29radix_sort_onesweep_iterationIS3_Lb0EPfS7_N6thrust23THRUST_200600_302600_NS10device_ptrIlEESB_jNS0_19identity_decomposerENS1_16block_id_wrapperIjLb0EEEEE10hipError_tT1_PNSt15iterator_traitsISG_E10value_typeET2_T3_PNSH_ISM_E10value_typeET4_T5_PSR_SS_PNS1_23onesweep_lookback_stateEbbT6_jjT7_P12ihipStream_tbENKUlT_T0_SG_SL_E_clIS7_S7_PlSB_EEDaSZ_S10_SG_SL_EUlSZ_E_NS1_11comp_targetILNS1_3genE10ELNS1_11target_archE1201ELNS1_3gpuE5ELNS1_3repE0EEENS1_47radix_sort_onesweep_sort_config_static_selectorELNS0_4arch9wavefront6targetE1EEEvSG_
; %bb.0:
	.section	.rodata,"a",@progbits
	.p2align	6, 0x0
	.amdhsa_kernel _ZN7rocprim17ROCPRIM_400000_NS6detail17trampoline_kernelINS0_14default_configENS1_35radix_sort_onesweep_config_selectorIflEEZZNS1_29radix_sort_onesweep_iterationIS3_Lb0EPfS7_N6thrust23THRUST_200600_302600_NS10device_ptrIlEESB_jNS0_19identity_decomposerENS1_16block_id_wrapperIjLb0EEEEE10hipError_tT1_PNSt15iterator_traitsISG_E10value_typeET2_T3_PNSH_ISM_E10value_typeET4_T5_PSR_SS_PNS1_23onesweep_lookback_stateEbbT6_jjT7_P12ihipStream_tbENKUlT_T0_SG_SL_E_clIS7_S7_PlSB_EEDaSZ_S10_SG_SL_EUlSZ_E_NS1_11comp_targetILNS1_3genE10ELNS1_11target_archE1201ELNS1_3gpuE5ELNS1_3repE0EEENS1_47radix_sort_onesweep_sort_config_static_selectorELNS0_4arch9wavefront6targetE1EEEvSG_
		.amdhsa_group_segment_fixed_size 0
		.amdhsa_private_segment_fixed_size 0
		.amdhsa_kernarg_size 88
		.amdhsa_user_sgpr_count 6
		.amdhsa_user_sgpr_private_segment_buffer 1
		.amdhsa_user_sgpr_dispatch_ptr 0
		.amdhsa_user_sgpr_queue_ptr 0
		.amdhsa_user_sgpr_kernarg_segment_ptr 1
		.amdhsa_user_sgpr_dispatch_id 0
		.amdhsa_user_sgpr_flat_scratch_init 0
		.amdhsa_user_sgpr_kernarg_preload_length 0
		.amdhsa_user_sgpr_kernarg_preload_offset 0
		.amdhsa_user_sgpr_private_segment_size 0
		.amdhsa_uses_dynamic_stack 0
		.amdhsa_system_sgpr_private_segment_wavefront_offset 0
		.amdhsa_system_sgpr_workgroup_id_x 1
		.amdhsa_system_sgpr_workgroup_id_y 0
		.amdhsa_system_sgpr_workgroup_id_z 0
		.amdhsa_system_sgpr_workgroup_info 0
		.amdhsa_system_vgpr_workitem_id 0
		.amdhsa_next_free_vgpr 1
		.amdhsa_next_free_sgpr 0
		.amdhsa_accum_offset 4
		.amdhsa_reserve_vcc 0
		.amdhsa_reserve_flat_scratch 0
		.amdhsa_float_round_mode_32 0
		.amdhsa_float_round_mode_16_64 0
		.amdhsa_float_denorm_mode_32 3
		.amdhsa_float_denorm_mode_16_64 3
		.amdhsa_dx10_clamp 1
		.amdhsa_ieee_mode 1
		.amdhsa_fp16_overflow 0
		.amdhsa_tg_split 0
		.amdhsa_exception_fp_ieee_invalid_op 0
		.amdhsa_exception_fp_denorm_src 0
		.amdhsa_exception_fp_ieee_div_zero 0
		.amdhsa_exception_fp_ieee_overflow 0
		.amdhsa_exception_fp_ieee_underflow 0
		.amdhsa_exception_fp_ieee_inexact 0
		.amdhsa_exception_int_div_zero 0
	.end_amdhsa_kernel
	.section	.text._ZN7rocprim17ROCPRIM_400000_NS6detail17trampoline_kernelINS0_14default_configENS1_35radix_sort_onesweep_config_selectorIflEEZZNS1_29radix_sort_onesweep_iterationIS3_Lb0EPfS7_N6thrust23THRUST_200600_302600_NS10device_ptrIlEESB_jNS0_19identity_decomposerENS1_16block_id_wrapperIjLb0EEEEE10hipError_tT1_PNSt15iterator_traitsISG_E10value_typeET2_T3_PNSH_ISM_E10value_typeET4_T5_PSR_SS_PNS1_23onesweep_lookback_stateEbbT6_jjT7_P12ihipStream_tbENKUlT_T0_SG_SL_E_clIS7_S7_PlSB_EEDaSZ_S10_SG_SL_EUlSZ_E_NS1_11comp_targetILNS1_3genE10ELNS1_11target_archE1201ELNS1_3gpuE5ELNS1_3repE0EEENS1_47radix_sort_onesweep_sort_config_static_selectorELNS0_4arch9wavefront6targetE1EEEvSG_,"axG",@progbits,_ZN7rocprim17ROCPRIM_400000_NS6detail17trampoline_kernelINS0_14default_configENS1_35radix_sort_onesweep_config_selectorIflEEZZNS1_29radix_sort_onesweep_iterationIS3_Lb0EPfS7_N6thrust23THRUST_200600_302600_NS10device_ptrIlEESB_jNS0_19identity_decomposerENS1_16block_id_wrapperIjLb0EEEEE10hipError_tT1_PNSt15iterator_traitsISG_E10value_typeET2_T3_PNSH_ISM_E10value_typeET4_T5_PSR_SS_PNS1_23onesweep_lookback_stateEbbT6_jjT7_P12ihipStream_tbENKUlT_T0_SG_SL_E_clIS7_S7_PlSB_EEDaSZ_S10_SG_SL_EUlSZ_E_NS1_11comp_targetILNS1_3genE10ELNS1_11target_archE1201ELNS1_3gpuE5ELNS1_3repE0EEENS1_47radix_sort_onesweep_sort_config_static_selectorELNS0_4arch9wavefront6targetE1EEEvSG_,comdat
.Lfunc_end1885:
	.size	_ZN7rocprim17ROCPRIM_400000_NS6detail17trampoline_kernelINS0_14default_configENS1_35radix_sort_onesweep_config_selectorIflEEZZNS1_29radix_sort_onesweep_iterationIS3_Lb0EPfS7_N6thrust23THRUST_200600_302600_NS10device_ptrIlEESB_jNS0_19identity_decomposerENS1_16block_id_wrapperIjLb0EEEEE10hipError_tT1_PNSt15iterator_traitsISG_E10value_typeET2_T3_PNSH_ISM_E10value_typeET4_T5_PSR_SS_PNS1_23onesweep_lookback_stateEbbT6_jjT7_P12ihipStream_tbENKUlT_T0_SG_SL_E_clIS7_S7_PlSB_EEDaSZ_S10_SG_SL_EUlSZ_E_NS1_11comp_targetILNS1_3genE10ELNS1_11target_archE1201ELNS1_3gpuE5ELNS1_3repE0EEENS1_47radix_sort_onesweep_sort_config_static_selectorELNS0_4arch9wavefront6targetE1EEEvSG_, .Lfunc_end1885-_ZN7rocprim17ROCPRIM_400000_NS6detail17trampoline_kernelINS0_14default_configENS1_35radix_sort_onesweep_config_selectorIflEEZZNS1_29radix_sort_onesweep_iterationIS3_Lb0EPfS7_N6thrust23THRUST_200600_302600_NS10device_ptrIlEESB_jNS0_19identity_decomposerENS1_16block_id_wrapperIjLb0EEEEE10hipError_tT1_PNSt15iterator_traitsISG_E10value_typeET2_T3_PNSH_ISM_E10value_typeET4_T5_PSR_SS_PNS1_23onesweep_lookback_stateEbbT6_jjT7_P12ihipStream_tbENKUlT_T0_SG_SL_E_clIS7_S7_PlSB_EEDaSZ_S10_SG_SL_EUlSZ_E_NS1_11comp_targetILNS1_3genE10ELNS1_11target_archE1201ELNS1_3gpuE5ELNS1_3repE0EEENS1_47radix_sort_onesweep_sort_config_static_selectorELNS0_4arch9wavefront6targetE1EEEvSG_
                                        ; -- End function
	.section	.AMDGPU.csdata,"",@progbits
; Kernel info:
; codeLenInByte = 0
; NumSgprs: 4
; NumVgprs: 0
; NumAgprs: 0
; TotalNumVgprs: 0
; ScratchSize: 0
; MemoryBound: 0
; FloatMode: 240
; IeeeMode: 1
; LDSByteSize: 0 bytes/workgroup (compile time only)
; SGPRBlocks: 0
; VGPRBlocks: 0
; NumSGPRsForWavesPerEU: 4
; NumVGPRsForWavesPerEU: 1
; AccumOffset: 4
; Occupancy: 8
; WaveLimiterHint : 0
; COMPUTE_PGM_RSRC2:SCRATCH_EN: 0
; COMPUTE_PGM_RSRC2:USER_SGPR: 6
; COMPUTE_PGM_RSRC2:TRAP_HANDLER: 0
; COMPUTE_PGM_RSRC2:TGID_X_EN: 1
; COMPUTE_PGM_RSRC2:TGID_Y_EN: 0
; COMPUTE_PGM_RSRC2:TGID_Z_EN: 0
; COMPUTE_PGM_RSRC2:TIDIG_COMP_CNT: 0
; COMPUTE_PGM_RSRC3_GFX90A:ACCUM_OFFSET: 0
; COMPUTE_PGM_RSRC3_GFX90A:TG_SPLIT: 0
	.section	.text._ZN7rocprim17ROCPRIM_400000_NS6detail17trampoline_kernelINS0_14default_configENS1_35radix_sort_onesweep_config_selectorIflEEZZNS1_29radix_sort_onesweep_iterationIS3_Lb0EPfS7_N6thrust23THRUST_200600_302600_NS10device_ptrIlEESB_jNS0_19identity_decomposerENS1_16block_id_wrapperIjLb0EEEEE10hipError_tT1_PNSt15iterator_traitsISG_E10value_typeET2_T3_PNSH_ISM_E10value_typeET4_T5_PSR_SS_PNS1_23onesweep_lookback_stateEbbT6_jjT7_P12ihipStream_tbENKUlT_T0_SG_SL_E_clIS7_S7_PlSB_EEDaSZ_S10_SG_SL_EUlSZ_E_NS1_11comp_targetILNS1_3genE9ELNS1_11target_archE1100ELNS1_3gpuE3ELNS1_3repE0EEENS1_47radix_sort_onesweep_sort_config_static_selectorELNS0_4arch9wavefront6targetE1EEEvSG_,"axG",@progbits,_ZN7rocprim17ROCPRIM_400000_NS6detail17trampoline_kernelINS0_14default_configENS1_35radix_sort_onesweep_config_selectorIflEEZZNS1_29radix_sort_onesweep_iterationIS3_Lb0EPfS7_N6thrust23THRUST_200600_302600_NS10device_ptrIlEESB_jNS0_19identity_decomposerENS1_16block_id_wrapperIjLb0EEEEE10hipError_tT1_PNSt15iterator_traitsISG_E10value_typeET2_T3_PNSH_ISM_E10value_typeET4_T5_PSR_SS_PNS1_23onesweep_lookback_stateEbbT6_jjT7_P12ihipStream_tbENKUlT_T0_SG_SL_E_clIS7_S7_PlSB_EEDaSZ_S10_SG_SL_EUlSZ_E_NS1_11comp_targetILNS1_3genE9ELNS1_11target_archE1100ELNS1_3gpuE3ELNS1_3repE0EEENS1_47radix_sort_onesweep_sort_config_static_selectorELNS0_4arch9wavefront6targetE1EEEvSG_,comdat
	.protected	_ZN7rocprim17ROCPRIM_400000_NS6detail17trampoline_kernelINS0_14default_configENS1_35radix_sort_onesweep_config_selectorIflEEZZNS1_29radix_sort_onesweep_iterationIS3_Lb0EPfS7_N6thrust23THRUST_200600_302600_NS10device_ptrIlEESB_jNS0_19identity_decomposerENS1_16block_id_wrapperIjLb0EEEEE10hipError_tT1_PNSt15iterator_traitsISG_E10value_typeET2_T3_PNSH_ISM_E10value_typeET4_T5_PSR_SS_PNS1_23onesweep_lookback_stateEbbT6_jjT7_P12ihipStream_tbENKUlT_T0_SG_SL_E_clIS7_S7_PlSB_EEDaSZ_S10_SG_SL_EUlSZ_E_NS1_11comp_targetILNS1_3genE9ELNS1_11target_archE1100ELNS1_3gpuE3ELNS1_3repE0EEENS1_47radix_sort_onesweep_sort_config_static_selectorELNS0_4arch9wavefront6targetE1EEEvSG_ ; -- Begin function _ZN7rocprim17ROCPRIM_400000_NS6detail17trampoline_kernelINS0_14default_configENS1_35radix_sort_onesweep_config_selectorIflEEZZNS1_29radix_sort_onesweep_iterationIS3_Lb0EPfS7_N6thrust23THRUST_200600_302600_NS10device_ptrIlEESB_jNS0_19identity_decomposerENS1_16block_id_wrapperIjLb0EEEEE10hipError_tT1_PNSt15iterator_traitsISG_E10value_typeET2_T3_PNSH_ISM_E10value_typeET4_T5_PSR_SS_PNS1_23onesweep_lookback_stateEbbT6_jjT7_P12ihipStream_tbENKUlT_T0_SG_SL_E_clIS7_S7_PlSB_EEDaSZ_S10_SG_SL_EUlSZ_E_NS1_11comp_targetILNS1_3genE9ELNS1_11target_archE1100ELNS1_3gpuE3ELNS1_3repE0EEENS1_47radix_sort_onesweep_sort_config_static_selectorELNS0_4arch9wavefront6targetE1EEEvSG_
	.globl	_ZN7rocprim17ROCPRIM_400000_NS6detail17trampoline_kernelINS0_14default_configENS1_35radix_sort_onesweep_config_selectorIflEEZZNS1_29radix_sort_onesweep_iterationIS3_Lb0EPfS7_N6thrust23THRUST_200600_302600_NS10device_ptrIlEESB_jNS0_19identity_decomposerENS1_16block_id_wrapperIjLb0EEEEE10hipError_tT1_PNSt15iterator_traitsISG_E10value_typeET2_T3_PNSH_ISM_E10value_typeET4_T5_PSR_SS_PNS1_23onesweep_lookback_stateEbbT6_jjT7_P12ihipStream_tbENKUlT_T0_SG_SL_E_clIS7_S7_PlSB_EEDaSZ_S10_SG_SL_EUlSZ_E_NS1_11comp_targetILNS1_3genE9ELNS1_11target_archE1100ELNS1_3gpuE3ELNS1_3repE0EEENS1_47radix_sort_onesweep_sort_config_static_selectorELNS0_4arch9wavefront6targetE1EEEvSG_
	.p2align	8
	.type	_ZN7rocprim17ROCPRIM_400000_NS6detail17trampoline_kernelINS0_14default_configENS1_35radix_sort_onesweep_config_selectorIflEEZZNS1_29radix_sort_onesweep_iterationIS3_Lb0EPfS7_N6thrust23THRUST_200600_302600_NS10device_ptrIlEESB_jNS0_19identity_decomposerENS1_16block_id_wrapperIjLb0EEEEE10hipError_tT1_PNSt15iterator_traitsISG_E10value_typeET2_T3_PNSH_ISM_E10value_typeET4_T5_PSR_SS_PNS1_23onesweep_lookback_stateEbbT6_jjT7_P12ihipStream_tbENKUlT_T0_SG_SL_E_clIS7_S7_PlSB_EEDaSZ_S10_SG_SL_EUlSZ_E_NS1_11comp_targetILNS1_3genE9ELNS1_11target_archE1100ELNS1_3gpuE3ELNS1_3repE0EEENS1_47radix_sort_onesweep_sort_config_static_selectorELNS0_4arch9wavefront6targetE1EEEvSG_,@function
_ZN7rocprim17ROCPRIM_400000_NS6detail17trampoline_kernelINS0_14default_configENS1_35radix_sort_onesweep_config_selectorIflEEZZNS1_29radix_sort_onesweep_iterationIS3_Lb0EPfS7_N6thrust23THRUST_200600_302600_NS10device_ptrIlEESB_jNS0_19identity_decomposerENS1_16block_id_wrapperIjLb0EEEEE10hipError_tT1_PNSt15iterator_traitsISG_E10value_typeET2_T3_PNSH_ISM_E10value_typeET4_T5_PSR_SS_PNS1_23onesweep_lookback_stateEbbT6_jjT7_P12ihipStream_tbENKUlT_T0_SG_SL_E_clIS7_S7_PlSB_EEDaSZ_S10_SG_SL_EUlSZ_E_NS1_11comp_targetILNS1_3genE9ELNS1_11target_archE1100ELNS1_3gpuE3ELNS1_3repE0EEENS1_47radix_sort_onesweep_sort_config_static_selectorELNS0_4arch9wavefront6targetE1EEEvSG_: ; @_ZN7rocprim17ROCPRIM_400000_NS6detail17trampoline_kernelINS0_14default_configENS1_35radix_sort_onesweep_config_selectorIflEEZZNS1_29radix_sort_onesweep_iterationIS3_Lb0EPfS7_N6thrust23THRUST_200600_302600_NS10device_ptrIlEESB_jNS0_19identity_decomposerENS1_16block_id_wrapperIjLb0EEEEE10hipError_tT1_PNSt15iterator_traitsISG_E10value_typeET2_T3_PNSH_ISM_E10value_typeET4_T5_PSR_SS_PNS1_23onesweep_lookback_stateEbbT6_jjT7_P12ihipStream_tbENKUlT_T0_SG_SL_E_clIS7_S7_PlSB_EEDaSZ_S10_SG_SL_EUlSZ_E_NS1_11comp_targetILNS1_3genE9ELNS1_11target_archE1100ELNS1_3gpuE3ELNS1_3repE0EEENS1_47radix_sort_onesweep_sort_config_static_selectorELNS0_4arch9wavefront6targetE1EEEvSG_
; %bb.0:
	.section	.rodata,"a",@progbits
	.p2align	6, 0x0
	.amdhsa_kernel _ZN7rocprim17ROCPRIM_400000_NS6detail17trampoline_kernelINS0_14default_configENS1_35radix_sort_onesweep_config_selectorIflEEZZNS1_29radix_sort_onesweep_iterationIS3_Lb0EPfS7_N6thrust23THRUST_200600_302600_NS10device_ptrIlEESB_jNS0_19identity_decomposerENS1_16block_id_wrapperIjLb0EEEEE10hipError_tT1_PNSt15iterator_traitsISG_E10value_typeET2_T3_PNSH_ISM_E10value_typeET4_T5_PSR_SS_PNS1_23onesweep_lookback_stateEbbT6_jjT7_P12ihipStream_tbENKUlT_T0_SG_SL_E_clIS7_S7_PlSB_EEDaSZ_S10_SG_SL_EUlSZ_E_NS1_11comp_targetILNS1_3genE9ELNS1_11target_archE1100ELNS1_3gpuE3ELNS1_3repE0EEENS1_47radix_sort_onesweep_sort_config_static_selectorELNS0_4arch9wavefront6targetE1EEEvSG_
		.amdhsa_group_segment_fixed_size 0
		.amdhsa_private_segment_fixed_size 0
		.amdhsa_kernarg_size 88
		.amdhsa_user_sgpr_count 6
		.amdhsa_user_sgpr_private_segment_buffer 1
		.amdhsa_user_sgpr_dispatch_ptr 0
		.amdhsa_user_sgpr_queue_ptr 0
		.amdhsa_user_sgpr_kernarg_segment_ptr 1
		.amdhsa_user_sgpr_dispatch_id 0
		.amdhsa_user_sgpr_flat_scratch_init 0
		.amdhsa_user_sgpr_kernarg_preload_length 0
		.amdhsa_user_sgpr_kernarg_preload_offset 0
		.amdhsa_user_sgpr_private_segment_size 0
		.amdhsa_uses_dynamic_stack 0
		.amdhsa_system_sgpr_private_segment_wavefront_offset 0
		.amdhsa_system_sgpr_workgroup_id_x 1
		.amdhsa_system_sgpr_workgroup_id_y 0
		.amdhsa_system_sgpr_workgroup_id_z 0
		.amdhsa_system_sgpr_workgroup_info 0
		.amdhsa_system_vgpr_workitem_id 0
		.amdhsa_next_free_vgpr 1
		.amdhsa_next_free_sgpr 0
		.amdhsa_accum_offset 4
		.amdhsa_reserve_vcc 0
		.amdhsa_reserve_flat_scratch 0
		.amdhsa_float_round_mode_32 0
		.amdhsa_float_round_mode_16_64 0
		.amdhsa_float_denorm_mode_32 3
		.amdhsa_float_denorm_mode_16_64 3
		.amdhsa_dx10_clamp 1
		.amdhsa_ieee_mode 1
		.amdhsa_fp16_overflow 0
		.amdhsa_tg_split 0
		.amdhsa_exception_fp_ieee_invalid_op 0
		.amdhsa_exception_fp_denorm_src 0
		.amdhsa_exception_fp_ieee_div_zero 0
		.amdhsa_exception_fp_ieee_overflow 0
		.amdhsa_exception_fp_ieee_underflow 0
		.amdhsa_exception_fp_ieee_inexact 0
		.amdhsa_exception_int_div_zero 0
	.end_amdhsa_kernel
	.section	.text._ZN7rocprim17ROCPRIM_400000_NS6detail17trampoline_kernelINS0_14default_configENS1_35radix_sort_onesweep_config_selectorIflEEZZNS1_29radix_sort_onesweep_iterationIS3_Lb0EPfS7_N6thrust23THRUST_200600_302600_NS10device_ptrIlEESB_jNS0_19identity_decomposerENS1_16block_id_wrapperIjLb0EEEEE10hipError_tT1_PNSt15iterator_traitsISG_E10value_typeET2_T3_PNSH_ISM_E10value_typeET4_T5_PSR_SS_PNS1_23onesweep_lookback_stateEbbT6_jjT7_P12ihipStream_tbENKUlT_T0_SG_SL_E_clIS7_S7_PlSB_EEDaSZ_S10_SG_SL_EUlSZ_E_NS1_11comp_targetILNS1_3genE9ELNS1_11target_archE1100ELNS1_3gpuE3ELNS1_3repE0EEENS1_47radix_sort_onesweep_sort_config_static_selectorELNS0_4arch9wavefront6targetE1EEEvSG_,"axG",@progbits,_ZN7rocprim17ROCPRIM_400000_NS6detail17trampoline_kernelINS0_14default_configENS1_35radix_sort_onesweep_config_selectorIflEEZZNS1_29radix_sort_onesweep_iterationIS3_Lb0EPfS7_N6thrust23THRUST_200600_302600_NS10device_ptrIlEESB_jNS0_19identity_decomposerENS1_16block_id_wrapperIjLb0EEEEE10hipError_tT1_PNSt15iterator_traitsISG_E10value_typeET2_T3_PNSH_ISM_E10value_typeET4_T5_PSR_SS_PNS1_23onesweep_lookback_stateEbbT6_jjT7_P12ihipStream_tbENKUlT_T0_SG_SL_E_clIS7_S7_PlSB_EEDaSZ_S10_SG_SL_EUlSZ_E_NS1_11comp_targetILNS1_3genE9ELNS1_11target_archE1100ELNS1_3gpuE3ELNS1_3repE0EEENS1_47radix_sort_onesweep_sort_config_static_selectorELNS0_4arch9wavefront6targetE1EEEvSG_,comdat
.Lfunc_end1886:
	.size	_ZN7rocprim17ROCPRIM_400000_NS6detail17trampoline_kernelINS0_14default_configENS1_35radix_sort_onesweep_config_selectorIflEEZZNS1_29radix_sort_onesweep_iterationIS3_Lb0EPfS7_N6thrust23THRUST_200600_302600_NS10device_ptrIlEESB_jNS0_19identity_decomposerENS1_16block_id_wrapperIjLb0EEEEE10hipError_tT1_PNSt15iterator_traitsISG_E10value_typeET2_T3_PNSH_ISM_E10value_typeET4_T5_PSR_SS_PNS1_23onesweep_lookback_stateEbbT6_jjT7_P12ihipStream_tbENKUlT_T0_SG_SL_E_clIS7_S7_PlSB_EEDaSZ_S10_SG_SL_EUlSZ_E_NS1_11comp_targetILNS1_3genE9ELNS1_11target_archE1100ELNS1_3gpuE3ELNS1_3repE0EEENS1_47radix_sort_onesweep_sort_config_static_selectorELNS0_4arch9wavefront6targetE1EEEvSG_, .Lfunc_end1886-_ZN7rocprim17ROCPRIM_400000_NS6detail17trampoline_kernelINS0_14default_configENS1_35radix_sort_onesweep_config_selectorIflEEZZNS1_29radix_sort_onesweep_iterationIS3_Lb0EPfS7_N6thrust23THRUST_200600_302600_NS10device_ptrIlEESB_jNS0_19identity_decomposerENS1_16block_id_wrapperIjLb0EEEEE10hipError_tT1_PNSt15iterator_traitsISG_E10value_typeET2_T3_PNSH_ISM_E10value_typeET4_T5_PSR_SS_PNS1_23onesweep_lookback_stateEbbT6_jjT7_P12ihipStream_tbENKUlT_T0_SG_SL_E_clIS7_S7_PlSB_EEDaSZ_S10_SG_SL_EUlSZ_E_NS1_11comp_targetILNS1_3genE9ELNS1_11target_archE1100ELNS1_3gpuE3ELNS1_3repE0EEENS1_47radix_sort_onesweep_sort_config_static_selectorELNS0_4arch9wavefront6targetE1EEEvSG_
                                        ; -- End function
	.section	.AMDGPU.csdata,"",@progbits
; Kernel info:
; codeLenInByte = 0
; NumSgprs: 4
; NumVgprs: 0
; NumAgprs: 0
; TotalNumVgprs: 0
; ScratchSize: 0
; MemoryBound: 0
; FloatMode: 240
; IeeeMode: 1
; LDSByteSize: 0 bytes/workgroup (compile time only)
; SGPRBlocks: 0
; VGPRBlocks: 0
; NumSGPRsForWavesPerEU: 4
; NumVGPRsForWavesPerEU: 1
; AccumOffset: 4
; Occupancy: 8
; WaveLimiterHint : 0
; COMPUTE_PGM_RSRC2:SCRATCH_EN: 0
; COMPUTE_PGM_RSRC2:USER_SGPR: 6
; COMPUTE_PGM_RSRC2:TRAP_HANDLER: 0
; COMPUTE_PGM_RSRC2:TGID_X_EN: 1
; COMPUTE_PGM_RSRC2:TGID_Y_EN: 0
; COMPUTE_PGM_RSRC2:TGID_Z_EN: 0
; COMPUTE_PGM_RSRC2:TIDIG_COMP_CNT: 0
; COMPUTE_PGM_RSRC3_GFX90A:ACCUM_OFFSET: 0
; COMPUTE_PGM_RSRC3_GFX90A:TG_SPLIT: 0
	.section	.text._ZN7rocprim17ROCPRIM_400000_NS6detail17trampoline_kernelINS0_14default_configENS1_35radix_sort_onesweep_config_selectorIflEEZZNS1_29radix_sort_onesweep_iterationIS3_Lb0EPfS7_N6thrust23THRUST_200600_302600_NS10device_ptrIlEESB_jNS0_19identity_decomposerENS1_16block_id_wrapperIjLb0EEEEE10hipError_tT1_PNSt15iterator_traitsISG_E10value_typeET2_T3_PNSH_ISM_E10value_typeET4_T5_PSR_SS_PNS1_23onesweep_lookback_stateEbbT6_jjT7_P12ihipStream_tbENKUlT_T0_SG_SL_E_clIS7_S7_PlSB_EEDaSZ_S10_SG_SL_EUlSZ_E_NS1_11comp_targetILNS1_3genE8ELNS1_11target_archE1030ELNS1_3gpuE2ELNS1_3repE0EEENS1_47radix_sort_onesweep_sort_config_static_selectorELNS0_4arch9wavefront6targetE1EEEvSG_,"axG",@progbits,_ZN7rocprim17ROCPRIM_400000_NS6detail17trampoline_kernelINS0_14default_configENS1_35radix_sort_onesweep_config_selectorIflEEZZNS1_29radix_sort_onesweep_iterationIS3_Lb0EPfS7_N6thrust23THRUST_200600_302600_NS10device_ptrIlEESB_jNS0_19identity_decomposerENS1_16block_id_wrapperIjLb0EEEEE10hipError_tT1_PNSt15iterator_traitsISG_E10value_typeET2_T3_PNSH_ISM_E10value_typeET4_T5_PSR_SS_PNS1_23onesweep_lookback_stateEbbT6_jjT7_P12ihipStream_tbENKUlT_T0_SG_SL_E_clIS7_S7_PlSB_EEDaSZ_S10_SG_SL_EUlSZ_E_NS1_11comp_targetILNS1_3genE8ELNS1_11target_archE1030ELNS1_3gpuE2ELNS1_3repE0EEENS1_47radix_sort_onesweep_sort_config_static_selectorELNS0_4arch9wavefront6targetE1EEEvSG_,comdat
	.protected	_ZN7rocprim17ROCPRIM_400000_NS6detail17trampoline_kernelINS0_14default_configENS1_35radix_sort_onesweep_config_selectorIflEEZZNS1_29radix_sort_onesweep_iterationIS3_Lb0EPfS7_N6thrust23THRUST_200600_302600_NS10device_ptrIlEESB_jNS0_19identity_decomposerENS1_16block_id_wrapperIjLb0EEEEE10hipError_tT1_PNSt15iterator_traitsISG_E10value_typeET2_T3_PNSH_ISM_E10value_typeET4_T5_PSR_SS_PNS1_23onesweep_lookback_stateEbbT6_jjT7_P12ihipStream_tbENKUlT_T0_SG_SL_E_clIS7_S7_PlSB_EEDaSZ_S10_SG_SL_EUlSZ_E_NS1_11comp_targetILNS1_3genE8ELNS1_11target_archE1030ELNS1_3gpuE2ELNS1_3repE0EEENS1_47radix_sort_onesweep_sort_config_static_selectorELNS0_4arch9wavefront6targetE1EEEvSG_ ; -- Begin function _ZN7rocprim17ROCPRIM_400000_NS6detail17trampoline_kernelINS0_14default_configENS1_35radix_sort_onesweep_config_selectorIflEEZZNS1_29radix_sort_onesweep_iterationIS3_Lb0EPfS7_N6thrust23THRUST_200600_302600_NS10device_ptrIlEESB_jNS0_19identity_decomposerENS1_16block_id_wrapperIjLb0EEEEE10hipError_tT1_PNSt15iterator_traitsISG_E10value_typeET2_T3_PNSH_ISM_E10value_typeET4_T5_PSR_SS_PNS1_23onesweep_lookback_stateEbbT6_jjT7_P12ihipStream_tbENKUlT_T0_SG_SL_E_clIS7_S7_PlSB_EEDaSZ_S10_SG_SL_EUlSZ_E_NS1_11comp_targetILNS1_3genE8ELNS1_11target_archE1030ELNS1_3gpuE2ELNS1_3repE0EEENS1_47radix_sort_onesweep_sort_config_static_selectorELNS0_4arch9wavefront6targetE1EEEvSG_
	.globl	_ZN7rocprim17ROCPRIM_400000_NS6detail17trampoline_kernelINS0_14default_configENS1_35radix_sort_onesweep_config_selectorIflEEZZNS1_29radix_sort_onesweep_iterationIS3_Lb0EPfS7_N6thrust23THRUST_200600_302600_NS10device_ptrIlEESB_jNS0_19identity_decomposerENS1_16block_id_wrapperIjLb0EEEEE10hipError_tT1_PNSt15iterator_traitsISG_E10value_typeET2_T3_PNSH_ISM_E10value_typeET4_T5_PSR_SS_PNS1_23onesweep_lookback_stateEbbT6_jjT7_P12ihipStream_tbENKUlT_T0_SG_SL_E_clIS7_S7_PlSB_EEDaSZ_S10_SG_SL_EUlSZ_E_NS1_11comp_targetILNS1_3genE8ELNS1_11target_archE1030ELNS1_3gpuE2ELNS1_3repE0EEENS1_47radix_sort_onesweep_sort_config_static_selectorELNS0_4arch9wavefront6targetE1EEEvSG_
	.p2align	8
	.type	_ZN7rocprim17ROCPRIM_400000_NS6detail17trampoline_kernelINS0_14default_configENS1_35radix_sort_onesweep_config_selectorIflEEZZNS1_29radix_sort_onesweep_iterationIS3_Lb0EPfS7_N6thrust23THRUST_200600_302600_NS10device_ptrIlEESB_jNS0_19identity_decomposerENS1_16block_id_wrapperIjLb0EEEEE10hipError_tT1_PNSt15iterator_traitsISG_E10value_typeET2_T3_PNSH_ISM_E10value_typeET4_T5_PSR_SS_PNS1_23onesweep_lookback_stateEbbT6_jjT7_P12ihipStream_tbENKUlT_T0_SG_SL_E_clIS7_S7_PlSB_EEDaSZ_S10_SG_SL_EUlSZ_E_NS1_11comp_targetILNS1_3genE8ELNS1_11target_archE1030ELNS1_3gpuE2ELNS1_3repE0EEENS1_47radix_sort_onesweep_sort_config_static_selectorELNS0_4arch9wavefront6targetE1EEEvSG_,@function
_ZN7rocprim17ROCPRIM_400000_NS6detail17trampoline_kernelINS0_14default_configENS1_35radix_sort_onesweep_config_selectorIflEEZZNS1_29radix_sort_onesweep_iterationIS3_Lb0EPfS7_N6thrust23THRUST_200600_302600_NS10device_ptrIlEESB_jNS0_19identity_decomposerENS1_16block_id_wrapperIjLb0EEEEE10hipError_tT1_PNSt15iterator_traitsISG_E10value_typeET2_T3_PNSH_ISM_E10value_typeET4_T5_PSR_SS_PNS1_23onesweep_lookback_stateEbbT6_jjT7_P12ihipStream_tbENKUlT_T0_SG_SL_E_clIS7_S7_PlSB_EEDaSZ_S10_SG_SL_EUlSZ_E_NS1_11comp_targetILNS1_3genE8ELNS1_11target_archE1030ELNS1_3gpuE2ELNS1_3repE0EEENS1_47radix_sort_onesweep_sort_config_static_selectorELNS0_4arch9wavefront6targetE1EEEvSG_: ; @_ZN7rocprim17ROCPRIM_400000_NS6detail17trampoline_kernelINS0_14default_configENS1_35radix_sort_onesweep_config_selectorIflEEZZNS1_29radix_sort_onesweep_iterationIS3_Lb0EPfS7_N6thrust23THRUST_200600_302600_NS10device_ptrIlEESB_jNS0_19identity_decomposerENS1_16block_id_wrapperIjLb0EEEEE10hipError_tT1_PNSt15iterator_traitsISG_E10value_typeET2_T3_PNSH_ISM_E10value_typeET4_T5_PSR_SS_PNS1_23onesweep_lookback_stateEbbT6_jjT7_P12ihipStream_tbENKUlT_T0_SG_SL_E_clIS7_S7_PlSB_EEDaSZ_S10_SG_SL_EUlSZ_E_NS1_11comp_targetILNS1_3genE8ELNS1_11target_archE1030ELNS1_3gpuE2ELNS1_3repE0EEENS1_47radix_sort_onesweep_sort_config_static_selectorELNS0_4arch9wavefront6targetE1EEEvSG_
; %bb.0:
	.section	.rodata,"a",@progbits
	.p2align	6, 0x0
	.amdhsa_kernel _ZN7rocprim17ROCPRIM_400000_NS6detail17trampoline_kernelINS0_14default_configENS1_35radix_sort_onesweep_config_selectorIflEEZZNS1_29radix_sort_onesweep_iterationIS3_Lb0EPfS7_N6thrust23THRUST_200600_302600_NS10device_ptrIlEESB_jNS0_19identity_decomposerENS1_16block_id_wrapperIjLb0EEEEE10hipError_tT1_PNSt15iterator_traitsISG_E10value_typeET2_T3_PNSH_ISM_E10value_typeET4_T5_PSR_SS_PNS1_23onesweep_lookback_stateEbbT6_jjT7_P12ihipStream_tbENKUlT_T0_SG_SL_E_clIS7_S7_PlSB_EEDaSZ_S10_SG_SL_EUlSZ_E_NS1_11comp_targetILNS1_3genE8ELNS1_11target_archE1030ELNS1_3gpuE2ELNS1_3repE0EEENS1_47radix_sort_onesweep_sort_config_static_selectorELNS0_4arch9wavefront6targetE1EEEvSG_
		.amdhsa_group_segment_fixed_size 0
		.amdhsa_private_segment_fixed_size 0
		.amdhsa_kernarg_size 88
		.amdhsa_user_sgpr_count 6
		.amdhsa_user_sgpr_private_segment_buffer 1
		.amdhsa_user_sgpr_dispatch_ptr 0
		.amdhsa_user_sgpr_queue_ptr 0
		.amdhsa_user_sgpr_kernarg_segment_ptr 1
		.amdhsa_user_sgpr_dispatch_id 0
		.amdhsa_user_sgpr_flat_scratch_init 0
		.amdhsa_user_sgpr_kernarg_preload_length 0
		.amdhsa_user_sgpr_kernarg_preload_offset 0
		.amdhsa_user_sgpr_private_segment_size 0
		.amdhsa_uses_dynamic_stack 0
		.amdhsa_system_sgpr_private_segment_wavefront_offset 0
		.amdhsa_system_sgpr_workgroup_id_x 1
		.amdhsa_system_sgpr_workgroup_id_y 0
		.amdhsa_system_sgpr_workgroup_id_z 0
		.amdhsa_system_sgpr_workgroup_info 0
		.amdhsa_system_vgpr_workitem_id 0
		.amdhsa_next_free_vgpr 1
		.amdhsa_next_free_sgpr 0
		.amdhsa_accum_offset 4
		.amdhsa_reserve_vcc 0
		.amdhsa_reserve_flat_scratch 0
		.amdhsa_float_round_mode_32 0
		.amdhsa_float_round_mode_16_64 0
		.amdhsa_float_denorm_mode_32 3
		.amdhsa_float_denorm_mode_16_64 3
		.amdhsa_dx10_clamp 1
		.amdhsa_ieee_mode 1
		.amdhsa_fp16_overflow 0
		.amdhsa_tg_split 0
		.amdhsa_exception_fp_ieee_invalid_op 0
		.amdhsa_exception_fp_denorm_src 0
		.amdhsa_exception_fp_ieee_div_zero 0
		.amdhsa_exception_fp_ieee_overflow 0
		.amdhsa_exception_fp_ieee_underflow 0
		.amdhsa_exception_fp_ieee_inexact 0
		.amdhsa_exception_int_div_zero 0
	.end_amdhsa_kernel
	.section	.text._ZN7rocprim17ROCPRIM_400000_NS6detail17trampoline_kernelINS0_14default_configENS1_35radix_sort_onesweep_config_selectorIflEEZZNS1_29radix_sort_onesweep_iterationIS3_Lb0EPfS7_N6thrust23THRUST_200600_302600_NS10device_ptrIlEESB_jNS0_19identity_decomposerENS1_16block_id_wrapperIjLb0EEEEE10hipError_tT1_PNSt15iterator_traitsISG_E10value_typeET2_T3_PNSH_ISM_E10value_typeET4_T5_PSR_SS_PNS1_23onesweep_lookback_stateEbbT6_jjT7_P12ihipStream_tbENKUlT_T0_SG_SL_E_clIS7_S7_PlSB_EEDaSZ_S10_SG_SL_EUlSZ_E_NS1_11comp_targetILNS1_3genE8ELNS1_11target_archE1030ELNS1_3gpuE2ELNS1_3repE0EEENS1_47radix_sort_onesweep_sort_config_static_selectorELNS0_4arch9wavefront6targetE1EEEvSG_,"axG",@progbits,_ZN7rocprim17ROCPRIM_400000_NS6detail17trampoline_kernelINS0_14default_configENS1_35radix_sort_onesweep_config_selectorIflEEZZNS1_29radix_sort_onesweep_iterationIS3_Lb0EPfS7_N6thrust23THRUST_200600_302600_NS10device_ptrIlEESB_jNS0_19identity_decomposerENS1_16block_id_wrapperIjLb0EEEEE10hipError_tT1_PNSt15iterator_traitsISG_E10value_typeET2_T3_PNSH_ISM_E10value_typeET4_T5_PSR_SS_PNS1_23onesweep_lookback_stateEbbT6_jjT7_P12ihipStream_tbENKUlT_T0_SG_SL_E_clIS7_S7_PlSB_EEDaSZ_S10_SG_SL_EUlSZ_E_NS1_11comp_targetILNS1_3genE8ELNS1_11target_archE1030ELNS1_3gpuE2ELNS1_3repE0EEENS1_47radix_sort_onesweep_sort_config_static_selectorELNS0_4arch9wavefront6targetE1EEEvSG_,comdat
.Lfunc_end1887:
	.size	_ZN7rocprim17ROCPRIM_400000_NS6detail17trampoline_kernelINS0_14default_configENS1_35radix_sort_onesweep_config_selectorIflEEZZNS1_29radix_sort_onesweep_iterationIS3_Lb0EPfS7_N6thrust23THRUST_200600_302600_NS10device_ptrIlEESB_jNS0_19identity_decomposerENS1_16block_id_wrapperIjLb0EEEEE10hipError_tT1_PNSt15iterator_traitsISG_E10value_typeET2_T3_PNSH_ISM_E10value_typeET4_T5_PSR_SS_PNS1_23onesweep_lookback_stateEbbT6_jjT7_P12ihipStream_tbENKUlT_T0_SG_SL_E_clIS7_S7_PlSB_EEDaSZ_S10_SG_SL_EUlSZ_E_NS1_11comp_targetILNS1_3genE8ELNS1_11target_archE1030ELNS1_3gpuE2ELNS1_3repE0EEENS1_47radix_sort_onesweep_sort_config_static_selectorELNS0_4arch9wavefront6targetE1EEEvSG_, .Lfunc_end1887-_ZN7rocprim17ROCPRIM_400000_NS6detail17trampoline_kernelINS0_14default_configENS1_35radix_sort_onesweep_config_selectorIflEEZZNS1_29radix_sort_onesweep_iterationIS3_Lb0EPfS7_N6thrust23THRUST_200600_302600_NS10device_ptrIlEESB_jNS0_19identity_decomposerENS1_16block_id_wrapperIjLb0EEEEE10hipError_tT1_PNSt15iterator_traitsISG_E10value_typeET2_T3_PNSH_ISM_E10value_typeET4_T5_PSR_SS_PNS1_23onesweep_lookback_stateEbbT6_jjT7_P12ihipStream_tbENKUlT_T0_SG_SL_E_clIS7_S7_PlSB_EEDaSZ_S10_SG_SL_EUlSZ_E_NS1_11comp_targetILNS1_3genE8ELNS1_11target_archE1030ELNS1_3gpuE2ELNS1_3repE0EEENS1_47radix_sort_onesweep_sort_config_static_selectorELNS0_4arch9wavefront6targetE1EEEvSG_
                                        ; -- End function
	.section	.AMDGPU.csdata,"",@progbits
; Kernel info:
; codeLenInByte = 0
; NumSgprs: 4
; NumVgprs: 0
; NumAgprs: 0
; TotalNumVgprs: 0
; ScratchSize: 0
; MemoryBound: 0
; FloatMode: 240
; IeeeMode: 1
; LDSByteSize: 0 bytes/workgroup (compile time only)
; SGPRBlocks: 0
; VGPRBlocks: 0
; NumSGPRsForWavesPerEU: 4
; NumVGPRsForWavesPerEU: 1
; AccumOffset: 4
; Occupancy: 8
; WaveLimiterHint : 0
; COMPUTE_PGM_RSRC2:SCRATCH_EN: 0
; COMPUTE_PGM_RSRC2:USER_SGPR: 6
; COMPUTE_PGM_RSRC2:TRAP_HANDLER: 0
; COMPUTE_PGM_RSRC2:TGID_X_EN: 1
; COMPUTE_PGM_RSRC2:TGID_Y_EN: 0
; COMPUTE_PGM_RSRC2:TGID_Z_EN: 0
; COMPUTE_PGM_RSRC2:TIDIG_COMP_CNT: 0
; COMPUTE_PGM_RSRC3_GFX90A:ACCUM_OFFSET: 0
; COMPUTE_PGM_RSRC3_GFX90A:TG_SPLIT: 0
	.section	.text._ZN7rocprim17ROCPRIM_400000_NS6detail17trampoline_kernelINS0_14default_configENS1_22reduce_config_selectorIiEEZNS1_11reduce_implILb1ES3_N6thrust23THRUST_200600_302600_NS11hip_rocprim35transform_pair_of_input_iterators_tIiPfSB_NS8_12not_equal_toIfEEEEPiiNS8_4plusIiEEEE10hipError_tPvRmT1_T2_T3_mT4_P12ihipStream_tbEUlT_E0_NS1_11comp_targetILNS1_3genE0ELNS1_11target_archE4294967295ELNS1_3gpuE0ELNS1_3repE0EEENS1_30default_config_static_selectorELNS0_4arch9wavefront6targetE1EEEvSL_,"axG",@progbits,_ZN7rocprim17ROCPRIM_400000_NS6detail17trampoline_kernelINS0_14default_configENS1_22reduce_config_selectorIiEEZNS1_11reduce_implILb1ES3_N6thrust23THRUST_200600_302600_NS11hip_rocprim35transform_pair_of_input_iterators_tIiPfSB_NS8_12not_equal_toIfEEEEPiiNS8_4plusIiEEEE10hipError_tPvRmT1_T2_T3_mT4_P12ihipStream_tbEUlT_E0_NS1_11comp_targetILNS1_3genE0ELNS1_11target_archE4294967295ELNS1_3gpuE0ELNS1_3repE0EEENS1_30default_config_static_selectorELNS0_4arch9wavefront6targetE1EEEvSL_,comdat
	.protected	_ZN7rocprim17ROCPRIM_400000_NS6detail17trampoline_kernelINS0_14default_configENS1_22reduce_config_selectorIiEEZNS1_11reduce_implILb1ES3_N6thrust23THRUST_200600_302600_NS11hip_rocprim35transform_pair_of_input_iterators_tIiPfSB_NS8_12not_equal_toIfEEEEPiiNS8_4plusIiEEEE10hipError_tPvRmT1_T2_T3_mT4_P12ihipStream_tbEUlT_E0_NS1_11comp_targetILNS1_3genE0ELNS1_11target_archE4294967295ELNS1_3gpuE0ELNS1_3repE0EEENS1_30default_config_static_selectorELNS0_4arch9wavefront6targetE1EEEvSL_ ; -- Begin function _ZN7rocprim17ROCPRIM_400000_NS6detail17trampoline_kernelINS0_14default_configENS1_22reduce_config_selectorIiEEZNS1_11reduce_implILb1ES3_N6thrust23THRUST_200600_302600_NS11hip_rocprim35transform_pair_of_input_iterators_tIiPfSB_NS8_12not_equal_toIfEEEEPiiNS8_4plusIiEEEE10hipError_tPvRmT1_T2_T3_mT4_P12ihipStream_tbEUlT_E0_NS1_11comp_targetILNS1_3genE0ELNS1_11target_archE4294967295ELNS1_3gpuE0ELNS1_3repE0EEENS1_30default_config_static_selectorELNS0_4arch9wavefront6targetE1EEEvSL_
	.globl	_ZN7rocprim17ROCPRIM_400000_NS6detail17trampoline_kernelINS0_14default_configENS1_22reduce_config_selectorIiEEZNS1_11reduce_implILb1ES3_N6thrust23THRUST_200600_302600_NS11hip_rocprim35transform_pair_of_input_iterators_tIiPfSB_NS8_12not_equal_toIfEEEEPiiNS8_4plusIiEEEE10hipError_tPvRmT1_T2_T3_mT4_P12ihipStream_tbEUlT_E0_NS1_11comp_targetILNS1_3genE0ELNS1_11target_archE4294967295ELNS1_3gpuE0ELNS1_3repE0EEENS1_30default_config_static_selectorELNS0_4arch9wavefront6targetE1EEEvSL_
	.p2align	8
	.type	_ZN7rocprim17ROCPRIM_400000_NS6detail17trampoline_kernelINS0_14default_configENS1_22reduce_config_selectorIiEEZNS1_11reduce_implILb1ES3_N6thrust23THRUST_200600_302600_NS11hip_rocprim35transform_pair_of_input_iterators_tIiPfSB_NS8_12not_equal_toIfEEEEPiiNS8_4plusIiEEEE10hipError_tPvRmT1_T2_T3_mT4_P12ihipStream_tbEUlT_E0_NS1_11comp_targetILNS1_3genE0ELNS1_11target_archE4294967295ELNS1_3gpuE0ELNS1_3repE0EEENS1_30default_config_static_selectorELNS0_4arch9wavefront6targetE1EEEvSL_,@function
_ZN7rocprim17ROCPRIM_400000_NS6detail17trampoline_kernelINS0_14default_configENS1_22reduce_config_selectorIiEEZNS1_11reduce_implILb1ES3_N6thrust23THRUST_200600_302600_NS11hip_rocprim35transform_pair_of_input_iterators_tIiPfSB_NS8_12not_equal_toIfEEEEPiiNS8_4plusIiEEEE10hipError_tPvRmT1_T2_T3_mT4_P12ihipStream_tbEUlT_E0_NS1_11comp_targetILNS1_3genE0ELNS1_11target_archE4294967295ELNS1_3gpuE0ELNS1_3repE0EEENS1_30default_config_static_selectorELNS0_4arch9wavefront6targetE1EEEvSL_: ; @_ZN7rocprim17ROCPRIM_400000_NS6detail17trampoline_kernelINS0_14default_configENS1_22reduce_config_selectorIiEEZNS1_11reduce_implILb1ES3_N6thrust23THRUST_200600_302600_NS11hip_rocprim35transform_pair_of_input_iterators_tIiPfSB_NS8_12not_equal_toIfEEEEPiiNS8_4plusIiEEEE10hipError_tPvRmT1_T2_T3_mT4_P12ihipStream_tbEUlT_E0_NS1_11comp_targetILNS1_3genE0ELNS1_11target_archE4294967295ELNS1_3gpuE0ELNS1_3repE0EEENS1_30default_config_static_selectorELNS0_4arch9wavefront6targetE1EEEvSL_
; %bb.0:
	.section	.rodata,"a",@progbits
	.p2align	6, 0x0
	.amdhsa_kernel _ZN7rocprim17ROCPRIM_400000_NS6detail17trampoline_kernelINS0_14default_configENS1_22reduce_config_selectorIiEEZNS1_11reduce_implILb1ES3_N6thrust23THRUST_200600_302600_NS11hip_rocprim35transform_pair_of_input_iterators_tIiPfSB_NS8_12not_equal_toIfEEEEPiiNS8_4plusIiEEEE10hipError_tPvRmT1_T2_T3_mT4_P12ihipStream_tbEUlT_E0_NS1_11comp_targetILNS1_3genE0ELNS1_11target_archE4294967295ELNS1_3gpuE0ELNS1_3repE0EEENS1_30default_config_static_selectorELNS0_4arch9wavefront6targetE1EEEvSL_
		.amdhsa_group_segment_fixed_size 0
		.amdhsa_private_segment_fixed_size 0
		.amdhsa_kernarg_size 72
		.amdhsa_user_sgpr_count 6
		.amdhsa_user_sgpr_private_segment_buffer 1
		.amdhsa_user_sgpr_dispatch_ptr 0
		.amdhsa_user_sgpr_queue_ptr 0
		.amdhsa_user_sgpr_kernarg_segment_ptr 1
		.amdhsa_user_sgpr_dispatch_id 0
		.amdhsa_user_sgpr_flat_scratch_init 0
		.amdhsa_user_sgpr_kernarg_preload_length 0
		.amdhsa_user_sgpr_kernarg_preload_offset 0
		.amdhsa_user_sgpr_private_segment_size 0
		.amdhsa_uses_dynamic_stack 0
		.amdhsa_system_sgpr_private_segment_wavefront_offset 0
		.amdhsa_system_sgpr_workgroup_id_x 1
		.amdhsa_system_sgpr_workgroup_id_y 0
		.amdhsa_system_sgpr_workgroup_id_z 0
		.amdhsa_system_sgpr_workgroup_info 0
		.amdhsa_system_vgpr_workitem_id 0
		.amdhsa_next_free_vgpr 1
		.amdhsa_next_free_sgpr 0
		.amdhsa_accum_offset 4
		.amdhsa_reserve_vcc 0
		.amdhsa_reserve_flat_scratch 0
		.amdhsa_float_round_mode_32 0
		.amdhsa_float_round_mode_16_64 0
		.amdhsa_float_denorm_mode_32 3
		.amdhsa_float_denorm_mode_16_64 3
		.amdhsa_dx10_clamp 1
		.amdhsa_ieee_mode 1
		.amdhsa_fp16_overflow 0
		.amdhsa_tg_split 0
		.amdhsa_exception_fp_ieee_invalid_op 0
		.amdhsa_exception_fp_denorm_src 0
		.amdhsa_exception_fp_ieee_div_zero 0
		.amdhsa_exception_fp_ieee_overflow 0
		.amdhsa_exception_fp_ieee_underflow 0
		.amdhsa_exception_fp_ieee_inexact 0
		.amdhsa_exception_int_div_zero 0
	.end_amdhsa_kernel
	.section	.text._ZN7rocprim17ROCPRIM_400000_NS6detail17trampoline_kernelINS0_14default_configENS1_22reduce_config_selectorIiEEZNS1_11reduce_implILb1ES3_N6thrust23THRUST_200600_302600_NS11hip_rocprim35transform_pair_of_input_iterators_tIiPfSB_NS8_12not_equal_toIfEEEEPiiNS8_4plusIiEEEE10hipError_tPvRmT1_T2_T3_mT4_P12ihipStream_tbEUlT_E0_NS1_11comp_targetILNS1_3genE0ELNS1_11target_archE4294967295ELNS1_3gpuE0ELNS1_3repE0EEENS1_30default_config_static_selectorELNS0_4arch9wavefront6targetE1EEEvSL_,"axG",@progbits,_ZN7rocprim17ROCPRIM_400000_NS6detail17trampoline_kernelINS0_14default_configENS1_22reduce_config_selectorIiEEZNS1_11reduce_implILb1ES3_N6thrust23THRUST_200600_302600_NS11hip_rocprim35transform_pair_of_input_iterators_tIiPfSB_NS8_12not_equal_toIfEEEEPiiNS8_4plusIiEEEE10hipError_tPvRmT1_T2_T3_mT4_P12ihipStream_tbEUlT_E0_NS1_11comp_targetILNS1_3genE0ELNS1_11target_archE4294967295ELNS1_3gpuE0ELNS1_3repE0EEENS1_30default_config_static_selectorELNS0_4arch9wavefront6targetE1EEEvSL_,comdat
.Lfunc_end1888:
	.size	_ZN7rocprim17ROCPRIM_400000_NS6detail17trampoline_kernelINS0_14default_configENS1_22reduce_config_selectorIiEEZNS1_11reduce_implILb1ES3_N6thrust23THRUST_200600_302600_NS11hip_rocprim35transform_pair_of_input_iterators_tIiPfSB_NS8_12not_equal_toIfEEEEPiiNS8_4plusIiEEEE10hipError_tPvRmT1_T2_T3_mT4_P12ihipStream_tbEUlT_E0_NS1_11comp_targetILNS1_3genE0ELNS1_11target_archE4294967295ELNS1_3gpuE0ELNS1_3repE0EEENS1_30default_config_static_selectorELNS0_4arch9wavefront6targetE1EEEvSL_, .Lfunc_end1888-_ZN7rocprim17ROCPRIM_400000_NS6detail17trampoline_kernelINS0_14default_configENS1_22reduce_config_selectorIiEEZNS1_11reduce_implILb1ES3_N6thrust23THRUST_200600_302600_NS11hip_rocprim35transform_pair_of_input_iterators_tIiPfSB_NS8_12not_equal_toIfEEEEPiiNS8_4plusIiEEEE10hipError_tPvRmT1_T2_T3_mT4_P12ihipStream_tbEUlT_E0_NS1_11comp_targetILNS1_3genE0ELNS1_11target_archE4294967295ELNS1_3gpuE0ELNS1_3repE0EEENS1_30default_config_static_selectorELNS0_4arch9wavefront6targetE1EEEvSL_
                                        ; -- End function
	.section	.AMDGPU.csdata,"",@progbits
; Kernel info:
; codeLenInByte = 0
; NumSgprs: 4
; NumVgprs: 0
; NumAgprs: 0
; TotalNumVgprs: 0
; ScratchSize: 0
; MemoryBound: 0
; FloatMode: 240
; IeeeMode: 1
; LDSByteSize: 0 bytes/workgroup (compile time only)
; SGPRBlocks: 0
; VGPRBlocks: 0
; NumSGPRsForWavesPerEU: 4
; NumVGPRsForWavesPerEU: 1
; AccumOffset: 4
; Occupancy: 8
; WaveLimiterHint : 0
; COMPUTE_PGM_RSRC2:SCRATCH_EN: 0
; COMPUTE_PGM_RSRC2:USER_SGPR: 6
; COMPUTE_PGM_RSRC2:TRAP_HANDLER: 0
; COMPUTE_PGM_RSRC2:TGID_X_EN: 1
; COMPUTE_PGM_RSRC2:TGID_Y_EN: 0
; COMPUTE_PGM_RSRC2:TGID_Z_EN: 0
; COMPUTE_PGM_RSRC2:TIDIG_COMP_CNT: 0
; COMPUTE_PGM_RSRC3_GFX90A:ACCUM_OFFSET: 0
; COMPUTE_PGM_RSRC3_GFX90A:TG_SPLIT: 0
	.section	.text._ZN7rocprim17ROCPRIM_400000_NS6detail17trampoline_kernelINS0_14default_configENS1_22reduce_config_selectorIiEEZNS1_11reduce_implILb1ES3_N6thrust23THRUST_200600_302600_NS11hip_rocprim35transform_pair_of_input_iterators_tIiPfSB_NS8_12not_equal_toIfEEEEPiiNS8_4plusIiEEEE10hipError_tPvRmT1_T2_T3_mT4_P12ihipStream_tbEUlT_E0_NS1_11comp_targetILNS1_3genE5ELNS1_11target_archE942ELNS1_3gpuE9ELNS1_3repE0EEENS1_30default_config_static_selectorELNS0_4arch9wavefront6targetE1EEEvSL_,"axG",@progbits,_ZN7rocprim17ROCPRIM_400000_NS6detail17trampoline_kernelINS0_14default_configENS1_22reduce_config_selectorIiEEZNS1_11reduce_implILb1ES3_N6thrust23THRUST_200600_302600_NS11hip_rocprim35transform_pair_of_input_iterators_tIiPfSB_NS8_12not_equal_toIfEEEEPiiNS8_4plusIiEEEE10hipError_tPvRmT1_T2_T3_mT4_P12ihipStream_tbEUlT_E0_NS1_11comp_targetILNS1_3genE5ELNS1_11target_archE942ELNS1_3gpuE9ELNS1_3repE0EEENS1_30default_config_static_selectorELNS0_4arch9wavefront6targetE1EEEvSL_,comdat
	.protected	_ZN7rocprim17ROCPRIM_400000_NS6detail17trampoline_kernelINS0_14default_configENS1_22reduce_config_selectorIiEEZNS1_11reduce_implILb1ES3_N6thrust23THRUST_200600_302600_NS11hip_rocprim35transform_pair_of_input_iterators_tIiPfSB_NS8_12not_equal_toIfEEEEPiiNS8_4plusIiEEEE10hipError_tPvRmT1_T2_T3_mT4_P12ihipStream_tbEUlT_E0_NS1_11comp_targetILNS1_3genE5ELNS1_11target_archE942ELNS1_3gpuE9ELNS1_3repE0EEENS1_30default_config_static_selectorELNS0_4arch9wavefront6targetE1EEEvSL_ ; -- Begin function _ZN7rocprim17ROCPRIM_400000_NS6detail17trampoline_kernelINS0_14default_configENS1_22reduce_config_selectorIiEEZNS1_11reduce_implILb1ES3_N6thrust23THRUST_200600_302600_NS11hip_rocprim35transform_pair_of_input_iterators_tIiPfSB_NS8_12not_equal_toIfEEEEPiiNS8_4plusIiEEEE10hipError_tPvRmT1_T2_T3_mT4_P12ihipStream_tbEUlT_E0_NS1_11comp_targetILNS1_3genE5ELNS1_11target_archE942ELNS1_3gpuE9ELNS1_3repE0EEENS1_30default_config_static_selectorELNS0_4arch9wavefront6targetE1EEEvSL_
	.globl	_ZN7rocprim17ROCPRIM_400000_NS6detail17trampoline_kernelINS0_14default_configENS1_22reduce_config_selectorIiEEZNS1_11reduce_implILb1ES3_N6thrust23THRUST_200600_302600_NS11hip_rocprim35transform_pair_of_input_iterators_tIiPfSB_NS8_12not_equal_toIfEEEEPiiNS8_4plusIiEEEE10hipError_tPvRmT1_T2_T3_mT4_P12ihipStream_tbEUlT_E0_NS1_11comp_targetILNS1_3genE5ELNS1_11target_archE942ELNS1_3gpuE9ELNS1_3repE0EEENS1_30default_config_static_selectorELNS0_4arch9wavefront6targetE1EEEvSL_
	.p2align	8
	.type	_ZN7rocprim17ROCPRIM_400000_NS6detail17trampoline_kernelINS0_14default_configENS1_22reduce_config_selectorIiEEZNS1_11reduce_implILb1ES3_N6thrust23THRUST_200600_302600_NS11hip_rocprim35transform_pair_of_input_iterators_tIiPfSB_NS8_12not_equal_toIfEEEEPiiNS8_4plusIiEEEE10hipError_tPvRmT1_T2_T3_mT4_P12ihipStream_tbEUlT_E0_NS1_11comp_targetILNS1_3genE5ELNS1_11target_archE942ELNS1_3gpuE9ELNS1_3repE0EEENS1_30default_config_static_selectorELNS0_4arch9wavefront6targetE1EEEvSL_,@function
_ZN7rocprim17ROCPRIM_400000_NS6detail17trampoline_kernelINS0_14default_configENS1_22reduce_config_selectorIiEEZNS1_11reduce_implILb1ES3_N6thrust23THRUST_200600_302600_NS11hip_rocprim35transform_pair_of_input_iterators_tIiPfSB_NS8_12not_equal_toIfEEEEPiiNS8_4plusIiEEEE10hipError_tPvRmT1_T2_T3_mT4_P12ihipStream_tbEUlT_E0_NS1_11comp_targetILNS1_3genE5ELNS1_11target_archE942ELNS1_3gpuE9ELNS1_3repE0EEENS1_30default_config_static_selectorELNS0_4arch9wavefront6targetE1EEEvSL_: ; @_ZN7rocprim17ROCPRIM_400000_NS6detail17trampoline_kernelINS0_14default_configENS1_22reduce_config_selectorIiEEZNS1_11reduce_implILb1ES3_N6thrust23THRUST_200600_302600_NS11hip_rocprim35transform_pair_of_input_iterators_tIiPfSB_NS8_12not_equal_toIfEEEEPiiNS8_4plusIiEEEE10hipError_tPvRmT1_T2_T3_mT4_P12ihipStream_tbEUlT_E0_NS1_11comp_targetILNS1_3genE5ELNS1_11target_archE942ELNS1_3gpuE9ELNS1_3repE0EEENS1_30default_config_static_selectorELNS0_4arch9wavefront6targetE1EEEvSL_
; %bb.0:
	.section	.rodata,"a",@progbits
	.p2align	6, 0x0
	.amdhsa_kernel _ZN7rocprim17ROCPRIM_400000_NS6detail17trampoline_kernelINS0_14default_configENS1_22reduce_config_selectorIiEEZNS1_11reduce_implILb1ES3_N6thrust23THRUST_200600_302600_NS11hip_rocprim35transform_pair_of_input_iterators_tIiPfSB_NS8_12not_equal_toIfEEEEPiiNS8_4plusIiEEEE10hipError_tPvRmT1_T2_T3_mT4_P12ihipStream_tbEUlT_E0_NS1_11comp_targetILNS1_3genE5ELNS1_11target_archE942ELNS1_3gpuE9ELNS1_3repE0EEENS1_30default_config_static_selectorELNS0_4arch9wavefront6targetE1EEEvSL_
		.amdhsa_group_segment_fixed_size 0
		.amdhsa_private_segment_fixed_size 0
		.amdhsa_kernarg_size 72
		.amdhsa_user_sgpr_count 6
		.amdhsa_user_sgpr_private_segment_buffer 1
		.amdhsa_user_sgpr_dispatch_ptr 0
		.amdhsa_user_sgpr_queue_ptr 0
		.amdhsa_user_sgpr_kernarg_segment_ptr 1
		.amdhsa_user_sgpr_dispatch_id 0
		.amdhsa_user_sgpr_flat_scratch_init 0
		.amdhsa_user_sgpr_kernarg_preload_length 0
		.amdhsa_user_sgpr_kernarg_preload_offset 0
		.amdhsa_user_sgpr_private_segment_size 0
		.amdhsa_uses_dynamic_stack 0
		.amdhsa_system_sgpr_private_segment_wavefront_offset 0
		.amdhsa_system_sgpr_workgroup_id_x 1
		.amdhsa_system_sgpr_workgroup_id_y 0
		.amdhsa_system_sgpr_workgroup_id_z 0
		.amdhsa_system_sgpr_workgroup_info 0
		.amdhsa_system_vgpr_workitem_id 0
		.amdhsa_next_free_vgpr 1
		.amdhsa_next_free_sgpr 0
		.amdhsa_accum_offset 4
		.amdhsa_reserve_vcc 0
		.amdhsa_reserve_flat_scratch 0
		.amdhsa_float_round_mode_32 0
		.amdhsa_float_round_mode_16_64 0
		.amdhsa_float_denorm_mode_32 3
		.amdhsa_float_denorm_mode_16_64 3
		.amdhsa_dx10_clamp 1
		.amdhsa_ieee_mode 1
		.amdhsa_fp16_overflow 0
		.amdhsa_tg_split 0
		.amdhsa_exception_fp_ieee_invalid_op 0
		.amdhsa_exception_fp_denorm_src 0
		.amdhsa_exception_fp_ieee_div_zero 0
		.amdhsa_exception_fp_ieee_overflow 0
		.amdhsa_exception_fp_ieee_underflow 0
		.amdhsa_exception_fp_ieee_inexact 0
		.amdhsa_exception_int_div_zero 0
	.end_amdhsa_kernel
	.section	.text._ZN7rocprim17ROCPRIM_400000_NS6detail17trampoline_kernelINS0_14default_configENS1_22reduce_config_selectorIiEEZNS1_11reduce_implILb1ES3_N6thrust23THRUST_200600_302600_NS11hip_rocprim35transform_pair_of_input_iterators_tIiPfSB_NS8_12not_equal_toIfEEEEPiiNS8_4plusIiEEEE10hipError_tPvRmT1_T2_T3_mT4_P12ihipStream_tbEUlT_E0_NS1_11comp_targetILNS1_3genE5ELNS1_11target_archE942ELNS1_3gpuE9ELNS1_3repE0EEENS1_30default_config_static_selectorELNS0_4arch9wavefront6targetE1EEEvSL_,"axG",@progbits,_ZN7rocprim17ROCPRIM_400000_NS6detail17trampoline_kernelINS0_14default_configENS1_22reduce_config_selectorIiEEZNS1_11reduce_implILb1ES3_N6thrust23THRUST_200600_302600_NS11hip_rocprim35transform_pair_of_input_iterators_tIiPfSB_NS8_12not_equal_toIfEEEEPiiNS8_4plusIiEEEE10hipError_tPvRmT1_T2_T3_mT4_P12ihipStream_tbEUlT_E0_NS1_11comp_targetILNS1_3genE5ELNS1_11target_archE942ELNS1_3gpuE9ELNS1_3repE0EEENS1_30default_config_static_selectorELNS0_4arch9wavefront6targetE1EEEvSL_,comdat
.Lfunc_end1889:
	.size	_ZN7rocprim17ROCPRIM_400000_NS6detail17trampoline_kernelINS0_14default_configENS1_22reduce_config_selectorIiEEZNS1_11reduce_implILb1ES3_N6thrust23THRUST_200600_302600_NS11hip_rocprim35transform_pair_of_input_iterators_tIiPfSB_NS8_12not_equal_toIfEEEEPiiNS8_4plusIiEEEE10hipError_tPvRmT1_T2_T3_mT4_P12ihipStream_tbEUlT_E0_NS1_11comp_targetILNS1_3genE5ELNS1_11target_archE942ELNS1_3gpuE9ELNS1_3repE0EEENS1_30default_config_static_selectorELNS0_4arch9wavefront6targetE1EEEvSL_, .Lfunc_end1889-_ZN7rocprim17ROCPRIM_400000_NS6detail17trampoline_kernelINS0_14default_configENS1_22reduce_config_selectorIiEEZNS1_11reduce_implILb1ES3_N6thrust23THRUST_200600_302600_NS11hip_rocprim35transform_pair_of_input_iterators_tIiPfSB_NS8_12not_equal_toIfEEEEPiiNS8_4plusIiEEEE10hipError_tPvRmT1_T2_T3_mT4_P12ihipStream_tbEUlT_E0_NS1_11comp_targetILNS1_3genE5ELNS1_11target_archE942ELNS1_3gpuE9ELNS1_3repE0EEENS1_30default_config_static_selectorELNS0_4arch9wavefront6targetE1EEEvSL_
                                        ; -- End function
	.section	.AMDGPU.csdata,"",@progbits
; Kernel info:
; codeLenInByte = 0
; NumSgprs: 4
; NumVgprs: 0
; NumAgprs: 0
; TotalNumVgprs: 0
; ScratchSize: 0
; MemoryBound: 0
; FloatMode: 240
; IeeeMode: 1
; LDSByteSize: 0 bytes/workgroup (compile time only)
; SGPRBlocks: 0
; VGPRBlocks: 0
; NumSGPRsForWavesPerEU: 4
; NumVGPRsForWavesPerEU: 1
; AccumOffset: 4
; Occupancy: 8
; WaveLimiterHint : 0
; COMPUTE_PGM_RSRC2:SCRATCH_EN: 0
; COMPUTE_PGM_RSRC2:USER_SGPR: 6
; COMPUTE_PGM_RSRC2:TRAP_HANDLER: 0
; COMPUTE_PGM_RSRC2:TGID_X_EN: 1
; COMPUTE_PGM_RSRC2:TGID_Y_EN: 0
; COMPUTE_PGM_RSRC2:TGID_Z_EN: 0
; COMPUTE_PGM_RSRC2:TIDIG_COMP_CNT: 0
; COMPUTE_PGM_RSRC3_GFX90A:ACCUM_OFFSET: 0
; COMPUTE_PGM_RSRC3_GFX90A:TG_SPLIT: 0
	.section	.text._ZN7rocprim17ROCPRIM_400000_NS6detail17trampoline_kernelINS0_14default_configENS1_22reduce_config_selectorIiEEZNS1_11reduce_implILb1ES3_N6thrust23THRUST_200600_302600_NS11hip_rocprim35transform_pair_of_input_iterators_tIiPfSB_NS8_12not_equal_toIfEEEEPiiNS8_4plusIiEEEE10hipError_tPvRmT1_T2_T3_mT4_P12ihipStream_tbEUlT_E0_NS1_11comp_targetILNS1_3genE4ELNS1_11target_archE910ELNS1_3gpuE8ELNS1_3repE0EEENS1_30default_config_static_selectorELNS0_4arch9wavefront6targetE1EEEvSL_,"axG",@progbits,_ZN7rocprim17ROCPRIM_400000_NS6detail17trampoline_kernelINS0_14default_configENS1_22reduce_config_selectorIiEEZNS1_11reduce_implILb1ES3_N6thrust23THRUST_200600_302600_NS11hip_rocprim35transform_pair_of_input_iterators_tIiPfSB_NS8_12not_equal_toIfEEEEPiiNS8_4plusIiEEEE10hipError_tPvRmT1_T2_T3_mT4_P12ihipStream_tbEUlT_E0_NS1_11comp_targetILNS1_3genE4ELNS1_11target_archE910ELNS1_3gpuE8ELNS1_3repE0EEENS1_30default_config_static_selectorELNS0_4arch9wavefront6targetE1EEEvSL_,comdat
	.protected	_ZN7rocprim17ROCPRIM_400000_NS6detail17trampoline_kernelINS0_14default_configENS1_22reduce_config_selectorIiEEZNS1_11reduce_implILb1ES3_N6thrust23THRUST_200600_302600_NS11hip_rocprim35transform_pair_of_input_iterators_tIiPfSB_NS8_12not_equal_toIfEEEEPiiNS8_4plusIiEEEE10hipError_tPvRmT1_T2_T3_mT4_P12ihipStream_tbEUlT_E0_NS1_11comp_targetILNS1_3genE4ELNS1_11target_archE910ELNS1_3gpuE8ELNS1_3repE0EEENS1_30default_config_static_selectorELNS0_4arch9wavefront6targetE1EEEvSL_ ; -- Begin function _ZN7rocprim17ROCPRIM_400000_NS6detail17trampoline_kernelINS0_14default_configENS1_22reduce_config_selectorIiEEZNS1_11reduce_implILb1ES3_N6thrust23THRUST_200600_302600_NS11hip_rocprim35transform_pair_of_input_iterators_tIiPfSB_NS8_12not_equal_toIfEEEEPiiNS8_4plusIiEEEE10hipError_tPvRmT1_T2_T3_mT4_P12ihipStream_tbEUlT_E0_NS1_11comp_targetILNS1_3genE4ELNS1_11target_archE910ELNS1_3gpuE8ELNS1_3repE0EEENS1_30default_config_static_selectorELNS0_4arch9wavefront6targetE1EEEvSL_
	.globl	_ZN7rocprim17ROCPRIM_400000_NS6detail17trampoline_kernelINS0_14default_configENS1_22reduce_config_selectorIiEEZNS1_11reduce_implILb1ES3_N6thrust23THRUST_200600_302600_NS11hip_rocprim35transform_pair_of_input_iterators_tIiPfSB_NS8_12not_equal_toIfEEEEPiiNS8_4plusIiEEEE10hipError_tPvRmT1_T2_T3_mT4_P12ihipStream_tbEUlT_E0_NS1_11comp_targetILNS1_3genE4ELNS1_11target_archE910ELNS1_3gpuE8ELNS1_3repE0EEENS1_30default_config_static_selectorELNS0_4arch9wavefront6targetE1EEEvSL_
	.p2align	8
	.type	_ZN7rocprim17ROCPRIM_400000_NS6detail17trampoline_kernelINS0_14default_configENS1_22reduce_config_selectorIiEEZNS1_11reduce_implILb1ES3_N6thrust23THRUST_200600_302600_NS11hip_rocprim35transform_pair_of_input_iterators_tIiPfSB_NS8_12not_equal_toIfEEEEPiiNS8_4plusIiEEEE10hipError_tPvRmT1_T2_T3_mT4_P12ihipStream_tbEUlT_E0_NS1_11comp_targetILNS1_3genE4ELNS1_11target_archE910ELNS1_3gpuE8ELNS1_3repE0EEENS1_30default_config_static_selectorELNS0_4arch9wavefront6targetE1EEEvSL_,@function
_ZN7rocprim17ROCPRIM_400000_NS6detail17trampoline_kernelINS0_14default_configENS1_22reduce_config_selectorIiEEZNS1_11reduce_implILb1ES3_N6thrust23THRUST_200600_302600_NS11hip_rocprim35transform_pair_of_input_iterators_tIiPfSB_NS8_12not_equal_toIfEEEEPiiNS8_4plusIiEEEE10hipError_tPvRmT1_T2_T3_mT4_P12ihipStream_tbEUlT_E0_NS1_11comp_targetILNS1_3genE4ELNS1_11target_archE910ELNS1_3gpuE8ELNS1_3repE0EEENS1_30default_config_static_selectorELNS0_4arch9wavefront6targetE1EEEvSL_: ; @_ZN7rocprim17ROCPRIM_400000_NS6detail17trampoline_kernelINS0_14default_configENS1_22reduce_config_selectorIiEEZNS1_11reduce_implILb1ES3_N6thrust23THRUST_200600_302600_NS11hip_rocprim35transform_pair_of_input_iterators_tIiPfSB_NS8_12not_equal_toIfEEEEPiiNS8_4plusIiEEEE10hipError_tPvRmT1_T2_T3_mT4_P12ihipStream_tbEUlT_E0_NS1_11comp_targetILNS1_3genE4ELNS1_11target_archE910ELNS1_3gpuE8ELNS1_3repE0EEENS1_30default_config_static_selectorELNS0_4arch9wavefront6targetE1EEEvSL_
; %bb.0:
	s_load_dwordx8 s[16:23], s[4:5], 0x18
	s_load_dwordx4 s[0:3], s[4:5], 0x0
	s_load_dwordx2 s[24:25], s[4:5], 0x38
	v_lshlrev_b32_e32 v10, 2, v0
	v_mbcnt_lo_u32_b32 v1, -1, 0
	s_waitcnt lgkmcnt(0)
	s_lshl_b64 s[8:9], s[16:17], 2
	s_add_u32 s10, s0, s8
	s_addc_u32 s11, s1, s9
	s_add_u32 s12, s2, s8
	s_addc_u32 s13, s3, s9
	s_lshl_b32 s0, s6, 10
	s_mov_b32 s1, 0
	s_lshr_b64 s[2:3], s[18:19], 10
	s_lshl_b64 s[8:9], s[0:1], 2
	s_add_u32 s14, s10, s8
	s_addc_u32 s15, s11, s9
	s_add_u32 s16, s12, s8
	s_mov_b32 s7, s1
	s_addc_u32 s17, s13, s9
	s_cmp_lg_u64 s[2:3], s[6:7]
	s_cbranch_scc0 .LBB1890_6
; %bb.1:
	global_load_dword v2, v10, s[14:15]
	global_load_dword v5, v10, s[16:17]
	global_load_dword v6, v10, s[14:15] offset:1024
	global_load_dword v7, v10, s[16:17] offset:1024
	;; [unrolled: 1-line block ×14, first 2 shown]
	v_mbcnt_hi_u32_b32 v3, -1, v1
	v_lshlrev_b32_e32 v4, 2, v3
	s_waitcnt vmcnt(14)
	v_cmp_neq_f32_e32 vcc, v2, v5
	v_cndmask_b32_e64 v2, 0, 1, vcc
	s_waitcnt vmcnt(12)
	v_cmp_neq_f32_e32 vcc, v6, v7
	v_cndmask_b32_e64 v5, 0, 1, vcc
	;; [unrolled: 3-line block ×4, first 2 shown]
	s_waitcnt vmcnt(6)
	v_cmp_neq_f32_e32 vcc, v13, v14
	v_addc_co_u32_e32 v2, vcc, 0, v2, vcc
	s_waitcnt vmcnt(4)
	v_cmp_neq_f32_e32 vcc, v15, v16
	v_addc_co_u32_e32 v2, vcc, v2, v5, vcc
	;; [unrolled: 3-line block ×4, first 2 shown]
	v_or_b32_e32 v5, 0xfc, v4
	s_nop 0
	v_add_u32_dpp v2, v2, v2 quad_perm:[1,0,3,2] row_mask:0xf bank_mask:0xf bound_ctrl:1
	v_cmp_eq_u32_e32 vcc, 0, v3
	s_nop 0
	v_add_u32_dpp v2, v2, v2 quad_perm:[2,3,0,1] row_mask:0xf bank_mask:0xf bound_ctrl:1
	s_nop 1
	v_add_u32_dpp v2, v2, v2 row_ror:4 row_mask:0xf bank_mask:0xf bound_ctrl:1
	s_nop 1
	v_add_u32_dpp v2, v2, v2 row_ror:8 row_mask:0xf bank_mask:0xf bound_ctrl:1
	s_nop 1
	v_add_u32_dpp v2, v2, v2 row_bcast:15 row_mask:0xf bank_mask:0xf bound_ctrl:1
	s_nop 1
	v_add_u32_dpp v2, v2, v2 row_bcast:31 row_mask:0xf bank_mask:0xf bound_ctrl:1
	ds_bpermute_b32 v2, v5, v2
	s_and_saveexec_b64 s[2:3], vcc
	s_cbranch_execz .LBB1890_3
; %bb.2:
	v_lshrrev_b32_e32 v5, 4, v0
	v_and_b32_e32 v5, 4, v5
	s_waitcnt lgkmcnt(0)
	ds_write_b32 v5, v2
.LBB1890_3:
	s_or_b64 exec, exec, s[2:3]
	v_cmp_gt_u32_e32 vcc, 64, v0
	s_waitcnt lgkmcnt(0)
	s_barrier
	s_and_saveexec_b64 s[2:3], vcc
	s_cbranch_execz .LBB1890_5
; %bb.4:
	v_and_b32_e32 v2, 1, v3
	v_lshlrev_b32_e32 v2, 2, v2
	ds_read_b32 v2, v2
	v_or_b32_e32 v3, 4, v4
	s_waitcnt lgkmcnt(0)
	ds_bpermute_b32 v3, v3, v2
	s_waitcnt lgkmcnt(0)
	v_add_u32_e32 v2, v3, v2
.LBB1890_5:
	s_or_b64 exec, exec, s[2:3]
	s_load_dword s28, s[4:5], 0x40
	s_branch .LBB1890_28
.LBB1890_6:
                                        ; implicit-def: $vgpr2
	s_load_dword s28, s[4:5], 0x40
	s_cbranch_execz .LBB1890_28
; %bb.7:
	s_sub_i32 s29, s18, s0
	v_cmp_gt_u32_e32 vcc, s29, v0
                                        ; implicit-def: $vgpr2_vgpr3_vgpr4_vgpr5_vgpr6_vgpr7_vgpr8_vgpr9
	s_and_saveexec_b64 s[0:1], vcc
	s_cbranch_execz .LBB1890_9
; %bb.8:
	global_load_dword v2, v10, s[14:15]
	global_load_dword v3, v10, s[16:17]
	s_waitcnt vmcnt(0)
	v_cmp_neq_f32_e32 vcc, v2, v3
	v_cndmask_b32_e64 v2, 0, 1, vcc
.LBB1890_9:
	s_or_b64 exec, exec, s[0:1]
	v_or_b32_e32 v11, 0x80, v0
	v_cmp_gt_u32_e32 vcc, s29, v11
	s_and_saveexec_b64 s[2:3], vcc
	s_cbranch_execz .LBB1890_11
; %bb.10:
	global_load_dword v3, v10, s[14:15] offset:512
	global_load_dword v11, v10, s[16:17] offset:512
	s_waitcnt vmcnt(0)
	v_cmp_neq_f32_e64 s[0:1], v3, v11
	v_cndmask_b32_e64 v3, 0, 1, s[0:1]
.LBB1890_11:
	s_or_b64 exec, exec, s[2:3]
	v_or_b32_e32 v11, 0x100, v0
	v_cmp_gt_u32_e64 s[0:1], s29, v11
	s_and_saveexec_b64 s[4:5], s[0:1]
	s_cbranch_execz .LBB1890_13
; %bb.12:
	global_load_dword v4, v10, s[14:15] offset:1024
	global_load_dword v11, v10, s[16:17] offset:1024
	s_waitcnt vmcnt(0)
	v_cmp_neq_f32_e64 s[2:3], v4, v11
	v_cndmask_b32_e64 v4, 0, 1, s[2:3]
.LBB1890_13:
	s_or_b64 exec, exec, s[4:5]
	v_or_b32_e32 v11, 0x180, v0
	v_cmp_gt_u32_e64 s[2:3], s29, v11
	s_and_saveexec_b64 s[8:9], s[2:3]
	;; [unrolled: 12-line block ×6, first 2 shown]
	s_cbranch_execz .LBB1890_23
; %bb.22:
	global_load_dword v9, v10, s[14:15] offset:3584
	global_load_dword v11, v10, s[16:17] offset:3584
	s_waitcnt vmcnt(0)
	v_cmp_neq_f32_e64 s[14:15], v9, v11
	v_cndmask_b32_e64 v9, 0, 1, s[14:15]
.LBB1890_23:
	s_or_b64 exec, exec, s[26:27]
	v_cndmask_b32_e32 v3, 0, v3, vcc
	v_add_u32_e32 v2, v3, v2
	v_cndmask_b32_e64 v3, 0, v4, s[0:1]
	v_cndmask_b32_e64 v4, 0, v5, s[2:3]
	v_add3_u32 v2, v2, v3, v4
	v_cndmask_b32_e64 v3, 0, v6, s[4:5]
	v_cndmask_b32_e64 v4, 0, v7, s[8:9]
	v_add3_u32 v2, v2, v3, v4
	v_cndmask_b32_e64 v3, 0, v8, s[10:11]
	v_cndmask_b32_e64 v4, 0, v9, s[12:13]
	v_mbcnt_hi_u32_b32 v1, -1, v1
	v_add3_u32 v2, v2, v3, v4
	v_and_b32_e32 v3, 63, v1
	v_cmp_ne_u32_e32 vcc, 63, v3
	v_addc_co_u32_e32 v4, vcc, 0, v1, vcc
	v_lshlrev_b32_e32 v4, 2, v4
	ds_bpermute_b32 v4, v4, v2
	s_min_u32 s2, s29, 0x80
	v_and_b32_e32 v5, 64, v0
	v_sub_u32_e64 v5, s2, v5 clamp
	v_add_u32_e32 v6, 1, v3
	v_cmp_lt_u32_e32 vcc, v6, v5
	s_waitcnt lgkmcnt(0)
	v_cndmask_b32_e32 v4, 0, v4, vcc
	v_cmp_gt_u32_e32 vcc, 62, v3
	v_add_u32_e32 v2, v2, v4
	v_cndmask_b32_e64 v4, 0, 1, vcc
	v_lshlrev_b32_e32 v4, 1, v4
	v_add_lshl_u32 v4, v4, v1, 2
	ds_bpermute_b32 v4, v4, v2
	v_add_u32_e32 v6, 2, v3
	v_cmp_lt_u32_e32 vcc, v6, v5
	v_add_u32_e32 v6, 4, v3
	s_waitcnt lgkmcnt(0)
	v_cndmask_b32_e32 v4, 0, v4, vcc
	v_cmp_gt_u32_e32 vcc, 60, v3
	v_add_u32_e32 v2, v2, v4
	v_cndmask_b32_e64 v4, 0, 1, vcc
	v_lshlrev_b32_e32 v4, 2, v4
	v_add_lshl_u32 v4, v4, v1, 2
	ds_bpermute_b32 v4, v4, v2
	v_cmp_lt_u32_e32 vcc, v6, v5
	v_add_u32_e32 v6, 8, v3
	s_waitcnt lgkmcnt(0)
	v_cndmask_b32_e32 v4, 0, v4, vcc
	v_cmp_gt_u32_e32 vcc, 56, v3
	v_add_u32_e32 v2, v2, v4
	v_cndmask_b32_e64 v4, 0, 1, vcc
	v_lshlrev_b32_e32 v4, 3, v4
	v_add_lshl_u32 v4, v4, v1, 2
	ds_bpermute_b32 v4, v4, v2
	;; [unrolled: 10-line block ×3, first 2 shown]
	v_cmp_lt_u32_e32 vcc, v6, v5
	s_waitcnt lgkmcnt(0)
	v_cndmask_b32_e32 v4, 0, v4, vcc
	v_cmp_gt_u32_e32 vcc, 32, v3
	v_add_u32_e32 v2, v2, v4
	v_cndmask_b32_e64 v4, 0, 1, vcc
	v_lshlrev_b32_e32 v4, 5, v4
	v_add_lshl_u32 v4, v4, v1, 2
	ds_bpermute_b32 v4, v4, v2
	v_add_u32_e32 v3, 32, v3
	v_cmp_lt_u32_e32 vcc, v3, v5
	s_waitcnt lgkmcnt(0)
	v_cndmask_b32_e32 v3, 0, v4, vcc
	v_add_u32_e32 v2, v2, v3
	v_cmp_eq_u32_e32 vcc, 0, v1
	s_and_saveexec_b64 s[0:1], vcc
	s_cbranch_execz .LBB1890_25
; %bb.24:
	v_lshrrev_b32_e32 v3, 4, v0
	v_and_b32_e32 v3, 4, v3
	ds_write_b32 v3, v2 offset:8
.LBB1890_25:
	s_or_b64 exec, exec, s[0:1]
	v_cmp_gt_u32_e32 vcc, 2, v0
	s_waitcnt lgkmcnt(0)
	s_barrier
	s_and_saveexec_b64 s[0:1], vcc
	s_cbranch_execz .LBB1890_27
; %bb.26:
	v_lshlrev_b32_e32 v2, 2, v1
	ds_read_b32 v3, v2 offset:8
	v_or_b32_e32 v2, 4, v2
	s_add_i32 s2, s2, 63
	v_and_b32_e32 v1, 1, v1
	s_lshr_b32 s2, s2, 6
	s_waitcnt lgkmcnt(0)
	ds_bpermute_b32 v2, v2, v3
	v_add_u32_e32 v1, 1, v1
	v_cmp_gt_u32_e32 vcc, s2, v1
	s_waitcnt lgkmcnt(0)
	v_cndmask_b32_e32 v1, 0, v2, vcc
	v_add_u32_e32 v2, v1, v3
.LBB1890_27:
	s_or_b64 exec, exec, s[0:1]
.LBB1890_28:
	v_cmp_eq_u32_e32 vcc, 0, v0
	s_and_saveexec_b64 s[0:1], vcc
	s_cbranch_execnz .LBB1890_30
; %bb.29:
	s_endpgm
.LBB1890_30:
	s_mul_i32 s0, s24, s23
	s_mul_hi_u32 s1, s24, s22
	s_add_i32 s0, s1, s0
	s_mul_i32 s1, s25, s22
	s_add_i32 s1, s0, s1
	s_mul_i32 s0, s24, s22
	s_lshl_b64 s[0:1], s[0:1], 2
	s_add_u32 s2, s20, s0
	s_addc_u32 s3, s21, s1
	s_cmp_eq_u64 s[18:19], 0
	s_cselect_b64 vcc, -1, 0
	s_lshl_b64 s[0:1], s[6:7], 2
	s_waitcnt lgkmcnt(0)
	v_mov_b32_e32 v0, s28
	s_add_u32 s0, s2, s0
	v_cndmask_b32_e32 v0, v2, v0, vcc
	s_addc_u32 s1, s3, s1
	v_mov_b32_e32 v1, 0
	global_store_dword v1, v0, s[0:1]
	s_endpgm
	.section	.rodata,"a",@progbits
	.p2align	6, 0x0
	.amdhsa_kernel _ZN7rocprim17ROCPRIM_400000_NS6detail17trampoline_kernelINS0_14default_configENS1_22reduce_config_selectorIiEEZNS1_11reduce_implILb1ES3_N6thrust23THRUST_200600_302600_NS11hip_rocprim35transform_pair_of_input_iterators_tIiPfSB_NS8_12not_equal_toIfEEEEPiiNS8_4plusIiEEEE10hipError_tPvRmT1_T2_T3_mT4_P12ihipStream_tbEUlT_E0_NS1_11comp_targetILNS1_3genE4ELNS1_11target_archE910ELNS1_3gpuE8ELNS1_3repE0EEENS1_30default_config_static_selectorELNS0_4arch9wavefront6targetE1EEEvSL_
		.amdhsa_group_segment_fixed_size 16
		.amdhsa_private_segment_fixed_size 0
		.amdhsa_kernarg_size 72
		.amdhsa_user_sgpr_count 6
		.amdhsa_user_sgpr_private_segment_buffer 1
		.amdhsa_user_sgpr_dispatch_ptr 0
		.amdhsa_user_sgpr_queue_ptr 0
		.amdhsa_user_sgpr_kernarg_segment_ptr 1
		.amdhsa_user_sgpr_dispatch_id 0
		.amdhsa_user_sgpr_flat_scratch_init 0
		.amdhsa_user_sgpr_kernarg_preload_length 0
		.amdhsa_user_sgpr_kernarg_preload_offset 0
		.amdhsa_user_sgpr_private_segment_size 0
		.amdhsa_uses_dynamic_stack 0
		.amdhsa_system_sgpr_private_segment_wavefront_offset 0
		.amdhsa_system_sgpr_workgroup_id_x 1
		.amdhsa_system_sgpr_workgroup_id_y 0
		.amdhsa_system_sgpr_workgroup_id_z 0
		.amdhsa_system_sgpr_workgroup_info 0
		.amdhsa_system_vgpr_workitem_id 0
		.amdhsa_next_free_vgpr 21
		.amdhsa_next_free_sgpr 30
		.amdhsa_accum_offset 24
		.amdhsa_reserve_vcc 1
		.amdhsa_reserve_flat_scratch 0
		.amdhsa_float_round_mode_32 0
		.amdhsa_float_round_mode_16_64 0
		.amdhsa_float_denorm_mode_32 3
		.amdhsa_float_denorm_mode_16_64 3
		.amdhsa_dx10_clamp 1
		.amdhsa_ieee_mode 1
		.amdhsa_fp16_overflow 0
		.amdhsa_tg_split 0
		.amdhsa_exception_fp_ieee_invalid_op 0
		.amdhsa_exception_fp_denorm_src 0
		.amdhsa_exception_fp_ieee_div_zero 0
		.amdhsa_exception_fp_ieee_overflow 0
		.amdhsa_exception_fp_ieee_underflow 0
		.amdhsa_exception_fp_ieee_inexact 0
		.amdhsa_exception_int_div_zero 0
	.end_amdhsa_kernel
	.section	.text._ZN7rocprim17ROCPRIM_400000_NS6detail17trampoline_kernelINS0_14default_configENS1_22reduce_config_selectorIiEEZNS1_11reduce_implILb1ES3_N6thrust23THRUST_200600_302600_NS11hip_rocprim35transform_pair_of_input_iterators_tIiPfSB_NS8_12not_equal_toIfEEEEPiiNS8_4plusIiEEEE10hipError_tPvRmT1_T2_T3_mT4_P12ihipStream_tbEUlT_E0_NS1_11comp_targetILNS1_3genE4ELNS1_11target_archE910ELNS1_3gpuE8ELNS1_3repE0EEENS1_30default_config_static_selectorELNS0_4arch9wavefront6targetE1EEEvSL_,"axG",@progbits,_ZN7rocprim17ROCPRIM_400000_NS6detail17trampoline_kernelINS0_14default_configENS1_22reduce_config_selectorIiEEZNS1_11reduce_implILb1ES3_N6thrust23THRUST_200600_302600_NS11hip_rocprim35transform_pair_of_input_iterators_tIiPfSB_NS8_12not_equal_toIfEEEEPiiNS8_4plusIiEEEE10hipError_tPvRmT1_T2_T3_mT4_P12ihipStream_tbEUlT_E0_NS1_11comp_targetILNS1_3genE4ELNS1_11target_archE910ELNS1_3gpuE8ELNS1_3repE0EEENS1_30default_config_static_selectorELNS0_4arch9wavefront6targetE1EEEvSL_,comdat
.Lfunc_end1890:
	.size	_ZN7rocprim17ROCPRIM_400000_NS6detail17trampoline_kernelINS0_14default_configENS1_22reduce_config_selectorIiEEZNS1_11reduce_implILb1ES3_N6thrust23THRUST_200600_302600_NS11hip_rocprim35transform_pair_of_input_iterators_tIiPfSB_NS8_12not_equal_toIfEEEEPiiNS8_4plusIiEEEE10hipError_tPvRmT1_T2_T3_mT4_P12ihipStream_tbEUlT_E0_NS1_11comp_targetILNS1_3genE4ELNS1_11target_archE910ELNS1_3gpuE8ELNS1_3repE0EEENS1_30default_config_static_selectorELNS0_4arch9wavefront6targetE1EEEvSL_, .Lfunc_end1890-_ZN7rocprim17ROCPRIM_400000_NS6detail17trampoline_kernelINS0_14default_configENS1_22reduce_config_selectorIiEEZNS1_11reduce_implILb1ES3_N6thrust23THRUST_200600_302600_NS11hip_rocprim35transform_pair_of_input_iterators_tIiPfSB_NS8_12not_equal_toIfEEEEPiiNS8_4plusIiEEEE10hipError_tPvRmT1_T2_T3_mT4_P12ihipStream_tbEUlT_E0_NS1_11comp_targetILNS1_3genE4ELNS1_11target_archE910ELNS1_3gpuE8ELNS1_3repE0EEENS1_30default_config_static_selectorELNS0_4arch9wavefront6targetE1EEEvSL_
                                        ; -- End function
	.section	.AMDGPU.csdata,"",@progbits
; Kernel info:
; codeLenInByte = 1692
; NumSgprs: 34
; NumVgprs: 21
; NumAgprs: 0
; TotalNumVgprs: 21
; ScratchSize: 0
; MemoryBound: 0
; FloatMode: 240
; IeeeMode: 1
; LDSByteSize: 16 bytes/workgroup (compile time only)
; SGPRBlocks: 4
; VGPRBlocks: 2
; NumSGPRsForWavesPerEU: 34
; NumVGPRsForWavesPerEU: 21
; AccumOffset: 24
; Occupancy: 8
; WaveLimiterHint : 0
; COMPUTE_PGM_RSRC2:SCRATCH_EN: 0
; COMPUTE_PGM_RSRC2:USER_SGPR: 6
; COMPUTE_PGM_RSRC2:TRAP_HANDLER: 0
; COMPUTE_PGM_RSRC2:TGID_X_EN: 1
; COMPUTE_PGM_RSRC2:TGID_Y_EN: 0
; COMPUTE_PGM_RSRC2:TGID_Z_EN: 0
; COMPUTE_PGM_RSRC2:TIDIG_COMP_CNT: 0
; COMPUTE_PGM_RSRC3_GFX90A:ACCUM_OFFSET: 5
; COMPUTE_PGM_RSRC3_GFX90A:TG_SPLIT: 0
	.section	.text._ZN7rocprim17ROCPRIM_400000_NS6detail17trampoline_kernelINS0_14default_configENS1_22reduce_config_selectorIiEEZNS1_11reduce_implILb1ES3_N6thrust23THRUST_200600_302600_NS11hip_rocprim35transform_pair_of_input_iterators_tIiPfSB_NS8_12not_equal_toIfEEEEPiiNS8_4plusIiEEEE10hipError_tPvRmT1_T2_T3_mT4_P12ihipStream_tbEUlT_E0_NS1_11comp_targetILNS1_3genE3ELNS1_11target_archE908ELNS1_3gpuE7ELNS1_3repE0EEENS1_30default_config_static_selectorELNS0_4arch9wavefront6targetE1EEEvSL_,"axG",@progbits,_ZN7rocprim17ROCPRIM_400000_NS6detail17trampoline_kernelINS0_14default_configENS1_22reduce_config_selectorIiEEZNS1_11reduce_implILb1ES3_N6thrust23THRUST_200600_302600_NS11hip_rocprim35transform_pair_of_input_iterators_tIiPfSB_NS8_12not_equal_toIfEEEEPiiNS8_4plusIiEEEE10hipError_tPvRmT1_T2_T3_mT4_P12ihipStream_tbEUlT_E0_NS1_11comp_targetILNS1_3genE3ELNS1_11target_archE908ELNS1_3gpuE7ELNS1_3repE0EEENS1_30default_config_static_selectorELNS0_4arch9wavefront6targetE1EEEvSL_,comdat
	.protected	_ZN7rocprim17ROCPRIM_400000_NS6detail17trampoline_kernelINS0_14default_configENS1_22reduce_config_selectorIiEEZNS1_11reduce_implILb1ES3_N6thrust23THRUST_200600_302600_NS11hip_rocprim35transform_pair_of_input_iterators_tIiPfSB_NS8_12not_equal_toIfEEEEPiiNS8_4plusIiEEEE10hipError_tPvRmT1_T2_T3_mT4_P12ihipStream_tbEUlT_E0_NS1_11comp_targetILNS1_3genE3ELNS1_11target_archE908ELNS1_3gpuE7ELNS1_3repE0EEENS1_30default_config_static_selectorELNS0_4arch9wavefront6targetE1EEEvSL_ ; -- Begin function _ZN7rocprim17ROCPRIM_400000_NS6detail17trampoline_kernelINS0_14default_configENS1_22reduce_config_selectorIiEEZNS1_11reduce_implILb1ES3_N6thrust23THRUST_200600_302600_NS11hip_rocprim35transform_pair_of_input_iterators_tIiPfSB_NS8_12not_equal_toIfEEEEPiiNS8_4plusIiEEEE10hipError_tPvRmT1_T2_T3_mT4_P12ihipStream_tbEUlT_E0_NS1_11comp_targetILNS1_3genE3ELNS1_11target_archE908ELNS1_3gpuE7ELNS1_3repE0EEENS1_30default_config_static_selectorELNS0_4arch9wavefront6targetE1EEEvSL_
	.globl	_ZN7rocprim17ROCPRIM_400000_NS6detail17trampoline_kernelINS0_14default_configENS1_22reduce_config_selectorIiEEZNS1_11reduce_implILb1ES3_N6thrust23THRUST_200600_302600_NS11hip_rocprim35transform_pair_of_input_iterators_tIiPfSB_NS8_12not_equal_toIfEEEEPiiNS8_4plusIiEEEE10hipError_tPvRmT1_T2_T3_mT4_P12ihipStream_tbEUlT_E0_NS1_11comp_targetILNS1_3genE3ELNS1_11target_archE908ELNS1_3gpuE7ELNS1_3repE0EEENS1_30default_config_static_selectorELNS0_4arch9wavefront6targetE1EEEvSL_
	.p2align	8
	.type	_ZN7rocprim17ROCPRIM_400000_NS6detail17trampoline_kernelINS0_14default_configENS1_22reduce_config_selectorIiEEZNS1_11reduce_implILb1ES3_N6thrust23THRUST_200600_302600_NS11hip_rocprim35transform_pair_of_input_iterators_tIiPfSB_NS8_12not_equal_toIfEEEEPiiNS8_4plusIiEEEE10hipError_tPvRmT1_T2_T3_mT4_P12ihipStream_tbEUlT_E0_NS1_11comp_targetILNS1_3genE3ELNS1_11target_archE908ELNS1_3gpuE7ELNS1_3repE0EEENS1_30default_config_static_selectorELNS0_4arch9wavefront6targetE1EEEvSL_,@function
_ZN7rocprim17ROCPRIM_400000_NS6detail17trampoline_kernelINS0_14default_configENS1_22reduce_config_selectorIiEEZNS1_11reduce_implILb1ES3_N6thrust23THRUST_200600_302600_NS11hip_rocprim35transform_pair_of_input_iterators_tIiPfSB_NS8_12not_equal_toIfEEEEPiiNS8_4plusIiEEEE10hipError_tPvRmT1_T2_T3_mT4_P12ihipStream_tbEUlT_E0_NS1_11comp_targetILNS1_3genE3ELNS1_11target_archE908ELNS1_3gpuE7ELNS1_3repE0EEENS1_30default_config_static_selectorELNS0_4arch9wavefront6targetE1EEEvSL_: ; @_ZN7rocprim17ROCPRIM_400000_NS6detail17trampoline_kernelINS0_14default_configENS1_22reduce_config_selectorIiEEZNS1_11reduce_implILb1ES3_N6thrust23THRUST_200600_302600_NS11hip_rocprim35transform_pair_of_input_iterators_tIiPfSB_NS8_12not_equal_toIfEEEEPiiNS8_4plusIiEEEE10hipError_tPvRmT1_T2_T3_mT4_P12ihipStream_tbEUlT_E0_NS1_11comp_targetILNS1_3genE3ELNS1_11target_archE908ELNS1_3gpuE7ELNS1_3repE0EEENS1_30default_config_static_selectorELNS0_4arch9wavefront6targetE1EEEvSL_
; %bb.0:
	.section	.rodata,"a",@progbits
	.p2align	6, 0x0
	.amdhsa_kernel _ZN7rocprim17ROCPRIM_400000_NS6detail17trampoline_kernelINS0_14default_configENS1_22reduce_config_selectorIiEEZNS1_11reduce_implILb1ES3_N6thrust23THRUST_200600_302600_NS11hip_rocprim35transform_pair_of_input_iterators_tIiPfSB_NS8_12not_equal_toIfEEEEPiiNS8_4plusIiEEEE10hipError_tPvRmT1_T2_T3_mT4_P12ihipStream_tbEUlT_E0_NS1_11comp_targetILNS1_3genE3ELNS1_11target_archE908ELNS1_3gpuE7ELNS1_3repE0EEENS1_30default_config_static_selectorELNS0_4arch9wavefront6targetE1EEEvSL_
		.amdhsa_group_segment_fixed_size 0
		.amdhsa_private_segment_fixed_size 0
		.amdhsa_kernarg_size 72
		.amdhsa_user_sgpr_count 6
		.amdhsa_user_sgpr_private_segment_buffer 1
		.amdhsa_user_sgpr_dispatch_ptr 0
		.amdhsa_user_sgpr_queue_ptr 0
		.amdhsa_user_sgpr_kernarg_segment_ptr 1
		.amdhsa_user_sgpr_dispatch_id 0
		.amdhsa_user_sgpr_flat_scratch_init 0
		.amdhsa_user_sgpr_kernarg_preload_length 0
		.amdhsa_user_sgpr_kernarg_preload_offset 0
		.amdhsa_user_sgpr_private_segment_size 0
		.amdhsa_uses_dynamic_stack 0
		.amdhsa_system_sgpr_private_segment_wavefront_offset 0
		.amdhsa_system_sgpr_workgroup_id_x 1
		.amdhsa_system_sgpr_workgroup_id_y 0
		.amdhsa_system_sgpr_workgroup_id_z 0
		.amdhsa_system_sgpr_workgroup_info 0
		.amdhsa_system_vgpr_workitem_id 0
		.amdhsa_next_free_vgpr 1
		.amdhsa_next_free_sgpr 0
		.amdhsa_accum_offset 4
		.amdhsa_reserve_vcc 0
		.amdhsa_reserve_flat_scratch 0
		.amdhsa_float_round_mode_32 0
		.amdhsa_float_round_mode_16_64 0
		.amdhsa_float_denorm_mode_32 3
		.amdhsa_float_denorm_mode_16_64 3
		.amdhsa_dx10_clamp 1
		.amdhsa_ieee_mode 1
		.amdhsa_fp16_overflow 0
		.amdhsa_tg_split 0
		.amdhsa_exception_fp_ieee_invalid_op 0
		.amdhsa_exception_fp_denorm_src 0
		.amdhsa_exception_fp_ieee_div_zero 0
		.amdhsa_exception_fp_ieee_overflow 0
		.amdhsa_exception_fp_ieee_underflow 0
		.amdhsa_exception_fp_ieee_inexact 0
		.amdhsa_exception_int_div_zero 0
	.end_amdhsa_kernel
	.section	.text._ZN7rocprim17ROCPRIM_400000_NS6detail17trampoline_kernelINS0_14default_configENS1_22reduce_config_selectorIiEEZNS1_11reduce_implILb1ES3_N6thrust23THRUST_200600_302600_NS11hip_rocprim35transform_pair_of_input_iterators_tIiPfSB_NS8_12not_equal_toIfEEEEPiiNS8_4plusIiEEEE10hipError_tPvRmT1_T2_T3_mT4_P12ihipStream_tbEUlT_E0_NS1_11comp_targetILNS1_3genE3ELNS1_11target_archE908ELNS1_3gpuE7ELNS1_3repE0EEENS1_30default_config_static_selectorELNS0_4arch9wavefront6targetE1EEEvSL_,"axG",@progbits,_ZN7rocprim17ROCPRIM_400000_NS6detail17trampoline_kernelINS0_14default_configENS1_22reduce_config_selectorIiEEZNS1_11reduce_implILb1ES3_N6thrust23THRUST_200600_302600_NS11hip_rocprim35transform_pair_of_input_iterators_tIiPfSB_NS8_12not_equal_toIfEEEEPiiNS8_4plusIiEEEE10hipError_tPvRmT1_T2_T3_mT4_P12ihipStream_tbEUlT_E0_NS1_11comp_targetILNS1_3genE3ELNS1_11target_archE908ELNS1_3gpuE7ELNS1_3repE0EEENS1_30default_config_static_selectorELNS0_4arch9wavefront6targetE1EEEvSL_,comdat
.Lfunc_end1891:
	.size	_ZN7rocprim17ROCPRIM_400000_NS6detail17trampoline_kernelINS0_14default_configENS1_22reduce_config_selectorIiEEZNS1_11reduce_implILb1ES3_N6thrust23THRUST_200600_302600_NS11hip_rocprim35transform_pair_of_input_iterators_tIiPfSB_NS8_12not_equal_toIfEEEEPiiNS8_4plusIiEEEE10hipError_tPvRmT1_T2_T3_mT4_P12ihipStream_tbEUlT_E0_NS1_11comp_targetILNS1_3genE3ELNS1_11target_archE908ELNS1_3gpuE7ELNS1_3repE0EEENS1_30default_config_static_selectorELNS0_4arch9wavefront6targetE1EEEvSL_, .Lfunc_end1891-_ZN7rocprim17ROCPRIM_400000_NS6detail17trampoline_kernelINS0_14default_configENS1_22reduce_config_selectorIiEEZNS1_11reduce_implILb1ES3_N6thrust23THRUST_200600_302600_NS11hip_rocprim35transform_pair_of_input_iterators_tIiPfSB_NS8_12not_equal_toIfEEEEPiiNS8_4plusIiEEEE10hipError_tPvRmT1_T2_T3_mT4_P12ihipStream_tbEUlT_E0_NS1_11comp_targetILNS1_3genE3ELNS1_11target_archE908ELNS1_3gpuE7ELNS1_3repE0EEENS1_30default_config_static_selectorELNS0_4arch9wavefront6targetE1EEEvSL_
                                        ; -- End function
	.section	.AMDGPU.csdata,"",@progbits
; Kernel info:
; codeLenInByte = 0
; NumSgprs: 4
; NumVgprs: 0
; NumAgprs: 0
; TotalNumVgprs: 0
; ScratchSize: 0
; MemoryBound: 0
; FloatMode: 240
; IeeeMode: 1
; LDSByteSize: 0 bytes/workgroup (compile time only)
; SGPRBlocks: 0
; VGPRBlocks: 0
; NumSGPRsForWavesPerEU: 4
; NumVGPRsForWavesPerEU: 1
; AccumOffset: 4
; Occupancy: 8
; WaveLimiterHint : 0
; COMPUTE_PGM_RSRC2:SCRATCH_EN: 0
; COMPUTE_PGM_RSRC2:USER_SGPR: 6
; COMPUTE_PGM_RSRC2:TRAP_HANDLER: 0
; COMPUTE_PGM_RSRC2:TGID_X_EN: 1
; COMPUTE_PGM_RSRC2:TGID_Y_EN: 0
; COMPUTE_PGM_RSRC2:TGID_Z_EN: 0
; COMPUTE_PGM_RSRC2:TIDIG_COMP_CNT: 0
; COMPUTE_PGM_RSRC3_GFX90A:ACCUM_OFFSET: 0
; COMPUTE_PGM_RSRC3_GFX90A:TG_SPLIT: 0
	.section	.text._ZN7rocprim17ROCPRIM_400000_NS6detail17trampoline_kernelINS0_14default_configENS1_22reduce_config_selectorIiEEZNS1_11reduce_implILb1ES3_N6thrust23THRUST_200600_302600_NS11hip_rocprim35transform_pair_of_input_iterators_tIiPfSB_NS8_12not_equal_toIfEEEEPiiNS8_4plusIiEEEE10hipError_tPvRmT1_T2_T3_mT4_P12ihipStream_tbEUlT_E0_NS1_11comp_targetILNS1_3genE2ELNS1_11target_archE906ELNS1_3gpuE6ELNS1_3repE0EEENS1_30default_config_static_selectorELNS0_4arch9wavefront6targetE1EEEvSL_,"axG",@progbits,_ZN7rocprim17ROCPRIM_400000_NS6detail17trampoline_kernelINS0_14default_configENS1_22reduce_config_selectorIiEEZNS1_11reduce_implILb1ES3_N6thrust23THRUST_200600_302600_NS11hip_rocprim35transform_pair_of_input_iterators_tIiPfSB_NS8_12not_equal_toIfEEEEPiiNS8_4plusIiEEEE10hipError_tPvRmT1_T2_T3_mT4_P12ihipStream_tbEUlT_E0_NS1_11comp_targetILNS1_3genE2ELNS1_11target_archE906ELNS1_3gpuE6ELNS1_3repE0EEENS1_30default_config_static_selectorELNS0_4arch9wavefront6targetE1EEEvSL_,comdat
	.protected	_ZN7rocprim17ROCPRIM_400000_NS6detail17trampoline_kernelINS0_14default_configENS1_22reduce_config_selectorIiEEZNS1_11reduce_implILb1ES3_N6thrust23THRUST_200600_302600_NS11hip_rocprim35transform_pair_of_input_iterators_tIiPfSB_NS8_12not_equal_toIfEEEEPiiNS8_4plusIiEEEE10hipError_tPvRmT1_T2_T3_mT4_P12ihipStream_tbEUlT_E0_NS1_11comp_targetILNS1_3genE2ELNS1_11target_archE906ELNS1_3gpuE6ELNS1_3repE0EEENS1_30default_config_static_selectorELNS0_4arch9wavefront6targetE1EEEvSL_ ; -- Begin function _ZN7rocprim17ROCPRIM_400000_NS6detail17trampoline_kernelINS0_14default_configENS1_22reduce_config_selectorIiEEZNS1_11reduce_implILb1ES3_N6thrust23THRUST_200600_302600_NS11hip_rocprim35transform_pair_of_input_iterators_tIiPfSB_NS8_12not_equal_toIfEEEEPiiNS8_4plusIiEEEE10hipError_tPvRmT1_T2_T3_mT4_P12ihipStream_tbEUlT_E0_NS1_11comp_targetILNS1_3genE2ELNS1_11target_archE906ELNS1_3gpuE6ELNS1_3repE0EEENS1_30default_config_static_selectorELNS0_4arch9wavefront6targetE1EEEvSL_
	.globl	_ZN7rocprim17ROCPRIM_400000_NS6detail17trampoline_kernelINS0_14default_configENS1_22reduce_config_selectorIiEEZNS1_11reduce_implILb1ES3_N6thrust23THRUST_200600_302600_NS11hip_rocprim35transform_pair_of_input_iterators_tIiPfSB_NS8_12not_equal_toIfEEEEPiiNS8_4plusIiEEEE10hipError_tPvRmT1_T2_T3_mT4_P12ihipStream_tbEUlT_E0_NS1_11comp_targetILNS1_3genE2ELNS1_11target_archE906ELNS1_3gpuE6ELNS1_3repE0EEENS1_30default_config_static_selectorELNS0_4arch9wavefront6targetE1EEEvSL_
	.p2align	8
	.type	_ZN7rocprim17ROCPRIM_400000_NS6detail17trampoline_kernelINS0_14default_configENS1_22reduce_config_selectorIiEEZNS1_11reduce_implILb1ES3_N6thrust23THRUST_200600_302600_NS11hip_rocprim35transform_pair_of_input_iterators_tIiPfSB_NS8_12not_equal_toIfEEEEPiiNS8_4plusIiEEEE10hipError_tPvRmT1_T2_T3_mT4_P12ihipStream_tbEUlT_E0_NS1_11comp_targetILNS1_3genE2ELNS1_11target_archE906ELNS1_3gpuE6ELNS1_3repE0EEENS1_30default_config_static_selectorELNS0_4arch9wavefront6targetE1EEEvSL_,@function
_ZN7rocprim17ROCPRIM_400000_NS6detail17trampoline_kernelINS0_14default_configENS1_22reduce_config_selectorIiEEZNS1_11reduce_implILb1ES3_N6thrust23THRUST_200600_302600_NS11hip_rocprim35transform_pair_of_input_iterators_tIiPfSB_NS8_12not_equal_toIfEEEEPiiNS8_4plusIiEEEE10hipError_tPvRmT1_T2_T3_mT4_P12ihipStream_tbEUlT_E0_NS1_11comp_targetILNS1_3genE2ELNS1_11target_archE906ELNS1_3gpuE6ELNS1_3repE0EEENS1_30default_config_static_selectorELNS0_4arch9wavefront6targetE1EEEvSL_: ; @_ZN7rocprim17ROCPRIM_400000_NS6detail17trampoline_kernelINS0_14default_configENS1_22reduce_config_selectorIiEEZNS1_11reduce_implILb1ES3_N6thrust23THRUST_200600_302600_NS11hip_rocprim35transform_pair_of_input_iterators_tIiPfSB_NS8_12not_equal_toIfEEEEPiiNS8_4plusIiEEEE10hipError_tPvRmT1_T2_T3_mT4_P12ihipStream_tbEUlT_E0_NS1_11comp_targetILNS1_3genE2ELNS1_11target_archE906ELNS1_3gpuE6ELNS1_3repE0EEENS1_30default_config_static_selectorELNS0_4arch9wavefront6targetE1EEEvSL_
; %bb.0:
	.section	.rodata,"a",@progbits
	.p2align	6, 0x0
	.amdhsa_kernel _ZN7rocprim17ROCPRIM_400000_NS6detail17trampoline_kernelINS0_14default_configENS1_22reduce_config_selectorIiEEZNS1_11reduce_implILb1ES3_N6thrust23THRUST_200600_302600_NS11hip_rocprim35transform_pair_of_input_iterators_tIiPfSB_NS8_12not_equal_toIfEEEEPiiNS8_4plusIiEEEE10hipError_tPvRmT1_T2_T3_mT4_P12ihipStream_tbEUlT_E0_NS1_11comp_targetILNS1_3genE2ELNS1_11target_archE906ELNS1_3gpuE6ELNS1_3repE0EEENS1_30default_config_static_selectorELNS0_4arch9wavefront6targetE1EEEvSL_
		.amdhsa_group_segment_fixed_size 0
		.amdhsa_private_segment_fixed_size 0
		.amdhsa_kernarg_size 72
		.amdhsa_user_sgpr_count 6
		.amdhsa_user_sgpr_private_segment_buffer 1
		.amdhsa_user_sgpr_dispatch_ptr 0
		.amdhsa_user_sgpr_queue_ptr 0
		.amdhsa_user_sgpr_kernarg_segment_ptr 1
		.amdhsa_user_sgpr_dispatch_id 0
		.amdhsa_user_sgpr_flat_scratch_init 0
		.amdhsa_user_sgpr_kernarg_preload_length 0
		.amdhsa_user_sgpr_kernarg_preload_offset 0
		.amdhsa_user_sgpr_private_segment_size 0
		.amdhsa_uses_dynamic_stack 0
		.amdhsa_system_sgpr_private_segment_wavefront_offset 0
		.amdhsa_system_sgpr_workgroup_id_x 1
		.amdhsa_system_sgpr_workgroup_id_y 0
		.amdhsa_system_sgpr_workgroup_id_z 0
		.amdhsa_system_sgpr_workgroup_info 0
		.amdhsa_system_vgpr_workitem_id 0
		.amdhsa_next_free_vgpr 1
		.amdhsa_next_free_sgpr 0
		.amdhsa_accum_offset 4
		.amdhsa_reserve_vcc 0
		.amdhsa_reserve_flat_scratch 0
		.amdhsa_float_round_mode_32 0
		.amdhsa_float_round_mode_16_64 0
		.amdhsa_float_denorm_mode_32 3
		.amdhsa_float_denorm_mode_16_64 3
		.amdhsa_dx10_clamp 1
		.amdhsa_ieee_mode 1
		.amdhsa_fp16_overflow 0
		.amdhsa_tg_split 0
		.amdhsa_exception_fp_ieee_invalid_op 0
		.amdhsa_exception_fp_denorm_src 0
		.amdhsa_exception_fp_ieee_div_zero 0
		.amdhsa_exception_fp_ieee_overflow 0
		.amdhsa_exception_fp_ieee_underflow 0
		.amdhsa_exception_fp_ieee_inexact 0
		.amdhsa_exception_int_div_zero 0
	.end_amdhsa_kernel
	.section	.text._ZN7rocprim17ROCPRIM_400000_NS6detail17trampoline_kernelINS0_14default_configENS1_22reduce_config_selectorIiEEZNS1_11reduce_implILb1ES3_N6thrust23THRUST_200600_302600_NS11hip_rocprim35transform_pair_of_input_iterators_tIiPfSB_NS8_12not_equal_toIfEEEEPiiNS8_4plusIiEEEE10hipError_tPvRmT1_T2_T3_mT4_P12ihipStream_tbEUlT_E0_NS1_11comp_targetILNS1_3genE2ELNS1_11target_archE906ELNS1_3gpuE6ELNS1_3repE0EEENS1_30default_config_static_selectorELNS0_4arch9wavefront6targetE1EEEvSL_,"axG",@progbits,_ZN7rocprim17ROCPRIM_400000_NS6detail17trampoline_kernelINS0_14default_configENS1_22reduce_config_selectorIiEEZNS1_11reduce_implILb1ES3_N6thrust23THRUST_200600_302600_NS11hip_rocprim35transform_pair_of_input_iterators_tIiPfSB_NS8_12not_equal_toIfEEEEPiiNS8_4plusIiEEEE10hipError_tPvRmT1_T2_T3_mT4_P12ihipStream_tbEUlT_E0_NS1_11comp_targetILNS1_3genE2ELNS1_11target_archE906ELNS1_3gpuE6ELNS1_3repE0EEENS1_30default_config_static_selectorELNS0_4arch9wavefront6targetE1EEEvSL_,comdat
.Lfunc_end1892:
	.size	_ZN7rocprim17ROCPRIM_400000_NS6detail17trampoline_kernelINS0_14default_configENS1_22reduce_config_selectorIiEEZNS1_11reduce_implILb1ES3_N6thrust23THRUST_200600_302600_NS11hip_rocprim35transform_pair_of_input_iterators_tIiPfSB_NS8_12not_equal_toIfEEEEPiiNS8_4plusIiEEEE10hipError_tPvRmT1_T2_T3_mT4_P12ihipStream_tbEUlT_E0_NS1_11comp_targetILNS1_3genE2ELNS1_11target_archE906ELNS1_3gpuE6ELNS1_3repE0EEENS1_30default_config_static_selectorELNS0_4arch9wavefront6targetE1EEEvSL_, .Lfunc_end1892-_ZN7rocprim17ROCPRIM_400000_NS6detail17trampoline_kernelINS0_14default_configENS1_22reduce_config_selectorIiEEZNS1_11reduce_implILb1ES3_N6thrust23THRUST_200600_302600_NS11hip_rocprim35transform_pair_of_input_iterators_tIiPfSB_NS8_12not_equal_toIfEEEEPiiNS8_4plusIiEEEE10hipError_tPvRmT1_T2_T3_mT4_P12ihipStream_tbEUlT_E0_NS1_11comp_targetILNS1_3genE2ELNS1_11target_archE906ELNS1_3gpuE6ELNS1_3repE0EEENS1_30default_config_static_selectorELNS0_4arch9wavefront6targetE1EEEvSL_
                                        ; -- End function
	.section	.AMDGPU.csdata,"",@progbits
; Kernel info:
; codeLenInByte = 0
; NumSgprs: 4
; NumVgprs: 0
; NumAgprs: 0
; TotalNumVgprs: 0
; ScratchSize: 0
; MemoryBound: 0
; FloatMode: 240
; IeeeMode: 1
; LDSByteSize: 0 bytes/workgroup (compile time only)
; SGPRBlocks: 0
; VGPRBlocks: 0
; NumSGPRsForWavesPerEU: 4
; NumVGPRsForWavesPerEU: 1
; AccumOffset: 4
; Occupancy: 8
; WaveLimiterHint : 0
; COMPUTE_PGM_RSRC2:SCRATCH_EN: 0
; COMPUTE_PGM_RSRC2:USER_SGPR: 6
; COMPUTE_PGM_RSRC2:TRAP_HANDLER: 0
; COMPUTE_PGM_RSRC2:TGID_X_EN: 1
; COMPUTE_PGM_RSRC2:TGID_Y_EN: 0
; COMPUTE_PGM_RSRC2:TGID_Z_EN: 0
; COMPUTE_PGM_RSRC2:TIDIG_COMP_CNT: 0
; COMPUTE_PGM_RSRC3_GFX90A:ACCUM_OFFSET: 0
; COMPUTE_PGM_RSRC3_GFX90A:TG_SPLIT: 0
	.section	.text._ZN7rocprim17ROCPRIM_400000_NS6detail17trampoline_kernelINS0_14default_configENS1_22reduce_config_selectorIiEEZNS1_11reduce_implILb1ES3_N6thrust23THRUST_200600_302600_NS11hip_rocprim35transform_pair_of_input_iterators_tIiPfSB_NS8_12not_equal_toIfEEEEPiiNS8_4plusIiEEEE10hipError_tPvRmT1_T2_T3_mT4_P12ihipStream_tbEUlT_E0_NS1_11comp_targetILNS1_3genE10ELNS1_11target_archE1201ELNS1_3gpuE5ELNS1_3repE0EEENS1_30default_config_static_selectorELNS0_4arch9wavefront6targetE1EEEvSL_,"axG",@progbits,_ZN7rocprim17ROCPRIM_400000_NS6detail17trampoline_kernelINS0_14default_configENS1_22reduce_config_selectorIiEEZNS1_11reduce_implILb1ES3_N6thrust23THRUST_200600_302600_NS11hip_rocprim35transform_pair_of_input_iterators_tIiPfSB_NS8_12not_equal_toIfEEEEPiiNS8_4plusIiEEEE10hipError_tPvRmT1_T2_T3_mT4_P12ihipStream_tbEUlT_E0_NS1_11comp_targetILNS1_3genE10ELNS1_11target_archE1201ELNS1_3gpuE5ELNS1_3repE0EEENS1_30default_config_static_selectorELNS0_4arch9wavefront6targetE1EEEvSL_,comdat
	.protected	_ZN7rocprim17ROCPRIM_400000_NS6detail17trampoline_kernelINS0_14default_configENS1_22reduce_config_selectorIiEEZNS1_11reduce_implILb1ES3_N6thrust23THRUST_200600_302600_NS11hip_rocprim35transform_pair_of_input_iterators_tIiPfSB_NS8_12not_equal_toIfEEEEPiiNS8_4plusIiEEEE10hipError_tPvRmT1_T2_T3_mT4_P12ihipStream_tbEUlT_E0_NS1_11comp_targetILNS1_3genE10ELNS1_11target_archE1201ELNS1_3gpuE5ELNS1_3repE0EEENS1_30default_config_static_selectorELNS0_4arch9wavefront6targetE1EEEvSL_ ; -- Begin function _ZN7rocprim17ROCPRIM_400000_NS6detail17trampoline_kernelINS0_14default_configENS1_22reduce_config_selectorIiEEZNS1_11reduce_implILb1ES3_N6thrust23THRUST_200600_302600_NS11hip_rocprim35transform_pair_of_input_iterators_tIiPfSB_NS8_12not_equal_toIfEEEEPiiNS8_4plusIiEEEE10hipError_tPvRmT1_T2_T3_mT4_P12ihipStream_tbEUlT_E0_NS1_11comp_targetILNS1_3genE10ELNS1_11target_archE1201ELNS1_3gpuE5ELNS1_3repE0EEENS1_30default_config_static_selectorELNS0_4arch9wavefront6targetE1EEEvSL_
	.globl	_ZN7rocprim17ROCPRIM_400000_NS6detail17trampoline_kernelINS0_14default_configENS1_22reduce_config_selectorIiEEZNS1_11reduce_implILb1ES3_N6thrust23THRUST_200600_302600_NS11hip_rocprim35transform_pair_of_input_iterators_tIiPfSB_NS8_12not_equal_toIfEEEEPiiNS8_4plusIiEEEE10hipError_tPvRmT1_T2_T3_mT4_P12ihipStream_tbEUlT_E0_NS1_11comp_targetILNS1_3genE10ELNS1_11target_archE1201ELNS1_3gpuE5ELNS1_3repE0EEENS1_30default_config_static_selectorELNS0_4arch9wavefront6targetE1EEEvSL_
	.p2align	8
	.type	_ZN7rocprim17ROCPRIM_400000_NS6detail17trampoline_kernelINS0_14default_configENS1_22reduce_config_selectorIiEEZNS1_11reduce_implILb1ES3_N6thrust23THRUST_200600_302600_NS11hip_rocprim35transform_pair_of_input_iterators_tIiPfSB_NS8_12not_equal_toIfEEEEPiiNS8_4plusIiEEEE10hipError_tPvRmT1_T2_T3_mT4_P12ihipStream_tbEUlT_E0_NS1_11comp_targetILNS1_3genE10ELNS1_11target_archE1201ELNS1_3gpuE5ELNS1_3repE0EEENS1_30default_config_static_selectorELNS0_4arch9wavefront6targetE1EEEvSL_,@function
_ZN7rocprim17ROCPRIM_400000_NS6detail17trampoline_kernelINS0_14default_configENS1_22reduce_config_selectorIiEEZNS1_11reduce_implILb1ES3_N6thrust23THRUST_200600_302600_NS11hip_rocprim35transform_pair_of_input_iterators_tIiPfSB_NS8_12not_equal_toIfEEEEPiiNS8_4plusIiEEEE10hipError_tPvRmT1_T2_T3_mT4_P12ihipStream_tbEUlT_E0_NS1_11comp_targetILNS1_3genE10ELNS1_11target_archE1201ELNS1_3gpuE5ELNS1_3repE0EEENS1_30default_config_static_selectorELNS0_4arch9wavefront6targetE1EEEvSL_: ; @_ZN7rocprim17ROCPRIM_400000_NS6detail17trampoline_kernelINS0_14default_configENS1_22reduce_config_selectorIiEEZNS1_11reduce_implILb1ES3_N6thrust23THRUST_200600_302600_NS11hip_rocprim35transform_pair_of_input_iterators_tIiPfSB_NS8_12not_equal_toIfEEEEPiiNS8_4plusIiEEEE10hipError_tPvRmT1_T2_T3_mT4_P12ihipStream_tbEUlT_E0_NS1_11comp_targetILNS1_3genE10ELNS1_11target_archE1201ELNS1_3gpuE5ELNS1_3repE0EEENS1_30default_config_static_selectorELNS0_4arch9wavefront6targetE1EEEvSL_
; %bb.0:
	.section	.rodata,"a",@progbits
	.p2align	6, 0x0
	.amdhsa_kernel _ZN7rocprim17ROCPRIM_400000_NS6detail17trampoline_kernelINS0_14default_configENS1_22reduce_config_selectorIiEEZNS1_11reduce_implILb1ES3_N6thrust23THRUST_200600_302600_NS11hip_rocprim35transform_pair_of_input_iterators_tIiPfSB_NS8_12not_equal_toIfEEEEPiiNS8_4plusIiEEEE10hipError_tPvRmT1_T2_T3_mT4_P12ihipStream_tbEUlT_E0_NS1_11comp_targetILNS1_3genE10ELNS1_11target_archE1201ELNS1_3gpuE5ELNS1_3repE0EEENS1_30default_config_static_selectorELNS0_4arch9wavefront6targetE1EEEvSL_
		.amdhsa_group_segment_fixed_size 0
		.amdhsa_private_segment_fixed_size 0
		.amdhsa_kernarg_size 72
		.amdhsa_user_sgpr_count 6
		.amdhsa_user_sgpr_private_segment_buffer 1
		.amdhsa_user_sgpr_dispatch_ptr 0
		.amdhsa_user_sgpr_queue_ptr 0
		.amdhsa_user_sgpr_kernarg_segment_ptr 1
		.amdhsa_user_sgpr_dispatch_id 0
		.amdhsa_user_sgpr_flat_scratch_init 0
		.amdhsa_user_sgpr_kernarg_preload_length 0
		.amdhsa_user_sgpr_kernarg_preload_offset 0
		.amdhsa_user_sgpr_private_segment_size 0
		.amdhsa_uses_dynamic_stack 0
		.amdhsa_system_sgpr_private_segment_wavefront_offset 0
		.amdhsa_system_sgpr_workgroup_id_x 1
		.amdhsa_system_sgpr_workgroup_id_y 0
		.amdhsa_system_sgpr_workgroup_id_z 0
		.amdhsa_system_sgpr_workgroup_info 0
		.amdhsa_system_vgpr_workitem_id 0
		.amdhsa_next_free_vgpr 1
		.amdhsa_next_free_sgpr 0
		.amdhsa_accum_offset 4
		.amdhsa_reserve_vcc 0
		.amdhsa_reserve_flat_scratch 0
		.amdhsa_float_round_mode_32 0
		.amdhsa_float_round_mode_16_64 0
		.amdhsa_float_denorm_mode_32 3
		.amdhsa_float_denorm_mode_16_64 3
		.amdhsa_dx10_clamp 1
		.amdhsa_ieee_mode 1
		.amdhsa_fp16_overflow 0
		.amdhsa_tg_split 0
		.amdhsa_exception_fp_ieee_invalid_op 0
		.amdhsa_exception_fp_denorm_src 0
		.amdhsa_exception_fp_ieee_div_zero 0
		.amdhsa_exception_fp_ieee_overflow 0
		.amdhsa_exception_fp_ieee_underflow 0
		.amdhsa_exception_fp_ieee_inexact 0
		.amdhsa_exception_int_div_zero 0
	.end_amdhsa_kernel
	.section	.text._ZN7rocprim17ROCPRIM_400000_NS6detail17trampoline_kernelINS0_14default_configENS1_22reduce_config_selectorIiEEZNS1_11reduce_implILb1ES3_N6thrust23THRUST_200600_302600_NS11hip_rocprim35transform_pair_of_input_iterators_tIiPfSB_NS8_12not_equal_toIfEEEEPiiNS8_4plusIiEEEE10hipError_tPvRmT1_T2_T3_mT4_P12ihipStream_tbEUlT_E0_NS1_11comp_targetILNS1_3genE10ELNS1_11target_archE1201ELNS1_3gpuE5ELNS1_3repE0EEENS1_30default_config_static_selectorELNS0_4arch9wavefront6targetE1EEEvSL_,"axG",@progbits,_ZN7rocprim17ROCPRIM_400000_NS6detail17trampoline_kernelINS0_14default_configENS1_22reduce_config_selectorIiEEZNS1_11reduce_implILb1ES3_N6thrust23THRUST_200600_302600_NS11hip_rocprim35transform_pair_of_input_iterators_tIiPfSB_NS8_12not_equal_toIfEEEEPiiNS8_4plusIiEEEE10hipError_tPvRmT1_T2_T3_mT4_P12ihipStream_tbEUlT_E0_NS1_11comp_targetILNS1_3genE10ELNS1_11target_archE1201ELNS1_3gpuE5ELNS1_3repE0EEENS1_30default_config_static_selectorELNS0_4arch9wavefront6targetE1EEEvSL_,comdat
.Lfunc_end1893:
	.size	_ZN7rocprim17ROCPRIM_400000_NS6detail17trampoline_kernelINS0_14default_configENS1_22reduce_config_selectorIiEEZNS1_11reduce_implILb1ES3_N6thrust23THRUST_200600_302600_NS11hip_rocprim35transform_pair_of_input_iterators_tIiPfSB_NS8_12not_equal_toIfEEEEPiiNS8_4plusIiEEEE10hipError_tPvRmT1_T2_T3_mT4_P12ihipStream_tbEUlT_E0_NS1_11comp_targetILNS1_3genE10ELNS1_11target_archE1201ELNS1_3gpuE5ELNS1_3repE0EEENS1_30default_config_static_selectorELNS0_4arch9wavefront6targetE1EEEvSL_, .Lfunc_end1893-_ZN7rocprim17ROCPRIM_400000_NS6detail17trampoline_kernelINS0_14default_configENS1_22reduce_config_selectorIiEEZNS1_11reduce_implILb1ES3_N6thrust23THRUST_200600_302600_NS11hip_rocprim35transform_pair_of_input_iterators_tIiPfSB_NS8_12not_equal_toIfEEEEPiiNS8_4plusIiEEEE10hipError_tPvRmT1_T2_T3_mT4_P12ihipStream_tbEUlT_E0_NS1_11comp_targetILNS1_3genE10ELNS1_11target_archE1201ELNS1_3gpuE5ELNS1_3repE0EEENS1_30default_config_static_selectorELNS0_4arch9wavefront6targetE1EEEvSL_
                                        ; -- End function
	.section	.AMDGPU.csdata,"",@progbits
; Kernel info:
; codeLenInByte = 0
; NumSgprs: 4
; NumVgprs: 0
; NumAgprs: 0
; TotalNumVgprs: 0
; ScratchSize: 0
; MemoryBound: 0
; FloatMode: 240
; IeeeMode: 1
; LDSByteSize: 0 bytes/workgroup (compile time only)
; SGPRBlocks: 0
; VGPRBlocks: 0
; NumSGPRsForWavesPerEU: 4
; NumVGPRsForWavesPerEU: 1
; AccumOffset: 4
; Occupancy: 8
; WaveLimiterHint : 0
; COMPUTE_PGM_RSRC2:SCRATCH_EN: 0
; COMPUTE_PGM_RSRC2:USER_SGPR: 6
; COMPUTE_PGM_RSRC2:TRAP_HANDLER: 0
; COMPUTE_PGM_RSRC2:TGID_X_EN: 1
; COMPUTE_PGM_RSRC2:TGID_Y_EN: 0
; COMPUTE_PGM_RSRC2:TGID_Z_EN: 0
; COMPUTE_PGM_RSRC2:TIDIG_COMP_CNT: 0
; COMPUTE_PGM_RSRC3_GFX90A:ACCUM_OFFSET: 0
; COMPUTE_PGM_RSRC3_GFX90A:TG_SPLIT: 0
	.section	.text._ZN7rocprim17ROCPRIM_400000_NS6detail17trampoline_kernelINS0_14default_configENS1_22reduce_config_selectorIiEEZNS1_11reduce_implILb1ES3_N6thrust23THRUST_200600_302600_NS11hip_rocprim35transform_pair_of_input_iterators_tIiPfSB_NS8_12not_equal_toIfEEEEPiiNS8_4plusIiEEEE10hipError_tPvRmT1_T2_T3_mT4_P12ihipStream_tbEUlT_E0_NS1_11comp_targetILNS1_3genE10ELNS1_11target_archE1200ELNS1_3gpuE4ELNS1_3repE0EEENS1_30default_config_static_selectorELNS0_4arch9wavefront6targetE1EEEvSL_,"axG",@progbits,_ZN7rocprim17ROCPRIM_400000_NS6detail17trampoline_kernelINS0_14default_configENS1_22reduce_config_selectorIiEEZNS1_11reduce_implILb1ES3_N6thrust23THRUST_200600_302600_NS11hip_rocprim35transform_pair_of_input_iterators_tIiPfSB_NS8_12not_equal_toIfEEEEPiiNS8_4plusIiEEEE10hipError_tPvRmT1_T2_T3_mT4_P12ihipStream_tbEUlT_E0_NS1_11comp_targetILNS1_3genE10ELNS1_11target_archE1200ELNS1_3gpuE4ELNS1_3repE0EEENS1_30default_config_static_selectorELNS0_4arch9wavefront6targetE1EEEvSL_,comdat
	.protected	_ZN7rocprim17ROCPRIM_400000_NS6detail17trampoline_kernelINS0_14default_configENS1_22reduce_config_selectorIiEEZNS1_11reduce_implILb1ES3_N6thrust23THRUST_200600_302600_NS11hip_rocprim35transform_pair_of_input_iterators_tIiPfSB_NS8_12not_equal_toIfEEEEPiiNS8_4plusIiEEEE10hipError_tPvRmT1_T2_T3_mT4_P12ihipStream_tbEUlT_E0_NS1_11comp_targetILNS1_3genE10ELNS1_11target_archE1200ELNS1_3gpuE4ELNS1_3repE0EEENS1_30default_config_static_selectorELNS0_4arch9wavefront6targetE1EEEvSL_ ; -- Begin function _ZN7rocprim17ROCPRIM_400000_NS6detail17trampoline_kernelINS0_14default_configENS1_22reduce_config_selectorIiEEZNS1_11reduce_implILb1ES3_N6thrust23THRUST_200600_302600_NS11hip_rocprim35transform_pair_of_input_iterators_tIiPfSB_NS8_12not_equal_toIfEEEEPiiNS8_4plusIiEEEE10hipError_tPvRmT1_T2_T3_mT4_P12ihipStream_tbEUlT_E0_NS1_11comp_targetILNS1_3genE10ELNS1_11target_archE1200ELNS1_3gpuE4ELNS1_3repE0EEENS1_30default_config_static_selectorELNS0_4arch9wavefront6targetE1EEEvSL_
	.globl	_ZN7rocprim17ROCPRIM_400000_NS6detail17trampoline_kernelINS0_14default_configENS1_22reduce_config_selectorIiEEZNS1_11reduce_implILb1ES3_N6thrust23THRUST_200600_302600_NS11hip_rocprim35transform_pair_of_input_iterators_tIiPfSB_NS8_12not_equal_toIfEEEEPiiNS8_4plusIiEEEE10hipError_tPvRmT1_T2_T3_mT4_P12ihipStream_tbEUlT_E0_NS1_11comp_targetILNS1_3genE10ELNS1_11target_archE1200ELNS1_3gpuE4ELNS1_3repE0EEENS1_30default_config_static_selectorELNS0_4arch9wavefront6targetE1EEEvSL_
	.p2align	8
	.type	_ZN7rocprim17ROCPRIM_400000_NS6detail17trampoline_kernelINS0_14default_configENS1_22reduce_config_selectorIiEEZNS1_11reduce_implILb1ES3_N6thrust23THRUST_200600_302600_NS11hip_rocprim35transform_pair_of_input_iterators_tIiPfSB_NS8_12not_equal_toIfEEEEPiiNS8_4plusIiEEEE10hipError_tPvRmT1_T2_T3_mT4_P12ihipStream_tbEUlT_E0_NS1_11comp_targetILNS1_3genE10ELNS1_11target_archE1200ELNS1_3gpuE4ELNS1_3repE0EEENS1_30default_config_static_selectorELNS0_4arch9wavefront6targetE1EEEvSL_,@function
_ZN7rocprim17ROCPRIM_400000_NS6detail17trampoline_kernelINS0_14default_configENS1_22reduce_config_selectorIiEEZNS1_11reduce_implILb1ES3_N6thrust23THRUST_200600_302600_NS11hip_rocprim35transform_pair_of_input_iterators_tIiPfSB_NS8_12not_equal_toIfEEEEPiiNS8_4plusIiEEEE10hipError_tPvRmT1_T2_T3_mT4_P12ihipStream_tbEUlT_E0_NS1_11comp_targetILNS1_3genE10ELNS1_11target_archE1200ELNS1_3gpuE4ELNS1_3repE0EEENS1_30default_config_static_selectorELNS0_4arch9wavefront6targetE1EEEvSL_: ; @_ZN7rocprim17ROCPRIM_400000_NS6detail17trampoline_kernelINS0_14default_configENS1_22reduce_config_selectorIiEEZNS1_11reduce_implILb1ES3_N6thrust23THRUST_200600_302600_NS11hip_rocprim35transform_pair_of_input_iterators_tIiPfSB_NS8_12not_equal_toIfEEEEPiiNS8_4plusIiEEEE10hipError_tPvRmT1_T2_T3_mT4_P12ihipStream_tbEUlT_E0_NS1_11comp_targetILNS1_3genE10ELNS1_11target_archE1200ELNS1_3gpuE4ELNS1_3repE0EEENS1_30default_config_static_selectorELNS0_4arch9wavefront6targetE1EEEvSL_
; %bb.0:
	.section	.rodata,"a",@progbits
	.p2align	6, 0x0
	.amdhsa_kernel _ZN7rocprim17ROCPRIM_400000_NS6detail17trampoline_kernelINS0_14default_configENS1_22reduce_config_selectorIiEEZNS1_11reduce_implILb1ES3_N6thrust23THRUST_200600_302600_NS11hip_rocprim35transform_pair_of_input_iterators_tIiPfSB_NS8_12not_equal_toIfEEEEPiiNS8_4plusIiEEEE10hipError_tPvRmT1_T2_T3_mT4_P12ihipStream_tbEUlT_E0_NS1_11comp_targetILNS1_3genE10ELNS1_11target_archE1200ELNS1_3gpuE4ELNS1_3repE0EEENS1_30default_config_static_selectorELNS0_4arch9wavefront6targetE1EEEvSL_
		.amdhsa_group_segment_fixed_size 0
		.amdhsa_private_segment_fixed_size 0
		.amdhsa_kernarg_size 72
		.amdhsa_user_sgpr_count 6
		.amdhsa_user_sgpr_private_segment_buffer 1
		.amdhsa_user_sgpr_dispatch_ptr 0
		.amdhsa_user_sgpr_queue_ptr 0
		.amdhsa_user_sgpr_kernarg_segment_ptr 1
		.amdhsa_user_sgpr_dispatch_id 0
		.amdhsa_user_sgpr_flat_scratch_init 0
		.amdhsa_user_sgpr_kernarg_preload_length 0
		.amdhsa_user_sgpr_kernarg_preload_offset 0
		.amdhsa_user_sgpr_private_segment_size 0
		.amdhsa_uses_dynamic_stack 0
		.amdhsa_system_sgpr_private_segment_wavefront_offset 0
		.amdhsa_system_sgpr_workgroup_id_x 1
		.amdhsa_system_sgpr_workgroup_id_y 0
		.amdhsa_system_sgpr_workgroup_id_z 0
		.amdhsa_system_sgpr_workgroup_info 0
		.amdhsa_system_vgpr_workitem_id 0
		.amdhsa_next_free_vgpr 1
		.amdhsa_next_free_sgpr 0
		.amdhsa_accum_offset 4
		.amdhsa_reserve_vcc 0
		.amdhsa_reserve_flat_scratch 0
		.amdhsa_float_round_mode_32 0
		.amdhsa_float_round_mode_16_64 0
		.amdhsa_float_denorm_mode_32 3
		.amdhsa_float_denorm_mode_16_64 3
		.amdhsa_dx10_clamp 1
		.amdhsa_ieee_mode 1
		.amdhsa_fp16_overflow 0
		.amdhsa_tg_split 0
		.amdhsa_exception_fp_ieee_invalid_op 0
		.amdhsa_exception_fp_denorm_src 0
		.amdhsa_exception_fp_ieee_div_zero 0
		.amdhsa_exception_fp_ieee_overflow 0
		.amdhsa_exception_fp_ieee_underflow 0
		.amdhsa_exception_fp_ieee_inexact 0
		.amdhsa_exception_int_div_zero 0
	.end_amdhsa_kernel
	.section	.text._ZN7rocprim17ROCPRIM_400000_NS6detail17trampoline_kernelINS0_14default_configENS1_22reduce_config_selectorIiEEZNS1_11reduce_implILb1ES3_N6thrust23THRUST_200600_302600_NS11hip_rocprim35transform_pair_of_input_iterators_tIiPfSB_NS8_12not_equal_toIfEEEEPiiNS8_4plusIiEEEE10hipError_tPvRmT1_T2_T3_mT4_P12ihipStream_tbEUlT_E0_NS1_11comp_targetILNS1_3genE10ELNS1_11target_archE1200ELNS1_3gpuE4ELNS1_3repE0EEENS1_30default_config_static_selectorELNS0_4arch9wavefront6targetE1EEEvSL_,"axG",@progbits,_ZN7rocprim17ROCPRIM_400000_NS6detail17trampoline_kernelINS0_14default_configENS1_22reduce_config_selectorIiEEZNS1_11reduce_implILb1ES3_N6thrust23THRUST_200600_302600_NS11hip_rocprim35transform_pair_of_input_iterators_tIiPfSB_NS8_12not_equal_toIfEEEEPiiNS8_4plusIiEEEE10hipError_tPvRmT1_T2_T3_mT4_P12ihipStream_tbEUlT_E0_NS1_11comp_targetILNS1_3genE10ELNS1_11target_archE1200ELNS1_3gpuE4ELNS1_3repE0EEENS1_30default_config_static_selectorELNS0_4arch9wavefront6targetE1EEEvSL_,comdat
.Lfunc_end1894:
	.size	_ZN7rocprim17ROCPRIM_400000_NS6detail17trampoline_kernelINS0_14default_configENS1_22reduce_config_selectorIiEEZNS1_11reduce_implILb1ES3_N6thrust23THRUST_200600_302600_NS11hip_rocprim35transform_pair_of_input_iterators_tIiPfSB_NS8_12not_equal_toIfEEEEPiiNS8_4plusIiEEEE10hipError_tPvRmT1_T2_T3_mT4_P12ihipStream_tbEUlT_E0_NS1_11comp_targetILNS1_3genE10ELNS1_11target_archE1200ELNS1_3gpuE4ELNS1_3repE0EEENS1_30default_config_static_selectorELNS0_4arch9wavefront6targetE1EEEvSL_, .Lfunc_end1894-_ZN7rocprim17ROCPRIM_400000_NS6detail17trampoline_kernelINS0_14default_configENS1_22reduce_config_selectorIiEEZNS1_11reduce_implILb1ES3_N6thrust23THRUST_200600_302600_NS11hip_rocprim35transform_pair_of_input_iterators_tIiPfSB_NS8_12not_equal_toIfEEEEPiiNS8_4plusIiEEEE10hipError_tPvRmT1_T2_T3_mT4_P12ihipStream_tbEUlT_E0_NS1_11comp_targetILNS1_3genE10ELNS1_11target_archE1200ELNS1_3gpuE4ELNS1_3repE0EEENS1_30default_config_static_selectorELNS0_4arch9wavefront6targetE1EEEvSL_
                                        ; -- End function
	.section	.AMDGPU.csdata,"",@progbits
; Kernel info:
; codeLenInByte = 0
; NumSgprs: 4
; NumVgprs: 0
; NumAgprs: 0
; TotalNumVgprs: 0
; ScratchSize: 0
; MemoryBound: 0
; FloatMode: 240
; IeeeMode: 1
; LDSByteSize: 0 bytes/workgroup (compile time only)
; SGPRBlocks: 0
; VGPRBlocks: 0
; NumSGPRsForWavesPerEU: 4
; NumVGPRsForWavesPerEU: 1
; AccumOffset: 4
; Occupancy: 8
; WaveLimiterHint : 0
; COMPUTE_PGM_RSRC2:SCRATCH_EN: 0
; COMPUTE_PGM_RSRC2:USER_SGPR: 6
; COMPUTE_PGM_RSRC2:TRAP_HANDLER: 0
; COMPUTE_PGM_RSRC2:TGID_X_EN: 1
; COMPUTE_PGM_RSRC2:TGID_Y_EN: 0
; COMPUTE_PGM_RSRC2:TGID_Z_EN: 0
; COMPUTE_PGM_RSRC2:TIDIG_COMP_CNT: 0
; COMPUTE_PGM_RSRC3_GFX90A:ACCUM_OFFSET: 0
; COMPUTE_PGM_RSRC3_GFX90A:TG_SPLIT: 0
	.section	.text._ZN7rocprim17ROCPRIM_400000_NS6detail17trampoline_kernelINS0_14default_configENS1_22reduce_config_selectorIiEEZNS1_11reduce_implILb1ES3_N6thrust23THRUST_200600_302600_NS11hip_rocprim35transform_pair_of_input_iterators_tIiPfSB_NS8_12not_equal_toIfEEEEPiiNS8_4plusIiEEEE10hipError_tPvRmT1_T2_T3_mT4_P12ihipStream_tbEUlT_E0_NS1_11comp_targetILNS1_3genE9ELNS1_11target_archE1100ELNS1_3gpuE3ELNS1_3repE0EEENS1_30default_config_static_selectorELNS0_4arch9wavefront6targetE1EEEvSL_,"axG",@progbits,_ZN7rocprim17ROCPRIM_400000_NS6detail17trampoline_kernelINS0_14default_configENS1_22reduce_config_selectorIiEEZNS1_11reduce_implILb1ES3_N6thrust23THRUST_200600_302600_NS11hip_rocprim35transform_pair_of_input_iterators_tIiPfSB_NS8_12not_equal_toIfEEEEPiiNS8_4plusIiEEEE10hipError_tPvRmT1_T2_T3_mT4_P12ihipStream_tbEUlT_E0_NS1_11comp_targetILNS1_3genE9ELNS1_11target_archE1100ELNS1_3gpuE3ELNS1_3repE0EEENS1_30default_config_static_selectorELNS0_4arch9wavefront6targetE1EEEvSL_,comdat
	.protected	_ZN7rocprim17ROCPRIM_400000_NS6detail17trampoline_kernelINS0_14default_configENS1_22reduce_config_selectorIiEEZNS1_11reduce_implILb1ES3_N6thrust23THRUST_200600_302600_NS11hip_rocprim35transform_pair_of_input_iterators_tIiPfSB_NS8_12not_equal_toIfEEEEPiiNS8_4plusIiEEEE10hipError_tPvRmT1_T2_T3_mT4_P12ihipStream_tbEUlT_E0_NS1_11comp_targetILNS1_3genE9ELNS1_11target_archE1100ELNS1_3gpuE3ELNS1_3repE0EEENS1_30default_config_static_selectorELNS0_4arch9wavefront6targetE1EEEvSL_ ; -- Begin function _ZN7rocprim17ROCPRIM_400000_NS6detail17trampoline_kernelINS0_14default_configENS1_22reduce_config_selectorIiEEZNS1_11reduce_implILb1ES3_N6thrust23THRUST_200600_302600_NS11hip_rocprim35transform_pair_of_input_iterators_tIiPfSB_NS8_12not_equal_toIfEEEEPiiNS8_4plusIiEEEE10hipError_tPvRmT1_T2_T3_mT4_P12ihipStream_tbEUlT_E0_NS1_11comp_targetILNS1_3genE9ELNS1_11target_archE1100ELNS1_3gpuE3ELNS1_3repE0EEENS1_30default_config_static_selectorELNS0_4arch9wavefront6targetE1EEEvSL_
	.globl	_ZN7rocprim17ROCPRIM_400000_NS6detail17trampoline_kernelINS0_14default_configENS1_22reduce_config_selectorIiEEZNS1_11reduce_implILb1ES3_N6thrust23THRUST_200600_302600_NS11hip_rocprim35transform_pair_of_input_iterators_tIiPfSB_NS8_12not_equal_toIfEEEEPiiNS8_4plusIiEEEE10hipError_tPvRmT1_T2_T3_mT4_P12ihipStream_tbEUlT_E0_NS1_11comp_targetILNS1_3genE9ELNS1_11target_archE1100ELNS1_3gpuE3ELNS1_3repE0EEENS1_30default_config_static_selectorELNS0_4arch9wavefront6targetE1EEEvSL_
	.p2align	8
	.type	_ZN7rocprim17ROCPRIM_400000_NS6detail17trampoline_kernelINS0_14default_configENS1_22reduce_config_selectorIiEEZNS1_11reduce_implILb1ES3_N6thrust23THRUST_200600_302600_NS11hip_rocprim35transform_pair_of_input_iterators_tIiPfSB_NS8_12not_equal_toIfEEEEPiiNS8_4plusIiEEEE10hipError_tPvRmT1_T2_T3_mT4_P12ihipStream_tbEUlT_E0_NS1_11comp_targetILNS1_3genE9ELNS1_11target_archE1100ELNS1_3gpuE3ELNS1_3repE0EEENS1_30default_config_static_selectorELNS0_4arch9wavefront6targetE1EEEvSL_,@function
_ZN7rocprim17ROCPRIM_400000_NS6detail17trampoline_kernelINS0_14default_configENS1_22reduce_config_selectorIiEEZNS1_11reduce_implILb1ES3_N6thrust23THRUST_200600_302600_NS11hip_rocprim35transform_pair_of_input_iterators_tIiPfSB_NS8_12not_equal_toIfEEEEPiiNS8_4plusIiEEEE10hipError_tPvRmT1_T2_T3_mT4_P12ihipStream_tbEUlT_E0_NS1_11comp_targetILNS1_3genE9ELNS1_11target_archE1100ELNS1_3gpuE3ELNS1_3repE0EEENS1_30default_config_static_selectorELNS0_4arch9wavefront6targetE1EEEvSL_: ; @_ZN7rocprim17ROCPRIM_400000_NS6detail17trampoline_kernelINS0_14default_configENS1_22reduce_config_selectorIiEEZNS1_11reduce_implILb1ES3_N6thrust23THRUST_200600_302600_NS11hip_rocprim35transform_pair_of_input_iterators_tIiPfSB_NS8_12not_equal_toIfEEEEPiiNS8_4plusIiEEEE10hipError_tPvRmT1_T2_T3_mT4_P12ihipStream_tbEUlT_E0_NS1_11comp_targetILNS1_3genE9ELNS1_11target_archE1100ELNS1_3gpuE3ELNS1_3repE0EEENS1_30default_config_static_selectorELNS0_4arch9wavefront6targetE1EEEvSL_
; %bb.0:
	.section	.rodata,"a",@progbits
	.p2align	6, 0x0
	.amdhsa_kernel _ZN7rocprim17ROCPRIM_400000_NS6detail17trampoline_kernelINS0_14default_configENS1_22reduce_config_selectorIiEEZNS1_11reduce_implILb1ES3_N6thrust23THRUST_200600_302600_NS11hip_rocprim35transform_pair_of_input_iterators_tIiPfSB_NS8_12not_equal_toIfEEEEPiiNS8_4plusIiEEEE10hipError_tPvRmT1_T2_T3_mT4_P12ihipStream_tbEUlT_E0_NS1_11comp_targetILNS1_3genE9ELNS1_11target_archE1100ELNS1_3gpuE3ELNS1_3repE0EEENS1_30default_config_static_selectorELNS0_4arch9wavefront6targetE1EEEvSL_
		.amdhsa_group_segment_fixed_size 0
		.amdhsa_private_segment_fixed_size 0
		.amdhsa_kernarg_size 72
		.amdhsa_user_sgpr_count 6
		.amdhsa_user_sgpr_private_segment_buffer 1
		.amdhsa_user_sgpr_dispatch_ptr 0
		.amdhsa_user_sgpr_queue_ptr 0
		.amdhsa_user_sgpr_kernarg_segment_ptr 1
		.amdhsa_user_sgpr_dispatch_id 0
		.amdhsa_user_sgpr_flat_scratch_init 0
		.amdhsa_user_sgpr_kernarg_preload_length 0
		.amdhsa_user_sgpr_kernarg_preload_offset 0
		.amdhsa_user_sgpr_private_segment_size 0
		.amdhsa_uses_dynamic_stack 0
		.amdhsa_system_sgpr_private_segment_wavefront_offset 0
		.amdhsa_system_sgpr_workgroup_id_x 1
		.amdhsa_system_sgpr_workgroup_id_y 0
		.amdhsa_system_sgpr_workgroup_id_z 0
		.amdhsa_system_sgpr_workgroup_info 0
		.amdhsa_system_vgpr_workitem_id 0
		.amdhsa_next_free_vgpr 1
		.amdhsa_next_free_sgpr 0
		.amdhsa_accum_offset 4
		.amdhsa_reserve_vcc 0
		.amdhsa_reserve_flat_scratch 0
		.amdhsa_float_round_mode_32 0
		.amdhsa_float_round_mode_16_64 0
		.amdhsa_float_denorm_mode_32 3
		.amdhsa_float_denorm_mode_16_64 3
		.amdhsa_dx10_clamp 1
		.amdhsa_ieee_mode 1
		.amdhsa_fp16_overflow 0
		.amdhsa_tg_split 0
		.amdhsa_exception_fp_ieee_invalid_op 0
		.amdhsa_exception_fp_denorm_src 0
		.amdhsa_exception_fp_ieee_div_zero 0
		.amdhsa_exception_fp_ieee_overflow 0
		.amdhsa_exception_fp_ieee_underflow 0
		.amdhsa_exception_fp_ieee_inexact 0
		.amdhsa_exception_int_div_zero 0
	.end_amdhsa_kernel
	.section	.text._ZN7rocprim17ROCPRIM_400000_NS6detail17trampoline_kernelINS0_14default_configENS1_22reduce_config_selectorIiEEZNS1_11reduce_implILb1ES3_N6thrust23THRUST_200600_302600_NS11hip_rocprim35transform_pair_of_input_iterators_tIiPfSB_NS8_12not_equal_toIfEEEEPiiNS8_4plusIiEEEE10hipError_tPvRmT1_T2_T3_mT4_P12ihipStream_tbEUlT_E0_NS1_11comp_targetILNS1_3genE9ELNS1_11target_archE1100ELNS1_3gpuE3ELNS1_3repE0EEENS1_30default_config_static_selectorELNS0_4arch9wavefront6targetE1EEEvSL_,"axG",@progbits,_ZN7rocprim17ROCPRIM_400000_NS6detail17trampoline_kernelINS0_14default_configENS1_22reduce_config_selectorIiEEZNS1_11reduce_implILb1ES3_N6thrust23THRUST_200600_302600_NS11hip_rocprim35transform_pair_of_input_iterators_tIiPfSB_NS8_12not_equal_toIfEEEEPiiNS8_4plusIiEEEE10hipError_tPvRmT1_T2_T3_mT4_P12ihipStream_tbEUlT_E0_NS1_11comp_targetILNS1_3genE9ELNS1_11target_archE1100ELNS1_3gpuE3ELNS1_3repE0EEENS1_30default_config_static_selectorELNS0_4arch9wavefront6targetE1EEEvSL_,comdat
.Lfunc_end1895:
	.size	_ZN7rocprim17ROCPRIM_400000_NS6detail17trampoline_kernelINS0_14default_configENS1_22reduce_config_selectorIiEEZNS1_11reduce_implILb1ES3_N6thrust23THRUST_200600_302600_NS11hip_rocprim35transform_pair_of_input_iterators_tIiPfSB_NS8_12not_equal_toIfEEEEPiiNS8_4plusIiEEEE10hipError_tPvRmT1_T2_T3_mT4_P12ihipStream_tbEUlT_E0_NS1_11comp_targetILNS1_3genE9ELNS1_11target_archE1100ELNS1_3gpuE3ELNS1_3repE0EEENS1_30default_config_static_selectorELNS0_4arch9wavefront6targetE1EEEvSL_, .Lfunc_end1895-_ZN7rocprim17ROCPRIM_400000_NS6detail17trampoline_kernelINS0_14default_configENS1_22reduce_config_selectorIiEEZNS1_11reduce_implILb1ES3_N6thrust23THRUST_200600_302600_NS11hip_rocprim35transform_pair_of_input_iterators_tIiPfSB_NS8_12not_equal_toIfEEEEPiiNS8_4plusIiEEEE10hipError_tPvRmT1_T2_T3_mT4_P12ihipStream_tbEUlT_E0_NS1_11comp_targetILNS1_3genE9ELNS1_11target_archE1100ELNS1_3gpuE3ELNS1_3repE0EEENS1_30default_config_static_selectorELNS0_4arch9wavefront6targetE1EEEvSL_
                                        ; -- End function
	.section	.AMDGPU.csdata,"",@progbits
; Kernel info:
; codeLenInByte = 0
; NumSgprs: 4
; NumVgprs: 0
; NumAgprs: 0
; TotalNumVgprs: 0
; ScratchSize: 0
; MemoryBound: 0
; FloatMode: 240
; IeeeMode: 1
; LDSByteSize: 0 bytes/workgroup (compile time only)
; SGPRBlocks: 0
; VGPRBlocks: 0
; NumSGPRsForWavesPerEU: 4
; NumVGPRsForWavesPerEU: 1
; AccumOffset: 4
; Occupancy: 8
; WaveLimiterHint : 0
; COMPUTE_PGM_RSRC2:SCRATCH_EN: 0
; COMPUTE_PGM_RSRC2:USER_SGPR: 6
; COMPUTE_PGM_RSRC2:TRAP_HANDLER: 0
; COMPUTE_PGM_RSRC2:TGID_X_EN: 1
; COMPUTE_PGM_RSRC2:TGID_Y_EN: 0
; COMPUTE_PGM_RSRC2:TGID_Z_EN: 0
; COMPUTE_PGM_RSRC2:TIDIG_COMP_CNT: 0
; COMPUTE_PGM_RSRC3_GFX90A:ACCUM_OFFSET: 0
; COMPUTE_PGM_RSRC3_GFX90A:TG_SPLIT: 0
	.section	.text._ZN7rocprim17ROCPRIM_400000_NS6detail17trampoline_kernelINS0_14default_configENS1_22reduce_config_selectorIiEEZNS1_11reduce_implILb1ES3_N6thrust23THRUST_200600_302600_NS11hip_rocprim35transform_pair_of_input_iterators_tIiPfSB_NS8_12not_equal_toIfEEEEPiiNS8_4plusIiEEEE10hipError_tPvRmT1_T2_T3_mT4_P12ihipStream_tbEUlT_E0_NS1_11comp_targetILNS1_3genE8ELNS1_11target_archE1030ELNS1_3gpuE2ELNS1_3repE0EEENS1_30default_config_static_selectorELNS0_4arch9wavefront6targetE1EEEvSL_,"axG",@progbits,_ZN7rocprim17ROCPRIM_400000_NS6detail17trampoline_kernelINS0_14default_configENS1_22reduce_config_selectorIiEEZNS1_11reduce_implILb1ES3_N6thrust23THRUST_200600_302600_NS11hip_rocprim35transform_pair_of_input_iterators_tIiPfSB_NS8_12not_equal_toIfEEEEPiiNS8_4plusIiEEEE10hipError_tPvRmT1_T2_T3_mT4_P12ihipStream_tbEUlT_E0_NS1_11comp_targetILNS1_3genE8ELNS1_11target_archE1030ELNS1_3gpuE2ELNS1_3repE0EEENS1_30default_config_static_selectorELNS0_4arch9wavefront6targetE1EEEvSL_,comdat
	.protected	_ZN7rocprim17ROCPRIM_400000_NS6detail17trampoline_kernelINS0_14default_configENS1_22reduce_config_selectorIiEEZNS1_11reduce_implILb1ES3_N6thrust23THRUST_200600_302600_NS11hip_rocprim35transform_pair_of_input_iterators_tIiPfSB_NS8_12not_equal_toIfEEEEPiiNS8_4plusIiEEEE10hipError_tPvRmT1_T2_T3_mT4_P12ihipStream_tbEUlT_E0_NS1_11comp_targetILNS1_3genE8ELNS1_11target_archE1030ELNS1_3gpuE2ELNS1_3repE0EEENS1_30default_config_static_selectorELNS0_4arch9wavefront6targetE1EEEvSL_ ; -- Begin function _ZN7rocprim17ROCPRIM_400000_NS6detail17trampoline_kernelINS0_14default_configENS1_22reduce_config_selectorIiEEZNS1_11reduce_implILb1ES3_N6thrust23THRUST_200600_302600_NS11hip_rocprim35transform_pair_of_input_iterators_tIiPfSB_NS8_12not_equal_toIfEEEEPiiNS8_4plusIiEEEE10hipError_tPvRmT1_T2_T3_mT4_P12ihipStream_tbEUlT_E0_NS1_11comp_targetILNS1_3genE8ELNS1_11target_archE1030ELNS1_3gpuE2ELNS1_3repE0EEENS1_30default_config_static_selectorELNS0_4arch9wavefront6targetE1EEEvSL_
	.globl	_ZN7rocprim17ROCPRIM_400000_NS6detail17trampoline_kernelINS0_14default_configENS1_22reduce_config_selectorIiEEZNS1_11reduce_implILb1ES3_N6thrust23THRUST_200600_302600_NS11hip_rocprim35transform_pair_of_input_iterators_tIiPfSB_NS8_12not_equal_toIfEEEEPiiNS8_4plusIiEEEE10hipError_tPvRmT1_T2_T3_mT4_P12ihipStream_tbEUlT_E0_NS1_11comp_targetILNS1_3genE8ELNS1_11target_archE1030ELNS1_3gpuE2ELNS1_3repE0EEENS1_30default_config_static_selectorELNS0_4arch9wavefront6targetE1EEEvSL_
	.p2align	8
	.type	_ZN7rocprim17ROCPRIM_400000_NS6detail17trampoline_kernelINS0_14default_configENS1_22reduce_config_selectorIiEEZNS1_11reduce_implILb1ES3_N6thrust23THRUST_200600_302600_NS11hip_rocprim35transform_pair_of_input_iterators_tIiPfSB_NS8_12not_equal_toIfEEEEPiiNS8_4plusIiEEEE10hipError_tPvRmT1_T2_T3_mT4_P12ihipStream_tbEUlT_E0_NS1_11comp_targetILNS1_3genE8ELNS1_11target_archE1030ELNS1_3gpuE2ELNS1_3repE0EEENS1_30default_config_static_selectorELNS0_4arch9wavefront6targetE1EEEvSL_,@function
_ZN7rocprim17ROCPRIM_400000_NS6detail17trampoline_kernelINS0_14default_configENS1_22reduce_config_selectorIiEEZNS1_11reduce_implILb1ES3_N6thrust23THRUST_200600_302600_NS11hip_rocprim35transform_pair_of_input_iterators_tIiPfSB_NS8_12not_equal_toIfEEEEPiiNS8_4plusIiEEEE10hipError_tPvRmT1_T2_T3_mT4_P12ihipStream_tbEUlT_E0_NS1_11comp_targetILNS1_3genE8ELNS1_11target_archE1030ELNS1_3gpuE2ELNS1_3repE0EEENS1_30default_config_static_selectorELNS0_4arch9wavefront6targetE1EEEvSL_: ; @_ZN7rocprim17ROCPRIM_400000_NS6detail17trampoline_kernelINS0_14default_configENS1_22reduce_config_selectorIiEEZNS1_11reduce_implILb1ES3_N6thrust23THRUST_200600_302600_NS11hip_rocprim35transform_pair_of_input_iterators_tIiPfSB_NS8_12not_equal_toIfEEEEPiiNS8_4plusIiEEEE10hipError_tPvRmT1_T2_T3_mT4_P12ihipStream_tbEUlT_E0_NS1_11comp_targetILNS1_3genE8ELNS1_11target_archE1030ELNS1_3gpuE2ELNS1_3repE0EEENS1_30default_config_static_selectorELNS0_4arch9wavefront6targetE1EEEvSL_
; %bb.0:
	.section	.rodata,"a",@progbits
	.p2align	6, 0x0
	.amdhsa_kernel _ZN7rocprim17ROCPRIM_400000_NS6detail17trampoline_kernelINS0_14default_configENS1_22reduce_config_selectorIiEEZNS1_11reduce_implILb1ES3_N6thrust23THRUST_200600_302600_NS11hip_rocprim35transform_pair_of_input_iterators_tIiPfSB_NS8_12not_equal_toIfEEEEPiiNS8_4plusIiEEEE10hipError_tPvRmT1_T2_T3_mT4_P12ihipStream_tbEUlT_E0_NS1_11comp_targetILNS1_3genE8ELNS1_11target_archE1030ELNS1_3gpuE2ELNS1_3repE0EEENS1_30default_config_static_selectorELNS0_4arch9wavefront6targetE1EEEvSL_
		.amdhsa_group_segment_fixed_size 0
		.amdhsa_private_segment_fixed_size 0
		.amdhsa_kernarg_size 72
		.amdhsa_user_sgpr_count 6
		.amdhsa_user_sgpr_private_segment_buffer 1
		.amdhsa_user_sgpr_dispatch_ptr 0
		.amdhsa_user_sgpr_queue_ptr 0
		.amdhsa_user_sgpr_kernarg_segment_ptr 1
		.amdhsa_user_sgpr_dispatch_id 0
		.amdhsa_user_sgpr_flat_scratch_init 0
		.amdhsa_user_sgpr_kernarg_preload_length 0
		.amdhsa_user_sgpr_kernarg_preload_offset 0
		.amdhsa_user_sgpr_private_segment_size 0
		.amdhsa_uses_dynamic_stack 0
		.amdhsa_system_sgpr_private_segment_wavefront_offset 0
		.amdhsa_system_sgpr_workgroup_id_x 1
		.amdhsa_system_sgpr_workgroup_id_y 0
		.amdhsa_system_sgpr_workgroup_id_z 0
		.amdhsa_system_sgpr_workgroup_info 0
		.amdhsa_system_vgpr_workitem_id 0
		.amdhsa_next_free_vgpr 1
		.amdhsa_next_free_sgpr 0
		.amdhsa_accum_offset 4
		.amdhsa_reserve_vcc 0
		.amdhsa_reserve_flat_scratch 0
		.amdhsa_float_round_mode_32 0
		.amdhsa_float_round_mode_16_64 0
		.amdhsa_float_denorm_mode_32 3
		.amdhsa_float_denorm_mode_16_64 3
		.amdhsa_dx10_clamp 1
		.amdhsa_ieee_mode 1
		.amdhsa_fp16_overflow 0
		.amdhsa_tg_split 0
		.amdhsa_exception_fp_ieee_invalid_op 0
		.amdhsa_exception_fp_denorm_src 0
		.amdhsa_exception_fp_ieee_div_zero 0
		.amdhsa_exception_fp_ieee_overflow 0
		.amdhsa_exception_fp_ieee_underflow 0
		.amdhsa_exception_fp_ieee_inexact 0
		.amdhsa_exception_int_div_zero 0
	.end_amdhsa_kernel
	.section	.text._ZN7rocprim17ROCPRIM_400000_NS6detail17trampoline_kernelINS0_14default_configENS1_22reduce_config_selectorIiEEZNS1_11reduce_implILb1ES3_N6thrust23THRUST_200600_302600_NS11hip_rocprim35transform_pair_of_input_iterators_tIiPfSB_NS8_12not_equal_toIfEEEEPiiNS8_4plusIiEEEE10hipError_tPvRmT1_T2_T3_mT4_P12ihipStream_tbEUlT_E0_NS1_11comp_targetILNS1_3genE8ELNS1_11target_archE1030ELNS1_3gpuE2ELNS1_3repE0EEENS1_30default_config_static_selectorELNS0_4arch9wavefront6targetE1EEEvSL_,"axG",@progbits,_ZN7rocprim17ROCPRIM_400000_NS6detail17trampoline_kernelINS0_14default_configENS1_22reduce_config_selectorIiEEZNS1_11reduce_implILb1ES3_N6thrust23THRUST_200600_302600_NS11hip_rocprim35transform_pair_of_input_iterators_tIiPfSB_NS8_12not_equal_toIfEEEEPiiNS8_4plusIiEEEE10hipError_tPvRmT1_T2_T3_mT4_P12ihipStream_tbEUlT_E0_NS1_11comp_targetILNS1_3genE8ELNS1_11target_archE1030ELNS1_3gpuE2ELNS1_3repE0EEENS1_30default_config_static_selectorELNS0_4arch9wavefront6targetE1EEEvSL_,comdat
.Lfunc_end1896:
	.size	_ZN7rocprim17ROCPRIM_400000_NS6detail17trampoline_kernelINS0_14default_configENS1_22reduce_config_selectorIiEEZNS1_11reduce_implILb1ES3_N6thrust23THRUST_200600_302600_NS11hip_rocprim35transform_pair_of_input_iterators_tIiPfSB_NS8_12not_equal_toIfEEEEPiiNS8_4plusIiEEEE10hipError_tPvRmT1_T2_T3_mT4_P12ihipStream_tbEUlT_E0_NS1_11comp_targetILNS1_3genE8ELNS1_11target_archE1030ELNS1_3gpuE2ELNS1_3repE0EEENS1_30default_config_static_selectorELNS0_4arch9wavefront6targetE1EEEvSL_, .Lfunc_end1896-_ZN7rocprim17ROCPRIM_400000_NS6detail17trampoline_kernelINS0_14default_configENS1_22reduce_config_selectorIiEEZNS1_11reduce_implILb1ES3_N6thrust23THRUST_200600_302600_NS11hip_rocprim35transform_pair_of_input_iterators_tIiPfSB_NS8_12not_equal_toIfEEEEPiiNS8_4plusIiEEEE10hipError_tPvRmT1_T2_T3_mT4_P12ihipStream_tbEUlT_E0_NS1_11comp_targetILNS1_3genE8ELNS1_11target_archE1030ELNS1_3gpuE2ELNS1_3repE0EEENS1_30default_config_static_selectorELNS0_4arch9wavefront6targetE1EEEvSL_
                                        ; -- End function
	.section	.AMDGPU.csdata,"",@progbits
; Kernel info:
; codeLenInByte = 0
; NumSgprs: 4
; NumVgprs: 0
; NumAgprs: 0
; TotalNumVgprs: 0
; ScratchSize: 0
; MemoryBound: 0
; FloatMode: 240
; IeeeMode: 1
; LDSByteSize: 0 bytes/workgroup (compile time only)
; SGPRBlocks: 0
; VGPRBlocks: 0
; NumSGPRsForWavesPerEU: 4
; NumVGPRsForWavesPerEU: 1
; AccumOffset: 4
; Occupancy: 8
; WaveLimiterHint : 0
; COMPUTE_PGM_RSRC2:SCRATCH_EN: 0
; COMPUTE_PGM_RSRC2:USER_SGPR: 6
; COMPUTE_PGM_RSRC2:TRAP_HANDLER: 0
; COMPUTE_PGM_RSRC2:TGID_X_EN: 1
; COMPUTE_PGM_RSRC2:TGID_Y_EN: 0
; COMPUTE_PGM_RSRC2:TGID_Z_EN: 0
; COMPUTE_PGM_RSRC2:TIDIG_COMP_CNT: 0
; COMPUTE_PGM_RSRC3_GFX90A:ACCUM_OFFSET: 0
; COMPUTE_PGM_RSRC3_GFX90A:TG_SPLIT: 0
	.section	.text._ZN7rocprim17ROCPRIM_400000_NS6detail17trampoline_kernelINS0_14default_configENS1_22reduce_config_selectorIiEEZNS1_11reduce_implILb1ES3_N6thrust23THRUST_200600_302600_NS11hip_rocprim35transform_pair_of_input_iterators_tIiPfSB_NS8_12not_equal_toIfEEEEPiiNS8_4plusIiEEEE10hipError_tPvRmT1_T2_T3_mT4_P12ihipStream_tbEUlT_E1_NS1_11comp_targetILNS1_3genE0ELNS1_11target_archE4294967295ELNS1_3gpuE0ELNS1_3repE0EEENS1_30default_config_static_selectorELNS0_4arch9wavefront6targetE1EEEvSL_,"axG",@progbits,_ZN7rocprim17ROCPRIM_400000_NS6detail17trampoline_kernelINS0_14default_configENS1_22reduce_config_selectorIiEEZNS1_11reduce_implILb1ES3_N6thrust23THRUST_200600_302600_NS11hip_rocprim35transform_pair_of_input_iterators_tIiPfSB_NS8_12not_equal_toIfEEEEPiiNS8_4plusIiEEEE10hipError_tPvRmT1_T2_T3_mT4_P12ihipStream_tbEUlT_E1_NS1_11comp_targetILNS1_3genE0ELNS1_11target_archE4294967295ELNS1_3gpuE0ELNS1_3repE0EEENS1_30default_config_static_selectorELNS0_4arch9wavefront6targetE1EEEvSL_,comdat
	.protected	_ZN7rocprim17ROCPRIM_400000_NS6detail17trampoline_kernelINS0_14default_configENS1_22reduce_config_selectorIiEEZNS1_11reduce_implILb1ES3_N6thrust23THRUST_200600_302600_NS11hip_rocprim35transform_pair_of_input_iterators_tIiPfSB_NS8_12not_equal_toIfEEEEPiiNS8_4plusIiEEEE10hipError_tPvRmT1_T2_T3_mT4_P12ihipStream_tbEUlT_E1_NS1_11comp_targetILNS1_3genE0ELNS1_11target_archE4294967295ELNS1_3gpuE0ELNS1_3repE0EEENS1_30default_config_static_selectorELNS0_4arch9wavefront6targetE1EEEvSL_ ; -- Begin function _ZN7rocprim17ROCPRIM_400000_NS6detail17trampoline_kernelINS0_14default_configENS1_22reduce_config_selectorIiEEZNS1_11reduce_implILb1ES3_N6thrust23THRUST_200600_302600_NS11hip_rocprim35transform_pair_of_input_iterators_tIiPfSB_NS8_12not_equal_toIfEEEEPiiNS8_4plusIiEEEE10hipError_tPvRmT1_T2_T3_mT4_P12ihipStream_tbEUlT_E1_NS1_11comp_targetILNS1_3genE0ELNS1_11target_archE4294967295ELNS1_3gpuE0ELNS1_3repE0EEENS1_30default_config_static_selectorELNS0_4arch9wavefront6targetE1EEEvSL_
	.globl	_ZN7rocprim17ROCPRIM_400000_NS6detail17trampoline_kernelINS0_14default_configENS1_22reduce_config_selectorIiEEZNS1_11reduce_implILb1ES3_N6thrust23THRUST_200600_302600_NS11hip_rocprim35transform_pair_of_input_iterators_tIiPfSB_NS8_12not_equal_toIfEEEEPiiNS8_4plusIiEEEE10hipError_tPvRmT1_T2_T3_mT4_P12ihipStream_tbEUlT_E1_NS1_11comp_targetILNS1_3genE0ELNS1_11target_archE4294967295ELNS1_3gpuE0ELNS1_3repE0EEENS1_30default_config_static_selectorELNS0_4arch9wavefront6targetE1EEEvSL_
	.p2align	8
	.type	_ZN7rocprim17ROCPRIM_400000_NS6detail17trampoline_kernelINS0_14default_configENS1_22reduce_config_selectorIiEEZNS1_11reduce_implILb1ES3_N6thrust23THRUST_200600_302600_NS11hip_rocprim35transform_pair_of_input_iterators_tIiPfSB_NS8_12not_equal_toIfEEEEPiiNS8_4plusIiEEEE10hipError_tPvRmT1_T2_T3_mT4_P12ihipStream_tbEUlT_E1_NS1_11comp_targetILNS1_3genE0ELNS1_11target_archE4294967295ELNS1_3gpuE0ELNS1_3repE0EEENS1_30default_config_static_selectorELNS0_4arch9wavefront6targetE1EEEvSL_,@function
_ZN7rocprim17ROCPRIM_400000_NS6detail17trampoline_kernelINS0_14default_configENS1_22reduce_config_selectorIiEEZNS1_11reduce_implILb1ES3_N6thrust23THRUST_200600_302600_NS11hip_rocprim35transform_pair_of_input_iterators_tIiPfSB_NS8_12not_equal_toIfEEEEPiiNS8_4plusIiEEEE10hipError_tPvRmT1_T2_T3_mT4_P12ihipStream_tbEUlT_E1_NS1_11comp_targetILNS1_3genE0ELNS1_11target_archE4294967295ELNS1_3gpuE0ELNS1_3repE0EEENS1_30default_config_static_selectorELNS0_4arch9wavefront6targetE1EEEvSL_: ; @_ZN7rocprim17ROCPRIM_400000_NS6detail17trampoline_kernelINS0_14default_configENS1_22reduce_config_selectorIiEEZNS1_11reduce_implILb1ES3_N6thrust23THRUST_200600_302600_NS11hip_rocprim35transform_pair_of_input_iterators_tIiPfSB_NS8_12not_equal_toIfEEEEPiiNS8_4plusIiEEEE10hipError_tPvRmT1_T2_T3_mT4_P12ihipStream_tbEUlT_E1_NS1_11comp_targetILNS1_3genE0ELNS1_11target_archE4294967295ELNS1_3gpuE0ELNS1_3repE0EEENS1_30default_config_static_selectorELNS0_4arch9wavefront6targetE1EEEvSL_
; %bb.0:
	.section	.rodata,"a",@progbits
	.p2align	6, 0x0
	.amdhsa_kernel _ZN7rocprim17ROCPRIM_400000_NS6detail17trampoline_kernelINS0_14default_configENS1_22reduce_config_selectorIiEEZNS1_11reduce_implILb1ES3_N6thrust23THRUST_200600_302600_NS11hip_rocprim35transform_pair_of_input_iterators_tIiPfSB_NS8_12not_equal_toIfEEEEPiiNS8_4plusIiEEEE10hipError_tPvRmT1_T2_T3_mT4_P12ihipStream_tbEUlT_E1_NS1_11comp_targetILNS1_3genE0ELNS1_11target_archE4294967295ELNS1_3gpuE0ELNS1_3repE0EEENS1_30default_config_static_selectorELNS0_4arch9wavefront6targetE1EEEvSL_
		.amdhsa_group_segment_fixed_size 0
		.amdhsa_private_segment_fixed_size 0
		.amdhsa_kernarg_size 56
		.amdhsa_user_sgpr_count 6
		.amdhsa_user_sgpr_private_segment_buffer 1
		.amdhsa_user_sgpr_dispatch_ptr 0
		.amdhsa_user_sgpr_queue_ptr 0
		.amdhsa_user_sgpr_kernarg_segment_ptr 1
		.amdhsa_user_sgpr_dispatch_id 0
		.amdhsa_user_sgpr_flat_scratch_init 0
		.amdhsa_user_sgpr_kernarg_preload_length 0
		.amdhsa_user_sgpr_kernarg_preload_offset 0
		.amdhsa_user_sgpr_private_segment_size 0
		.amdhsa_uses_dynamic_stack 0
		.amdhsa_system_sgpr_private_segment_wavefront_offset 0
		.amdhsa_system_sgpr_workgroup_id_x 1
		.amdhsa_system_sgpr_workgroup_id_y 0
		.amdhsa_system_sgpr_workgroup_id_z 0
		.amdhsa_system_sgpr_workgroup_info 0
		.amdhsa_system_vgpr_workitem_id 0
		.amdhsa_next_free_vgpr 1
		.amdhsa_next_free_sgpr 0
		.amdhsa_accum_offset 4
		.amdhsa_reserve_vcc 0
		.amdhsa_reserve_flat_scratch 0
		.amdhsa_float_round_mode_32 0
		.amdhsa_float_round_mode_16_64 0
		.amdhsa_float_denorm_mode_32 3
		.amdhsa_float_denorm_mode_16_64 3
		.amdhsa_dx10_clamp 1
		.amdhsa_ieee_mode 1
		.amdhsa_fp16_overflow 0
		.amdhsa_tg_split 0
		.amdhsa_exception_fp_ieee_invalid_op 0
		.amdhsa_exception_fp_denorm_src 0
		.amdhsa_exception_fp_ieee_div_zero 0
		.amdhsa_exception_fp_ieee_overflow 0
		.amdhsa_exception_fp_ieee_underflow 0
		.amdhsa_exception_fp_ieee_inexact 0
		.amdhsa_exception_int_div_zero 0
	.end_amdhsa_kernel
	.section	.text._ZN7rocprim17ROCPRIM_400000_NS6detail17trampoline_kernelINS0_14default_configENS1_22reduce_config_selectorIiEEZNS1_11reduce_implILb1ES3_N6thrust23THRUST_200600_302600_NS11hip_rocprim35transform_pair_of_input_iterators_tIiPfSB_NS8_12not_equal_toIfEEEEPiiNS8_4plusIiEEEE10hipError_tPvRmT1_T2_T3_mT4_P12ihipStream_tbEUlT_E1_NS1_11comp_targetILNS1_3genE0ELNS1_11target_archE4294967295ELNS1_3gpuE0ELNS1_3repE0EEENS1_30default_config_static_selectorELNS0_4arch9wavefront6targetE1EEEvSL_,"axG",@progbits,_ZN7rocprim17ROCPRIM_400000_NS6detail17trampoline_kernelINS0_14default_configENS1_22reduce_config_selectorIiEEZNS1_11reduce_implILb1ES3_N6thrust23THRUST_200600_302600_NS11hip_rocprim35transform_pair_of_input_iterators_tIiPfSB_NS8_12not_equal_toIfEEEEPiiNS8_4plusIiEEEE10hipError_tPvRmT1_T2_T3_mT4_P12ihipStream_tbEUlT_E1_NS1_11comp_targetILNS1_3genE0ELNS1_11target_archE4294967295ELNS1_3gpuE0ELNS1_3repE0EEENS1_30default_config_static_selectorELNS0_4arch9wavefront6targetE1EEEvSL_,comdat
.Lfunc_end1897:
	.size	_ZN7rocprim17ROCPRIM_400000_NS6detail17trampoline_kernelINS0_14default_configENS1_22reduce_config_selectorIiEEZNS1_11reduce_implILb1ES3_N6thrust23THRUST_200600_302600_NS11hip_rocprim35transform_pair_of_input_iterators_tIiPfSB_NS8_12not_equal_toIfEEEEPiiNS8_4plusIiEEEE10hipError_tPvRmT1_T2_T3_mT4_P12ihipStream_tbEUlT_E1_NS1_11comp_targetILNS1_3genE0ELNS1_11target_archE4294967295ELNS1_3gpuE0ELNS1_3repE0EEENS1_30default_config_static_selectorELNS0_4arch9wavefront6targetE1EEEvSL_, .Lfunc_end1897-_ZN7rocprim17ROCPRIM_400000_NS6detail17trampoline_kernelINS0_14default_configENS1_22reduce_config_selectorIiEEZNS1_11reduce_implILb1ES3_N6thrust23THRUST_200600_302600_NS11hip_rocprim35transform_pair_of_input_iterators_tIiPfSB_NS8_12not_equal_toIfEEEEPiiNS8_4plusIiEEEE10hipError_tPvRmT1_T2_T3_mT4_P12ihipStream_tbEUlT_E1_NS1_11comp_targetILNS1_3genE0ELNS1_11target_archE4294967295ELNS1_3gpuE0ELNS1_3repE0EEENS1_30default_config_static_selectorELNS0_4arch9wavefront6targetE1EEEvSL_
                                        ; -- End function
	.section	.AMDGPU.csdata,"",@progbits
; Kernel info:
; codeLenInByte = 0
; NumSgprs: 4
; NumVgprs: 0
; NumAgprs: 0
; TotalNumVgprs: 0
; ScratchSize: 0
; MemoryBound: 0
; FloatMode: 240
; IeeeMode: 1
; LDSByteSize: 0 bytes/workgroup (compile time only)
; SGPRBlocks: 0
; VGPRBlocks: 0
; NumSGPRsForWavesPerEU: 4
; NumVGPRsForWavesPerEU: 1
; AccumOffset: 4
; Occupancy: 8
; WaveLimiterHint : 0
; COMPUTE_PGM_RSRC2:SCRATCH_EN: 0
; COMPUTE_PGM_RSRC2:USER_SGPR: 6
; COMPUTE_PGM_RSRC2:TRAP_HANDLER: 0
; COMPUTE_PGM_RSRC2:TGID_X_EN: 1
; COMPUTE_PGM_RSRC2:TGID_Y_EN: 0
; COMPUTE_PGM_RSRC2:TGID_Z_EN: 0
; COMPUTE_PGM_RSRC2:TIDIG_COMP_CNT: 0
; COMPUTE_PGM_RSRC3_GFX90A:ACCUM_OFFSET: 0
; COMPUTE_PGM_RSRC3_GFX90A:TG_SPLIT: 0
	.section	.text._ZN7rocprim17ROCPRIM_400000_NS6detail17trampoline_kernelINS0_14default_configENS1_22reduce_config_selectorIiEEZNS1_11reduce_implILb1ES3_N6thrust23THRUST_200600_302600_NS11hip_rocprim35transform_pair_of_input_iterators_tIiPfSB_NS8_12not_equal_toIfEEEEPiiNS8_4plusIiEEEE10hipError_tPvRmT1_T2_T3_mT4_P12ihipStream_tbEUlT_E1_NS1_11comp_targetILNS1_3genE5ELNS1_11target_archE942ELNS1_3gpuE9ELNS1_3repE0EEENS1_30default_config_static_selectorELNS0_4arch9wavefront6targetE1EEEvSL_,"axG",@progbits,_ZN7rocprim17ROCPRIM_400000_NS6detail17trampoline_kernelINS0_14default_configENS1_22reduce_config_selectorIiEEZNS1_11reduce_implILb1ES3_N6thrust23THRUST_200600_302600_NS11hip_rocprim35transform_pair_of_input_iterators_tIiPfSB_NS8_12not_equal_toIfEEEEPiiNS8_4plusIiEEEE10hipError_tPvRmT1_T2_T3_mT4_P12ihipStream_tbEUlT_E1_NS1_11comp_targetILNS1_3genE5ELNS1_11target_archE942ELNS1_3gpuE9ELNS1_3repE0EEENS1_30default_config_static_selectorELNS0_4arch9wavefront6targetE1EEEvSL_,comdat
	.protected	_ZN7rocprim17ROCPRIM_400000_NS6detail17trampoline_kernelINS0_14default_configENS1_22reduce_config_selectorIiEEZNS1_11reduce_implILb1ES3_N6thrust23THRUST_200600_302600_NS11hip_rocprim35transform_pair_of_input_iterators_tIiPfSB_NS8_12not_equal_toIfEEEEPiiNS8_4plusIiEEEE10hipError_tPvRmT1_T2_T3_mT4_P12ihipStream_tbEUlT_E1_NS1_11comp_targetILNS1_3genE5ELNS1_11target_archE942ELNS1_3gpuE9ELNS1_3repE0EEENS1_30default_config_static_selectorELNS0_4arch9wavefront6targetE1EEEvSL_ ; -- Begin function _ZN7rocprim17ROCPRIM_400000_NS6detail17trampoline_kernelINS0_14default_configENS1_22reduce_config_selectorIiEEZNS1_11reduce_implILb1ES3_N6thrust23THRUST_200600_302600_NS11hip_rocprim35transform_pair_of_input_iterators_tIiPfSB_NS8_12not_equal_toIfEEEEPiiNS8_4plusIiEEEE10hipError_tPvRmT1_T2_T3_mT4_P12ihipStream_tbEUlT_E1_NS1_11comp_targetILNS1_3genE5ELNS1_11target_archE942ELNS1_3gpuE9ELNS1_3repE0EEENS1_30default_config_static_selectorELNS0_4arch9wavefront6targetE1EEEvSL_
	.globl	_ZN7rocprim17ROCPRIM_400000_NS6detail17trampoline_kernelINS0_14default_configENS1_22reduce_config_selectorIiEEZNS1_11reduce_implILb1ES3_N6thrust23THRUST_200600_302600_NS11hip_rocprim35transform_pair_of_input_iterators_tIiPfSB_NS8_12not_equal_toIfEEEEPiiNS8_4plusIiEEEE10hipError_tPvRmT1_T2_T3_mT4_P12ihipStream_tbEUlT_E1_NS1_11comp_targetILNS1_3genE5ELNS1_11target_archE942ELNS1_3gpuE9ELNS1_3repE0EEENS1_30default_config_static_selectorELNS0_4arch9wavefront6targetE1EEEvSL_
	.p2align	8
	.type	_ZN7rocprim17ROCPRIM_400000_NS6detail17trampoline_kernelINS0_14default_configENS1_22reduce_config_selectorIiEEZNS1_11reduce_implILb1ES3_N6thrust23THRUST_200600_302600_NS11hip_rocprim35transform_pair_of_input_iterators_tIiPfSB_NS8_12not_equal_toIfEEEEPiiNS8_4plusIiEEEE10hipError_tPvRmT1_T2_T3_mT4_P12ihipStream_tbEUlT_E1_NS1_11comp_targetILNS1_3genE5ELNS1_11target_archE942ELNS1_3gpuE9ELNS1_3repE0EEENS1_30default_config_static_selectorELNS0_4arch9wavefront6targetE1EEEvSL_,@function
_ZN7rocprim17ROCPRIM_400000_NS6detail17trampoline_kernelINS0_14default_configENS1_22reduce_config_selectorIiEEZNS1_11reduce_implILb1ES3_N6thrust23THRUST_200600_302600_NS11hip_rocprim35transform_pair_of_input_iterators_tIiPfSB_NS8_12not_equal_toIfEEEEPiiNS8_4plusIiEEEE10hipError_tPvRmT1_T2_T3_mT4_P12ihipStream_tbEUlT_E1_NS1_11comp_targetILNS1_3genE5ELNS1_11target_archE942ELNS1_3gpuE9ELNS1_3repE0EEENS1_30default_config_static_selectorELNS0_4arch9wavefront6targetE1EEEvSL_: ; @_ZN7rocprim17ROCPRIM_400000_NS6detail17trampoline_kernelINS0_14default_configENS1_22reduce_config_selectorIiEEZNS1_11reduce_implILb1ES3_N6thrust23THRUST_200600_302600_NS11hip_rocprim35transform_pair_of_input_iterators_tIiPfSB_NS8_12not_equal_toIfEEEEPiiNS8_4plusIiEEEE10hipError_tPvRmT1_T2_T3_mT4_P12ihipStream_tbEUlT_E1_NS1_11comp_targetILNS1_3genE5ELNS1_11target_archE942ELNS1_3gpuE9ELNS1_3repE0EEENS1_30default_config_static_selectorELNS0_4arch9wavefront6targetE1EEEvSL_
; %bb.0:
	.section	.rodata,"a",@progbits
	.p2align	6, 0x0
	.amdhsa_kernel _ZN7rocprim17ROCPRIM_400000_NS6detail17trampoline_kernelINS0_14default_configENS1_22reduce_config_selectorIiEEZNS1_11reduce_implILb1ES3_N6thrust23THRUST_200600_302600_NS11hip_rocprim35transform_pair_of_input_iterators_tIiPfSB_NS8_12not_equal_toIfEEEEPiiNS8_4plusIiEEEE10hipError_tPvRmT1_T2_T3_mT4_P12ihipStream_tbEUlT_E1_NS1_11comp_targetILNS1_3genE5ELNS1_11target_archE942ELNS1_3gpuE9ELNS1_3repE0EEENS1_30default_config_static_selectorELNS0_4arch9wavefront6targetE1EEEvSL_
		.amdhsa_group_segment_fixed_size 0
		.amdhsa_private_segment_fixed_size 0
		.amdhsa_kernarg_size 56
		.amdhsa_user_sgpr_count 6
		.amdhsa_user_sgpr_private_segment_buffer 1
		.amdhsa_user_sgpr_dispatch_ptr 0
		.amdhsa_user_sgpr_queue_ptr 0
		.amdhsa_user_sgpr_kernarg_segment_ptr 1
		.amdhsa_user_sgpr_dispatch_id 0
		.amdhsa_user_sgpr_flat_scratch_init 0
		.amdhsa_user_sgpr_kernarg_preload_length 0
		.amdhsa_user_sgpr_kernarg_preload_offset 0
		.amdhsa_user_sgpr_private_segment_size 0
		.amdhsa_uses_dynamic_stack 0
		.amdhsa_system_sgpr_private_segment_wavefront_offset 0
		.amdhsa_system_sgpr_workgroup_id_x 1
		.amdhsa_system_sgpr_workgroup_id_y 0
		.amdhsa_system_sgpr_workgroup_id_z 0
		.amdhsa_system_sgpr_workgroup_info 0
		.amdhsa_system_vgpr_workitem_id 0
		.amdhsa_next_free_vgpr 1
		.amdhsa_next_free_sgpr 0
		.amdhsa_accum_offset 4
		.amdhsa_reserve_vcc 0
		.amdhsa_reserve_flat_scratch 0
		.amdhsa_float_round_mode_32 0
		.amdhsa_float_round_mode_16_64 0
		.amdhsa_float_denorm_mode_32 3
		.amdhsa_float_denorm_mode_16_64 3
		.amdhsa_dx10_clamp 1
		.amdhsa_ieee_mode 1
		.amdhsa_fp16_overflow 0
		.amdhsa_tg_split 0
		.amdhsa_exception_fp_ieee_invalid_op 0
		.amdhsa_exception_fp_denorm_src 0
		.amdhsa_exception_fp_ieee_div_zero 0
		.amdhsa_exception_fp_ieee_overflow 0
		.amdhsa_exception_fp_ieee_underflow 0
		.amdhsa_exception_fp_ieee_inexact 0
		.amdhsa_exception_int_div_zero 0
	.end_amdhsa_kernel
	.section	.text._ZN7rocprim17ROCPRIM_400000_NS6detail17trampoline_kernelINS0_14default_configENS1_22reduce_config_selectorIiEEZNS1_11reduce_implILb1ES3_N6thrust23THRUST_200600_302600_NS11hip_rocprim35transform_pair_of_input_iterators_tIiPfSB_NS8_12not_equal_toIfEEEEPiiNS8_4plusIiEEEE10hipError_tPvRmT1_T2_T3_mT4_P12ihipStream_tbEUlT_E1_NS1_11comp_targetILNS1_3genE5ELNS1_11target_archE942ELNS1_3gpuE9ELNS1_3repE0EEENS1_30default_config_static_selectorELNS0_4arch9wavefront6targetE1EEEvSL_,"axG",@progbits,_ZN7rocprim17ROCPRIM_400000_NS6detail17trampoline_kernelINS0_14default_configENS1_22reduce_config_selectorIiEEZNS1_11reduce_implILb1ES3_N6thrust23THRUST_200600_302600_NS11hip_rocprim35transform_pair_of_input_iterators_tIiPfSB_NS8_12not_equal_toIfEEEEPiiNS8_4plusIiEEEE10hipError_tPvRmT1_T2_T3_mT4_P12ihipStream_tbEUlT_E1_NS1_11comp_targetILNS1_3genE5ELNS1_11target_archE942ELNS1_3gpuE9ELNS1_3repE0EEENS1_30default_config_static_selectorELNS0_4arch9wavefront6targetE1EEEvSL_,comdat
.Lfunc_end1898:
	.size	_ZN7rocprim17ROCPRIM_400000_NS6detail17trampoline_kernelINS0_14default_configENS1_22reduce_config_selectorIiEEZNS1_11reduce_implILb1ES3_N6thrust23THRUST_200600_302600_NS11hip_rocprim35transform_pair_of_input_iterators_tIiPfSB_NS8_12not_equal_toIfEEEEPiiNS8_4plusIiEEEE10hipError_tPvRmT1_T2_T3_mT4_P12ihipStream_tbEUlT_E1_NS1_11comp_targetILNS1_3genE5ELNS1_11target_archE942ELNS1_3gpuE9ELNS1_3repE0EEENS1_30default_config_static_selectorELNS0_4arch9wavefront6targetE1EEEvSL_, .Lfunc_end1898-_ZN7rocprim17ROCPRIM_400000_NS6detail17trampoline_kernelINS0_14default_configENS1_22reduce_config_selectorIiEEZNS1_11reduce_implILb1ES3_N6thrust23THRUST_200600_302600_NS11hip_rocprim35transform_pair_of_input_iterators_tIiPfSB_NS8_12not_equal_toIfEEEEPiiNS8_4plusIiEEEE10hipError_tPvRmT1_T2_T3_mT4_P12ihipStream_tbEUlT_E1_NS1_11comp_targetILNS1_3genE5ELNS1_11target_archE942ELNS1_3gpuE9ELNS1_3repE0EEENS1_30default_config_static_selectorELNS0_4arch9wavefront6targetE1EEEvSL_
                                        ; -- End function
	.section	.AMDGPU.csdata,"",@progbits
; Kernel info:
; codeLenInByte = 0
; NumSgprs: 4
; NumVgprs: 0
; NumAgprs: 0
; TotalNumVgprs: 0
; ScratchSize: 0
; MemoryBound: 0
; FloatMode: 240
; IeeeMode: 1
; LDSByteSize: 0 bytes/workgroup (compile time only)
; SGPRBlocks: 0
; VGPRBlocks: 0
; NumSGPRsForWavesPerEU: 4
; NumVGPRsForWavesPerEU: 1
; AccumOffset: 4
; Occupancy: 8
; WaveLimiterHint : 0
; COMPUTE_PGM_RSRC2:SCRATCH_EN: 0
; COMPUTE_PGM_RSRC2:USER_SGPR: 6
; COMPUTE_PGM_RSRC2:TRAP_HANDLER: 0
; COMPUTE_PGM_RSRC2:TGID_X_EN: 1
; COMPUTE_PGM_RSRC2:TGID_Y_EN: 0
; COMPUTE_PGM_RSRC2:TGID_Z_EN: 0
; COMPUTE_PGM_RSRC2:TIDIG_COMP_CNT: 0
; COMPUTE_PGM_RSRC3_GFX90A:ACCUM_OFFSET: 0
; COMPUTE_PGM_RSRC3_GFX90A:TG_SPLIT: 0
	.section	.text._ZN7rocprim17ROCPRIM_400000_NS6detail17trampoline_kernelINS0_14default_configENS1_22reduce_config_selectorIiEEZNS1_11reduce_implILb1ES3_N6thrust23THRUST_200600_302600_NS11hip_rocprim35transform_pair_of_input_iterators_tIiPfSB_NS8_12not_equal_toIfEEEEPiiNS8_4plusIiEEEE10hipError_tPvRmT1_T2_T3_mT4_P12ihipStream_tbEUlT_E1_NS1_11comp_targetILNS1_3genE4ELNS1_11target_archE910ELNS1_3gpuE8ELNS1_3repE0EEENS1_30default_config_static_selectorELNS0_4arch9wavefront6targetE1EEEvSL_,"axG",@progbits,_ZN7rocprim17ROCPRIM_400000_NS6detail17trampoline_kernelINS0_14default_configENS1_22reduce_config_selectorIiEEZNS1_11reduce_implILb1ES3_N6thrust23THRUST_200600_302600_NS11hip_rocprim35transform_pair_of_input_iterators_tIiPfSB_NS8_12not_equal_toIfEEEEPiiNS8_4plusIiEEEE10hipError_tPvRmT1_T2_T3_mT4_P12ihipStream_tbEUlT_E1_NS1_11comp_targetILNS1_3genE4ELNS1_11target_archE910ELNS1_3gpuE8ELNS1_3repE0EEENS1_30default_config_static_selectorELNS0_4arch9wavefront6targetE1EEEvSL_,comdat
	.protected	_ZN7rocprim17ROCPRIM_400000_NS6detail17trampoline_kernelINS0_14default_configENS1_22reduce_config_selectorIiEEZNS1_11reduce_implILb1ES3_N6thrust23THRUST_200600_302600_NS11hip_rocprim35transform_pair_of_input_iterators_tIiPfSB_NS8_12not_equal_toIfEEEEPiiNS8_4plusIiEEEE10hipError_tPvRmT1_T2_T3_mT4_P12ihipStream_tbEUlT_E1_NS1_11comp_targetILNS1_3genE4ELNS1_11target_archE910ELNS1_3gpuE8ELNS1_3repE0EEENS1_30default_config_static_selectorELNS0_4arch9wavefront6targetE1EEEvSL_ ; -- Begin function _ZN7rocprim17ROCPRIM_400000_NS6detail17trampoline_kernelINS0_14default_configENS1_22reduce_config_selectorIiEEZNS1_11reduce_implILb1ES3_N6thrust23THRUST_200600_302600_NS11hip_rocprim35transform_pair_of_input_iterators_tIiPfSB_NS8_12not_equal_toIfEEEEPiiNS8_4plusIiEEEE10hipError_tPvRmT1_T2_T3_mT4_P12ihipStream_tbEUlT_E1_NS1_11comp_targetILNS1_3genE4ELNS1_11target_archE910ELNS1_3gpuE8ELNS1_3repE0EEENS1_30default_config_static_selectorELNS0_4arch9wavefront6targetE1EEEvSL_
	.globl	_ZN7rocprim17ROCPRIM_400000_NS6detail17trampoline_kernelINS0_14default_configENS1_22reduce_config_selectorIiEEZNS1_11reduce_implILb1ES3_N6thrust23THRUST_200600_302600_NS11hip_rocprim35transform_pair_of_input_iterators_tIiPfSB_NS8_12not_equal_toIfEEEEPiiNS8_4plusIiEEEE10hipError_tPvRmT1_T2_T3_mT4_P12ihipStream_tbEUlT_E1_NS1_11comp_targetILNS1_3genE4ELNS1_11target_archE910ELNS1_3gpuE8ELNS1_3repE0EEENS1_30default_config_static_selectorELNS0_4arch9wavefront6targetE1EEEvSL_
	.p2align	8
	.type	_ZN7rocprim17ROCPRIM_400000_NS6detail17trampoline_kernelINS0_14default_configENS1_22reduce_config_selectorIiEEZNS1_11reduce_implILb1ES3_N6thrust23THRUST_200600_302600_NS11hip_rocprim35transform_pair_of_input_iterators_tIiPfSB_NS8_12not_equal_toIfEEEEPiiNS8_4plusIiEEEE10hipError_tPvRmT1_T2_T3_mT4_P12ihipStream_tbEUlT_E1_NS1_11comp_targetILNS1_3genE4ELNS1_11target_archE910ELNS1_3gpuE8ELNS1_3repE0EEENS1_30default_config_static_selectorELNS0_4arch9wavefront6targetE1EEEvSL_,@function
_ZN7rocprim17ROCPRIM_400000_NS6detail17trampoline_kernelINS0_14default_configENS1_22reduce_config_selectorIiEEZNS1_11reduce_implILb1ES3_N6thrust23THRUST_200600_302600_NS11hip_rocprim35transform_pair_of_input_iterators_tIiPfSB_NS8_12not_equal_toIfEEEEPiiNS8_4plusIiEEEE10hipError_tPvRmT1_T2_T3_mT4_P12ihipStream_tbEUlT_E1_NS1_11comp_targetILNS1_3genE4ELNS1_11target_archE910ELNS1_3gpuE8ELNS1_3repE0EEENS1_30default_config_static_selectorELNS0_4arch9wavefront6targetE1EEEvSL_: ; @_ZN7rocprim17ROCPRIM_400000_NS6detail17trampoline_kernelINS0_14default_configENS1_22reduce_config_selectorIiEEZNS1_11reduce_implILb1ES3_N6thrust23THRUST_200600_302600_NS11hip_rocprim35transform_pair_of_input_iterators_tIiPfSB_NS8_12not_equal_toIfEEEEPiiNS8_4plusIiEEEE10hipError_tPvRmT1_T2_T3_mT4_P12ihipStream_tbEUlT_E1_NS1_11comp_targetILNS1_3genE4ELNS1_11target_archE910ELNS1_3gpuE8ELNS1_3repE0EEENS1_30default_config_static_selectorELNS0_4arch9wavefront6targetE1EEEvSL_
; %bb.0:
	s_load_dword s33, s[4:5], 0x4
	s_load_dwordx4 s[40:43], s[4:5], 0x8
	s_load_dwordx4 s[36:39], s[4:5], 0x20
	s_waitcnt lgkmcnt(0)
	s_cmp_lt_i32 s33, 8
	s_cbranch_scc1 .LBB1899_11
; %bb.1:
	s_cmp_gt_i32 s33, 15
	s_cbranch_scc0 .LBB1899_12
; %bb.2:
	s_cmp_gt_i32 s33, 31
	s_cbranch_scc0 .LBB1899_13
; %bb.3:
	s_cmp_eq_u32 s33, 32
	s_mov_b64 s[8:9], 0
	s_cbranch_scc0 .LBB1899_14
; %bb.4:
	s_mov_b32 s7, 0
	s_lshl_b32 s14, s6, 12
	s_mov_b32 s15, s7
	s_lshr_b64 s[0:1], s[36:37], 12
	s_lshl_b64 s[2:3], s[14:15], 2
	s_add_u32 s10, s40, s2
	s_addc_u32 s11, s41, s3
	s_add_u32 s12, s42, s2
	s_addc_u32 s13, s43, s3
	s_cmp_lg_u64 s[0:1], s[6:7]
	s_cbranch_scc0 .LBB1899_23
; %bb.5:
	v_lshlrev_b32_e32 v1, 2, v0
	v_mov_b32_e32 v2, s11
	v_add_co_u32_e32 v10, vcc, s10, v1
	v_addc_co_u32_e32 v11, vcc, 0, v2, vcc
	v_mov_b32_e32 v2, s13
	v_add_co_u32_e32 v12, vcc, s12, v1
	v_addc_co_u32_e32 v13, vcc, 0, v2, vcc
	s_movk_i32 s0, 0x2000
	v_add_co_u32_e32 v2, vcc, s0, v10
	v_addc_co_u32_e32 v3, vcc, 0, v11, vcc
	v_add_co_u32_e32 v4, vcc, s0, v12
	global_load_dword v14, v1, s[10:11]
	global_load_dword v15, v1, s[12:13]
	global_load_dword v16, v1, s[10:11] offset:1024
	global_load_dword v17, v1, s[12:13] offset:1024
	;; [unrolled: 1-line block ×6, first 2 shown]
	v_addc_co_u32_e32 v5, vcc, 0, v13, vcc
	global_load_dword v22, v[2:3], off offset:-4096
	global_load_dword v23, v[4:5], off offset:-4096
	s_movk_i32 s0, 0x1000
	v_add_co_u32_e32 v6, vcc, s0, v10
	v_addc_co_u32_e32 v7, vcc, 0, v11, vcc
	v_add_co_u32_e32 v8, vcc, s0, v12
	v_addc_co_u32_e32 v9, vcc, 0, v13, vcc
	s_movk_i32 s0, 0x3000
	v_add_co_u32_e32 v10, vcc, s0, v10
	global_load_dword v24, v[6:7], off offset:1024
	global_load_dword v25, v[8:9], off offset:1024
	;; [unrolled: 1-line block ×6, first 2 shown]
	global_load_dword v30, v[2:3], off
	global_load_dword v31, v[4:5], off
	global_load_dword v32, v[2:3], off offset:1024
	global_load_dword v33, v[4:5], off offset:1024
	;; [unrolled: 1-line block ×6, first 2 shown]
	v_addc_co_u32_e32 v11, vcc, 0, v11, vcc
	global_load_dword v38, v[10:11], off
	v_add_co_u32_e32 v12, vcc, s0, v12
	v_addc_co_u32_e32 v13, vcc, 0, v13, vcc
	global_load_dword v39, v[12:13], off
	global_load_dword v40, v[10:11], off offset:1024
	global_load_dword v41, v[12:13], off offset:1024
	;; [unrolled: 1-line block ×6, first 2 shown]
	global_load_dword v46, v1, s[10:11] offset:512
	global_load_dword v47, v1, s[12:13] offset:512
	;; [unrolled: 1-line block ×8, first 2 shown]
                                        ; kill: killed $vgpr1
	s_nop 0
	global_load_dword v1, v[6:7], off offset:512
	global_load_dword v54, v[8:9], off offset:512
	;; [unrolled: 1-line block ×11, first 2 shown]
	s_waitcnt vmcnt(49)
	v_cmp_neq_f32_e32 vcc, v14, v15
	global_load_dword v6, v[4:5], off offset:1536
	global_load_dword v7, v[2:3], off offset:2560
	;; [unrolled: 1-line block ×6, first 2 shown]
	s_nop 0
	global_load_dword v2, v[12:13], off offset:512
	global_load_dword v3, v[10:11], off offset:1536
	s_waitcnt vmcnt(53)
	v_cmp_neq_f32_e64 s[0:1], v18, v19
	s_waitcnt vmcnt(49)
	v_cmp_neq_f32_e64 s[2:3], v22, v23
	global_load_dword v4, v[12:13], off offset:1536
	global_load_dword v5, v[10:11], off offset:2560
	;; [unrolled: 1-line block ×5, first 2 shown]
	v_cndmask_b32_e64 v10, 0, 1, vcc
	v_cmp_neq_f32_e32 vcc, v16, v17
	v_cndmask_b32_e64 v11, 0, 1, vcc
	v_cmp_neq_f32_e32 vcc, v20, v21
	v_cndmask_b32_e64 v13, 0, 1, vcc
	s_waitcnt vmcnt(52)
	v_cmp_neq_f32_e32 vcc, v24, v25
	v_cndmask_b32_e64 v17, 0, 1, vcc
	s_waitcnt vmcnt(50)
	;; [unrolled: 3-line block ×12, first 2 shown]
	v_cmp_neq_f32_e32 vcc, v46, v47
	v_addc_co_u32_e32 v10, vcc, 0, v10, vcc
	s_waitcnt vmcnt(28)
	v_cmp_neq_f32_e32 vcc, v48, v49
	v_addc_co_u32_e32 v10, vcc, v10, v11, vcc
	v_cndmask_b32_e64 v12, 0, 1, s[0:1]
	s_waitcnt vmcnt(26)
	v_cmp_neq_f32_e32 vcc, v50, v51
	v_addc_co_u32_e32 v10, vcc, v10, v12, vcc
	s_waitcnt vmcnt(24)
	v_cmp_neq_f32_e32 vcc, v52, v53
	v_addc_co_u32_e32 v10, vcc, v10, v13, vcc
	v_cndmask_b32_e64 v16, 0, 1, s[2:3]
	s_waitcnt vmcnt(22)
	v_cmp_neq_f32_e32 vcc, v1, v54
	v_addc_co_u32_e32 v1, vcc, v10, v16, vcc
	s_waitcnt vmcnt(20)
	v_cmp_neq_f32_e32 vcc, v55, v56
	v_addc_co_u32_e32 v1, vcc, v1, v17, vcc
	;; [unrolled: 3-line block ×12, first 2 shown]
	v_mbcnt_lo_u32_b32 v2, -1, 0
	s_nop 0
	v_add_u32_dpp v1, v1, v1 quad_perm:[1,0,3,2] row_mask:0xf bank_mask:0xf bound_ctrl:1
	v_mbcnt_hi_u32_b32 v2, -1, v2
	v_lshlrev_b32_e32 v3, 2, v2
	v_add_u32_dpp v1, v1, v1 quad_perm:[2,3,0,1] row_mask:0xf bank_mask:0xf bound_ctrl:1
	v_or_b32_e32 v4, 0xfc, v3
	v_cmp_eq_u32_e32 vcc, 0, v2
	v_add_u32_dpp v1, v1, v1 row_ror:4 row_mask:0xf bank_mask:0xf bound_ctrl:1
	s_nop 1
	v_add_u32_dpp v1, v1, v1 row_ror:8 row_mask:0xf bank_mask:0xf bound_ctrl:1
	s_nop 1
	v_add_u32_dpp v1, v1, v1 row_bcast:15 row_mask:0xf bank_mask:0xf bound_ctrl:1
	s_nop 1
	v_add_u32_dpp v1, v1, v1 row_bcast:31 row_mask:0xf bank_mask:0xf bound_ctrl:1
	ds_bpermute_b32 v1, v4, v1
	s_and_saveexec_b64 s[0:1], vcc
	s_cbranch_execz .LBB1899_7
; %bb.6:
	v_lshrrev_b32_e32 v4, 4, v0
	v_and_b32_e32 v4, 4, v4
	s_waitcnt lgkmcnt(0)
	ds_write_b32 v4, v1 offset:24
.LBB1899_7:
	s_or_b64 exec, exec, s[0:1]
	v_cmp_gt_u32_e32 vcc, 64, v0
	s_waitcnt lgkmcnt(0)
	s_barrier
	s_and_saveexec_b64 s[0:1], vcc
	s_cbranch_execz .LBB1899_9
; %bb.8:
	v_and_b32_e32 v1, 1, v2
	v_lshlrev_b32_e32 v1, 2, v1
	ds_read_b32 v1, v1 offset:24
	v_or_b32_e32 v2, 4, v3
	s_waitcnt lgkmcnt(0)
	ds_bpermute_b32 v2, v2, v1
	s_waitcnt lgkmcnt(0)
	v_add_u32_e32 v1, v2, v1
.LBB1899_9:
	s_or_b64 exec, exec, s[0:1]
.LBB1899_10:
	v_cmp_eq_u32_e64 s[0:1], 0, v0
	s_and_b64 vcc, exec, s[8:9]
	s_cbranch_vccnz .LBB1899_15
	s_branch .LBB1899_93
.LBB1899_11:
	s_mov_b64 s[0:1], 0
                                        ; implicit-def: $vgpr1
	s_cbranch_execnz .LBB1899_166
	s_branch .LBB1899_224
.LBB1899_12:
	s_mov_b64 s[0:1], 0
                                        ; implicit-def: $vgpr1
	s_cbranch_execnz .LBB1899_134
	s_branch .LBB1899_142
.LBB1899_13:
	s_mov_b64 s[8:9], -1
.LBB1899_14:
	s_mov_b64 s[0:1], 0
                                        ; implicit-def: $vgpr1
	s_and_b64 vcc, exec, s[8:9]
	s_cbranch_vccz .LBB1899_93
.LBB1899_15:
	s_cmp_eq_u32 s33, 16
	s_cbranch_scc0 .LBB1899_22
; %bb.16:
	s_mov_b32 s7, 0
	s_lshl_b32 s0, s6, 11
	s_mov_b32 s1, s7
	s_lshr_b64 s[2:3], s[36:37], 11
	s_lshl_b64 s[8:9], s[0:1], 2
	s_add_u32 s34, s40, s8
	s_addc_u32 s35, s41, s9
	s_add_u32 s44, s42, s8
	s_addc_u32 s45, s43, s9
	s_cmp_lg_u64 s[2:3], s[6:7]
	s_cbranch_scc0 .LBB1899_94
; %bb.17:
	v_lshlrev_b32_e32 v1, 2, v0
	v_mov_b32_e32 v2, s35
	v_add_co_u32_e32 v3, vcc, s34, v1
	v_addc_co_u32_e32 v4, vcc, 0, v2, vcc
	v_mov_b32_e32 v2, s45
	v_add_co_u32_e32 v5, vcc, s44, v1
	v_addc_co_u32_e32 v6, vcc, 0, v2, vcc
	global_load_dword v7, v1, s[34:35]
	global_load_dword v8, v1, s[34:35] offset:512
	global_load_dword v9, v1, s[34:35] offset:1024
	global_load_dword v10, v1, s[44:45]
	global_load_dword v11, v1, s[44:45] offset:512
	global_load_dword v12, v1, s[44:45] offset:1024
	;; [unrolled: 1-line block ×6, first 2 shown]
	s_movk_i32 s1, 0x1000
	v_add_co_u32_e32 v2, vcc, s1, v3
	v_addc_co_u32_e32 v3, vcc, 0, v4, vcc
	global_load_dword v17, v[2:3], off
	v_add_co_u32_e32 v4, vcc, s1, v5
	v_addc_co_u32_e32 v5, vcc, 0, v6, vcc
	global_load_dword v6, v[4:5], off
	global_load_dword v18, v[2:3], off offset:1024
	global_load_dword v19, v[4:5], off offset:1024
	;; [unrolled: 1-line block ×6, first 2 shown]
	global_load_dword v24, v1, s[34:35] offset:1536
	global_load_dword v25, v1, s[44:45] offset:1536
	;; [unrolled: 1-line block ×6, first 2 shown]
	global_load_dword v30, v[2:3], off offset:512
	global_load_dword v31, v[4:5], off offset:512
                                        ; kill: killed $vgpr1
	s_nop 0
	global_load_dword v1, v[2:3], off offset:1536
	global_load_dword v32, v[4:5], off offset:1536
	;; [unrolled: 1-line block ×6, first 2 shown]
	s_waitcnt vmcnt(28)
	v_cmp_neq_f32_e32 vcc, v7, v10
	v_cndmask_b32_e64 v2, 0, 1, vcc
	s_waitcnt vmcnt(26)
	v_cmp_neq_f32_e32 vcc, v9, v12
	v_cndmask_b32_e64 v3, 0, 1, vcc
	;; [unrolled: 3-line block ×4, first 2 shown]
	v_cmp_neq_f32_e32 vcc, v8, v11
	v_addc_co_u32_e32 v2, vcc, 0, v2, vcc
	s_waitcnt vmcnt(20)
	v_cmp_neq_f32_e32 vcc, v17, v6
	v_cndmask_b32_e64 v6, 0, 1, vcc
	s_waitcnt vmcnt(18)
	v_cmp_neq_f32_e32 vcc, v18, v19
	v_cndmask_b32_e64 v7, 0, 1, vcc
	;; [unrolled: 3-line block ×4, first 2 shown]
	s_waitcnt vmcnt(12)
	v_cmp_neq_f32_e32 vcc, v24, v25
	v_addc_co_u32_e32 v2, vcc, v2, v3, vcc
	s_waitcnt vmcnt(10)
	v_cmp_neq_f32_e32 vcc, v26, v27
	v_addc_co_u32_e32 v2, vcc, v2, v4, vcc
	;; [unrolled: 3-line block ×7, first 2 shown]
	v_mbcnt_lo_u32_b32 v2, -1, 0
	s_nop 0
	v_add_u32_dpp v1, v1, v1 quad_perm:[1,0,3,2] row_mask:0xf bank_mask:0xf bound_ctrl:1
	v_mbcnt_hi_u32_b32 v2, -1, v2
	v_lshlrev_b32_e32 v3, 2, v2
	v_add_u32_dpp v1, v1, v1 quad_perm:[2,3,0,1] row_mask:0xf bank_mask:0xf bound_ctrl:1
	v_or_b32_e32 v4, 0xfc, v3
	v_cmp_eq_u32_e32 vcc, 0, v2
	v_add_u32_dpp v1, v1, v1 row_ror:4 row_mask:0xf bank_mask:0xf bound_ctrl:1
	s_nop 1
	v_add_u32_dpp v1, v1, v1 row_ror:8 row_mask:0xf bank_mask:0xf bound_ctrl:1
	s_nop 1
	v_add_u32_dpp v1, v1, v1 row_bcast:15 row_mask:0xf bank_mask:0xf bound_ctrl:1
	s_nop 1
	v_add_u32_dpp v1, v1, v1 row_bcast:31 row_mask:0xf bank_mask:0xf bound_ctrl:1
	ds_bpermute_b32 v1, v4, v1
	s_and_saveexec_b64 s[2:3], vcc
	s_cbranch_execz .LBB1899_19
; %bb.18:
	v_lshrrev_b32_e32 v4, 4, v0
	v_and_b32_e32 v4, 4, v4
	s_waitcnt lgkmcnt(0)
	ds_write_b32 v4, v1
.LBB1899_19:
	s_or_b64 exec, exec, s[2:3]
	v_cmp_gt_u32_e32 vcc, 64, v0
	s_waitcnt lgkmcnt(0)
	s_barrier
	s_and_saveexec_b64 s[2:3], vcc
	s_cbranch_execz .LBB1899_21
; %bb.20:
	v_and_b32_e32 v1, 1, v2
	v_lshlrev_b32_e32 v1, 2, v1
	ds_read_b32 v1, v1
	v_or_b32_e32 v2, 4, v3
	s_waitcnt lgkmcnt(0)
	ds_bpermute_b32 v2, v2, v1
	s_waitcnt lgkmcnt(0)
	v_add_u32_e32 v1, v2, v1
.LBB1899_21:
	s_or_b64 exec, exec, s[2:3]
	s_mov_b64 s[2:3], 0
	s_branch .LBB1899_95
.LBB1899_22:
                                        ; implicit-def: $vgpr1
	s_branch .LBB1899_142
.LBB1899_23:
                                        ; implicit-def: $vgpr1
	s_cbranch_execz .LBB1899_10
; %bb.24:
	s_sub_i32 s2, s36, s14
	v_cmp_gt_u32_e32 vcc, s2, v0
                                        ; implicit-def: $vgpr1
	s_and_saveexec_b64 s[0:1], vcc
	s_cbranch_execz .LBB1899_26
; %bb.25:
	v_lshlrev_b32_e32 v1, 2, v0
	global_load_dword v2, v1, s[10:11]
	global_load_dword v3, v1, s[12:13]
	s_waitcnt vmcnt(0)
	v_cmp_neq_f32_e32 vcc, v2, v3
	v_cndmask_b32_e64 v1, 0, 1, vcc
.LBB1899_26:
	s_or_b64 exec, exec, s[0:1]
	v_or_b32_e32 v2, 0x80, v0
	v_cmp_gt_u32_e32 vcc, s2, v2
	v_mov_b32_e32 v2, 0
	v_mov_b32_e32 v3, 0
	s_and_saveexec_b64 s[0:1], vcc
	s_cbranch_execz .LBB1899_28
; %bb.27:
	v_lshlrev_b32_e32 v3, 2, v0
	global_load_dword v4, v3, s[10:11] offset:512
	global_load_dword v5, v3, s[12:13] offset:512
	s_waitcnt vmcnt(0)
	v_cmp_neq_f32_e32 vcc, v4, v5
	v_cndmask_b32_e64 v3, 0, 1, vcc
.LBB1899_28:
	s_or_b64 exec, exec, s[0:1]
	v_or_b32_e32 v4, 0x100, v0
	v_cmp_gt_u32_e32 vcc, s2, v4
	s_and_saveexec_b64 s[0:1], vcc
	s_cbranch_execz .LBB1899_30
; %bb.29:
	v_lshlrev_b32_e32 v2, 2, v0
	global_load_dword v4, v2, s[10:11] offset:1024
	global_load_dword v5, v2, s[12:13] offset:1024
	s_waitcnt vmcnt(0)
	v_cmp_neq_f32_e32 vcc, v4, v5
	v_cndmask_b32_e64 v2, 0, 1, vcc
.LBB1899_30:
	s_or_b64 exec, exec, s[0:1]
	v_or_b32_e32 v4, 0x180, v0
	v_cmp_gt_u32_e32 vcc, s2, v4
	v_mov_b32_e32 v4, 0
	v_mov_b32_e32 v5, 0
	s_and_saveexec_b64 s[0:1], vcc
	s_cbranch_execz .LBB1899_32
; %bb.31:
	v_lshlrev_b32_e32 v5, 2, v0
	global_load_dword v6, v5, s[10:11] offset:1536
	global_load_dword v7, v5, s[12:13] offset:1536
	s_waitcnt vmcnt(0)
	v_cmp_neq_f32_e32 vcc, v6, v7
	v_cndmask_b32_e64 v5, 0, 1, vcc
.LBB1899_32:
	s_or_b64 exec, exec, s[0:1]
	v_or_b32_e32 v6, 0x200, v0
	v_cmp_gt_u32_e32 vcc, s2, v6
	s_and_saveexec_b64 s[0:1], vcc
	s_cbranch_execz .LBB1899_34
; %bb.33:
	v_lshlrev_b32_e32 v4, 2, v0
	global_load_dword v6, v4, s[10:11] offset:2048
	global_load_dword v7, v4, s[12:13] offset:2048
	s_waitcnt vmcnt(0)
	v_cmp_neq_f32_e32 vcc, v6, v7
	v_cndmask_b32_e64 v4, 0, 1, vcc
.LBB1899_34:
	;; [unrolled: 28-line block ×3, first 2 shown]
	s_or_b64 exec, exec, s[0:1]
	v_or_b32_e32 v8, 0x380, v0
	v_cmp_gt_u32_e32 vcc, s2, v8
	v_mov_b32_e32 v8, 0
	v_mov_b32_e32 v9, 0
	s_and_saveexec_b64 s[0:1], vcc
	s_cbranch_execz .LBB1899_40
; %bb.39:
	v_lshlrev_b32_e32 v9, 2, v0
	global_load_dword v10, v9, s[10:11] offset:3584
	global_load_dword v11, v9, s[12:13] offset:3584
	s_waitcnt vmcnt(0)
	v_cmp_neq_f32_e32 vcc, v10, v11
	v_cndmask_b32_e64 v9, 0, 1, vcc
.LBB1899_40:
	s_or_b64 exec, exec, s[0:1]
	v_or_b32_e32 v10, 0x400, v0
	v_cmp_gt_u32_e32 vcc, s2, v10
	s_and_saveexec_b64 s[0:1], vcc
	s_cbranch_execz .LBB1899_42
; %bb.41:
	v_lshlrev_b32_e32 v8, 2, v10
	global_load_dword v10, v8, s[10:11]
	global_load_dword v11, v8, s[12:13]
	s_waitcnt vmcnt(0)
	v_cmp_neq_f32_e32 vcc, v10, v11
	v_cndmask_b32_e64 v8, 0, 1, vcc
.LBB1899_42:
	s_or_b64 exec, exec, s[0:1]
	v_or_b32_e32 v12, 0x480, v0
	v_cmp_gt_u32_e32 vcc, s2, v12
	v_mov_b32_e32 v10, 0
	v_mov_b32_e32 v11, 0
	s_and_saveexec_b64 s[0:1], vcc
	s_cbranch_execz .LBB1899_44
; %bb.43:
	v_lshlrev_b32_e32 v11, 2, v12
	global_load_dword v12, v11, s[10:11]
	global_load_dword v13, v11, s[12:13]
	s_waitcnt vmcnt(0)
	v_cmp_neq_f32_e32 vcc, v12, v13
	v_cndmask_b32_e64 v11, 0, 1, vcc
.LBB1899_44:
	s_or_b64 exec, exec, s[0:1]
	v_or_b32_e32 v12, 0x500, v0
	v_cmp_gt_u32_e32 vcc, s2, v12
	s_and_saveexec_b64 s[0:1], vcc
	s_cbranch_execz .LBB1899_46
; %bb.45:
	v_lshlrev_b32_e32 v10, 2, v12
	global_load_dword v12, v10, s[10:11]
	global_load_dword v13, v10, s[12:13]
	s_waitcnt vmcnt(0)
	v_cmp_neq_f32_e32 vcc, v12, v13
	v_cndmask_b32_e64 v10, 0, 1, vcc
.LBB1899_46:
	s_or_b64 exec, exec, s[0:1]
	v_or_b32_e32 v14, 0x580, v0
	v_cmp_gt_u32_e32 vcc, s2, v14
	v_mov_b32_e32 v12, 0
	v_mov_b32_e32 v13, 0
	s_and_saveexec_b64 s[0:1], vcc
	s_cbranch_execz .LBB1899_48
; %bb.47:
	v_lshlrev_b32_e32 v13, 2, v14
	global_load_dword v14, v13, s[10:11]
	global_load_dword v15, v13, s[12:13]
	s_waitcnt vmcnt(0)
	v_cmp_neq_f32_e32 vcc, v14, v15
	v_cndmask_b32_e64 v13, 0, 1, vcc
.LBB1899_48:
	;; [unrolled: 28-line block ×11, first 2 shown]
	s_or_b64 exec, exec, s[0:1]
	v_or_b32_e32 v32, 0xf00, v0
	v_cmp_gt_u32_e32 vcc, s2, v32
	s_and_saveexec_b64 s[0:1], vcc
	s_cbranch_execz .LBB1899_86
; %bb.85:
	v_lshlrev_b32_e32 v30, 2, v32
	global_load_dword v32, v30, s[10:11]
	global_load_dword v33, v30, s[12:13]
	s_waitcnt vmcnt(0)
	v_cmp_neq_f32_e32 vcc, v32, v33
	v_cndmask_b32_e64 v30, 0, 1, vcc
.LBB1899_86:
	s_or_b64 exec, exec, s[0:1]
	v_or_b32_e32 v33, 0xf80, v0
	v_cmp_gt_u32_e32 vcc, s2, v33
	v_mov_b32_e32 v32, 0
	s_and_saveexec_b64 s[0:1], vcc
	s_cbranch_execz .LBB1899_88
; %bb.87:
	v_lshlrev_b32_e32 v32, 2, v33
	global_load_dword v33, v32, s[10:11]
	global_load_dword v34, v32, s[12:13]
	s_waitcnt vmcnt(0)
	v_cmp_neq_f32_e32 vcc, v33, v34
	v_cndmask_b32_e64 v32, 0, 1, vcc
.LBB1899_88:
	s_or_b64 exec, exec, s[0:1]
	v_add_u32_e32 v1, v3, v1
	v_add3_u32 v1, v1, v2, v5
	v_add3_u32 v1, v1, v4, v7
	;; [unrolled: 1-line block ×10, first 2 shown]
	v_mbcnt_lo_u32_b32 v2, -1, 0
	v_add3_u32 v1, v1, v22, v25
	v_mbcnt_hi_u32_b32 v2, -1, v2
	v_add3_u32 v1, v1, v24, v27
	v_and_b32_e32 v3, 63, v2
	v_add3_u32 v1, v1, v26, v29
	v_cmp_ne_u32_e32 vcc, 63, v3
	v_add3_u32 v1, v1, v28, v31
	v_addc_co_u32_e32 v4, vcc, 0, v2, vcc
	v_add3_u32 v1, v1, v30, v32
	v_lshlrev_b32_e32 v4, 2, v4
	ds_bpermute_b32 v4, v4, v1
	s_min_u32 s2, s2, 0x80
	v_and_b32_e32 v5, 64, v0
	v_sub_u32_e64 v5, s2, v5 clamp
	v_add_u32_e32 v6, 1, v3
	v_cmp_lt_u32_e32 vcc, v6, v5
	s_waitcnt lgkmcnt(0)
	v_cndmask_b32_e32 v4, 0, v4, vcc
	v_cmp_gt_u32_e32 vcc, 62, v3
	v_add_u32_e32 v1, v4, v1
	v_cndmask_b32_e64 v4, 0, 1, vcc
	v_lshlrev_b32_e32 v4, 1, v4
	v_add_lshl_u32 v4, v4, v2, 2
	ds_bpermute_b32 v4, v4, v1
	v_add_u32_e32 v6, 2, v3
	v_cmp_lt_u32_e32 vcc, v6, v5
	v_add_u32_e32 v6, 4, v3
	s_waitcnt lgkmcnt(0)
	v_cndmask_b32_e32 v4, 0, v4, vcc
	v_cmp_gt_u32_e32 vcc, 60, v3
	v_add_u32_e32 v1, v1, v4
	v_cndmask_b32_e64 v4, 0, 1, vcc
	v_lshlrev_b32_e32 v4, 2, v4
	v_add_lshl_u32 v4, v4, v2, 2
	ds_bpermute_b32 v4, v4, v1
	v_cmp_lt_u32_e32 vcc, v6, v5
	v_add_u32_e32 v6, 8, v3
	s_waitcnt lgkmcnt(0)
	v_cndmask_b32_e32 v4, 0, v4, vcc
	v_cmp_gt_u32_e32 vcc, 56, v3
	v_add_u32_e32 v1, v1, v4
	v_cndmask_b32_e64 v4, 0, 1, vcc
	v_lshlrev_b32_e32 v4, 3, v4
	v_add_lshl_u32 v4, v4, v2, 2
	ds_bpermute_b32 v4, v4, v1
	;; [unrolled: 10-line block ×3, first 2 shown]
	v_cmp_lt_u32_e32 vcc, v6, v5
	s_waitcnt lgkmcnt(0)
	v_cndmask_b32_e32 v4, 0, v4, vcc
	v_cmp_gt_u32_e32 vcc, 32, v3
	v_add_u32_e32 v1, v1, v4
	v_cndmask_b32_e64 v4, 0, 1, vcc
	v_lshlrev_b32_e32 v4, 5, v4
	v_add_lshl_u32 v4, v4, v2, 2
	ds_bpermute_b32 v4, v4, v1
	v_add_u32_e32 v3, 32, v3
	v_cmp_lt_u32_e32 vcc, v3, v5
	s_waitcnt lgkmcnt(0)
	v_cndmask_b32_e32 v3, 0, v4, vcc
	v_add_u32_e32 v1, v1, v3
	v_cmp_eq_u32_e32 vcc, 0, v2
	s_and_saveexec_b64 s[0:1], vcc
	s_cbranch_execz .LBB1899_90
; %bb.89:
	v_lshrrev_b32_e32 v3, 4, v0
	v_and_b32_e32 v3, 4, v3
	ds_write_b32 v3, v1 offset:48
.LBB1899_90:
	s_or_b64 exec, exec, s[0:1]
	v_cmp_gt_u32_e32 vcc, 2, v0
	s_waitcnt lgkmcnt(0)
	s_barrier
	s_and_saveexec_b64 s[0:1], vcc
	s_cbranch_execz .LBB1899_92
; %bb.91:
	v_lshlrev_b32_e32 v1, 2, v2
	ds_read_b32 v3, v1 offset:48
	v_or_b32_e32 v1, 4, v1
	s_add_i32 s2, s2, 63
	v_and_b32_e32 v2, 1, v2
	s_lshr_b32 s2, s2, 6
	s_waitcnt lgkmcnt(0)
	ds_bpermute_b32 v1, v1, v3
	v_add_u32_e32 v2, 1, v2
	v_cmp_gt_u32_e32 vcc, s2, v2
	s_waitcnt lgkmcnt(0)
	v_cndmask_b32_e32 v1, 0, v1, vcc
	v_add_u32_e32 v1, v1, v3
.LBB1899_92:
	s_or_b64 exec, exec, s[0:1]
	v_cmp_eq_u32_e64 s[0:1], 0, v0
	s_and_b64 vcc, exec, s[8:9]
	s_cbranch_vccnz .LBB1899_15
.LBB1899_93:
	s_branch .LBB1899_142
.LBB1899_94:
	s_mov_b64 s[2:3], -1
                                        ; implicit-def: $vgpr1
.LBB1899_95:
	s_and_b64 vcc, exec, s[2:3]
	s_cbranch_vccz .LBB1899_133
; %bb.96:
	s_sub_i32 s48, s36, s0
	v_cmp_gt_u32_e32 vcc, s48, v0
                                        ; implicit-def: $vgpr2_vgpr3_vgpr4_vgpr5_vgpr6_vgpr7_vgpr8_vgpr9_vgpr10_vgpr11_vgpr12_vgpr13_vgpr14_vgpr15_vgpr16_vgpr17
	s_and_saveexec_b64 s[0:1], vcc
	s_cbranch_execz .LBB1899_98
; %bb.97:
	v_lshlrev_b32_e32 v1, 2, v0
	global_load_dword v2, v1, s[34:35]
	global_load_dword v3, v1, s[44:45]
	s_waitcnt vmcnt(0)
	v_cmp_neq_f32_e32 vcc, v2, v3
	v_cndmask_b32_e64 v2, 0, 1, vcc
.LBB1899_98:
	s_or_b64 exec, exec, s[0:1]
	v_or_b32_e32 v1, 0x80, v0
	v_cmp_gt_u32_e32 vcc, s48, v1
	s_and_saveexec_b64 s[2:3], vcc
	s_cbranch_execz .LBB1899_100
; %bb.99:
	v_lshlrev_b32_e32 v1, 2, v0
	global_load_dword v3, v1, s[34:35] offset:512
	global_load_dword v18, v1, s[44:45] offset:512
	s_waitcnt vmcnt(0)
	v_cmp_neq_f32_e64 s[0:1], v3, v18
	v_cndmask_b32_e64 v3, 0, 1, s[0:1]
.LBB1899_100:
	s_or_b64 exec, exec, s[2:3]
	v_or_b32_e32 v1, 0x100, v0
	v_cmp_gt_u32_e64 s[0:1], s48, v1
	s_and_saveexec_b64 s[8:9], s[0:1]
	s_cbranch_execz .LBB1899_102
; %bb.101:
	v_lshlrev_b32_e32 v1, 2, v0
	global_load_dword v4, v1, s[34:35] offset:1024
	global_load_dword v18, v1, s[44:45] offset:1024
	s_waitcnt vmcnt(0)
	v_cmp_neq_f32_e64 s[2:3], v4, v18
	v_cndmask_b32_e64 v4, 0, 1, s[2:3]
.LBB1899_102:
	s_or_b64 exec, exec, s[8:9]
	v_or_b32_e32 v1, 0x180, v0
	v_cmp_gt_u32_e64 s[2:3], s48, v1
	s_and_saveexec_b64 s[10:11], s[2:3]
	;; [unrolled: 13-line block ×7, first 2 shown]
	s_cbranch_execz .LBB1899_114
; %bb.113:
	v_lshlrev_b32_e32 v1, 2, v1
	global_load_dword v10, v1, s[34:35]
	global_load_dword v18, v1, s[44:45]
	s_waitcnt vmcnt(0)
	v_cmp_neq_f32_e64 s[18:19], v10, v18
	v_cndmask_b32_e64 v10, 0, 1, s[18:19]
.LBB1899_114:
	s_or_b64 exec, exec, s[20:21]
	v_or_b32_e32 v1, 0x480, v0
	v_cmp_gt_u32_e64 s[18:19], s48, v1
	s_and_saveexec_b64 s[22:23], s[18:19]
	s_cbranch_execz .LBB1899_116
; %bb.115:
	v_lshlrev_b32_e32 v1, 2, v1
	global_load_dword v11, v1, s[34:35]
	global_load_dword v18, v1, s[44:45]
	s_waitcnt vmcnt(0)
	v_cmp_neq_f32_e64 s[20:21], v11, v18
	v_cndmask_b32_e64 v11, 0, 1, s[20:21]
.LBB1899_116:
	s_or_b64 exec, exec, s[22:23]
	v_or_b32_e32 v1, 0x500, v0
	v_cmp_gt_u32_e64 s[20:21], s48, v1
	s_and_saveexec_b64 s[24:25], s[20:21]
	;; [unrolled: 13-line block ×6, first 2 shown]
	s_cbranch_execz .LBB1899_126
; %bb.125:
	v_lshlrev_b32_e32 v1, 2, v1
	global_load_dword v16, v1, s[34:35]
	s_nop 0
	global_load_dword v1, v1, s[44:45]
	s_waitcnt vmcnt(0)
	v_cmp_neq_f32_e64 s[30:31], v16, v1
	v_cndmask_b32_e64 v16, 0, 1, s[30:31]
.LBB1899_126:
	s_or_b64 exec, exec, s[46:47]
	v_or_b32_e32 v1, 0x780, v0
	v_cmp_gt_u32_e64 s[30:31], s48, v1
	s_and_saveexec_b64 s[46:47], s[30:31]
	s_cbranch_execz .LBB1899_128
; %bb.127:
	v_lshlrev_b32_e32 v1, 2, v1
	global_load_dword v17, v1, s[34:35]
	s_nop 0
	global_load_dword v1, v1, s[44:45]
	s_waitcnt vmcnt(0)
	v_cmp_neq_f32_e64 s[34:35], v17, v1
	v_cndmask_b32_e64 v17, 0, 1, s[34:35]
.LBB1899_128:
	s_or_b64 exec, exec, s[46:47]
	v_cndmask_b32_e32 v1, 0, v3, vcc
	v_add_u32_e32 v1, v1, v2
	v_cndmask_b32_e64 v2, 0, v4, s[0:1]
	v_cndmask_b32_e64 v3, 0, v5, s[2:3]
	v_add3_u32 v1, v1, v2, v3
	v_cndmask_b32_e64 v2, 0, v6, s[8:9]
	v_cndmask_b32_e64 v3, 0, v7, s[10:11]
	v_add3_u32 v1, v1, v2, v3
	;; [unrolled: 3-line block ×7, first 2 shown]
	v_mbcnt_lo_u32_b32 v2, -1, 0
	v_mbcnt_hi_u32_b32 v2, -1, v2
	v_and_b32_e32 v3, 63, v2
	v_cmp_ne_u32_e32 vcc, 63, v3
	v_addc_co_u32_e32 v4, vcc, 0, v2, vcc
	v_lshlrev_b32_e32 v4, 2, v4
	ds_bpermute_b32 v4, v4, v1
	s_min_u32 s2, s48, 0x80
	v_and_b32_e32 v5, 64, v0
	v_sub_u32_e64 v5, s2, v5 clamp
	v_add_u32_e32 v6, 1, v3
	v_cmp_lt_u32_e32 vcc, v6, v5
	s_waitcnt lgkmcnt(0)
	v_cndmask_b32_e32 v4, 0, v4, vcc
	v_cmp_gt_u32_e32 vcc, 62, v3
	v_add_u32_e32 v1, v1, v4
	v_cndmask_b32_e64 v4, 0, 1, vcc
	v_lshlrev_b32_e32 v4, 1, v4
	v_add_lshl_u32 v4, v4, v2, 2
	ds_bpermute_b32 v4, v4, v1
	v_add_u32_e32 v6, 2, v3
	v_cmp_lt_u32_e32 vcc, v6, v5
	v_add_u32_e32 v6, 4, v3
	s_waitcnt lgkmcnt(0)
	v_cndmask_b32_e32 v4, 0, v4, vcc
	v_cmp_gt_u32_e32 vcc, 60, v3
	v_add_u32_e32 v1, v1, v4
	v_cndmask_b32_e64 v4, 0, 1, vcc
	v_lshlrev_b32_e32 v4, 2, v4
	v_add_lshl_u32 v4, v4, v2, 2
	ds_bpermute_b32 v4, v4, v1
	v_cmp_lt_u32_e32 vcc, v6, v5
	v_add_u32_e32 v6, 8, v3
	s_waitcnt lgkmcnt(0)
	v_cndmask_b32_e32 v4, 0, v4, vcc
	v_cmp_gt_u32_e32 vcc, 56, v3
	v_add_u32_e32 v1, v1, v4
	v_cndmask_b32_e64 v4, 0, 1, vcc
	v_lshlrev_b32_e32 v4, 3, v4
	v_add_lshl_u32 v4, v4, v2, 2
	ds_bpermute_b32 v4, v4, v1
	;; [unrolled: 10-line block ×3, first 2 shown]
	v_cmp_lt_u32_e32 vcc, v6, v5
	s_waitcnt lgkmcnt(0)
	v_cndmask_b32_e32 v4, 0, v4, vcc
	v_cmp_gt_u32_e32 vcc, 32, v3
	v_add_u32_e32 v1, v1, v4
	v_cndmask_b32_e64 v4, 0, 1, vcc
	v_lshlrev_b32_e32 v4, 5, v4
	v_add_lshl_u32 v4, v4, v2, 2
	ds_bpermute_b32 v4, v4, v1
	v_add_u32_e32 v3, 32, v3
	v_cmp_lt_u32_e32 vcc, v3, v5
	s_waitcnt lgkmcnt(0)
	v_cndmask_b32_e32 v3, 0, v4, vcc
	v_add_u32_e32 v1, v1, v3
	v_cmp_eq_u32_e32 vcc, 0, v2
	s_and_saveexec_b64 s[0:1], vcc
	s_cbranch_execz .LBB1899_130
; %bb.129:
	v_lshrrev_b32_e32 v3, 4, v0
	v_and_b32_e32 v3, 4, v3
	ds_write_b32 v3, v1 offset:48
.LBB1899_130:
	s_or_b64 exec, exec, s[0:1]
	v_cmp_gt_u32_e32 vcc, 2, v0
	s_waitcnt lgkmcnt(0)
	s_barrier
	s_and_saveexec_b64 s[0:1], vcc
	s_cbranch_execz .LBB1899_132
; %bb.131:
	v_lshlrev_b32_e32 v1, 2, v2
	ds_read_b32 v3, v1 offset:48
	v_or_b32_e32 v1, 4, v1
	s_add_i32 s2, s2, 63
	v_and_b32_e32 v2, 1, v2
	s_lshr_b32 s2, s2, 6
	s_waitcnt lgkmcnt(0)
	ds_bpermute_b32 v1, v1, v3
	v_add_u32_e32 v2, 1, v2
	v_cmp_gt_u32_e32 vcc, s2, v2
	s_waitcnt lgkmcnt(0)
	v_cndmask_b32_e32 v1, 0, v1, vcc
	v_add_u32_e32 v1, v1, v3
.LBB1899_132:
	s_or_b64 exec, exec, s[0:1]
.LBB1899_133:
	v_cmp_eq_u32_e64 s[0:1], 0, v0
	s_branch .LBB1899_142
.LBB1899_134:
	s_cmp_eq_u32 s33, 8
	s_cbranch_scc0 .LBB1899_141
; %bb.135:
	s_mov_b32 s7, 0
	s_lshl_b32 s0, s6, 10
	s_mov_b32 s1, s7
	s_lshr_b64 s[2:3], s[36:37], 10
	s_lshl_b64 s[8:9], s[0:1], 2
	s_add_u32 s16, s40, s8
	s_addc_u32 s17, s41, s9
	s_add_u32 s18, s42, s8
	s_addc_u32 s19, s43, s9
	s_cmp_lg_u64 s[2:3], s[6:7]
	s_cbranch_scc0 .LBB1899_143
; %bb.136:
	v_lshlrev_b32_e32 v1, 2, v0
	global_load_dword v4, v1, s[16:17]
	global_load_dword v5, v1, s[18:19]
	global_load_dword v6, v1, s[16:17] offset:1024
	global_load_dword v7, v1, s[18:19] offset:1024
	;; [unrolled: 1-line block ×13, first 2 shown]
	s_nop 0
	global_load_dword v1, v1, s[18:19] offset:3584
	v_mbcnt_lo_u32_b32 v2, -1, 0
	v_mbcnt_hi_u32_b32 v2, -1, v2
	v_lshlrev_b32_e32 v3, 2, v2
	s_waitcnt vmcnt(14)
	v_cmp_neq_f32_e32 vcc, v4, v5
	v_cndmask_b32_e64 v4, 0, 1, vcc
	s_waitcnt vmcnt(12)
	v_cmp_neq_f32_e32 vcc, v6, v7
	v_cndmask_b32_e64 v5, 0, 1, vcc
	;; [unrolled: 3-line block ×4, first 2 shown]
	s_waitcnt vmcnt(6)
	v_cmp_neq_f32_e32 vcc, v12, v13
	v_addc_co_u32_e32 v4, vcc, 0, v4, vcc
	s_waitcnt vmcnt(4)
	v_cmp_neq_f32_e32 vcc, v14, v15
	v_addc_co_u32_e32 v4, vcc, v4, v5, vcc
	;; [unrolled: 3-line block ×4, first 2 shown]
	v_or_b32_e32 v4, 0xfc, v3
	s_nop 0
	v_add_u32_dpp v1, v1, v1 quad_perm:[1,0,3,2] row_mask:0xf bank_mask:0xf bound_ctrl:1
	v_cmp_eq_u32_e32 vcc, 0, v2
	s_nop 0
	v_add_u32_dpp v1, v1, v1 quad_perm:[2,3,0,1] row_mask:0xf bank_mask:0xf bound_ctrl:1
	s_nop 1
	v_add_u32_dpp v1, v1, v1 row_ror:4 row_mask:0xf bank_mask:0xf bound_ctrl:1
	s_nop 1
	v_add_u32_dpp v1, v1, v1 row_ror:8 row_mask:0xf bank_mask:0xf bound_ctrl:1
	s_nop 1
	v_add_u32_dpp v1, v1, v1 row_bcast:15 row_mask:0xf bank_mask:0xf bound_ctrl:1
	s_nop 1
	v_add_u32_dpp v1, v1, v1 row_bcast:31 row_mask:0xf bank_mask:0xf bound_ctrl:1
	ds_bpermute_b32 v1, v4, v1
	s_and_saveexec_b64 s[2:3], vcc
	s_cbranch_execz .LBB1899_138
; %bb.137:
	v_lshrrev_b32_e32 v4, 4, v0
	v_and_b32_e32 v4, 4, v4
	s_waitcnt lgkmcnt(0)
	ds_write_b32 v4, v1 offset:40
.LBB1899_138:
	s_or_b64 exec, exec, s[2:3]
	v_cmp_gt_u32_e32 vcc, 64, v0
	s_waitcnt lgkmcnt(0)
	s_barrier
	s_and_saveexec_b64 s[2:3], vcc
	s_cbranch_execz .LBB1899_140
; %bb.139:
	v_and_b32_e32 v1, 1, v2
	v_lshlrev_b32_e32 v1, 2, v1
	ds_read_b32 v1, v1 offset:40
	v_or_b32_e32 v2, 4, v3
	s_waitcnt lgkmcnt(0)
	ds_bpermute_b32 v2, v2, v1
	s_waitcnt lgkmcnt(0)
	v_add_u32_e32 v1, v2, v1
.LBB1899_140:
	s_or_b64 exec, exec, s[2:3]
	s_branch .LBB1899_165
.LBB1899_141:
                                        ; implicit-def: $vgpr1
.LBB1899_142:
	s_branch .LBB1899_224
.LBB1899_143:
                                        ; implicit-def: $vgpr1
	s_cbranch_execz .LBB1899_165
; %bb.144:
	s_sub_i32 s22, s36, s0
	v_cmp_gt_u32_e32 vcc, s22, v0
                                        ; implicit-def: $vgpr2_vgpr3_vgpr4_vgpr5_vgpr6_vgpr7_vgpr8_vgpr9
	s_and_saveexec_b64 s[0:1], vcc
	s_cbranch_execz .LBB1899_146
; %bb.145:
	v_lshlrev_b32_e32 v1, 2, v0
	global_load_dword v2, v1, s[16:17]
	global_load_dword v3, v1, s[18:19]
	s_waitcnt vmcnt(0)
	v_cmp_neq_f32_e32 vcc, v2, v3
	v_cndmask_b32_e64 v2, 0, 1, vcc
.LBB1899_146:
	s_or_b64 exec, exec, s[0:1]
	v_or_b32_e32 v1, 0x80, v0
	v_cmp_gt_u32_e32 vcc, s22, v1
	s_and_saveexec_b64 s[2:3], vcc
	s_cbranch_execz .LBB1899_148
; %bb.147:
	v_lshlrev_b32_e32 v1, 2, v0
	global_load_dword v3, v1, s[16:17] offset:512
	global_load_dword v10, v1, s[18:19] offset:512
	s_waitcnt vmcnt(0)
	v_cmp_neq_f32_e64 s[0:1], v3, v10
	v_cndmask_b32_e64 v3, 0, 1, s[0:1]
.LBB1899_148:
	s_or_b64 exec, exec, s[2:3]
	v_or_b32_e32 v1, 0x100, v0
	v_cmp_gt_u32_e64 s[0:1], s22, v1
	s_and_saveexec_b64 s[8:9], s[0:1]
	s_cbranch_execz .LBB1899_150
; %bb.149:
	v_lshlrev_b32_e32 v1, 2, v0
	global_load_dword v4, v1, s[16:17] offset:1024
	global_load_dword v10, v1, s[18:19] offset:1024
	s_waitcnt vmcnt(0)
	v_cmp_neq_f32_e64 s[2:3], v4, v10
	v_cndmask_b32_e64 v4, 0, 1, s[2:3]
.LBB1899_150:
	s_or_b64 exec, exec, s[8:9]
	v_or_b32_e32 v1, 0x180, v0
	v_cmp_gt_u32_e64 s[2:3], s22, v1
	s_and_saveexec_b64 s[10:11], s[2:3]
	;; [unrolled: 13-line block ×6, first 2 shown]
	s_cbranch_execz .LBB1899_160
; %bb.159:
	v_lshlrev_b32_e32 v1, 2, v0
	global_load_dword v9, v1, s[16:17] offset:3584
	global_load_dword v10, v1, s[18:19] offset:3584
	s_waitcnt vmcnt(0)
	v_cmp_neq_f32_e64 s[16:17], v9, v10
	v_cndmask_b32_e64 v9, 0, 1, s[16:17]
.LBB1899_160:
	s_or_b64 exec, exec, s[20:21]
	v_cndmask_b32_e32 v1, 0, v3, vcc
	v_add_u32_e32 v1, v1, v2
	v_cndmask_b32_e64 v2, 0, v4, s[0:1]
	v_cndmask_b32_e64 v3, 0, v5, s[2:3]
	v_add3_u32 v1, v1, v2, v3
	v_cndmask_b32_e64 v2, 0, v6, s[8:9]
	v_cndmask_b32_e64 v3, 0, v7, s[10:11]
	v_add3_u32 v1, v1, v2, v3
	;; [unrolled: 3-line block ×3, first 2 shown]
	v_mbcnt_lo_u32_b32 v2, -1, 0
	v_mbcnt_hi_u32_b32 v2, -1, v2
	v_and_b32_e32 v3, 63, v2
	v_cmp_ne_u32_e32 vcc, 63, v3
	v_addc_co_u32_e32 v4, vcc, 0, v2, vcc
	v_lshlrev_b32_e32 v4, 2, v4
	ds_bpermute_b32 v4, v4, v1
	s_min_u32 s2, s22, 0x80
	v_and_b32_e32 v5, 64, v0
	v_sub_u32_e64 v5, s2, v5 clamp
	v_add_u32_e32 v6, 1, v3
	v_cmp_lt_u32_e32 vcc, v6, v5
	s_waitcnt lgkmcnt(0)
	v_cndmask_b32_e32 v4, 0, v4, vcc
	v_cmp_gt_u32_e32 vcc, 62, v3
	v_add_u32_e32 v1, v1, v4
	v_cndmask_b32_e64 v4, 0, 1, vcc
	v_lshlrev_b32_e32 v4, 1, v4
	v_add_lshl_u32 v4, v4, v2, 2
	ds_bpermute_b32 v4, v4, v1
	v_add_u32_e32 v6, 2, v3
	v_cmp_lt_u32_e32 vcc, v6, v5
	v_add_u32_e32 v6, 4, v3
	s_waitcnt lgkmcnt(0)
	v_cndmask_b32_e32 v4, 0, v4, vcc
	v_cmp_gt_u32_e32 vcc, 60, v3
	v_add_u32_e32 v1, v1, v4
	v_cndmask_b32_e64 v4, 0, 1, vcc
	v_lshlrev_b32_e32 v4, 2, v4
	v_add_lshl_u32 v4, v4, v2, 2
	ds_bpermute_b32 v4, v4, v1
	v_cmp_lt_u32_e32 vcc, v6, v5
	v_add_u32_e32 v6, 8, v3
	s_waitcnt lgkmcnt(0)
	v_cndmask_b32_e32 v4, 0, v4, vcc
	v_cmp_gt_u32_e32 vcc, 56, v3
	v_add_u32_e32 v1, v1, v4
	v_cndmask_b32_e64 v4, 0, 1, vcc
	v_lshlrev_b32_e32 v4, 3, v4
	v_add_lshl_u32 v4, v4, v2, 2
	ds_bpermute_b32 v4, v4, v1
	v_cmp_lt_u32_e32 vcc, v6, v5
	v_add_u32_e32 v6, 16, v3
	s_waitcnt lgkmcnt(0)
	v_cndmask_b32_e32 v4, 0, v4, vcc
	v_cmp_gt_u32_e32 vcc, 48, v3
	v_add_u32_e32 v1, v1, v4
	v_cndmask_b32_e64 v4, 0, 1, vcc
	v_lshlrev_b32_e32 v4, 4, v4
	v_add_lshl_u32 v4, v4, v2, 2
	ds_bpermute_b32 v4, v4, v1
	v_cmp_lt_u32_e32 vcc, v6, v5
	s_waitcnt lgkmcnt(0)
	v_cndmask_b32_e32 v4, 0, v4, vcc
	v_cmp_gt_u32_e32 vcc, 32, v3
	v_add_u32_e32 v1, v1, v4
	v_cndmask_b32_e64 v4, 0, 1, vcc
	v_lshlrev_b32_e32 v4, 5, v4
	v_add_lshl_u32 v4, v4, v2, 2
	ds_bpermute_b32 v4, v4, v1
	v_add_u32_e32 v3, 32, v3
	v_cmp_lt_u32_e32 vcc, v3, v5
	s_waitcnt lgkmcnt(0)
	v_cndmask_b32_e32 v3, 0, v4, vcc
	v_add_u32_e32 v1, v1, v3
	v_cmp_eq_u32_e32 vcc, 0, v2
	s_and_saveexec_b64 s[0:1], vcc
	s_cbranch_execz .LBB1899_162
; %bb.161:
	v_lshrrev_b32_e32 v3, 4, v0
	v_and_b32_e32 v3, 4, v3
	ds_write_b32 v3, v1 offset:48
.LBB1899_162:
	s_or_b64 exec, exec, s[0:1]
	v_cmp_gt_u32_e32 vcc, 2, v0
	s_waitcnt lgkmcnt(0)
	s_barrier
	s_and_saveexec_b64 s[0:1], vcc
	s_cbranch_execz .LBB1899_164
; %bb.163:
	v_lshlrev_b32_e32 v1, 2, v2
	ds_read_b32 v3, v1 offset:48
	v_or_b32_e32 v1, 4, v1
	s_add_i32 s2, s2, 63
	v_and_b32_e32 v2, 1, v2
	s_lshr_b32 s2, s2, 6
	s_waitcnt lgkmcnt(0)
	ds_bpermute_b32 v1, v1, v3
	v_add_u32_e32 v2, 1, v2
	v_cmp_gt_u32_e32 vcc, s2, v2
	s_waitcnt lgkmcnt(0)
	v_cndmask_b32_e32 v1, 0, v1, vcc
	v_add_u32_e32 v1, v1, v3
.LBB1899_164:
	s_or_b64 exec, exec, s[0:1]
.LBB1899_165:
	v_cmp_eq_u32_e64 s[0:1], 0, v0
	s_branch .LBB1899_224
.LBB1899_166:
	s_cmp_gt_i32 s33, 1
	s_cbranch_scc0 .LBB1899_175
; %bb.167:
	s_cmp_gt_i32 s33, 3
	s_cbranch_scc0 .LBB1899_176
; %bb.168:
	s_cmp_eq_u32 s33, 4
	s_cbranch_scc0 .LBB1899_177
; %bb.169:
	s_mov_b32 s7, 0
	s_lshl_b32 s0, s6, 9
	s_mov_b32 s1, s7
	s_lshr_b64 s[2:3], s[36:37], 9
	s_lshl_b64 s[10:11], s[0:1], 2
	s_add_u32 s8, s40, s10
	s_addc_u32 s9, s41, s11
	s_add_u32 s10, s42, s10
	s_addc_u32 s11, s43, s11
	s_cmp_lg_u64 s[2:3], s[6:7]
	s_cbranch_scc0 .LBB1899_179
; %bb.170:
	v_lshlrev_b32_e32 v1, 2, v0
	global_load_dword v4, v1, s[8:9]
	global_load_dword v5, v1, s[10:11]
	global_load_dword v6, v1, s[8:9] offset:1024
	global_load_dword v7, v1, s[10:11] offset:1024
	;; [unrolled: 1-line block ×6, first 2 shown]
	v_mbcnt_lo_u32_b32 v1, -1, 0
	v_mbcnt_hi_u32_b32 v2, -1, v1
	v_lshlrev_b32_e32 v3, 2, v2
	s_waitcnt vmcnt(6)
	v_cmp_neq_f32_e32 vcc, v4, v5
	v_cndmask_b32_e64 v1, 0, 1, vcc
	s_waitcnt vmcnt(4)
	v_cmp_neq_f32_e32 vcc, v6, v7
	v_cndmask_b32_e64 v4, 0, 1, vcc
	s_waitcnt vmcnt(2)
	v_cmp_neq_f32_e32 vcc, v8, v9
	v_addc_co_u32_e32 v1, vcc, 0, v1, vcc
	s_waitcnt vmcnt(0)
	v_cmp_neq_f32_e32 vcc, v11, v10
	v_addc_co_u32_e32 v1, vcc, v1, v4, vcc
	v_or_b32_e32 v4, 0xfc, v3
	s_nop 0
	v_add_u32_dpp v1, v1, v1 quad_perm:[1,0,3,2] row_mask:0xf bank_mask:0xf bound_ctrl:1
	v_cmp_eq_u32_e32 vcc, 0, v2
	s_nop 0
	v_add_u32_dpp v1, v1, v1 quad_perm:[2,3,0,1] row_mask:0xf bank_mask:0xf bound_ctrl:1
	s_nop 1
	v_add_u32_dpp v1, v1, v1 row_ror:4 row_mask:0xf bank_mask:0xf bound_ctrl:1
	s_nop 1
	v_add_u32_dpp v1, v1, v1 row_ror:8 row_mask:0xf bank_mask:0xf bound_ctrl:1
	s_nop 1
	v_add_u32_dpp v1, v1, v1 row_bcast:15 row_mask:0xf bank_mask:0xf bound_ctrl:1
	s_nop 1
	v_add_u32_dpp v1, v1, v1 row_bcast:31 row_mask:0xf bank_mask:0xf bound_ctrl:1
	ds_bpermute_b32 v1, v4, v1
	s_and_saveexec_b64 s[2:3], vcc
	s_cbranch_execz .LBB1899_172
; %bb.171:
	v_lshrrev_b32_e32 v4, 4, v0
	v_and_b32_e32 v4, 4, v4
	s_waitcnt lgkmcnt(0)
	ds_write_b32 v4, v1 offset:32
.LBB1899_172:
	s_or_b64 exec, exec, s[2:3]
	v_cmp_gt_u32_e32 vcc, 64, v0
	s_waitcnt lgkmcnt(0)
	s_barrier
	s_and_saveexec_b64 s[2:3], vcc
	s_cbranch_execz .LBB1899_174
; %bb.173:
	v_and_b32_e32 v1, 1, v2
	v_lshlrev_b32_e32 v1, 2, v1
	ds_read_b32 v1, v1 offset:32
	v_or_b32_e32 v2, 4, v3
	s_waitcnt lgkmcnt(0)
	ds_bpermute_b32 v2, v2, v1
	s_waitcnt lgkmcnt(0)
	v_add_u32_e32 v1, v2, v1
.LBB1899_174:
	s_or_b64 exec, exec, s[2:3]
	s_mov_b64 s[2:3], 0
	s_branch .LBB1899_180
.LBB1899_175:
                                        ; implicit-def: $vgpr1
	s_cbranch_execnz .LBB1899_215
	s_branch .LBB1899_224
.LBB1899_176:
                                        ; implicit-def: $vgpr1
	s_cbranch_execz .LBB1899_178
	s_branch .LBB1899_195
.LBB1899_177:
                                        ; implicit-def: $vgpr1
.LBB1899_178:
	s_branch .LBB1899_224
.LBB1899_179:
	s_mov_b64 s[2:3], -1
                                        ; implicit-def: $vgpr1
.LBB1899_180:
	s_and_b64 vcc, exec, s[2:3]
	s_cbranch_vccz .LBB1899_194
; %bb.181:
	s_sub_i32 s14, s36, s0
	v_cmp_gt_u32_e32 vcc, s14, v0
                                        ; implicit-def: $vgpr2_vgpr3_vgpr4_vgpr5
	s_and_saveexec_b64 s[0:1], vcc
	s_cbranch_execz .LBB1899_183
; %bb.182:
	v_lshlrev_b32_e32 v1, 2, v0
	global_load_dword v2, v1, s[8:9]
	global_load_dword v3, v1, s[10:11]
	s_waitcnt vmcnt(0)
	v_cmp_neq_f32_e32 vcc, v2, v3
	v_cndmask_b32_e64 v2, 0, 1, vcc
.LBB1899_183:
	s_or_b64 exec, exec, s[0:1]
	v_or_b32_e32 v1, 0x80, v0
	v_cmp_gt_u32_e32 vcc, s14, v1
	s_and_saveexec_b64 s[2:3], vcc
	s_cbranch_execz .LBB1899_185
; %bb.184:
	v_lshlrev_b32_e32 v1, 2, v0
	global_load_dword v3, v1, s[8:9] offset:512
	global_load_dword v6, v1, s[10:11] offset:512
	s_waitcnt vmcnt(0)
	v_cmp_neq_f32_e64 s[0:1], v3, v6
	v_cndmask_b32_e64 v3, 0, 1, s[0:1]
.LBB1899_185:
	s_or_b64 exec, exec, s[2:3]
	v_or_b32_e32 v1, 0x100, v0
	v_cmp_gt_u32_e64 s[0:1], s14, v1
	s_and_saveexec_b64 s[12:13], s[0:1]
	s_cbranch_execz .LBB1899_187
; %bb.186:
	v_lshlrev_b32_e32 v1, 2, v0
	global_load_dword v4, v1, s[8:9] offset:1024
	global_load_dword v6, v1, s[10:11] offset:1024
	s_waitcnt vmcnt(0)
	v_cmp_neq_f32_e64 s[2:3], v4, v6
	v_cndmask_b32_e64 v4, 0, 1, s[2:3]
.LBB1899_187:
	s_or_b64 exec, exec, s[12:13]
	v_or_b32_e32 v1, 0x180, v0
	v_cmp_gt_u32_e64 s[2:3], s14, v1
	s_and_saveexec_b64 s[12:13], s[2:3]
	s_cbranch_execz .LBB1899_189
; %bb.188:
	v_lshlrev_b32_e32 v1, 2, v0
	global_load_dword v5, v1, s[8:9] offset:1536
	global_load_dword v6, v1, s[10:11] offset:1536
	s_waitcnt vmcnt(0)
	v_cmp_neq_f32_e64 s[8:9], v5, v6
	v_cndmask_b32_e64 v5, 0, 1, s[8:9]
.LBB1899_189:
	s_or_b64 exec, exec, s[12:13]
	v_cndmask_b32_e32 v1, 0, v3, vcc
	v_add_u32_e32 v1, v1, v2
	v_cndmask_b32_e64 v2, 0, v4, s[0:1]
	v_cndmask_b32_e64 v3, 0, v5, s[2:3]
	v_add3_u32 v1, v1, v2, v3
	v_mbcnt_lo_u32_b32 v2, -1, 0
	v_mbcnt_hi_u32_b32 v2, -1, v2
	v_and_b32_e32 v3, 63, v2
	v_cmp_ne_u32_e32 vcc, 63, v3
	v_addc_co_u32_e32 v4, vcc, 0, v2, vcc
	v_lshlrev_b32_e32 v4, 2, v4
	ds_bpermute_b32 v4, v4, v1
	s_min_u32 s2, s14, 0x80
	v_and_b32_e32 v5, 64, v0
	v_sub_u32_e64 v5, s2, v5 clamp
	v_add_u32_e32 v6, 1, v3
	v_cmp_lt_u32_e32 vcc, v6, v5
	s_waitcnt lgkmcnt(0)
	v_cndmask_b32_e32 v4, 0, v4, vcc
	v_cmp_gt_u32_e32 vcc, 62, v3
	v_add_u32_e32 v1, v4, v1
	v_cndmask_b32_e64 v4, 0, 1, vcc
	v_lshlrev_b32_e32 v4, 1, v4
	v_add_lshl_u32 v4, v4, v2, 2
	ds_bpermute_b32 v4, v4, v1
	v_add_u32_e32 v6, 2, v3
	v_cmp_lt_u32_e32 vcc, v6, v5
	v_add_u32_e32 v6, 4, v3
	s_waitcnt lgkmcnt(0)
	v_cndmask_b32_e32 v4, 0, v4, vcc
	v_cmp_gt_u32_e32 vcc, 60, v3
	v_add_u32_e32 v1, v1, v4
	v_cndmask_b32_e64 v4, 0, 1, vcc
	v_lshlrev_b32_e32 v4, 2, v4
	v_add_lshl_u32 v4, v4, v2, 2
	ds_bpermute_b32 v4, v4, v1
	v_cmp_lt_u32_e32 vcc, v6, v5
	v_add_u32_e32 v6, 8, v3
	s_waitcnt lgkmcnt(0)
	v_cndmask_b32_e32 v4, 0, v4, vcc
	v_cmp_gt_u32_e32 vcc, 56, v3
	v_add_u32_e32 v1, v1, v4
	v_cndmask_b32_e64 v4, 0, 1, vcc
	v_lshlrev_b32_e32 v4, 3, v4
	v_add_lshl_u32 v4, v4, v2, 2
	ds_bpermute_b32 v4, v4, v1
	;; [unrolled: 10-line block ×3, first 2 shown]
	v_cmp_lt_u32_e32 vcc, v6, v5
	s_waitcnt lgkmcnt(0)
	v_cndmask_b32_e32 v4, 0, v4, vcc
	v_cmp_gt_u32_e32 vcc, 32, v3
	v_add_u32_e32 v1, v1, v4
	v_cndmask_b32_e64 v4, 0, 1, vcc
	v_lshlrev_b32_e32 v4, 5, v4
	v_add_lshl_u32 v4, v4, v2, 2
	ds_bpermute_b32 v4, v4, v1
	v_add_u32_e32 v3, 32, v3
	v_cmp_lt_u32_e32 vcc, v3, v5
	s_waitcnt lgkmcnt(0)
	v_cndmask_b32_e32 v3, 0, v4, vcc
	v_add_u32_e32 v1, v1, v3
	v_cmp_eq_u32_e32 vcc, 0, v2
	s_and_saveexec_b64 s[0:1], vcc
	s_cbranch_execz .LBB1899_191
; %bb.190:
	v_lshrrev_b32_e32 v3, 4, v0
	v_and_b32_e32 v3, 4, v3
	ds_write_b32 v3, v1 offset:48
.LBB1899_191:
	s_or_b64 exec, exec, s[0:1]
	v_cmp_gt_u32_e32 vcc, 2, v0
	s_waitcnt lgkmcnt(0)
	s_barrier
	s_and_saveexec_b64 s[0:1], vcc
	s_cbranch_execz .LBB1899_193
; %bb.192:
	v_lshlrev_b32_e32 v1, 2, v2
	ds_read_b32 v3, v1 offset:48
	v_or_b32_e32 v1, 4, v1
	s_add_i32 s2, s2, 63
	v_and_b32_e32 v2, 1, v2
	s_lshr_b32 s2, s2, 6
	s_waitcnt lgkmcnt(0)
	ds_bpermute_b32 v1, v1, v3
	v_add_u32_e32 v2, 1, v2
	v_cmp_gt_u32_e32 vcc, s2, v2
	s_waitcnt lgkmcnt(0)
	v_cndmask_b32_e32 v1, 0, v1, vcc
	v_add_u32_e32 v1, v1, v3
.LBB1899_193:
	s_or_b64 exec, exec, s[0:1]
.LBB1899_194:
	v_cmp_eq_u32_e64 s[0:1], 0, v0
	s_branch .LBB1899_178
.LBB1899_195:
	s_cmp_eq_u32 s33, 2
	s_cbranch_scc0 .LBB1899_202
; %bb.196:
	s_mov_b32 s7, 0
	s_lshl_b32 s10, s6, 8
	s_mov_b32 s11, s7
	s_lshr_b64 s[0:1], s[36:37], 8
	s_lshl_b64 s[8:9], s[10:11], 2
	s_add_u32 s2, s40, s8
	s_addc_u32 s3, s41, s9
	s_add_u32 s8, s42, s8
	s_addc_u32 s9, s43, s9
	s_cmp_lg_u64 s[0:1], s[6:7]
	s_cbranch_scc0 .LBB1899_203
; %bb.197:
	v_lshlrev_b32_e32 v1, 2, v0
	global_load_dword v4, v1, s[2:3]
	global_load_dword v5, v1, s[8:9]
	global_load_dword v6, v1, s[8:9] offset:512
	global_load_dword v7, v1, s[2:3] offset:512
	v_mbcnt_lo_u32_b32 v1, -1, 0
	v_mbcnt_hi_u32_b32 v2, -1, v1
	v_lshlrev_b32_e32 v3, 2, v2
	s_waitcnt vmcnt(2)
	v_cmp_neq_f32_e32 vcc, v4, v5
	v_cndmask_b32_e64 v1, 0, 1, vcc
	s_waitcnt vmcnt(0)
	v_cmp_neq_f32_e32 vcc, v7, v6
	v_addc_co_u32_e64 v4, s[0:1], 0, v1, vcc
	s_nop 1
	v_mov_b32_dpp v4, v4 quad_perm:[1,0,3,2] row_mask:0xf bank_mask:0xf bound_ctrl:1
	v_addc_co_u32_e32 v1, vcc, v4, v1, vcc
	v_or_b32_e32 v4, 0xfc, v3
	s_nop 0
	v_add_u32_dpp v1, v1, v1 quad_perm:[2,3,0,1] row_mask:0xf bank_mask:0xf bound_ctrl:1
	v_cmp_eq_u32_e32 vcc, 0, v2
	s_nop 0
	v_add_u32_dpp v1, v1, v1 row_ror:4 row_mask:0xf bank_mask:0xf bound_ctrl:1
	s_nop 1
	v_add_u32_dpp v1, v1, v1 row_ror:8 row_mask:0xf bank_mask:0xf bound_ctrl:1
	s_nop 1
	v_add_u32_dpp v1, v1, v1 row_bcast:15 row_mask:0xf bank_mask:0xf bound_ctrl:1
	s_nop 1
	v_add_u32_dpp v1, v1, v1 row_bcast:31 row_mask:0xf bank_mask:0xf bound_ctrl:1
	ds_bpermute_b32 v1, v4, v1
	s_and_saveexec_b64 s[0:1], vcc
	s_cbranch_execz .LBB1899_199
; %bb.198:
	v_lshrrev_b32_e32 v4, 4, v0
	v_and_b32_e32 v4, 4, v4
	s_waitcnt lgkmcnt(0)
	ds_write_b32 v4, v1 offset:16
.LBB1899_199:
	s_or_b64 exec, exec, s[0:1]
	v_cmp_gt_u32_e32 vcc, 64, v0
	s_waitcnt lgkmcnt(0)
	s_barrier
	s_and_saveexec_b64 s[0:1], vcc
	s_cbranch_execz .LBB1899_201
; %bb.200:
	v_and_b32_e32 v1, 1, v2
	v_lshlrev_b32_e32 v1, 2, v1
	ds_read_b32 v1, v1 offset:16
	v_or_b32_e32 v2, 4, v3
	s_waitcnt lgkmcnt(0)
	ds_bpermute_b32 v2, v2, v1
	s_waitcnt lgkmcnt(0)
	v_add_u32_e32 v1, v2, v1
.LBB1899_201:
	s_or_b64 exec, exec, s[0:1]
	s_mov_b64 s[0:1], 0
	s_branch .LBB1899_204
.LBB1899_202:
                                        ; implicit-def: $vgpr1
	s_branch .LBB1899_224
.LBB1899_203:
	s_mov_b64 s[0:1], -1
                                        ; implicit-def: $vgpr1
.LBB1899_204:
	s_and_b64 vcc, exec, s[0:1]
	s_cbranch_vccz .LBB1899_214
; %bb.205:
	s_sub_i32 s12, s36, s10
	v_cmp_gt_u32_e32 vcc, s12, v0
                                        ; implicit-def: $vgpr2_vgpr3
	s_and_saveexec_b64 s[0:1], vcc
	s_cbranch_execz .LBB1899_207
; %bb.206:
	v_lshlrev_b32_e32 v1, 2, v0
	global_load_dword v2, v1, s[2:3]
	global_load_dword v3, v1, s[8:9]
	s_waitcnt vmcnt(0)
	v_cmp_neq_f32_e32 vcc, v2, v3
	v_cndmask_b32_e64 v2, 0, 1, vcc
.LBB1899_207:
	s_or_b64 exec, exec, s[0:1]
	v_or_b32_e32 v1, 0x80, v0
	v_cmp_gt_u32_e32 vcc, s12, v1
	s_and_saveexec_b64 s[10:11], vcc
	s_cbranch_execz .LBB1899_209
; %bb.208:
	v_lshlrev_b32_e32 v1, 2, v0
	global_load_dword v3, v1, s[2:3] offset:512
	global_load_dword v4, v1, s[8:9] offset:512
	s_waitcnt vmcnt(0)
	v_cmp_neq_f32_e64 s[0:1], v3, v4
	v_cndmask_b32_e64 v3, 0, 1, s[0:1]
.LBB1899_209:
	s_or_b64 exec, exec, s[10:11]
	v_cndmask_b32_e32 v1, 0, v3, vcc
	v_add_u32_e32 v1, v1, v2
	v_mbcnt_lo_u32_b32 v2, -1, 0
	v_mbcnt_hi_u32_b32 v2, -1, v2
	v_and_b32_e32 v3, 63, v2
	v_cmp_ne_u32_e32 vcc, 63, v3
	v_addc_co_u32_e32 v4, vcc, 0, v2, vcc
	v_lshlrev_b32_e32 v4, 2, v4
	ds_bpermute_b32 v4, v4, v1
	s_min_u32 s2, s12, 0x80
	v_and_b32_e32 v5, 64, v0
	v_sub_u32_e64 v5, s2, v5 clamp
	v_add_u32_e32 v6, 1, v3
	v_cmp_lt_u32_e32 vcc, v6, v5
	s_waitcnt lgkmcnt(0)
	v_cndmask_b32_e32 v4, 0, v4, vcc
	v_cmp_gt_u32_e32 vcc, 62, v3
	v_add_u32_e32 v1, v4, v1
	v_cndmask_b32_e64 v4, 0, 1, vcc
	v_lshlrev_b32_e32 v4, 1, v4
	v_add_lshl_u32 v4, v4, v2, 2
	ds_bpermute_b32 v4, v4, v1
	v_add_u32_e32 v6, 2, v3
	v_cmp_lt_u32_e32 vcc, v6, v5
	v_add_u32_e32 v6, 4, v3
	s_waitcnt lgkmcnt(0)
	v_cndmask_b32_e32 v4, 0, v4, vcc
	v_cmp_gt_u32_e32 vcc, 60, v3
	v_add_u32_e32 v1, v1, v4
	v_cndmask_b32_e64 v4, 0, 1, vcc
	v_lshlrev_b32_e32 v4, 2, v4
	v_add_lshl_u32 v4, v4, v2, 2
	ds_bpermute_b32 v4, v4, v1
	v_cmp_lt_u32_e32 vcc, v6, v5
	v_add_u32_e32 v6, 8, v3
	s_waitcnt lgkmcnt(0)
	v_cndmask_b32_e32 v4, 0, v4, vcc
	v_cmp_gt_u32_e32 vcc, 56, v3
	v_add_u32_e32 v1, v1, v4
	v_cndmask_b32_e64 v4, 0, 1, vcc
	v_lshlrev_b32_e32 v4, 3, v4
	v_add_lshl_u32 v4, v4, v2, 2
	ds_bpermute_b32 v4, v4, v1
	v_cmp_lt_u32_e32 vcc, v6, v5
	v_add_u32_e32 v6, 16, v3
	s_waitcnt lgkmcnt(0)
	v_cndmask_b32_e32 v4, 0, v4, vcc
	v_cmp_gt_u32_e32 vcc, 48, v3
	v_add_u32_e32 v1, v1, v4
	v_cndmask_b32_e64 v4, 0, 1, vcc
	v_lshlrev_b32_e32 v4, 4, v4
	v_add_lshl_u32 v4, v4, v2, 2
	ds_bpermute_b32 v4, v4, v1
	v_cmp_lt_u32_e32 vcc, v6, v5
	s_waitcnt lgkmcnt(0)
	v_cndmask_b32_e32 v4, 0, v4, vcc
	v_cmp_gt_u32_e32 vcc, 32, v3
	v_add_u32_e32 v1, v1, v4
	v_cndmask_b32_e64 v4, 0, 1, vcc
	v_lshlrev_b32_e32 v4, 5, v4
	v_add_lshl_u32 v4, v4, v2, 2
	ds_bpermute_b32 v4, v4, v1
	v_add_u32_e32 v3, 32, v3
	v_cmp_lt_u32_e32 vcc, v3, v5
	s_waitcnt lgkmcnt(0)
	v_cndmask_b32_e32 v3, 0, v4, vcc
	v_add_u32_e32 v1, v1, v3
	v_cmp_eq_u32_e32 vcc, 0, v2
	s_and_saveexec_b64 s[0:1], vcc
	s_cbranch_execz .LBB1899_211
; %bb.210:
	v_lshrrev_b32_e32 v3, 4, v0
	v_and_b32_e32 v3, 4, v3
	ds_write_b32 v3, v1 offset:48
.LBB1899_211:
	s_or_b64 exec, exec, s[0:1]
	v_cmp_gt_u32_e32 vcc, 2, v0
	s_waitcnt lgkmcnt(0)
	s_barrier
	s_and_saveexec_b64 s[0:1], vcc
	s_cbranch_execz .LBB1899_213
; %bb.212:
	v_lshlrev_b32_e32 v1, 2, v2
	ds_read_b32 v3, v1 offset:48
	v_or_b32_e32 v1, 4, v1
	s_add_i32 s2, s2, 63
	v_and_b32_e32 v2, 1, v2
	s_lshr_b32 s2, s2, 6
	s_waitcnt lgkmcnt(0)
	ds_bpermute_b32 v1, v1, v3
	v_add_u32_e32 v2, 1, v2
	v_cmp_gt_u32_e32 vcc, s2, v2
	s_waitcnt lgkmcnt(0)
	v_cndmask_b32_e32 v1, 0, v1, vcc
	v_add_u32_e32 v1, v1, v3
.LBB1899_213:
	s_or_b64 exec, exec, s[0:1]
.LBB1899_214:
	v_cmp_eq_u32_e64 s[0:1], 0, v0
	s_branch .LBB1899_224
.LBB1899_215:
	s_cmp_eq_u32 s33, 1
	s_cbranch_scc0 .LBB1899_223
; %bb.216:
	s_mov_b32 s3, 0
	s_lshl_b32 s2, s6, 7
	s_mov_b32 s7, s3
	s_lshr_b64 s[0:1], s[36:37], 7
	s_cmp_lg_u64 s[0:1], s[6:7]
	v_mbcnt_lo_u32_b32 v2, -1, 0
	s_cbranch_scc0 .LBB1899_227
; %bb.217:
	s_lshl_b64 s[0:1], s[2:3], 2
	s_add_u32 s8, s40, s0
	s_addc_u32 s9, s41, s1
	s_add_u32 s0, s42, s0
	v_lshlrev_b32_e32 v1, 2, v0
	s_addc_u32 s1, s43, s1
	global_load_dword v5, v1, s[8:9]
	global_load_dword v6, v1, s[0:1]
	v_mbcnt_hi_u32_b32 v3, -1, v2
	v_lshlrev_b32_e32 v4, 2, v3
	s_waitcnt vmcnt(0)
	v_cmp_neq_f32_e32 vcc, v5, v6
	v_cndmask_b32_e64 v1, 0, 1, vcc
	s_nop 1
	v_mov_b32_dpp v1, v1 quad_perm:[1,0,3,2] row_mask:0xf bank_mask:0xf bound_ctrl:1
	v_addc_co_u32_e64 v5, s[0:1], 0, v1, vcc
	s_nop 1
	v_mov_b32_dpp v5, v5 quad_perm:[2,3,0,1] row_mask:0xf bank_mask:0xf bound_ctrl:1
	v_addc_co_u32_e32 v1, vcc, v5, v1, vcc
	v_or_b32_e32 v5, 0xfc, v4
	s_nop 0
	v_add_u32_dpp v1, v1, v1 row_ror:4 row_mask:0xf bank_mask:0xf bound_ctrl:1
	v_cmp_eq_u32_e32 vcc, 0, v3
	s_nop 0
	v_add_u32_dpp v1, v1, v1 row_ror:8 row_mask:0xf bank_mask:0xf bound_ctrl:1
	s_nop 1
	v_add_u32_dpp v1, v1, v1 row_bcast:15 row_mask:0xf bank_mask:0xf bound_ctrl:1
	s_nop 1
	v_add_u32_dpp v1, v1, v1 row_bcast:31 row_mask:0xf bank_mask:0xf bound_ctrl:1
	ds_bpermute_b32 v1, v5, v1
	s_and_saveexec_b64 s[0:1], vcc
	s_cbranch_execz .LBB1899_219
; %bb.218:
	v_lshrrev_b32_e32 v5, 4, v0
	v_and_b32_e32 v5, 4, v5
	s_waitcnt lgkmcnt(0)
	ds_write_b32 v5, v1 offset:8
.LBB1899_219:
	s_or_b64 exec, exec, s[0:1]
	v_cmp_gt_u32_e32 vcc, 64, v0
	s_waitcnt lgkmcnt(0)
	s_barrier
	s_and_saveexec_b64 s[0:1], vcc
	s_cbranch_execz .LBB1899_221
; %bb.220:
	v_and_b32_e32 v1, 1, v3
	v_lshlrev_b32_e32 v1, 2, v1
	ds_read_b32 v1, v1 offset:8
	v_or_b32_e32 v3, 4, v4
	s_waitcnt lgkmcnt(0)
	ds_bpermute_b32 v3, v3, v1
	s_waitcnt lgkmcnt(0)
	v_add_u32_e32 v1, v3, v1
.LBB1899_221:
	s_or_b64 exec, exec, s[0:1]
.LBB1899_222:
	v_cmp_eq_u32_e64 s[0:1], 0, v0
	s_and_saveexec_b64 s[2:3], s[0:1]
	s_cbranch_execnz .LBB1899_225
	s_branch .LBB1899_226
.LBB1899_223:
                                        ; implicit-def: $vgpr1
                                        ; implicit-def: $sgpr6_sgpr7
.LBB1899_224:
	s_and_saveexec_b64 s[2:3], s[0:1]
	s_cbranch_execz .LBB1899_226
.LBB1899_225:
	s_lshl_b64 s[0:1], s[6:7], 2
	s_load_dword s2, s[4:5], 0x30
	s_add_u32 s0, s38, s0
	s_addc_u32 s1, s39, s1
	s_cmp_lg_u64 s[36:37], 0
	s_cselect_b64 vcc, -1, 0
	v_cndmask_b32_e32 v1, 0, v1, vcc
	v_mov_b32_e32 v0, 0
	s_waitcnt lgkmcnt(0)
	v_add_u32_e32 v1, s2, v1
	global_store_dword v0, v1, s[0:1]
.LBB1899_226:
	s_endpgm
.LBB1899_227:
                                        ; implicit-def: $vgpr1
	s_cbranch_execz .LBB1899_222
; %bb.228:
	s_sub_i32 s8, s36, s2
	v_cmp_gt_u32_e32 vcc, s8, v0
                                        ; implicit-def: $vgpr1
	s_and_saveexec_b64 s[0:1], vcc
	s_cbranch_execz .LBB1899_230
; %bb.229:
	s_lshl_b64 s[2:3], s[2:3], 2
	s_add_u32 s10, s40, s2
	s_addc_u32 s11, s41, s3
	v_lshlrev_b32_e32 v1, 2, v0
	s_add_u32 s2, s42, s2
	s_addc_u32 s3, s43, s3
	global_load_dword v3, v1, s[10:11]
	global_load_dword v4, v1, s[2:3]
	s_waitcnt vmcnt(0)
	v_cmp_neq_f32_e32 vcc, v3, v4
	v_cndmask_b32_e64 v1, 0, 1, vcc
.LBB1899_230:
	s_or_b64 exec, exec, s[0:1]
	v_mbcnt_hi_u32_b32 v2, -1, v2
	v_and_b32_e32 v3, 63, v2
	v_cmp_ne_u32_e32 vcc, 63, v3
	v_addc_co_u32_e32 v4, vcc, 0, v2, vcc
	v_lshlrev_b32_e32 v4, 2, v4
	ds_bpermute_b32 v4, v4, v1
	s_min_u32 s2, s8, 0x80
	v_and_b32_e32 v5, 64, v0
	v_sub_u32_e64 v5, s2, v5 clamp
	v_add_u32_e32 v6, 1, v3
	v_cmp_lt_u32_e32 vcc, v6, v5
	s_waitcnt lgkmcnt(0)
	v_cndmask_b32_e32 v4, 0, v4, vcc
	v_cmp_gt_u32_e32 vcc, 62, v3
	v_add_u32_e32 v1, v4, v1
	v_cndmask_b32_e64 v4, 0, 1, vcc
	v_lshlrev_b32_e32 v4, 1, v4
	v_add_lshl_u32 v4, v4, v2, 2
	ds_bpermute_b32 v4, v4, v1
	v_add_u32_e32 v6, 2, v3
	v_cmp_lt_u32_e32 vcc, v6, v5
	v_add_u32_e32 v6, 4, v3
	s_waitcnt lgkmcnt(0)
	v_cndmask_b32_e32 v4, 0, v4, vcc
	v_cmp_gt_u32_e32 vcc, 60, v3
	v_add_u32_e32 v1, v1, v4
	v_cndmask_b32_e64 v4, 0, 1, vcc
	v_lshlrev_b32_e32 v4, 2, v4
	v_add_lshl_u32 v4, v4, v2, 2
	ds_bpermute_b32 v4, v4, v1
	v_cmp_lt_u32_e32 vcc, v6, v5
	v_add_u32_e32 v6, 8, v3
	s_waitcnt lgkmcnt(0)
	v_cndmask_b32_e32 v4, 0, v4, vcc
	v_cmp_gt_u32_e32 vcc, 56, v3
	v_add_u32_e32 v1, v1, v4
	v_cndmask_b32_e64 v4, 0, 1, vcc
	v_lshlrev_b32_e32 v4, 3, v4
	v_add_lshl_u32 v4, v4, v2, 2
	ds_bpermute_b32 v4, v4, v1
	;; [unrolled: 10-line block ×3, first 2 shown]
	v_cmp_lt_u32_e32 vcc, v6, v5
	s_waitcnt lgkmcnt(0)
	v_cndmask_b32_e32 v4, 0, v4, vcc
	v_cmp_gt_u32_e32 vcc, 32, v3
	v_add_u32_e32 v1, v1, v4
	v_cndmask_b32_e64 v4, 0, 1, vcc
	v_lshlrev_b32_e32 v4, 5, v4
	v_add_lshl_u32 v4, v4, v2, 2
	ds_bpermute_b32 v4, v4, v1
	v_add_u32_e32 v3, 32, v3
	v_cmp_lt_u32_e32 vcc, v3, v5
	s_waitcnt lgkmcnt(0)
	v_cndmask_b32_e32 v3, 0, v4, vcc
	v_add_u32_e32 v1, v1, v3
	v_cmp_eq_u32_e32 vcc, 0, v2
	s_and_saveexec_b64 s[0:1], vcc
	s_cbranch_execz .LBB1899_232
; %bb.231:
	v_lshrrev_b32_e32 v3, 4, v0
	v_and_b32_e32 v3, 4, v3
	ds_write_b32 v3, v1 offset:48
.LBB1899_232:
	s_or_b64 exec, exec, s[0:1]
	v_cmp_gt_u32_e32 vcc, 2, v0
	s_waitcnt lgkmcnt(0)
	s_barrier
	s_and_saveexec_b64 s[0:1], vcc
	s_cbranch_execz .LBB1899_234
; %bb.233:
	v_lshlrev_b32_e32 v1, 2, v2
	ds_read_b32 v3, v1 offset:48
	v_or_b32_e32 v1, 4, v1
	s_add_i32 s2, s2, 63
	v_and_b32_e32 v2, 1, v2
	s_lshr_b32 s2, s2, 6
	s_waitcnt lgkmcnt(0)
	ds_bpermute_b32 v1, v1, v3
	v_add_u32_e32 v2, 1, v2
	v_cmp_gt_u32_e32 vcc, s2, v2
	s_waitcnt lgkmcnt(0)
	v_cndmask_b32_e32 v1, 0, v1, vcc
	v_add_u32_e32 v1, v1, v3
.LBB1899_234:
	s_or_b64 exec, exec, s[0:1]
	v_cmp_eq_u32_e64 s[0:1], 0, v0
	s_and_saveexec_b64 s[2:3], s[0:1]
	s_cbranch_execnz .LBB1899_225
	s_branch .LBB1899_226
	.section	.rodata,"a",@progbits
	.p2align	6, 0x0
	.amdhsa_kernel _ZN7rocprim17ROCPRIM_400000_NS6detail17trampoline_kernelINS0_14default_configENS1_22reduce_config_selectorIiEEZNS1_11reduce_implILb1ES3_N6thrust23THRUST_200600_302600_NS11hip_rocprim35transform_pair_of_input_iterators_tIiPfSB_NS8_12not_equal_toIfEEEEPiiNS8_4plusIiEEEE10hipError_tPvRmT1_T2_T3_mT4_P12ihipStream_tbEUlT_E1_NS1_11comp_targetILNS1_3genE4ELNS1_11target_archE910ELNS1_3gpuE8ELNS1_3repE0EEENS1_30default_config_static_selectorELNS0_4arch9wavefront6targetE1EEEvSL_
		.amdhsa_group_segment_fixed_size 56
		.amdhsa_private_segment_fixed_size 0
		.amdhsa_kernarg_size 56
		.amdhsa_user_sgpr_count 6
		.amdhsa_user_sgpr_private_segment_buffer 1
		.amdhsa_user_sgpr_dispatch_ptr 0
		.amdhsa_user_sgpr_queue_ptr 0
		.amdhsa_user_sgpr_kernarg_segment_ptr 1
		.amdhsa_user_sgpr_dispatch_id 0
		.amdhsa_user_sgpr_flat_scratch_init 0
		.amdhsa_user_sgpr_kernarg_preload_length 0
		.amdhsa_user_sgpr_kernarg_preload_offset 0
		.amdhsa_user_sgpr_private_segment_size 0
		.amdhsa_uses_dynamic_stack 0
		.amdhsa_system_sgpr_private_segment_wavefront_offset 0
		.amdhsa_system_sgpr_workgroup_id_x 1
		.amdhsa_system_sgpr_workgroup_id_y 0
		.amdhsa_system_sgpr_workgroup_id_z 0
		.amdhsa_system_sgpr_workgroup_info 0
		.amdhsa_system_vgpr_workitem_id 0
		.amdhsa_next_free_vgpr 64
		.amdhsa_next_free_sgpr 49
		.amdhsa_accum_offset 64
		.amdhsa_reserve_vcc 1
		.amdhsa_reserve_flat_scratch 0
		.amdhsa_float_round_mode_32 0
		.amdhsa_float_round_mode_16_64 0
		.amdhsa_float_denorm_mode_32 3
		.amdhsa_float_denorm_mode_16_64 3
		.amdhsa_dx10_clamp 1
		.amdhsa_ieee_mode 1
		.amdhsa_fp16_overflow 0
		.amdhsa_tg_split 0
		.amdhsa_exception_fp_ieee_invalid_op 0
		.amdhsa_exception_fp_denorm_src 0
		.amdhsa_exception_fp_ieee_div_zero 0
		.amdhsa_exception_fp_ieee_overflow 0
		.amdhsa_exception_fp_ieee_underflow 0
		.amdhsa_exception_fp_ieee_inexact 0
		.amdhsa_exception_int_div_zero 0
	.end_amdhsa_kernel
	.section	.text._ZN7rocprim17ROCPRIM_400000_NS6detail17trampoline_kernelINS0_14default_configENS1_22reduce_config_selectorIiEEZNS1_11reduce_implILb1ES3_N6thrust23THRUST_200600_302600_NS11hip_rocprim35transform_pair_of_input_iterators_tIiPfSB_NS8_12not_equal_toIfEEEEPiiNS8_4plusIiEEEE10hipError_tPvRmT1_T2_T3_mT4_P12ihipStream_tbEUlT_E1_NS1_11comp_targetILNS1_3genE4ELNS1_11target_archE910ELNS1_3gpuE8ELNS1_3repE0EEENS1_30default_config_static_selectorELNS0_4arch9wavefront6targetE1EEEvSL_,"axG",@progbits,_ZN7rocprim17ROCPRIM_400000_NS6detail17trampoline_kernelINS0_14default_configENS1_22reduce_config_selectorIiEEZNS1_11reduce_implILb1ES3_N6thrust23THRUST_200600_302600_NS11hip_rocprim35transform_pair_of_input_iterators_tIiPfSB_NS8_12not_equal_toIfEEEEPiiNS8_4plusIiEEEE10hipError_tPvRmT1_T2_T3_mT4_P12ihipStream_tbEUlT_E1_NS1_11comp_targetILNS1_3genE4ELNS1_11target_archE910ELNS1_3gpuE8ELNS1_3repE0EEENS1_30default_config_static_selectorELNS0_4arch9wavefront6targetE1EEEvSL_,comdat
.Lfunc_end1899:
	.size	_ZN7rocprim17ROCPRIM_400000_NS6detail17trampoline_kernelINS0_14default_configENS1_22reduce_config_selectorIiEEZNS1_11reduce_implILb1ES3_N6thrust23THRUST_200600_302600_NS11hip_rocprim35transform_pair_of_input_iterators_tIiPfSB_NS8_12not_equal_toIfEEEEPiiNS8_4plusIiEEEE10hipError_tPvRmT1_T2_T3_mT4_P12ihipStream_tbEUlT_E1_NS1_11comp_targetILNS1_3genE4ELNS1_11target_archE910ELNS1_3gpuE8ELNS1_3repE0EEENS1_30default_config_static_selectorELNS0_4arch9wavefront6targetE1EEEvSL_, .Lfunc_end1899-_ZN7rocprim17ROCPRIM_400000_NS6detail17trampoline_kernelINS0_14default_configENS1_22reduce_config_selectorIiEEZNS1_11reduce_implILb1ES3_N6thrust23THRUST_200600_302600_NS11hip_rocprim35transform_pair_of_input_iterators_tIiPfSB_NS8_12not_equal_toIfEEEEPiiNS8_4plusIiEEEE10hipError_tPvRmT1_T2_T3_mT4_P12ihipStream_tbEUlT_E1_NS1_11comp_targetILNS1_3genE4ELNS1_11target_archE910ELNS1_3gpuE8ELNS1_3repE0EEENS1_30default_config_static_selectorELNS0_4arch9wavefront6targetE1EEEvSL_
                                        ; -- End function
	.section	.AMDGPU.csdata,"",@progbits
; Kernel info:
; codeLenInByte = 11280
; NumSgprs: 53
; NumVgprs: 64
; NumAgprs: 0
; TotalNumVgprs: 64
; ScratchSize: 0
; MemoryBound: 0
; FloatMode: 240
; IeeeMode: 1
; LDSByteSize: 56 bytes/workgroup (compile time only)
; SGPRBlocks: 6
; VGPRBlocks: 7
; NumSGPRsForWavesPerEU: 53
; NumVGPRsForWavesPerEU: 64
; AccumOffset: 64
; Occupancy: 8
; WaveLimiterHint : 0
; COMPUTE_PGM_RSRC2:SCRATCH_EN: 0
; COMPUTE_PGM_RSRC2:USER_SGPR: 6
; COMPUTE_PGM_RSRC2:TRAP_HANDLER: 0
; COMPUTE_PGM_RSRC2:TGID_X_EN: 1
; COMPUTE_PGM_RSRC2:TGID_Y_EN: 0
; COMPUTE_PGM_RSRC2:TGID_Z_EN: 0
; COMPUTE_PGM_RSRC2:TIDIG_COMP_CNT: 0
; COMPUTE_PGM_RSRC3_GFX90A:ACCUM_OFFSET: 15
; COMPUTE_PGM_RSRC3_GFX90A:TG_SPLIT: 0
	.section	.text._ZN7rocprim17ROCPRIM_400000_NS6detail17trampoline_kernelINS0_14default_configENS1_22reduce_config_selectorIiEEZNS1_11reduce_implILb1ES3_N6thrust23THRUST_200600_302600_NS11hip_rocprim35transform_pair_of_input_iterators_tIiPfSB_NS8_12not_equal_toIfEEEEPiiNS8_4plusIiEEEE10hipError_tPvRmT1_T2_T3_mT4_P12ihipStream_tbEUlT_E1_NS1_11comp_targetILNS1_3genE3ELNS1_11target_archE908ELNS1_3gpuE7ELNS1_3repE0EEENS1_30default_config_static_selectorELNS0_4arch9wavefront6targetE1EEEvSL_,"axG",@progbits,_ZN7rocprim17ROCPRIM_400000_NS6detail17trampoline_kernelINS0_14default_configENS1_22reduce_config_selectorIiEEZNS1_11reduce_implILb1ES3_N6thrust23THRUST_200600_302600_NS11hip_rocprim35transform_pair_of_input_iterators_tIiPfSB_NS8_12not_equal_toIfEEEEPiiNS8_4plusIiEEEE10hipError_tPvRmT1_T2_T3_mT4_P12ihipStream_tbEUlT_E1_NS1_11comp_targetILNS1_3genE3ELNS1_11target_archE908ELNS1_3gpuE7ELNS1_3repE0EEENS1_30default_config_static_selectorELNS0_4arch9wavefront6targetE1EEEvSL_,comdat
	.protected	_ZN7rocprim17ROCPRIM_400000_NS6detail17trampoline_kernelINS0_14default_configENS1_22reduce_config_selectorIiEEZNS1_11reduce_implILb1ES3_N6thrust23THRUST_200600_302600_NS11hip_rocprim35transform_pair_of_input_iterators_tIiPfSB_NS8_12not_equal_toIfEEEEPiiNS8_4plusIiEEEE10hipError_tPvRmT1_T2_T3_mT4_P12ihipStream_tbEUlT_E1_NS1_11comp_targetILNS1_3genE3ELNS1_11target_archE908ELNS1_3gpuE7ELNS1_3repE0EEENS1_30default_config_static_selectorELNS0_4arch9wavefront6targetE1EEEvSL_ ; -- Begin function _ZN7rocprim17ROCPRIM_400000_NS6detail17trampoline_kernelINS0_14default_configENS1_22reduce_config_selectorIiEEZNS1_11reduce_implILb1ES3_N6thrust23THRUST_200600_302600_NS11hip_rocprim35transform_pair_of_input_iterators_tIiPfSB_NS8_12not_equal_toIfEEEEPiiNS8_4plusIiEEEE10hipError_tPvRmT1_T2_T3_mT4_P12ihipStream_tbEUlT_E1_NS1_11comp_targetILNS1_3genE3ELNS1_11target_archE908ELNS1_3gpuE7ELNS1_3repE0EEENS1_30default_config_static_selectorELNS0_4arch9wavefront6targetE1EEEvSL_
	.globl	_ZN7rocprim17ROCPRIM_400000_NS6detail17trampoline_kernelINS0_14default_configENS1_22reduce_config_selectorIiEEZNS1_11reduce_implILb1ES3_N6thrust23THRUST_200600_302600_NS11hip_rocprim35transform_pair_of_input_iterators_tIiPfSB_NS8_12not_equal_toIfEEEEPiiNS8_4plusIiEEEE10hipError_tPvRmT1_T2_T3_mT4_P12ihipStream_tbEUlT_E1_NS1_11comp_targetILNS1_3genE3ELNS1_11target_archE908ELNS1_3gpuE7ELNS1_3repE0EEENS1_30default_config_static_selectorELNS0_4arch9wavefront6targetE1EEEvSL_
	.p2align	8
	.type	_ZN7rocprim17ROCPRIM_400000_NS6detail17trampoline_kernelINS0_14default_configENS1_22reduce_config_selectorIiEEZNS1_11reduce_implILb1ES3_N6thrust23THRUST_200600_302600_NS11hip_rocprim35transform_pair_of_input_iterators_tIiPfSB_NS8_12not_equal_toIfEEEEPiiNS8_4plusIiEEEE10hipError_tPvRmT1_T2_T3_mT4_P12ihipStream_tbEUlT_E1_NS1_11comp_targetILNS1_3genE3ELNS1_11target_archE908ELNS1_3gpuE7ELNS1_3repE0EEENS1_30default_config_static_selectorELNS0_4arch9wavefront6targetE1EEEvSL_,@function
_ZN7rocprim17ROCPRIM_400000_NS6detail17trampoline_kernelINS0_14default_configENS1_22reduce_config_selectorIiEEZNS1_11reduce_implILb1ES3_N6thrust23THRUST_200600_302600_NS11hip_rocprim35transform_pair_of_input_iterators_tIiPfSB_NS8_12not_equal_toIfEEEEPiiNS8_4plusIiEEEE10hipError_tPvRmT1_T2_T3_mT4_P12ihipStream_tbEUlT_E1_NS1_11comp_targetILNS1_3genE3ELNS1_11target_archE908ELNS1_3gpuE7ELNS1_3repE0EEENS1_30default_config_static_selectorELNS0_4arch9wavefront6targetE1EEEvSL_: ; @_ZN7rocprim17ROCPRIM_400000_NS6detail17trampoline_kernelINS0_14default_configENS1_22reduce_config_selectorIiEEZNS1_11reduce_implILb1ES3_N6thrust23THRUST_200600_302600_NS11hip_rocprim35transform_pair_of_input_iterators_tIiPfSB_NS8_12not_equal_toIfEEEEPiiNS8_4plusIiEEEE10hipError_tPvRmT1_T2_T3_mT4_P12ihipStream_tbEUlT_E1_NS1_11comp_targetILNS1_3genE3ELNS1_11target_archE908ELNS1_3gpuE7ELNS1_3repE0EEENS1_30default_config_static_selectorELNS0_4arch9wavefront6targetE1EEEvSL_
; %bb.0:
	.section	.rodata,"a",@progbits
	.p2align	6, 0x0
	.amdhsa_kernel _ZN7rocprim17ROCPRIM_400000_NS6detail17trampoline_kernelINS0_14default_configENS1_22reduce_config_selectorIiEEZNS1_11reduce_implILb1ES3_N6thrust23THRUST_200600_302600_NS11hip_rocprim35transform_pair_of_input_iterators_tIiPfSB_NS8_12not_equal_toIfEEEEPiiNS8_4plusIiEEEE10hipError_tPvRmT1_T2_T3_mT4_P12ihipStream_tbEUlT_E1_NS1_11comp_targetILNS1_3genE3ELNS1_11target_archE908ELNS1_3gpuE7ELNS1_3repE0EEENS1_30default_config_static_selectorELNS0_4arch9wavefront6targetE1EEEvSL_
		.amdhsa_group_segment_fixed_size 0
		.amdhsa_private_segment_fixed_size 0
		.amdhsa_kernarg_size 56
		.amdhsa_user_sgpr_count 6
		.amdhsa_user_sgpr_private_segment_buffer 1
		.amdhsa_user_sgpr_dispatch_ptr 0
		.amdhsa_user_sgpr_queue_ptr 0
		.amdhsa_user_sgpr_kernarg_segment_ptr 1
		.amdhsa_user_sgpr_dispatch_id 0
		.amdhsa_user_sgpr_flat_scratch_init 0
		.amdhsa_user_sgpr_kernarg_preload_length 0
		.amdhsa_user_sgpr_kernarg_preload_offset 0
		.amdhsa_user_sgpr_private_segment_size 0
		.amdhsa_uses_dynamic_stack 0
		.amdhsa_system_sgpr_private_segment_wavefront_offset 0
		.amdhsa_system_sgpr_workgroup_id_x 1
		.amdhsa_system_sgpr_workgroup_id_y 0
		.amdhsa_system_sgpr_workgroup_id_z 0
		.amdhsa_system_sgpr_workgroup_info 0
		.amdhsa_system_vgpr_workitem_id 0
		.amdhsa_next_free_vgpr 1
		.amdhsa_next_free_sgpr 0
		.amdhsa_accum_offset 4
		.amdhsa_reserve_vcc 0
		.amdhsa_reserve_flat_scratch 0
		.amdhsa_float_round_mode_32 0
		.amdhsa_float_round_mode_16_64 0
		.amdhsa_float_denorm_mode_32 3
		.amdhsa_float_denorm_mode_16_64 3
		.amdhsa_dx10_clamp 1
		.amdhsa_ieee_mode 1
		.amdhsa_fp16_overflow 0
		.amdhsa_tg_split 0
		.amdhsa_exception_fp_ieee_invalid_op 0
		.amdhsa_exception_fp_denorm_src 0
		.amdhsa_exception_fp_ieee_div_zero 0
		.amdhsa_exception_fp_ieee_overflow 0
		.amdhsa_exception_fp_ieee_underflow 0
		.amdhsa_exception_fp_ieee_inexact 0
		.amdhsa_exception_int_div_zero 0
	.end_amdhsa_kernel
	.section	.text._ZN7rocprim17ROCPRIM_400000_NS6detail17trampoline_kernelINS0_14default_configENS1_22reduce_config_selectorIiEEZNS1_11reduce_implILb1ES3_N6thrust23THRUST_200600_302600_NS11hip_rocprim35transform_pair_of_input_iterators_tIiPfSB_NS8_12not_equal_toIfEEEEPiiNS8_4plusIiEEEE10hipError_tPvRmT1_T2_T3_mT4_P12ihipStream_tbEUlT_E1_NS1_11comp_targetILNS1_3genE3ELNS1_11target_archE908ELNS1_3gpuE7ELNS1_3repE0EEENS1_30default_config_static_selectorELNS0_4arch9wavefront6targetE1EEEvSL_,"axG",@progbits,_ZN7rocprim17ROCPRIM_400000_NS6detail17trampoline_kernelINS0_14default_configENS1_22reduce_config_selectorIiEEZNS1_11reduce_implILb1ES3_N6thrust23THRUST_200600_302600_NS11hip_rocprim35transform_pair_of_input_iterators_tIiPfSB_NS8_12not_equal_toIfEEEEPiiNS8_4plusIiEEEE10hipError_tPvRmT1_T2_T3_mT4_P12ihipStream_tbEUlT_E1_NS1_11comp_targetILNS1_3genE3ELNS1_11target_archE908ELNS1_3gpuE7ELNS1_3repE0EEENS1_30default_config_static_selectorELNS0_4arch9wavefront6targetE1EEEvSL_,comdat
.Lfunc_end1900:
	.size	_ZN7rocprim17ROCPRIM_400000_NS6detail17trampoline_kernelINS0_14default_configENS1_22reduce_config_selectorIiEEZNS1_11reduce_implILb1ES3_N6thrust23THRUST_200600_302600_NS11hip_rocprim35transform_pair_of_input_iterators_tIiPfSB_NS8_12not_equal_toIfEEEEPiiNS8_4plusIiEEEE10hipError_tPvRmT1_T2_T3_mT4_P12ihipStream_tbEUlT_E1_NS1_11comp_targetILNS1_3genE3ELNS1_11target_archE908ELNS1_3gpuE7ELNS1_3repE0EEENS1_30default_config_static_selectorELNS0_4arch9wavefront6targetE1EEEvSL_, .Lfunc_end1900-_ZN7rocprim17ROCPRIM_400000_NS6detail17trampoline_kernelINS0_14default_configENS1_22reduce_config_selectorIiEEZNS1_11reduce_implILb1ES3_N6thrust23THRUST_200600_302600_NS11hip_rocprim35transform_pair_of_input_iterators_tIiPfSB_NS8_12not_equal_toIfEEEEPiiNS8_4plusIiEEEE10hipError_tPvRmT1_T2_T3_mT4_P12ihipStream_tbEUlT_E1_NS1_11comp_targetILNS1_3genE3ELNS1_11target_archE908ELNS1_3gpuE7ELNS1_3repE0EEENS1_30default_config_static_selectorELNS0_4arch9wavefront6targetE1EEEvSL_
                                        ; -- End function
	.section	.AMDGPU.csdata,"",@progbits
; Kernel info:
; codeLenInByte = 0
; NumSgprs: 4
; NumVgprs: 0
; NumAgprs: 0
; TotalNumVgprs: 0
; ScratchSize: 0
; MemoryBound: 0
; FloatMode: 240
; IeeeMode: 1
; LDSByteSize: 0 bytes/workgroup (compile time only)
; SGPRBlocks: 0
; VGPRBlocks: 0
; NumSGPRsForWavesPerEU: 4
; NumVGPRsForWavesPerEU: 1
; AccumOffset: 4
; Occupancy: 8
; WaveLimiterHint : 0
; COMPUTE_PGM_RSRC2:SCRATCH_EN: 0
; COMPUTE_PGM_RSRC2:USER_SGPR: 6
; COMPUTE_PGM_RSRC2:TRAP_HANDLER: 0
; COMPUTE_PGM_RSRC2:TGID_X_EN: 1
; COMPUTE_PGM_RSRC2:TGID_Y_EN: 0
; COMPUTE_PGM_RSRC2:TGID_Z_EN: 0
; COMPUTE_PGM_RSRC2:TIDIG_COMP_CNT: 0
; COMPUTE_PGM_RSRC3_GFX90A:ACCUM_OFFSET: 0
; COMPUTE_PGM_RSRC3_GFX90A:TG_SPLIT: 0
	.section	.text._ZN7rocprim17ROCPRIM_400000_NS6detail17trampoline_kernelINS0_14default_configENS1_22reduce_config_selectorIiEEZNS1_11reduce_implILb1ES3_N6thrust23THRUST_200600_302600_NS11hip_rocprim35transform_pair_of_input_iterators_tIiPfSB_NS8_12not_equal_toIfEEEEPiiNS8_4plusIiEEEE10hipError_tPvRmT1_T2_T3_mT4_P12ihipStream_tbEUlT_E1_NS1_11comp_targetILNS1_3genE2ELNS1_11target_archE906ELNS1_3gpuE6ELNS1_3repE0EEENS1_30default_config_static_selectorELNS0_4arch9wavefront6targetE1EEEvSL_,"axG",@progbits,_ZN7rocprim17ROCPRIM_400000_NS6detail17trampoline_kernelINS0_14default_configENS1_22reduce_config_selectorIiEEZNS1_11reduce_implILb1ES3_N6thrust23THRUST_200600_302600_NS11hip_rocprim35transform_pair_of_input_iterators_tIiPfSB_NS8_12not_equal_toIfEEEEPiiNS8_4plusIiEEEE10hipError_tPvRmT1_T2_T3_mT4_P12ihipStream_tbEUlT_E1_NS1_11comp_targetILNS1_3genE2ELNS1_11target_archE906ELNS1_3gpuE6ELNS1_3repE0EEENS1_30default_config_static_selectorELNS0_4arch9wavefront6targetE1EEEvSL_,comdat
	.protected	_ZN7rocprim17ROCPRIM_400000_NS6detail17trampoline_kernelINS0_14default_configENS1_22reduce_config_selectorIiEEZNS1_11reduce_implILb1ES3_N6thrust23THRUST_200600_302600_NS11hip_rocprim35transform_pair_of_input_iterators_tIiPfSB_NS8_12not_equal_toIfEEEEPiiNS8_4plusIiEEEE10hipError_tPvRmT1_T2_T3_mT4_P12ihipStream_tbEUlT_E1_NS1_11comp_targetILNS1_3genE2ELNS1_11target_archE906ELNS1_3gpuE6ELNS1_3repE0EEENS1_30default_config_static_selectorELNS0_4arch9wavefront6targetE1EEEvSL_ ; -- Begin function _ZN7rocprim17ROCPRIM_400000_NS6detail17trampoline_kernelINS0_14default_configENS1_22reduce_config_selectorIiEEZNS1_11reduce_implILb1ES3_N6thrust23THRUST_200600_302600_NS11hip_rocprim35transform_pair_of_input_iterators_tIiPfSB_NS8_12not_equal_toIfEEEEPiiNS8_4plusIiEEEE10hipError_tPvRmT1_T2_T3_mT4_P12ihipStream_tbEUlT_E1_NS1_11comp_targetILNS1_3genE2ELNS1_11target_archE906ELNS1_3gpuE6ELNS1_3repE0EEENS1_30default_config_static_selectorELNS0_4arch9wavefront6targetE1EEEvSL_
	.globl	_ZN7rocprim17ROCPRIM_400000_NS6detail17trampoline_kernelINS0_14default_configENS1_22reduce_config_selectorIiEEZNS1_11reduce_implILb1ES3_N6thrust23THRUST_200600_302600_NS11hip_rocprim35transform_pair_of_input_iterators_tIiPfSB_NS8_12not_equal_toIfEEEEPiiNS8_4plusIiEEEE10hipError_tPvRmT1_T2_T3_mT4_P12ihipStream_tbEUlT_E1_NS1_11comp_targetILNS1_3genE2ELNS1_11target_archE906ELNS1_3gpuE6ELNS1_3repE0EEENS1_30default_config_static_selectorELNS0_4arch9wavefront6targetE1EEEvSL_
	.p2align	8
	.type	_ZN7rocprim17ROCPRIM_400000_NS6detail17trampoline_kernelINS0_14default_configENS1_22reduce_config_selectorIiEEZNS1_11reduce_implILb1ES3_N6thrust23THRUST_200600_302600_NS11hip_rocprim35transform_pair_of_input_iterators_tIiPfSB_NS8_12not_equal_toIfEEEEPiiNS8_4plusIiEEEE10hipError_tPvRmT1_T2_T3_mT4_P12ihipStream_tbEUlT_E1_NS1_11comp_targetILNS1_3genE2ELNS1_11target_archE906ELNS1_3gpuE6ELNS1_3repE0EEENS1_30default_config_static_selectorELNS0_4arch9wavefront6targetE1EEEvSL_,@function
_ZN7rocprim17ROCPRIM_400000_NS6detail17trampoline_kernelINS0_14default_configENS1_22reduce_config_selectorIiEEZNS1_11reduce_implILb1ES3_N6thrust23THRUST_200600_302600_NS11hip_rocprim35transform_pair_of_input_iterators_tIiPfSB_NS8_12not_equal_toIfEEEEPiiNS8_4plusIiEEEE10hipError_tPvRmT1_T2_T3_mT4_P12ihipStream_tbEUlT_E1_NS1_11comp_targetILNS1_3genE2ELNS1_11target_archE906ELNS1_3gpuE6ELNS1_3repE0EEENS1_30default_config_static_selectorELNS0_4arch9wavefront6targetE1EEEvSL_: ; @_ZN7rocprim17ROCPRIM_400000_NS6detail17trampoline_kernelINS0_14default_configENS1_22reduce_config_selectorIiEEZNS1_11reduce_implILb1ES3_N6thrust23THRUST_200600_302600_NS11hip_rocprim35transform_pair_of_input_iterators_tIiPfSB_NS8_12not_equal_toIfEEEEPiiNS8_4plusIiEEEE10hipError_tPvRmT1_T2_T3_mT4_P12ihipStream_tbEUlT_E1_NS1_11comp_targetILNS1_3genE2ELNS1_11target_archE906ELNS1_3gpuE6ELNS1_3repE0EEENS1_30default_config_static_selectorELNS0_4arch9wavefront6targetE1EEEvSL_
; %bb.0:
	.section	.rodata,"a",@progbits
	.p2align	6, 0x0
	.amdhsa_kernel _ZN7rocprim17ROCPRIM_400000_NS6detail17trampoline_kernelINS0_14default_configENS1_22reduce_config_selectorIiEEZNS1_11reduce_implILb1ES3_N6thrust23THRUST_200600_302600_NS11hip_rocprim35transform_pair_of_input_iterators_tIiPfSB_NS8_12not_equal_toIfEEEEPiiNS8_4plusIiEEEE10hipError_tPvRmT1_T2_T3_mT4_P12ihipStream_tbEUlT_E1_NS1_11comp_targetILNS1_3genE2ELNS1_11target_archE906ELNS1_3gpuE6ELNS1_3repE0EEENS1_30default_config_static_selectorELNS0_4arch9wavefront6targetE1EEEvSL_
		.amdhsa_group_segment_fixed_size 0
		.amdhsa_private_segment_fixed_size 0
		.amdhsa_kernarg_size 56
		.amdhsa_user_sgpr_count 6
		.amdhsa_user_sgpr_private_segment_buffer 1
		.amdhsa_user_sgpr_dispatch_ptr 0
		.amdhsa_user_sgpr_queue_ptr 0
		.amdhsa_user_sgpr_kernarg_segment_ptr 1
		.amdhsa_user_sgpr_dispatch_id 0
		.amdhsa_user_sgpr_flat_scratch_init 0
		.amdhsa_user_sgpr_kernarg_preload_length 0
		.amdhsa_user_sgpr_kernarg_preload_offset 0
		.amdhsa_user_sgpr_private_segment_size 0
		.amdhsa_uses_dynamic_stack 0
		.amdhsa_system_sgpr_private_segment_wavefront_offset 0
		.amdhsa_system_sgpr_workgroup_id_x 1
		.amdhsa_system_sgpr_workgroup_id_y 0
		.amdhsa_system_sgpr_workgroup_id_z 0
		.amdhsa_system_sgpr_workgroup_info 0
		.amdhsa_system_vgpr_workitem_id 0
		.amdhsa_next_free_vgpr 1
		.amdhsa_next_free_sgpr 0
		.amdhsa_accum_offset 4
		.amdhsa_reserve_vcc 0
		.amdhsa_reserve_flat_scratch 0
		.amdhsa_float_round_mode_32 0
		.amdhsa_float_round_mode_16_64 0
		.amdhsa_float_denorm_mode_32 3
		.amdhsa_float_denorm_mode_16_64 3
		.amdhsa_dx10_clamp 1
		.amdhsa_ieee_mode 1
		.amdhsa_fp16_overflow 0
		.amdhsa_tg_split 0
		.amdhsa_exception_fp_ieee_invalid_op 0
		.amdhsa_exception_fp_denorm_src 0
		.amdhsa_exception_fp_ieee_div_zero 0
		.amdhsa_exception_fp_ieee_overflow 0
		.amdhsa_exception_fp_ieee_underflow 0
		.amdhsa_exception_fp_ieee_inexact 0
		.amdhsa_exception_int_div_zero 0
	.end_amdhsa_kernel
	.section	.text._ZN7rocprim17ROCPRIM_400000_NS6detail17trampoline_kernelINS0_14default_configENS1_22reduce_config_selectorIiEEZNS1_11reduce_implILb1ES3_N6thrust23THRUST_200600_302600_NS11hip_rocprim35transform_pair_of_input_iterators_tIiPfSB_NS8_12not_equal_toIfEEEEPiiNS8_4plusIiEEEE10hipError_tPvRmT1_T2_T3_mT4_P12ihipStream_tbEUlT_E1_NS1_11comp_targetILNS1_3genE2ELNS1_11target_archE906ELNS1_3gpuE6ELNS1_3repE0EEENS1_30default_config_static_selectorELNS0_4arch9wavefront6targetE1EEEvSL_,"axG",@progbits,_ZN7rocprim17ROCPRIM_400000_NS6detail17trampoline_kernelINS0_14default_configENS1_22reduce_config_selectorIiEEZNS1_11reduce_implILb1ES3_N6thrust23THRUST_200600_302600_NS11hip_rocprim35transform_pair_of_input_iterators_tIiPfSB_NS8_12not_equal_toIfEEEEPiiNS8_4plusIiEEEE10hipError_tPvRmT1_T2_T3_mT4_P12ihipStream_tbEUlT_E1_NS1_11comp_targetILNS1_3genE2ELNS1_11target_archE906ELNS1_3gpuE6ELNS1_3repE0EEENS1_30default_config_static_selectorELNS0_4arch9wavefront6targetE1EEEvSL_,comdat
.Lfunc_end1901:
	.size	_ZN7rocprim17ROCPRIM_400000_NS6detail17trampoline_kernelINS0_14default_configENS1_22reduce_config_selectorIiEEZNS1_11reduce_implILb1ES3_N6thrust23THRUST_200600_302600_NS11hip_rocprim35transform_pair_of_input_iterators_tIiPfSB_NS8_12not_equal_toIfEEEEPiiNS8_4plusIiEEEE10hipError_tPvRmT1_T2_T3_mT4_P12ihipStream_tbEUlT_E1_NS1_11comp_targetILNS1_3genE2ELNS1_11target_archE906ELNS1_3gpuE6ELNS1_3repE0EEENS1_30default_config_static_selectorELNS0_4arch9wavefront6targetE1EEEvSL_, .Lfunc_end1901-_ZN7rocprim17ROCPRIM_400000_NS6detail17trampoline_kernelINS0_14default_configENS1_22reduce_config_selectorIiEEZNS1_11reduce_implILb1ES3_N6thrust23THRUST_200600_302600_NS11hip_rocprim35transform_pair_of_input_iterators_tIiPfSB_NS8_12not_equal_toIfEEEEPiiNS8_4plusIiEEEE10hipError_tPvRmT1_T2_T3_mT4_P12ihipStream_tbEUlT_E1_NS1_11comp_targetILNS1_3genE2ELNS1_11target_archE906ELNS1_3gpuE6ELNS1_3repE0EEENS1_30default_config_static_selectorELNS0_4arch9wavefront6targetE1EEEvSL_
                                        ; -- End function
	.section	.AMDGPU.csdata,"",@progbits
; Kernel info:
; codeLenInByte = 0
; NumSgprs: 4
; NumVgprs: 0
; NumAgprs: 0
; TotalNumVgprs: 0
; ScratchSize: 0
; MemoryBound: 0
; FloatMode: 240
; IeeeMode: 1
; LDSByteSize: 0 bytes/workgroup (compile time only)
; SGPRBlocks: 0
; VGPRBlocks: 0
; NumSGPRsForWavesPerEU: 4
; NumVGPRsForWavesPerEU: 1
; AccumOffset: 4
; Occupancy: 8
; WaveLimiterHint : 0
; COMPUTE_PGM_RSRC2:SCRATCH_EN: 0
; COMPUTE_PGM_RSRC2:USER_SGPR: 6
; COMPUTE_PGM_RSRC2:TRAP_HANDLER: 0
; COMPUTE_PGM_RSRC2:TGID_X_EN: 1
; COMPUTE_PGM_RSRC2:TGID_Y_EN: 0
; COMPUTE_PGM_RSRC2:TGID_Z_EN: 0
; COMPUTE_PGM_RSRC2:TIDIG_COMP_CNT: 0
; COMPUTE_PGM_RSRC3_GFX90A:ACCUM_OFFSET: 0
; COMPUTE_PGM_RSRC3_GFX90A:TG_SPLIT: 0
	.section	.text._ZN7rocprim17ROCPRIM_400000_NS6detail17trampoline_kernelINS0_14default_configENS1_22reduce_config_selectorIiEEZNS1_11reduce_implILb1ES3_N6thrust23THRUST_200600_302600_NS11hip_rocprim35transform_pair_of_input_iterators_tIiPfSB_NS8_12not_equal_toIfEEEEPiiNS8_4plusIiEEEE10hipError_tPvRmT1_T2_T3_mT4_P12ihipStream_tbEUlT_E1_NS1_11comp_targetILNS1_3genE10ELNS1_11target_archE1201ELNS1_3gpuE5ELNS1_3repE0EEENS1_30default_config_static_selectorELNS0_4arch9wavefront6targetE1EEEvSL_,"axG",@progbits,_ZN7rocprim17ROCPRIM_400000_NS6detail17trampoline_kernelINS0_14default_configENS1_22reduce_config_selectorIiEEZNS1_11reduce_implILb1ES3_N6thrust23THRUST_200600_302600_NS11hip_rocprim35transform_pair_of_input_iterators_tIiPfSB_NS8_12not_equal_toIfEEEEPiiNS8_4plusIiEEEE10hipError_tPvRmT1_T2_T3_mT4_P12ihipStream_tbEUlT_E1_NS1_11comp_targetILNS1_3genE10ELNS1_11target_archE1201ELNS1_3gpuE5ELNS1_3repE0EEENS1_30default_config_static_selectorELNS0_4arch9wavefront6targetE1EEEvSL_,comdat
	.protected	_ZN7rocprim17ROCPRIM_400000_NS6detail17trampoline_kernelINS0_14default_configENS1_22reduce_config_selectorIiEEZNS1_11reduce_implILb1ES3_N6thrust23THRUST_200600_302600_NS11hip_rocprim35transform_pair_of_input_iterators_tIiPfSB_NS8_12not_equal_toIfEEEEPiiNS8_4plusIiEEEE10hipError_tPvRmT1_T2_T3_mT4_P12ihipStream_tbEUlT_E1_NS1_11comp_targetILNS1_3genE10ELNS1_11target_archE1201ELNS1_3gpuE5ELNS1_3repE0EEENS1_30default_config_static_selectorELNS0_4arch9wavefront6targetE1EEEvSL_ ; -- Begin function _ZN7rocprim17ROCPRIM_400000_NS6detail17trampoline_kernelINS0_14default_configENS1_22reduce_config_selectorIiEEZNS1_11reduce_implILb1ES3_N6thrust23THRUST_200600_302600_NS11hip_rocprim35transform_pair_of_input_iterators_tIiPfSB_NS8_12not_equal_toIfEEEEPiiNS8_4plusIiEEEE10hipError_tPvRmT1_T2_T3_mT4_P12ihipStream_tbEUlT_E1_NS1_11comp_targetILNS1_3genE10ELNS1_11target_archE1201ELNS1_3gpuE5ELNS1_3repE0EEENS1_30default_config_static_selectorELNS0_4arch9wavefront6targetE1EEEvSL_
	.globl	_ZN7rocprim17ROCPRIM_400000_NS6detail17trampoline_kernelINS0_14default_configENS1_22reduce_config_selectorIiEEZNS1_11reduce_implILb1ES3_N6thrust23THRUST_200600_302600_NS11hip_rocprim35transform_pair_of_input_iterators_tIiPfSB_NS8_12not_equal_toIfEEEEPiiNS8_4plusIiEEEE10hipError_tPvRmT1_T2_T3_mT4_P12ihipStream_tbEUlT_E1_NS1_11comp_targetILNS1_3genE10ELNS1_11target_archE1201ELNS1_3gpuE5ELNS1_3repE0EEENS1_30default_config_static_selectorELNS0_4arch9wavefront6targetE1EEEvSL_
	.p2align	8
	.type	_ZN7rocprim17ROCPRIM_400000_NS6detail17trampoline_kernelINS0_14default_configENS1_22reduce_config_selectorIiEEZNS1_11reduce_implILb1ES3_N6thrust23THRUST_200600_302600_NS11hip_rocprim35transform_pair_of_input_iterators_tIiPfSB_NS8_12not_equal_toIfEEEEPiiNS8_4plusIiEEEE10hipError_tPvRmT1_T2_T3_mT4_P12ihipStream_tbEUlT_E1_NS1_11comp_targetILNS1_3genE10ELNS1_11target_archE1201ELNS1_3gpuE5ELNS1_3repE0EEENS1_30default_config_static_selectorELNS0_4arch9wavefront6targetE1EEEvSL_,@function
_ZN7rocprim17ROCPRIM_400000_NS6detail17trampoline_kernelINS0_14default_configENS1_22reduce_config_selectorIiEEZNS1_11reduce_implILb1ES3_N6thrust23THRUST_200600_302600_NS11hip_rocprim35transform_pair_of_input_iterators_tIiPfSB_NS8_12not_equal_toIfEEEEPiiNS8_4plusIiEEEE10hipError_tPvRmT1_T2_T3_mT4_P12ihipStream_tbEUlT_E1_NS1_11comp_targetILNS1_3genE10ELNS1_11target_archE1201ELNS1_3gpuE5ELNS1_3repE0EEENS1_30default_config_static_selectorELNS0_4arch9wavefront6targetE1EEEvSL_: ; @_ZN7rocprim17ROCPRIM_400000_NS6detail17trampoline_kernelINS0_14default_configENS1_22reduce_config_selectorIiEEZNS1_11reduce_implILb1ES3_N6thrust23THRUST_200600_302600_NS11hip_rocprim35transform_pair_of_input_iterators_tIiPfSB_NS8_12not_equal_toIfEEEEPiiNS8_4plusIiEEEE10hipError_tPvRmT1_T2_T3_mT4_P12ihipStream_tbEUlT_E1_NS1_11comp_targetILNS1_3genE10ELNS1_11target_archE1201ELNS1_3gpuE5ELNS1_3repE0EEENS1_30default_config_static_selectorELNS0_4arch9wavefront6targetE1EEEvSL_
; %bb.0:
	.section	.rodata,"a",@progbits
	.p2align	6, 0x0
	.amdhsa_kernel _ZN7rocprim17ROCPRIM_400000_NS6detail17trampoline_kernelINS0_14default_configENS1_22reduce_config_selectorIiEEZNS1_11reduce_implILb1ES3_N6thrust23THRUST_200600_302600_NS11hip_rocprim35transform_pair_of_input_iterators_tIiPfSB_NS8_12not_equal_toIfEEEEPiiNS8_4plusIiEEEE10hipError_tPvRmT1_T2_T3_mT4_P12ihipStream_tbEUlT_E1_NS1_11comp_targetILNS1_3genE10ELNS1_11target_archE1201ELNS1_3gpuE5ELNS1_3repE0EEENS1_30default_config_static_selectorELNS0_4arch9wavefront6targetE1EEEvSL_
		.amdhsa_group_segment_fixed_size 0
		.amdhsa_private_segment_fixed_size 0
		.amdhsa_kernarg_size 56
		.amdhsa_user_sgpr_count 6
		.amdhsa_user_sgpr_private_segment_buffer 1
		.amdhsa_user_sgpr_dispatch_ptr 0
		.amdhsa_user_sgpr_queue_ptr 0
		.amdhsa_user_sgpr_kernarg_segment_ptr 1
		.amdhsa_user_sgpr_dispatch_id 0
		.amdhsa_user_sgpr_flat_scratch_init 0
		.amdhsa_user_sgpr_kernarg_preload_length 0
		.amdhsa_user_sgpr_kernarg_preload_offset 0
		.amdhsa_user_sgpr_private_segment_size 0
		.amdhsa_uses_dynamic_stack 0
		.amdhsa_system_sgpr_private_segment_wavefront_offset 0
		.amdhsa_system_sgpr_workgroup_id_x 1
		.amdhsa_system_sgpr_workgroup_id_y 0
		.amdhsa_system_sgpr_workgroup_id_z 0
		.amdhsa_system_sgpr_workgroup_info 0
		.amdhsa_system_vgpr_workitem_id 0
		.amdhsa_next_free_vgpr 1
		.amdhsa_next_free_sgpr 0
		.amdhsa_accum_offset 4
		.amdhsa_reserve_vcc 0
		.amdhsa_reserve_flat_scratch 0
		.amdhsa_float_round_mode_32 0
		.amdhsa_float_round_mode_16_64 0
		.amdhsa_float_denorm_mode_32 3
		.amdhsa_float_denorm_mode_16_64 3
		.amdhsa_dx10_clamp 1
		.amdhsa_ieee_mode 1
		.amdhsa_fp16_overflow 0
		.amdhsa_tg_split 0
		.amdhsa_exception_fp_ieee_invalid_op 0
		.amdhsa_exception_fp_denorm_src 0
		.amdhsa_exception_fp_ieee_div_zero 0
		.amdhsa_exception_fp_ieee_overflow 0
		.amdhsa_exception_fp_ieee_underflow 0
		.amdhsa_exception_fp_ieee_inexact 0
		.amdhsa_exception_int_div_zero 0
	.end_amdhsa_kernel
	.section	.text._ZN7rocprim17ROCPRIM_400000_NS6detail17trampoline_kernelINS0_14default_configENS1_22reduce_config_selectorIiEEZNS1_11reduce_implILb1ES3_N6thrust23THRUST_200600_302600_NS11hip_rocprim35transform_pair_of_input_iterators_tIiPfSB_NS8_12not_equal_toIfEEEEPiiNS8_4plusIiEEEE10hipError_tPvRmT1_T2_T3_mT4_P12ihipStream_tbEUlT_E1_NS1_11comp_targetILNS1_3genE10ELNS1_11target_archE1201ELNS1_3gpuE5ELNS1_3repE0EEENS1_30default_config_static_selectorELNS0_4arch9wavefront6targetE1EEEvSL_,"axG",@progbits,_ZN7rocprim17ROCPRIM_400000_NS6detail17trampoline_kernelINS0_14default_configENS1_22reduce_config_selectorIiEEZNS1_11reduce_implILb1ES3_N6thrust23THRUST_200600_302600_NS11hip_rocprim35transform_pair_of_input_iterators_tIiPfSB_NS8_12not_equal_toIfEEEEPiiNS8_4plusIiEEEE10hipError_tPvRmT1_T2_T3_mT4_P12ihipStream_tbEUlT_E1_NS1_11comp_targetILNS1_3genE10ELNS1_11target_archE1201ELNS1_3gpuE5ELNS1_3repE0EEENS1_30default_config_static_selectorELNS0_4arch9wavefront6targetE1EEEvSL_,comdat
.Lfunc_end1902:
	.size	_ZN7rocprim17ROCPRIM_400000_NS6detail17trampoline_kernelINS0_14default_configENS1_22reduce_config_selectorIiEEZNS1_11reduce_implILb1ES3_N6thrust23THRUST_200600_302600_NS11hip_rocprim35transform_pair_of_input_iterators_tIiPfSB_NS8_12not_equal_toIfEEEEPiiNS8_4plusIiEEEE10hipError_tPvRmT1_T2_T3_mT4_P12ihipStream_tbEUlT_E1_NS1_11comp_targetILNS1_3genE10ELNS1_11target_archE1201ELNS1_3gpuE5ELNS1_3repE0EEENS1_30default_config_static_selectorELNS0_4arch9wavefront6targetE1EEEvSL_, .Lfunc_end1902-_ZN7rocprim17ROCPRIM_400000_NS6detail17trampoline_kernelINS0_14default_configENS1_22reduce_config_selectorIiEEZNS1_11reduce_implILb1ES3_N6thrust23THRUST_200600_302600_NS11hip_rocprim35transform_pair_of_input_iterators_tIiPfSB_NS8_12not_equal_toIfEEEEPiiNS8_4plusIiEEEE10hipError_tPvRmT1_T2_T3_mT4_P12ihipStream_tbEUlT_E1_NS1_11comp_targetILNS1_3genE10ELNS1_11target_archE1201ELNS1_3gpuE5ELNS1_3repE0EEENS1_30default_config_static_selectorELNS0_4arch9wavefront6targetE1EEEvSL_
                                        ; -- End function
	.section	.AMDGPU.csdata,"",@progbits
; Kernel info:
; codeLenInByte = 0
; NumSgprs: 4
; NumVgprs: 0
; NumAgprs: 0
; TotalNumVgprs: 0
; ScratchSize: 0
; MemoryBound: 0
; FloatMode: 240
; IeeeMode: 1
; LDSByteSize: 0 bytes/workgroup (compile time only)
; SGPRBlocks: 0
; VGPRBlocks: 0
; NumSGPRsForWavesPerEU: 4
; NumVGPRsForWavesPerEU: 1
; AccumOffset: 4
; Occupancy: 8
; WaveLimiterHint : 0
; COMPUTE_PGM_RSRC2:SCRATCH_EN: 0
; COMPUTE_PGM_RSRC2:USER_SGPR: 6
; COMPUTE_PGM_RSRC2:TRAP_HANDLER: 0
; COMPUTE_PGM_RSRC2:TGID_X_EN: 1
; COMPUTE_PGM_RSRC2:TGID_Y_EN: 0
; COMPUTE_PGM_RSRC2:TGID_Z_EN: 0
; COMPUTE_PGM_RSRC2:TIDIG_COMP_CNT: 0
; COMPUTE_PGM_RSRC3_GFX90A:ACCUM_OFFSET: 0
; COMPUTE_PGM_RSRC3_GFX90A:TG_SPLIT: 0
	.section	.text._ZN7rocprim17ROCPRIM_400000_NS6detail17trampoline_kernelINS0_14default_configENS1_22reduce_config_selectorIiEEZNS1_11reduce_implILb1ES3_N6thrust23THRUST_200600_302600_NS11hip_rocprim35transform_pair_of_input_iterators_tIiPfSB_NS8_12not_equal_toIfEEEEPiiNS8_4plusIiEEEE10hipError_tPvRmT1_T2_T3_mT4_P12ihipStream_tbEUlT_E1_NS1_11comp_targetILNS1_3genE10ELNS1_11target_archE1200ELNS1_3gpuE4ELNS1_3repE0EEENS1_30default_config_static_selectorELNS0_4arch9wavefront6targetE1EEEvSL_,"axG",@progbits,_ZN7rocprim17ROCPRIM_400000_NS6detail17trampoline_kernelINS0_14default_configENS1_22reduce_config_selectorIiEEZNS1_11reduce_implILb1ES3_N6thrust23THRUST_200600_302600_NS11hip_rocprim35transform_pair_of_input_iterators_tIiPfSB_NS8_12not_equal_toIfEEEEPiiNS8_4plusIiEEEE10hipError_tPvRmT1_T2_T3_mT4_P12ihipStream_tbEUlT_E1_NS1_11comp_targetILNS1_3genE10ELNS1_11target_archE1200ELNS1_3gpuE4ELNS1_3repE0EEENS1_30default_config_static_selectorELNS0_4arch9wavefront6targetE1EEEvSL_,comdat
	.protected	_ZN7rocprim17ROCPRIM_400000_NS6detail17trampoline_kernelINS0_14default_configENS1_22reduce_config_selectorIiEEZNS1_11reduce_implILb1ES3_N6thrust23THRUST_200600_302600_NS11hip_rocprim35transform_pair_of_input_iterators_tIiPfSB_NS8_12not_equal_toIfEEEEPiiNS8_4plusIiEEEE10hipError_tPvRmT1_T2_T3_mT4_P12ihipStream_tbEUlT_E1_NS1_11comp_targetILNS1_3genE10ELNS1_11target_archE1200ELNS1_3gpuE4ELNS1_3repE0EEENS1_30default_config_static_selectorELNS0_4arch9wavefront6targetE1EEEvSL_ ; -- Begin function _ZN7rocprim17ROCPRIM_400000_NS6detail17trampoline_kernelINS0_14default_configENS1_22reduce_config_selectorIiEEZNS1_11reduce_implILb1ES3_N6thrust23THRUST_200600_302600_NS11hip_rocprim35transform_pair_of_input_iterators_tIiPfSB_NS8_12not_equal_toIfEEEEPiiNS8_4plusIiEEEE10hipError_tPvRmT1_T2_T3_mT4_P12ihipStream_tbEUlT_E1_NS1_11comp_targetILNS1_3genE10ELNS1_11target_archE1200ELNS1_3gpuE4ELNS1_3repE0EEENS1_30default_config_static_selectorELNS0_4arch9wavefront6targetE1EEEvSL_
	.globl	_ZN7rocprim17ROCPRIM_400000_NS6detail17trampoline_kernelINS0_14default_configENS1_22reduce_config_selectorIiEEZNS1_11reduce_implILb1ES3_N6thrust23THRUST_200600_302600_NS11hip_rocprim35transform_pair_of_input_iterators_tIiPfSB_NS8_12not_equal_toIfEEEEPiiNS8_4plusIiEEEE10hipError_tPvRmT1_T2_T3_mT4_P12ihipStream_tbEUlT_E1_NS1_11comp_targetILNS1_3genE10ELNS1_11target_archE1200ELNS1_3gpuE4ELNS1_3repE0EEENS1_30default_config_static_selectorELNS0_4arch9wavefront6targetE1EEEvSL_
	.p2align	8
	.type	_ZN7rocprim17ROCPRIM_400000_NS6detail17trampoline_kernelINS0_14default_configENS1_22reduce_config_selectorIiEEZNS1_11reduce_implILb1ES3_N6thrust23THRUST_200600_302600_NS11hip_rocprim35transform_pair_of_input_iterators_tIiPfSB_NS8_12not_equal_toIfEEEEPiiNS8_4plusIiEEEE10hipError_tPvRmT1_T2_T3_mT4_P12ihipStream_tbEUlT_E1_NS1_11comp_targetILNS1_3genE10ELNS1_11target_archE1200ELNS1_3gpuE4ELNS1_3repE0EEENS1_30default_config_static_selectorELNS0_4arch9wavefront6targetE1EEEvSL_,@function
_ZN7rocprim17ROCPRIM_400000_NS6detail17trampoline_kernelINS0_14default_configENS1_22reduce_config_selectorIiEEZNS1_11reduce_implILb1ES3_N6thrust23THRUST_200600_302600_NS11hip_rocprim35transform_pair_of_input_iterators_tIiPfSB_NS8_12not_equal_toIfEEEEPiiNS8_4plusIiEEEE10hipError_tPvRmT1_T2_T3_mT4_P12ihipStream_tbEUlT_E1_NS1_11comp_targetILNS1_3genE10ELNS1_11target_archE1200ELNS1_3gpuE4ELNS1_3repE0EEENS1_30default_config_static_selectorELNS0_4arch9wavefront6targetE1EEEvSL_: ; @_ZN7rocprim17ROCPRIM_400000_NS6detail17trampoline_kernelINS0_14default_configENS1_22reduce_config_selectorIiEEZNS1_11reduce_implILb1ES3_N6thrust23THRUST_200600_302600_NS11hip_rocprim35transform_pair_of_input_iterators_tIiPfSB_NS8_12not_equal_toIfEEEEPiiNS8_4plusIiEEEE10hipError_tPvRmT1_T2_T3_mT4_P12ihipStream_tbEUlT_E1_NS1_11comp_targetILNS1_3genE10ELNS1_11target_archE1200ELNS1_3gpuE4ELNS1_3repE0EEENS1_30default_config_static_selectorELNS0_4arch9wavefront6targetE1EEEvSL_
; %bb.0:
	.section	.rodata,"a",@progbits
	.p2align	6, 0x0
	.amdhsa_kernel _ZN7rocprim17ROCPRIM_400000_NS6detail17trampoline_kernelINS0_14default_configENS1_22reduce_config_selectorIiEEZNS1_11reduce_implILb1ES3_N6thrust23THRUST_200600_302600_NS11hip_rocprim35transform_pair_of_input_iterators_tIiPfSB_NS8_12not_equal_toIfEEEEPiiNS8_4plusIiEEEE10hipError_tPvRmT1_T2_T3_mT4_P12ihipStream_tbEUlT_E1_NS1_11comp_targetILNS1_3genE10ELNS1_11target_archE1200ELNS1_3gpuE4ELNS1_3repE0EEENS1_30default_config_static_selectorELNS0_4arch9wavefront6targetE1EEEvSL_
		.amdhsa_group_segment_fixed_size 0
		.amdhsa_private_segment_fixed_size 0
		.amdhsa_kernarg_size 56
		.amdhsa_user_sgpr_count 6
		.amdhsa_user_sgpr_private_segment_buffer 1
		.amdhsa_user_sgpr_dispatch_ptr 0
		.amdhsa_user_sgpr_queue_ptr 0
		.amdhsa_user_sgpr_kernarg_segment_ptr 1
		.amdhsa_user_sgpr_dispatch_id 0
		.amdhsa_user_sgpr_flat_scratch_init 0
		.amdhsa_user_sgpr_kernarg_preload_length 0
		.amdhsa_user_sgpr_kernarg_preload_offset 0
		.amdhsa_user_sgpr_private_segment_size 0
		.amdhsa_uses_dynamic_stack 0
		.amdhsa_system_sgpr_private_segment_wavefront_offset 0
		.amdhsa_system_sgpr_workgroup_id_x 1
		.amdhsa_system_sgpr_workgroup_id_y 0
		.amdhsa_system_sgpr_workgroup_id_z 0
		.amdhsa_system_sgpr_workgroup_info 0
		.amdhsa_system_vgpr_workitem_id 0
		.amdhsa_next_free_vgpr 1
		.amdhsa_next_free_sgpr 0
		.amdhsa_accum_offset 4
		.amdhsa_reserve_vcc 0
		.amdhsa_reserve_flat_scratch 0
		.amdhsa_float_round_mode_32 0
		.amdhsa_float_round_mode_16_64 0
		.amdhsa_float_denorm_mode_32 3
		.amdhsa_float_denorm_mode_16_64 3
		.amdhsa_dx10_clamp 1
		.amdhsa_ieee_mode 1
		.amdhsa_fp16_overflow 0
		.amdhsa_tg_split 0
		.amdhsa_exception_fp_ieee_invalid_op 0
		.amdhsa_exception_fp_denorm_src 0
		.amdhsa_exception_fp_ieee_div_zero 0
		.amdhsa_exception_fp_ieee_overflow 0
		.amdhsa_exception_fp_ieee_underflow 0
		.amdhsa_exception_fp_ieee_inexact 0
		.amdhsa_exception_int_div_zero 0
	.end_amdhsa_kernel
	.section	.text._ZN7rocprim17ROCPRIM_400000_NS6detail17trampoline_kernelINS0_14default_configENS1_22reduce_config_selectorIiEEZNS1_11reduce_implILb1ES3_N6thrust23THRUST_200600_302600_NS11hip_rocprim35transform_pair_of_input_iterators_tIiPfSB_NS8_12not_equal_toIfEEEEPiiNS8_4plusIiEEEE10hipError_tPvRmT1_T2_T3_mT4_P12ihipStream_tbEUlT_E1_NS1_11comp_targetILNS1_3genE10ELNS1_11target_archE1200ELNS1_3gpuE4ELNS1_3repE0EEENS1_30default_config_static_selectorELNS0_4arch9wavefront6targetE1EEEvSL_,"axG",@progbits,_ZN7rocprim17ROCPRIM_400000_NS6detail17trampoline_kernelINS0_14default_configENS1_22reduce_config_selectorIiEEZNS1_11reduce_implILb1ES3_N6thrust23THRUST_200600_302600_NS11hip_rocprim35transform_pair_of_input_iterators_tIiPfSB_NS8_12not_equal_toIfEEEEPiiNS8_4plusIiEEEE10hipError_tPvRmT1_T2_T3_mT4_P12ihipStream_tbEUlT_E1_NS1_11comp_targetILNS1_3genE10ELNS1_11target_archE1200ELNS1_3gpuE4ELNS1_3repE0EEENS1_30default_config_static_selectorELNS0_4arch9wavefront6targetE1EEEvSL_,comdat
.Lfunc_end1903:
	.size	_ZN7rocprim17ROCPRIM_400000_NS6detail17trampoline_kernelINS0_14default_configENS1_22reduce_config_selectorIiEEZNS1_11reduce_implILb1ES3_N6thrust23THRUST_200600_302600_NS11hip_rocprim35transform_pair_of_input_iterators_tIiPfSB_NS8_12not_equal_toIfEEEEPiiNS8_4plusIiEEEE10hipError_tPvRmT1_T2_T3_mT4_P12ihipStream_tbEUlT_E1_NS1_11comp_targetILNS1_3genE10ELNS1_11target_archE1200ELNS1_3gpuE4ELNS1_3repE0EEENS1_30default_config_static_selectorELNS0_4arch9wavefront6targetE1EEEvSL_, .Lfunc_end1903-_ZN7rocprim17ROCPRIM_400000_NS6detail17trampoline_kernelINS0_14default_configENS1_22reduce_config_selectorIiEEZNS1_11reduce_implILb1ES3_N6thrust23THRUST_200600_302600_NS11hip_rocprim35transform_pair_of_input_iterators_tIiPfSB_NS8_12not_equal_toIfEEEEPiiNS8_4plusIiEEEE10hipError_tPvRmT1_T2_T3_mT4_P12ihipStream_tbEUlT_E1_NS1_11comp_targetILNS1_3genE10ELNS1_11target_archE1200ELNS1_3gpuE4ELNS1_3repE0EEENS1_30default_config_static_selectorELNS0_4arch9wavefront6targetE1EEEvSL_
                                        ; -- End function
	.section	.AMDGPU.csdata,"",@progbits
; Kernel info:
; codeLenInByte = 0
; NumSgprs: 4
; NumVgprs: 0
; NumAgprs: 0
; TotalNumVgprs: 0
; ScratchSize: 0
; MemoryBound: 0
; FloatMode: 240
; IeeeMode: 1
; LDSByteSize: 0 bytes/workgroup (compile time only)
; SGPRBlocks: 0
; VGPRBlocks: 0
; NumSGPRsForWavesPerEU: 4
; NumVGPRsForWavesPerEU: 1
; AccumOffset: 4
; Occupancy: 8
; WaveLimiterHint : 0
; COMPUTE_PGM_RSRC2:SCRATCH_EN: 0
; COMPUTE_PGM_RSRC2:USER_SGPR: 6
; COMPUTE_PGM_RSRC2:TRAP_HANDLER: 0
; COMPUTE_PGM_RSRC2:TGID_X_EN: 1
; COMPUTE_PGM_RSRC2:TGID_Y_EN: 0
; COMPUTE_PGM_RSRC2:TGID_Z_EN: 0
; COMPUTE_PGM_RSRC2:TIDIG_COMP_CNT: 0
; COMPUTE_PGM_RSRC3_GFX90A:ACCUM_OFFSET: 0
; COMPUTE_PGM_RSRC3_GFX90A:TG_SPLIT: 0
	.section	.text._ZN7rocprim17ROCPRIM_400000_NS6detail17trampoline_kernelINS0_14default_configENS1_22reduce_config_selectorIiEEZNS1_11reduce_implILb1ES3_N6thrust23THRUST_200600_302600_NS11hip_rocprim35transform_pair_of_input_iterators_tIiPfSB_NS8_12not_equal_toIfEEEEPiiNS8_4plusIiEEEE10hipError_tPvRmT1_T2_T3_mT4_P12ihipStream_tbEUlT_E1_NS1_11comp_targetILNS1_3genE9ELNS1_11target_archE1100ELNS1_3gpuE3ELNS1_3repE0EEENS1_30default_config_static_selectorELNS0_4arch9wavefront6targetE1EEEvSL_,"axG",@progbits,_ZN7rocprim17ROCPRIM_400000_NS6detail17trampoline_kernelINS0_14default_configENS1_22reduce_config_selectorIiEEZNS1_11reduce_implILb1ES3_N6thrust23THRUST_200600_302600_NS11hip_rocprim35transform_pair_of_input_iterators_tIiPfSB_NS8_12not_equal_toIfEEEEPiiNS8_4plusIiEEEE10hipError_tPvRmT1_T2_T3_mT4_P12ihipStream_tbEUlT_E1_NS1_11comp_targetILNS1_3genE9ELNS1_11target_archE1100ELNS1_3gpuE3ELNS1_3repE0EEENS1_30default_config_static_selectorELNS0_4arch9wavefront6targetE1EEEvSL_,comdat
	.protected	_ZN7rocprim17ROCPRIM_400000_NS6detail17trampoline_kernelINS0_14default_configENS1_22reduce_config_selectorIiEEZNS1_11reduce_implILb1ES3_N6thrust23THRUST_200600_302600_NS11hip_rocprim35transform_pair_of_input_iterators_tIiPfSB_NS8_12not_equal_toIfEEEEPiiNS8_4plusIiEEEE10hipError_tPvRmT1_T2_T3_mT4_P12ihipStream_tbEUlT_E1_NS1_11comp_targetILNS1_3genE9ELNS1_11target_archE1100ELNS1_3gpuE3ELNS1_3repE0EEENS1_30default_config_static_selectorELNS0_4arch9wavefront6targetE1EEEvSL_ ; -- Begin function _ZN7rocprim17ROCPRIM_400000_NS6detail17trampoline_kernelINS0_14default_configENS1_22reduce_config_selectorIiEEZNS1_11reduce_implILb1ES3_N6thrust23THRUST_200600_302600_NS11hip_rocprim35transform_pair_of_input_iterators_tIiPfSB_NS8_12not_equal_toIfEEEEPiiNS8_4plusIiEEEE10hipError_tPvRmT1_T2_T3_mT4_P12ihipStream_tbEUlT_E1_NS1_11comp_targetILNS1_3genE9ELNS1_11target_archE1100ELNS1_3gpuE3ELNS1_3repE0EEENS1_30default_config_static_selectorELNS0_4arch9wavefront6targetE1EEEvSL_
	.globl	_ZN7rocprim17ROCPRIM_400000_NS6detail17trampoline_kernelINS0_14default_configENS1_22reduce_config_selectorIiEEZNS1_11reduce_implILb1ES3_N6thrust23THRUST_200600_302600_NS11hip_rocprim35transform_pair_of_input_iterators_tIiPfSB_NS8_12not_equal_toIfEEEEPiiNS8_4plusIiEEEE10hipError_tPvRmT1_T2_T3_mT4_P12ihipStream_tbEUlT_E1_NS1_11comp_targetILNS1_3genE9ELNS1_11target_archE1100ELNS1_3gpuE3ELNS1_3repE0EEENS1_30default_config_static_selectorELNS0_4arch9wavefront6targetE1EEEvSL_
	.p2align	8
	.type	_ZN7rocprim17ROCPRIM_400000_NS6detail17trampoline_kernelINS0_14default_configENS1_22reduce_config_selectorIiEEZNS1_11reduce_implILb1ES3_N6thrust23THRUST_200600_302600_NS11hip_rocprim35transform_pair_of_input_iterators_tIiPfSB_NS8_12not_equal_toIfEEEEPiiNS8_4plusIiEEEE10hipError_tPvRmT1_T2_T3_mT4_P12ihipStream_tbEUlT_E1_NS1_11comp_targetILNS1_3genE9ELNS1_11target_archE1100ELNS1_3gpuE3ELNS1_3repE0EEENS1_30default_config_static_selectorELNS0_4arch9wavefront6targetE1EEEvSL_,@function
_ZN7rocprim17ROCPRIM_400000_NS6detail17trampoline_kernelINS0_14default_configENS1_22reduce_config_selectorIiEEZNS1_11reduce_implILb1ES3_N6thrust23THRUST_200600_302600_NS11hip_rocprim35transform_pair_of_input_iterators_tIiPfSB_NS8_12not_equal_toIfEEEEPiiNS8_4plusIiEEEE10hipError_tPvRmT1_T2_T3_mT4_P12ihipStream_tbEUlT_E1_NS1_11comp_targetILNS1_3genE9ELNS1_11target_archE1100ELNS1_3gpuE3ELNS1_3repE0EEENS1_30default_config_static_selectorELNS0_4arch9wavefront6targetE1EEEvSL_: ; @_ZN7rocprim17ROCPRIM_400000_NS6detail17trampoline_kernelINS0_14default_configENS1_22reduce_config_selectorIiEEZNS1_11reduce_implILb1ES3_N6thrust23THRUST_200600_302600_NS11hip_rocprim35transform_pair_of_input_iterators_tIiPfSB_NS8_12not_equal_toIfEEEEPiiNS8_4plusIiEEEE10hipError_tPvRmT1_T2_T3_mT4_P12ihipStream_tbEUlT_E1_NS1_11comp_targetILNS1_3genE9ELNS1_11target_archE1100ELNS1_3gpuE3ELNS1_3repE0EEENS1_30default_config_static_selectorELNS0_4arch9wavefront6targetE1EEEvSL_
; %bb.0:
	.section	.rodata,"a",@progbits
	.p2align	6, 0x0
	.amdhsa_kernel _ZN7rocprim17ROCPRIM_400000_NS6detail17trampoline_kernelINS0_14default_configENS1_22reduce_config_selectorIiEEZNS1_11reduce_implILb1ES3_N6thrust23THRUST_200600_302600_NS11hip_rocprim35transform_pair_of_input_iterators_tIiPfSB_NS8_12not_equal_toIfEEEEPiiNS8_4plusIiEEEE10hipError_tPvRmT1_T2_T3_mT4_P12ihipStream_tbEUlT_E1_NS1_11comp_targetILNS1_3genE9ELNS1_11target_archE1100ELNS1_3gpuE3ELNS1_3repE0EEENS1_30default_config_static_selectorELNS0_4arch9wavefront6targetE1EEEvSL_
		.amdhsa_group_segment_fixed_size 0
		.amdhsa_private_segment_fixed_size 0
		.amdhsa_kernarg_size 56
		.amdhsa_user_sgpr_count 6
		.amdhsa_user_sgpr_private_segment_buffer 1
		.amdhsa_user_sgpr_dispatch_ptr 0
		.amdhsa_user_sgpr_queue_ptr 0
		.amdhsa_user_sgpr_kernarg_segment_ptr 1
		.amdhsa_user_sgpr_dispatch_id 0
		.amdhsa_user_sgpr_flat_scratch_init 0
		.amdhsa_user_sgpr_kernarg_preload_length 0
		.amdhsa_user_sgpr_kernarg_preload_offset 0
		.amdhsa_user_sgpr_private_segment_size 0
		.amdhsa_uses_dynamic_stack 0
		.amdhsa_system_sgpr_private_segment_wavefront_offset 0
		.amdhsa_system_sgpr_workgroup_id_x 1
		.amdhsa_system_sgpr_workgroup_id_y 0
		.amdhsa_system_sgpr_workgroup_id_z 0
		.amdhsa_system_sgpr_workgroup_info 0
		.amdhsa_system_vgpr_workitem_id 0
		.amdhsa_next_free_vgpr 1
		.amdhsa_next_free_sgpr 0
		.amdhsa_accum_offset 4
		.amdhsa_reserve_vcc 0
		.amdhsa_reserve_flat_scratch 0
		.amdhsa_float_round_mode_32 0
		.amdhsa_float_round_mode_16_64 0
		.amdhsa_float_denorm_mode_32 3
		.amdhsa_float_denorm_mode_16_64 3
		.amdhsa_dx10_clamp 1
		.amdhsa_ieee_mode 1
		.amdhsa_fp16_overflow 0
		.amdhsa_tg_split 0
		.amdhsa_exception_fp_ieee_invalid_op 0
		.amdhsa_exception_fp_denorm_src 0
		.amdhsa_exception_fp_ieee_div_zero 0
		.amdhsa_exception_fp_ieee_overflow 0
		.amdhsa_exception_fp_ieee_underflow 0
		.amdhsa_exception_fp_ieee_inexact 0
		.amdhsa_exception_int_div_zero 0
	.end_amdhsa_kernel
	.section	.text._ZN7rocprim17ROCPRIM_400000_NS6detail17trampoline_kernelINS0_14default_configENS1_22reduce_config_selectorIiEEZNS1_11reduce_implILb1ES3_N6thrust23THRUST_200600_302600_NS11hip_rocprim35transform_pair_of_input_iterators_tIiPfSB_NS8_12not_equal_toIfEEEEPiiNS8_4plusIiEEEE10hipError_tPvRmT1_T2_T3_mT4_P12ihipStream_tbEUlT_E1_NS1_11comp_targetILNS1_3genE9ELNS1_11target_archE1100ELNS1_3gpuE3ELNS1_3repE0EEENS1_30default_config_static_selectorELNS0_4arch9wavefront6targetE1EEEvSL_,"axG",@progbits,_ZN7rocprim17ROCPRIM_400000_NS6detail17trampoline_kernelINS0_14default_configENS1_22reduce_config_selectorIiEEZNS1_11reduce_implILb1ES3_N6thrust23THRUST_200600_302600_NS11hip_rocprim35transform_pair_of_input_iterators_tIiPfSB_NS8_12not_equal_toIfEEEEPiiNS8_4plusIiEEEE10hipError_tPvRmT1_T2_T3_mT4_P12ihipStream_tbEUlT_E1_NS1_11comp_targetILNS1_3genE9ELNS1_11target_archE1100ELNS1_3gpuE3ELNS1_3repE0EEENS1_30default_config_static_selectorELNS0_4arch9wavefront6targetE1EEEvSL_,comdat
.Lfunc_end1904:
	.size	_ZN7rocprim17ROCPRIM_400000_NS6detail17trampoline_kernelINS0_14default_configENS1_22reduce_config_selectorIiEEZNS1_11reduce_implILb1ES3_N6thrust23THRUST_200600_302600_NS11hip_rocprim35transform_pair_of_input_iterators_tIiPfSB_NS8_12not_equal_toIfEEEEPiiNS8_4plusIiEEEE10hipError_tPvRmT1_T2_T3_mT4_P12ihipStream_tbEUlT_E1_NS1_11comp_targetILNS1_3genE9ELNS1_11target_archE1100ELNS1_3gpuE3ELNS1_3repE0EEENS1_30default_config_static_selectorELNS0_4arch9wavefront6targetE1EEEvSL_, .Lfunc_end1904-_ZN7rocprim17ROCPRIM_400000_NS6detail17trampoline_kernelINS0_14default_configENS1_22reduce_config_selectorIiEEZNS1_11reduce_implILb1ES3_N6thrust23THRUST_200600_302600_NS11hip_rocprim35transform_pair_of_input_iterators_tIiPfSB_NS8_12not_equal_toIfEEEEPiiNS8_4plusIiEEEE10hipError_tPvRmT1_T2_T3_mT4_P12ihipStream_tbEUlT_E1_NS1_11comp_targetILNS1_3genE9ELNS1_11target_archE1100ELNS1_3gpuE3ELNS1_3repE0EEENS1_30default_config_static_selectorELNS0_4arch9wavefront6targetE1EEEvSL_
                                        ; -- End function
	.section	.AMDGPU.csdata,"",@progbits
; Kernel info:
; codeLenInByte = 0
; NumSgprs: 4
; NumVgprs: 0
; NumAgprs: 0
; TotalNumVgprs: 0
; ScratchSize: 0
; MemoryBound: 0
; FloatMode: 240
; IeeeMode: 1
; LDSByteSize: 0 bytes/workgroup (compile time only)
; SGPRBlocks: 0
; VGPRBlocks: 0
; NumSGPRsForWavesPerEU: 4
; NumVGPRsForWavesPerEU: 1
; AccumOffset: 4
; Occupancy: 8
; WaveLimiterHint : 0
; COMPUTE_PGM_RSRC2:SCRATCH_EN: 0
; COMPUTE_PGM_RSRC2:USER_SGPR: 6
; COMPUTE_PGM_RSRC2:TRAP_HANDLER: 0
; COMPUTE_PGM_RSRC2:TGID_X_EN: 1
; COMPUTE_PGM_RSRC2:TGID_Y_EN: 0
; COMPUTE_PGM_RSRC2:TGID_Z_EN: 0
; COMPUTE_PGM_RSRC2:TIDIG_COMP_CNT: 0
; COMPUTE_PGM_RSRC3_GFX90A:ACCUM_OFFSET: 0
; COMPUTE_PGM_RSRC3_GFX90A:TG_SPLIT: 0
	.section	.text._ZN7rocprim17ROCPRIM_400000_NS6detail17trampoline_kernelINS0_14default_configENS1_22reduce_config_selectorIiEEZNS1_11reduce_implILb1ES3_N6thrust23THRUST_200600_302600_NS11hip_rocprim35transform_pair_of_input_iterators_tIiPfSB_NS8_12not_equal_toIfEEEEPiiNS8_4plusIiEEEE10hipError_tPvRmT1_T2_T3_mT4_P12ihipStream_tbEUlT_E1_NS1_11comp_targetILNS1_3genE8ELNS1_11target_archE1030ELNS1_3gpuE2ELNS1_3repE0EEENS1_30default_config_static_selectorELNS0_4arch9wavefront6targetE1EEEvSL_,"axG",@progbits,_ZN7rocprim17ROCPRIM_400000_NS6detail17trampoline_kernelINS0_14default_configENS1_22reduce_config_selectorIiEEZNS1_11reduce_implILb1ES3_N6thrust23THRUST_200600_302600_NS11hip_rocprim35transform_pair_of_input_iterators_tIiPfSB_NS8_12not_equal_toIfEEEEPiiNS8_4plusIiEEEE10hipError_tPvRmT1_T2_T3_mT4_P12ihipStream_tbEUlT_E1_NS1_11comp_targetILNS1_3genE8ELNS1_11target_archE1030ELNS1_3gpuE2ELNS1_3repE0EEENS1_30default_config_static_selectorELNS0_4arch9wavefront6targetE1EEEvSL_,comdat
	.protected	_ZN7rocprim17ROCPRIM_400000_NS6detail17trampoline_kernelINS0_14default_configENS1_22reduce_config_selectorIiEEZNS1_11reduce_implILb1ES3_N6thrust23THRUST_200600_302600_NS11hip_rocprim35transform_pair_of_input_iterators_tIiPfSB_NS8_12not_equal_toIfEEEEPiiNS8_4plusIiEEEE10hipError_tPvRmT1_T2_T3_mT4_P12ihipStream_tbEUlT_E1_NS1_11comp_targetILNS1_3genE8ELNS1_11target_archE1030ELNS1_3gpuE2ELNS1_3repE0EEENS1_30default_config_static_selectorELNS0_4arch9wavefront6targetE1EEEvSL_ ; -- Begin function _ZN7rocprim17ROCPRIM_400000_NS6detail17trampoline_kernelINS0_14default_configENS1_22reduce_config_selectorIiEEZNS1_11reduce_implILb1ES3_N6thrust23THRUST_200600_302600_NS11hip_rocprim35transform_pair_of_input_iterators_tIiPfSB_NS8_12not_equal_toIfEEEEPiiNS8_4plusIiEEEE10hipError_tPvRmT1_T2_T3_mT4_P12ihipStream_tbEUlT_E1_NS1_11comp_targetILNS1_3genE8ELNS1_11target_archE1030ELNS1_3gpuE2ELNS1_3repE0EEENS1_30default_config_static_selectorELNS0_4arch9wavefront6targetE1EEEvSL_
	.globl	_ZN7rocprim17ROCPRIM_400000_NS6detail17trampoline_kernelINS0_14default_configENS1_22reduce_config_selectorIiEEZNS1_11reduce_implILb1ES3_N6thrust23THRUST_200600_302600_NS11hip_rocprim35transform_pair_of_input_iterators_tIiPfSB_NS8_12not_equal_toIfEEEEPiiNS8_4plusIiEEEE10hipError_tPvRmT1_T2_T3_mT4_P12ihipStream_tbEUlT_E1_NS1_11comp_targetILNS1_3genE8ELNS1_11target_archE1030ELNS1_3gpuE2ELNS1_3repE0EEENS1_30default_config_static_selectorELNS0_4arch9wavefront6targetE1EEEvSL_
	.p2align	8
	.type	_ZN7rocprim17ROCPRIM_400000_NS6detail17trampoline_kernelINS0_14default_configENS1_22reduce_config_selectorIiEEZNS1_11reduce_implILb1ES3_N6thrust23THRUST_200600_302600_NS11hip_rocprim35transform_pair_of_input_iterators_tIiPfSB_NS8_12not_equal_toIfEEEEPiiNS8_4plusIiEEEE10hipError_tPvRmT1_T2_T3_mT4_P12ihipStream_tbEUlT_E1_NS1_11comp_targetILNS1_3genE8ELNS1_11target_archE1030ELNS1_3gpuE2ELNS1_3repE0EEENS1_30default_config_static_selectorELNS0_4arch9wavefront6targetE1EEEvSL_,@function
_ZN7rocprim17ROCPRIM_400000_NS6detail17trampoline_kernelINS0_14default_configENS1_22reduce_config_selectorIiEEZNS1_11reduce_implILb1ES3_N6thrust23THRUST_200600_302600_NS11hip_rocprim35transform_pair_of_input_iterators_tIiPfSB_NS8_12not_equal_toIfEEEEPiiNS8_4plusIiEEEE10hipError_tPvRmT1_T2_T3_mT4_P12ihipStream_tbEUlT_E1_NS1_11comp_targetILNS1_3genE8ELNS1_11target_archE1030ELNS1_3gpuE2ELNS1_3repE0EEENS1_30default_config_static_selectorELNS0_4arch9wavefront6targetE1EEEvSL_: ; @_ZN7rocprim17ROCPRIM_400000_NS6detail17trampoline_kernelINS0_14default_configENS1_22reduce_config_selectorIiEEZNS1_11reduce_implILb1ES3_N6thrust23THRUST_200600_302600_NS11hip_rocprim35transform_pair_of_input_iterators_tIiPfSB_NS8_12not_equal_toIfEEEEPiiNS8_4plusIiEEEE10hipError_tPvRmT1_T2_T3_mT4_P12ihipStream_tbEUlT_E1_NS1_11comp_targetILNS1_3genE8ELNS1_11target_archE1030ELNS1_3gpuE2ELNS1_3repE0EEENS1_30default_config_static_selectorELNS0_4arch9wavefront6targetE1EEEvSL_
; %bb.0:
	.section	.rodata,"a",@progbits
	.p2align	6, 0x0
	.amdhsa_kernel _ZN7rocprim17ROCPRIM_400000_NS6detail17trampoline_kernelINS0_14default_configENS1_22reduce_config_selectorIiEEZNS1_11reduce_implILb1ES3_N6thrust23THRUST_200600_302600_NS11hip_rocprim35transform_pair_of_input_iterators_tIiPfSB_NS8_12not_equal_toIfEEEEPiiNS8_4plusIiEEEE10hipError_tPvRmT1_T2_T3_mT4_P12ihipStream_tbEUlT_E1_NS1_11comp_targetILNS1_3genE8ELNS1_11target_archE1030ELNS1_3gpuE2ELNS1_3repE0EEENS1_30default_config_static_selectorELNS0_4arch9wavefront6targetE1EEEvSL_
		.amdhsa_group_segment_fixed_size 0
		.amdhsa_private_segment_fixed_size 0
		.amdhsa_kernarg_size 56
		.amdhsa_user_sgpr_count 6
		.amdhsa_user_sgpr_private_segment_buffer 1
		.amdhsa_user_sgpr_dispatch_ptr 0
		.amdhsa_user_sgpr_queue_ptr 0
		.amdhsa_user_sgpr_kernarg_segment_ptr 1
		.amdhsa_user_sgpr_dispatch_id 0
		.amdhsa_user_sgpr_flat_scratch_init 0
		.amdhsa_user_sgpr_kernarg_preload_length 0
		.amdhsa_user_sgpr_kernarg_preload_offset 0
		.amdhsa_user_sgpr_private_segment_size 0
		.amdhsa_uses_dynamic_stack 0
		.amdhsa_system_sgpr_private_segment_wavefront_offset 0
		.amdhsa_system_sgpr_workgroup_id_x 1
		.amdhsa_system_sgpr_workgroup_id_y 0
		.amdhsa_system_sgpr_workgroup_id_z 0
		.amdhsa_system_sgpr_workgroup_info 0
		.amdhsa_system_vgpr_workitem_id 0
		.amdhsa_next_free_vgpr 1
		.amdhsa_next_free_sgpr 0
		.amdhsa_accum_offset 4
		.amdhsa_reserve_vcc 0
		.amdhsa_reserve_flat_scratch 0
		.amdhsa_float_round_mode_32 0
		.amdhsa_float_round_mode_16_64 0
		.amdhsa_float_denorm_mode_32 3
		.amdhsa_float_denorm_mode_16_64 3
		.amdhsa_dx10_clamp 1
		.amdhsa_ieee_mode 1
		.amdhsa_fp16_overflow 0
		.amdhsa_tg_split 0
		.amdhsa_exception_fp_ieee_invalid_op 0
		.amdhsa_exception_fp_denorm_src 0
		.amdhsa_exception_fp_ieee_div_zero 0
		.amdhsa_exception_fp_ieee_overflow 0
		.amdhsa_exception_fp_ieee_underflow 0
		.amdhsa_exception_fp_ieee_inexact 0
		.amdhsa_exception_int_div_zero 0
	.end_amdhsa_kernel
	.section	.text._ZN7rocprim17ROCPRIM_400000_NS6detail17trampoline_kernelINS0_14default_configENS1_22reduce_config_selectorIiEEZNS1_11reduce_implILb1ES3_N6thrust23THRUST_200600_302600_NS11hip_rocprim35transform_pair_of_input_iterators_tIiPfSB_NS8_12not_equal_toIfEEEEPiiNS8_4plusIiEEEE10hipError_tPvRmT1_T2_T3_mT4_P12ihipStream_tbEUlT_E1_NS1_11comp_targetILNS1_3genE8ELNS1_11target_archE1030ELNS1_3gpuE2ELNS1_3repE0EEENS1_30default_config_static_selectorELNS0_4arch9wavefront6targetE1EEEvSL_,"axG",@progbits,_ZN7rocprim17ROCPRIM_400000_NS6detail17trampoline_kernelINS0_14default_configENS1_22reduce_config_selectorIiEEZNS1_11reduce_implILb1ES3_N6thrust23THRUST_200600_302600_NS11hip_rocprim35transform_pair_of_input_iterators_tIiPfSB_NS8_12not_equal_toIfEEEEPiiNS8_4plusIiEEEE10hipError_tPvRmT1_T2_T3_mT4_P12ihipStream_tbEUlT_E1_NS1_11comp_targetILNS1_3genE8ELNS1_11target_archE1030ELNS1_3gpuE2ELNS1_3repE0EEENS1_30default_config_static_selectorELNS0_4arch9wavefront6targetE1EEEvSL_,comdat
.Lfunc_end1905:
	.size	_ZN7rocprim17ROCPRIM_400000_NS6detail17trampoline_kernelINS0_14default_configENS1_22reduce_config_selectorIiEEZNS1_11reduce_implILb1ES3_N6thrust23THRUST_200600_302600_NS11hip_rocprim35transform_pair_of_input_iterators_tIiPfSB_NS8_12not_equal_toIfEEEEPiiNS8_4plusIiEEEE10hipError_tPvRmT1_T2_T3_mT4_P12ihipStream_tbEUlT_E1_NS1_11comp_targetILNS1_3genE8ELNS1_11target_archE1030ELNS1_3gpuE2ELNS1_3repE0EEENS1_30default_config_static_selectorELNS0_4arch9wavefront6targetE1EEEvSL_, .Lfunc_end1905-_ZN7rocprim17ROCPRIM_400000_NS6detail17trampoline_kernelINS0_14default_configENS1_22reduce_config_selectorIiEEZNS1_11reduce_implILb1ES3_N6thrust23THRUST_200600_302600_NS11hip_rocprim35transform_pair_of_input_iterators_tIiPfSB_NS8_12not_equal_toIfEEEEPiiNS8_4plusIiEEEE10hipError_tPvRmT1_T2_T3_mT4_P12ihipStream_tbEUlT_E1_NS1_11comp_targetILNS1_3genE8ELNS1_11target_archE1030ELNS1_3gpuE2ELNS1_3repE0EEENS1_30default_config_static_selectorELNS0_4arch9wavefront6targetE1EEEvSL_
                                        ; -- End function
	.section	.AMDGPU.csdata,"",@progbits
; Kernel info:
; codeLenInByte = 0
; NumSgprs: 4
; NumVgprs: 0
; NumAgprs: 0
; TotalNumVgprs: 0
; ScratchSize: 0
; MemoryBound: 0
; FloatMode: 240
; IeeeMode: 1
; LDSByteSize: 0 bytes/workgroup (compile time only)
; SGPRBlocks: 0
; VGPRBlocks: 0
; NumSGPRsForWavesPerEU: 4
; NumVGPRsForWavesPerEU: 1
; AccumOffset: 4
; Occupancy: 8
; WaveLimiterHint : 0
; COMPUTE_PGM_RSRC2:SCRATCH_EN: 0
; COMPUTE_PGM_RSRC2:USER_SGPR: 6
; COMPUTE_PGM_RSRC2:TRAP_HANDLER: 0
; COMPUTE_PGM_RSRC2:TGID_X_EN: 1
; COMPUTE_PGM_RSRC2:TGID_Y_EN: 0
; COMPUTE_PGM_RSRC2:TGID_Z_EN: 0
; COMPUTE_PGM_RSRC2:TIDIG_COMP_CNT: 0
; COMPUTE_PGM_RSRC3_GFX90A:ACCUM_OFFSET: 0
; COMPUTE_PGM_RSRC3_GFX90A:TG_SPLIT: 0
	.section	.text._ZN7rocprim17ROCPRIM_400000_NS6detail17trampoline_kernelINS0_14default_configENS1_29reduce_by_key_config_selectorIflN6thrust23THRUST_200600_302600_NS4plusIlEEEEZZNS1_33reduce_by_key_impl_wrapped_configILNS1_25lookback_scan_determinismE0ES3_S9_PfNS6_17constant_iteratorIiNS6_11use_defaultESE_EENS6_10device_ptrIfEENSG_IlEEPmS8_NS6_8equal_toIfEEEE10hipError_tPvRmT2_T3_mT4_T5_T6_T7_T8_P12ihipStream_tbENKUlT_T0_E_clISt17integral_constantIbLb0EES13_EEDaSY_SZ_EUlSY_E_NS1_11comp_targetILNS1_3genE0ELNS1_11target_archE4294967295ELNS1_3gpuE0ELNS1_3repE0EEENS1_30default_config_static_selectorELNS0_4arch9wavefront6targetE1EEEvT1_,"axG",@progbits,_ZN7rocprim17ROCPRIM_400000_NS6detail17trampoline_kernelINS0_14default_configENS1_29reduce_by_key_config_selectorIflN6thrust23THRUST_200600_302600_NS4plusIlEEEEZZNS1_33reduce_by_key_impl_wrapped_configILNS1_25lookback_scan_determinismE0ES3_S9_PfNS6_17constant_iteratorIiNS6_11use_defaultESE_EENS6_10device_ptrIfEENSG_IlEEPmS8_NS6_8equal_toIfEEEE10hipError_tPvRmT2_T3_mT4_T5_T6_T7_T8_P12ihipStream_tbENKUlT_T0_E_clISt17integral_constantIbLb0EES13_EEDaSY_SZ_EUlSY_E_NS1_11comp_targetILNS1_3genE0ELNS1_11target_archE4294967295ELNS1_3gpuE0ELNS1_3repE0EEENS1_30default_config_static_selectorELNS0_4arch9wavefront6targetE1EEEvT1_,comdat
	.protected	_ZN7rocprim17ROCPRIM_400000_NS6detail17trampoline_kernelINS0_14default_configENS1_29reduce_by_key_config_selectorIflN6thrust23THRUST_200600_302600_NS4plusIlEEEEZZNS1_33reduce_by_key_impl_wrapped_configILNS1_25lookback_scan_determinismE0ES3_S9_PfNS6_17constant_iteratorIiNS6_11use_defaultESE_EENS6_10device_ptrIfEENSG_IlEEPmS8_NS6_8equal_toIfEEEE10hipError_tPvRmT2_T3_mT4_T5_T6_T7_T8_P12ihipStream_tbENKUlT_T0_E_clISt17integral_constantIbLb0EES13_EEDaSY_SZ_EUlSY_E_NS1_11comp_targetILNS1_3genE0ELNS1_11target_archE4294967295ELNS1_3gpuE0ELNS1_3repE0EEENS1_30default_config_static_selectorELNS0_4arch9wavefront6targetE1EEEvT1_ ; -- Begin function _ZN7rocprim17ROCPRIM_400000_NS6detail17trampoline_kernelINS0_14default_configENS1_29reduce_by_key_config_selectorIflN6thrust23THRUST_200600_302600_NS4plusIlEEEEZZNS1_33reduce_by_key_impl_wrapped_configILNS1_25lookback_scan_determinismE0ES3_S9_PfNS6_17constant_iteratorIiNS6_11use_defaultESE_EENS6_10device_ptrIfEENSG_IlEEPmS8_NS6_8equal_toIfEEEE10hipError_tPvRmT2_T3_mT4_T5_T6_T7_T8_P12ihipStream_tbENKUlT_T0_E_clISt17integral_constantIbLb0EES13_EEDaSY_SZ_EUlSY_E_NS1_11comp_targetILNS1_3genE0ELNS1_11target_archE4294967295ELNS1_3gpuE0ELNS1_3repE0EEENS1_30default_config_static_selectorELNS0_4arch9wavefront6targetE1EEEvT1_
	.globl	_ZN7rocprim17ROCPRIM_400000_NS6detail17trampoline_kernelINS0_14default_configENS1_29reduce_by_key_config_selectorIflN6thrust23THRUST_200600_302600_NS4plusIlEEEEZZNS1_33reduce_by_key_impl_wrapped_configILNS1_25lookback_scan_determinismE0ES3_S9_PfNS6_17constant_iteratorIiNS6_11use_defaultESE_EENS6_10device_ptrIfEENSG_IlEEPmS8_NS6_8equal_toIfEEEE10hipError_tPvRmT2_T3_mT4_T5_T6_T7_T8_P12ihipStream_tbENKUlT_T0_E_clISt17integral_constantIbLb0EES13_EEDaSY_SZ_EUlSY_E_NS1_11comp_targetILNS1_3genE0ELNS1_11target_archE4294967295ELNS1_3gpuE0ELNS1_3repE0EEENS1_30default_config_static_selectorELNS0_4arch9wavefront6targetE1EEEvT1_
	.p2align	8
	.type	_ZN7rocprim17ROCPRIM_400000_NS6detail17trampoline_kernelINS0_14default_configENS1_29reduce_by_key_config_selectorIflN6thrust23THRUST_200600_302600_NS4plusIlEEEEZZNS1_33reduce_by_key_impl_wrapped_configILNS1_25lookback_scan_determinismE0ES3_S9_PfNS6_17constant_iteratorIiNS6_11use_defaultESE_EENS6_10device_ptrIfEENSG_IlEEPmS8_NS6_8equal_toIfEEEE10hipError_tPvRmT2_T3_mT4_T5_T6_T7_T8_P12ihipStream_tbENKUlT_T0_E_clISt17integral_constantIbLb0EES13_EEDaSY_SZ_EUlSY_E_NS1_11comp_targetILNS1_3genE0ELNS1_11target_archE4294967295ELNS1_3gpuE0ELNS1_3repE0EEENS1_30default_config_static_selectorELNS0_4arch9wavefront6targetE1EEEvT1_,@function
_ZN7rocprim17ROCPRIM_400000_NS6detail17trampoline_kernelINS0_14default_configENS1_29reduce_by_key_config_selectorIflN6thrust23THRUST_200600_302600_NS4plusIlEEEEZZNS1_33reduce_by_key_impl_wrapped_configILNS1_25lookback_scan_determinismE0ES3_S9_PfNS6_17constant_iteratorIiNS6_11use_defaultESE_EENS6_10device_ptrIfEENSG_IlEEPmS8_NS6_8equal_toIfEEEE10hipError_tPvRmT2_T3_mT4_T5_T6_T7_T8_P12ihipStream_tbENKUlT_T0_E_clISt17integral_constantIbLb0EES13_EEDaSY_SZ_EUlSY_E_NS1_11comp_targetILNS1_3genE0ELNS1_11target_archE4294967295ELNS1_3gpuE0ELNS1_3repE0EEENS1_30default_config_static_selectorELNS0_4arch9wavefront6targetE1EEEvT1_: ; @_ZN7rocprim17ROCPRIM_400000_NS6detail17trampoline_kernelINS0_14default_configENS1_29reduce_by_key_config_selectorIflN6thrust23THRUST_200600_302600_NS4plusIlEEEEZZNS1_33reduce_by_key_impl_wrapped_configILNS1_25lookback_scan_determinismE0ES3_S9_PfNS6_17constant_iteratorIiNS6_11use_defaultESE_EENS6_10device_ptrIfEENSG_IlEEPmS8_NS6_8equal_toIfEEEE10hipError_tPvRmT2_T3_mT4_T5_T6_T7_T8_P12ihipStream_tbENKUlT_T0_E_clISt17integral_constantIbLb0EES13_EEDaSY_SZ_EUlSY_E_NS1_11comp_targetILNS1_3genE0ELNS1_11target_archE4294967295ELNS1_3gpuE0ELNS1_3repE0EEENS1_30default_config_static_selectorELNS0_4arch9wavefront6targetE1EEEvT1_
; %bb.0:
	.section	.rodata,"a",@progbits
	.p2align	6, 0x0
	.amdhsa_kernel _ZN7rocprim17ROCPRIM_400000_NS6detail17trampoline_kernelINS0_14default_configENS1_29reduce_by_key_config_selectorIflN6thrust23THRUST_200600_302600_NS4plusIlEEEEZZNS1_33reduce_by_key_impl_wrapped_configILNS1_25lookback_scan_determinismE0ES3_S9_PfNS6_17constant_iteratorIiNS6_11use_defaultESE_EENS6_10device_ptrIfEENSG_IlEEPmS8_NS6_8equal_toIfEEEE10hipError_tPvRmT2_T3_mT4_T5_T6_T7_T8_P12ihipStream_tbENKUlT_T0_E_clISt17integral_constantIbLb0EES13_EEDaSY_SZ_EUlSY_E_NS1_11comp_targetILNS1_3genE0ELNS1_11target_archE4294967295ELNS1_3gpuE0ELNS1_3repE0EEENS1_30default_config_static_selectorELNS0_4arch9wavefront6targetE1EEEvT1_
		.amdhsa_group_segment_fixed_size 0
		.amdhsa_private_segment_fixed_size 0
		.amdhsa_kernarg_size 144
		.amdhsa_user_sgpr_count 6
		.amdhsa_user_sgpr_private_segment_buffer 1
		.amdhsa_user_sgpr_dispatch_ptr 0
		.amdhsa_user_sgpr_queue_ptr 0
		.amdhsa_user_sgpr_kernarg_segment_ptr 1
		.amdhsa_user_sgpr_dispatch_id 0
		.amdhsa_user_sgpr_flat_scratch_init 0
		.amdhsa_user_sgpr_kernarg_preload_length 0
		.amdhsa_user_sgpr_kernarg_preload_offset 0
		.amdhsa_user_sgpr_private_segment_size 0
		.amdhsa_uses_dynamic_stack 0
		.amdhsa_system_sgpr_private_segment_wavefront_offset 0
		.amdhsa_system_sgpr_workgroup_id_x 1
		.amdhsa_system_sgpr_workgroup_id_y 0
		.amdhsa_system_sgpr_workgroup_id_z 0
		.amdhsa_system_sgpr_workgroup_info 0
		.amdhsa_system_vgpr_workitem_id 0
		.amdhsa_next_free_vgpr 1
		.amdhsa_next_free_sgpr 0
		.amdhsa_accum_offset 4
		.amdhsa_reserve_vcc 0
		.amdhsa_reserve_flat_scratch 0
		.amdhsa_float_round_mode_32 0
		.amdhsa_float_round_mode_16_64 0
		.amdhsa_float_denorm_mode_32 3
		.amdhsa_float_denorm_mode_16_64 3
		.amdhsa_dx10_clamp 1
		.amdhsa_ieee_mode 1
		.amdhsa_fp16_overflow 0
		.amdhsa_tg_split 0
		.amdhsa_exception_fp_ieee_invalid_op 0
		.amdhsa_exception_fp_denorm_src 0
		.amdhsa_exception_fp_ieee_div_zero 0
		.amdhsa_exception_fp_ieee_overflow 0
		.amdhsa_exception_fp_ieee_underflow 0
		.amdhsa_exception_fp_ieee_inexact 0
		.amdhsa_exception_int_div_zero 0
	.end_amdhsa_kernel
	.section	.text._ZN7rocprim17ROCPRIM_400000_NS6detail17trampoline_kernelINS0_14default_configENS1_29reduce_by_key_config_selectorIflN6thrust23THRUST_200600_302600_NS4plusIlEEEEZZNS1_33reduce_by_key_impl_wrapped_configILNS1_25lookback_scan_determinismE0ES3_S9_PfNS6_17constant_iteratorIiNS6_11use_defaultESE_EENS6_10device_ptrIfEENSG_IlEEPmS8_NS6_8equal_toIfEEEE10hipError_tPvRmT2_T3_mT4_T5_T6_T7_T8_P12ihipStream_tbENKUlT_T0_E_clISt17integral_constantIbLb0EES13_EEDaSY_SZ_EUlSY_E_NS1_11comp_targetILNS1_3genE0ELNS1_11target_archE4294967295ELNS1_3gpuE0ELNS1_3repE0EEENS1_30default_config_static_selectorELNS0_4arch9wavefront6targetE1EEEvT1_,"axG",@progbits,_ZN7rocprim17ROCPRIM_400000_NS6detail17trampoline_kernelINS0_14default_configENS1_29reduce_by_key_config_selectorIflN6thrust23THRUST_200600_302600_NS4plusIlEEEEZZNS1_33reduce_by_key_impl_wrapped_configILNS1_25lookback_scan_determinismE0ES3_S9_PfNS6_17constant_iteratorIiNS6_11use_defaultESE_EENS6_10device_ptrIfEENSG_IlEEPmS8_NS6_8equal_toIfEEEE10hipError_tPvRmT2_T3_mT4_T5_T6_T7_T8_P12ihipStream_tbENKUlT_T0_E_clISt17integral_constantIbLb0EES13_EEDaSY_SZ_EUlSY_E_NS1_11comp_targetILNS1_3genE0ELNS1_11target_archE4294967295ELNS1_3gpuE0ELNS1_3repE0EEENS1_30default_config_static_selectorELNS0_4arch9wavefront6targetE1EEEvT1_,comdat
.Lfunc_end1906:
	.size	_ZN7rocprim17ROCPRIM_400000_NS6detail17trampoline_kernelINS0_14default_configENS1_29reduce_by_key_config_selectorIflN6thrust23THRUST_200600_302600_NS4plusIlEEEEZZNS1_33reduce_by_key_impl_wrapped_configILNS1_25lookback_scan_determinismE0ES3_S9_PfNS6_17constant_iteratorIiNS6_11use_defaultESE_EENS6_10device_ptrIfEENSG_IlEEPmS8_NS6_8equal_toIfEEEE10hipError_tPvRmT2_T3_mT4_T5_T6_T7_T8_P12ihipStream_tbENKUlT_T0_E_clISt17integral_constantIbLb0EES13_EEDaSY_SZ_EUlSY_E_NS1_11comp_targetILNS1_3genE0ELNS1_11target_archE4294967295ELNS1_3gpuE0ELNS1_3repE0EEENS1_30default_config_static_selectorELNS0_4arch9wavefront6targetE1EEEvT1_, .Lfunc_end1906-_ZN7rocprim17ROCPRIM_400000_NS6detail17trampoline_kernelINS0_14default_configENS1_29reduce_by_key_config_selectorIflN6thrust23THRUST_200600_302600_NS4plusIlEEEEZZNS1_33reduce_by_key_impl_wrapped_configILNS1_25lookback_scan_determinismE0ES3_S9_PfNS6_17constant_iteratorIiNS6_11use_defaultESE_EENS6_10device_ptrIfEENSG_IlEEPmS8_NS6_8equal_toIfEEEE10hipError_tPvRmT2_T3_mT4_T5_T6_T7_T8_P12ihipStream_tbENKUlT_T0_E_clISt17integral_constantIbLb0EES13_EEDaSY_SZ_EUlSY_E_NS1_11comp_targetILNS1_3genE0ELNS1_11target_archE4294967295ELNS1_3gpuE0ELNS1_3repE0EEENS1_30default_config_static_selectorELNS0_4arch9wavefront6targetE1EEEvT1_
                                        ; -- End function
	.section	.AMDGPU.csdata,"",@progbits
; Kernel info:
; codeLenInByte = 0
; NumSgprs: 4
; NumVgprs: 0
; NumAgprs: 0
; TotalNumVgprs: 0
; ScratchSize: 0
; MemoryBound: 0
; FloatMode: 240
; IeeeMode: 1
; LDSByteSize: 0 bytes/workgroup (compile time only)
; SGPRBlocks: 0
; VGPRBlocks: 0
; NumSGPRsForWavesPerEU: 4
; NumVGPRsForWavesPerEU: 1
; AccumOffset: 4
; Occupancy: 8
; WaveLimiterHint : 0
; COMPUTE_PGM_RSRC2:SCRATCH_EN: 0
; COMPUTE_PGM_RSRC2:USER_SGPR: 6
; COMPUTE_PGM_RSRC2:TRAP_HANDLER: 0
; COMPUTE_PGM_RSRC2:TGID_X_EN: 1
; COMPUTE_PGM_RSRC2:TGID_Y_EN: 0
; COMPUTE_PGM_RSRC2:TGID_Z_EN: 0
; COMPUTE_PGM_RSRC2:TIDIG_COMP_CNT: 0
; COMPUTE_PGM_RSRC3_GFX90A:ACCUM_OFFSET: 0
; COMPUTE_PGM_RSRC3_GFX90A:TG_SPLIT: 0
	.section	.text._ZN7rocprim17ROCPRIM_400000_NS6detail17trampoline_kernelINS0_14default_configENS1_29reduce_by_key_config_selectorIflN6thrust23THRUST_200600_302600_NS4plusIlEEEEZZNS1_33reduce_by_key_impl_wrapped_configILNS1_25lookback_scan_determinismE0ES3_S9_PfNS6_17constant_iteratorIiNS6_11use_defaultESE_EENS6_10device_ptrIfEENSG_IlEEPmS8_NS6_8equal_toIfEEEE10hipError_tPvRmT2_T3_mT4_T5_T6_T7_T8_P12ihipStream_tbENKUlT_T0_E_clISt17integral_constantIbLb0EES13_EEDaSY_SZ_EUlSY_E_NS1_11comp_targetILNS1_3genE5ELNS1_11target_archE942ELNS1_3gpuE9ELNS1_3repE0EEENS1_30default_config_static_selectorELNS0_4arch9wavefront6targetE1EEEvT1_,"axG",@progbits,_ZN7rocprim17ROCPRIM_400000_NS6detail17trampoline_kernelINS0_14default_configENS1_29reduce_by_key_config_selectorIflN6thrust23THRUST_200600_302600_NS4plusIlEEEEZZNS1_33reduce_by_key_impl_wrapped_configILNS1_25lookback_scan_determinismE0ES3_S9_PfNS6_17constant_iteratorIiNS6_11use_defaultESE_EENS6_10device_ptrIfEENSG_IlEEPmS8_NS6_8equal_toIfEEEE10hipError_tPvRmT2_T3_mT4_T5_T6_T7_T8_P12ihipStream_tbENKUlT_T0_E_clISt17integral_constantIbLb0EES13_EEDaSY_SZ_EUlSY_E_NS1_11comp_targetILNS1_3genE5ELNS1_11target_archE942ELNS1_3gpuE9ELNS1_3repE0EEENS1_30default_config_static_selectorELNS0_4arch9wavefront6targetE1EEEvT1_,comdat
	.protected	_ZN7rocprim17ROCPRIM_400000_NS6detail17trampoline_kernelINS0_14default_configENS1_29reduce_by_key_config_selectorIflN6thrust23THRUST_200600_302600_NS4plusIlEEEEZZNS1_33reduce_by_key_impl_wrapped_configILNS1_25lookback_scan_determinismE0ES3_S9_PfNS6_17constant_iteratorIiNS6_11use_defaultESE_EENS6_10device_ptrIfEENSG_IlEEPmS8_NS6_8equal_toIfEEEE10hipError_tPvRmT2_T3_mT4_T5_T6_T7_T8_P12ihipStream_tbENKUlT_T0_E_clISt17integral_constantIbLb0EES13_EEDaSY_SZ_EUlSY_E_NS1_11comp_targetILNS1_3genE5ELNS1_11target_archE942ELNS1_3gpuE9ELNS1_3repE0EEENS1_30default_config_static_selectorELNS0_4arch9wavefront6targetE1EEEvT1_ ; -- Begin function _ZN7rocprim17ROCPRIM_400000_NS6detail17trampoline_kernelINS0_14default_configENS1_29reduce_by_key_config_selectorIflN6thrust23THRUST_200600_302600_NS4plusIlEEEEZZNS1_33reduce_by_key_impl_wrapped_configILNS1_25lookback_scan_determinismE0ES3_S9_PfNS6_17constant_iteratorIiNS6_11use_defaultESE_EENS6_10device_ptrIfEENSG_IlEEPmS8_NS6_8equal_toIfEEEE10hipError_tPvRmT2_T3_mT4_T5_T6_T7_T8_P12ihipStream_tbENKUlT_T0_E_clISt17integral_constantIbLb0EES13_EEDaSY_SZ_EUlSY_E_NS1_11comp_targetILNS1_3genE5ELNS1_11target_archE942ELNS1_3gpuE9ELNS1_3repE0EEENS1_30default_config_static_selectorELNS0_4arch9wavefront6targetE1EEEvT1_
	.globl	_ZN7rocprim17ROCPRIM_400000_NS6detail17trampoline_kernelINS0_14default_configENS1_29reduce_by_key_config_selectorIflN6thrust23THRUST_200600_302600_NS4plusIlEEEEZZNS1_33reduce_by_key_impl_wrapped_configILNS1_25lookback_scan_determinismE0ES3_S9_PfNS6_17constant_iteratorIiNS6_11use_defaultESE_EENS6_10device_ptrIfEENSG_IlEEPmS8_NS6_8equal_toIfEEEE10hipError_tPvRmT2_T3_mT4_T5_T6_T7_T8_P12ihipStream_tbENKUlT_T0_E_clISt17integral_constantIbLb0EES13_EEDaSY_SZ_EUlSY_E_NS1_11comp_targetILNS1_3genE5ELNS1_11target_archE942ELNS1_3gpuE9ELNS1_3repE0EEENS1_30default_config_static_selectorELNS0_4arch9wavefront6targetE1EEEvT1_
	.p2align	8
	.type	_ZN7rocprim17ROCPRIM_400000_NS6detail17trampoline_kernelINS0_14default_configENS1_29reduce_by_key_config_selectorIflN6thrust23THRUST_200600_302600_NS4plusIlEEEEZZNS1_33reduce_by_key_impl_wrapped_configILNS1_25lookback_scan_determinismE0ES3_S9_PfNS6_17constant_iteratorIiNS6_11use_defaultESE_EENS6_10device_ptrIfEENSG_IlEEPmS8_NS6_8equal_toIfEEEE10hipError_tPvRmT2_T3_mT4_T5_T6_T7_T8_P12ihipStream_tbENKUlT_T0_E_clISt17integral_constantIbLb0EES13_EEDaSY_SZ_EUlSY_E_NS1_11comp_targetILNS1_3genE5ELNS1_11target_archE942ELNS1_3gpuE9ELNS1_3repE0EEENS1_30default_config_static_selectorELNS0_4arch9wavefront6targetE1EEEvT1_,@function
_ZN7rocprim17ROCPRIM_400000_NS6detail17trampoline_kernelINS0_14default_configENS1_29reduce_by_key_config_selectorIflN6thrust23THRUST_200600_302600_NS4plusIlEEEEZZNS1_33reduce_by_key_impl_wrapped_configILNS1_25lookback_scan_determinismE0ES3_S9_PfNS6_17constant_iteratorIiNS6_11use_defaultESE_EENS6_10device_ptrIfEENSG_IlEEPmS8_NS6_8equal_toIfEEEE10hipError_tPvRmT2_T3_mT4_T5_T6_T7_T8_P12ihipStream_tbENKUlT_T0_E_clISt17integral_constantIbLb0EES13_EEDaSY_SZ_EUlSY_E_NS1_11comp_targetILNS1_3genE5ELNS1_11target_archE942ELNS1_3gpuE9ELNS1_3repE0EEENS1_30default_config_static_selectorELNS0_4arch9wavefront6targetE1EEEvT1_: ; @_ZN7rocprim17ROCPRIM_400000_NS6detail17trampoline_kernelINS0_14default_configENS1_29reduce_by_key_config_selectorIflN6thrust23THRUST_200600_302600_NS4plusIlEEEEZZNS1_33reduce_by_key_impl_wrapped_configILNS1_25lookback_scan_determinismE0ES3_S9_PfNS6_17constant_iteratorIiNS6_11use_defaultESE_EENS6_10device_ptrIfEENSG_IlEEPmS8_NS6_8equal_toIfEEEE10hipError_tPvRmT2_T3_mT4_T5_T6_T7_T8_P12ihipStream_tbENKUlT_T0_E_clISt17integral_constantIbLb0EES13_EEDaSY_SZ_EUlSY_E_NS1_11comp_targetILNS1_3genE5ELNS1_11target_archE942ELNS1_3gpuE9ELNS1_3repE0EEENS1_30default_config_static_selectorELNS0_4arch9wavefront6targetE1EEEvT1_
; %bb.0:
	.section	.rodata,"a",@progbits
	.p2align	6, 0x0
	.amdhsa_kernel _ZN7rocprim17ROCPRIM_400000_NS6detail17trampoline_kernelINS0_14default_configENS1_29reduce_by_key_config_selectorIflN6thrust23THRUST_200600_302600_NS4plusIlEEEEZZNS1_33reduce_by_key_impl_wrapped_configILNS1_25lookback_scan_determinismE0ES3_S9_PfNS6_17constant_iteratorIiNS6_11use_defaultESE_EENS6_10device_ptrIfEENSG_IlEEPmS8_NS6_8equal_toIfEEEE10hipError_tPvRmT2_T3_mT4_T5_T6_T7_T8_P12ihipStream_tbENKUlT_T0_E_clISt17integral_constantIbLb0EES13_EEDaSY_SZ_EUlSY_E_NS1_11comp_targetILNS1_3genE5ELNS1_11target_archE942ELNS1_3gpuE9ELNS1_3repE0EEENS1_30default_config_static_selectorELNS0_4arch9wavefront6targetE1EEEvT1_
		.amdhsa_group_segment_fixed_size 0
		.amdhsa_private_segment_fixed_size 0
		.amdhsa_kernarg_size 144
		.amdhsa_user_sgpr_count 6
		.amdhsa_user_sgpr_private_segment_buffer 1
		.amdhsa_user_sgpr_dispatch_ptr 0
		.amdhsa_user_sgpr_queue_ptr 0
		.amdhsa_user_sgpr_kernarg_segment_ptr 1
		.amdhsa_user_sgpr_dispatch_id 0
		.amdhsa_user_sgpr_flat_scratch_init 0
		.amdhsa_user_sgpr_kernarg_preload_length 0
		.amdhsa_user_sgpr_kernarg_preload_offset 0
		.amdhsa_user_sgpr_private_segment_size 0
		.amdhsa_uses_dynamic_stack 0
		.amdhsa_system_sgpr_private_segment_wavefront_offset 0
		.amdhsa_system_sgpr_workgroup_id_x 1
		.amdhsa_system_sgpr_workgroup_id_y 0
		.amdhsa_system_sgpr_workgroup_id_z 0
		.amdhsa_system_sgpr_workgroup_info 0
		.amdhsa_system_vgpr_workitem_id 0
		.amdhsa_next_free_vgpr 1
		.amdhsa_next_free_sgpr 0
		.amdhsa_accum_offset 4
		.amdhsa_reserve_vcc 0
		.amdhsa_reserve_flat_scratch 0
		.amdhsa_float_round_mode_32 0
		.amdhsa_float_round_mode_16_64 0
		.amdhsa_float_denorm_mode_32 3
		.amdhsa_float_denorm_mode_16_64 3
		.amdhsa_dx10_clamp 1
		.amdhsa_ieee_mode 1
		.amdhsa_fp16_overflow 0
		.amdhsa_tg_split 0
		.amdhsa_exception_fp_ieee_invalid_op 0
		.amdhsa_exception_fp_denorm_src 0
		.amdhsa_exception_fp_ieee_div_zero 0
		.amdhsa_exception_fp_ieee_overflow 0
		.amdhsa_exception_fp_ieee_underflow 0
		.amdhsa_exception_fp_ieee_inexact 0
		.amdhsa_exception_int_div_zero 0
	.end_amdhsa_kernel
	.section	.text._ZN7rocprim17ROCPRIM_400000_NS6detail17trampoline_kernelINS0_14default_configENS1_29reduce_by_key_config_selectorIflN6thrust23THRUST_200600_302600_NS4plusIlEEEEZZNS1_33reduce_by_key_impl_wrapped_configILNS1_25lookback_scan_determinismE0ES3_S9_PfNS6_17constant_iteratorIiNS6_11use_defaultESE_EENS6_10device_ptrIfEENSG_IlEEPmS8_NS6_8equal_toIfEEEE10hipError_tPvRmT2_T3_mT4_T5_T6_T7_T8_P12ihipStream_tbENKUlT_T0_E_clISt17integral_constantIbLb0EES13_EEDaSY_SZ_EUlSY_E_NS1_11comp_targetILNS1_3genE5ELNS1_11target_archE942ELNS1_3gpuE9ELNS1_3repE0EEENS1_30default_config_static_selectorELNS0_4arch9wavefront6targetE1EEEvT1_,"axG",@progbits,_ZN7rocprim17ROCPRIM_400000_NS6detail17trampoline_kernelINS0_14default_configENS1_29reduce_by_key_config_selectorIflN6thrust23THRUST_200600_302600_NS4plusIlEEEEZZNS1_33reduce_by_key_impl_wrapped_configILNS1_25lookback_scan_determinismE0ES3_S9_PfNS6_17constant_iteratorIiNS6_11use_defaultESE_EENS6_10device_ptrIfEENSG_IlEEPmS8_NS6_8equal_toIfEEEE10hipError_tPvRmT2_T3_mT4_T5_T6_T7_T8_P12ihipStream_tbENKUlT_T0_E_clISt17integral_constantIbLb0EES13_EEDaSY_SZ_EUlSY_E_NS1_11comp_targetILNS1_3genE5ELNS1_11target_archE942ELNS1_3gpuE9ELNS1_3repE0EEENS1_30default_config_static_selectorELNS0_4arch9wavefront6targetE1EEEvT1_,comdat
.Lfunc_end1907:
	.size	_ZN7rocprim17ROCPRIM_400000_NS6detail17trampoline_kernelINS0_14default_configENS1_29reduce_by_key_config_selectorIflN6thrust23THRUST_200600_302600_NS4plusIlEEEEZZNS1_33reduce_by_key_impl_wrapped_configILNS1_25lookback_scan_determinismE0ES3_S9_PfNS6_17constant_iteratorIiNS6_11use_defaultESE_EENS6_10device_ptrIfEENSG_IlEEPmS8_NS6_8equal_toIfEEEE10hipError_tPvRmT2_T3_mT4_T5_T6_T7_T8_P12ihipStream_tbENKUlT_T0_E_clISt17integral_constantIbLb0EES13_EEDaSY_SZ_EUlSY_E_NS1_11comp_targetILNS1_3genE5ELNS1_11target_archE942ELNS1_3gpuE9ELNS1_3repE0EEENS1_30default_config_static_selectorELNS0_4arch9wavefront6targetE1EEEvT1_, .Lfunc_end1907-_ZN7rocprim17ROCPRIM_400000_NS6detail17trampoline_kernelINS0_14default_configENS1_29reduce_by_key_config_selectorIflN6thrust23THRUST_200600_302600_NS4plusIlEEEEZZNS1_33reduce_by_key_impl_wrapped_configILNS1_25lookback_scan_determinismE0ES3_S9_PfNS6_17constant_iteratorIiNS6_11use_defaultESE_EENS6_10device_ptrIfEENSG_IlEEPmS8_NS6_8equal_toIfEEEE10hipError_tPvRmT2_T3_mT4_T5_T6_T7_T8_P12ihipStream_tbENKUlT_T0_E_clISt17integral_constantIbLb0EES13_EEDaSY_SZ_EUlSY_E_NS1_11comp_targetILNS1_3genE5ELNS1_11target_archE942ELNS1_3gpuE9ELNS1_3repE0EEENS1_30default_config_static_selectorELNS0_4arch9wavefront6targetE1EEEvT1_
                                        ; -- End function
	.section	.AMDGPU.csdata,"",@progbits
; Kernel info:
; codeLenInByte = 0
; NumSgprs: 4
; NumVgprs: 0
; NumAgprs: 0
; TotalNumVgprs: 0
; ScratchSize: 0
; MemoryBound: 0
; FloatMode: 240
; IeeeMode: 1
; LDSByteSize: 0 bytes/workgroup (compile time only)
; SGPRBlocks: 0
; VGPRBlocks: 0
; NumSGPRsForWavesPerEU: 4
; NumVGPRsForWavesPerEU: 1
; AccumOffset: 4
; Occupancy: 8
; WaveLimiterHint : 0
; COMPUTE_PGM_RSRC2:SCRATCH_EN: 0
; COMPUTE_PGM_RSRC2:USER_SGPR: 6
; COMPUTE_PGM_RSRC2:TRAP_HANDLER: 0
; COMPUTE_PGM_RSRC2:TGID_X_EN: 1
; COMPUTE_PGM_RSRC2:TGID_Y_EN: 0
; COMPUTE_PGM_RSRC2:TGID_Z_EN: 0
; COMPUTE_PGM_RSRC2:TIDIG_COMP_CNT: 0
; COMPUTE_PGM_RSRC3_GFX90A:ACCUM_OFFSET: 0
; COMPUTE_PGM_RSRC3_GFX90A:TG_SPLIT: 0
	.section	.text._ZN7rocprim17ROCPRIM_400000_NS6detail17trampoline_kernelINS0_14default_configENS1_29reduce_by_key_config_selectorIflN6thrust23THRUST_200600_302600_NS4plusIlEEEEZZNS1_33reduce_by_key_impl_wrapped_configILNS1_25lookback_scan_determinismE0ES3_S9_PfNS6_17constant_iteratorIiNS6_11use_defaultESE_EENS6_10device_ptrIfEENSG_IlEEPmS8_NS6_8equal_toIfEEEE10hipError_tPvRmT2_T3_mT4_T5_T6_T7_T8_P12ihipStream_tbENKUlT_T0_E_clISt17integral_constantIbLb0EES13_EEDaSY_SZ_EUlSY_E_NS1_11comp_targetILNS1_3genE4ELNS1_11target_archE910ELNS1_3gpuE8ELNS1_3repE0EEENS1_30default_config_static_selectorELNS0_4arch9wavefront6targetE1EEEvT1_,"axG",@progbits,_ZN7rocprim17ROCPRIM_400000_NS6detail17trampoline_kernelINS0_14default_configENS1_29reduce_by_key_config_selectorIflN6thrust23THRUST_200600_302600_NS4plusIlEEEEZZNS1_33reduce_by_key_impl_wrapped_configILNS1_25lookback_scan_determinismE0ES3_S9_PfNS6_17constant_iteratorIiNS6_11use_defaultESE_EENS6_10device_ptrIfEENSG_IlEEPmS8_NS6_8equal_toIfEEEE10hipError_tPvRmT2_T3_mT4_T5_T6_T7_T8_P12ihipStream_tbENKUlT_T0_E_clISt17integral_constantIbLb0EES13_EEDaSY_SZ_EUlSY_E_NS1_11comp_targetILNS1_3genE4ELNS1_11target_archE910ELNS1_3gpuE8ELNS1_3repE0EEENS1_30default_config_static_selectorELNS0_4arch9wavefront6targetE1EEEvT1_,comdat
	.protected	_ZN7rocprim17ROCPRIM_400000_NS6detail17trampoline_kernelINS0_14default_configENS1_29reduce_by_key_config_selectorIflN6thrust23THRUST_200600_302600_NS4plusIlEEEEZZNS1_33reduce_by_key_impl_wrapped_configILNS1_25lookback_scan_determinismE0ES3_S9_PfNS6_17constant_iteratorIiNS6_11use_defaultESE_EENS6_10device_ptrIfEENSG_IlEEPmS8_NS6_8equal_toIfEEEE10hipError_tPvRmT2_T3_mT4_T5_T6_T7_T8_P12ihipStream_tbENKUlT_T0_E_clISt17integral_constantIbLb0EES13_EEDaSY_SZ_EUlSY_E_NS1_11comp_targetILNS1_3genE4ELNS1_11target_archE910ELNS1_3gpuE8ELNS1_3repE0EEENS1_30default_config_static_selectorELNS0_4arch9wavefront6targetE1EEEvT1_ ; -- Begin function _ZN7rocprim17ROCPRIM_400000_NS6detail17trampoline_kernelINS0_14default_configENS1_29reduce_by_key_config_selectorIflN6thrust23THRUST_200600_302600_NS4plusIlEEEEZZNS1_33reduce_by_key_impl_wrapped_configILNS1_25lookback_scan_determinismE0ES3_S9_PfNS6_17constant_iteratorIiNS6_11use_defaultESE_EENS6_10device_ptrIfEENSG_IlEEPmS8_NS6_8equal_toIfEEEE10hipError_tPvRmT2_T3_mT4_T5_T6_T7_T8_P12ihipStream_tbENKUlT_T0_E_clISt17integral_constantIbLb0EES13_EEDaSY_SZ_EUlSY_E_NS1_11comp_targetILNS1_3genE4ELNS1_11target_archE910ELNS1_3gpuE8ELNS1_3repE0EEENS1_30default_config_static_selectorELNS0_4arch9wavefront6targetE1EEEvT1_
	.globl	_ZN7rocprim17ROCPRIM_400000_NS6detail17trampoline_kernelINS0_14default_configENS1_29reduce_by_key_config_selectorIflN6thrust23THRUST_200600_302600_NS4plusIlEEEEZZNS1_33reduce_by_key_impl_wrapped_configILNS1_25lookback_scan_determinismE0ES3_S9_PfNS6_17constant_iteratorIiNS6_11use_defaultESE_EENS6_10device_ptrIfEENSG_IlEEPmS8_NS6_8equal_toIfEEEE10hipError_tPvRmT2_T3_mT4_T5_T6_T7_T8_P12ihipStream_tbENKUlT_T0_E_clISt17integral_constantIbLb0EES13_EEDaSY_SZ_EUlSY_E_NS1_11comp_targetILNS1_3genE4ELNS1_11target_archE910ELNS1_3gpuE8ELNS1_3repE0EEENS1_30default_config_static_selectorELNS0_4arch9wavefront6targetE1EEEvT1_
	.p2align	8
	.type	_ZN7rocprim17ROCPRIM_400000_NS6detail17trampoline_kernelINS0_14default_configENS1_29reduce_by_key_config_selectorIflN6thrust23THRUST_200600_302600_NS4plusIlEEEEZZNS1_33reduce_by_key_impl_wrapped_configILNS1_25lookback_scan_determinismE0ES3_S9_PfNS6_17constant_iteratorIiNS6_11use_defaultESE_EENS6_10device_ptrIfEENSG_IlEEPmS8_NS6_8equal_toIfEEEE10hipError_tPvRmT2_T3_mT4_T5_T6_T7_T8_P12ihipStream_tbENKUlT_T0_E_clISt17integral_constantIbLb0EES13_EEDaSY_SZ_EUlSY_E_NS1_11comp_targetILNS1_3genE4ELNS1_11target_archE910ELNS1_3gpuE8ELNS1_3repE0EEENS1_30default_config_static_selectorELNS0_4arch9wavefront6targetE1EEEvT1_,@function
_ZN7rocprim17ROCPRIM_400000_NS6detail17trampoline_kernelINS0_14default_configENS1_29reduce_by_key_config_selectorIflN6thrust23THRUST_200600_302600_NS4plusIlEEEEZZNS1_33reduce_by_key_impl_wrapped_configILNS1_25lookback_scan_determinismE0ES3_S9_PfNS6_17constant_iteratorIiNS6_11use_defaultESE_EENS6_10device_ptrIfEENSG_IlEEPmS8_NS6_8equal_toIfEEEE10hipError_tPvRmT2_T3_mT4_T5_T6_T7_T8_P12ihipStream_tbENKUlT_T0_E_clISt17integral_constantIbLb0EES13_EEDaSY_SZ_EUlSY_E_NS1_11comp_targetILNS1_3genE4ELNS1_11target_archE910ELNS1_3gpuE8ELNS1_3repE0EEENS1_30default_config_static_selectorELNS0_4arch9wavefront6targetE1EEEvT1_: ; @_ZN7rocprim17ROCPRIM_400000_NS6detail17trampoline_kernelINS0_14default_configENS1_29reduce_by_key_config_selectorIflN6thrust23THRUST_200600_302600_NS4plusIlEEEEZZNS1_33reduce_by_key_impl_wrapped_configILNS1_25lookback_scan_determinismE0ES3_S9_PfNS6_17constant_iteratorIiNS6_11use_defaultESE_EENS6_10device_ptrIfEENSG_IlEEPmS8_NS6_8equal_toIfEEEE10hipError_tPvRmT2_T3_mT4_T5_T6_T7_T8_P12ihipStream_tbENKUlT_T0_E_clISt17integral_constantIbLb0EES13_EEDaSY_SZ_EUlSY_E_NS1_11comp_targetILNS1_3genE4ELNS1_11target_archE910ELNS1_3gpuE8ELNS1_3repE0EEENS1_30default_config_static_selectorELNS0_4arch9wavefront6targetE1EEEvT1_
; %bb.0:
	s_load_dwordx16 s[36:51], s[4:5], 0x40
	s_load_dwordx4 s[0:3], s[4:5], 0x0
	s_load_dword s8, s[4:5], 0x18
	s_load_dwordx4 s[52:55], s[4:5], 0x20
	s_load_dwordx2 s[34:35], s[4:5], 0x30
	s_waitcnt lgkmcnt(0)
	s_mul_i32 s7, s44, s43
	s_mul_hi_u32 s9, s44, s42
	s_add_i32 s7, s9, s7
	s_mul_i32 s9, s45, s42
	s_add_i32 s7, s7, s9
	s_lshl_b64 s[2:3], s[2:3], 2
	s_add_u32 s2, s0, s2
	s_addc_u32 s3, s1, s3
	s_mul_i32 s0, s6, 0xf00
	s_mov_b32 s1, 0
	s_lshl_b64 s[0:1], s[0:1], 2
	s_add_u32 s58, s2, s0
	s_mul_i32 s9, s44, s42
	s_addc_u32 s59, s3, s1
	s_add_u32 s0, s9, s6
	s_addc_u32 s1, s7, 0
	s_add_u32 s12, s46, -1
	s_addc_u32 s13, s47, -1
	s_cmp_eq_u64 s[0:1], s[12:13]
	s_cselect_b64 s[44:45], -1, 0
	s_cmp_lg_u64 s[0:1], s[12:13]
	s_mov_b64 s[10:11], -1
	s_cselect_b64 s[2:3], -1, 0
	s_mul_i32 s33, s12, 0xfffff100
	s_and_b64 vcc, exec, s[44:45]
	v_mad_u32_u24 v48, v0, 15, 1
	v_mad_u32_u24 v50, v0, 15, 2
	;; [unrolled: 1-line block ×14, first 2 shown]
	s_cbranch_vccnz .LBB1908_2
; %bb.1:
	v_lshlrev_b32_e32 v1, 2, v0
	v_mov_b32_e32 v2, s59
	v_add_co_u32_e32 v4, vcc, s58, v1
	v_addc_co_u32_e32 v5, vcc, 0, v2, vcc
	v_add_co_u32_e32 v2, vcc, 0x1000, v4
	v_addc_co_u32_e32 v3, vcc, 0, v5, vcc
	global_load_dword v6, v1, s[58:59]
	global_load_dword v7, v1, s[58:59] offset:1024
	global_load_dword v8, v1, s[58:59] offset:2048
	;; [unrolled: 1-line block ×3, first 2 shown]
	global_load_dword v10, v[2:3], off
	global_load_dword v11, v[2:3], off offset:1024
	global_load_dword v12, v[2:3], off offset:2048
	;; [unrolled: 1-line block ×3, first 2 shown]
	v_add_co_u32_e32 v2, vcc, 0x2000, v4
	v_addc_co_u32_e32 v3, vcc, 0, v5, vcc
	v_add_co_u32_e32 v4, vcc, 0x3000, v4
	v_addc_co_u32_e32 v5, vcc, 0, v5, vcc
	global_load_dword v14, v[2:3], off
	global_load_dword v15, v[2:3], off offset:1024
	global_load_dword v16, v[2:3], off offset:2048
	;; [unrolled: 1-line block ×3, first 2 shown]
	global_load_dword v31, v[4:5], off
	global_load_dword v34, v[4:5], off offset:1024
	global_load_dword v35, v[4:5], off offset:2048
	v_mad_u32_u24 v36, v0, 56, v1
	s_ashr_i32 s9, s8, 31
	s_movk_i32 s7, 0xffcc
	v_mul_u32_u24_e32 v2, 15, v0
	v_mad_u32_u24 v30, v0, 15, 1
	v_mad_u32_u24 v29, v0, 15, 2
	;; [unrolled: 1-line block ×14, first 2 shown]
	v_pk_mov_b32 v[32:33], s[8:9], s[8:9] op_sel:[0,1]
	v_mad_i32_i24 v37, v0, s7, v36
	s_waitcnt vmcnt(13)
	ds_write2st64_b32 v1, v6, v7 offset1:4
	s_waitcnt vmcnt(11)
	ds_write2st64_b32 v1, v8, v9 offset0:8 offset1:12
	s_waitcnt vmcnt(9)
	ds_write2st64_b32 v1, v10, v11 offset0:16 offset1:20
	;; [unrolled: 2-line block ×6, first 2 shown]
	s_waitcnt vmcnt(0)
	ds_write_b32 v1, v35 offset:14336
	s_waitcnt lgkmcnt(0)
	s_barrier
	ds_read2_b32 v[16:17], v36 offset1:1
	ds_read2_b32 v[14:15], v36 offset0:2 offset1:3
	ds_read2_b32 v[12:13], v36 offset0:4 offset1:5
	;; [unrolled: 1-line block ×6, first 2 shown]
	ds_read_b32 v1, v36 offset:56
	s_waitcnt lgkmcnt(7)
	v_mov_b32_e32 v80, v16
	s_waitcnt lgkmcnt(6)
	v_mov_b32_e32 v81, v14
	s_waitcnt lgkmcnt(5)
	v_mov_b32_e32 v76, v12
	s_waitcnt lgkmcnt(4)
	v_mov_b32_e32 v77, v10
	s_waitcnt lgkmcnt(3)
	v_mov_b32_e32 v74, v8
	s_waitcnt lgkmcnt(2)
	v_mov_b32_e32 v75, v6
	s_waitcnt lgkmcnt(1)
	v_mov_b32_e32 v78, v4
	s_waitcnt lgkmcnt(0)
	s_barrier
	ds_write2st64_b64 v37, v[32:33], v[32:33] offset1:4
	ds_write2st64_b64 v37, v[32:33], v[32:33] offset0:8 offset1:12
	ds_write2st64_b64 v37, v[32:33], v[32:33] offset0:16 offset1:20
	;; [unrolled: 1-line block ×6, first 2 shown]
	ds_write_b64 v37, v[32:33] offset:28672
	s_waitcnt lgkmcnt(0)
	s_barrier
	s_load_dwordx2 s[56:57], s[4:5], 0x80
	s_add_i32 s33, s33, s48
	s_cbranch_execz .LBB1908_3
	s_branch .LBB1908_34
.LBB1908_2:
                                        ; implicit-def: $vgpr1
                                        ; implicit-def: $vgpr4
                                        ; implicit-def: $vgpr6
                                        ; implicit-def: $vgpr8
                                        ; implicit-def: $vgpr10
                                        ; implicit-def: $vgpr12
                                        ; implicit-def: $vgpr14
                                        ; implicit-def: $vgpr16
                                        ; implicit-def: $vgpr3
                                        ; implicit-def: $vgpr18
                                        ; implicit-def: $vgpr19
                                        ; implicit-def: $vgpr20
                                        ; implicit-def: $vgpr21
                                        ; implicit-def: $vgpr22
                                        ; implicit-def: $vgpr23
                                        ; implicit-def: $vgpr24
                                        ; implicit-def: $vgpr25
                                        ; implicit-def: $vgpr26
                                        ; implicit-def: $vgpr27
                                        ; implicit-def: $vgpr28
                                        ; implicit-def: $vgpr29
                                        ; implicit-def: $vgpr30
                                        ; implicit-def: $vgpr2
                                        ; implicit-def: $vgpr74_vgpr75
                                        ; implicit-def: $vgpr76_vgpr77
                                        ; implicit-def: $vgpr80_vgpr81
                                        ; implicit-def: $vgpr78_vgpr79
	s_load_dwordx2 s[56:57], s[4:5], 0x80
	s_andn2_b64 vcc, exec, s[10:11]
	s_add_i32 s33, s33, s48
	s_cbranch_vccnz .LBB1908_34
.LBB1908_3:
	v_cmp_gt_u32_e32 vcc, s33, v0
                                        ; implicit-def: $vgpr1
	s_and_saveexec_b64 s[4:5], vcc
	s_cbranch_execz .LBB1908_5
; %bb.4:
	v_lshlrev_b32_e32 v1, 2, v0
	global_load_dword v1, v1, s[58:59]
.LBB1908_5:
	s_or_b64 exec, exec, s[4:5]
	v_or_b32_e32 v2, 0x100, v0
	v_cmp_gt_u32_e32 vcc, s33, v2
                                        ; implicit-def: $vgpr2
	s_and_saveexec_b64 s[4:5], vcc
	s_cbranch_execz .LBB1908_7
; %bb.6:
	v_lshlrev_b32_e32 v2, 2, v0
	global_load_dword v2, v2, s[58:59] offset:1024
.LBB1908_7:
	s_or_b64 exec, exec, s[4:5]
	v_or_b32_e32 v3, 0x200, v0
	v_cmp_gt_u32_e32 vcc, s33, v3
                                        ; implicit-def: $vgpr3
	s_and_saveexec_b64 s[4:5], vcc
	s_cbranch_execz .LBB1908_9
; %bb.8:
	v_lshlrev_b32_e32 v3, 2, v0
	global_load_dword v3, v3, s[58:59] offset:2048
.LBB1908_9:
	s_or_b64 exec, exec, s[4:5]
	v_or_b32_e32 v4, 0x300, v0
	v_cmp_gt_u32_e32 vcc, s33, v4
                                        ; implicit-def: $vgpr4
	s_and_saveexec_b64 s[4:5], vcc
	s_cbranch_execz .LBB1908_11
; %bb.10:
	v_lshlrev_b32_e32 v4, 2, v0
	global_load_dword v4, v4, s[58:59] offset:3072
.LBB1908_11:
	s_or_b64 exec, exec, s[4:5]
	v_or_b32_e32 v6, 0x400, v0
	v_cmp_gt_u32_e32 vcc, s33, v6
                                        ; implicit-def: $vgpr5
	s_and_saveexec_b64 s[4:5], vcc
	s_cbranch_execz .LBB1908_13
; %bb.12:
	v_lshlrev_b32_e32 v5, 2, v6
	global_load_dword v5, v5, s[58:59]
.LBB1908_13:
	s_or_b64 exec, exec, s[4:5]
	v_or_b32_e32 v7, 0x500, v0
	v_cmp_gt_u32_e32 vcc, s33, v7
                                        ; implicit-def: $vgpr6
	s_and_saveexec_b64 s[4:5], vcc
	s_cbranch_execz .LBB1908_15
; %bb.14:
	v_lshlrev_b32_e32 v6, 2, v7
	global_load_dword v6, v6, s[58:59]
.LBB1908_15:
	s_or_b64 exec, exec, s[4:5]
	v_or_b32_e32 v8, 0x600, v0
	v_cmp_gt_u32_e32 vcc, s33, v8
                                        ; implicit-def: $vgpr7
	s_and_saveexec_b64 s[4:5], vcc
	s_cbranch_execz .LBB1908_17
; %bb.16:
	v_lshlrev_b32_e32 v7, 2, v8
	global_load_dword v7, v7, s[58:59]
.LBB1908_17:
	s_or_b64 exec, exec, s[4:5]
	v_or_b32_e32 v9, 0x700, v0
	v_cmp_gt_u32_e32 vcc, s33, v9
                                        ; implicit-def: $vgpr8
	s_and_saveexec_b64 s[4:5], vcc
	s_cbranch_execz .LBB1908_19
; %bb.18:
	v_lshlrev_b32_e32 v8, 2, v9
	global_load_dword v8, v8, s[58:59]
.LBB1908_19:
	s_or_b64 exec, exec, s[4:5]
	v_or_b32_e32 v10, 0x800, v0
	v_cmp_gt_u32_e32 vcc, s33, v10
                                        ; implicit-def: $vgpr9
	s_and_saveexec_b64 s[4:5], vcc
	s_cbranch_execz .LBB1908_21
; %bb.20:
	v_lshlrev_b32_e32 v9, 2, v10
	global_load_dword v9, v9, s[58:59]
.LBB1908_21:
	s_or_b64 exec, exec, s[4:5]
	v_or_b32_e32 v11, 0x900, v0
	v_cmp_gt_u32_e32 vcc, s33, v11
                                        ; implicit-def: $vgpr10
	s_and_saveexec_b64 s[4:5], vcc
	s_cbranch_execz .LBB1908_23
; %bb.22:
	v_lshlrev_b32_e32 v10, 2, v11
	global_load_dword v10, v10, s[58:59]
.LBB1908_23:
	s_or_b64 exec, exec, s[4:5]
	v_or_b32_e32 v12, 0xa00, v0
	v_cmp_gt_u32_e32 vcc, s33, v12
                                        ; implicit-def: $vgpr11
	s_and_saveexec_b64 s[4:5], vcc
	s_cbranch_execz .LBB1908_25
; %bb.24:
	v_lshlrev_b32_e32 v11, 2, v12
	global_load_dword v11, v11, s[58:59]
.LBB1908_25:
	s_or_b64 exec, exec, s[4:5]
	v_or_b32_e32 v13, 0xb00, v0
	v_cmp_gt_u32_e32 vcc, s33, v13
                                        ; implicit-def: $vgpr12
	s_and_saveexec_b64 s[4:5], vcc
	s_cbranch_execz .LBB1908_27
; %bb.26:
	v_lshlrev_b32_e32 v12, 2, v13
	global_load_dword v12, v12, s[58:59]
.LBB1908_27:
	s_or_b64 exec, exec, s[4:5]
	v_or_b32_e32 v14, 0xc00, v0
	v_cmp_gt_u32_e32 vcc, s33, v14
                                        ; implicit-def: $vgpr13
	s_and_saveexec_b64 s[4:5], vcc
	s_cbranch_execz .LBB1908_29
; %bb.28:
	v_lshlrev_b32_e32 v13, 2, v14
	global_load_dword v13, v13, s[58:59]
.LBB1908_29:
	s_or_b64 exec, exec, s[4:5]
	v_or_b32_e32 v15, 0xd00, v0
	v_cmp_gt_u32_e32 vcc, s33, v15
                                        ; implicit-def: $vgpr14
	s_and_saveexec_b64 s[4:5], vcc
	s_cbranch_execz .LBB1908_31
; %bb.30:
	v_lshlrev_b32_e32 v14, 2, v15
	global_load_dword v14, v14, s[58:59]
.LBB1908_31:
	s_or_b64 exec, exec, s[4:5]
	v_or_b32_e32 v16, 0xe00, v0
	v_cmp_gt_u32_e32 vcc, s33, v16
                                        ; implicit-def: $vgpr15
	s_and_saveexec_b64 s[4:5], vcc
	s_cbranch_execz .LBB1908_33
; %bb.32:
	v_lshlrev_b32_e32 v15, 2, v16
	global_load_dword v15, v15, s[58:59]
.LBB1908_33:
	s_or_b64 exec, exec, s[4:5]
	v_lshlrev_b32_e32 v16, 2, v0
	s_waitcnt vmcnt(0)
	ds_write2st64_b32 v16, v1, v2 offset1:4
	ds_write2st64_b32 v16, v3, v4 offset0:8 offset1:12
	ds_write2st64_b32 v16, v5, v6 offset0:16 offset1:20
	;; [unrolled: 1-line block ×6, first 2 shown]
	ds_write_b32 v16, v15 offset:14336
	v_mad_u32_u24 v3, v0, 56, v16
	s_waitcnt lgkmcnt(0)
	s_barrier
	ds_read2_b32 v[16:17], v3 offset1:1
	ds_read2_b32 v[14:15], v3 offset0:2 offset1:3
	ds_read2_b32 v[12:13], v3 offset0:4 offset1:5
	;; [unrolled: 1-line block ×6, first 2 shown]
	ds_read_b32 v1, v3 offset:56
	s_ashr_i32 s9, s8, 31
	s_movk_i32 s4, 0xffcc
	v_mad_i32_i24 v3, v0, s4, v3
	v_pk_mov_b32 v[18:19], s[8:9], s[8:9] op_sel:[0,1]
	v_mul_u32_u24_e32 v2, 15, v0
	s_waitcnt lgkmcnt(0)
	s_barrier
	ds_write2st64_b64 v3, v[18:19], v[18:19] offset1:4
	ds_write2st64_b64 v3, v[18:19], v[18:19] offset0:8 offset1:12
	ds_write2st64_b64 v3, v[18:19], v[18:19] offset0:16 offset1:20
	;; [unrolled: 1-line block ×6, first 2 shown]
	ds_write_b64 v3, v[18:19] offset:28672
	v_mov_b32_e32 v80, v16
	v_mov_b32_e32 v81, v14
	;; [unrolled: 1-line block ×21, first 2 shown]
	s_waitcnt lgkmcnt(0)
	s_barrier
.LBB1908_34:
	v_lshlrev_b32_e32 v2, 3, v2
	s_waitcnt lgkmcnt(0)
	v_lshlrev_b32_e32 v30, 3, v30
	v_lshlrev_b32_e32 v29, 3, v29
	v_lshlrev_b32_e32 v28, 3, v28
	ds_read_b64 v[42:43], v2
	ds_read_b64 v[40:41], v30
	ds_read_b64 v[38:39], v29
	ds_read_b64 v[34:35], v28
	v_lshlrev_b32_e32 v2, 3, v27
	v_lshlrev_b32_e32 v26, 3, v26
	v_lshlrev_b32_e32 v25, 3, v25
	v_lshlrev_b32_e32 v24, 3, v24
	ds_read_b64 v[36:37], v2
	ds_read_b64 v[32:33], v26
	ds_read_b64 v[30:31], v25
	ds_read_b64 v[26:27], v24
	v_lshlrev_b32_e32 v2, 3, v23
	;; [unrolled: 8-line block ×3, first 2 shown]
	v_lshlrev_b32_e32 v44, 3, v18
	v_lshlrev_b32_e32 v45, 3, v3
	ds_read_b64 v[18:19], v2
	ds_read_b64 v[2:3], v44
	ds_read_b64 v[44:45], v45
	s_cmp_eq_u64 s[0:1], 0
	s_cselect_b64 s[46:47], -1, 0
	s_cmp_lg_u64 s[0:1], 0
	s_mov_b64 s[60:61], 0
	s_cselect_b64 s[4:5], -1, 0
	s_and_b64 vcc, exec, s[2:3]
	s_waitcnt lgkmcnt(0)
	s_barrier
	s_cbranch_vccz .LBB1908_40
; %bb.35:
	s_and_b64 vcc, exec, s[4:5]
	s_cbranch_vccz .LBB1908_41
; %bb.36:
	s_add_u32 s2, s58, -4
	s_addc_u32 s3, s59, -1
	s_load_dword s2, s[2:3], 0x0
	v_lshlrev_b32_e32 v49, 2, v0
	v_cmp_ne_u32_e32 vcc, 0, v0
	ds_write_b32 v49, v1
	s_waitcnt lgkmcnt(0)
	v_mov_b32_e32 v47, s2
	s_barrier
	s_and_saveexec_b64 s[2:3], vcc
	s_cbranch_execz .LBB1908_38
; %bb.37:
	v_add_u32_e32 v47, -4, v49
	ds_read_b32 v47, v47
.LBB1908_38:
	s_or_b64 exec, exec, s[2:3]
	v_cmp_neq_f32_e32 vcc, v80, v17
	v_cndmask_b32_e64 v95, 0, 1, vcc
	v_cmp_neq_f32_e32 vcc, v81, v17
	v_cndmask_b32_e64 v94, 0, 1, vcc
	;; [unrolled: 2-line block ×14, first 2 shown]
	s_waitcnt lgkmcnt(0)
	v_cmp_neq_f32_e64 s[2:3], v47, v16
	s_mov_b64 s[60:61], -1
.LBB1908_39:
                                        ; implicit-def: $sgpr7
	s_branch .LBB1908_53
.LBB1908_40:
                                        ; implicit-def: $sgpr2_sgpr3
                                        ; implicit-def: $vgpr82
                                        ; implicit-def: $vgpr83
                                        ; implicit-def: $vgpr84
                                        ; implicit-def: $vgpr85
                                        ; implicit-def: $vgpr86
                                        ; implicit-def: $vgpr87
                                        ; implicit-def: $vgpr88
                                        ; implicit-def: $vgpr89
                                        ; implicit-def: $vgpr90
                                        ; implicit-def: $vgpr91
                                        ; implicit-def: $vgpr92
                                        ; implicit-def: $vgpr93
                                        ; implicit-def: $vgpr94
                                        ; implicit-def: $vgpr95
                                        ; implicit-def: $sgpr7
	s_cbranch_execnz .LBB1908_45
	s_branch .LBB1908_53
.LBB1908_41:
                                        ; implicit-def: $sgpr2_sgpr3
                                        ; implicit-def: $vgpr82
                                        ; implicit-def: $vgpr83
                                        ; implicit-def: $vgpr84
                                        ; implicit-def: $vgpr85
                                        ; implicit-def: $vgpr86
                                        ; implicit-def: $vgpr87
                                        ; implicit-def: $vgpr88
                                        ; implicit-def: $vgpr89
                                        ; implicit-def: $vgpr90
                                        ; implicit-def: $vgpr91
                                        ; implicit-def: $vgpr92
                                        ; implicit-def: $vgpr93
                                        ; implicit-def: $vgpr94
                                        ; implicit-def: $vgpr95
	s_cbranch_execz .LBB1908_39
; %bb.42:
	v_cmp_neq_f32_e32 vcc, v17, v80
	v_cndmask_b32_e64 v95, 0, 1, vcc
	v_cmp_neq_f32_e32 vcc, v17, v81
	v_cndmask_b32_e64 v94, 0, 1, vcc
	;; [unrolled: 2-line block ×13, first 2 shown]
	v_cmp_neq_f32_e32 vcc, v5, v1
	v_lshlrev_b32_e32 v47, 2, v0
	v_cndmask_b32_e64 v82, 0, 1, vcc
	v_cmp_ne_u32_e32 vcc, 0, v0
	ds_write_b32 v47, v1
	s_waitcnt lgkmcnt(0)
	s_barrier
	s_waitcnt lgkmcnt(0)
                                        ; implicit-def: $sgpr2_sgpr3
	s_and_saveexec_b64 s[8:9], vcc
	s_xor_b64 s[8:9], exec, s[8:9]
	s_cbranch_execz .LBB1908_44
; %bb.43:
	v_add_u32_e32 v47, -4, v47
	ds_read_b32 v47, v47
	s_or_b64 s[60:61], s[60:61], exec
	s_waitcnt lgkmcnt(0)
	v_cmp_neq_f32_e32 vcc, v47, v16
	s_and_b64 s[2:3], vcc, exec
.LBB1908_44:
	s_or_b64 exec, exec, s[8:9]
	s_mov_b32 s7, 1
	s_branch .LBB1908_53
.LBB1908_45:
	s_mul_hi_u32 s2, s0, 0xfffff100
	s_mulk_i32 s1, 0xf100
	s_sub_i32 s2, s2, s0
	s_add_i32 s2, s2, s1
	s_mulk_i32 s0, 0xf100
	s_add_u32 s48, s0, s48
	s_addc_u32 s49, s2, s49
	s_and_b64 vcc, exec, s[4:5]
	v_cmp_neq_f32_e64 s[28:29], v5, v1
	v_cmp_neq_f32_e64 s[26:27], v4, v5
	;; [unrolled: 1-line block ×14, first 2 shown]
	v_cmp_ne_u32_e64 s[0:1], 0, v0
	s_cbranch_vccz .LBB1908_50
; %bb.46:
	v_mov_b32_e32 v47, 0
	s_add_u32 s58, s58, -4
	v_cmp_gt_u64_e32 vcc, s[48:49], v[46:47]
	v_mov_b32_e32 v73, v47
	s_addc_u32 s59, s59, -1
	s_and_b64 s[28:29], vcc, s[28:29]
	v_cmp_gt_u64_e32 vcc, s[48:49], v[72:73]
	v_mov_b32_e32 v71, v47
	s_and_b64 s[26:27], vcc, s[26:27]
	v_cmp_gt_u64_e32 vcc, s[48:49], v[70:71]
	v_mov_b32_e32 v69, v47
	;; [unrolled: 3-line block ×8, first 2 shown]
	s_load_dword s7, s[58:59], 0x0
	s_and_b64 s[12:13], vcc, s[12:13]
	v_cmp_gt_u64_e32 vcc, s[48:49], v[56:57]
	v_mov_b32_e32 v55, v47
	s_and_b64 s[10:11], vcc, s[10:11]
	v_cmp_gt_u64_e32 vcc, s[48:49], v[54:55]
	v_mov_b32_e32 v53, v47
	;; [unrolled: 3-line block ×4, first 2 shown]
	s_and_b64 s[4:5], vcc, s[4:5]
	v_cmp_gt_u64_e32 vcc, s[48:49], v[48:49]
	v_lshlrev_b32_e32 v75, 2, v0
	v_mul_u32_u24_e32 v74, 15, v0
	s_and_b64 s[2:3], vcc, s[2:3]
	s_waitcnt lgkmcnt(0)
	v_mov_b32_e32 v49, s7
	ds_write_b32 v75, v1
	s_waitcnt lgkmcnt(0)
	s_barrier
	s_and_saveexec_b64 s[58:59], s[0:1]
	s_cbranch_execz .LBB1908_48
; %bb.47:
	v_add_u32_e32 v49, -4, v75
	ds_read_b32 v49, v49
.LBB1908_48:
	s_or_b64 exec, exec, s[58:59]
	v_mov_b32_e32 v75, v47
	v_cmp_gt_u64_e32 vcc, s[48:49], v[74:75]
	s_waitcnt lgkmcnt(0)
	v_cmp_neq_f32_e64 s[0:1], v49, v16
	v_cndmask_b32_e64 v82, 0, 1, s[28:29]
	v_cndmask_b32_e64 v83, 0, 1, s[26:27]
	;; [unrolled: 1-line block ×14, first 2 shown]
	s_and_b64 s[2:3], vcc, s[0:1]
	s_mov_b64 s[60:61], -1
.LBB1908_49:
                                        ; implicit-def: $sgpr7
	v_mov_b32_e32 v96, s7
	s_and_saveexec_b64 s[0:1], s[60:61]
	s_cbranch_execnz .LBB1908_54
	s_branch .LBB1908_55
.LBB1908_50:
                                        ; implicit-def: $sgpr2_sgpr3
                                        ; implicit-def: $vgpr82
                                        ; implicit-def: $vgpr83
                                        ; implicit-def: $vgpr84
                                        ; implicit-def: $vgpr85
                                        ; implicit-def: $vgpr86
                                        ; implicit-def: $vgpr87
                                        ; implicit-def: $vgpr88
                                        ; implicit-def: $vgpr89
                                        ; implicit-def: $vgpr90
                                        ; implicit-def: $vgpr91
                                        ; implicit-def: $vgpr92
                                        ; implicit-def: $vgpr93
                                        ; implicit-def: $vgpr94
                                        ; implicit-def: $vgpr95
	s_cbranch_execz .LBB1908_49
; %bb.51:
	v_mov_b32_e32 v47, 0
	v_cmp_gt_u64_e32 vcc, s[48:49], v[46:47]
	v_cmp_neq_f32_e64 s[0:1], v5, v1
	s_and_b64 s[0:1], vcc, s[0:1]
	v_mov_b32_e32 v73, v47
	v_cndmask_b32_e64 v82, 0, 1, s[0:1]
	v_cmp_gt_u64_e32 vcc, s[48:49], v[72:73]
	v_cmp_neq_f32_e64 s[0:1], v4, v5
	s_and_b64 s[0:1], vcc, s[0:1]
	v_mov_b32_e32 v71, v47
	v_cndmask_b32_e64 v83, 0, 1, s[0:1]
	;; [unrolled: 5-line block ×13, first 2 shown]
	v_cmp_gt_u64_e32 vcc, s[48:49], v[48:49]
	v_cmp_neq_f32_e64 s[0:1], v16, v17
	s_and_b64 s[0:1], vcc, s[0:1]
	v_lshlrev_b32_e32 v74, 2, v0
	s_mov_b32 s7, 1
	v_cndmask_b32_e64 v95, 0, 1, s[0:1]
	v_cmp_ne_u32_e32 vcc, 0, v0
	ds_write_b32 v74, v1
	s_waitcnt lgkmcnt(0)
	s_barrier
	s_waitcnt lgkmcnt(0)
                                        ; implicit-def: $sgpr2_sgpr3
	s_and_saveexec_b64 s[4:5], vcc
	s_cbranch_execz .LBB1908_202
; %bb.52:
	v_add_u32_e32 v46, -4, v74
	ds_read_b32 v48, v46
	v_mul_u32_u24_e32 v46, 15, v0
	v_cmp_gt_u64_e32 vcc, s[48:49], v[46:47]
	s_or_b64 s[60:61], s[60:61], exec
	s_waitcnt lgkmcnt(0)
	v_cmp_neq_f32_e64 s[0:1], v48, v16
	s_and_b64 s[0:1], vcc, s[0:1]
	s_and_b64 s[2:3], s[0:1], exec
	s_or_b64 exec, exec, s[4:5]
.LBB1908_53:
	v_mov_b32_e32 v96, s7
	s_and_saveexec_b64 s[0:1], s[60:61]
.LBB1908_54:
	v_cndmask_b32_e64 v96, 0, 1, s[2:3]
.LBB1908_55:
	s_or_b64 exec, exec, s[0:1]
	s_cmp_eq_u64 s[42:43], 0
	v_add3_u32 v46, v95, v96, v94
	s_cselect_b64 s[30:31], -1, 0
	s_cmp_lg_u32 s6, 0
	v_cmp_eq_u32_e64 s[24:25], 0, v95
	v_cmp_eq_u32_e64 s[22:23], 0, v94
	;; [unrolled: 1-line block ×3, first 2 shown]
	v_add3_u32 v99, v46, v93, v92
	v_cmp_eq_u32_e64 s[18:19], 0, v92
	v_cmp_eq_u32_e64 s[16:17], 0, v91
	;; [unrolled: 1-line block ×10, first 2 shown]
	v_cmp_eq_u32_e32 vcc, 0, v82
	v_mbcnt_lo_u32_b32 v98, -1, 0
	s_cbranch_scc0 .LBB1908_122
; %bb.56:
	v_cndmask_b32_e64 v47, 0, v42, s[24:25]
	v_cndmask_b32_e64 v46, 0, v43, s[24:25]
	v_add_co_u32_e64 v47, s[26:27], v47, v40
	v_addc_co_u32_e64 v46, s[26:27], v46, v41, s[26:27]
	v_cndmask_b32_e64 v47, 0, v47, s[22:23]
	v_cndmask_b32_e64 v46, 0, v46, s[22:23]
	v_add_co_u32_e64 v47, s[26:27], v47, v38
	v_addc_co_u32_e64 v46, s[26:27], v46, v39, s[26:27]
	;; [unrolled: 4-line block ×11, first 2 shown]
	v_cndmask_b32_e64 v47, 0, v47, s[2:3]
	v_add3_u32 v48, v99, v91, v90
	v_cndmask_b32_e64 v46, 0, v46, s[2:3]
	v_add_co_u32_e64 v47, s[26:27], v47, v18
	v_add3_u32 v48, v48, v89, v88
	v_addc_co_u32_e64 v46, s[26:27], v46, v19, s[26:27]
	v_cndmask_b32_e64 v47, 0, v47, s[0:1]
	v_add3_u32 v48, v48, v87, v86
	v_cndmask_b32_e64 v46, 0, v46, s[0:1]
	v_add_co_u32_e64 v47, s[26:27], v47, v2
	v_add3_u32 v48, v48, v85, v84
	v_addc_co_u32_e64 v46, s[26:27], v46, v3, s[26:27]
	v_cndmask_b32_e32 v47, 0, v47, vcc
	v_add3_u32 v50, v48, v83, v82
	v_cndmask_b32_e32 v46, 0, v46, vcc
	v_add_co_u32_e32 v48, vcc, v47, v44
	v_mbcnt_hi_u32_b32 v51, -1, v98
	v_addc_co_u32_e32 v49, vcc, v46, v45, vcc
	v_and_b32_e32 v46, 15, v51
	v_mov_b32_dpp v52, v50 row_shr:1 row_mask:0xf bank_mask:0xf
	v_mov_b32_dpp v47, v48 row_shr:1 row_mask:0xf bank_mask:0xf
	;; [unrolled: 1-line block ×3, first 2 shown]
	v_cmp_ne_u32_e32 vcc, 0, v46
	s_and_saveexec_b64 s[26:27], vcc
; %bb.57:
	v_cmp_eq_u32_e32 vcc, 0, v50
	v_cndmask_b32_e32 v47, 0, v47, vcc
	v_add_u32_e32 v52, v52, v50
	v_cndmask_b32_e32 v50, 0, v53, vcc
	v_add_co_u32_e32 v48, vcc, v47, v48
	v_addc_co_u32_e32 v49, vcc, v50, v49, vcc
	v_mov_b32_e32 v50, v52
; %bb.58:
	s_or_b64 exec, exec, s[26:27]
	s_nop 0
	v_mov_b32_dpp v52, v50 row_shr:2 row_mask:0xf bank_mask:0xf
	v_mov_b32_dpp v47, v48 row_shr:2 row_mask:0xf bank_mask:0xf
	v_mov_b32_dpp v53, v49 row_shr:2 row_mask:0xf bank_mask:0xf
	v_cmp_lt_u32_e32 vcc, 1, v46
	s_and_saveexec_b64 s[26:27], vcc
; %bb.59:
	v_cmp_eq_u32_e32 vcc, 0, v50
	v_cndmask_b32_e32 v47, 0, v47, vcc
	v_add_u32_e32 v52, v52, v50
	v_cndmask_b32_e32 v50, 0, v53, vcc
	v_add_co_u32_e32 v48, vcc, v47, v48
	v_addc_co_u32_e32 v49, vcc, v50, v49, vcc
	v_mov_b32_e32 v50, v52
; %bb.60:
	s_or_b64 exec, exec, s[26:27]
	s_nop 0
	v_mov_b32_dpp v52, v50 row_shr:4 row_mask:0xf bank_mask:0xf
	v_mov_b32_dpp v47, v48 row_shr:4 row_mask:0xf bank_mask:0xf
	v_mov_b32_dpp v53, v49 row_shr:4 row_mask:0xf bank_mask:0xf
	v_cmp_lt_u32_e32 vcc, 3, v46
	;; [unrolled: 16-line block ×3, first 2 shown]
	s_and_saveexec_b64 s[26:27], vcc
; %bb.63:
	v_cmp_eq_u32_e32 vcc, 0, v50
	v_cndmask_b32_e32 v47, 0, v47, vcc
	v_add_u32_e32 v46, v52, v50
	v_cndmask_b32_e32 v50, 0, v53, vcc
	v_add_co_u32_e32 v48, vcc, v47, v48
	v_addc_co_u32_e32 v49, vcc, v50, v49, vcc
	v_mov_b32_e32 v50, v46
; %bb.64:
	s_or_b64 exec, exec, s[26:27]
	v_and_b32_e32 v53, 16, v51
	v_mov_b32_dpp v47, v50 row_bcast:15 row_mask:0xf bank_mask:0xf
	v_mov_b32_dpp v46, v48 row_bcast:15 row_mask:0xf bank_mask:0xf
	;; [unrolled: 1-line block ×3, first 2 shown]
	v_cmp_ne_u32_e32 vcc, 0, v53
	s_and_saveexec_b64 s[26:27], vcc
; %bb.65:
	v_cmp_eq_u32_e32 vcc, 0, v50
	v_cndmask_b32_e32 v46, 0, v46, vcc
	v_add_u32_e32 v47, v47, v50
	v_cndmask_b32_e32 v50, 0, v52, vcc
	v_add_co_u32_e32 v48, vcc, v46, v48
	v_addc_co_u32_e32 v49, vcc, v50, v49, vcc
	v_mov_b32_e32 v50, v47
; %bb.66:
	s_or_b64 exec, exec, s[26:27]
	s_nop 0
	v_mov_b32_dpp v47, v50 row_bcast:31 row_mask:0xf bank_mask:0xf
	v_mov_b32_dpp v46, v48 row_bcast:31 row_mask:0xf bank_mask:0xf
	;; [unrolled: 1-line block ×3, first 2 shown]
	v_cmp_lt_u32_e32 vcc, 31, v51
	s_and_saveexec_b64 s[26:27], vcc
; %bb.67:
	v_cmp_eq_u32_e32 vcc, 0, v50
	v_cndmask_b32_e32 v46, 0, v46, vcc
	v_add_u32_e32 v47, v47, v50
	v_cndmask_b32_e32 v50, 0, v52, vcc
	v_add_co_u32_e32 v48, vcc, v46, v48
	v_addc_co_u32_e32 v49, vcc, v50, v49, vcc
	v_mov_b32_e32 v50, v47
; %bb.68:
	s_or_b64 exec, exec, s[26:27]
	v_lshrrev_b32_e32 v46, 6, v0
	v_or_b32_e32 v47, 63, v0
	v_cmp_eq_u32_e32 vcc, v47, v0
	v_lshlrev_b32_e32 v52, 4, v46
	s_and_saveexec_b64 s[26:27], vcc
	s_cbranch_execz .LBB1908_70
; %bb.69:
	ds_write_b32 v52, v50 offset:2080
	ds_write_b64 v52, v[48:49] offset:2088
.LBB1908_70:
	s_or_b64 exec, exec, s[26:27]
	v_cmp_gt_u32_e32 vcc, 4, v0
	s_waitcnt lgkmcnt(0)
	s_barrier
	s_and_saveexec_b64 s[26:27], vcc
	s_cbranch_execz .LBB1908_76
; %bb.71:
	v_lshlrev_b32_e32 v53, 4, v0
	ds_read_b32 v54, v53 offset:2080
	ds_read_b64 v[46:47], v53 offset:2088
	v_and_b32_e32 v55, 3, v51
	v_cmp_ne_u32_e32 vcc, 0, v55
	s_waitcnt lgkmcnt(1)
	v_mov_b32_dpp v57, v54 row_shr:1 row_mask:0xf bank_mask:0xf
	s_waitcnt lgkmcnt(0)
	v_mov_b32_dpp v56, v46 row_shr:1 row_mask:0xf bank_mask:0xf
	v_mov_b32_dpp v58, v47 row_shr:1 row_mask:0xf bank_mask:0xf
	s_and_saveexec_b64 s[42:43], vcc
; %bb.72:
	v_cmp_eq_u32_e32 vcc, 0, v54
	v_cndmask_b32_e32 v56, 0, v56, vcc
	v_add_u32_e32 v57, v57, v54
	v_cndmask_b32_e32 v54, 0, v58, vcc
	v_add_co_u32_e32 v46, vcc, v56, v46
	v_addc_co_u32_e32 v47, vcc, v54, v47, vcc
	v_mov_b32_e32 v54, v57
; %bb.73:
	s_or_b64 exec, exec, s[42:43]
	s_nop 0
	v_mov_b32_dpp v57, v54 row_shr:2 row_mask:0xf bank_mask:0xf
	v_mov_b32_dpp v56, v46 row_shr:2 row_mask:0xf bank_mask:0xf
	;; [unrolled: 1-line block ×3, first 2 shown]
	v_cmp_lt_u32_e32 vcc, 1, v55
	s_and_saveexec_b64 s[42:43], vcc
; %bb.74:
	v_cmp_eq_u32_e32 vcc, 0, v54
	v_cndmask_b32_e32 v56, 0, v56, vcc
	v_add_u32_e32 v55, v57, v54
	v_cndmask_b32_e32 v54, 0, v58, vcc
	v_add_co_u32_e32 v46, vcc, v56, v46
	v_addc_co_u32_e32 v47, vcc, v54, v47, vcc
	v_mov_b32_e32 v54, v55
; %bb.75:
	s_or_b64 exec, exec, s[42:43]
	ds_write_b32 v53, v54 offset:2080
	ds_write_b64 v53, v[46:47] offset:2088
.LBB1908_76:
	s_or_b64 exec, exec, s[26:27]
	v_cmp_gt_u32_e32 vcc, 64, v0
	v_cmp_lt_u32_e64 s[26:27], 63, v0
	v_pk_mov_b32 v[46:47], 0, 0
	v_mov_b32_e32 v58, 0
	s_waitcnt lgkmcnt(0)
	s_barrier
	s_and_saveexec_b64 s[42:43], s[26:27]
	s_cbranch_execz .LBB1908_78
; %bb.77:
	ds_read_b32 v58, v52 offset:2064
	ds_read_b64 v[46:47], v52 offset:2072
	v_cmp_eq_u32_e64 s[26:27], 0, v50
	s_waitcnt lgkmcnt(1)
	v_add_u32_e32 v52, v58, v50
	s_waitcnt lgkmcnt(0)
	v_cndmask_b32_e64 v53, 0, v46, s[26:27]
	v_cndmask_b32_e64 v50, 0, v47, s[26:27]
	v_add_co_u32_e64 v48, s[26:27], v53, v48
	v_addc_co_u32_e64 v49, s[26:27], v50, v49, s[26:27]
	v_mov_b32_e32 v50, v52
.LBB1908_78:
	s_or_b64 exec, exec, s[42:43]
	v_add_u32_e32 v52, -1, v51
	v_and_b32_e32 v53, 64, v51
	v_cmp_lt_i32_e64 s[26:27], v52, v53
	v_cndmask_b32_e64 v52, v52, v51, s[26:27]
	v_lshlrev_b32_e32 v52, 2, v52
	ds_bpermute_b32 v59, v52, v50
	ds_bpermute_b32 v60, v52, v48
	;; [unrolled: 1-line block ×3, first 2 shown]
	v_cmp_eq_u32_e64 s[26:27], 0, v51
	s_and_saveexec_b64 s[42:43], vcc
	s_cbranch_execz .LBB1908_121
; %bb.79:
	v_mov_b32_e32 v53, 0
	ds_read_b32 v62, v53 offset:2128
	ds_read_b64 v[48:49], v53 offset:2136
	s_and_saveexec_b64 s[48:49], s[26:27]
	s_cbranch_execz .LBB1908_81
; %bb.80:
	s_add_i32 s58, s6, 64
	s_mov_b32 s59, 0
	s_lshl_b64 s[60:61], s[58:59], 4
	s_add_u32 s60, s36, s60
	s_addc_u32 s61, s37, s61
	v_mov_b32_e32 v50, s58
	v_mov_b32_e32 v52, 1
	s_waitcnt lgkmcnt(1)
	global_store_dword v53, v62, s[60:61]
	s_waitcnt lgkmcnt(0)
	global_store_dwordx2 v53, v[48:49], s[60:61] offset:8
	s_waitcnt vmcnt(0)
	buffer_wbinvl1_vol
	global_store_byte v50, v52, s[40:41]
.LBB1908_81:
	s_or_b64 exec, exec, s[48:49]
	v_xad_u32 v50, v51, -1, s6
	v_add_u32_e32 v52, 64, v50
	global_load_ubyte v63, v52, s[40:41] glc
	s_waitcnt vmcnt(0)
	v_cmp_eq_u16_e32 vcc, 0, v63
	s_and_saveexec_b64 s[48:49], vcc
	s_cbranch_execz .LBB1908_85
; %bb.82:
	v_mov_b32_e32 v55, s41
	v_add_co_u32_e32 v54, vcc, s40, v52
	v_addc_co_u32_e32 v55, vcc, 0, v55, vcc
	s_mov_b64 s[58:59], 0
.LBB1908_83:                            ; =>This Inner Loop Header: Depth=1
	global_load_ubyte v63, v[54:55], off glc
	s_waitcnt vmcnt(0)
	v_cmp_ne_u16_e32 vcc, 0, v63
	s_or_b64 s[58:59], vcc, s[58:59]
	s_andn2_b64 exec, exec, s[58:59]
	s_cbranch_execnz .LBB1908_83
; %bb.84:
	s_or_b64 exec, exec, s[58:59]
.LBB1908_85:
	s_or_b64 exec, exec, s[48:49]
	v_mov_b32_e32 v54, s39
	v_mov_b32_e32 v55, s37
	v_cmp_eq_u16_e32 vcc, 1, v63
	v_cndmask_b32_e32 v54, v54, v55, vcc
	v_mov_b32_e32 v55, s38
	v_mov_b32_e32 v56, s36
	v_cndmask_b32_e32 v55, v55, v56, vcc
	v_lshlrev_b64 v[52:53], 4, v[52:53]
	v_add_co_u32_e32 v52, vcc, v55, v52
	v_addc_co_u32_e32 v53, vcc, v54, v53, vcc
	s_waitcnt lgkmcnt(0)
	buffer_wbinvl1_vol
	global_load_dword v78, v[52:53], off
	global_load_dwordx2 v[56:57], v[52:53], off offset:8
	v_cmp_eq_u16_e32 vcc, 2, v63
	v_lshlrev_b64 v[52:53], v51, -1
	v_and_b32_e32 v64, 63, v51
	v_and_b32_e32 v54, vcc_hi, v53
	v_and_b32_e32 v68, vcc_lo, v52
	v_cmp_ne_u32_e32 vcc, 63, v64
	v_addc_co_u32_e32 v55, vcc, 0, v51, vcc
	v_lshlrev_b32_e32 v65, 2, v55
	v_or_b32_e32 v54, 0x80000000, v54
	v_ffbl_b32_e32 v54, v54
	v_add_u32_e32 v54, 32, v54
	v_ffbl_b32_e32 v68, v68
	v_min_u32_e32 v54, v68, v54
	v_cmp_lt_u32_e32 vcc, v64, v54
	s_waitcnt vmcnt(1)
	ds_bpermute_b32 v66, v65, v78
	s_waitcnt vmcnt(0)
	ds_bpermute_b32 v55, v65, v56
	ds_bpermute_b32 v67, v65, v57
	s_and_saveexec_b64 s[48:49], vcc
	s_cbranch_execz .LBB1908_87
; %bb.86:
	v_cmp_eq_u32_e32 vcc, 0, v78
	s_waitcnt lgkmcnt(1)
	v_cndmask_b32_e32 v55, 0, v55, vcc
	v_add_u32_e32 v66, v66, v78
	s_waitcnt lgkmcnt(0)
	v_cndmask_b32_e32 v67, 0, v67, vcc
	v_add_co_u32_e32 v56, vcc, v55, v56
	v_addc_co_u32_e32 v57, vcc, v67, v57, vcc
	v_mov_b32_e32 v78, v66
.LBB1908_87:
	s_or_b64 exec, exec, s[48:49]
	v_cmp_gt_u32_e32 vcc, 62, v64
	s_waitcnt lgkmcnt(1)
	v_cndmask_b32_e64 v55, 0, 1, vcc
	v_lshlrev_b32_e32 v55, 1, v55
	v_add_lshl_u32 v66, v55, v51, 2
	ds_bpermute_b32 v68, v66, v78
	ds_bpermute_b32 v55, v66, v56
	ds_bpermute_b32 v69, v66, v57
	s_waitcnt lgkmcnt(3)
	v_add_u32_e32 v67, 2, v64
	v_cmp_le_u32_e32 vcc, v67, v54
	s_and_saveexec_b64 s[48:49], vcc
	s_cbranch_execz .LBB1908_89
; %bb.88:
	v_cmp_eq_u32_e32 vcc, 0, v78
	s_waitcnt lgkmcnt(1)
	v_cndmask_b32_e32 v55, 0, v55, vcc
	v_add_u32_e32 v68, v68, v78
	s_waitcnt lgkmcnt(0)
	v_cndmask_b32_e32 v69, 0, v69, vcc
	v_add_co_u32_e32 v56, vcc, v55, v56
	v_addc_co_u32_e32 v57, vcc, v69, v57, vcc
	v_mov_b32_e32 v78, v68
.LBB1908_89:
	s_or_b64 exec, exec, s[48:49]
	v_cmp_gt_u32_e32 vcc, 60, v64
	s_waitcnt lgkmcnt(1)
	v_cndmask_b32_e64 v55, 0, 1, vcc
	v_lshlrev_b32_e32 v55, 2, v55
	v_add_lshl_u32 v68, v55, v51, 2
	ds_bpermute_b32 v70, v68, v78
	ds_bpermute_b32 v55, v68, v56
	ds_bpermute_b32 v71, v68, v57
	s_waitcnt lgkmcnt(3)
	v_add_u32_e32 v69, 4, v64
	v_cmp_le_u32_e32 vcc, v69, v54
	;; [unrolled: 25-line block ×4, first 2 shown]
	s_and_saveexec_b64 s[48:49], vcc
	s_cbranch_execz .LBB1908_95
; %bb.94:
	v_cmp_eq_u32_e32 vcc, 0, v78
	s_waitcnt lgkmcnt(1)
	v_cndmask_b32_e32 v55, 0, v55, vcc
	v_add_u32_e32 v74, v74, v78
	s_waitcnt lgkmcnt(0)
	v_cndmask_b32_e32 v75, 0, v75, vcc
	v_add_co_u32_e32 v56, vcc, v55, v56
	v_addc_co_u32_e32 v57, vcc, v75, v57, vcc
	v_mov_b32_e32 v78, v74
.LBB1908_95:
	s_or_b64 exec, exec, s[48:49]
	v_cmp_gt_u32_e32 vcc, 32, v64
	s_waitcnt lgkmcnt(1)
	v_cndmask_b32_e64 v55, 0, 1, vcc
	v_lshlrev_b32_e32 v55, 5, v55
	v_add_lshl_u32 v74, v55, v51, 2
	ds_bpermute_b32 v55, v74, v78
	ds_bpermute_b32 v51, v74, v56
	s_waitcnt lgkmcnt(2)
	ds_bpermute_b32 v75, v74, v57
	v_add_u32_e32 v76, 32, v64
	v_cmp_le_u32_e32 vcc, v76, v54
	s_and_saveexec_b64 s[48:49], vcc
	s_cbranch_execz .LBB1908_97
; %bb.96:
	v_cmp_eq_u32_e32 vcc, 0, v78
	s_waitcnt lgkmcnt(1)
	v_cndmask_b32_e32 v51, 0, v51, vcc
	v_add_u32_e32 v54, v55, v78
	s_waitcnt lgkmcnt(0)
	v_cndmask_b32_e32 v55, 0, v75, vcc
	v_add_co_u32_e32 v56, vcc, v51, v56
	v_addc_co_u32_e32 v57, vcc, v55, v57, vcc
	v_mov_b32_e32 v78, v54
.LBB1908_97:
	s_or_b64 exec, exec, s[48:49]
	s_waitcnt lgkmcnt(1)
	v_mov_b32_e32 v51, 0
	v_mov_b32_e32 v77, 2
	s_branch .LBB1908_99
.LBB1908_98:                            ;   in Loop: Header=BB1908_99 Depth=1
	s_or_b64 exec, exec, s[48:49]
	v_cmp_eq_u32_e32 vcc, 0, v75
	v_cndmask_b32_e32 v56, 0, v56, vcc
	v_cndmask_b32_e32 v57, 0, v57, vcc
	v_add_co_u32_e32 v56, vcc, v56, v54
	v_subrev_u32_e32 v50, 64, v50
	v_add_u32_e32 v78, v79, v75
	v_addc_co_u32_e32 v57, vcc, v57, v55, vcc
.LBB1908_99:                            ; =>This Loop Header: Depth=1
                                        ;     Child Loop BB1908_102 Depth 2
	v_cmp_ne_u16_sdwa s[48:49], v63, v77 src0_sel:BYTE_0 src1_sel:DWORD
	v_pk_mov_b32 v[54:55], v[56:57], v[56:57] op_sel:[0,1]
	v_cndmask_b32_e64 v56, 0, 1, s[48:49]
	;;#ASMSTART
	;;#ASMEND
	v_cmp_ne_u32_e32 vcc, 0, v56
	s_cmp_lg_u64 vcc, exec
	s_waitcnt lgkmcnt(0)
	v_mov_b32_e32 v75, v78
	s_cbranch_scc1 .LBB1908_116
; %bb.100:                              ;   in Loop: Header=BB1908_99 Depth=1
	global_load_ubyte v63, v50, s[40:41] glc
	s_waitcnt vmcnt(0)
	v_cmp_eq_u16_e32 vcc, 0, v63
	s_and_saveexec_b64 s[48:49], vcc
	s_cbranch_execz .LBB1908_104
; %bb.101:                              ;   in Loop: Header=BB1908_99 Depth=1
	v_mov_b32_e32 v57, s41
	v_add_co_u32_e32 v56, vcc, s40, v50
	v_addc_co_u32_e32 v57, vcc, 0, v57, vcc
	s_mov_b64 s[58:59], 0
.LBB1908_102:                           ;   Parent Loop BB1908_99 Depth=1
                                        ; =>  This Inner Loop Header: Depth=2
	global_load_ubyte v63, v[56:57], off glc
	s_waitcnt vmcnt(0)
	v_cmp_ne_u16_e32 vcc, 0, v63
	s_or_b64 s[58:59], vcc, s[58:59]
	s_andn2_b64 exec, exec, s[58:59]
	s_cbranch_execnz .LBB1908_102
; %bb.103:                              ;   in Loop: Header=BB1908_99 Depth=1
	s_or_b64 exec, exec, s[58:59]
.LBB1908_104:                           ;   in Loop: Header=BB1908_99 Depth=1
	s_or_b64 exec, exec, s[48:49]
	v_mov_b32_e32 v56, s39
	v_mov_b32_e32 v57, s37
	v_cmp_eq_u16_e32 vcc, 1, v63
	v_cndmask_b32_e32 v78, v56, v57, vcc
	v_mov_b32_e32 v56, s38
	v_mov_b32_e32 v57, s36
	v_cndmask_b32_e32 v79, v56, v57, vcc
	v_lshlrev_b64 v[56:57], 4, v[50:51]
	v_add_co_u32_e32 v56, vcc, v79, v56
	v_addc_co_u32_e32 v57, vcc, v78, v57, vcc
	buffer_wbinvl1_vol
	global_load_dword v79, v[56:57], off
	s_nop 0
	global_load_dwordx2 v[56:57], v[56:57], off offset:8
	v_cmp_eq_u16_e32 vcc, 2, v63
	v_and_b32_e32 v78, vcc_hi, v53
	v_or_b32_e32 v78, 0x80000000, v78
	v_and_b32_e32 v100, vcc_lo, v52
	v_ffbl_b32_e32 v78, v78
	v_add_u32_e32 v78, 32, v78
	v_ffbl_b32_e32 v100, v100
	v_min_u32_e32 v78, v100, v78
	v_cmp_lt_u32_e32 vcc, v64, v78
	s_waitcnt vmcnt(1)
	ds_bpermute_b32 v81, v65, v79
	s_waitcnt vmcnt(0)
	ds_bpermute_b32 v80, v65, v56
	ds_bpermute_b32 v97, v65, v57
	s_and_saveexec_b64 s[48:49], vcc
	s_cbranch_execz .LBB1908_106
; %bb.105:                              ;   in Loop: Header=BB1908_99 Depth=1
	v_cmp_eq_u32_e32 vcc, 0, v79
	s_waitcnt lgkmcnt(1)
	v_cndmask_b32_e32 v80, 0, v80, vcc
	v_add_u32_e32 v81, v81, v79
	s_waitcnt lgkmcnt(0)
	v_cndmask_b32_e32 v79, 0, v97, vcc
	v_add_co_u32_e32 v56, vcc, v80, v56
	v_addc_co_u32_e32 v57, vcc, v79, v57, vcc
	v_mov_b32_e32 v79, v81
.LBB1908_106:                           ;   in Loop: Header=BB1908_99 Depth=1
	s_or_b64 exec, exec, s[48:49]
	s_waitcnt lgkmcnt(2)
	ds_bpermute_b32 v81, v66, v79
	s_waitcnt lgkmcnt(2)
	ds_bpermute_b32 v80, v66, v56
	s_waitcnt lgkmcnt(2)
	ds_bpermute_b32 v97, v66, v57
	v_cmp_le_u32_e32 vcc, v67, v78
	s_and_saveexec_b64 s[48:49], vcc
	s_cbranch_execz .LBB1908_108
; %bb.107:                              ;   in Loop: Header=BB1908_99 Depth=1
	v_cmp_eq_u32_e32 vcc, 0, v79
	s_waitcnt lgkmcnt(1)
	v_cndmask_b32_e32 v80, 0, v80, vcc
	v_add_u32_e32 v81, v81, v79
	s_waitcnt lgkmcnt(0)
	v_cndmask_b32_e32 v79, 0, v97, vcc
	v_add_co_u32_e32 v56, vcc, v80, v56
	v_addc_co_u32_e32 v57, vcc, v79, v57, vcc
	v_mov_b32_e32 v79, v81
.LBB1908_108:                           ;   in Loop: Header=BB1908_99 Depth=1
	s_or_b64 exec, exec, s[48:49]
	s_waitcnt lgkmcnt(2)
	ds_bpermute_b32 v81, v68, v79
	s_waitcnt lgkmcnt(2)
	ds_bpermute_b32 v80, v68, v56
	s_waitcnt lgkmcnt(2)
	ds_bpermute_b32 v97, v68, v57
	v_cmp_le_u32_e32 vcc, v69, v78
	;; [unrolled: 21-line block ×5, first 2 shown]
	s_and_saveexec_b64 s[48:49], vcc
	s_cbranch_execz .LBB1908_98
; %bb.115:                              ;   in Loop: Header=BB1908_99 Depth=1
	v_cmp_eq_u32_e32 vcc, 0, v79
	s_waitcnt lgkmcnt(1)
	v_cndmask_b32_e32 v80, 0, v80, vcc
	v_add_u32_e32 v78, v81, v79
	s_waitcnt lgkmcnt(0)
	v_cndmask_b32_e32 v79, 0, v97, vcc
	v_add_co_u32_e32 v56, vcc, v80, v56
	v_addc_co_u32_e32 v57, vcc, v79, v57, vcc
	v_mov_b32_e32 v79, v78
	s_branch .LBB1908_98
.LBB1908_116:                           ;   in Loop: Header=BB1908_99 Depth=1
                                        ; implicit-def: $vgpr56_vgpr57
                                        ; implicit-def: $vgpr78
                                        ; implicit-def: $vgpr63
	s_cbranch_execz .LBB1908_99
; %bb.117:
	s_and_saveexec_b64 s[36:37], s[26:27]
	s_cbranch_execz .LBB1908_119
; %bb.118:
	s_mov_b32 s7, 0
	v_cmp_eq_u32_e32 vcc, 0, v62
	s_add_i32 s6, s6, 64
	v_cndmask_b32_e32 v50, 0, v54, vcc
	s_lshl_b64 s[48:49], s[6:7], 4
	v_cndmask_b32_e32 v51, 0, v55, vcc
	v_add_co_u32_e32 v50, vcc, v50, v48
	s_add_u32 s48, s38, s48
	v_add_u32_e32 v52, v75, v62
	v_addc_co_u32_e32 v51, vcc, v51, v49, vcc
	s_addc_u32 s49, s39, s49
	v_mov_b32_e32 v53, 0
	global_store_dword v53, v52, s[48:49]
	global_store_dwordx2 v53, v[50:51], s[48:49] offset:8
	v_mov_b32_e32 v50, s6
	v_mov_b32_e32 v51, 2
	s_waitcnt vmcnt(0) lgkmcnt(0)
	buffer_wbinvl1_vol
	global_store_byte v50, v51, s[40:41]
	ds_write_b32 v53, v62 offset:2048
	ds_write_b64 v53, v[48:49] offset:2056
	ds_write_b32 v53, v75 offset:2064
	ds_write_b64 v53, v[54:55] offset:2072
.LBB1908_119:
	s_or_b64 exec, exec, s[36:37]
	v_cmp_eq_u32_e32 vcc, 0, v0
	s_and_b64 exec, exec, vcc
	s_cbranch_execz .LBB1908_121
; %bb.120:
	v_mov_b32_e32 v48, 0
	ds_write_b32 v48, v75 offset:2128
	ds_write_b64 v48, v[54:55] offset:2136
.LBB1908_121:
	s_or_b64 exec, exec, s[42:43]
	v_mov_b32_e32 v51, 0
	s_waitcnt lgkmcnt(0)
	s_barrier
	ds_read_b32 v50, v51 offset:2128
	ds_read_b64 v[48:49], v51 offset:2136
	v_cndmask_b32_e64 v52, v59, v58, s[26:27]
	v_cmp_eq_u32_e32 vcc, 0, v52
	v_cndmask_b32_e64 v46, v60, v46, s[26:27]
	v_cndmask_b32_e64 v47, v61, v47, s[26:27]
	s_waitcnt lgkmcnt(0)
	v_cndmask_b32_e32 v54, 0, v48, vcc
	v_cndmask_b32_e32 v53, 0, v49, vcc
	v_add_co_u32_e32 v46, vcc, v54, v46
	v_addc_co_u32_e32 v47, vcc, v53, v47, vcc
	v_cmp_eq_u32_e32 vcc, 0, v0
	v_cndmask_b32_e64 v52, v52, 0, vcc
	v_cndmask_b32_e32 v77, v47, v49, vcc
	v_cndmask_b32_e32 v76, v46, v48, vcc
	v_cmp_eq_u32_e32 vcc, 0, v96
	v_cndmask_b32_e32 v47, 0, v76, vcc
	v_add_u32_e32 v97, v50, v52
	v_cndmask_b32_e32 v46, 0, v77, vcc
	v_add_co_u32_e32 v52, vcc, v47, v42
	v_addc_co_u32_e32 v53, vcc, v46, v43, vcc
	v_cndmask_b32_e64 v47, 0, v52, s[24:25]
	v_cndmask_b32_e64 v46, 0, v53, s[24:25]
	v_add_co_u32_e32 v54, vcc, v47, v40
	v_addc_co_u32_e32 v55, vcc, v46, v41, vcc
	v_cndmask_b32_e64 v47, 0, v54, s[22:23]
	v_cndmask_b32_e64 v46, 0, v55, s[22:23]
	;; [unrolled: 4-line block ×11, first 2 shown]
	v_add_co_u32_e32 v74, vcc, v47, v20
	v_addc_co_u32_e32 v75, vcc, v46, v21, vcc
	s_barrier
	ds_read_b32 v46, v51 offset:2048
	ds_read_b64 v[48:49], v51 offset:2056
	ds_read_b32 v50, v51 offset:2064
	ds_read_b64 v[100:101], v51 offset:2072
	v_cndmask_b32_e64 v78, 0, v74, s[2:3]
	v_cndmask_b32_e64 v47, 0, v75, s[2:3]
	v_add_co_u32_e32 v78, vcc, v78, v18
	v_addc_co_u32_e32 v79, vcc, v47, v19, vcc
	s_waitcnt lgkmcnt(3)
	v_cmp_eq_u32_e32 vcc, 0, v46
	s_waitcnt lgkmcnt(0)
	v_cndmask_b32_e32 v51, 0, v100, vcc
	v_cndmask_b32_e32 v47, 0, v101, vcc
	v_add_co_u32_e32 v48, vcc, v51, v48
	v_cndmask_b32_e64 v81, 0, v79, s[0:1]
	v_cndmask_b32_e64 v80, 0, v78, s[0:1]
	v_addc_co_u32_e32 v49, vcc, v47, v49, vcc
	s_branch .LBB1908_150
.LBB1908_122:
                                        ; implicit-def: $vgpr46
                                        ; implicit-def: $vgpr48_vgpr49
                                        ; implicit-def: $vgpr50
                                        ; implicit-def: $vgpr76_vgpr77
                                        ; implicit-def: $vgpr52_vgpr53
                                        ; implicit-def: $vgpr54_vgpr55
                                        ; implicit-def: $vgpr56_vgpr57
                                        ; implicit-def: $vgpr58_vgpr59
                                        ; implicit-def: $vgpr60_vgpr61
                                        ; implicit-def: $vgpr62_vgpr63
                                        ; implicit-def: $vgpr64_vgpr65
                                        ; implicit-def: $vgpr66_vgpr67
                                        ; implicit-def: $vgpr68_vgpr69
                                        ; implicit-def: $vgpr70_vgpr71
                                        ; implicit-def: $vgpr72_vgpr73
                                        ; implicit-def: $vgpr74_vgpr75
                                        ; implicit-def: $vgpr78_vgpr79
                                        ; implicit-def: $vgpr80_vgpr81
                                        ; implicit-def: $vgpr97
	s_cbranch_execz .LBB1908_150
; %bb.123:
	s_and_b64 s[0:1], s[30:31], exec
	s_cselect_b32 s1, 0, s57
	s_cselect_b32 s0, 0, s56
	s_cmp_eq_u64 s[0:1], 0
	v_pk_mov_b32 v[50:51], v[42:43], v[42:43] op_sel:[0,1]
	s_cbranch_scc1 .LBB1908_125
; %bb.124:
	v_mov_b32_e32 v46, 0
	global_load_dwordx2 v[50:51], v46, s[0:1]
.LBB1908_125:
	v_cmp_eq_u32_e64 s[22:23], 0, v95
	v_cndmask_b32_e64 v47, 0, v42, s[22:23]
	v_cndmask_b32_e64 v46, 0, v43, s[22:23]
	v_add_co_u32_e32 v47, vcc, v47, v40
	v_cmp_eq_u32_e64 s[20:21], 0, v94
	v_addc_co_u32_e32 v46, vcc, v46, v41, vcc
	v_cndmask_b32_e64 v47, 0, v47, s[20:21]
	v_cndmask_b32_e64 v46, 0, v46, s[20:21]
	v_add_co_u32_e32 v47, vcc, v47, v38
	v_cmp_eq_u32_e64 s[18:19], 0, v93
	v_addc_co_u32_e32 v46, vcc, v46, v39, vcc
	;; [unrolled: 5-line block ×11, first 2 shown]
	v_cndmask_b32_e64 v47, 0, v47, s[2:3]
	v_cndmask_b32_e64 v46, 0, v46, s[2:3]
	v_add_co_u32_e32 v47, vcc, v47, v18
	v_addc_co_u32_e32 v46, vcc, v46, v19, vcc
	v_cmp_eq_u32_e32 vcc, 0, v83
	v_cndmask_b32_e32 v47, 0, v47, vcc
	v_add3_u32 v48, v99, v91, v90
	v_cndmask_b32_e32 v46, 0, v46, vcc
	v_add_co_u32_e64 v47, s[24:25], v47, v2
	v_add3_u32 v48, v48, v89, v88
	v_addc_co_u32_e64 v46, s[24:25], v46, v3, s[24:25]
	v_add3_u32 v48, v48, v87, v86
	v_cmp_eq_u32_e64 s[24:25], 0, v82
	v_add3_u32 v48, v48, v85, v84
	v_cndmask_b32_e64 v47, 0, v47, s[24:25]
	v_add3_u32 v49, v48, v83, v82
	v_cndmask_b32_e64 v46, 0, v46, s[24:25]
	v_add_co_u32_e64 v44, s[24:25], v47, v44
	v_mbcnt_hi_u32_b32 v48, -1, v98
	v_addc_co_u32_e64 v45, s[24:25], v46, v45, s[24:25]
	v_and_b32_e32 v46, 15, v48
	v_mov_b32_dpp v52, v49 row_shr:1 row_mask:0xf bank_mask:0xf
	v_mov_b32_dpp v47, v44 row_shr:1 row_mask:0xf bank_mask:0xf
	;; [unrolled: 1-line block ×3, first 2 shown]
	v_cmp_ne_u32_e64 s[24:25], 0, v46
	s_and_saveexec_b64 s[26:27], s[24:25]
; %bb.126:
	v_cmp_eq_u32_e64 s[24:25], 0, v49
	v_cndmask_b32_e64 v47, 0, v47, s[24:25]
	v_add_u32_e32 v52, v52, v49
	v_cndmask_b32_e64 v49, 0, v53, s[24:25]
	v_add_co_u32_e64 v44, s[24:25], v47, v44
	v_addc_co_u32_e64 v45, s[24:25], v49, v45, s[24:25]
	v_mov_b32_e32 v49, v52
; %bb.127:
	s_or_b64 exec, exec, s[26:27]
	s_nop 0
	v_mov_b32_dpp v52, v49 row_shr:2 row_mask:0xf bank_mask:0xf
	v_mov_b32_dpp v47, v44 row_shr:2 row_mask:0xf bank_mask:0xf
	v_mov_b32_dpp v53, v45 row_shr:2 row_mask:0xf bank_mask:0xf
	v_cmp_lt_u32_e64 s[24:25], 1, v46
	s_and_saveexec_b64 s[26:27], s[24:25]
; %bb.128:
	v_cmp_eq_u32_e64 s[24:25], 0, v49
	v_cndmask_b32_e64 v47, 0, v47, s[24:25]
	v_add_u32_e32 v52, v52, v49
	v_cndmask_b32_e64 v49, 0, v53, s[24:25]
	v_add_co_u32_e64 v44, s[24:25], v47, v44
	v_addc_co_u32_e64 v45, s[24:25], v49, v45, s[24:25]
	v_mov_b32_e32 v49, v52
; %bb.129:
	s_or_b64 exec, exec, s[26:27]
	s_nop 0
	v_mov_b32_dpp v52, v49 row_shr:4 row_mask:0xf bank_mask:0xf
	v_mov_b32_dpp v47, v44 row_shr:4 row_mask:0xf bank_mask:0xf
	v_mov_b32_dpp v53, v45 row_shr:4 row_mask:0xf bank_mask:0xf
	v_cmp_lt_u32_e64 s[24:25], 3, v46
	;; [unrolled: 16-line block ×3, first 2 shown]
	s_and_saveexec_b64 s[26:27], s[24:25]
; %bb.132:
	v_cmp_eq_u32_e64 s[24:25], 0, v49
	v_cndmask_b32_e64 v47, 0, v47, s[24:25]
	v_add_u32_e32 v46, v52, v49
	v_cndmask_b32_e64 v49, 0, v53, s[24:25]
	v_add_co_u32_e64 v44, s[24:25], v47, v44
	v_addc_co_u32_e64 v45, s[24:25], v49, v45, s[24:25]
	v_mov_b32_e32 v49, v46
; %bb.133:
	s_or_b64 exec, exec, s[26:27]
	v_and_b32_e32 v53, 16, v48
	v_mov_b32_dpp v47, v49 row_bcast:15 row_mask:0xf bank_mask:0xf
	v_mov_b32_dpp v46, v44 row_bcast:15 row_mask:0xf bank_mask:0xf
	;; [unrolled: 1-line block ×3, first 2 shown]
	v_cmp_ne_u32_e64 s[24:25], 0, v53
	s_and_saveexec_b64 s[26:27], s[24:25]
; %bb.134:
	v_cmp_eq_u32_e64 s[24:25], 0, v49
	v_cndmask_b32_e64 v46, 0, v46, s[24:25]
	v_add_u32_e32 v47, v47, v49
	v_cndmask_b32_e64 v49, 0, v52, s[24:25]
	v_add_co_u32_e64 v44, s[24:25], v46, v44
	v_addc_co_u32_e64 v45, s[24:25], v49, v45, s[24:25]
	v_mov_b32_e32 v49, v47
; %bb.135:
	s_or_b64 exec, exec, s[26:27]
	s_nop 0
	v_mov_b32_dpp v47, v49 row_bcast:31 row_mask:0xf bank_mask:0xf
	v_mov_b32_dpp v46, v44 row_bcast:31 row_mask:0xf bank_mask:0xf
	;; [unrolled: 1-line block ×3, first 2 shown]
	v_cmp_lt_u32_e64 s[24:25], 31, v48
	s_and_saveexec_b64 s[26:27], s[24:25]
; %bb.136:
	v_cmp_eq_u32_e64 s[24:25], 0, v49
	v_cndmask_b32_e64 v46, 0, v46, s[24:25]
	v_add_u32_e32 v47, v47, v49
	v_cndmask_b32_e64 v49, 0, v52, s[24:25]
	v_add_co_u32_e64 v44, s[24:25], v46, v44
	v_addc_co_u32_e64 v45, s[24:25], v49, v45, s[24:25]
	v_mov_b32_e32 v49, v47
; %bb.137:
	s_or_b64 exec, exec, s[26:27]
	v_lshrrev_b32_e32 v46, 6, v0
	v_or_b32_e32 v47, 63, v0
	v_cmp_eq_u32_e64 s[24:25], v47, v0
	v_lshlrev_b32_e32 v52, 4, v46
	s_and_saveexec_b64 s[26:27], s[24:25]
	s_cbranch_execz .LBB1908_139
; %bb.138:
	ds_write_b32 v52, v49 offset:2080
	ds_write_b64 v52, v[44:45] offset:2088
.LBB1908_139:
	s_or_b64 exec, exec, s[26:27]
	v_cmp_gt_u32_e64 s[24:25], 4, v0
	s_waitcnt lgkmcnt(0)
	s_barrier
	s_and_saveexec_b64 s[26:27], s[24:25]
	s_cbranch_execz .LBB1908_145
; %bb.140:
	v_lshlrev_b32_e32 v53, 4, v0
	ds_read_b32 v54, v53 offset:2080
	ds_read_b64 v[46:47], v53 offset:2088
	v_and_b32_e32 v55, 3, v48
	v_cmp_ne_u32_e64 s[24:25], 0, v55
	s_waitcnt lgkmcnt(1)
	v_mov_b32_dpp v57, v54 row_shr:1 row_mask:0xf bank_mask:0xf
	s_waitcnt lgkmcnt(0)
	v_mov_b32_dpp v56, v46 row_shr:1 row_mask:0xf bank_mask:0xf
	v_mov_b32_dpp v58, v47 row_shr:1 row_mask:0xf bank_mask:0xf
	s_and_saveexec_b64 s[28:29], s[24:25]
; %bb.141:
	v_cmp_eq_u32_e64 s[24:25], 0, v54
	v_cndmask_b32_e64 v56, 0, v56, s[24:25]
	v_add_u32_e32 v57, v57, v54
	v_cndmask_b32_e64 v54, 0, v58, s[24:25]
	v_add_co_u32_e64 v46, s[24:25], v56, v46
	v_addc_co_u32_e64 v47, s[24:25], v54, v47, s[24:25]
	v_mov_b32_e32 v54, v57
; %bb.142:
	s_or_b64 exec, exec, s[28:29]
	s_nop 0
	v_mov_b32_dpp v57, v54 row_shr:2 row_mask:0xf bank_mask:0xf
	v_mov_b32_dpp v56, v46 row_shr:2 row_mask:0xf bank_mask:0xf
	;; [unrolled: 1-line block ×3, first 2 shown]
	v_cmp_lt_u32_e64 s[24:25], 1, v55
	s_and_saveexec_b64 s[28:29], s[24:25]
; %bb.143:
	v_cmp_eq_u32_e64 s[24:25], 0, v54
	v_cndmask_b32_e64 v56, 0, v56, s[24:25]
	v_add_u32_e32 v55, v57, v54
	v_cndmask_b32_e64 v54, 0, v58, s[24:25]
	v_add_co_u32_e64 v46, s[24:25], v56, v46
	v_addc_co_u32_e64 v47, s[24:25], v54, v47, s[24:25]
	v_mov_b32_e32 v54, v55
; %bb.144:
	s_or_b64 exec, exec, s[28:29]
	ds_write_b32 v53, v54 offset:2080
	ds_write_b64 v53, v[46:47] offset:2088
.LBB1908_145:
	s_or_b64 exec, exec, s[26:27]
	v_cmp_lt_u32_e64 s[24:25], 63, v0
	v_mov_b32_e32 v98, 0
	v_mov_b32_e32 v53, 0
	s_waitcnt vmcnt(0)
	v_pk_mov_b32 v[46:47], v[50:51], v[50:51] op_sel:[0,1]
	s_waitcnt lgkmcnt(0)
	s_barrier
	s_and_saveexec_b64 s[26:27], s[24:25]
	s_cbranch_execz .LBB1908_147
; %bb.146:
	ds_read_b32 v53, v52 offset:2064
	ds_read_b64 v[46:47], v52 offset:2072
	s_waitcnt lgkmcnt(1)
	v_cmp_eq_u32_e64 s[24:25], 0, v53
	v_cndmask_b32_e64 v54, 0, v50, s[24:25]
	v_cndmask_b32_e64 v52, 0, v51, s[24:25]
	s_waitcnt lgkmcnt(0)
	v_add_co_u32_e64 v46, s[24:25], v54, v46
	v_addc_co_u32_e64 v47, s[24:25], v52, v47, s[24:25]
.LBB1908_147:
	s_or_b64 exec, exec, s[26:27]
	v_cmp_eq_u32_e64 s[24:25], 0, v49
	v_cndmask_b32_e64 v54, 0, v46, s[24:25]
	v_add_u32_e32 v52, v53, v49
	v_cndmask_b32_e64 v49, 0, v47, s[24:25]
	v_add_co_u32_e64 v44, s[24:25], v54, v44
	v_addc_co_u32_e64 v45, s[24:25], v49, v45, s[24:25]
	v_add_u32_e32 v49, -1, v48
	v_and_b32_e32 v54, 64, v48
	v_cmp_lt_i32_e64 s[24:25], v49, v54
	v_cndmask_b32_e64 v49, v49, v48, s[24:25]
	v_lshlrev_b32_e32 v49, 2, v49
	ds_bpermute_b32 v52, v49, v52
	ds_bpermute_b32 v45, v49, v45
	;; [unrolled: 1-line block ×3, first 2 shown]
	v_cmp_eq_u32_e64 s[24:25], 0, v48
	v_cmp_eq_u32_e64 s[26:27], 0, v96
	s_waitcnt lgkmcnt(2)
	v_cndmask_b32_e64 v97, v52, v53, s[24:25]
	s_waitcnt lgkmcnt(1)
	v_cndmask_b32_e64 v77, v45, v47, s[24:25]
	;; [unrolled: 2-line block ×3, first 2 shown]
	v_cmp_eq_u32_e64 s[24:25], 0, v0
	v_cndmask_b32_e64 v44, v76, v50, s[24:25]
	v_cndmask_b32_e64 v45, v77, v51, s[24:25]
	;; [unrolled: 1-line block ×4, first 2 shown]
	v_add_co_u32_e64 v52, s[26:27], v44, v42
	v_addc_co_u32_e64 v53, s[26:27], v45, v43, s[26:27]
	v_cndmask_b32_e64 v43, 0, v52, s[22:23]
	v_cndmask_b32_e64 v42, 0, v53, s[22:23]
	v_add_co_u32_e64 v54, s[22:23], v43, v40
	v_addc_co_u32_e64 v55, s[22:23], v42, v41, s[22:23]
	v_cndmask_b32_e64 v41, 0, v54, s[20:21]
	v_cndmask_b32_e64 v40, 0, v55, s[20:21]
	;; [unrolled: 4-line block ×11, first 2 shown]
	v_add_co_u32_e64 v74, s[0:1], v23, v20
	v_addc_co_u32_e64 v75, s[0:1], v22, v21, s[0:1]
	v_cndmask_b32_e64 v21, 0, v74, s[2:3]
	ds_read_b32 v46, v98 offset:2128
	v_cndmask_b32_e64 v20, 0, v75, s[2:3]
	v_add_co_u32_e64 v78, s[0:1], v21, v18
	v_addc_co_u32_e64 v79, s[0:1], v20, v19, s[0:1]
	ds_read_b64 v[18:19], v98 offset:2136
	v_cndmask_b32_e32 v81, 0, v79, vcc
	v_cndmask_b32_e32 v80, 0, v78, vcc
	s_waitcnt lgkmcnt(1)
	v_cmp_eq_u32_e32 vcc, 0, v46
	v_cndmask_b32_e32 v21, 0, v50, vcc
	v_cndmask_b32_e32 v20, 0, v51, vcc
	s_waitcnt lgkmcnt(0)
	v_add_co_u32_e32 v48, vcc, v21, v18
	v_addc_co_u32_e32 v49, vcc, v20, v19, vcc
	s_and_saveexec_b64 s[0:1], s[24:25]
	s_cbranch_execz .LBB1908_149
; %bb.148:
	v_mov_b32_e32 v97, 0
	v_mov_b32_e32 v18, 2
	v_pk_mov_b32 v[76:77], v[50:51], v[50:51] op_sel:[0,1]
	global_store_dword v97, v46, s[38:39] offset:1024
	global_store_dwordx2 v97, v[48:49], s[38:39] offset:1032
	s_waitcnt vmcnt(0)
	buffer_wbinvl1_vol
	global_store_byte v97, v18, s[40:41] offset:64
.LBB1908_149:
	s_or_b64 exec, exec, s[0:1]
	v_mov_b32_e32 v50, 0
.LBB1908_150:
	s_and_b64 s[0:1], s[30:31], exec
	s_cselect_b32 s1, 0, s51
	s_cselect_b32 s0, 0, s50
	s_cmp_eq_u64 s[0:1], 0
	v_pk_mov_b32 v[18:19], 0, 0
	s_barrier
	s_cbranch_scc1 .LBB1908_152
; %bb.151:
	v_mov_b32_e32 v18, 0
	global_load_dwordx2 v[18:19], v18, s[0:1]
.LBB1908_152:
	s_waitcnt vmcnt(0)
	v_lshlrev_b64 v[34:35], 2, v[18:19]
	v_mov_b32_e32 v36, s53
	v_add_co_u32_e32 v37, vcc, s52, v34
	v_mov_b32_e32 v51, 0
	v_addc_co_u32_e32 v36, vcc, v36, v35, vcc
	v_lshlrev_b64 v[34:35], 2, v[50:51]
	v_add_co_u32_e32 v34, vcc, v37, v34
	v_addc_co_u32_e32 v35, vcc, v36, v35, vcc
	v_cmp_eq_u32_e32 vcc, 0, v96
	v_cndmask_b32_e64 v36, 1, 2, vcc
	v_cmp_eq_u32_e32 vcc, 0, v95
	v_cndmask_b32_e64 v37, 1, 2, vcc
	v_cmp_eq_u32_e32 vcc, 0, v94
	v_and_b32_e32 v36, v37, v36
	v_cndmask_b32_e64 v37, 1, 2, vcc
	v_cmp_eq_u32_e32 vcc, 0, v93
	v_add_u32_e32 v33, v97, v96
	v_and_b32_e32 v36, v36, v37
	v_cndmask_b32_e64 v37, 1, 2, vcc
	v_cmp_eq_u32_e32 vcc, 0, v92
	v_add_u32_e32 v32, v33, v95
	;; [unrolled: 4-line block ×12, first 2 shown]
	v_and_b32_e32 v36, v36, v37
	v_cndmask_b32_e64 v37, 1, 2, vcc
	s_movk_i32 s30, 0x100
	v_add_u32_e32 v21, v22, v84
	v_and_b32_e32 v36, v36, v37
	v_cmp_gt_u32_e32 vcc, s30, v46
	v_add_u32_e32 v20, v21, v83
	v_cmp_ne_u32_e64 s[28:29], 0, v96
	v_cmp_ne_u32_e64 s[26:27], 0, v95
	;; [unrolled: 1-line block ×15, first 2 shown]
	s_mov_b64 s[36:37], -1
	v_cmp_gt_i16_e64 s[30:31], 2, v36
	s_cbranch_vccz .LBB1908_159
; %bb.153:
	s_and_saveexec_b64 s[36:37], s[30:31]
	s_cbranch_execz .LBB1908_158
; %bb.154:
	v_cmp_ne_u16_e32 vcc, 1, v36
	s_mov_b64 s[38:39], 0
	s_and_saveexec_b64 s[30:31], vcc
	s_xor_b64 s[30:31], exec, s[30:31]
	s_cbranch_execnz .LBB1908_203
; %bb.155:
	s_andn2_saveexec_b64 s[30:31], s[30:31]
	s_cbranch_execnz .LBB1908_219
.LBB1908_156:
	s_or_b64 exec, exec, s[30:31]
	s_and_b64 exec, exec, s[38:39]
	s_cbranch_execz .LBB1908_158
.LBB1908_157:
	v_sub_u32_e32 v38, v20, v50
	v_mov_b32_e32 v39, 0
	v_lshlrev_b64 v[38:39], 2, v[38:39]
	v_add_co_u32_e32 v38, vcc, v34, v38
	v_addc_co_u32_e32 v39, vcc, v35, v39, vcc
	global_store_dword v[38:39], v1, off
.LBB1908_158:
	s_or_b64 exec, exec, s[36:37]
	s_mov_b64 s[36:37], 0
.LBB1908_159:
	s_and_b64 vcc, exec, s[36:37]
	s_cbranch_vccz .LBB1908_181
; %bb.160:
	v_cmp_gt_i16_e32 vcc, 2, v36
	s_and_saveexec_b64 s[30:31], vcc
	s_cbranch_execz .LBB1908_165
; %bb.161:
	v_cmp_ne_u16_e32 vcc, 1, v36
	s_mov_b64 s[38:39], 0
	s_and_saveexec_b64 s[36:37], vcc
	s_xor_b64 s[36:37], exec, s[36:37]
	s_cbranch_execnz .LBB1908_220
; %bb.162:
	s_andn2_saveexec_b64 s[0:1], s[36:37]
	s_cbranch_execnz .LBB1908_236
.LBB1908_163:
	s_or_b64 exec, exec, s[0:1]
	s_and_b64 exec, exec, s[38:39]
	s_cbranch_execz .LBB1908_165
.LBB1908_164:
	v_sub_u32_e32 v4, v20, v50
	v_lshlrev_b32_e32 v4, 2, v4
	ds_write_b32 v4, v1
.LBB1908_165:
	s_or_b64 exec, exec, s[30:31]
	v_cmp_lt_u32_e32 vcc, v0, v46
	s_waitcnt lgkmcnt(0)
	s_barrier
	s_and_saveexec_b64 s[2:3], vcc
	s_cbranch_execz .LBB1908_180
; %bb.166:
	v_xad_u32 v1, v0, -1, v46
	s_movk_i32 s0, 0x1700
	v_cmp_gt_u32_e64 s[4:5], s0, v1
	s_movk_i32 s0, 0x16ff
	v_cmp_lt_u32_e32 vcc, s0, v1
	v_mov_b32_e32 v4, v0
	s_and_saveexec_b64 s[6:7], vcc
	s_cbranch_execz .LBB1908_177
; %bb.167:
	v_sub_u32_e32 v4, v0, v46
	v_or_b32_e32 v4, 0xff, v4
	v_cmp_ge_u32_e32 vcc, v4, v0
	s_mov_b64 s[0:1], -1
	v_mov_b32_e32 v4, v0
	s_and_saveexec_b64 s[8:9], vcc
	s_cbranch_execz .LBB1908_176
; %bb.168:
	v_lshrrev_b32_e32 v8, 8, v1
	v_add_u32_e32 v4, -1, v8
	v_or_b32_e32 v1, 0x100, v0
	v_lshrrev_b32_e32 v5, 1, v4
	v_add_u32_e32 v10, 1, v5
	v_cmp_lt_u32_e32 vcc, 13, v4
	v_mov_b32_e32 v13, 0
	v_lshlrev_b32_e32 v9, 2, v0
	v_pk_mov_b32 v[4:5], v[0:1], v[0:1] op_sel:[0,1]
	s_and_saveexec_b64 s[10:11], vcc
	s_cbranch_execz .LBB1908_172
; %bb.169:
	v_and_b32_e32 v11, -8, v10
	s_mov_b32 s14, 0
	s_mov_b64 s[12:13], 0
	v_mov_b32_e32 v7, 0
	v_mov_b32_e32 v12, v9
	v_pk_mov_b32 v[4:5], v[0:1], v[0:1] op_sel:[0,1]
.LBB1908_170:                           ; =>This Inner Loop Header: Depth=1
	v_mov_b32_e32 v6, v4
	v_add_u32_e32 v11, -8, v11
	v_lshlrev_b64 v[114:115], 2, v[6:7]
	v_mov_b32_e32 v6, v5
	ds_read2st64_b32 v[14:15], v12 offset1:4
	s_add_i32 s14, s14, 16
	v_cmp_eq_u32_e32 vcc, 0, v11
	v_lshlrev_b64 v[116:117], 2, v[6:7]
	v_add_u32_e32 v6, 0x200, v4
	s_or_b64 s[12:13], vcc, s[12:13]
	v_add_co_u32_e32 v116, vcc, v34, v116
	v_add_u32_e32 v16, 0x200, v5
	v_mov_b32_e32 v17, v7
	ds_read2st64_b32 v[36:37], v12 offset0:8 offset1:12
	ds_read2st64_b32 v[40:41], v12 offset0:16 offset1:20
	v_add_co_u32_e64 v114, s[0:1], v34, v114
	v_addc_co_u32_e32 v117, vcc, v35, v117, vcc
	v_lshlrev_b64 v[118:119], 2, v[6:7]
	v_lshlrev_b64 v[16:17], 2, v[16:17]
	v_addc_co_u32_e64 v115, s[0:1], v35, v115, s[0:1]
	v_add_u32_e32 v6, 0x400, v4
	v_add_co_u32_e32 v118, vcc, v34, v118
	v_add_u32_e32 v38, 0x400, v5
	v_mov_b32_e32 v39, v7
	ds_read2st64_b32 v[44:45], v12 offset0:24 offset1:28
	v_add_co_u32_e64 v16, s[0:1], v34, v16
	v_addc_co_u32_e32 v119, vcc, v35, v119, vcc
	v_lshlrev_b64 v[120:121], 2, v[6:7]
	ds_read2st64_b32 v[100:101], v12 offset0:32 offset1:36
	ds_read2st64_b32 v[104:105], v12 offset0:40 offset1:44
	;; [unrolled: 1-line block ×4, first 2 shown]
	v_lshlrev_b64 v[38:39], 2, v[38:39]
	v_addc_co_u32_e64 v17, s[0:1], v35, v17, s[0:1]
	v_add_u32_e32 v6, 0x600, v4
	s_waitcnt lgkmcnt(7)
	global_store_dword v[114:115], v14, off
	global_store_dword v[116:117], v15, off
	s_waitcnt lgkmcnt(6)
	global_store_dword v[118:119], v36, off
	global_store_dword v[16:17], v37, off
	v_add_co_u32_e32 v14, vcc, v34, v120
	v_add_u32_e32 v42, 0x600, v5
	v_mov_b32_e32 v43, v7
	v_add_co_u32_e64 v38, s[0:1], v34, v38
	v_addc_co_u32_e32 v15, vcc, v35, v121, vcc
	v_lshlrev_b64 v[16:17], 2, v[6:7]
	v_lshlrev_b64 v[42:43], 2, v[42:43]
	v_addc_co_u32_e64 v39, s[0:1], v35, v39, s[0:1]
	v_add_u32_e32 v6, 0x800, v4
	s_waitcnt lgkmcnt(5)
	global_store_dword v[14:15], v40, off
	global_store_dword v[38:39], v41, off
	v_add_co_u32_e32 v14, vcc, v34, v16
	v_add_u32_e32 v98, 0x800, v5
	v_mov_b32_e32 v99, v7
	v_add_co_u32_e64 v42, s[0:1], v34, v42
	v_addc_co_u32_e32 v15, vcc, v35, v17, vcc
	v_lshlrev_b64 v[16:17], 2, v[6:7]
	v_lshlrev_b64 v[98:99], 2, v[98:99]
	v_addc_co_u32_e64 v43, s[0:1], v35, v43, s[0:1]
	v_add_u32_e32 v6, 0xa00, v4
	;; [unrolled: 12-line block ×4, first 2 shown]
	s_waitcnt lgkmcnt(2)
	global_store_dword v[14:15], v104, off
	global_store_dword v[102:103], v105, off
	v_add_co_u32_e32 v14, vcc, v34, v16
	v_add_u32_e32 v110, 0xe00, v5
	v_mov_b32_e32 v111, v7
	v_add_co_u32_e64 v106, s[0:1], v34, v106
	v_addc_co_u32_e32 v15, vcc, v35, v17, vcc
	v_lshlrev_b64 v[16:17], 2, v[6:7]
	v_lshlrev_b64 v[110:111], 2, v[110:111]
	v_addc_co_u32_e64 v107, s[0:1], v35, v107, s[0:1]
	s_waitcnt lgkmcnt(1)
	global_store_dword v[14:15], v108, off
	global_store_dword v[106:107], v109, off
	v_add_co_u32_e32 v14, vcc, v34, v16
	v_add_u32_e32 v12, 0x4000, v12
	v_add_u32_e32 v5, 0x1000, v5
	v_mov_b32_e32 v13, s14
	v_add_co_u32_e64 v110, s[0:1], v34, v110
	v_add_u32_e32 v4, 0x1000, v4
	v_addc_co_u32_e32 v15, vcc, v35, v17, vcc
	v_addc_co_u32_e64 v111, s[0:1], v35, v111, s[0:1]
	s_waitcnt lgkmcnt(0)
	global_store_dword v[14:15], v112, off
	global_store_dword v[110:111], v113, off
	s_andn2_b64 exec, exec, s[12:13]
	s_cbranch_execnz .LBB1908_170
; %bb.171:
	s_or_b64 exec, exec, s[12:13]
.LBB1908_172:
	s_or_b64 exec, exec, s[10:11]
	v_and_b32_e32 v1, 7, v10
	v_cmp_ne_u32_e32 vcc, 0, v1
	s_and_saveexec_b64 s[10:11], vcc
	s_cbranch_execz .LBB1908_175
; %bb.173:
	v_lshl_or_b32 v9, v13, 10, v9
	s_mov_b64 s[12:13], 0
	v_mov_b32_e32 v7, 0
.LBB1908_174:                           ; =>This Inner Loop Header: Depth=1
	ds_read2st64_b32 v[10:11], v9 offset1:4
	v_mov_b32_e32 v6, v4
	v_add_u32_e32 v1, -1, v1
	v_lshlrev_b64 v[12:13], 2, v[6:7]
	v_mov_b32_e32 v6, v5
	v_cmp_eq_u32_e32 vcc, 0, v1
	v_add_co_u32_e64 v12, s[0:1], v34, v12
	v_lshlrev_b64 v[14:15], 2, v[6:7]
	v_add_u32_e32 v4, 0x200, v4
	v_add_u32_e32 v9, 0x800, v9
	;; [unrolled: 1-line block ×3, first 2 shown]
	v_addc_co_u32_e64 v13, s[0:1], v35, v13, s[0:1]
	s_or_b64 s[12:13], vcc, s[12:13]
	v_add_co_u32_e32 v14, vcc, v34, v14
	v_addc_co_u32_e32 v15, vcc, v35, v15, vcc
	s_waitcnt lgkmcnt(0)
	global_store_dword v[12:13], v10, off
	global_store_dword v[14:15], v11, off
	s_andn2_b64 exec, exec, s[12:13]
	s_cbranch_execnz .LBB1908_174
.LBB1908_175:
	s_or_b64 exec, exec, s[10:11]
	v_add_u32_e32 v1, 1, v8
	v_and_b32_e32 v5, 0x1fffffe, v1
	v_cmp_ne_u32_e32 vcc, v1, v5
	v_lshl_or_b32 v4, v5, 8, v0
	s_orn2_b64 s[0:1], vcc, exec
.LBB1908_176:
	s_or_b64 exec, exec, s[8:9]
	s_andn2_b64 s[4:5], s[4:5], exec
	s_and_b64 s[0:1], s[0:1], exec
	s_or_b64 s[4:5], s[4:5], s[0:1]
.LBB1908_177:
	s_or_b64 exec, exec, s[6:7]
	s_and_b64 exec, exec, s[4:5]
	s_cbranch_execz .LBB1908_180
; %bb.178:
	v_lshlrev_b32_e32 v1, 2, v4
	s_mov_b64 s[0:1], 0
	v_mov_b32_e32 v5, 0
.LBB1908_179:                           ; =>This Inner Loop Header: Depth=1
	v_lshlrev_b64 v[6:7], 2, v[4:5]
	ds_read_b32 v8, v1
	v_add_co_u32_e32 v6, vcc, v34, v6
	v_add_u32_e32 v4, 0x100, v4
	v_addc_co_u32_e32 v7, vcc, v35, v7, vcc
	v_cmp_ge_u32_e32 vcc, v4, v46
	v_add_u32_e32 v1, 0x400, v1
	s_or_b64 s[0:1], vcc, s[0:1]
	s_waitcnt lgkmcnt(0)
	global_store_dword v[6:7], v8, off
	s_andn2_b64 exec, exec, s[0:1]
	s_cbranch_execnz .LBB1908_179
.LBB1908_180:
	s_or_b64 exec, exec, s[2:3]
.LBB1908_181:
	v_add_co_u32_e32 v2, vcc, v80, v2
	s_cmpk_lg_i32 s33, 0xf00
	v_addc_co_u32_e32 v3, vcc, v81, v3, vcc
	s_cselect_b64 s[0:1], -1, 0
	v_cndmask_b32_e64 v8, 0, 1, s[46:47]
	s_and_b64 s[0:1], s[44:45], s[0:1]
	v_cmp_eq_u32_e32 vcc, 0, v0
	v_sub_u32_e32 v1, v46, v8
	v_cndmask_b32_e64 v4, 0, 1, s[0:1]
	s_and_b64 s[0:1], vcc, s[46:47]
	v_add_u32_e32 v1, v1, v4
	v_cndmask_b32_e64 v4, v96, 0, s[0:1]
	s_mul_hi_u32 s0, s33, 0x88888889
	s_lshr_b32 s0, s0, 3
	v_mad_i32_i24 v5, v0, -15, s33
	v_cmp_eq_u32_e32 vcc, s0, v0
	v_cmp_ne_u32_e64 s[0:1], 0, v5
	v_cndmask_b32_e64 v6, 1, v4, s[0:1]
	v_cmp_ne_u32_e64 s[0:1], 1, v5
	v_cndmask_b32_e64 v7, 1, v95, s[0:1]
	;; [unrolled: 2-line block ×15, first 2 shown]
	s_and_b64 vcc, s[44:45], vcc
	v_cndmask_b32_e32 v37, v82, v5, vcc
	v_cndmask_b32_e32 v39, v4, v6, vcc
	v_lshlrev_b64 v[4:5], 3, v[18:19]
	v_cndmask_b32_e32 v36, v83, v36, vcc
	v_cndmask_b32_e32 v35, v84, v35, vcc
	;; [unrolled: 1-line block ×13, first 2 shown]
	v_mov_b32_e32 v6, s55
	v_add_co_u32_e32 v7, vcc, s54, v4
	v_addc_co_u32_e32 v6, vcc, v6, v5, vcc
	v_lshlrev_b64 v[4:5], 3, v[50:51]
	v_add_co_u32_e32 v4, vcc, v7, v4
	v_addc_co_u32_e32 v5, vcc, v6, v5, vcc
	v_lshlrev_b32_e32 v6, 3, v8
	v_add_co_u32_e32 v6, vcc, v6, v4
	v_addc_co_u32_e32 v7, vcc, 0, v5, vcc
	v_add_co_u32_e32 v6, vcc, -8, v6
	v_addc_co_u32_e32 v7, vcc, -1, v7, vcc
	v_cmp_eq_u32_e32 vcc, 0, v39
	v_cmp_ne_u32_e64 s[28:29], 0, v39
	v_cndmask_b32_e64 v39, 1, 2, vcc
	v_cmp_eq_u32_e32 vcc, 0, v38
	v_cmp_ne_u32_e64 s[26:27], 0, v38
	v_cndmask_b32_e64 v38, 1, 2, vcc
	v_cmp_eq_u32_e32 vcc, 0, v9
	v_and_b32_e32 v38, v38, v39
	v_cmp_ne_u32_e64 s[24:25], 0, v9
	v_cndmask_b32_e64 v9, 1, 2, vcc
	v_cmp_eq_u32_e32 vcc, 0, v10
	v_and_b32_e32 v9, v38, v9
	;; [unrolled: 4-line block ×3, first 2 shown]
	v_cndmask_b32_e64 v10, 1, 2, vcc
	v_cmp_eq_u32_e32 vcc, 0, v12
	v_and_b32_e32 v9, v9, v10
	v_cndmask_b32_e64 v10, 1, 2, vcc
	v_cmp_eq_u32_e32 vcc, 0, v13
	v_and_b32_e32 v9, v9, v10
	;; [unrolled: 3-line block ×10, first 2 shown]
	v_cndmask_b32_e64 v10, 1, 2, vcc
	s_movk_i32 s30, 0x100
	v_and_b32_e32 v9, v9, v10
	v_cmp_gt_u32_e32 vcc, s30, v1
	v_add_u32_e32 v8, v50, v8
	v_cmp_ne_u32_e64 s[20:21], 0, v11
	v_cmp_ne_u32_e64 s[18:19], 0, v12
	;; [unrolled: 1-line block ×11, first 2 shown]
	s_mov_b64 s[36:37], -1
	v_cmp_gt_i16_e64 s[30:31], 2, v9
	s_barrier
	s_cbranch_vccz .LBB1908_188
; %bb.182:
	s_and_saveexec_b64 s[36:37], s[30:31]
	s_cbranch_execz .LBB1908_187
; %bb.183:
	v_cmp_ne_u16_e32 vcc, 1, v9
	s_mov_b64 s[38:39], 0
	s_and_saveexec_b64 s[30:31], vcc
	s_xor_b64 s[30:31], exec, s[30:31]
	s_cbranch_execnz .LBB1908_237
; %bb.184:
	s_andn2_saveexec_b64 s[30:31], s[30:31]
	s_cbranch_execnz .LBB1908_253
.LBB1908_185:
	s_or_b64 exec, exec, s[30:31]
	s_and_b64 exec, exec, s[38:39]
	s_cbranch_execz .LBB1908_187
.LBB1908_186:
	v_sub_u32_e32 v10, v20, v8
	v_mov_b32_e32 v11, 0
	v_lshlrev_b64 v[10:11], 3, v[10:11]
	v_add_co_u32_e32 v10, vcc, v6, v10
	v_addc_co_u32_e32 v11, vcc, v7, v11, vcc
	global_store_dwordx2 v[10:11], v[2:3], off
.LBB1908_187:
	s_or_b64 exec, exec, s[36:37]
	s_mov_b64 s[36:37], 0
.LBB1908_188:
	s_and_b64 vcc, exec, s[36:37]
	s_cbranch_vccz .LBB1908_198
; %bb.189:
	v_cmp_gt_i16_e32 vcc, 2, v9
	s_and_saveexec_b64 s[30:31], vcc
	s_cbranch_execz .LBB1908_194
; %bb.190:
	v_cmp_ne_u16_e32 vcc, 1, v9
	s_mov_b64 s[38:39], 0
	s_and_saveexec_b64 s[36:37], vcc
	s_xor_b64 s[36:37], exec, s[36:37]
	s_cbranch_execnz .LBB1908_254
; %bb.191:
	s_andn2_saveexec_b64 s[0:1], s[36:37]
	s_cbranch_execnz .LBB1908_270
.LBB1908_192:
	s_or_b64 exec, exec, s[0:1]
	s_and_b64 exec, exec, s[38:39]
	s_cbranch_execz .LBB1908_194
.LBB1908_193:
	v_sub_u32_e32 v8, v20, v8
	v_lshlrev_b32_e32 v8, 3, v8
	ds_write_b64 v8, v[2:3]
.LBB1908_194:
	s_or_b64 exec, exec, s[30:31]
	v_cmp_lt_u32_e32 vcc, v0, v1
	s_waitcnt lgkmcnt(0)
	s_barrier
	s_and_saveexec_b64 s[0:1], vcc
	s_cbranch_execz .LBB1908_197
; %bb.195:
	v_lshlrev_b32_e32 v8, 3, v0
	s_mov_b64 s[2:3], 0
	v_mov_b32_e32 v3, 0
	v_mov_b32_e32 v2, v0
.LBB1908_196:                           ; =>This Inner Loop Header: Depth=1
	v_lshlrev_b64 v[10:11], 3, v[2:3]
	ds_read_b64 v[12:13], v8
	v_add_co_u32_e32 v10, vcc, v6, v10
	v_add_u32_e32 v2, 0x100, v2
	v_addc_co_u32_e32 v11, vcc, v7, v11, vcc
	v_cmp_ge_u32_e32 vcc, v2, v1
	v_add_u32_e32 v8, 0x800, v8
	s_or_b64 s[2:3], vcc, s[2:3]
	s_waitcnt lgkmcnt(0)
	global_store_dwordx2 v[10:11], v[12:13], off
	s_andn2_b64 exec, exec, s[2:3]
	s_cbranch_execnz .LBB1908_196
.LBB1908_197:
	s_or_b64 exec, exec, s[0:1]
.LBB1908_198:
	s_movk_i32 s0, 0xff
	v_cmp_eq_u32_e32 vcc, s0, v0
	s_and_b64 s[0:1], vcc, s[44:45]
	s_and_saveexec_b64 s[2:3], s[0:1]
	s_cbranch_execz .LBB1908_201
; %bb.199:
	v_add_co_u32_e32 v0, vcc, v46, v50
	v_addc_co_u32_e64 v1, s[0:1], 0, 0, vcc
	v_add_co_u32_e32 v0, vcc, v0, v18
	v_mov_b32_e32 v47, 0
	v_addc_co_u32_e32 v1, vcc, v1, v19, vcc
	s_cmpk_lg_i32 s33, 0xf00
	global_store_dwordx2 v47, v[0:1], s[34:35]
	s_cbranch_scc1 .LBB1908_201
; %bb.200:
	v_lshlrev_b64 v[0:1], 3, v[46:47]
	v_add_co_u32_e32 v0, vcc, v4, v0
	v_addc_co_u32_e32 v1, vcc, v5, v1, vcc
	global_store_dwordx2 v[0:1], v[48:49], off offset:-8
.LBB1908_201:
	s_endpgm
.LBB1908_202:
	s_or_b64 exec, exec, s[4:5]
	v_mov_b32_e32 v96, s7
	s_and_saveexec_b64 s[0:1], s[60:61]
	s_cbranch_execnz .LBB1908_54
	s_branch .LBB1908_55
.LBB1908_203:
	s_and_saveexec_b64 s[38:39], s[28:29]
	s_cbranch_execnz .LBB1908_271
; %bb.204:
	s_or_b64 exec, exec, s[38:39]
	s_and_saveexec_b64 s[38:39], s[26:27]
	s_cbranch_execnz .LBB1908_272
.LBB1908_205:
	s_or_b64 exec, exec, s[38:39]
	s_and_saveexec_b64 s[38:39], s[24:25]
	s_cbranch_execnz .LBB1908_273
.LBB1908_206:
	s_or_b64 exec, exec, s[38:39]
	s_and_saveexec_b64 s[38:39], s[22:23]
	s_cbranch_execnz .LBB1908_274
.LBB1908_207:
	s_or_b64 exec, exec, s[38:39]
	s_and_saveexec_b64 s[38:39], s[20:21]
	s_cbranch_execnz .LBB1908_275
.LBB1908_208:
	s_or_b64 exec, exec, s[38:39]
	s_and_saveexec_b64 s[38:39], s[18:19]
	s_cbranch_execnz .LBB1908_276
.LBB1908_209:
	s_or_b64 exec, exec, s[38:39]
	s_and_saveexec_b64 s[38:39], s[16:17]
	s_cbranch_execnz .LBB1908_277
.LBB1908_210:
	s_or_b64 exec, exec, s[38:39]
	s_and_saveexec_b64 s[38:39], s[14:15]
	s_cbranch_execnz .LBB1908_278
.LBB1908_211:
	s_or_b64 exec, exec, s[38:39]
	s_and_saveexec_b64 s[38:39], s[12:13]
	s_cbranch_execnz .LBB1908_279
.LBB1908_212:
	s_or_b64 exec, exec, s[38:39]
	s_and_saveexec_b64 s[38:39], s[10:11]
	s_cbranch_execnz .LBB1908_280
.LBB1908_213:
	s_or_b64 exec, exec, s[38:39]
	s_and_saveexec_b64 s[38:39], s[8:9]
	s_cbranch_execnz .LBB1908_281
.LBB1908_214:
	s_or_b64 exec, exec, s[38:39]
	s_and_saveexec_b64 s[38:39], s[6:7]
	s_cbranch_execnz .LBB1908_282
.LBB1908_215:
	s_or_b64 exec, exec, s[38:39]
	s_and_saveexec_b64 s[38:39], s[4:5]
	s_cbranch_execnz .LBB1908_283
.LBB1908_216:
	s_or_b64 exec, exec, s[38:39]
	s_and_saveexec_b64 s[38:39], s[2:3]
	s_cbranch_execz .LBB1908_218
.LBB1908_217:
	v_sub_u32_e32 v38, v21, v50
	v_mov_b32_e32 v39, 0
	v_lshlrev_b64 v[38:39], 2, v[38:39]
	v_add_co_u32_e32 v38, vcc, v34, v38
	v_addc_co_u32_e32 v39, vcc, v35, v39, vcc
	global_store_dword v[38:39], v5, off
.LBB1908_218:
	s_or_b64 exec, exec, s[38:39]
	s_and_b64 s[38:39], s[0:1], exec
	s_andn2_saveexec_b64 s[30:31], s[30:31]
	s_cbranch_execz .LBB1908_156
.LBB1908_219:
	v_sub_u32_e32 v38, v97, v50
	v_mov_b32_e32 v39, 0
	v_lshlrev_b64 v[40:41], 2, v[38:39]
	v_add_co_u32_e32 v40, vcc, v34, v40
	v_addc_co_u32_e32 v41, vcc, v35, v41, vcc
	v_sub_u32_e32 v38, v33, v50
	global_store_dword v[40:41], v16, off
	v_lshlrev_b64 v[40:41], 2, v[38:39]
	v_add_co_u32_e32 v40, vcc, v34, v40
	v_addc_co_u32_e32 v41, vcc, v35, v41, vcc
	v_sub_u32_e32 v38, v32, v50
	global_store_dword v[40:41], v17, off
	;; [unrolled: 5-line block ×12, first 2 shown]
	v_lshlrev_b64 v[40:41], 2, v[38:39]
	v_add_co_u32_e32 v40, vcc, v34, v40
	v_sub_u32_e32 v38, v21, v50
	v_addc_co_u32_e32 v41, vcc, v35, v41, vcc
	v_lshlrev_b64 v[38:39], 2, v[38:39]
	v_add_co_u32_e32 v38, vcc, v34, v38
	v_addc_co_u32_e32 v39, vcc, v35, v39, vcc
	s_or_b64 s[38:39], s[38:39], exec
	global_store_dword v[40:41], v4, off
	global_store_dword v[38:39], v5, off
	s_or_b64 exec, exec, s[30:31]
	s_and_b64 exec, exec, s[38:39]
	s_cbranch_execnz .LBB1908_157
	s_branch .LBB1908_158
.LBB1908_220:
	s_and_saveexec_b64 s[38:39], s[28:29]
	s_cbranch_execnz .LBB1908_284
; %bb.221:
	s_or_b64 exec, exec, s[38:39]
	s_and_saveexec_b64 s[28:29], s[26:27]
	s_cbranch_execnz .LBB1908_285
.LBB1908_222:
	s_or_b64 exec, exec, s[28:29]
	s_and_saveexec_b64 s[26:27], s[24:25]
	s_cbranch_execnz .LBB1908_286
.LBB1908_223:
	s_or_b64 exec, exec, s[26:27]
	s_and_saveexec_b64 s[24:25], s[22:23]
	s_cbranch_execnz .LBB1908_287
.LBB1908_224:
	s_or_b64 exec, exec, s[24:25]
	s_and_saveexec_b64 s[22:23], s[20:21]
	s_cbranch_execnz .LBB1908_288
.LBB1908_225:
	s_or_b64 exec, exec, s[22:23]
	s_and_saveexec_b64 s[20:21], s[18:19]
	s_cbranch_execnz .LBB1908_289
.LBB1908_226:
	s_or_b64 exec, exec, s[20:21]
	s_and_saveexec_b64 s[18:19], s[16:17]
	s_cbranch_execnz .LBB1908_290
.LBB1908_227:
	s_or_b64 exec, exec, s[18:19]
	s_and_saveexec_b64 s[16:17], s[14:15]
	s_cbranch_execnz .LBB1908_291
.LBB1908_228:
	s_or_b64 exec, exec, s[16:17]
	s_and_saveexec_b64 s[14:15], s[12:13]
	s_cbranch_execnz .LBB1908_292
.LBB1908_229:
	s_or_b64 exec, exec, s[14:15]
	s_and_saveexec_b64 s[12:13], s[10:11]
	s_cbranch_execnz .LBB1908_293
.LBB1908_230:
	s_or_b64 exec, exec, s[12:13]
	s_and_saveexec_b64 s[10:11], s[8:9]
	s_cbranch_execnz .LBB1908_294
.LBB1908_231:
	s_or_b64 exec, exec, s[10:11]
	s_and_saveexec_b64 s[8:9], s[6:7]
	s_cbranch_execnz .LBB1908_295
.LBB1908_232:
	s_or_b64 exec, exec, s[8:9]
	s_and_saveexec_b64 s[6:7], s[4:5]
	s_cbranch_execnz .LBB1908_296
.LBB1908_233:
	s_or_b64 exec, exec, s[6:7]
	s_and_saveexec_b64 s[4:5], s[2:3]
	s_cbranch_execz .LBB1908_235
.LBB1908_234:
	v_sub_u32_e32 v4, v21, v50
	v_lshlrev_b32_e32 v4, 2, v4
	ds_write_b32 v4, v5
.LBB1908_235:
	s_or_b64 exec, exec, s[4:5]
	s_and_b64 s[38:39], s[0:1], exec
                                        ; implicit-def: $vgpr4
                                        ; implicit-def: $vgpr6
                                        ; implicit-def: $vgpr8
                                        ; implicit-def: $vgpr10
                                        ; implicit-def: $vgpr12
                                        ; implicit-def: $vgpr14
                                        ; implicit-def: $vgpr16
	s_andn2_saveexec_b64 s[0:1], s[36:37]
	s_cbranch_execz .LBB1908_163
.LBB1908_236:
	v_sub_u32_e32 v36, v97, v50
	v_lshlrev_b32_e32 v36, 2, v36
	ds_write_b32 v36, v16
	v_sub_u32_e32 v16, v33, v50
	v_lshlrev_b32_e32 v16, 2, v16
	ds_write_b32 v16, v17
	;; [unrolled: 3-line block ×13, first 2 shown]
	v_sub_u32_e32 v4, v21, v50
	v_lshlrev_b32_e32 v4, 2, v4
	s_or_b64 s[38:39], s[38:39], exec
	ds_write_b32 v4, v5
	s_or_b64 exec, exec, s[0:1]
	s_and_b64 exec, exec, s[38:39]
	s_cbranch_execnz .LBB1908_164
	s_branch .LBB1908_165
.LBB1908_237:
	s_and_saveexec_b64 s[38:39], s[28:29]
	s_cbranch_execnz .LBB1908_297
; %bb.238:
	s_or_b64 exec, exec, s[38:39]
	s_and_saveexec_b64 s[38:39], s[26:27]
	s_cbranch_execnz .LBB1908_298
.LBB1908_239:
	s_or_b64 exec, exec, s[38:39]
	s_and_saveexec_b64 s[38:39], s[24:25]
	s_cbranch_execnz .LBB1908_299
.LBB1908_240:
	s_or_b64 exec, exec, s[38:39]
	s_and_saveexec_b64 s[38:39], s[22:23]
	s_cbranch_execnz .LBB1908_300
.LBB1908_241:
	s_or_b64 exec, exec, s[38:39]
	s_and_saveexec_b64 s[38:39], s[20:21]
	s_cbranch_execnz .LBB1908_301
.LBB1908_242:
	s_or_b64 exec, exec, s[38:39]
	s_and_saveexec_b64 s[38:39], s[18:19]
	s_cbranch_execnz .LBB1908_302
.LBB1908_243:
	s_or_b64 exec, exec, s[38:39]
	s_and_saveexec_b64 s[38:39], s[16:17]
	s_cbranch_execnz .LBB1908_303
.LBB1908_244:
	s_or_b64 exec, exec, s[38:39]
	s_and_saveexec_b64 s[38:39], s[14:15]
	s_cbranch_execnz .LBB1908_304
.LBB1908_245:
	s_or_b64 exec, exec, s[38:39]
	s_and_saveexec_b64 s[38:39], s[12:13]
	s_cbranch_execnz .LBB1908_305
.LBB1908_246:
	s_or_b64 exec, exec, s[38:39]
	s_and_saveexec_b64 s[38:39], s[10:11]
	s_cbranch_execnz .LBB1908_306
.LBB1908_247:
	s_or_b64 exec, exec, s[38:39]
	s_and_saveexec_b64 s[38:39], s[8:9]
	s_cbranch_execnz .LBB1908_307
.LBB1908_248:
	s_or_b64 exec, exec, s[38:39]
	s_and_saveexec_b64 s[38:39], s[6:7]
	s_cbranch_execnz .LBB1908_308
.LBB1908_249:
	s_or_b64 exec, exec, s[38:39]
	s_and_saveexec_b64 s[38:39], s[4:5]
	s_cbranch_execnz .LBB1908_309
.LBB1908_250:
	s_or_b64 exec, exec, s[38:39]
	s_and_saveexec_b64 s[38:39], s[2:3]
	s_cbranch_execz .LBB1908_252
.LBB1908_251:
	v_sub_u32_e32 v10, v21, v8
	v_mov_b32_e32 v11, 0
	v_lshlrev_b64 v[10:11], 3, v[10:11]
	v_add_co_u32_e32 v10, vcc, v6, v10
	v_addc_co_u32_e32 v11, vcc, v7, v11, vcc
	global_store_dwordx2 v[10:11], v[78:79], off
.LBB1908_252:
	s_or_b64 exec, exec, s[38:39]
	s_and_b64 s[38:39], s[0:1], exec
	s_andn2_saveexec_b64 s[30:31], s[30:31]
	s_cbranch_execz .LBB1908_185
.LBB1908_253:
	v_sub_u32_e32 v10, v97, v8
	v_mov_b32_e32 v11, 0
	v_lshlrev_b64 v[12:13], 3, v[10:11]
	v_add_co_u32_e32 v12, vcc, v6, v12
	v_addc_co_u32_e32 v13, vcc, v7, v13, vcc
	v_sub_u32_e32 v10, v33, v8
	global_store_dwordx2 v[12:13], v[76:77], off
	v_lshlrev_b64 v[12:13], 3, v[10:11]
	v_add_co_u32_e32 v12, vcc, v6, v12
	v_addc_co_u32_e32 v13, vcc, v7, v13, vcc
	v_sub_u32_e32 v10, v32, v8
	global_store_dwordx2 v[12:13], v[52:53], off
	v_lshlrev_b64 v[12:13], 3, v[10:11]
	v_add_co_u32_e32 v12, vcc, v6, v12
	v_addc_co_u32_e32 v13, vcc, v7, v13, vcc
	v_sub_u32_e32 v10, v31, v8
	global_store_dwordx2 v[12:13], v[54:55], off
	v_lshlrev_b64 v[12:13], 3, v[10:11]
	v_add_co_u32_e32 v12, vcc, v6, v12
	v_addc_co_u32_e32 v13, vcc, v7, v13, vcc
	v_sub_u32_e32 v10, v30, v8
	global_store_dwordx2 v[12:13], v[56:57], off
	v_lshlrev_b64 v[12:13], 3, v[10:11]
	v_add_co_u32_e32 v12, vcc, v6, v12
	v_addc_co_u32_e32 v13, vcc, v7, v13, vcc
	v_sub_u32_e32 v10, v29, v8
	global_store_dwordx2 v[12:13], v[58:59], off
	v_lshlrev_b64 v[12:13], 3, v[10:11]
	v_add_co_u32_e32 v12, vcc, v6, v12
	v_addc_co_u32_e32 v13, vcc, v7, v13, vcc
	v_sub_u32_e32 v10, v28, v8
	global_store_dwordx2 v[12:13], v[60:61], off
	v_lshlrev_b64 v[12:13], 3, v[10:11]
	v_add_co_u32_e32 v12, vcc, v6, v12
	v_addc_co_u32_e32 v13, vcc, v7, v13, vcc
	v_sub_u32_e32 v10, v27, v8
	global_store_dwordx2 v[12:13], v[62:63], off
	v_lshlrev_b64 v[12:13], 3, v[10:11]
	v_add_co_u32_e32 v12, vcc, v6, v12
	v_addc_co_u32_e32 v13, vcc, v7, v13, vcc
	v_sub_u32_e32 v10, v26, v8
	global_store_dwordx2 v[12:13], v[64:65], off
	v_lshlrev_b64 v[12:13], 3, v[10:11]
	v_add_co_u32_e32 v12, vcc, v6, v12
	v_addc_co_u32_e32 v13, vcc, v7, v13, vcc
	v_sub_u32_e32 v10, v25, v8
	global_store_dwordx2 v[12:13], v[66:67], off
	v_lshlrev_b64 v[12:13], 3, v[10:11]
	v_add_co_u32_e32 v12, vcc, v6, v12
	v_addc_co_u32_e32 v13, vcc, v7, v13, vcc
	v_sub_u32_e32 v10, v24, v8
	global_store_dwordx2 v[12:13], v[68:69], off
	v_lshlrev_b64 v[12:13], 3, v[10:11]
	v_add_co_u32_e32 v12, vcc, v6, v12
	v_addc_co_u32_e32 v13, vcc, v7, v13, vcc
	v_sub_u32_e32 v10, v23, v8
	global_store_dwordx2 v[12:13], v[70:71], off
	v_lshlrev_b64 v[12:13], 3, v[10:11]
	v_add_co_u32_e32 v12, vcc, v6, v12
	v_addc_co_u32_e32 v13, vcc, v7, v13, vcc
	v_sub_u32_e32 v10, v22, v8
	global_store_dwordx2 v[12:13], v[72:73], off
	v_lshlrev_b64 v[12:13], 3, v[10:11]
	v_add_co_u32_e32 v12, vcc, v6, v12
	v_sub_u32_e32 v10, v21, v8
	v_addc_co_u32_e32 v13, vcc, v7, v13, vcc
	v_lshlrev_b64 v[10:11], 3, v[10:11]
	v_add_co_u32_e32 v10, vcc, v6, v10
	v_addc_co_u32_e32 v11, vcc, v7, v11, vcc
	s_or_b64 s[38:39], s[38:39], exec
	global_store_dwordx2 v[12:13], v[74:75], off
	global_store_dwordx2 v[10:11], v[78:79], off
	s_or_b64 exec, exec, s[30:31]
	s_and_b64 exec, exec, s[38:39]
	s_cbranch_execnz .LBB1908_186
	s_branch .LBB1908_187
.LBB1908_254:
	s_and_saveexec_b64 s[38:39], s[28:29]
	s_cbranch_execnz .LBB1908_310
; %bb.255:
	s_or_b64 exec, exec, s[38:39]
	s_and_saveexec_b64 s[28:29], s[26:27]
	s_cbranch_execnz .LBB1908_311
.LBB1908_256:
	s_or_b64 exec, exec, s[28:29]
	s_and_saveexec_b64 s[26:27], s[24:25]
	s_cbranch_execnz .LBB1908_312
.LBB1908_257:
	s_or_b64 exec, exec, s[26:27]
	s_and_saveexec_b64 s[24:25], s[22:23]
	s_cbranch_execnz .LBB1908_313
.LBB1908_258:
	s_or_b64 exec, exec, s[24:25]
	s_and_saveexec_b64 s[22:23], s[20:21]
	s_cbranch_execnz .LBB1908_314
.LBB1908_259:
	s_or_b64 exec, exec, s[22:23]
	s_and_saveexec_b64 s[20:21], s[18:19]
	s_cbranch_execnz .LBB1908_315
.LBB1908_260:
	s_or_b64 exec, exec, s[20:21]
	s_and_saveexec_b64 s[18:19], s[16:17]
	s_cbranch_execnz .LBB1908_316
.LBB1908_261:
	s_or_b64 exec, exec, s[18:19]
	s_and_saveexec_b64 s[16:17], s[14:15]
	s_cbranch_execnz .LBB1908_317
.LBB1908_262:
	s_or_b64 exec, exec, s[16:17]
	s_and_saveexec_b64 s[14:15], s[12:13]
	s_cbranch_execnz .LBB1908_318
.LBB1908_263:
	s_or_b64 exec, exec, s[14:15]
	s_and_saveexec_b64 s[12:13], s[10:11]
	s_cbranch_execnz .LBB1908_319
.LBB1908_264:
	s_or_b64 exec, exec, s[12:13]
	s_and_saveexec_b64 s[10:11], s[8:9]
	s_cbranch_execnz .LBB1908_320
.LBB1908_265:
	s_or_b64 exec, exec, s[10:11]
	s_and_saveexec_b64 s[8:9], s[6:7]
	s_cbranch_execnz .LBB1908_321
.LBB1908_266:
	s_or_b64 exec, exec, s[8:9]
	s_and_saveexec_b64 s[6:7], s[4:5]
	s_cbranch_execnz .LBB1908_322
.LBB1908_267:
	s_or_b64 exec, exec, s[6:7]
	s_and_saveexec_b64 s[4:5], s[2:3]
	s_cbranch_execz .LBB1908_269
.LBB1908_268:
	v_sub_u32_e32 v9, v21, v8
	v_lshlrev_b32_e32 v9, 3, v9
	ds_write_b64 v9, v[78:79]
.LBB1908_269:
	s_or_b64 exec, exec, s[4:5]
	s_and_b64 s[38:39], s[0:1], exec
                                        ; implicit-def: $vgpr76_vgpr77
                                        ; implicit-def: $vgpr52_vgpr53
                                        ; implicit-def: $vgpr54_vgpr55
                                        ; implicit-def: $vgpr56_vgpr57
                                        ; implicit-def: $vgpr58_vgpr59
                                        ; implicit-def: $vgpr60_vgpr61
                                        ; implicit-def: $vgpr62_vgpr63
                                        ; implicit-def: $vgpr64_vgpr65
                                        ; implicit-def: $vgpr66_vgpr67
                                        ; implicit-def: $vgpr68_vgpr69
                                        ; implicit-def: $vgpr70_vgpr71
                                        ; implicit-def: $vgpr72_vgpr73
                                        ; implicit-def: $vgpr74_vgpr75
                                        ; implicit-def: $vgpr78_vgpr79
                                        ; implicit-def: $vgpr97
                                        ; implicit-def: $vgpr33
                                        ; implicit-def: $vgpr32
                                        ; implicit-def: $vgpr31
                                        ; implicit-def: $vgpr30
                                        ; implicit-def: $vgpr29
                                        ; implicit-def: $vgpr28
                                        ; implicit-def: $vgpr27
                                        ; implicit-def: $vgpr26
                                        ; implicit-def: $vgpr25
                                        ; implicit-def: $vgpr24
                                        ; implicit-def: $vgpr23
                                        ; implicit-def: $vgpr22
                                        ; implicit-def: $vgpr21
	s_andn2_saveexec_b64 s[0:1], s[36:37]
	s_cbranch_execz .LBB1908_192
.LBB1908_270:
	v_sub_u32_e32 v9, v97, v8
	v_lshlrev_b32_e32 v9, 3, v9
	ds_write_b64 v9, v[76:77]
	v_sub_u32_e32 v9, v33, v8
	v_lshlrev_b32_e32 v9, 3, v9
	ds_write_b64 v9, v[52:53]
	;; [unrolled: 3-line block ×13, first 2 shown]
	v_sub_u32_e32 v9, v21, v8
	v_lshlrev_b32_e32 v9, 3, v9
	s_or_b64 s[38:39], s[38:39], exec
	ds_write_b64 v9, v[78:79]
	s_or_b64 exec, exec, s[0:1]
	s_and_b64 exec, exec, s[38:39]
	s_cbranch_execnz .LBB1908_193
	s_branch .LBB1908_194
.LBB1908_271:
	v_sub_u32_e32 v38, v97, v50
	v_mov_b32_e32 v39, 0
	v_lshlrev_b64 v[38:39], 2, v[38:39]
	v_add_co_u32_e32 v38, vcc, v34, v38
	v_addc_co_u32_e32 v39, vcc, v35, v39, vcc
	global_store_dword v[38:39], v16, off
	s_or_b64 exec, exec, s[38:39]
	s_and_saveexec_b64 s[38:39], s[26:27]
	s_cbranch_execz .LBB1908_205
.LBB1908_272:
	v_sub_u32_e32 v38, v33, v50
	v_mov_b32_e32 v39, 0
	v_lshlrev_b64 v[38:39], 2, v[38:39]
	v_add_co_u32_e32 v38, vcc, v34, v38
	v_addc_co_u32_e32 v39, vcc, v35, v39, vcc
	global_store_dword v[38:39], v17, off
	s_or_b64 exec, exec, s[38:39]
	s_and_saveexec_b64 s[38:39], s[24:25]
	s_cbranch_execz .LBB1908_206
.LBB1908_273:
	v_sub_u32_e32 v38, v32, v50
	v_mov_b32_e32 v39, 0
	v_lshlrev_b64 v[38:39], 2, v[38:39]
	v_add_co_u32_e32 v38, vcc, v34, v38
	v_addc_co_u32_e32 v39, vcc, v35, v39, vcc
	global_store_dword v[38:39], v14, off
	s_or_b64 exec, exec, s[38:39]
	s_and_saveexec_b64 s[38:39], s[22:23]
	s_cbranch_execz .LBB1908_207
.LBB1908_274:
	v_sub_u32_e32 v38, v31, v50
	v_mov_b32_e32 v39, 0
	v_lshlrev_b64 v[38:39], 2, v[38:39]
	v_add_co_u32_e32 v38, vcc, v34, v38
	v_addc_co_u32_e32 v39, vcc, v35, v39, vcc
	global_store_dword v[38:39], v15, off
	s_or_b64 exec, exec, s[38:39]
	s_and_saveexec_b64 s[38:39], s[20:21]
	s_cbranch_execz .LBB1908_208
.LBB1908_275:
	v_sub_u32_e32 v38, v30, v50
	v_mov_b32_e32 v39, 0
	v_lshlrev_b64 v[38:39], 2, v[38:39]
	v_add_co_u32_e32 v38, vcc, v34, v38
	v_addc_co_u32_e32 v39, vcc, v35, v39, vcc
	global_store_dword v[38:39], v12, off
	s_or_b64 exec, exec, s[38:39]
	s_and_saveexec_b64 s[38:39], s[18:19]
	s_cbranch_execz .LBB1908_209
.LBB1908_276:
	v_sub_u32_e32 v38, v29, v50
	v_mov_b32_e32 v39, 0
	v_lshlrev_b64 v[38:39], 2, v[38:39]
	v_add_co_u32_e32 v38, vcc, v34, v38
	v_addc_co_u32_e32 v39, vcc, v35, v39, vcc
	global_store_dword v[38:39], v13, off
	s_or_b64 exec, exec, s[38:39]
	s_and_saveexec_b64 s[38:39], s[16:17]
	s_cbranch_execz .LBB1908_210
.LBB1908_277:
	v_sub_u32_e32 v38, v28, v50
	v_mov_b32_e32 v39, 0
	v_lshlrev_b64 v[38:39], 2, v[38:39]
	v_add_co_u32_e32 v38, vcc, v34, v38
	v_addc_co_u32_e32 v39, vcc, v35, v39, vcc
	global_store_dword v[38:39], v10, off
	s_or_b64 exec, exec, s[38:39]
	s_and_saveexec_b64 s[38:39], s[14:15]
	s_cbranch_execz .LBB1908_211
.LBB1908_278:
	v_sub_u32_e32 v38, v27, v50
	v_mov_b32_e32 v39, 0
	v_lshlrev_b64 v[38:39], 2, v[38:39]
	v_add_co_u32_e32 v38, vcc, v34, v38
	v_addc_co_u32_e32 v39, vcc, v35, v39, vcc
	global_store_dword v[38:39], v11, off
	s_or_b64 exec, exec, s[38:39]
	s_and_saveexec_b64 s[38:39], s[12:13]
	s_cbranch_execz .LBB1908_212
.LBB1908_279:
	v_sub_u32_e32 v38, v26, v50
	v_mov_b32_e32 v39, 0
	v_lshlrev_b64 v[38:39], 2, v[38:39]
	v_add_co_u32_e32 v38, vcc, v34, v38
	v_addc_co_u32_e32 v39, vcc, v35, v39, vcc
	global_store_dword v[38:39], v8, off
	s_or_b64 exec, exec, s[38:39]
	s_and_saveexec_b64 s[38:39], s[10:11]
	s_cbranch_execz .LBB1908_213
.LBB1908_280:
	v_sub_u32_e32 v38, v25, v50
	v_mov_b32_e32 v39, 0
	v_lshlrev_b64 v[38:39], 2, v[38:39]
	v_add_co_u32_e32 v38, vcc, v34, v38
	v_addc_co_u32_e32 v39, vcc, v35, v39, vcc
	global_store_dword v[38:39], v9, off
	s_or_b64 exec, exec, s[38:39]
	s_and_saveexec_b64 s[38:39], s[8:9]
	s_cbranch_execz .LBB1908_214
.LBB1908_281:
	v_sub_u32_e32 v38, v24, v50
	v_mov_b32_e32 v39, 0
	v_lshlrev_b64 v[38:39], 2, v[38:39]
	v_add_co_u32_e32 v38, vcc, v34, v38
	v_addc_co_u32_e32 v39, vcc, v35, v39, vcc
	global_store_dword v[38:39], v6, off
	s_or_b64 exec, exec, s[38:39]
	s_and_saveexec_b64 s[38:39], s[6:7]
	s_cbranch_execz .LBB1908_215
.LBB1908_282:
	v_sub_u32_e32 v38, v23, v50
	v_mov_b32_e32 v39, 0
	v_lshlrev_b64 v[38:39], 2, v[38:39]
	v_add_co_u32_e32 v38, vcc, v34, v38
	v_addc_co_u32_e32 v39, vcc, v35, v39, vcc
	global_store_dword v[38:39], v7, off
	s_or_b64 exec, exec, s[38:39]
	s_and_saveexec_b64 s[38:39], s[4:5]
	s_cbranch_execz .LBB1908_216
.LBB1908_283:
	v_sub_u32_e32 v38, v22, v50
	v_mov_b32_e32 v39, 0
	v_lshlrev_b64 v[38:39], 2, v[38:39]
	v_add_co_u32_e32 v38, vcc, v34, v38
	v_addc_co_u32_e32 v39, vcc, v35, v39, vcc
	global_store_dword v[38:39], v4, off
	s_or_b64 exec, exec, s[38:39]
	s_and_saveexec_b64 s[38:39], s[2:3]
	s_cbranch_execnz .LBB1908_217
	s_branch .LBB1908_218
.LBB1908_284:
	v_sub_u32_e32 v36, v97, v50
	v_lshlrev_b32_e32 v36, 2, v36
	ds_write_b32 v36, v16
	s_or_b64 exec, exec, s[38:39]
	s_and_saveexec_b64 s[28:29], s[26:27]
	s_cbranch_execz .LBB1908_222
.LBB1908_285:
	v_sub_u32_e32 v16, v33, v50
	v_lshlrev_b32_e32 v16, 2, v16
	ds_write_b32 v16, v17
	s_or_b64 exec, exec, s[28:29]
	s_and_saveexec_b64 s[26:27], s[24:25]
	s_cbranch_execz .LBB1908_223
.LBB1908_286:
	v_sub_u32_e32 v16, v32, v50
	v_lshlrev_b32_e32 v16, 2, v16
	ds_write_b32 v16, v14
	s_or_b64 exec, exec, s[26:27]
	s_and_saveexec_b64 s[24:25], s[22:23]
	s_cbranch_execz .LBB1908_224
.LBB1908_287:
	v_sub_u32_e32 v14, v31, v50
	v_lshlrev_b32_e32 v14, 2, v14
	ds_write_b32 v14, v15
	s_or_b64 exec, exec, s[24:25]
	s_and_saveexec_b64 s[22:23], s[20:21]
	s_cbranch_execz .LBB1908_225
.LBB1908_288:
	v_sub_u32_e32 v14, v30, v50
	v_lshlrev_b32_e32 v14, 2, v14
	ds_write_b32 v14, v12
	s_or_b64 exec, exec, s[22:23]
	s_and_saveexec_b64 s[20:21], s[18:19]
	s_cbranch_execz .LBB1908_226
.LBB1908_289:
	v_sub_u32_e32 v12, v29, v50
	v_lshlrev_b32_e32 v12, 2, v12
	ds_write_b32 v12, v13
	s_or_b64 exec, exec, s[20:21]
	s_and_saveexec_b64 s[18:19], s[16:17]
	s_cbranch_execz .LBB1908_227
.LBB1908_290:
	v_sub_u32_e32 v12, v28, v50
	v_lshlrev_b32_e32 v12, 2, v12
	ds_write_b32 v12, v10
	s_or_b64 exec, exec, s[18:19]
	s_and_saveexec_b64 s[16:17], s[14:15]
	s_cbranch_execz .LBB1908_228
.LBB1908_291:
	v_sub_u32_e32 v10, v27, v50
	v_lshlrev_b32_e32 v10, 2, v10
	ds_write_b32 v10, v11
	s_or_b64 exec, exec, s[16:17]
	s_and_saveexec_b64 s[14:15], s[12:13]
	s_cbranch_execz .LBB1908_229
.LBB1908_292:
	v_sub_u32_e32 v10, v26, v50
	v_lshlrev_b32_e32 v10, 2, v10
	ds_write_b32 v10, v8
	s_or_b64 exec, exec, s[14:15]
	s_and_saveexec_b64 s[12:13], s[10:11]
	s_cbranch_execz .LBB1908_230
.LBB1908_293:
	v_sub_u32_e32 v8, v25, v50
	v_lshlrev_b32_e32 v8, 2, v8
	ds_write_b32 v8, v9
	s_or_b64 exec, exec, s[12:13]
	s_and_saveexec_b64 s[10:11], s[8:9]
	s_cbranch_execz .LBB1908_231
.LBB1908_294:
	v_sub_u32_e32 v8, v24, v50
	v_lshlrev_b32_e32 v8, 2, v8
	ds_write_b32 v8, v6
	s_or_b64 exec, exec, s[10:11]
	s_and_saveexec_b64 s[8:9], s[6:7]
	s_cbranch_execz .LBB1908_232
.LBB1908_295:
	v_sub_u32_e32 v6, v23, v50
	v_lshlrev_b32_e32 v6, 2, v6
	ds_write_b32 v6, v7
	s_or_b64 exec, exec, s[8:9]
	s_and_saveexec_b64 s[6:7], s[4:5]
	s_cbranch_execz .LBB1908_233
.LBB1908_296:
	v_sub_u32_e32 v6, v22, v50
	v_lshlrev_b32_e32 v6, 2, v6
	ds_write_b32 v6, v4
	s_or_b64 exec, exec, s[6:7]
	s_and_saveexec_b64 s[4:5], s[2:3]
	s_cbranch_execnz .LBB1908_234
	s_branch .LBB1908_235
.LBB1908_297:
	v_sub_u32_e32 v10, v97, v8
	v_mov_b32_e32 v11, 0
	v_lshlrev_b64 v[10:11], 3, v[10:11]
	v_add_co_u32_e32 v10, vcc, v6, v10
	v_addc_co_u32_e32 v11, vcc, v7, v11, vcc
	global_store_dwordx2 v[10:11], v[76:77], off
	s_or_b64 exec, exec, s[38:39]
	s_and_saveexec_b64 s[38:39], s[26:27]
	s_cbranch_execz .LBB1908_239
.LBB1908_298:
	v_sub_u32_e32 v10, v33, v8
	v_mov_b32_e32 v11, 0
	v_lshlrev_b64 v[10:11], 3, v[10:11]
	v_add_co_u32_e32 v10, vcc, v6, v10
	v_addc_co_u32_e32 v11, vcc, v7, v11, vcc
	global_store_dwordx2 v[10:11], v[52:53], off
	s_or_b64 exec, exec, s[38:39]
	s_and_saveexec_b64 s[38:39], s[24:25]
	s_cbranch_execz .LBB1908_240
.LBB1908_299:
	v_sub_u32_e32 v10, v32, v8
	v_mov_b32_e32 v11, 0
	v_lshlrev_b64 v[10:11], 3, v[10:11]
	v_add_co_u32_e32 v10, vcc, v6, v10
	v_addc_co_u32_e32 v11, vcc, v7, v11, vcc
	global_store_dwordx2 v[10:11], v[54:55], off
	s_or_b64 exec, exec, s[38:39]
	s_and_saveexec_b64 s[38:39], s[22:23]
	s_cbranch_execz .LBB1908_241
.LBB1908_300:
	v_sub_u32_e32 v10, v31, v8
	v_mov_b32_e32 v11, 0
	v_lshlrev_b64 v[10:11], 3, v[10:11]
	v_add_co_u32_e32 v10, vcc, v6, v10
	v_addc_co_u32_e32 v11, vcc, v7, v11, vcc
	global_store_dwordx2 v[10:11], v[56:57], off
	s_or_b64 exec, exec, s[38:39]
	s_and_saveexec_b64 s[38:39], s[20:21]
	s_cbranch_execz .LBB1908_242
.LBB1908_301:
	v_sub_u32_e32 v10, v30, v8
	v_mov_b32_e32 v11, 0
	v_lshlrev_b64 v[10:11], 3, v[10:11]
	v_add_co_u32_e32 v10, vcc, v6, v10
	v_addc_co_u32_e32 v11, vcc, v7, v11, vcc
	global_store_dwordx2 v[10:11], v[58:59], off
	s_or_b64 exec, exec, s[38:39]
	s_and_saveexec_b64 s[38:39], s[18:19]
	s_cbranch_execz .LBB1908_243
.LBB1908_302:
	v_sub_u32_e32 v10, v29, v8
	v_mov_b32_e32 v11, 0
	v_lshlrev_b64 v[10:11], 3, v[10:11]
	v_add_co_u32_e32 v10, vcc, v6, v10
	v_addc_co_u32_e32 v11, vcc, v7, v11, vcc
	global_store_dwordx2 v[10:11], v[60:61], off
	s_or_b64 exec, exec, s[38:39]
	s_and_saveexec_b64 s[38:39], s[16:17]
	s_cbranch_execz .LBB1908_244
.LBB1908_303:
	v_sub_u32_e32 v10, v28, v8
	v_mov_b32_e32 v11, 0
	v_lshlrev_b64 v[10:11], 3, v[10:11]
	v_add_co_u32_e32 v10, vcc, v6, v10
	v_addc_co_u32_e32 v11, vcc, v7, v11, vcc
	global_store_dwordx2 v[10:11], v[62:63], off
	s_or_b64 exec, exec, s[38:39]
	s_and_saveexec_b64 s[38:39], s[14:15]
	s_cbranch_execz .LBB1908_245
.LBB1908_304:
	v_sub_u32_e32 v10, v27, v8
	v_mov_b32_e32 v11, 0
	v_lshlrev_b64 v[10:11], 3, v[10:11]
	v_add_co_u32_e32 v10, vcc, v6, v10
	v_addc_co_u32_e32 v11, vcc, v7, v11, vcc
	global_store_dwordx2 v[10:11], v[64:65], off
	s_or_b64 exec, exec, s[38:39]
	s_and_saveexec_b64 s[38:39], s[12:13]
	s_cbranch_execz .LBB1908_246
.LBB1908_305:
	v_sub_u32_e32 v10, v26, v8
	v_mov_b32_e32 v11, 0
	v_lshlrev_b64 v[10:11], 3, v[10:11]
	v_add_co_u32_e32 v10, vcc, v6, v10
	v_addc_co_u32_e32 v11, vcc, v7, v11, vcc
	global_store_dwordx2 v[10:11], v[66:67], off
	s_or_b64 exec, exec, s[38:39]
	s_and_saveexec_b64 s[38:39], s[10:11]
	s_cbranch_execz .LBB1908_247
.LBB1908_306:
	v_sub_u32_e32 v10, v25, v8
	v_mov_b32_e32 v11, 0
	v_lshlrev_b64 v[10:11], 3, v[10:11]
	v_add_co_u32_e32 v10, vcc, v6, v10
	v_addc_co_u32_e32 v11, vcc, v7, v11, vcc
	global_store_dwordx2 v[10:11], v[68:69], off
	s_or_b64 exec, exec, s[38:39]
	s_and_saveexec_b64 s[38:39], s[8:9]
	s_cbranch_execz .LBB1908_248
.LBB1908_307:
	v_sub_u32_e32 v10, v24, v8
	v_mov_b32_e32 v11, 0
	v_lshlrev_b64 v[10:11], 3, v[10:11]
	v_add_co_u32_e32 v10, vcc, v6, v10
	v_addc_co_u32_e32 v11, vcc, v7, v11, vcc
	global_store_dwordx2 v[10:11], v[70:71], off
	s_or_b64 exec, exec, s[38:39]
	s_and_saveexec_b64 s[38:39], s[6:7]
	s_cbranch_execz .LBB1908_249
.LBB1908_308:
	v_sub_u32_e32 v10, v23, v8
	v_mov_b32_e32 v11, 0
	v_lshlrev_b64 v[10:11], 3, v[10:11]
	v_add_co_u32_e32 v10, vcc, v6, v10
	v_addc_co_u32_e32 v11, vcc, v7, v11, vcc
	global_store_dwordx2 v[10:11], v[72:73], off
	s_or_b64 exec, exec, s[38:39]
	s_and_saveexec_b64 s[38:39], s[4:5]
	s_cbranch_execz .LBB1908_250
.LBB1908_309:
	v_sub_u32_e32 v10, v22, v8
	v_mov_b32_e32 v11, 0
	v_lshlrev_b64 v[10:11], 3, v[10:11]
	v_add_co_u32_e32 v10, vcc, v6, v10
	v_addc_co_u32_e32 v11, vcc, v7, v11, vcc
	global_store_dwordx2 v[10:11], v[74:75], off
	s_or_b64 exec, exec, s[38:39]
	s_and_saveexec_b64 s[38:39], s[2:3]
	s_cbranch_execnz .LBB1908_251
	s_branch .LBB1908_252
.LBB1908_310:
	v_sub_u32_e32 v9, v97, v8
	v_lshlrev_b32_e32 v9, 3, v9
	ds_write_b64 v9, v[76:77]
	s_or_b64 exec, exec, s[38:39]
	s_and_saveexec_b64 s[28:29], s[26:27]
	s_cbranch_execz .LBB1908_256
.LBB1908_311:
	v_sub_u32_e32 v9, v33, v8
	v_lshlrev_b32_e32 v9, 3, v9
	ds_write_b64 v9, v[52:53]
	s_or_b64 exec, exec, s[28:29]
	s_and_saveexec_b64 s[26:27], s[24:25]
	s_cbranch_execz .LBB1908_257
.LBB1908_312:
	v_sub_u32_e32 v9, v32, v8
	v_lshlrev_b32_e32 v9, 3, v9
	ds_write_b64 v9, v[54:55]
	s_or_b64 exec, exec, s[26:27]
	s_and_saveexec_b64 s[24:25], s[22:23]
	s_cbranch_execz .LBB1908_258
.LBB1908_313:
	v_sub_u32_e32 v9, v31, v8
	v_lshlrev_b32_e32 v9, 3, v9
	ds_write_b64 v9, v[56:57]
	s_or_b64 exec, exec, s[24:25]
	s_and_saveexec_b64 s[22:23], s[20:21]
	s_cbranch_execz .LBB1908_259
.LBB1908_314:
	v_sub_u32_e32 v9, v30, v8
	v_lshlrev_b32_e32 v9, 3, v9
	ds_write_b64 v9, v[58:59]
	s_or_b64 exec, exec, s[22:23]
	s_and_saveexec_b64 s[20:21], s[18:19]
	s_cbranch_execz .LBB1908_260
.LBB1908_315:
	v_sub_u32_e32 v9, v29, v8
	v_lshlrev_b32_e32 v9, 3, v9
	ds_write_b64 v9, v[60:61]
	s_or_b64 exec, exec, s[20:21]
	s_and_saveexec_b64 s[18:19], s[16:17]
	s_cbranch_execz .LBB1908_261
.LBB1908_316:
	v_sub_u32_e32 v9, v28, v8
	v_lshlrev_b32_e32 v9, 3, v9
	ds_write_b64 v9, v[62:63]
	s_or_b64 exec, exec, s[18:19]
	s_and_saveexec_b64 s[16:17], s[14:15]
	s_cbranch_execz .LBB1908_262
.LBB1908_317:
	v_sub_u32_e32 v9, v27, v8
	v_lshlrev_b32_e32 v9, 3, v9
	ds_write_b64 v9, v[64:65]
	s_or_b64 exec, exec, s[16:17]
	s_and_saveexec_b64 s[14:15], s[12:13]
	s_cbranch_execz .LBB1908_263
.LBB1908_318:
	v_sub_u32_e32 v9, v26, v8
	v_lshlrev_b32_e32 v9, 3, v9
	ds_write_b64 v9, v[66:67]
	s_or_b64 exec, exec, s[14:15]
	s_and_saveexec_b64 s[12:13], s[10:11]
	s_cbranch_execz .LBB1908_264
.LBB1908_319:
	v_sub_u32_e32 v9, v25, v8
	v_lshlrev_b32_e32 v9, 3, v9
	ds_write_b64 v9, v[68:69]
	s_or_b64 exec, exec, s[12:13]
	s_and_saveexec_b64 s[10:11], s[8:9]
	s_cbranch_execz .LBB1908_265
.LBB1908_320:
	v_sub_u32_e32 v9, v24, v8
	v_lshlrev_b32_e32 v9, 3, v9
	ds_write_b64 v9, v[70:71]
	s_or_b64 exec, exec, s[10:11]
	s_and_saveexec_b64 s[8:9], s[6:7]
	s_cbranch_execz .LBB1908_266
.LBB1908_321:
	v_sub_u32_e32 v9, v23, v8
	v_lshlrev_b32_e32 v9, 3, v9
	ds_write_b64 v9, v[72:73]
	s_or_b64 exec, exec, s[8:9]
	s_and_saveexec_b64 s[6:7], s[4:5]
	s_cbranch_execz .LBB1908_267
.LBB1908_322:
	v_sub_u32_e32 v9, v22, v8
	v_lshlrev_b32_e32 v9, 3, v9
	ds_write_b64 v9, v[74:75]
	s_or_b64 exec, exec, s[6:7]
	s_and_saveexec_b64 s[4:5], s[2:3]
	s_cbranch_execnz .LBB1908_268
	s_branch .LBB1908_269
	.section	.rodata,"a",@progbits
	.p2align	6, 0x0
	.amdhsa_kernel _ZN7rocprim17ROCPRIM_400000_NS6detail17trampoline_kernelINS0_14default_configENS1_29reduce_by_key_config_selectorIflN6thrust23THRUST_200600_302600_NS4plusIlEEEEZZNS1_33reduce_by_key_impl_wrapped_configILNS1_25lookback_scan_determinismE0ES3_S9_PfNS6_17constant_iteratorIiNS6_11use_defaultESE_EENS6_10device_ptrIfEENSG_IlEEPmS8_NS6_8equal_toIfEEEE10hipError_tPvRmT2_T3_mT4_T5_T6_T7_T8_P12ihipStream_tbENKUlT_T0_E_clISt17integral_constantIbLb0EES13_EEDaSY_SZ_EUlSY_E_NS1_11comp_targetILNS1_3genE4ELNS1_11target_archE910ELNS1_3gpuE8ELNS1_3repE0EEENS1_30default_config_static_selectorELNS0_4arch9wavefront6targetE1EEEvT1_
		.amdhsa_group_segment_fixed_size 30720
		.amdhsa_private_segment_fixed_size 0
		.amdhsa_kernarg_size 144
		.amdhsa_user_sgpr_count 6
		.amdhsa_user_sgpr_private_segment_buffer 1
		.amdhsa_user_sgpr_dispatch_ptr 0
		.amdhsa_user_sgpr_queue_ptr 0
		.amdhsa_user_sgpr_kernarg_segment_ptr 1
		.amdhsa_user_sgpr_dispatch_id 0
		.amdhsa_user_sgpr_flat_scratch_init 0
		.amdhsa_user_sgpr_kernarg_preload_length 0
		.amdhsa_user_sgpr_kernarg_preload_offset 0
		.amdhsa_user_sgpr_private_segment_size 0
		.amdhsa_uses_dynamic_stack 0
		.amdhsa_system_sgpr_private_segment_wavefront_offset 0
		.amdhsa_system_sgpr_workgroup_id_x 1
		.amdhsa_system_sgpr_workgroup_id_y 0
		.amdhsa_system_sgpr_workgroup_id_z 0
		.amdhsa_system_sgpr_workgroup_info 0
		.amdhsa_system_vgpr_workitem_id 0
		.amdhsa_next_free_vgpr 122
		.amdhsa_next_free_sgpr 62
		.amdhsa_accum_offset 124
		.amdhsa_reserve_vcc 1
		.amdhsa_reserve_flat_scratch 0
		.amdhsa_float_round_mode_32 0
		.amdhsa_float_round_mode_16_64 0
		.amdhsa_float_denorm_mode_32 3
		.amdhsa_float_denorm_mode_16_64 3
		.amdhsa_dx10_clamp 1
		.amdhsa_ieee_mode 1
		.amdhsa_fp16_overflow 0
		.amdhsa_tg_split 0
		.amdhsa_exception_fp_ieee_invalid_op 0
		.amdhsa_exception_fp_denorm_src 0
		.amdhsa_exception_fp_ieee_div_zero 0
		.amdhsa_exception_fp_ieee_overflow 0
		.amdhsa_exception_fp_ieee_underflow 0
		.amdhsa_exception_fp_ieee_inexact 0
		.amdhsa_exception_int_div_zero 0
	.end_amdhsa_kernel
	.section	.text._ZN7rocprim17ROCPRIM_400000_NS6detail17trampoline_kernelINS0_14default_configENS1_29reduce_by_key_config_selectorIflN6thrust23THRUST_200600_302600_NS4plusIlEEEEZZNS1_33reduce_by_key_impl_wrapped_configILNS1_25lookback_scan_determinismE0ES3_S9_PfNS6_17constant_iteratorIiNS6_11use_defaultESE_EENS6_10device_ptrIfEENSG_IlEEPmS8_NS6_8equal_toIfEEEE10hipError_tPvRmT2_T3_mT4_T5_T6_T7_T8_P12ihipStream_tbENKUlT_T0_E_clISt17integral_constantIbLb0EES13_EEDaSY_SZ_EUlSY_E_NS1_11comp_targetILNS1_3genE4ELNS1_11target_archE910ELNS1_3gpuE8ELNS1_3repE0EEENS1_30default_config_static_selectorELNS0_4arch9wavefront6targetE1EEEvT1_,"axG",@progbits,_ZN7rocprim17ROCPRIM_400000_NS6detail17trampoline_kernelINS0_14default_configENS1_29reduce_by_key_config_selectorIflN6thrust23THRUST_200600_302600_NS4plusIlEEEEZZNS1_33reduce_by_key_impl_wrapped_configILNS1_25lookback_scan_determinismE0ES3_S9_PfNS6_17constant_iteratorIiNS6_11use_defaultESE_EENS6_10device_ptrIfEENSG_IlEEPmS8_NS6_8equal_toIfEEEE10hipError_tPvRmT2_T3_mT4_T5_T6_T7_T8_P12ihipStream_tbENKUlT_T0_E_clISt17integral_constantIbLb0EES13_EEDaSY_SZ_EUlSY_E_NS1_11comp_targetILNS1_3genE4ELNS1_11target_archE910ELNS1_3gpuE8ELNS1_3repE0EEENS1_30default_config_static_selectorELNS0_4arch9wavefront6targetE1EEEvT1_,comdat
.Lfunc_end1908:
	.size	_ZN7rocprim17ROCPRIM_400000_NS6detail17trampoline_kernelINS0_14default_configENS1_29reduce_by_key_config_selectorIflN6thrust23THRUST_200600_302600_NS4plusIlEEEEZZNS1_33reduce_by_key_impl_wrapped_configILNS1_25lookback_scan_determinismE0ES3_S9_PfNS6_17constant_iteratorIiNS6_11use_defaultESE_EENS6_10device_ptrIfEENSG_IlEEPmS8_NS6_8equal_toIfEEEE10hipError_tPvRmT2_T3_mT4_T5_T6_T7_T8_P12ihipStream_tbENKUlT_T0_E_clISt17integral_constantIbLb0EES13_EEDaSY_SZ_EUlSY_E_NS1_11comp_targetILNS1_3genE4ELNS1_11target_archE910ELNS1_3gpuE8ELNS1_3repE0EEENS1_30default_config_static_selectorELNS0_4arch9wavefront6targetE1EEEvT1_, .Lfunc_end1908-_ZN7rocprim17ROCPRIM_400000_NS6detail17trampoline_kernelINS0_14default_configENS1_29reduce_by_key_config_selectorIflN6thrust23THRUST_200600_302600_NS4plusIlEEEEZZNS1_33reduce_by_key_impl_wrapped_configILNS1_25lookback_scan_determinismE0ES3_S9_PfNS6_17constant_iteratorIiNS6_11use_defaultESE_EENS6_10device_ptrIfEENSG_IlEEPmS8_NS6_8equal_toIfEEEE10hipError_tPvRmT2_T3_mT4_T5_T6_T7_T8_P12ihipStream_tbENKUlT_T0_E_clISt17integral_constantIbLb0EES13_EEDaSY_SZ_EUlSY_E_NS1_11comp_targetILNS1_3genE4ELNS1_11target_archE910ELNS1_3gpuE8ELNS1_3repE0EEENS1_30default_config_static_selectorELNS0_4arch9wavefront6targetE1EEEvT1_
                                        ; -- End function
	.section	.AMDGPU.csdata,"",@progbits
; Kernel info:
; codeLenInByte = 16888
; NumSgprs: 66
; NumVgprs: 122
; NumAgprs: 0
; TotalNumVgprs: 122
; ScratchSize: 0
; MemoryBound: 0
; FloatMode: 240
; IeeeMode: 1
; LDSByteSize: 30720 bytes/workgroup (compile time only)
; SGPRBlocks: 8
; VGPRBlocks: 15
; NumSGPRsForWavesPerEU: 66
; NumVGPRsForWavesPerEU: 122
; AccumOffset: 124
; Occupancy: 2
; WaveLimiterHint : 1
; COMPUTE_PGM_RSRC2:SCRATCH_EN: 0
; COMPUTE_PGM_RSRC2:USER_SGPR: 6
; COMPUTE_PGM_RSRC2:TRAP_HANDLER: 0
; COMPUTE_PGM_RSRC2:TGID_X_EN: 1
; COMPUTE_PGM_RSRC2:TGID_Y_EN: 0
; COMPUTE_PGM_RSRC2:TGID_Z_EN: 0
; COMPUTE_PGM_RSRC2:TIDIG_COMP_CNT: 0
; COMPUTE_PGM_RSRC3_GFX90A:ACCUM_OFFSET: 30
; COMPUTE_PGM_RSRC3_GFX90A:TG_SPLIT: 0
	.section	.text._ZN7rocprim17ROCPRIM_400000_NS6detail17trampoline_kernelINS0_14default_configENS1_29reduce_by_key_config_selectorIflN6thrust23THRUST_200600_302600_NS4plusIlEEEEZZNS1_33reduce_by_key_impl_wrapped_configILNS1_25lookback_scan_determinismE0ES3_S9_PfNS6_17constant_iteratorIiNS6_11use_defaultESE_EENS6_10device_ptrIfEENSG_IlEEPmS8_NS6_8equal_toIfEEEE10hipError_tPvRmT2_T3_mT4_T5_T6_T7_T8_P12ihipStream_tbENKUlT_T0_E_clISt17integral_constantIbLb0EES13_EEDaSY_SZ_EUlSY_E_NS1_11comp_targetILNS1_3genE3ELNS1_11target_archE908ELNS1_3gpuE7ELNS1_3repE0EEENS1_30default_config_static_selectorELNS0_4arch9wavefront6targetE1EEEvT1_,"axG",@progbits,_ZN7rocprim17ROCPRIM_400000_NS6detail17trampoline_kernelINS0_14default_configENS1_29reduce_by_key_config_selectorIflN6thrust23THRUST_200600_302600_NS4plusIlEEEEZZNS1_33reduce_by_key_impl_wrapped_configILNS1_25lookback_scan_determinismE0ES3_S9_PfNS6_17constant_iteratorIiNS6_11use_defaultESE_EENS6_10device_ptrIfEENSG_IlEEPmS8_NS6_8equal_toIfEEEE10hipError_tPvRmT2_T3_mT4_T5_T6_T7_T8_P12ihipStream_tbENKUlT_T0_E_clISt17integral_constantIbLb0EES13_EEDaSY_SZ_EUlSY_E_NS1_11comp_targetILNS1_3genE3ELNS1_11target_archE908ELNS1_3gpuE7ELNS1_3repE0EEENS1_30default_config_static_selectorELNS0_4arch9wavefront6targetE1EEEvT1_,comdat
	.protected	_ZN7rocprim17ROCPRIM_400000_NS6detail17trampoline_kernelINS0_14default_configENS1_29reduce_by_key_config_selectorIflN6thrust23THRUST_200600_302600_NS4plusIlEEEEZZNS1_33reduce_by_key_impl_wrapped_configILNS1_25lookback_scan_determinismE0ES3_S9_PfNS6_17constant_iteratorIiNS6_11use_defaultESE_EENS6_10device_ptrIfEENSG_IlEEPmS8_NS6_8equal_toIfEEEE10hipError_tPvRmT2_T3_mT4_T5_T6_T7_T8_P12ihipStream_tbENKUlT_T0_E_clISt17integral_constantIbLb0EES13_EEDaSY_SZ_EUlSY_E_NS1_11comp_targetILNS1_3genE3ELNS1_11target_archE908ELNS1_3gpuE7ELNS1_3repE0EEENS1_30default_config_static_selectorELNS0_4arch9wavefront6targetE1EEEvT1_ ; -- Begin function _ZN7rocprim17ROCPRIM_400000_NS6detail17trampoline_kernelINS0_14default_configENS1_29reduce_by_key_config_selectorIflN6thrust23THRUST_200600_302600_NS4plusIlEEEEZZNS1_33reduce_by_key_impl_wrapped_configILNS1_25lookback_scan_determinismE0ES3_S9_PfNS6_17constant_iteratorIiNS6_11use_defaultESE_EENS6_10device_ptrIfEENSG_IlEEPmS8_NS6_8equal_toIfEEEE10hipError_tPvRmT2_T3_mT4_T5_T6_T7_T8_P12ihipStream_tbENKUlT_T0_E_clISt17integral_constantIbLb0EES13_EEDaSY_SZ_EUlSY_E_NS1_11comp_targetILNS1_3genE3ELNS1_11target_archE908ELNS1_3gpuE7ELNS1_3repE0EEENS1_30default_config_static_selectorELNS0_4arch9wavefront6targetE1EEEvT1_
	.globl	_ZN7rocprim17ROCPRIM_400000_NS6detail17trampoline_kernelINS0_14default_configENS1_29reduce_by_key_config_selectorIflN6thrust23THRUST_200600_302600_NS4plusIlEEEEZZNS1_33reduce_by_key_impl_wrapped_configILNS1_25lookback_scan_determinismE0ES3_S9_PfNS6_17constant_iteratorIiNS6_11use_defaultESE_EENS6_10device_ptrIfEENSG_IlEEPmS8_NS6_8equal_toIfEEEE10hipError_tPvRmT2_T3_mT4_T5_T6_T7_T8_P12ihipStream_tbENKUlT_T0_E_clISt17integral_constantIbLb0EES13_EEDaSY_SZ_EUlSY_E_NS1_11comp_targetILNS1_3genE3ELNS1_11target_archE908ELNS1_3gpuE7ELNS1_3repE0EEENS1_30default_config_static_selectorELNS0_4arch9wavefront6targetE1EEEvT1_
	.p2align	8
	.type	_ZN7rocprim17ROCPRIM_400000_NS6detail17trampoline_kernelINS0_14default_configENS1_29reduce_by_key_config_selectorIflN6thrust23THRUST_200600_302600_NS4plusIlEEEEZZNS1_33reduce_by_key_impl_wrapped_configILNS1_25lookback_scan_determinismE0ES3_S9_PfNS6_17constant_iteratorIiNS6_11use_defaultESE_EENS6_10device_ptrIfEENSG_IlEEPmS8_NS6_8equal_toIfEEEE10hipError_tPvRmT2_T3_mT4_T5_T6_T7_T8_P12ihipStream_tbENKUlT_T0_E_clISt17integral_constantIbLb0EES13_EEDaSY_SZ_EUlSY_E_NS1_11comp_targetILNS1_3genE3ELNS1_11target_archE908ELNS1_3gpuE7ELNS1_3repE0EEENS1_30default_config_static_selectorELNS0_4arch9wavefront6targetE1EEEvT1_,@function
_ZN7rocprim17ROCPRIM_400000_NS6detail17trampoline_kernelINS0_14default_configENS1_29reduce_by_key_config_selectorIflN6thrust23THRUST_200600_302600_NS4plusIlEEEEZZNS1_33reduce_by_key_impl_wrapped_configILNS1_25lookback_scan_determinismE0ES3_S9_PfNS6_17constant_iteratorIiNS6_11use_defaultESE_EENS6_10device_ptrIfEENSG_IlEEPmS8_NS6_8equal_toIfEEEE10hipError_tPvRmT2_T3_mT4_T5_T6_T7_T8_P12ihipStream_tbENKUlT_T0_E_clISt17integral_constantIbLb0EES13_EEDaSY_SZ_EUlSY_E_NS1_11comp_targetILNS1_3genE3ELNS1_11target_archE908ELNS1_3gpuE7ELNS1_3repE0EEENS1_30default_config_static_selectorELNS0_4arch9wavefront6targetE1EEEvT1_: ; @_ZN7rocprim17ROCPRIM_400000_NS6detail17trampoline_kernelINS0_14default_configENS1_29reduce_by_key_config_selectorIflN6thrust23THRUST_200600_302600_NS4plusIlEEEEZZNS1_33reduce_by_key_impl_wrapped_configILNS1_25lookback_scan_determinismE0ES3_S9_PfNS6_17constant_iteratorIiNS6_11use_defaultESE_EENS6_10device_ptrIfEENSG_IlEEPmS8_NS6_8equal_toIfEEEE10hipError_tPvRmT2_T3_mT4_T5_T6_T7_T8_P12ihipStream_tbENKUlT_T0_E_clISt17integral_constantIbLb0EES13_EEDaSY_SZ_EUlSY_E_NS1_11comp_targetILNS1_3genE3ELNS1_11target_archE908ELNS1_3gpuE7ELNS1_3repE0EEENS1_30default_config_static_selectorELNS0_4arch9wavefront6targetE1EEEvT1_
; %bb.0:
	.section	.rodata,"a",@progbits
	.p2align	6, 0x0
	.amdhsa_kernel _ZN7rocprim17ROCPRIM_400000_NS6detail17trampoline_kernelINS0_14default_configENS1_29reduce_by_key_config_selectorIflN6thrust23THRUST_200600_302600_NS4plusIlEEEEZZNS1_33reduce_by_key_impl_wrapped_configILNS1_25lookback_scan_determinismE0ES3_S9_PfNS6_17constant_iteratorIiNS6_11use_defaultESE_EENS6_10device_ptrIfEENSG_IlEEPmS8_NS6_8equal_toIfEEEE10hipError_tPvRmT2_T3_mT4_T5_T6_T7_T8_P12ihipStream_tbENKUlT_T0_E_clISt17integral_constantIbLb0EES13_EEDaSY_SZ_EUlSY_E_NS1_11comp_targetILNS1_3genE3ELNS1_11target_archE908ELNS1_3gpuE7ELNS1_3repE0EEENS1_30default_config_static_selectorELNS0_4arch9wavefront6targetE1EEEvT1_
		.amdhsa_group_segment_fixed_size 0
		.amdhsa_private_segment_fixed_size 0
		.amdhsa_kernarg_size 144
		.amdhsa_user_sgpr_count 6
		.amdhsa_user_sgpr_private_segment_buffer 1
		.amdhsa_user_sgpr_dispatch_ptr 0
		.amdhsa_user_sgpr_queue_ptr 0
		.amdhsa_user_sgpr_kernarg_segment_ptr 1
		.amdhsa_user_sgpr_dispatch_id 0
		.amdhsa_user_sgpr_flat_scratch_init 0
		.amdhsa_user_sgpr_kernarg_preload_length 0
		.amdhsa_user_sgpr_kernarg_preload_offset 0
		.amdhsa_user_sgpr_private_segment_size 0
		.amdhsa_uses_dynamic_stack 0
		.amdhsa_system_sgpr_private_segment_wavefront_offset 0
		.amdhsa_system_sgpr_workgroup_id_x 1
		.amdhsa_system_sgpr_workgroup_id_y 0
		.amdhsa_system_sgpr_workgroup_id_z 0
		.amdhsa_system_sgpr_workgroup_info 0
		.amdhsa_system_vgpr_workitem_id 0
		.amdhsa_next_free_vgpr 1
		.amdhsa_next_free_sgpr 0
		.amdhsa_accum_offset 4
		.amdhsa_reserve_vcc 0
		.amdhsa_reserve_flat_scratch 0
		.amdhsa_float_round_mode_32 0
		.amdhsa_float_round_mode_16_64 0
		.amdhsa_float_denorm_mode_32 3
		.amdhsa_float_denorm_mode_16_64 3
		.amdhsa_dx10_clamp 1
		.amdhsa_ieee_mode 1
		.amdhsa_fp16_overflow 0
		.amdhsa_tg_split 0
		.amdhsa_exception_fp_ieee_invalid_op 0
		.amdhsa_exception_fp_denorm_src 0
		.amdhsa_exception_fp_ieee_div_zero 0
		.amdhsa_exception_fp_ieee_overflow 0
		.amdhsa_exception_fp_ieee_underflow 0
		.amdhsa_exception_fp_ieee_inexact 0
		.amdhsa_exception_int_div_zero 0
	.end_amdhsa_kernel
	.section	.text._ZN7rocprim17ROCPRIM_400000_NS6detail17trampoline_kernelINS0_14default_configENS1_29reduce_by_key_config_selectorIflN6thrust23THRUST_200600_302600_NS4plusIlEEEEZZNS1_33reduce_by_key_impl_wrapped_configILNS1_25lookback_scan_determinismE0ES3_S9_PfNS6_17constant_iteratorIiNS6_11use_defaultESE_EENS6_10device_ptrIfEENSG_IlEEPmS8_NS6_8equal_toIfEEEE10hipError_tPvRmT2_T3_mT4_T5_T6_T7_T8_P12ihipStream_tbENKUlT_T0_E_clISt17integral_constantIbLb0EES13_EEDaSY_SZ_EUlSY_E_NS1_11comp_targetILNS1_3genE3ELNS1_11target_archE908ELNS1_3gpuE7ELNS1_3repE0EEENS1_30default_config_static_selectorELNS0_4arch9wavefront6targetE1EEEvT1_,"axG",@progbits,_ZN7rocprim17ROCPRIM_400000_NS6detail17trampoline_kernelINS0_14default_configENS1_29reduce_by_key_config_selectorIflN6thrust23THRUST_200600_302600_NS4plusIlEEEEZZNS1_33reduce_by_key_impl_wrapped_configILNS1_25lookback_scan_determinismE0ES3_S9_PfNS6_17constant_iteratorIiNS6_11use_defaultESE_EENS6_10device_ptrIfEENSG_IlEEPmS8_NS6_8equal_toIfEEEE10hipError_tPvRmT2_T3_mT4_T5_T6_T7_T8_P12ihipStream_tbENKUlT_T0_E_clISt17integral_constantIbLb0EES13_EEDaSY_SZ_EUlSY_E_NS1_11comp_targetILNS1_3genE3ELNS1_11target_archE908ELNS1_3gpuE7ELNS1_3repE0EEENS1_30default_config_static_selectorELNS0_4arch9wavefront6targetE1EEEvT1_,comdat
.Lfunc_end1909:
	.size	_ZN7rocprim17ROCPRIM_400000_NS6detail17trampoline_kernelINS0_14default_configENS1_29reduce_by_key_config_selectorIflN6thrust23THRUST_200600_302600_NS4plusIlEEEEZZNS1_33reduce_by_key_impl_wrapped_configILNS1_25lookback_scan_determinismE0ES3_S9_PfNS6_17constant_iteratorIiNS6_11use_defaultESE_EENS6_10device_ptrIfEENSG_IlEEPmS8_NS6_8equal_toIfEEEE10hipError_tPvRmT2_T3_mT4_T5_T6_T7_T8_P12ihipStream_tbENKUlT_T0_E_clISt17integral_constantIbLb0EES13_EEDaSY_SZ_EUlSY_E_NS1_11comp_targetILNS1_3genE3ELNS1_11target_archE908ELNS1_3gpuE7ELNS1_3repE0EEENS1_30default_config_static_selectorELNS0_4arch9wavefront6targetE1EEEvT1_, .Lfunc_end1909-_ZN7rocprim17ROCPRIM_400000_NS6detail17trampoline_kernelINS0_14default_configENS1_29reduce_by_key_config_selectorIflN6thrust23THRUST_200600_302600_NS4plusIlEEEEZZNS1_33reduce_by_key_impl_wrapped_configILNS1_25lookback_scan_determinismE0ES3_S9_PfNS6_17constant_iteratorIiNS6_11use_defaultESE_EENS6_10device_ptrIfEENSG_IlEEPmS8_NS6_8equal_toIfEEEE10hipError_tPvRmT2_T3_mT4_T5_T6_T7_T8_P12ihipStream_tbENKUlT_T0_E_clISt17integral_constantIbLb0EES13_EEDaSY_SZ_EUlSY_E_NS1_11comp_targetILNS1_3genE3ELNS1_11target_archE908ELNS1_3gpuE7ELNS1_3repE0EEENS1_30default_config_static_selectorELNS0_4arch9wavefront6targetE1EEEvT1_
                                        ; -- End function
	.section	.AMDGPU.csdata,"",@progbits
; Kernel info:
; codeLenInByte = 0
; NumSgprs: 4
; NumVgprs: 0
; NumAgprs: 0
; TotalNumVgprs: 0
; ScratchSize: 0
; MemoryBound: 0
; FloatMode: 240
; IeeeMode: 1
; LDSByteSize: 0 bytes/workgroup (compile time only)
; SGPRBlocks: 0
; VGPRBlocks: 0
; NumSGPRsForWavesPerEU: 4
; NumVGPRsForWavesPerEU: 1
; AccumOffset: 4
; Occupancy: 8
; WaveLimiterHint : 0
; COMPUTE_PGM_RSRC2:SCRATCH_EN: 0
; COMPUTE_PGM_RSRC2:USER_SGPR: 6
; COMPUTE_PGM_RSRC2:TRAP_HANDLER: 0
; COMPUTE_PGM_RSRC2:TGID_X_EN: 1
; COMPUTE_PGM_RSRC2:TGID_Y_EN: 0
; COMPUTE_PGM_RSRC2:TGID_Z_EN: 0
; COMPUTE_PGM_RSRC2:TIDIG_COMP_CNT: 0
; COMPUTE_PGM_RSRC3_GFX90A:ACCUM_OFFSET: 0
; COMPUTE_PGM_RSRC3_GFX90A:TG_SPLIT: 0
	.section	.text._ZN7rocprim17ROCPRIM_400000_NS6detail17trampoline_kernelINS0_14default_configENS1_29reduce_by_key_config_selectorIflN6thrust23THRUST_200600_302600_NS4plusIlEEEEZZNS1_33reduce_by_key_impl_wrapped_configILNS1_25lookback_scan_determinismE0ES3_S9_PfNS6_17constant_iteratorIiNS6_11use_defaultESE_EENS6_10device_ptrIfEENSG_IlEEPmS8_NS6_8equal_toIfEEEE10hipError_tPvRmT2_T3_mT4_T5_T6_T7_T8_P12ihipStream_tbENKUlT_T0_E_clISt17integral_constantIbLb0EES13_EEDaSY_SZ_EUlSY_E_NS1_11comp_targetILNS1_3genE2ELNS1_11target_archE906ELNS1_3gpuE6ELNS1_3repE0EEENS1_30default_config_static_selectorELNS0_4arch9wavefront6targetE1EEEvT1_,"axG",@progbits,_ZN7rocprim17ROCPRIM_400000_NS6detail17trampoline_kernelINS0_14default_configENS1_29reduce_by_key_config_selectorIflN6thrust23THRUST_200600_302600_NS4plusIlEEEEZZNS1_33reduce_by_key_impl_wrapped_configILNS1_25lookback_scan_determinismE0ES3_S9_PfNS6_17constant_iteratorIiNS6_11use_defaultESE_EENS6_10device_ptrIfEENSG_IlEEPmS8_NS6_8equal_toIfEEEE10hipError_tPvRmT2_T3_mT4_T5_T6_T7_T8_P12ihipStream_tbENKUlT_T0_E_clISt17integral_constantIbLb0EES13_EEDaSY_SZ_EUlSY_E_NS1_11comp_targetILNS1_3genE2ELNS1_11target_archE906ELNS1_3gpuE6ELNS1_3repE0EEENS1_30default_config_static_selectorELNS0_4arch9wavefront6targetE1EEEvT1_,comdat
	.protected	_ZN7rocprim17ROCPRIM_400000_NS6detail17trampoline_kernelINS0_14default_configENS1_29reduce_by_key_config_selectorIflN6thrust23THRUST_200600_302600_NS4plusIlEEEEZZNS1_33reduce_by_key_impl_wrapped_configILNS1_25lookback_scan_determinismE0ES3_S9_PfNS6_17constant_iteratorIiNS6_11use_defaultESE_EENS6_10device_ptrIfEENSG_IlEEPmS8_NS6_8equal_toIfEEEE10hipError_tPvRmT2_T3_mT4_T5_T6_T7_T8_P12ihipStream_tbENKUlT_T0_E_clISt17integral_constantIbLb0EES13_EEDaSY_SZ_EUlSY_E_NS1_11comp_targetILNS1_3genE2ELNS1_11target_archE906ELNS1_3gpuE6ELNS1_3repE0EEENS1_30default_config_static_selectorELNS0_4arch9wavefront6targetE1EEEvT1_ ; -- Begin function _ZN7rocprim17ROCPRIM_400000_NS6detail17trampoline_kernelINS0_14default_configENS1_29reduce_by_key_config_selectorIflN6thrust23THRUST_200600_302600_NS4plusIlEEEEZZNS1_33reduce_by_key_impl_wrapped_configILNS1_25lookback_scan_determinismE0ES3_S9_PfNS6_17constant_iteratorIiNS6_11use_defaultESE_EENS6_10device_ptrIfEENSG_IlEEPmS8_NS6_8equal_toIfEEEE10hipError_tPvRmT2_T3_mT4_T5_T6_T7_T8_P12ihipStream_tbENKUlT_T0_E_clISt17integral_constantIbLb0EES13_EEDaSY_SZ_EUlSY_E_NS1_11comp_targetILNS1_3genE2ELNS1_11target_archE906ELNS1_3gpuE6ELNS1_3repE0EEENS1_30default_config_static_selectorELNS0_4arch9wavefront6targetE1EEEvT1_
	.globl	_ZN7rocprim17ROCPRIM_400000_NS6detail17trampoline_kernelINS0_14default_configENS1_29reduce_by_key_config_selectorIflN6thrust23THRUST_200600_302600_NS4plusIlEEEEZZNS1_33reduce_by_key_impl_wrapped_configILNS1_25lookback_scan_determinismE0ES3_S9_PfNS6_17constant_iteratorIiNS6_11use_defaultESE_EENS6_10device_ptrIfEENSG_IlEEPmS8_NS6_8equal_toIfEEEE10hipError_tPvRmT2_T3_mT4_T5_T6_T7_T8_P12ihipStream_tbENKUlT_T0_E_clISt17integral_constantIbLb0EES13_EEDaSY_SZ_EUlSY_E_NS1_11comp_targetILNS1_3genE2ELNS1_11target_archE906ELNS1_3gpuE6ELNS1_3repE0EEENS1_30default_config_static_selectorELNS0_4arch9wavefront6targetE1EEEvT1_
	.p2align	8
	.type	_ZN7rocprim17ROCPRIM_400000_NS6detail17trampoline_kernelINS0_14default_configENS1_29reduce_by_key_config_selectorIflN6thrust23THRUST_200600_302600_NS4plusIlEEEEZZNS1_33reduce_by_key_impl_wrapped_configILNS1_25lookback_scan_determinismE0ES3_S9_PfNS6_17constant_iteratorIiNS6_11use_defaultESE_EENS6_10device_ptrIfEENSG_IlEEPmS8_NS6_8equal_toIfEEEE10hipError_tPvRmT2_T3_mT4_T5_T6_T7_T8_P12ihipStream_tbENKUlT_T0_E_clISt17integral_constantIbLb0EES13_EEDaSY_SZ_EUlSY_E_NS1_11comp_targetILNS1_3genE2ELNS1_11target_archE906ELNS1_3gpuE6ELNS1_3repE0EEENS1_30default_config_static_selectorELNS0_4arch9wavefront6targetE1EEEvT1_,@function
_ZN7rocprim17ROCPRIM_400000_NS6detail17trampoline_kernelINS0_14default_configENS1_29reduce_by_key_config_selectorIflN6thrust23THRUST_200600_302600_NS4plusIlEEEEZZNS1_33reduce_by_key_impl_wrapped_configILNS1_25lookback_scan_determinismE0ES3_S9_PfNS6_17constant_iteratorIiNS6_11use_defaultESE_EENS6_10device_ptrIfEENSG_IlEEPmS8_NS6_8equal_toIfEEEE10hipError_tPvRmT2_T3_mT4_T5_T6_T7_T8_P12ihipStream_tbENKUlT_T0_E_clISt17integral_constantIbLb0EES13_EEDaSY_SZ_EUlSY_E_NS1_11comp_targetILNS1_3genE2ELNS1_11target_archE906ELNS1_3gpuE6ELNS1_3repE0EEENS1_30default_config_static_selectorELNS0_4arch9wavefront6targetE1EEEvT1_: ; @_ZN7rocprim17ROCPRIM_400000_NS6detail17trampoline_kernelINS0_14default_configENS1_29reduce_by_key_config_selectorIflN6thrust23THRUST_200600_302600_NS4plusIlEEEEZZNS1_33reduce_by_key_impl_wrapped_configILNS1_25lookback_scan_determinismE0ES3_S9_PfNS6_17constant_iteratorIiNS6_11use_defaultESE_EENS6_10device_ptrIfEENSG_IlEEPmS8_NS6_8equal_toIfEEEE10hipError_tPvRmT2_T3_mT4_T5_T6_T7_T8_P12ihipStream_tbENKUlT_T0_E_clISt17integral_constantIbLb0EES13_EEDaSY_SZ_EUlSY_E_NS1_11comp_targetILNS1_3genE2ELNS1_11target_archE906ELNS1_3gpuE6ELNS1_3repE0EEENS1_30default_config_static_selectorELNS0_4arch9wavefront6targetE1EEEvT1_
; %bb.0:
	.section	.rodata,"a",@progbits
	.p2align	6, 0x0
	.amdhsa_kernel _ZN7rocprim17ROCPRIM_400000_NS6detail17trampoline_kernelINS0_14default_configENS1_29reduce_by_key_config_selectorIflN6thrust23THRUST_200600_302600_NS4plusIlEEEEZZNS1_33reduce_by_key_impl_wrapped_configILNS1_25lookback_scan_determinismE0ES3_S9_PfNS6_17constant_iteratorIiNS6_11use_defaultESE_EENS6_10device_ptrIfEENSG_IlEEPmS8_NS6_8equal_toIfEEEE10hipError_tPvRmT2_T3_mT4_T5_T6_T7_T8_P12ihipStream_tbENKUlT_T0_E_clISt17integral_constantIbLb0EES13_EEDaSY_SZ_EUlSY_E_NS1_11comp_targetILNS1_3genE2ELNS1_11target_archE906ELNS1_3gpuE6ELNS1_3repE0EEENS1_30default_config_static_selectorELNS0_4arch9wavefront6targetE1EEEvT1_
		.amdhsa_group_segment_fixed_size 0
		.amdhsa_private_segment_fixed_size 0
		.amdhsa_kernarg_size 144
		.amdhsa_user_sgpr_count 6
		.amdhsa_user_sgpr_private_segment_buffer 1
		.amdhsa_user_sgpr_dispatch_ptr 0
		.amdhsa_user_sgpr_queue_ptr 0
		.amdhsa_user_sgpr_kernarg_segment_ptr 1
		.amdhsa_user_sgpr_dispatch_id 0
		.amdhsa_user_sgpr_flat_scratch_init 0
		.amdhsa_user_sgpr_kernarg_preload_length 0
		.amdhsa_user_sgpr_kernarg_preload_offset 0
		.amdhsa_user_sgpr_private_segment_size 0
		.amdhsa_uses_dynamic_stack 0
		.amdhsa_system_sgpr_private_segment_wavefront_offset 0
		.amdhsa_system_sgpr_workgroup_id_x 1
		.amdhsa_system_sgpr_workgroup_id_y 0
		.amdhsa_system_sgpr_workgroup_id_z 0
		.amdhsa_system_sgpr_workgroup_info 0
		.amdhsa_system_vgpr_workitem_id 0
		.amdhsa_next_free_vgpr 1
		.amdhsa_next_free_sgpr 0
		.amdhsa_accum_offset 4
		.amdhsa_reserve_vcc 0
		.amdhsa_reserve_flat_scratch 0
		.amdhsa_float_round_mode_32 0
		.amdhsa_float_round_mode_16_64 0
		.amdhsa_float_denorm_mode_32 3
		.amdhsa_float_denorm_mode_16_64 3
		.amdhsa_dx10_clamp 1
		.amdhsa_ieee_mode 1
		.amdhsa_fp16_overflow 0
		.amdhsa_tg_split 0
		.amdhsa_exception_fp_ieee_invalid_op 0
		.amdhsa_exception_fp_denorm_src 0
		.amdhsa_exception_fp_ieee_div_zero 0
		.amdhsa_exception_fp_ieee_overflow 0
		.amdhsa_exception_fp_ieee_underflow 0
		.amdhsa_exception_fp_ieee_inexact 0
		.amdhsa_exception_int_div_zero 0
	.end_amdhsa_kernel
	.section	.text._ZN7rocprim17ROCPRIM_400000_NS6detail17trampoline_kernelINS0_14default_configENS1_29reduce_by_key_config_selectorIflN6thrust23THRUST_200600_302600_NS4plusIlEEEEZZNS1_33reduce_by_key_impl_wrapped_configILNS1_25lookback_scan_determinismE0ES3_S9_PfNS6_17constant_iteratorIiNS6_11use_defaultESE_EENS6_10device_ptrIfEENSG_IlEEPmS8_NS6_8equal_toIfEEEE10hipError_tPvRmT2_T3_mT4_T5_T6_T7_T8_P12ihipStream_tbENKUlT_T0_E_clISt17integral_constantIbLb0EES13_EEDaSY_SZ_EUlSY_E_NS1_11comp_targetILNS1_3genE2ELNS1_11target_archE906ELNS1_3gpuE6ELNS1_3repE0EEENS1_30default_config_static_selectorELNS0_4arch9wavefront6targetE1EEEvT1_,"axG",@progbits,_ZN7rocprim17ROCPRIM_400000_NS6detail17trampoline_kernelINS0_14default_configENS1_29reduce_by_key_config_selectorIflN6thrust23THRUST_200600_302600_NS4plusIlEEEEZZNS1_33reduce_by_key_impl_wrapped_configILNS1_25lookback_scan_determinismE0ES3_S9_PfNS6_17constant_iteratorIiNS6_11use_defaultESE_EENS6_10device_ptrIfEENSG_IlEEPmS8_NS6_8equal_toIfEEEE10hipError_tPvRmT2_T3_mT4_T5_T6_T7_T8_P12ihipStream_tbENKUlT_T0_E_clISt17integral_constantIbLb0EES13_EEDaSY_SZ_EUlSY_E_NS1_11comp_targetILNS1_3genE2ELNS1_11target_archE906ELNS1_3gpuE6ELNS1_3repE0EEENS1_30default_config_static_selectorELNS0_4arch9wavefront6targetE1EEEvT1_,comdat
.Lfunc_end1910:
	.size	_ZN7rocprim17ROCPRIM_400000_NS6detail17trampoline_kernelINS0_14default_configENS1_29reduce_by_key_config_selectorIflN6thrust23THRUST_200600_302600_NS4plusIlEEEEZZNS1_33reduce_by_key_impl_wrapped_configILNS1_25lookback_scan_determinismE0ES3_S9_PfNS6_17constant_iteratorIiNS6_11use_defaultESE_EENS6_10device_ptrIfEENSG_IlEEPmS8_NS6_8equal_toIfEEEE10hipError_tPvRmT2_T3_mT4_T5_T6_T7_T8_P12ihipStream_tbENKUlT_T0_E_clISt17integral_constantIbLb0EES13_EEDaSY_SZ_EUlSY_E_NS1_11comp_targetILNS1_3genE2ELNS1_11target_archE906ELNS1_3gpuE6ELNS1_3repE0EEENS1_30default_config_static_selectorELNS0_4arch9wavefront6targetE1EEEvT1_, .Lfunc_end1910-_ZN7rocprim17ROCPRIM_400000_NS6detail17trampoline_kernelINS0_14default_configENS1_29reduce_by_key_config_selectorIflN6thrust23THRUST_200600_302600_NS4plusIlEEEEZZNS1_33reduce_by_key_impl_wrapped_configILNS1_25lookback_scan_determinismE0ES3_S9_PfNS6_17constant_iteratorIiNS6_11use_defaultESE_EENS6_10device_ptrIfEENSG_IlEEPmS8_NS6_8equal_toIfEEEE10hipError_tPvRmT2_T3_mT4_T5_T6_T7_T8_P12ihipStream_tbENKUlT_T0_E_clISt17integral_constantIbLb0EES13_EEDaSY_SZ_EUlSY_E_NS1_11comp_targetILNS1_3genE2ELNS1_11target_archE906ELNS1_3gpuE6ELNS1_3repE0EEENS1_30default_config_static_selectorELNS0_4arch9wavefront6targetE1EEEvT1_
                                        ; -- End function
	.section	.AMDGPU.csdata,"",@progbits
; Kernel info:
; codeLenInByte = 0
; NumSgprs: 4
; NumVgprs: 0
; NumAgprs: 0
; TotalNumVgprs: 0
; ScratchSize: 0
; MemoryBound: 0
; FloatMode: 240
; IeeeMode: 1
; LDSByteSize: 0 bytes/workgroup (compile time only)
; SGPRBlocks: 0
; VGPRBlocks: 0
; NumSGPRsForWavesPerEU: 4
; NumVGPRsForWavesPerEU: 1
; AccumOffset: 4
; Occupancy: 8
; WaveLimiterHint : 0
; COMPUTE_PGM_RSRC2:SCRATCH_EN: 0
; COMPUTE_PGM_RSRC2:USER_SGPR: 6
; COMPUTE_PGM_RSRC2:TRAP_HANDLER: 0
; COMPUTE_PGM_RSRC2:TGID_X_EN: 1
; COMPUTE_PGM_RSRC2:TGID_Y_EN: 0
; COMPUTE_PGM_RSRC2:TGID_Z_EN: 0
; COMPUTE_PGM_RSRC2:TIDIG_COMP_CNT: 0
; COMPUTE_PGM_RSRC3_GFX90A:ACCUM_OFFSET: 0
; COMPUTE_PGM_RSRC3_GFX90A:TG_SPLIT: 0
	.section	.text._ZN7rocprim17ROCPRIM_400000_NS6detail17trampoline_kernelINS0_14default_configENS1_29reduce_by_key_config_selectorIflN6thrust23THRUST_200600_302600_NS4plusIlEEEEZZNS1_33reduce_by_key_impl_wrapped_configILNS1_25lookback_scan_determinismE0ES3_S9_PfNS6_17constant_iteratorIiNS6_11use_defaultESE_EENS6_10device_ptrIfEENSG_IlEEPmS8_NS6_8equal_toIfEEEE10hipError_tPvRmT2_T3_mT4_T5_T6_T7_T8_P12ihipStream_tbENKUlT_T0_E_clISt17integral_constantIbLb0EES13_EEDaSY_SZ_EUlSY_E_NS1_11comp_targetILNS1_3genE10ELNS1_11target_archE1201ELNS1_3gpuE5ELNS1_3repE0EEENS1_30default_config_static_selectorELNS0_4arch9wavefront6targetE1EEEvT1_,"axG",@progbits,_ZN7rocprim17ROCPRIM_400000_NS6detail17trampoline_kernelINS0_14default_configENS1_29reduce_by_key_config_selectorIflN6thrust23THRUST_200600_302600_NS4plusIlEEEEZZNS1_33reduce_by_key_impl_wrapped_configILNS1_25lookback_scan_determinismE0ES3_S9_PfNS6_17constant_iteratorIiNS6_11use_defaultESE_EENS6_10device_ptrIfEENSG_IlEEPmS8_NS6_8equal_toIfEEEE10hipError_tPvRmT2_T3_mT4_T5_T6_T7_T8_P12ihipStream_tbENKUlT_T0_E_clISt17integral_constantIbLb0EES13_EEDaSY_SZ_EUlSY_E_NS1_11comp_targetILNS1_3genE10ELNS1_11target_archE1201ELNS1_3gpuE5ELNS1_3repE0EEENS1_30default_config_static_selectorELNS0_4arch9wavefront6targetE1EEEvT1_,comdat
	.protected	_ZN7rocprim17ROCPRIM_400000_NS6detail17trampoline_kernelINS0_14default_configENS1_29reduce_by_key_config_selectorIflN6thrust23THRUST_200600_302600_NS4plusIlEEEEZZNS1_33reduce_by_key_impl_wrapped_configILNS1_25lookback_scan_determinismE0ES3_S9_PfNS6_17constant_iteratorIiNS6_11use_defaultESE_EENS6_10device_ptrIfEENSG_IlEEPmS8_NS6_8equal_toIfEEEE10hipError_tPvRmT2_T3_mT4_T5_T6_T7_T8_P12ihipStream_tbENKUlT_T0_E_clISt17integral_constantIbLb0EES13_EEDaSY_SZ_EUlSY_E_NS1_11comp_targetILNS1_3genE10ELNS1_11target_archE1201ELNS1_3gpuE5ELNS1_3repE0EEENS1_30default_config_static_selectorELNS0_4arch9wavefront6targetE1EEEvT1_ ; -- Begin function _ZN7rocprim17ROCPRIM_400000_NS6detail17trampoline_kernelINS0_14default_configENS1_29reduce_by_key_config_selectorIflN6thrust23THRUST_200600_302600_NS4plusIlEEEEZZNS1_33reduce_by_key_impl_wrapped_configILNS1_25lookback_scan_determinismE0ES3_S9_PfNS6_17constant_iteratorIiNS6_11use_defaultESE_EENS6_10device_ptrIfEENSG_IlEEPmS8_NS6_8equal_toIfEEEE10hipError_tPvRmT2_T3_mT4_T5_T6_T7_T8_P12ihipStream_tbENKUlT_T0_E_clISt17integral_constantIbLb0EES13_EEDaSY_SZ_EUlSY_E_NS1_11comp_targetILNS1_3genE10ELNS1_11target_archE1201ELNS1_3gpuE5ELNS1_3repE0EEENS1_30default_config_static_selectorELNS0_4arch9wavefront6targetE1EEEvT1_
	.globl	_ZN7rocprim17ROCPRIM_400000_NS6detail17trampoline_kernelINS0_14default_configENS1_29reduce_by_key_config_selectorIflN6thrust23THRUST_200600_302600_NS4plusIlEEEEZZNS1_33reduce_by_key_impl_wrapped_configILNS1_25lookback_scan_determinismE0ES3_S9_PfNS6_17constant_iteratorIiNS6_11use_defaultESE_EENS6_10device_ptrIfEENSG_IlEEPmS8_NS6_8equal_toIfEEEE10hipError_tPvRmT2_T3_mT4_T5_T6_T7_T8_P12ihipStream_tbENKUlT_T0_E_clISt17integral_constantIbLb0EES13_EEDaSY_SZ_EUlSY_E_NS1_11comp_targetILNS1_3genE10ELNS1_11target_archE1201ELNS1_3gpuE5ELNS1_3repE0EEENS1_30default_config_static_selectorELNS0_4arch9wavefront6targetE1EEEvT1_
	.p2align	8
	.type	_ZN7rocprim17ROCPRIM_400000_NS6detail17trampoline_kernelINS0_14default_configENS1_29reduce_by_key_config_selectorIflN6thrust23THRUST_200600_302600_NS4plusIlEEEEZZNS1_33reduce_by_key_impl_wrapped_configILNS1_25lookback_scan_determinismE0ES3_S9_PfNS6_17constant_iteratorIiNS6_11use_defaultESE_EENS6_10device_ptrIfEENSG_IlEEPmS8_NS6_8equal_toIfEEEE10hipError_tPvRmT2_T3_mT4_T5_T6_T7_T8_P12ihipStream_tbENKUlT_T0_E_clISt17integral_constantIbLb0EES13_EEDaSY_SZ_EUlSY_E_NS1_11comp_targetILNS1_3genE10ELNS1_11target_archE1201ELNS1_3gpuE5ELNS1_3repE0EEENS1_30default_config_static_selectorELNS0_4arch9wavefront6targetE1EEEvT1_,@function
_ZN7rocprim17ROCPRIM_400000_NS6detail17trampoline_kernelINS0_14default_configENS1_29reduce_by_key_config_selectorIflN6thrust23THRUST_200600_302600_NS4plusIlEEEEZZNS1_33reduce_by_key_impl_wrapped_configILNS1_25lookback_scan_determinismE0ES3_S9_PfNS6_17constant_iteratorIiNS6_11use_defaultESE_EENS6_10device_ptrIfEENSG_IlEEPmS8_NS6_8equal_toIfEEEE10hipError_tPvRmT2_T3_mT4_T5_T6_T7_T8_P12ihipStream_tbENKUlT_T0_E_clISt17integral_constantIbLb0EES13_EEDaSY_SZ_EUlSY_E_NS1_11comp_targetILNS1_3genE10ELNS1_11target_archE1201ELNS1_3gpuE5ELNS1_3repE0EEENS1_30default_config_static_selectorELNS0_4arch9wavefront6targetE1EEEvT1_: ; @_ZN7rocprim17ROCPRIM_400000_NS6detail17trampoline_kernelINS0_14default_configENS1_29reduce_by_key_config_selectorIflN6thrust23THRUST_200600_302600_NS4plusIlEEEEZZNS1_33reduce_by_key_impl_wrapped_configILNS1_25lookback_scan_determinismE0ES3_S9_PfNS6_17constant_iteratorIiNS6_11use_defaultESE_EENS6_10device_ptrIfEENSG_IlEEPmS8_NS6_8equal_toIfEEEE10hipError_tPvRmT2_T3_mT4_T5_T6_T7_T8_P12ihipStream_tbENKUlT_T0_E_clISt17integral_constantIbLb0EES13_EEDaSY_SZ_EUlSY_E_NS1_11comp_targetILNS1_3genE10ELNS1_11target_archE1201ELNS1_3gpuE5ELNS1_3repE0EEENS1_30default_config_static_selectorELNS0_4arch9wavefront6targetE1EEEvT1_
; %bb.0:
	.section	.rodata,"a",@progbits
	.p2align	6, 0x0
	.amdhsa_kernel _ZN7rocprim17ROCPRIM_400000_NS6detail17trampoline_kernelINS0_14default_configENS1_29reduce_by_key_config_selectorIflN6thrust23THRUST_200600_302600_NS4plusIlEEEEZZNS1_33reduce_by_key_impl_wrapped_configILNS1_25lookback_scan_determinismE0ES3_S9_PfNS6_17constant_iteratorIiNS6_11use_defaultESE_EENS6_10device_ptrIfEENSG_IlEEPmS8_NS6_8equal_toIfEEEE10hipError_tPvRmT2_T3_mT4_T5_T6_T7_T8_P12ihipStream_tbENKUlT_T0_E_clISt17integral_constantIbLb0EES13_EEDaSY_SZ_EUlSY_E_NS1_11comp_targetILNS1_3genE10ELNS1_11target_archE1201ELNS1_3gpuE5ELNS1_3repE0EEENS1_30default_config_static_selectorELNS0_4arch9wavefront6targetE1EEEvT1_
		.amdhsa_group_segment_fixed_size 0
		.amdhsa_private_segment_fixed_size 0
		.amdhsa_kernarg_size 144
		.amdhsa_user_sgpr_count 6
		.amdhsa_user_sgpr_private_segment_buffer 1
		.amdhsa_user_sgpr_dispatch_ptr 0
		.amdhsa_user_sgpr_queue_ptr 0
		.amdhsa_user_sgpr_kernarg_segment_ptr 1
		.amdhsa_user_sgpr_dispatch_id 0
		.amdhsa_user_sgpr_flat_scratch_init 0
		.amdhsa_user_sgpr_kernarg_preload_length 0
		.amdhsa_user_sgpr_kernarg_preload_offset 0
		.amdhsa_user_sgpr_private_segment_size 0
		.amdhsa_uses_dynamic_stack 0
		.amdhsa_system_sgpr_private_segment_wavefront_offset 0
		.amdhsa_system_sgpr_workgroup_id_x 1
		.amdhsa_system_sgpr_workgroup_id_y 0
		.amdhsa_system_sgpr_workgroup_id_z 0
		.amdhsa_system_sgpr_workgroup_info 0
		.amdhsa_system_vgpr_workitem_id 0
		.amdhsa_next_free_vgpr 1
		.amdhsa_next_free_sgpr 0
		.amdhsa_accum_offset 4
		.amdhsa_reserve_vcc 0
		.amdhsa_reserve_flat_scratch 0
		.amdhsa_float_round_mode_32 0
		.amdhsa_float_round_mode_16_64 0
		.amdhsa_float_denorm_mode_32 3
		.amdhsa_float_denorm_mode_16_64 3
		.amdhsa_dx10_clamp 1
		.amdhsa_ieee_mode 1
		.amdhsa_fp16_overflow 0
		.amdhsa_tg_split 0
		.amdhsa_exception_fp_ieee_invalid_op 0
		.amdhsa_exception_fp_denorm_src 0
		.amdhsa_exception_fp_ieee_div_zero 0
		.amdhsa_exception_fp_ieee_overflow 0
		.amdhsa_exception_fp_ieee_underflow 0
		.amdhsa_exception_fp_ieee_inexact 0
		.amdhsa_exception_int_div_zero 0
	.end_amdhsa_kernel
	.section	.text._ZN7rocprim17ROCPRIM_400000_NS6detail17trampoline_kernelINS0_14default_configENS1_29reduce_by_key_config_selectorIflN6thrust23THRUST_200600_302600_NS4plusIlEEEEZZNS1_33reduce_by_key_impl_wrapped_configILNS1_25lookback_scan_determinismE0ES3_S9_PfNS6_17constant_iteratorIiNS6_11use_defaultESE_EENS6_10device_ptrIfEENSG_IlEEPmS8_NS6_8equal_toIfEEEE10hipError_tPvRmT2_T3_mT4_T5_T6_T7_T8_P12ihipStream_tbENKUlT_T0_E_clISt17integral_constantIbLb0EES13_EEDaSY_SZ_EUlSY_E_NS1_11comp_targetILNS1_3genE10ELNS1_11target_archE1201ELNS1_3gpuE5ELNS1_3repE0EEENS1_30default_config_static_selectorELNS0_4arch9wavefront6targetE1EEEvT1_,"axG",@progbits,_ZN7rocprim17ROCPRIM_400000_NS6detail17trampoline_kernelINS0_14default_configENS1_29reduce_by_key_config_selectorIflN6thrust23THRUST_200600_302600_NS4plusIlEEEEZZNS1_33reduce_by_key_impl_wrapped_configILNS1_25lookback_scan_determinismE0ES3_S9_PfNS6_17constant_iteratorIiNS6_11use_defaultESE_EENS6_10device_ptrIfEENSG_IlEEPmS8_NS6_8equal_toIfEEEE10hipError_tPvRmT2_T3_mT4_T5_T6_T7_T8_P12ihipStream_tbENKUlT_T0_E_clISt17integral_constantIbLb0EES13_EEDaSY_SZ_EUlSY_E_NS1_11comp_targetILNS1_3genE10ELNS1_11target_archE1201ELNS1_3gpuE5ELNS1_3repE0EEENS1_30default_config_static_selectorELNS0_4arch9wavefront6targetE1EEEvT1_,comdat
.Lfunc_end1911:
	.size	_ZN7rocprim17ROCPRIM_400000_NS6detail17trampoline_kernelINS0_14default_configENS1_29reduce_by_key_config_selectorIflN6thrust23THRUST_200600_302600_NS4plusIlEEEEZZNS1_33reduce_by_key_impl_wrapped_configILNS1_25lookback_scan_determinismE0ES3_S9_PfNS6_17constant_iteratorIiNS6_11use_defaultESE_EENS6_10device_ptrIfEENSG_IlEEPmS8_NS6_8equal_toIfEEEE10hipError_tPvRmT2_T3_mT4_T5_T6_T7_T8_P12ihipStream_tbENKUlT_T0_E_clISt17integral_constantIbLb0EES13_EEDaSY_SZ_EUlSY_E_NS1_11comp_targetILNS1_3genE10ELNS1_11target_archE1201ELNS1_3gpuE5ELNS1_3repE0EEENS1_30default_config_static_selectorELNS0_4arch9wavefront6targetE1EEEvT1_, .Lfunc_end1911-_ZN7rocprim17ROCPRIM_400000_NS6detail17trampoline_kernelINS0_14default_configENS1_29reduce_by_key_config_selectorIflN6thrust23THRUST_200600_302600_NS4plusIlEEEEZZNS1_33reduce_by_key_impl_wrapped_configILNS1_25lookback_scan_determinismE0ES3_S9_PfNS6_17constant_iteratorIiNS6_11use_defaultESE_EENS6_10device_ptrIfEENSG_IlEEPmS8_NS6_8equal_toIfEEEE10hipError_tPvRmT2_T3_mT4_T5_T6_T7_T8_P12ihipStream_tbENKUlT_T0_E_clISt17integral_constantIbLb0EES13_EEDaSY_SZ_EUlSY_E_NS1_11comp_targetILNS1_3genE10ELNS1_11target_archE1201ELNS1_3gpuE5ELNS1_3repE0EEENS1_30default_config_static_selectorELNS0_4arch9wavefront6targetE1EEEvT1_
                                        ; -- End function
	.section	.AMDGPU.csdata,"",@progbits
; Kernel info:
; codeLenInByte = 0
; NumSgprs: 4
; NumVgprs: 0
; NumAgprs: 0
; TotalNumVgprs: 0
; ScratchSize: 0
; MemoryBound: 0
; FloatMode: 240
; IeeeMode: 1
; LDSByteSize: 0 bytes/workgroup (compile time only)
; SGPRBlocks: 0
; VGPRBlocks: 0
; NumSGPRsForWavesPerEU: 4
; NumVGPRsForWavesPerEU: 1
; AccumOffset: 4
; Occupancy: 8
; WaveLimiterHint : 0
; COMPUTE_PGM_RSRC2:SCRATCH_EN: 0
; COMPUTE_PGM_RSRC2:USER_SGPR: 6
; COMPUTE_PGM_RSRC2:TRAP_HANDLER: 0
; COMPUTE_PGM_RSRC2:TGID_X_EN: 1
; COMPUTE_PGM_RSRC2:TGID_Y_EN: 0
; COMPUTE_PGM_RSRC2:TGID_Z_EN: 0
; COMPUTE_PGM_RSRC2:TIDIG_COMP_CNT: 0
; COMPUTE_PGM_RSRC3_GFX90A:ACCUM_OFFSET: 0
; COMPUTE_PGM_RSRC3_GFX90A:TG_SPLIT: 0
	.section	.text._ZN7rocprim17ROCPRIM_400000_NS6detail17trampoline_kernelINS0_14default_configENS1_29reduce_by_key_config_selectorIflN6thrust23THRUST_200600_302600_NS4plusIlEEEEZZNS1_33reduce_by_key_impl_wrapped_configILNS1_25lookback_scan_determinismE0ES3_S9_PfNS6_17constant_iteratorIiNS6_11use_defaultESE_EENS6_10device_ptrIfEENSG_IlEEPmS8_NS6_8equal_toIfEEEE10hipError_tPvRmT2_T3_mT4_T5_T6_T7_T8_P12ihipStream_tbENKUlT_T0_E_clISt17integral_constantIbLb0EES13_EEDaSY_SZ_EUlSY_E_NS1_11comp_targetILNS1_3genE10ELNS1_11target_archE1200ELNS1_3gpuE4ELNS1_3repE0EEENS1_30default_config_static_selectorELNS0_4arch9wavefront6targetE1EEEvT1_,"axG",@progbits,_ZN7rocprim17ROCPRIM_400000_NS6detail17trampoline_kernelINS0_14default_configENS1_29reduce_by_key_config_selectorIflN6thrust23THRUST_200600_302600_NS4plusIlEEEEZZNS1_33reduce_by_key_impl_wrapped_configILNS1_25lookback_scan_determinismE0ES3_S9_PfNS6_17constant_iteratorIiNS6_11use_defaultESE_EENS6_10device_ptrIfEENSG_IlEEPmS8_NS6_8equal_toIfEEEE10hipError_tPvRmT2_T3_mT4_T5_T6_T7_T8_P12ihipStream_tbENKUlT_T0_E_clISt17integral_constantIbLb0EES13_EEDaSY_SZ_EUlSY_E_NS1_11comp_targetILNS1_3genE10ELNS1_11target_archE1200ELNS1_3gpuE4ELNS1_3repE0EEENS1_30default_config_static_selectorELNS0_4arch9wavefront6targetE1EEEvT1_,comdat
	.protected	_ZN7rocprim17ROCPRIM_400000_NS6detail17trampoline_kernelINS0_14default_configENS1_29reduce_by_key_config_selectorIflN6thrust23THRUST_200600_302600_NS4plusIlEEEEZZNS1_33reduce_by_key_impl_wrapped_configILNS1_25lookback_scan_determinismE0ES3_S9_PfNS6_17constant_iteratorIiNS6_11use_defaultESE_EENS6_10device_ptrIfEENSG_IlEEPmS8_NS6_8equal_toIfEEEE10hipError_tPvRmT2_T3_mT4_T5_T6_T7_T8_P12ihipStream_tbENKUlT_T0_E_clISt17integral_constantIbLb0EES13_EEDaSY_SZ_EUlSY_E_NS1_11comp_targetILNS1_3genE10ELNS1_11target_archE1200ELNS1_3gpuE4ELNS1_3repE0EEENS1_30default_config_static_selectorELNS0_4arch9wavefront6targetE1EEEvT1_ ; -- Begin function _ZN7rocprim17ROCPRIM_400000_NS6detail17trampoline_kernelINS0_14default_configENS1_29reduce_by_key_config_selectorIflN6thrust23THRUST_200600_302600_NS4plusIlEEEEZZNS1_33reduce_by_key_impl_wrapped_configILNS1_25lookback_scan_determinismE0ES3_S9_PfNS6_17constant_iteratorIiNS6_11use_defaultESE_EENS6_10device_ptrIfEENSG_IlEEPmS8_NS6_8equal_toIfEEEE10hipError_tPvRmT2_T3_mT4_T5_T6_T7_T8_P12ihipStream_tbENKUlT_T0_E_clISt17integral_constantIbLb0EES13_EEDaSY_SZ_EUlSY_E_NS1_11comp_targetILNS1_3genE10ELNS1_11target_archE1200ELNS1_3gpuE4ELNS1_3repE0EEENS1_30default_config_static_selectorELNS0_4arch9wavefront6targetE1EEEvT1_
	.globl	_ZN7rocprim17ROCPRIM_400000_NS6detail17trampoline_kernelINS0_14default_configENS1_29reduce_by_key_config_selectorIflN6thrust23THRUST_200600_302600_NS4plusIlEEEEZZNS1_33reduce_by_key_impl_wrapped_configILNS1_25lookback_scan_determinismE0ES3_S9_PfNS6_17constant_iteratorIiNS6_11use_defaultESE_EENS6_10device_ptrIfEENSG_IlEEPmS8_NS6_8equal_toIfEEEE10hipError_tPvRmT2_T3_mT4_T5_T6_T7_T8_P12ihipStream_tbENKUlT_T0_E_clISt17integral_constantIbLb0EES13_EEDaSY_SZ_EUlSY_E_NS1_11comp_targetILNS1_3genE10ELNS1_11target_archE1200ELNS1_3gpuE4ELNS1_3repE0EEENS1_30default_config_static_selectorELNS0_4arch9wavefront6targetE1EEEvT1_
	.p2align	8
	.type	_ZN7rocprim17ROCPRIM_400000_NS6detail17trampoline_kernelINS0_14default_configENS1_29reduce_by_key_config_selectorIflN6thrust23THRUST_200600_302600_NS4plusIlEEEEZZNS1_33reduce_by_key_impl_wrapped_configILNS1_25lookback_scan_determinismE0ES3_S9_PfNS6_17constant_iteratorIiNS6_11use_defaultESE_EENS6_10device_ptrIfEENSG_IlEEPmS8_NS6_8equal_toIfEEEE10hipError_tPvRmT2_T3_mT4_T5_T6_T7_T8_P12ihipStream_tbENKUlT_T0_E_clISt17integral_constantIbLb0EES13_EEDaSY_SZ_EUlSY_E_NS1_11comp_targetILNS1_3genE10ELNS1_11target_archE1200ELNS1_3gpuE4ELNS1_3repE0EEENS1_30default_config_static_selectorELNS0_4arch9wavefront6targetE1EEEvT1_,@function
_ZN7rocprim17ROCPRIM_400000_NS6detail17trampoline_kernelINS0_14default_configENS1_29reduce_by_key_config_selectorIflN6thrust23THRUST_200600_302600_NS4plusIlEEEEZZNS1_33reduce_by_key_impl_wrapped_configILNS1_25lookback_scan_determinismE0ES3_S9_PfNS6_17constant_iteratorIiNS6_11use_defaultESE_EENS6_10device_ptrIfEENSG_IlEEPmS8_NS6_8equal_toIfEEEE10hipError_tPvRmT2_T3_mT4_T5_T6_T7_T8_P12ihipStream_tbENKUlT_T0_E_clISt17integral_constantIbLb0EES13_EEDaSY_SZ_EUlSY_E_NS1_11comp_targetILNS1_3genE10ELNS1_11target_archE1200ELNS1_3gpuE4ELNS1_3repE0EEENS1_30default_config_static_selectorELNS0_4arch9wavefront6targetE1EEEvT1_: ; @_ZN7rocprim17ROCPRIM_400000_NS6detail17trampoline_kernelINS0_14default_configENS1_29reduce_by_key_config_selectorIflN6thrust23THRUST_200600_302600_NS4plusIlEEEEZZNS1_33reduce_by_key_impl_wrapped_configILNS1_25lookback_scan_determinismE0ES3_S9_PfNS6_17constant_iteratorIiNS6_11use_defaultESE_EENS6_10device_ptrIfEENSG_IlEEPmS8_NS6_8equal_toIfEEEE10hipError_tPvRmT2_T3_mT4_T5_T6_T7_T8_P12ihipStream_tbENKUlT_T0_E_clISt17integral_constantIbLb0EES13_EEDaSY_SZ_EUlSY_E_NS1_11comp_targetILNS1_3genE10ELNS1_11target_archE1200ELNS1_3gpuE4ELNS1_3repE0EEENS1_30default_config_static_selectorELNS0_4arch9wavefront6targetE1EEEvT1_
; %bb.0:
	.section	.rodata,"a",@progbits
	.p2align	6, 0x0
	.amdhsa_kernel _ZN7rocprim17ROCPRIM_400000_NS6detail17trampoline_kernelINS0_14default_configENS1_29reduce_by_key_config_selectorIflN6thrust23THRUST_200600_302600_NS4plusIlEEEEZZNS1_33reduce_by_key_impl_wrapped_configILNS1_25lookback_scan_determinismE0ES3_S9_PfNS6_17constant_iteratorIiNS6_11use_defaultESE_EENS6_10device_ptrIfEENSG_IlEEPmS8_NS6_8equal_toIfEEEE10hipError_tPvRmT2_T3_mT4_T5_T6_T7_T8_P12ihipStream_tbENKUlT_T0_E_clISt17integral_constantIbLb0EES13_EEDaSY_SZ_EUlSY_E_NS1_11comp_targetILNS1_3genE10ELNS1_11target_archE1200ELNS1_3gpuE4ELNS1_3repE0EEENS1_30default_config_static_selectorELNS0_4arch9wavefront6targetE1EEEvT1_
		.amdhsa_group_segment_fixed_size 0
		.amdhsa_private_segment_fixed_size 0
		.amdhsa_kernarg_size 144
		.amdhsa_user_sgpr_count 6
		.amdhsa_user_sgpr_private_segment_buffer 1
		.amdhsa_user_sgpr_dispatch_ptr 0
		.amdhsa_user_sgpr_queue_ptr 0
		.amdhsa_user_sgpr_kernarg_segment_ptr 1
		.amdhsa_user_sgpr_dispatch_id 0
		.amdhsa_user_sgpr_flat_scratch_init 0
		.amdhsa_user_sgpr_kernarg_preload_length 0
		.amdhsa_user_sgpr_kernarg_preload_offset 0
		.amdhsa_user_sgpr_private_segment_size 0
		.amdhsa_uses_dynamic_stack 0
		.amdhsa_system_sgpr_private_segment_wavefront_offset 0
		.amdhsa_system_sgpr_workgroup_id_x 1
		.amdhsa_system_sgpr_workgroup_id_y 0
		.amdhsa_system_sgpr_workgroup_id_z 0
		.amdhsa_system_sgpr_workgroup_info 0
		.amdhsa_system_vgpr_workitem_id 0
		.amdhsa_next_free_vgpr 1
		.amdhsa_next_free_sgpr 0
		.amdhsa_accum_offset 4
		.amdhsa_reserve_vcc 0
		.amdhsa_reserve_flat_scratch 0
		.amdhsa_float_round_mode_32 0
		.amdhsa_float_round_mode_16_64 0
		.amdhsa_float_denorm_mode_32 3
		.amdhsa_float_denorm_mode_16_64 3
		.amdhsa_dx10_clamp 1
		.amdhsa_ieee_mode 1
		.amdhsa_fp16_overflow 0
		.amdhsa_tg_split 0
		.amdhsa_exception_fp_ieee_invalid_op 0
		.amdhsa_exception_fp_denorm_src 0
		.amdhsa_exception_fp_ieee_div_zero 0
		.amdhsa_exception_fp_ieee_overflow 0
		.amdhsa_exception_fp_ieee_underflow 0
		.amdhsa_exception_fp_ieee_inexact 0
		.amdhsa_exception_int_div_zero 0
	.end_amdhsa_kernel
	.section	.text._ZN7rocprim17ROCPRIM_400000_NS6detail17trampoline_kernelINS0_14default_configENS1_29reduce_by_key_config_selectorIflN6thrust23THRUST_200600_302600_NS4plusIlEEEEZZNS1_33reduce_by_key_impl_wrapped_configILNS1_25lookback_scan_determinismE0ES3_S9_PfNS6_17constant_iteratorIiNS6_11use_defaultESE_EENS6_10device_ptrIfEENSG_IlEEPmS8_NS6_8equal_toIfEEEE10hipError_tPvRmT2_T3_mT4_T5_T6_T7_T8_P12ihipStream_tbENKUlT_T0_E_clISt17integral_constantIbLb0EES13_EEDaSY_SZ_EUlSY_E_NS1_11comp_targetILNS1_3genE10ELNS1_11target_archE1200ELNS1_3gpuE4ELNS1_3repE0EEENS1_30default_config_static_selectorELNS0_4arch9wavefront6targetE1EEEvT1_,"axG",@progbits,_ZN7rocprim17ROCPRIM_400000_NS6detail17trampoline_kernelINS0_14default_configENS1_29reduce_by_key_config_selectorIflN6thrust23THRUST_200600_302600_NS4plusIlEEEEZZNS1_33reduce_by_key_impl_wrapped_configILNS1_25lookback_scan_determinismE0ES3_S9_PfNS6_17constant_iteratorIiNS6_11use_defaultESE_EENS6_10device_ptrIfEENSG_IlEEPmS8_NS6_8equal_toIfEEEE10hipError_tPvRmT2_T3_mT4_T5_T6_T7_T8_P12ihipStream_tbENKUlT_T0_E_clISt17integral_constantIbLb0EES13_EEDaSY_SZ_EUlSY_E_NS1_11comp_targetILNS1_3genE10ELNS1_11target_archE1200ELNS1_3gpuE4ELNS1_3repE0EEENS1_30default_config_static_selectorELNS0_4arch9wavefront6targetE1EEEvT1_,comdat
.Lfunc_end1912:
	.size	_ZN7rocprim17ROCPRIM_400000_NS6detail17trampoline_kernelINS0_14default_configENS1_29reduce_by_key_config_selectorIflN6thrust23THRUST_200600_302600_NS4plusIlEEEEZZNS1_33reduce_by_key_impl_wrapped_configILNS1_25lookback_scan_determinismE0ES3_S9_PfNS6_17constant_iteratorIiNS6_11use_defaultESE_EENS6_10device_ptrIfEENSG_IlEEPmS8_NS6_8equal_toIfEEEE10hipError_tPvRmT2_T3_mT4_T5_T6_T7_T8_P12ihipStream_tbENKUlT_T0_E_clISt17integral_constantIbLb0EES13_EEDaSY_SZ_EUlSY_E_NS1_11comp_targetILNS1_3genE10ELNS1_11target_archE1200ELNS1_3gpuE4ELNS1_3repE0EEENS1_30default_config_static_selectorELNS0_4arch9wavefront6targetE1EEEvT1_, .Lfunc_end1912-_ZN7rocprim17ROCPRIM_400000_NS6detail17trampoline_kernelINS0_14default_configENS1_29reduce_by_key_config_selectorIflN6thrust23THRUST_200600_302600_NS4plusIlEEEEZZNS1_33reduce_by_key_impl_wrapped_configILNS1_25lookback_scan_determinismE0ES3_S9_PfNS6_17constant_iteratorIiNS6_11use_defaultESE_EENS6_10device_ptrIfEENSG_IlEEPmS8_NS6_8equal_toIfEEEE10hipError_tPvRmT2_T3_mT4_T5_T6_T7_T8_P12ihipStream_tbENKUlT_T0_E_clISt17integral_constantIbLb0EES13_EEDaSY_SZ_EUlSY_E_NS1_11comp_targetILNS1_3genE10ELNS1_11target_archE1200ELNS1_3gpuE4ELNS1_3repE0EEENS1_30default_config_static_selectorELNS0_4arch9wavefront6targetE1EEEvT1_
                                        ; -- End function
	.section	.AMDGPU.csdata,"",@progbits
; Kernel info:
; codeLenInByte = 0
; NumSgprs: 4
; NumVgprs: 0
; NumAgprs: 0
; TotalNumVgprs: 0
; ScratchSize: 0
; MemoryBound: 0
; FloatMode: 240
; IeeeMode: 1
; LDSByteSize: 0 bytes/workgroup (compile time only)
; SGPRBlocks: 0
; VGPRBlocks: 0
; NumSGPRsForWavesPerEU: 4
; NumVGPRsForWavesPerEU: 1
; AccumOffset: 4
; Occupancy: 8
; WaveLimiterHint : 0
; COMPUTE_PGM_RSRC2:SCRATCH_EN: 0
; COMPUTE_PGM_RSRC2:USER_SGPR: 6
; COMPUTE_PGM_RSRC2:TRAP_HANDLER: 0
; COMPUTE_PGM_RSRC2:TGID_X_EN: 1
; COMPUTE_PGM_RSRC2:TGID_Y_EN: 0
; COMPUTE_PGM_RSRC2:TGID_Z_EN: 0
; COMPUTE_PGM_RSRC2:TIDIG_COMP_CNT: 0
; COMPUTE_PGM_RSRC3_GFX90A:ACCUM_OFFSET: 0
; COMPUTE_PGM_RSRC3_GFX90A:TG_SPLIT: 0
	.section	.text._ZN7rocprim17ROCPRIM_400000_NS6detail17trampoline_kernelINS0_14default_configENS1_29reduce_by_key_config_selectorIflN6thrust23THRUST_200600_302600_NS4plusIlEEEEZZNS1_33reduce_by_key_impl_wrapped_configILNS1_25lookback_scan_determinismE0ES3_S9_PfNS6_17constant_iteratorIiNS6_11use_defaultESE_EENS6_10device_ptrIfEENSG_IlEEPmS8_NS6_8equal_toIfEEEE10hipError_tPvRmT2_T3_mT4_T5_T6_T7_T8_P12ihipStream_tbENKUlT_T0_E_clISt17integral_constantIbLb0EES13_EEDaSY_SZ_EUlSY_E_NS1_11comp_targetILNS1_3genE9ELNS1_11target_archE1100ELNS1_3gpuE3ELNS1_3repE0EEENS1_30default_config_static_selectorELNS0_4arch9wavefront6targetE1EEEvT1_,"axG",@progbits,_ZN7rocprim17ROCPRIM_400000_NS6detail17trampoline_kernelINS0_14default_configENS1_29reduce_by_key_config_selectorIflN6thrust23THRUST_200600_302600_NS4plusIlEEEEZZNS1_33reduce_by_key_impl_wrapped_configILNS1_25lookback_scan_determinismE0ES3_S9_PfNS6_17constant_iteratorIiNS6_11use_defaultESE_EENS6_10device_ptrIfEENSG_IlEEPmS8_NS6_8equal_toIfEEEE10hipError_tPvRmT2_T3_mT4_T5_T6_T7_T8_P12ihipStream_tbENKUlT_T0_E_clISt17integral_constantIbLb0EES13_EEDaSY_SZ_EUlSY_E_NS1_11comp_targetILNS1_3genE9ELNS1_11target_archE1100ELNS1_3gpuE3ELNS1_3repE0EEENS1_30default_config_static_selectorELNS0_4arch9wavefront6targetE1EEEvT1_,comdat
	.protected	_ZN7rocprim17ROCPRIM_400000_NS6detail17trampoline_kernelINS0_14default_configENS1_29reduce_by_key_config_selectorIflN6thrust23THRUST_200600_302600_NS4plusIlEEEEZZNS1_33reduce_by_key_impl_wrapped_configILNS1_25lookback_scan_determinismE0ES3_S9_PfNS6_17constant_iteratorIiNS6_11use_defaultESE_EENS6_10device_ptrIfEENSG_IlEEPmS8_NS6_8equal_toIfEEEE10hipError_tPvRmT2_T3_mT4_T5_T6_T7_T8_P12ihipStream_tbENKUlT_T0_E_clISt17integral_constantIbLb0EES13_EEDaSY_SZ_EUlSY_E_NS1_11comp_targetILNS1_3genE9ELNS1_11target_archE1100ELNS1_3gpuE3ELNS1_3repE0EEENS1_30default_config_static_selectorELNS0_4arch9wavefront6targetE1EEEvT1_ ; -- Begin function _ZN7rocprim17ROCPRIM_400000_NS6detail17trampoline_kernelINS0_14default_configENS1_29reduce_by_key_config_selectorIflN6thrust23THRUST_200600_302600_NS4plusIlEEEEZZNS1_33reduce_by_key_impl_wrapped_configILNS1_25lookback_scan_determinismE0ES3_S9_PfNS6_17constant_iteratorIiNS6_11use_defaultESE_EENS6_10device_ptrIfEENSG_IlEEPmS8_NS6_8equal_toIfEEEE10hipError_tPvRmT2_T3_mT4_T5_T6_T7_T8_P12ihipStream_tbENKUlT_T0_E_clISt17integral_constantIbLb0EES13_EEDaSY_SZ_EUlSY_E_NS1_11comp_targetILNS1_3genE9ELNS1_11target_archE1100ELNS1_3gpuE3ELNS1_3repE0EEENS1_30default_config_static_selectorELNS0_4arch9wavefront6targetE1EEEvT1_
	.globl	_ZN7rocprim17ROCPRIM_400000_NS6detail17trampoline_kernelINS0_14default_configENS1_29reduce_by_key_config_selectorIflN6thrust23THRUST_200600_302600_NS4plusIlEEEEZZNS1_33reduce_by_key_impl_wrapped_configILNS1_25lookback_scan_determinismE0ES3_S9_PfNS6_17constant_iteratorIiNS6_11use_defaultESE_EENS6_10device_ptrIfEENSG_IlEEPmS8_NS6_8equal_toIfEEEE10hipError_tPvRmT2_T3_mT4_T5_T6_T7_T8_P12ihipStream_tbENKUlT_T0_E_clISt17integral_constantIbLb0EES13_EEDaSY_SZ_EUlSY_E_NS1_11comp_targetILNS1_3genE9ELNS1_11target_archE1100ELNS1_3gpuE3ELNS1_3repE0EEENS1_30default_config_static_selectorELNS0_4arch9wavefront6targetE1EEEvT1_
	.p2align	8
	.type	_ZN7rocprim17ROCPRIM_400000_NS6detail17trampoline_kernelINS0_14default_configENS1_29reduce_by_key_config_selectorIflN6thrust23THRUST_200600_302600_NS4plusIlEEEEZZNS1_33reduce_by_key_impl_wrapped_configILNS1_25lookback_scan_determinismE0ES3_S9_PfNS6_17constant_iteratorIiNS6_11use_defaultESE_EENS6_10device_ptrIfEENSG_IlEEPmS8_NS6_8equal_toIfEEEE10hipError_tPvRmT2_T3_mT4_T5_T6_T7_T8_P12ihipStream_tbENKUlT_T0_E_clISt17integral_constantIbLb0EES13_EEDaSY_SZ_EUlSY_E_NS1_11comp_targetILNS1_3genE9ELNS1_11target_archE1100ELNS1_3gpuE3ELNS1_3repE0EEENS1_30default_config_static_selectorELNS0_4arch9wavefront6targetE1EEEvT1_,@function
_ZN7rocprim17ROCPRIM_400000_NS6detail17trampoline_kernelINS0_14default_configENS1_29reduce_by_key_config_selectorIflN6thrust23THRUST_200600_302600_NS4plusIlEEEEZZNS1_33reduce_by_key_impl_wrapped_configILNS1_25lookback_scan_determinismE0ES3_S9_PfNS6_17constant_iteratorIiNS6_11use_defaultESE_EENS6_10device_ptrIfEENSG_IlEEPmS8_NS6_8equal_toIfEEEE10hipError_tPvRmT2_T3_mT4_T5_T6_T7_T8_P12ihipStream_tbENKUlT_T0_E_clISt17integral_constantIbLb0EES13_EEDaSY_SZ_EUlSY_E_NS1_11comp_targetILNS1_3genE9ELNS1_11target_archE1100ELNS1_3gpuE3ELNS1_3repE0EEENS1_30default_config_static_selectorELNS0_4arch9wavefront6targetE1EEEvT1_: ; @_ZN7rocprim17ROCPRIM_400000_NS6detail17trampoline_kernelINS0_14default_configENS1_29reduce_by_key_config_selectorIflN6thrust23THRUST_200600_302600_NS4plusIlEEEEZZNS1_33reduce_by_key_impl_wrapped_configILNS1_25lookback_scan_determinismE0ES3_S9_PfNS6_17constant_iteratorIiNS6_11use_defaultESE_EENS6_10device_ptrIfEENSG_IlEEPmS8_NS6_8equal_toIfEEEE10hipError_tPvRmT2_T3_mT4_T5_T6_T7_T8_P12ihipStream_tbENKUlT_T0_E_clISt17integral_constantIbLb0EES13_EEDaSY_SZ_EUlSY_E_NS1_11comp_targetILNS1_3genE9ELNS1_11target_archE1100ELNS1_3gpuE3ELNS1_3repE0EEENS1_30default_config_static_selectorELNS0_4arch9wavefront6targetE1EEEvT1_
; %bb.0:
	.section	.rodata,"a",@progbits
	.p2align	6, 0x0
	.amdhsa_kernel _ZN7rocprim17ROCPRIM_400000_NS6detail17trampoline_kernelINS0_14default_configENS1_29reduce_by_key_config_selectorIflN6thrust23THRUST_200600_302600_NS4plusIlEEEEZZNS1_33reduce_by_key_impl_wrapped_configILNS1_25lookback_scan_determinismE0ES3_S9_PfNS6_17constant_iteratorIiNS6_11use_defaultESE_EENS6_10device_ptrIfEENSG_IlEEPmS8_NS6_8equal_toIfEEEE10hipError_tPvRmT2_T3_mT4_T5_T6_T7_T8_P12ihipStream_tbENKUlT_T0_E_clISt17integral_constantIbLb0EES13_EEDaSY_SZ_EUlSY_E_NS1_11comp_targetILNS1_3genE9ELNS1_11target_archE1100ELNS1_3gpuE3ELNS1_3repE0EEENS1_30default_config_static_selectorELNS0_4arch9wavefront6targetE1EEEvT1_
		.amdhsa_group_segment_fixed_size 0
		.amdhsa_private_segment_fixed_size 0
		.amdhsa_kernarg_size 144
		.amdhsa_user_sgpr_count 6
		.amdhsa_user_sgpr_private_segment_buffer 1
		.amdhsa_user_sgpr_dispatch_ptr 0
		.amdhsa_user_sgpr_queue_ptr 0
		.amdhsa_user_sgpr_kernarg_segment_ptr 1
		.amdhsa_user_sgpr_dispatch_id 0
		.amdhsa_user_sgpr_flat_scratch_init 0
		.amdhsa_user_sgpr_kernarg_preload_length 0
		.amdhsa_user_sgpr_kernarg_preload_offset 0
		.amdhsa_user_sgpr_private_segment_size 0
		.amdhsa_uses_dynamic_stack 0
		.amdhsa_system_sgpr_private_segment_wavefront_offset 0
		.amdhsa_system_sgpr_workgroup_id_x 1
		.amdhsa_system_sgpr_workgroup_id_y 0
		.amdhsa_system_sgpr_workgroup_id_z 0
		.amdhsa_system_sgpr_workgroup_info 0
		.amdhsa_system_vgpr_workitem_id 0
		.amdhsa_next_free_vgpr 1
		.amdhsa_next_free_sgpr 0
		.amdhsa_accum_offset 4
		.amdhsa_reserve_vcc 0
		.amdhsa_reserve_flat_scratch 0
		.amdhsa_float_round_mode_32 0
		.amdhsa_float_round_mode_16_64 0
		.amdhsa_float_denorm_mode_32 3
		.amdhsa_float_denorm_mode_16_64 3
		.amdhsa_dx10_clamp 1
		.amdhsa_ieee_mode 1
		.amdhsa_fp16_overflow 0
		.amdhsa_tg_split 0
		.amdhsa_exception_fp_ieee_invalid_op 0
		.amdhsa_exception_fp_denorm_src 0
		.amdhsa_exception_fp_ieee_div_zero 0
		.amdhsa_exception_fp_ieee_overflow 0
		.amdhsa_exception_fp_ieee_underflow 0
		.amdhsa_exception_fp_ieee_inexact 0
		.amdhsa_exception_int_div_zero 0
	.end_amdhsa_kernel
	.section	.text._ZN7rocprim17ROCPRIM_400000_NS6detail17trampoline_kernelINS0_14default_configENS1_29reduce_by_key_config_selectorIflN6thrust23THRUST_200600_302600_NS4plusIlEEEEZZNS1_33reduce_by_key_impl_wrapped_configILNS1_25lookback_scan_determinismE0ES3_S9_PfNS6_17constant_iteratorIiNS6_11use_defaultESE_EENS6_10device_ptrIfEENSG_IlEEPmS8_NS6_8equal_toIfEEEE10hipError_tPvRmT2_T3_mT4_T5_T6_T7_T8_P12ihipStream_tbENKUlT_T0_E_clISt17integral_constantIbLb0EES13_EEDaSY_SZ_EUlSY_E_NS1_11comp_targetILNS1_3genE9ELNS1_11target_archE1100ELNS1_3gpuE3ELNS1_3repE0EEENS1_30default_config_static_selectorELNS0_4arch9wavefront6targetE1EEEvT1_,"axG",@progbits,_ZN7rocprim17ROCPRIM_400000_NS6detail17trampoline_kernelINS0_14default_configENS1_29reduce_by_key_config_selectorIflN6thrust23THRUST_200600_302600_NS4plusIlEEEEZZNS1_33reduce_by_key_impl_wrapped_configILNS1_25lookback_scan_determinismE0ES3_S9_PfNS6_17constant_iteratorIiNS6_11use_defaultESE_EENS6_10device_ptrIfEENSG_IlEEPmS8_NS6_8equal_toIfEEEE10hipError_tPvRmT2_T3_mT4_T5_T6_T7_T8_P12ihipStream_tbENKUlT_T0_E_clISt17integral_constantIbLb0EES13_EEDaSY_SZ_EUlSY_E_NS1_11comp_targetILNS1_3genE9ELNS1_11target_archE1100ELNS1_3gpuE3ELNS1_3repE0EEENS1_30default_config_static_selectorELNS0_4arch9wavefront6targetE1EEEvT1_,comdat
.Lfunc_end1913:
	.size	_ZN7rocprim17ROCPRIM_400000_NS6detail17trampoline_kernelINS0_14default_configENS1_29reduce_by_key_config_selectorIflN6thrust23THRUST_200600_302600_NS4plusIlEEEEZZNS1_33reduce_by_key_impl_wrapped_configILNS1_25lookback_scan_determinismE0ES3_S9_PfNS6_17constant_iteratorIiNS6_11use_defaultESE_EENS6_10device_ptrIfEENSG_IlEEPmS8_NS6_8equal_toIfEEEE10hipError_tPvRmT2_T3_mT4_T5_T6_T7_T8_P12ihipStream_tbENKUlT_T0_E_clISt17integral_constantIbLb0EES13_EEDaSY_SZ_EUlSY_E_NS1_11comp_targetILNS1_3genE9ELNS1_11target_archE1100ELNS1_3gpuE3ELNS1_3repE0EEENS1_30default_config_static_selectorELNS0_4arch9wavefront6targetE1EEEvT1_, .Lfunc_end1913-_ZN7rocprim17ROCPRIM_400000_NS6detail17trampoline_kernelINS0_14default_configENS1_29reduce_by_key_config_selectorIflN6thrust23THRUST_200600_302600_NS4plusIlEEEEZZNS1_33reduce_by_key_impl_wrapped_configILNS1_25lookback_scan_determinismE0ES3_S9_PfNS6_17constant_iteratorIiNS6_11use_defaultESE_EENS6_10device_ptrIfEENSG_IlEEPmS8_NS6_8equal_toIfEEEE10hipError_tPvRmT2_T3_mT4_T5_T6_T7_T8_P12ihipStream_tbENKUlT_T0_E_clISt17integral_constantIbLb0EES13_EEDaSY_SZ_EUlSY_E_NS1_11comp_targetILNS1_3genE9ELNS1_11target_archE1100ELNS1_3gpuE3ELNS1_3repE0EEENS1_30default_config_static_selectorELNS0_4arch9wavefront6targetE1EEEvT1_
                                        ; -- End function
	.section	.AMDGPU.csdata,"",@progbits
; Kernel info:
; codeLenInByte = 0
; NumSgprs: 4
; NumVgprs: 0
; NumAgprs: 0
; TotalNumVgprs: 0
; ScratchSize: 0
; MemoryBound: 0
; FloatMode: 240
; IeeeMode: 1
; LDSByteSize: 0 bytes/workgroup (compile time only)
; SGPRBlocks: 0
; VGPRBlocks: 0
; NumSGPRsForWavesPerEU: 4
; NumVGPRsForWavesPerEU: 1
; AccumOffset: 4
; Occupancy: 8
; WaveLimiterHint : 0
; COMPUTE_PGM_RSRC2:SCRATCH_EN: 0
; COMPUTE_PGM_RSRC2:USER_SGPR: 6
; COMPUTE_PGM_RSRC2:TRAP_HANDLER: 0
; COMPUTE_PGM_RSRC2:TGID_X_EN: 1
; COMPUTE_PGM_RSRC2:TGID_Y_EN: 0
; COMPUTE_PGM_RSRC2:TGID_Z_EN: 0
; COMPUTE_PGM_RSRC2:TIDIG_COMP_CNT: 0
; COMPUTE_PGM_RSRC3_GFX90A:ACCUM_OFFSET: 0
; COMPUTE_PGM_RSRC3_GFX90A:TG_SPLIT: 0
	.section	.text._ZN7rocprim17ROCPRIM_400000_NS6detail17trampoline_kernelINS0_14default_configENS1_29reduce_by_key_config_selectorIflN6thrust23THRUST_200600_302600_NS4plusIlEEEEZZNS1_33reduce_by_key_impl_wrapped_configILNS1_25lookback_scan_determinismE0ES3_S9_PfNS6_17constant_iteratorIiNS6_11use_defaultESE_EENS6_10device_ptrIfEENSG_IlEEPmS8_NS6_8equal_toIfEEEE10hipError_tPvRmT2_T3_mT4_T5_T6_T7_T8_P12ihipStream_tbENKUlT_T0_E_clISt17integral_constantIbLb0EES13_EEDaSY_SZ_EUlSY_E_NS1_11comp_targetILNS1_3genE8ELNS1_11target_archE1030ELNS1_3gpuE2ELNS1_3repE0EEENS1_30default_config_static_selectorELNS0_4arch9wavefront6targetE1EEEvT1_,"axG",@progbits,_ZN7rocprim17ROCPRIM_400000_NS6detail17trampoline_kernelINS0_14default_configENS1_29reduce_by_key_config_selectorIflN6thrust23THRUST_200600_302600_NS4plusIlEEEEZZNS1_33reduce_by_key_impl_wrapped_configILNS1_25lookback_scan_determinismE0ES3_S9_PfNS6_17constant_iteratorIiNS6_11use_defaultESE_EENS6_10device_ptrIfEENSG_IlEEPmS8_NS6_8equal_toIfEEEE10hipError_tPvRmT2_T3_mT4_T5_T6_T7_T8_P12ihipStream_tbENKUlT_T0_E_clISt17integral_constantIbLb0EES13_EEDaSY_SZ_EUlSY_E_NS1_11comp_targetILNS1_3genE8ELNS1_11target_archE1030ELNS1_3gpuE2ELNS1_3repE0EEENS1_30default_config_static_selectorELNS0_4arch9wavefront6targetE1EEEvT1_,comdat
	.protected	_ZN7rocprim17ROCPRIM_400000_NS6detail17trampoline_kernelINS0_14default_configENS1_29reduce_by_key_config_selectorIflN6thrust23THRUST_200600_302600_NS4plusIlEEEEZZNS1_33reduce_by_key_impl_wrapped_configILNS1_25lookback_scan_determinismE0ES3_S9_PfNS6_17constant_iteratorIiNS6_11use_defaultESE_EENS6_10device_ptrIfEENSG_IlEEPmS8_NS6_8equal_toIfEEEE10hipError_tPvRmT2_T3_mT4_T5_T6_T7_T8_P12ihipStream_tbENKUlT_T0_E_clISt17integral_constantIbLb0EES13_EEDaSY_SZ_EUlSY_E_NS1_11comp_targetILNS1_3genE8ELNS1_11target_archE1030ELNS1_3gpuE2ELNS1_3repE0EEENS1_30default_config_static_selectorELNS0_4arch9wavefront6targetE1EEEvT1_ ; -- Begin function _ZN7rocprim17ROCPRIM_400000_NS6detail17trampoline_kernelINS0_14default_configENS1_29reduce_by_key_config_selectorIflN6thrust23THRUST_200600_302600_NS4plusIlEEEEZZNS1_33reduce_by_key_impl_wrapped_configILNS1_25lookback_scan_determinismE0ES3_S9_PfNS6_17constant_iteratorIiNS6_11use_defaultESE_EENS6_10device_ptrIfEENSG_IlEEPmS8_NS6_8equal_toIfEEEE10hipError_tPvRmT2_T3_mT4_T5_T6_T7_T8_P12ihipStream_tbENKUlT_T0_E_clISt17integral_constantIbLb0EES13_EEDaSY_SZ_EUlSY_E_NS1_11comp_targetILNS1_3genE8ELNS1_11target_archE1030ELNS1_3gpuE2ELNS1_3repE0EEENS1_30default_config_static_selectorELNS0_4arch9wavefront6targetE1EEEvT1_
	.globl	_ZN7rocprim17ROCPRIM_400000_NS6detail17trampoline_kernelINS0_14default_configENS1_29reduce_by_key_config_selectorIflN6thrust23THRUST_200600_302600_NS4plusIlEEEEZZNS1_33reduce_by_key_impl_wrapped_configILNS1_25lookback_scan_determinismE0ES3_S9_PfNS6_17constant_iteratorIiNS6_11use_defaultESE_EENS6_10device_ptrIfEENSG_IlEEPmS8_NS6_8equal_toIfEEEE10hipError_tPvRmT2_T3_mT4_T5_T6_T7_T8_P12ihipStream_tbENKUlT_T0_E_clISt17integral_constantIbLb0EES13_EEDaSY_SZ_EUlSY_E_NS1_11comp_targetILNS1_3genE8ELNS1_11target_archE1030ELNS1_3gpuE2ELNS1_3repE0EEENS1_30default_config_static_selectorELNS0_4arch9wavefront6targetE1EEEvT1_
	.p2align	8
	.type	_ZN7rocprim17ROCPRIM_400000_NS6detail17trampoline_kernelINS0_14default_configENS1_29reduce_by_key_config_selectorIflN6thrust23THRUST_200600_302600_NS4plusIlEEEEZZNS1_33reduce_by_key_impl_wrapped_configILNS1_25lookback_scan_determinismE0ES3_S9_PfNS6_17constant_iteratorIiNS6_11use_defaultESE_EENS6_10device_ptrIfEENSG_IlEEPmS8_NS6_8equal_toIfEEEE10hipError_tPvRmT2_T3_mT4_T5_T6_T7_T8_P12ihipStream_tbENKUlT_T0_E_clISt17integral_constantIbLb0EES13_EEDaSY_SZ_EUlSY_E_NS1_11comp_targetILNS1_3genE8ELNS1_11target_archE1030ELNS1_3gpuE2ELNS1_3repE0EEENS1_30default_config_static_selectorELNS0_4arch9wavefront6targetE1EEEvT1_,@function
_ZN7rocprim17ROCPRIM_400000_NS6detail17trampoline_kernelINS0_14default_configENS1_29reduce_by_key_config_selectorIflN6thrust23THRUST_200600_302600_NS4plusIlEEEEZZNS1_33reduce_by_key_impl_wrapped_configILNS1_25lookback_scan_determinismE0ES3_S9_PfNS6_17constant_iteratorIiNS6_11use_defaultESE_EENS6_10device_ptrIfEENSG_IlEEPmS8_NS6_8equal_toIfEEEE10hipError_tPvRmT2_T3_mT4_T5_T6_T7_T8_P12ihipStream_tbENKUlT_T0_E_clISt17integral_constantIbLb0EES13_EEDaSY_SZ_EUlSY_E_NS1_11comp_targetILNS1_3genE8ELNS1_11target_archE1030ELNS1_3gpuE2ELNS1_3repE0EEENS1_30default_config_static_selectorELNS0_4arch9wavefront6targetE1EEEvT1_: ; @_ZN7rocprim17ROCPRIM_400000_NS6detail17trampoline_kernelINS0_14default_configENS1_29reduce_by_key_config_selectorIflN6thrust23THRUST_200600_302600_NS4plusIlEEEEZZNS1_33reduce_by_key_impl_wrapped_configILNS1_25lookback_scan_determinismE0ES3_S9_PfNS6_17constant_iteratorIiNS6_11use_defaultESE_EENS6_10device_ptrIfEENSG_IlEEPmS8_NS6_8equal_toIfEEEE10hipError_tPvRmT2_T3_mT4_T5_T6_T7_T8_P12ihipStream_tbENKUlT_T0_E_clISt17integral_constantIbLb0EES13_EEDaSY_SZ_EUlSY_E_NS1_11comp_targetILNS1_3genE8ELNS1_11target_archE1030ELNS1_3gpuE2ELNS1_3repE0EEENS1_30default_config_static_selectorELNS0_4arch9wavefront6targetE1EEEvT1_
; %bb.0:
	.section	.rodata,"a",@progbits
	.p2align	6, 0x0
	.amdhsa_kernel _ZN7rocprim17ROCPRIM_400000_NS6detail17trampoline_kernelINS0_14default_configENS1_29reduce_by_key_config_selectorIflN6thrust23THRUST_200600_302600_NS4plusIlEEEEZZNS1_33reduce_by_key_impl_wrapped_configILNS1_25lookback_scan_determinismE0ES3_S9_PfNS6_17constant_iteratorIiNS6_11use_defaultESE_EENS6_10device_ptrIfEENSG_IlEEPmS8_NS6_8equal_toIfEEEE10hipError_tPvRmT2_T3_mT4_T5_T6_T7_T8_P12ihipStream_tbENKUlT_T0_E_clISt17integral_constantIbLb0EES13_EEDaSY_SZ_EUlSY_E_NS1_11comp_targetILNS1_3genE8ELNS1_11target_archE1030ELNS1_3gpuE2ELNS1_3repE0EEENS1_30default_config_static_selectorELNS0_4arch9wavefront6targetE1EEEvT1_
		.amdhsa_group_segment_fixed_size 0
		.amdhsa_private_segment_fixed_size 0
		.amdhsa_kernarg_size 144
		.amdhsa_user_sgpr_count 6
		.amdhsa_user_sgpr_private_segment_buffer 1
		.amdhsa_user_sgpr_dispatch_ptr 0
		.amdhsa_user_sgpr_queue_ptr 0
		.amdhsa_user_sgpr_kernarg_segment_ptr 1
		.amdhsa_user_sgpr_dispatch_id 0
		.amdhsa_user_sgpr_flat_scratch_init 0
		.amdhsa_user_sgpr_kernarg_preload_length 0
		.amdhsa_user_sgpr_kernarg_preload_offset 0
		.amdhsa_user_sgpr_private_segment_size 0
		.amdhsa_uses_dynamic_stack 0
		.amdhsa_system_sgpr_private_segment_wavefront_offset 0
		.amdhsa_system_sgpr_workgroup_id_x 1
		.amdhsa_system_sgpr_workgroup_id_y 0
		.amdhsa_system_sgpr_workgroup_id_z 0
		.amdhsa_system_sgpr_workgroup_info 0
		.amdhsa_system_vgpr_workitem_id 0
		.amdhsa_next_free_vgpr 1
		.amdhsa_next_free_sgpr 0
		.amdhsa_accum_offset 4
		.amdhsa_reserve_vcc 0
		.amdhsa_reserve_flat_scratch 0
		.amdhsa_float_round_mode_32 0
		.amdhsa_float_round_mode_16_64 0
		.amdhsa_float_denorm_mode_32 3
		.amdhsa_float_denorm_mode_16_64 3
		.amdhsa_dx10_clamp 1
		.amdhsa_ieee_mode 1
		.amdhsa_fp16_overflow 0
		.amdhsa_tg_split 0
		.amdhsa_exception_fp_ieee_invalid_op 0
		.amdhsa_exception_fp_denorm_src 0
		.amdhsa_exception_fp_ieee_div_zero 0
		.amdhsa_exception_fp_ieee_overflow 0
		.amdhsa_exception_fp_ieee_underflow 0
		.amdhsa_exception_fp_ieee_inexact 0
		.amdhsa_exception_int_div_zero 0
	.end_amdhsa_kernel
	.section	.text._ZN7rocprim17ROCPRIM_400000_NS6detail17trampoline_kernelINS0_14default_configENS1_29reduce_by_key_config_selectorIflN6thrust23THRUST_200600_302600_NS4plusIlEEEEZZNS1_33reduce_by_key_impl_wrapped_configILNS1_25lookback_scan_determinismE0ES3_S9_PfNS6_17constant_iteratorIiNS6_11use_defaultESE_EENS6_10device_ptrIfEENSG_IlEEPmS8_NS6_8equal_toIfEEEE10hipError_tPvRmT2_T3_mT4_T5_T6_T7_T8_P12ihipStream_tbENKUlT_T0_E_clISt17integral_constantIbLb0EES13_EEDaSY_SZ_EUlSY_E_NS1_11comp_targetILNS1_3genE8ELNS1_11target_archE1030ELNS1_3gpuE2ELNS1_3repE0EEENS1_30default_config_static_selectorELNS0_4arch9wavefront6targetE1EEEvT1_,"axG",@progbits,_ZN7rocprim17ROCPRIM_400000_NS6detail17trampoline_kernelINS0_14default_configENS1_29reduce_by_key_config_selectorIflN6thrust23THRUST_200600_302600_NS4plusIlEEEEZZNS1_33reduce_by_key_impl_wrapped_configILNS1_25lookback_scan_determinismE0ES3_S9_PfNS6_17constant_iteratorIiNS6_11use_defaultESE_EENS6_10device_ptrIfEENSG_IlEEPmS8_NS6_8equal_toIfEEEE10hipError_tPvRmT2_T3_mT4_T5_T6_T7_T8_P12ihipStream_tbENKUlT_T0_E_clISt17integral_constantIbLb0EES13_EEDaSY_SZ_EUlSY_E_NS1_11comp_targetILNS1_3genE8ELNS1_11target_archE1030ELNS1_3gpuE2ELNS1_3repE0EEENS1_30default_config_static_selectorELNS0_4arch9wavefront6targetE1EEEvT1_,comdat
.Lfunc_end1914:
	.size	_ZN7rocprim17ROCPRIM_400000_NS6detail17trampoline_kernelINS0_14default_configENS1_29reduce_by_key_config_selectorIflN6thrust23THRUST_200600_302600_NS4plusIlEEEEZZNS1_33reduce_by_key_impl_wrapped_configILNS1_25lookback_scan_determinismE0ES3_S9_PfNS6_17constant_iteratorIiNS6_11use_defaultESE_EENS6_10device_ptrIfEENSG_IlEEPmS8_NS6_8equal_toIfEEEE10hipError_tPvRmT2_T3_mT4_T5_T6_T7_T8_P12ihipStream_tbENKUlT_T0_E_clISt17integral_constantIbLb0EES13_EEDaSY_SZ_EUlSY_E_NS1_11comp_targetILNS1_3genE8ELNS1_11target_archE1030ELNS1_3gpuE2ELNS1_3repE0EEENS1_30default_config_static_selectorELNS0_4arch9wavefront6targetE1EEEvT1_, .Lfunc_end1914-_ZN7rocprim17ROCPRIM_400000_NS6detail17trampoline_kernelINS0_14default_configENS1_29reduce_by_key_config_selectorIflN6thrust23THRUST_200600_302600_NS4plusIlEEEEZZNS1_33reduce_by_key_impl_wrapped_configILNS1_25lookback_scan_determinismE0ES3_S9_PfNS6_17constant_iteratorIiNS6_11use_defaultESE_EENS6_10device_ptrIfEENSG_IlEEPmS8_NS6_8equal_toIfEEEE10hipError_tPvRmT2_T3_mT4_T5_T6_T7_T8_P12ihipStream_tbENKUlT_T0_E_clISt17integral_constantIbLb0EES13_EEDaSY_SZ_EUlSY_E_NS1_11comp_targetILNS1_3genE8ELNS1_11target_archE1030ELNS1_3gpuE2ELNS1_3repE0EEENS1_30default_config_static_selectorELNS0_4arch9wavefront6targetE1EEEvT1_
                                        ; -- End function
	.section	.AMDGPU.csdata,"",@progbits
; Kernel info:
; codeLenInByte = 0
; NumSgprs: 4
; NumVgprs: 0
; NumAgprs: 0
; TotalNumVgprs: 0
; ScratchSize: 0
; MemoryBound: 0
; FloatMode: 240
; IeeeMode: 1
; LDSByteSize: 0 bytes/workgroup (compile time only)
; SGPRBlocks: 0
; VGPRBlocks: 0
; NumSGPRsForWavesPerEU: 4
; NumVGPRsForWavesPerEU: 1
; AccumOffset: 4
; Occupancy: 8
; WaveLimiterHint : 0
; COMPUTE_PGM_RSRC2:SCRATCH_EN: 0
; COMPUTE_PGM_RSRC2:USER_SGPR: 6
; COMPUTE_PGM_RSRC2:TRAP_HANDLER: 0
; COMPUTE_PGM_RSRC2:TGID_X_EN: 1
; COMPUTE_PGM_RSRC2:TGID_Y_EN: 0
; COMPUTE_PGM_RSRC2:TGID_Z_EN: 0
; COMPUTE_PGM_RSRC2:TIDIG_COMP_CNT: 0
; COMPUTE_PGM_RSRC3_GFX90A:ACCUM_OFFSET: 0
; COMPUTE_PGM_RSRC3_GFX90A:TG_SPLIT: 0
	.section	.text._ZN7rocprim17ROCPRIM_400000_NS6detail17trampoline_kernelINS0_14default_configENS1_29reduce_by_key_config_selectorIflN6thrust23THRUST_200600_302600_NS4plusIlEEEEZZNS1_33reduce_by_key_impl_wrapped_configILNS1_25lookback_scan_determinismE0ES3_S9_PfNS6_17constant_iteratorIiNS6_11use_defaultESE_EENS6_10device_ptrIfEENSG_IlEEPmS8_NS6_8equal_toIfEEEE10hipError_tPvRmT2_T3_mT4_T5_T6_T7_T8_P12ihipStream_tbENKUlT_T0_E_clISt17integral_constantIbLb1EES13_EEDaSY_SZ_EUlSY_E_NS1_11comp_targetILNS1_3genE0ELNS1_11target_archE4294967295ELNS1_3gpuE0ELNS1_3repE0EEENS1_30default_config_static_selectorELNS0_4arch9wavefront6targetE1EEEvT1_,"axG",@progbits,_ZN7rocprim17ROCPRIM_400000_NS6detail17trampoline_kernelINS0_14default_configENS1_29reduce_by_key_config_selectorIflN6thrust23THRUST_200600_302600_NS4plusIlEEEEZZNS1_33reduce_by_key_impl_wrapped_configILNS1_25lookback_scan_determinismE0ES3_S9_PfNS6_17constant_iteratorIiNS6_11use_defaultESE_EENS6_10device_ptrIfEENSG_IlEEPmS8_NS6_8equal_toIfEEEE10hipError_tPvRmT2_T3_mT4_T5_T6_T7_T8_P12ihipStream_tbENKUlT_T0_E_clISt17integral_constantIbLb1EES13_EEDaSY_SZ_EUlSY_E_NS1_11comp_targetILNS1_3genE0ELNS1_11target_archE4294967295ELNS1_3gpuE0ELNS1_3repE0EEENS1_30default_config_static_selectorELNS0_4arch9wavefront6targetE1EEEvT1_,comdat
	.protected	_ZN7rocprim17ROCPRIM_400000_NS6detail17trampoline_kernelINS0_14default_configENS1_29reduce_by_key_config_selectorIflN6thrust23THRUST_200600_302600_NS4plusIlEEEEZZNS1_33reduce_by_key_impl_wrapped_configILNS1_25lookback_scan_determinismE0ES3_S9_PfNS6_17constant_iteratorIiNS6_11use_defaultESE_EENS6_10device_ptrIfEENSG_IlEEPmS8_NS6_8equal_toIfEEEE10hipError_tPvRmT2_T3_mT4_T5_T6_T7_T8_P12ihipStream_tbENKUlT_T0_E_clISt17integral_constantIbLb1EES13_EEDaSY_SZ_EUlSY_E_NS1_11comp_targetILNS1_3genE0ELNS1_11target_archE4294967295ELNS1_3gpuE0ELNS1_3repE0EEENS1_30default_config_static_selectorELNS0_4arch9wavefront6targetE1EEEvT1_ ; -- Begin function _ZN7rocprim17ROCPRIM_400000_NS6detail17trampoline_kernelINS0_14default_configENS1_29reduce_by_key_config_selectorIflN6thrust23THRUST_200600_302600_NS4plusIlEEEEZZNS1_33reduce_by_key_impl_wrapped_configILNS1_25lookback_scan_determinismE0ES3_S9_PfNS6_17constant_iteratorIiNS6_11use_defaultESE_EENS6_10device_ptrIfEENSG_IlEEPmS8_NS6_8equal_toIfEEEE10hipError_tPvRmT2_T3_mT4_T5_T6_T7_T8_P12ihipStream_tbENKUlT_T0_E_clISt17integral_constantIbLb1EES13_EEDaSY_SZ_EUlSY_E_NS1_11comp_targetILNS1_3genE0ELNS1_11target_archE4294967295ELNS1_3gpuE0ELNS1_3repE0EEENS1_30default_config_static_selectorELNS0_4arch9wavefront6targetE1EEEvT1_
	.globl	_ZN7rocprim17ROCPRIM_400000_NS6detail17trampoline_kernelINS0_14default_configENS1_29reduce_by_key_config_selectorIflN6thrust23THRUST_200600_302600_NS4plusIlEEEEZZNS1_33reduce_by_key_impl_wrapped_configILNS1_25lookback_scan_determinismE0ES3_S9_PfNS6_17constant_iteratorIiNS6_11use_defaultESE_EENS6_10device_ptrIfEENSG_IlEEPmS8_NS6_8equal_toIfEEEE10hipError_tPvRmT2_T3_mT4_T5_T6_T7_T8_P12ihipStream_tbENKUlT_T0_E_clISt17integral_constantIbLb1EES13_EEDaSY_SZ_EUlSY_E_NS1_11comp_targetILNS1_3genE0ELNS1_11target_archE4294967295ELNS1_3gpuE0ELNS1_3repE0EEENS1_30default_config_static_selectorELNS0_4arch9wavefront6targetE1EEEvT1_
	.p2align	8
	.type	_ZN7rocprim17ROCPRIM_400000_NS6detail17trampoline_kernelINS0_14default_configENS1_29reduce_by_key_config_selectorIflN6thrust23THRUST_200600_302600_NS4plusIlEEEEZZNS1_33reduce_by_key_impl_wrapped_configILNS1_25lookback_scan_determinismE0ES3_S9_PfNS6_17constant_iteratorIiNS6_11use_defaultESE_EENS6_10device_ptrIfEENSG_IlEEPmS8_NS6_8equal_toIfEEEE10hipError_tPvRmT2_T3_mT4_T5_T6_T7_T8_P12ihipStream_tbENKUlT_T0_E_clISt17integral_constantIbLb1EES13_EEDaSY_SZ_EUlSY_E_NS1_11comp_targetILNS1_3genE0ELNS1_11target_archE4294967295ELNS1_3gpuE0ELNS1_3repE0EEENS1_30default_config_static_selectorELNS0_4arch9wavefront6targetE1EEEvT1_,@function
_ZN7rocprim17ROCPRIM_400000_NS6detail17trampoline_kernelINS0_14default_configENS1_29reduce_by_key_config_selectorIflN6thrust23THRUST_200600_302600_NS4plusIlEEEEZZNS1_33reduce_by_key_impl_wrapped_configILNS1_25lookback_scan_determinismE0ES3_S9_PfNS6_17constant_iteratorIiNS6_11use_defaultESE_EENS6_10device_ptrIfEENSG_IlEEPmS8_NS6_8equal_toIfEEEE10hipError_tPvRmT2_T3_mT4_T5_T6_T7_T8_P12ihipStream_tbENKUlT_T0_E_clISt17integral_constantIbLb1EES13_EEDaSY_SZ_EUlSY_E_NS1_11comp_targetILNS1_3genE0ELNS1_11target_archE4294967295ELNS1_3gpuE0ELNS1_3repE0EEENS1_30default_config_static_selectorELNS0_4arch9wavefront6targetE1EEEvT1_: ; @_ZN7rocprim17ROCPRIM_400000_NS6detail17trampoline_kernelINS0_14default_configENS1_29reduce_by_key_config_selectorIflN6thrust23THRUST_200600_302600_NS4plusIlEEEEZZNS1_33reduce_by_key_impl_wrapped_configILNS1_25lookback_scan_determinismE0ES3_S9_PfNS6_17constant_iteratorIiNS6_11use_defaultESE_EENS6_10device_ptrIfEENSG_IlEEPmS8_NS6_8equal_toIfEEEE10hipError_tPvRmT2_T3_mT4_T5_T6_T7_T8_P12ihipStream_tbENKUlT_T0_E_clISt17integral_constantIbLb1EES13_EEDaSY_SZ_EUlSY_E_NS1_11comp_targetILNS1_3genE0ELNS1_11target_archE4294967295ELNS1_3gpuE0ELNS1_3repE0EEENS1_30default_config_static_selectorELNS0_4arch9wavefront6targetE1EEEvT1_
; %bb.0:
	.section	.rodata,"a",@progbits
	.p2align	6, 0x0
	.amdhsa_kernel _ZN7rocprim17ROCPRIM_400000_NS6detail17trampoline_kernelINS0_14default_configENS1_29reduce_by_key_config_selectorIflN6thrust23THRUST_200600_302600_NS4plusIlEEEEZZNS1_33reduce_by_key_impl_wrapped_configILNS1_25lookback_scan_determinismE0ES3_S9_PfNS6_17constant_iteratorIiNS6_11use_defaultESE_EENS6_10device_ptrIfEENSG_IlEEPmS8_NS6_8equal_toIfEEEE10hipError_tPvRmT2_T3_mT4_T5_T6_T7_T8_P12ihipStream_tbENKUlT_T0_E_clISt17integral_constantIbLb1EES13_EEDaSY_SZ_EUlSY_E_NS1_11comp_targetILNS1_3genE0ELNS1_11target_archE4294967295ELNS1_3gpuE0ELNS1_3repE0EEENS1_30default_config_static_selectorELNS0_4arch9wavefront6targetE1EEEvT1_
		.amdhsa_group_segment_fixed_size 0
		.amdhsa_private_segment_fixed_size 0
		.amdhsa_kernarg_size 144
		.amdhsa_user_sgpr_count 6
		.amdhsa_user_sgpr_private_segment_buffer 1
		.amdhsa_user_sgpr_dispatch_ptr 0
		.amdhsa_user_sgpr_queue_ptr 0
		.amdhsa_user_sgpr_kernarg_segment_ptr 1
		.amdhsa_user_sgpr_dispatch_id 0
		.amdhsa_user_sgpr_flat_scratch_init 0
		.amdhsa_user_sgpr_kernarg_preload_length 0
		.amdhsa_user_sgpr_kernarg_preload_offset 0
		.amdhsa_user_sgpr_private_segment_size 0
		.amdhsa_uses_dynamic_stack 0
		.amdhsa_system_sgpr_private_segment_wavefront_offset 0
		.amdhsa_system_sgpr_workgroup_id_x 1
		.amdhsa_system_sgpr_workgroup_id_y 0
		.amdhsa_system_sgpr_workgroup_id_z 0
		.amdhsa_system_sgpr_workgroup_info 0
		.amdhsa_system_vgpr_workitem_id 0
		.amdhsa_next_free_vgpr 1
		.amdhsa_next_free_sgpr 0
		.amdhsa_accum_offset 4
		.amdhsa_reserve_vcc 0
		.amdhsa_reserve_flat_scratch 0
		.amdhsa_float_round_mode_32 0
		.amdhsa_float_round_mode_16_64 0
		.amdhsa_float_denorm_mode_32 3
		.amdhsa_float_denorm_mode_16_64 3
		.amdhsa_dx10_clamp 1
		.amdhsa_ieee_mode 1
		.amdhsa_fp16_overflow 0
		.amdhsa_tg_split 0
		.amdhsa_exception_fp_ieee_invalid_op 0
		.amdhsa_exception_fp_denorm_src 0
		.amdhsa_exception_fp_ieee_div_zero 0
		.amdhsa_exception_fp_ieee_overflow 0
		.amdhsa_exception_fp_ieee_underflow 0
		.amdhsa_exception_fp_ieee_inexact 0
		.amdhsa_exception_int_div_zero 0
	.end_amdhsa_kernel
	.section	.text._ZN7rocprim17ROCPRIM_400000_NS6detail17trampoline_kernelINS0_14default_configENS1_29reduce_by_key_config_selectorIflN6thrust23THRUST_200600_302600_NS4plusIlEEEEZZNS1_33reduce_by_key_impl_wrapped_configILNS1_25lookback_scan_determinismE0ES3_S9_PfNS6_17constant_iteratorIiNS6_11use_defaultESE_EENS6_10device_ptrIfEENSG_IlEEPmS8_NS6_8equal_toIfEEEE10hipError_tPvRmT2_T3_mT4_T5_T6_T7_T8_P12ihipStream_tbENKUlT_T0_E_clISt17integral_constantIbLb1EES13_EEDaSY_SZ_EUlSY_E_NS1_11comp_targetILNS1_3genE0ELNS1_11target_archE4294967295ELNS1_3gpuE0ELNS1_3repE0EEENS1_30default_config_static_selectorELNS0_4arch9wavefront6targetE1EEEvT1_,"axG",@progbits,_ZN7rocprim17ROCPRIM_400000_NS6detail17trampoline_kernelINS0_14default_configENS1_29reduce_by_key_config_selectorIflN6thrust23THRUST_200600_302600_NS4plusIlEEEEZZNS1_33reduce_by_key_impl_wrapped_configILNS1_25lookback_scan_determinismE0ES3_S9_PfNS6_17constant_iteratorIiNS6_11use_defaultESE_EENS6_10device_ptrIfEENSG_IlEEPmS8_NS6_8equal_toIfEEEE10hipError_tPvRmT2_T3_mT4_T5_T6_T7_T8_P12ihipStream_tbENKUlT_T0_E_clISt17integral_constantIbLb1EES13_EEDaSY_SZ_EUlSY_E_NS1_11comp_targetILNS1_3genE0ELNS1_11target_archE4294967295ELNS1_3gpuE0ELNS1_3repE0EEENS1_30default_config_static_selectorELNS0_4arch9wavefront6targetE1EEEvT1_,comdat
.Lfunc_end1915:
	.size	_ZN7rocprim17ROCPRIM_400000_NS6detail17trampoline_kernelINS0_14default_configENS1_29reduce_by_key_config_selectorIflN6thrust23THRUST_200600_302600_NS4plusIlEEEEZZNS1_33reduce_by_key_impl_wrapped_configILNS1_25lookback_scan_determinismE0ES3_S9_PfNS6_17constant_iteratorIiNS6_11use_defaultESE_EENS6_10device_ptrIfEENSG_IlEEPmS8_NS6_8equal_toIfEEEE10hipError_tPvRmT2_T3_mT4_T5_T6_T7_T8_P12ihipStream_tbENKUlT_T0_E_clISt17integral_constantIbLb1EES13_EEDaSY_SZ_EUlSY_E_NS1_11comp_targetILNS1_3genE0ELNS1_11target_archE4294967295ELNS1_3gpuE0ELNS1_3repE0EEENS1_30default_config_static_selectorELNS0_4arch9wavefront6targetE1EEEvT1_, .Lfunc_end1915-_ZN7rocprim17ROCPRIM_400000_NS6detail17trampoline_kernelINS0_14default_configENS1_29reduce_by_key_config_selectorIflN6thrust23THRUST_200600_302600_NS4plusIlEEEEZZNS1_33reduce_by_key_impl_wrapped_configILNS1_25lookback_scan_determinismE0ES3_S9_PfNS6_17constant_iteratorIiNS6_11use_defaultESE_EENS6_10device_ptrIfEENSG_IlEEPmS8_NS6_8equal_toIfEEEE10hipError_tPvRmT2_T3_mT4_T5_T6_T7_T8_P12ihipStream_tbENKUlT_T0_E_clISt17integral_constantIbLb1EES13_EEDaSY_SZ_EUlSY_E_NS1_11comp_targetILNS1_3genE0ELNS1_11target_archE4294967295ELNS1_3gpuE0ELNS1_3repE0EEENS1_30default_config_static_selectorELNS0_4arch9wavefront6targetE1EEEvT1_
                                        ; -- End function
	.section	.AMDGPU.csdata,"",@progbits
; Kernel info:
; codeLenInByte = 0
; NumSgprs: 4
; NumVgprs: 0
; NumAgprs: 0
; TotalNumVgprs: 0
; ScratchSize: 0
; MemoryBound: 0
; FloatMode: 240
; IeeeMode: 1
; LDSByteSize: 0 bytes/workgroup (compile time only)
; SGPRBlocks: 0
; VGPRBlocks: 0
; NumSGPRsForWavesPerEU: 4
; NumVGPRsForWavesPerEU: 1
; AccumOffset: 4
; Occupancy: 8
; WaveLimiterHint : 0
; COMPUTE_PGM_RSRC2:SCRATCH_EN: 0
; COMPUTE_PGM_RSRC2:USER_SGPR: 6
; COMPUTE_PGM_RSRC2:TRAP_HANDLER: 0
; COMPUTE_PGM_RSRC2:TGID_X_EN: 1
; COMPUTE_PGM_RSRC2:TGID_Y_EN: 0
; COMPUTE_PGM_RSRC2:TGID_Z_EN: 0
; COMPUTE_PGM_RSRC2:TIDIG_COMP_CNT: 0
; COMPUTE_PGM_RSRC3_GFX90A:ACCUM_OFFSET: 0
; COMPUTE_PGM_RSRC3_GFX90A:TG_SPLIT: 0
	.section	.text._ZN7rocprim17ROCPRIM_400000_NS6detail17trampoline_kernelINS0_14default_configENS1_29reduce_by_key_config_selectorIflN6thrust23THRUST_200600_302600_NS4plusIlEEEEZZNS1_33reduce_by_key_impl_wrapped_configILNS1_25lookback_scan_determinismE0ES3_S9_PfNS6_17constant_iteratorIiNS6_11use_defaultESE_EENS6_10device_ptrIfEENSG_IlEEPmS8_NS6_8equal_toIfEEEE10hipError_tPvRmT2_T3_mT4_T5_T6_T7_T8_P12ihipStream_tbENKUlT_T0_E_clISt17integral_constantIbLb1EES13_EEDaSY_SZ_EUlSY_E_NS1_11comp_targetILNS1_3genE5ELNS1_11target_archE942ELNS1_3gpuE9ELNS1_3repE0EEENS1_30default_config_static_selectorELNS0_4arch9wavefront6targetE1EEEvT1_,"axG",@progbits,_ZN7rocprim17ROCPRIM_400000_NS6detail17trampoline_kernelINS0_14default_configENS1_29reduce_by_key_config_selectorIflN6thrust23THRUST_200600_302600_NS4plusIlEEEEZZNS1_33reduce_by_key_impl_wrapped_configILNS1_25lookback_scan_determinismE0ES3_S9_PfNS6_17constant_iteratorIiNS6_11use_defaultESE_EENS6_10device_ptrIfEENSG_IlEEPmS8_NS6_8equal_toIfEEEE10hipError_tPvRmT2_T3_mT4_T5_T6_T7_T8_P12ihipStream_tbENKUlT_T0_E_clISt17integral_constantIbLb1EES13_EEDaSY_SZ_EUlSY_E_NS1_11comp_targetILNS1_3genE5ELNS1_11target_archE942ELNS1_3gpuE9ELNS1_3repE0EEENS1_30default_config_static_selectorELNS0_4arch9wavefront6targetE1EEEvT1_,comdat
	.protected	_ZN7rocprim17ROCPRIM_400000_NS6detail17trampoline_kernelINS0_14default_configENS1_29reduce_by_key_config_selectorIflN6thrust23THRUST_200600_302600_NS4plusIlEEEEZZNS1_33reduce_by_key_impl_wrapped_configILNS1_25lookback_scan_determinismE0ES3_S9_PfNS6_17constant_iteratorIiNS6_11use_defaultESE_EENS6_10device_ptrIfEENSG_IlEEPmS8_NS6_8equal_toIfEEEE10hipError_tPvRmT2_T3_mT4_T5_T6_T7_T8_P12ihipStream_tbENKUlT_T0_E_clISt17integral_constantIbLb1EES13_EEDaSY_SZ_EUlSY_E_NS1_11comp_targetILNS1_3genE5ELNS1_11target_archE942ELNS1_3gpuE9ELNS1_3repE0EEENS1_30default_config_static_selectorELNS0_4arch9wavefront6targetE1EEEvT1_ ; -- Begin function _ZN7rocprim17ROCPRIM_400000_NS6detail17trampoline_kernelINS0_14default_configENS1_29reduce_by_key_config_selectorIflN6thrust23THRUST_200600_302600_NS4plusIlEEEEZZNS1_33reduce_by_key_impl_wrapped_configILNS1_25lookback_scan_determinismE0ES3_S9_PfNS6_17constant_iteratorIiNS6_11use_defaultESE_EENS6_10device_ptrIfEENSG_IlEEPmS8_NS6_8equal_toIfEEEE10hipError_tPvRmT2_T3_mT4_T5_T6_T7_T8_P12ihipStream_tbENKUlT_T0_E_clISt17integral_constantIbLb1EES13_EEDaSY_SZ_EUlSY_E_NS1_11comp_targetILNS1_3genE5ELNS1_11target_archE942ELNS1_3gpuE9ELNS1_3repE0EEENS1_30default_config_static_selectorELNS0_4arch9wavefront6targetE1EEEvT1_
	.globl	_ZN7rocprim17ROCPRIM_400000_NS6detail17trampoline_kernelINS0_14default_configENS1_29reduce_by_key_config_selectorIflN6thrust23THRUST_200600_302600_NS4plusIlEEEEZZNS1_33reduce_by_key_impl_wrapped_configILNS1_25lookback_scan_determinismE0ES3_S9_PfNS6_17constant_iteratorIiNS6_11use_defaultESE_EENS6_10device_ptrIfEENSG_IlEEPmS8_NS6_8equal_toIfEEEE10hipError_tPvRmT2_T3_mT4_T5_T6_T7_T8_P12ihipStream_tbENKUlT_T0_E_clISt17integral_constantIbLb1EES13_EEDaSY_SZ_EUlSY_E_NS1_11comp_targetILNS1_3genE5ELNS1_11target_archE942ELNS1_3gpuE9ELNS1_3repE0EEENS1_30default_config_static_selectorELNS0_4arch9wavefront6targetE1EEEvT1_
	.p2align	8
	.type	_ZN7rocprim17ROCPRIM_400000_NS6detail17trampoline_kernelINS0_14default_configENS1_29reduce_by_key_config_selectorIflN6thrust23THRUST_200600_302600_NS4plusIlEEEEZZNS1_33reduce_by_key_impl_wrapped_configILNS1_25lookback_scan_determinismE0ES3_S9_PfNS6_17constant_iteratorIiNS6_11use_defaultESE_EENS6_10device_ptrIfEENSG_IlEEPmS8_NS6_8equal_toIfEEEE10hipError_tPvRmT2_T3_mT4_T5_T6_T7_T8_P12ihipStream_tbENKUlT_T0_E_clISt17integral_constantIbLb1EES13_EEDaSY_SZ_EUlSY_E_NS1_11comp_targetILNS1_3genE5ELNS1_11target_archE942ELNS1_3gpuE9ELNS1_3repE0EEENS1_30default_config_static_selectorELNS0_4arch9wavefront6targetE1EEEvT1_,@function
_ZN7rocprim17ROCPRIM_400000_NS6detail17trampoline_kernelINS0_14default_configENS1_29reduce_by_key_config_selectorIflN6thrust23THRUST_200600_302600_NS4plusIlEEEEZZNS1_33reduce_by_key_impl_wrapped_configILNS1_25lookback_scan_determinismE0ES3_S9_PfNS6_17constant_iteratorIiNS6_11use_defaultESE_EENS6_10device_ptrIfEENSG_IlEEPmS8_NS6_8equal_toIfEEEE10hipError_tPvRmT2_T3_mT4_T5_T6_T7_T8_P12ihipStream_tbENKUlT_T0_E_clISt17integral_constantIbLb1EES13_EEDaSY_SZ_EUlSY_E_NS1_11comp_targetILNS1_3genE5ELNS1_11target_archE942ELNS1_3gpuE9ELNS1_3repE0EEENS1_30default_config_static_selectorELNS0_4arch9wavefront6targetE1EEEvT1_: ; @_ZN7rocprim17ROCPRIM_400000_NS6detail17trampoline_kernelINS0_14default_configENS1_29reduce_by_key_config_selectorIflN6thrust23THRUST_200600_302600_NS4plusIlEEEEZZNS1_33reduce_by_key_impl_wrapped_configILNS1_25lookback_scan_determinismE0ES3_S9_PfNS6_17constant_iteratorIiNS6_11use_defaultESE_EENS6_10device_ptrIfEENSG_IlEEPmS8_NS6_8equal_toIfEEEE10hipError_tPvRmT2_T3_mT4_T5_T6_T7_T8_P12ihipStream_tbENKUlT_T0_E_clISt17integral_constantIbLb1EES13_EEDaSY_SZ_EUlSY_E_NS1_11comp_targetILNS1_3genE5ELNS1_11target_archE942ELNS1_3gpuE9ELNS1_3repE0EEENS1_30default_config_static_selectorELNS0_4arch9wavefront6targetE1EEEvT1_
; %bb.0:
	.section	.rodata,"a",@progbits
	.p2align	6, 0x0
	.amdhsa_kernel _ZN7rocprim17ROCPRIM_400000_NS6detail17trampoline_kernelINS0_14default_configENS1_29reduce_by_key_config_selectorIflN6thrust23THRUST_200600_302600_NS4plusIlEEEEZZNS1_33reduce_by_key_impl_wrapped_configILNS1_25lookback_scan_determinismE0ES3_S9_PfNS6_17constant_iteratorIiNS6_11use_defaultESE_EENS6_10device_ptrIfEENSG_IlEEPmS8_NS6_8equal_toIfEEEE10hipError_tPvRmT2_T3_mT4_T5_T6_T7_T8_P12ihipStream_tbENKUlT_T0_E_clISt17integral_constantIbLb1EES13_EEDaSY_SZ_EUlSY_E_NS1_11comp_targetILNS1_3genE5ELNS1_11target_archE942ELNS1_3gpuE9ELNS1_3repE0EEENS1_30default_config_static_selectorELNS0_4arch9wavefront6targetE1EEEvT1_
		.amdhsa_group_segment_fixed_size 0
		.amdhsa_private_segment_fixed_size 0
		.amdhsa_kernarg_size 144
		.amdhsa_user_sgpr_count 6
		.amdhsa_user_sgpr_private_segment_buffer 1
		.amdhsa_user_sgpr_dispatch_ptr 0
		.amdhsa_user_sgpr_queue_ptr 0
		.amdhsa_user_sgpr_kernarg_segment_ptr 1
		.amdhsa_user_sgpr_dispatch_id 0
		.amdhsa_user_sgpr_flat_scratch_init 0
		.amdhsa_user_sgpr_kernarg_preload_length 0
		.amdhsa_user_sgpr_kernarg_preload_offset 0
		.amdhsa_user_sgpr_private_segment_size 0
		.amdhsa_uses_dynamic_stack 0
		.amdhsa_system_sgpr_private_segment_wavefront_offset 0
		.amdhsa_system_sgpr_workgroup_id_x 1
		.amdhsa_system_sgpr_workgroup_id_y 0
		.amdhsa_system_sgpr_workgroup_id_z 0
		.amdhsa_system_sgpr_workgroup_info 0
		.amdhsa_system_vgpr_workitem_id 0
		.amdhsa_next_free_vgpr 1
		.amdhsa_next_free_sgpr 0
		.amdhsa_accum_offset 4
		.amdhsa_reserve_vcc 0
		.amdhsa_reserve_flat_scratch 0
		.amdhsa_float_round_mode_32 0
		.amdhsa_float_round_mode_16_64 0
		.amdhsa_float_denorm_mode_32 3
		.amdhsa_float_denorm_mode_16_64 3
		.amdhsa_dx10_clamp 1
		.amdhsa_ieee_mode 1
		.amdhsa_fp16_overflow 0
		.amdhsa_tg_split 0
		.amdhsa_exception_fp_ieee_invalid_op 0
		.amdhsa_exception_fp_denorm_src 0
		.amdhsa_exception_fp_ieee_div_zero 0
		.amdhsa_exception_fp_ieee_overflow 0
		.amdhsa_exception_fp_ieee_underflow 0
		.amdhsa_exception_fp_ieee_inexact 0
		.amdhsa_exception_int_div_zero 0
	.end_amdhsa_kernel
	.section	.text._ZN7rocprim17ROCPRIM_400000_NS6detail17trampoline_kernelINS0_14default_configENS1_29reduce_by_key_config_selectorIflN6thrust23THRUST_200600_302600_NS4plusIlEEEEZZNS1_33reduce_by_key_impl_wrapped_configILNS1_25lookback_scan_determinismE0ES3_S9_PfNS6_17constant_iteratorIiNS6_11use_defaultESE_EENS6_10device_ptrIfEENSG_IlEEPmS8_NS6_8equal_toIfEEEE10hipError_tPvRmT2_T3_mT4_T5_T6_T7_T8_P12ihipStream_tbENKUlT_T0_E_clISt17integral_constantIbLb1EES13_EEDaSY_SZ_EUlSY_E_NS1_11comp_targetILNS1_3genE5ELNS1_11target_archE942ELNS1_3gpuE9ELNS1_3repE0EEENS1_30default_config_static_selectorELNS0_4arch9wavefront6targetE1EEEvT1_,"axG",@progbits,_ZN7rocprim17ROCPRIM_400000_NS6detail17trampoline_kernelINS0_14default_configENS1_29reduce_by_key_config_selectorIflN6thrust23THRUST_200600_302600_NS4plusIlEEEEZZNS1_33reduce_by_key_impl_wrapped_configILNS1_25lookback_scan_determinismE0ES3_S9_PfNS6_17constant_iteratorIiNS6_11use_defaultESE_EENS6_10device_ptrIfEENSG_IlEEPmS8_NS6_8equal_toIfEEEE10hipError_tPvRmT2_T3_mT4_T5_T6_T7_T8_P12ihipStream_tbENKUlT_T0_E_clISt17integral_constantIbLb1EES13_EEDaSY_SZ_EUlSY_E_NS1_11comp_targetILNS1_3genE5ELNS1_11target_archE942ELNS1_3gpuE9ELNS1_3repE0EEENS1_30default_config_static_selectorELNS0_4arch9wavefront6targetE1EEEvT1_,comdat
.Lfunc_end1916:
	.size	_ZN7rocprim17ROCPRIM_400000_NS6detail17trampoline_kernelINS0_14default_configENS1_29reduce_by_key_config_selectorIflN6thrust23THRUST_200600_302600_NS4plusIlEEEEZZNS1_33reduce_by_key_impl_wrapped_configILNS1_25lookback_scan_determinismE0ES3_S9_PfNS6_17constant_iteratorIiNS6_11use_defaultESE_EENS6_10device_ptrIfEENSG_IlEEPmS8_NS6_8equal_toIfEEEE10hipError_tPvRmT2_T3_mT4_T5_T6_T7_T8_P12ihipStream_tbENKUlT_T0_E_clISt17integral_constantIbLb1EES13_EEDaSY_SZ_EUlSY_E_NS1_11comp_targetILNS1_3genE5ELNS1_11target_archE942ELNS1_3gpuE9ELNS1_3repE0EEENS1_30default_config_static_selectorELNS0_4arch9wavefront6targetE1EEEvT1_, .Lfunc_end1916-_ZN7rocprim17ROCPRIM_400000_NS6detail17trampoline_kernelINS0_14default_configENS1_29reduce_by_key_config_selectorIflN6thrust23THRUST_200600_302600_NS4plusIlEEEEZZNS1_33reduce_by_key_impl_wrapped_configILNS1_25lookback_scan_determinismE0ES3_S9_PfNS6_17constant_iteratorIiNS6_11use_defaultESE_EENS6_10device_ptrIfEENSG_IlEEPmS8_NS6_8equal_toIfEEEE10hipError_tPvRmT2_T3_mT4_T5_T6_T7_T8_P12ihipStream_tbENKUlT_T0_E_clISt17integral_constantIbLb1EES13_EEDaSY_SZ_EUlSY_E_NS1_11comp_targetILNS1_3genE5ELNS1_11target_archE942ELNS1_3gpuE9ELNS1_3repE0EEENS1_30default_config_static_selectorELNS0_4arch9wavefront6targetE1EEEvT1_
                                        ; -- End function
	.section	.AMDGPU.csdata,"",@progbits
; Kernel info:
; codeLenInByte = 0
; NumSgprs: 4
; NumVgprs: 0
; NumAgprs: 0
; TotalNumVgprs: 0
; ScratchSize: 0
; MemoryBound: 0
; FloatMode: 240
; IeeeMode: 1
; LDSByteSize: 0 bytes/workgroup (compile time only)
; SGPRBlocks: 0
; VGPRBlocks: 0
; NumSGPRsForWavesPerEU: 4
; NumVGPRsForWavesPerEU: 1
; AccumOffset: 4
; Occupancy: 8
; WaveLimiterHint : 0
; COMPUTE_PGM_RSRC2:SCRATCH_EN: 0
; COMPUTE_PGM_RSRC2:USER_SGPR: 6
; COMPUTE_PGM_RSRC2:TRAP_HANDLER: 0
; COMPUTE_PGM_RSRC2:TGID_X_EN: 1
; COMPUTE_PGM_RSRC2:TGID_Y_EN: 0
; COMPUTE_PGM_RSRC2:TGID_Z_EN: 0
; COMPUTE_PGM_RSRC2:TIDIG_COMP_CNT: 0
; COMPUTE_PGM_RSRC3_GFX90A:ACCUM_OFFSET: 0
; COMPUTE_PGM_RSRC3_GFX90A:TG_SPLIT: 0
	.section	.text._ZN7rocprim17ROCPRIM_400000_NS6detail17trampoline_kernelINS0_14default_configENS1_29reduce_by_key_config_selectorIflN6thrust23THRUST_200600_302600_NS4plusIlEEEEZZNS1_33reduce_by_key_impl_wrapped_configILNS1_25lookback_scan_determinismE0ES3_S9_PfNS6_17constant_iteratorIiNS6_11use_defaultESE_EENS6_10device_ptrIfEENSG_IlEEPmS8_NS6_8equal_toIfEEEE10hipError_tPvRmT2_T3_mT4_T5_T6_T7_T8_P12ihipStream_tbENKUlT_T0_E_clISt17integral_constantIbLb1EES13_EEDaSY_SZ_EUlSY_E_NS1_11comp_targetILNS1_3genE4ELNS1_11target_archE910ELNS1_3gpuE8ELNS1_3repE0EEENS1_30default_config_static_selectorELNS0_4arch9wavefront6targetE1EEEvT1_,"axG",@progbits,_ZN7rocprim17ROCPRIM_400000_NS6detail17trampoline_kernelINS0_14default_configENS1_29reduce_by_key_config_selectorIflN6thrust23THRUST_200600_302600_NS4plusIlEEEEZZNS1_33reduce_by_key_impl_wrapped_configILNS1_25lookback_scan_determinismE0ES3_S9_PfNS6_17constant_iteratorIiNS6_11use_defaultESE_EENS6_10device_ptrIfEENSG_IlEEPmS8_NS6_8equal_toIfEEEE10hipError_tPvRmT2_T3_mT4_T5_T6_T7_T8_P12ihipStream_tbENKUlT_T0_E_clISt17integral_constantIbLb1EES13_EEDaSY_SZ_EUlSY_E_NS1_11comp_targetILNS1_3genE4ELNS1_11target_archE910ELNS1_3gpuE8ELNS1_3repE0EEENS1_30default_config_static_selectorELNS0_4arch9wavefront6targetE1EEEvT1_,comdat
	.protected	_ZN7rocprim17ROCPRIM_400000_NS6detail17trampoline_kernelINS0_14default_configENS1_29reduce_by_key_config_selectorIflN6thrust23THRUST_200600_302600_NS4plusIlEEEEZZNS1_33reduce_by_key_impl_wrapped_configILNS1_25lookback_scan_determinismE0ES3_S9_PfNS6_17constant_iteratorIiNS6_11use_defaultESE_EENS6_10device_ptrIfEENSG_IlEEPmS8_NS6_8equal_toIfEEEE10hipError_tPvRmT2_T3_mT4_T5_T6_T7_T8_P12ihipStream_tbENKUlT_T0_E_clISt17integral_constantIbLb1EES13_EEDaSY_SZ_EUlSY_E_NS1_11comp_targetILNS1_3genE4ELNS1_11target_archE910ELNS1_3gpuE8ELNS1_3repE0EEENS1_30default_config_static_selectorELNS0_4arch9wavefront6targetE1EEEvT1_ ; -- Begin function _ZN7rocprim17ROCPRIM_400000_NS6detail17trampoline_kernelINS0_14default_configENS1_29reduce_by_key_config_selectorIflN6thrust23THRUST_200600_302600_NS4plusIlEEEEZZNS1_33reduce_by_key_impl_wrapped_configILNS1_25lookback_scan_determinismE0ES3_S9_PfNS6_17constant_iteratorIiNS6_11use_defaultESE_EENS6_10device_ptrIfEENSG_IlEEPmS8_NS6_8equal_toIfEEEE10hipError_tPvRmT2_T3_mT4_T5_T6_T7_T8_P12ihipStream_tbENKUlT_T0_E_clISt17integral_constantIbLb1EES13_EEDaSY_SZ_EUlSY_E_NS1_11comp_targetILNS1_3genE4ELNS1_11target_archE910ELNS1_3gpuE8ELNS1_3repE0EEENS1_30default_config_static_selectorELNS0_4arch9wavefront6targetE1EEEvT1_
	.globl	_ZN7rocprim17ROCPRIM_400000_NS6detail17trampoline_kernelINS0_14default_configENS1_29reduce_by_key_config_selectorIflN6thrust23THRUST_200600_302600_NS4plusIlEEEEZZNS1_33reduce_by_key_impl_wrapped_configILNS1_25lookback_scan_determinismE0ES3_S9_PfNS6_17constant_iteratorIiNS6_11use_defaultESE_EENS6_10device_ptrIfEENSG_IlEEPmS8_NS6_8equal_toIfEEEE10hipError_tPvRmT2_T3_mT4_T5_T6_T7_T8_P12ihipStream_tbENKUlT_T0_E_clISt17integral_constantIbLb1EES13_EEDaSY_SZ_EUlSY_E_NS1_11comp_targetILNS1_3genE4ELNS1_11target_archE910ELNS1_3gpuE8ELNS1_3repE0EEENS1_30default_config_static_selectorELNS0_4arch9wavefront6targetE1EEEvT1_
	.p2align	8
	.type	_ZN7rocprim17ROCPRIM_400000_NS6detail17trampoline_kernelINS0_14default_configENS1_29reduce_by_key_config_selectorIflN6thrust23THRUST_200600_302600_NS4plusIlEEEEZZNS1_33reduce_by_key_impl_wrapped_configILNS1_25lookback_scan_determinismE0ES3_S9_PfNS6_17constant_iteratorIiNS6_11use_defaultESE_EENS6_10device_ptrIfEENSG_IlEEPmS8_NS6_8equal_toIfEEEE10hipError_tPvRmT2_T3_mT4_T5_T6_T7_T8_P12ihipStream_tbENKUlT_T0_E_clISt17integral_constantIbLb1EES13_EEDaSY_SZ_EUlSY_E_NS1_11comp_targetILNS1_3genE4ELNS1_11target_archE910ELNS1_3gpuE8ELNS1_3repE0EEENS1_30default_config_static_selectorELNS0_4arch9wavefront6targetE1EEEvT1_,@function
_ZN7rocprim17ROCPRIM_400000_NS6detail17trampoline_kernelINS0_14default_configENS1_29reduce_by_key_config_selectorIflN6thrust23THRUST_200600_302600_NS4plusIlEEEEZZNS1_33reduce_by_key_impl_wrapped_configILNS1_25lookback_scan_determinismE0ES3_S9_PfNS6_17constant_iteratorIiNS6_11use_defaultESE_EENS6_10device_ptrIfEENSG_IlEEPmS8_NS6_8equal_toIfEEEE10hipError_tPvRmT2_T3_mT4_T5_T6_T7_T8_P12ihipStream_tbENKUlT_T0_E_clISt17integral_constantIbLb1EES13_EEDaSY_SZ_EUlSY_E_NS1_11comp_targetILNS1_3genE4ELNS1_11target_archE910ELNS1_3gpuE8ELNS1_3repE0EEENS1_30default_config_static_selectorELNS0_4arch9wavefront6targetE1EEEvT1_: ; @_ZN7rocprim17ROCPRIM_400000_NS6detail17trampoline_kernelINS0_14default_configENS1_29reduce_by_key_config_selectorIflN6thrust23THRUST_200600_302600_NS4plusIlEEEEZZNS1_33reduce_by_key_impl_wrapped_configILNS1_25lookback_scan_determinismE0ES3_S9_PfNS6_17constant_iteratorIiNS6_11use_defaultESE_EENS6_10device_ptrIfEENSG_IlEEPmS8_NS6_8equal_toIfEEEE10hipError_tPvRmT2_T3_mT4_T5_T6_T7_T8_P12ihipStream_tbENKUlT_T0_E_clISt17integral_constantIbLb1EES13_EEDaSY_SZ_EUlSY_E_NS1_11comp_targetILNS1_3genE4ELNS1_11target_archE910ELNS1_3gpuE8ELNS1_3repE0EEENS1_30default_config_static_selectorELNS0_4arch9wavefront6targetE1EEEvT1_
; %bb.0:
	s_load_dwordx4 s[52:55], s[4:5], 0x20
	s_load_dwordx2 s[56:57], s[4:5], 0x30
	s_load_dwordx2 s[30:31], s[4:5], 0x80
	v_cmp_ne_u32_e64 s[2:3], 0, v0
	v_cmp_eq_u32_e64 s[0:1], 0, v0
	s_and_saveexec_b64 s[6:7], s[0:1]
	s_cbranch_execz .LBB1917_4
; %bb.1:
	s_mov_b64 s[10:11], exec
	v_mbcnt_lo_u32_b32 v1, s10, 0
	v_mbcnt_hi_u32_b32 v1, s11, v1
	v_cmp_eq_u32_e32 vcc, 0, v1
                                        ; implicit-def: $vgpr2
	s_and_saveexec_b64 s[8:9], vcc
	s_cbranch_execz .LBB1917_3
; %bb.2:
	s_load_dwordx2 s[12:13], s[4:5], 0x88
	s_bcnt1_i32_b64 s10, s[10:11]
	v_mov_b32_e32 v2, 0
	v_mov_b32_e32 v3, s10
	s_waitcnt lgkmcnt(0)
	global_atomic_add v2, v2, v3, s[12:13] glc
.LBB1917_3:
	s_or_b64 exec, exec, s[8:9]
	s_waitcnt vmcnt(0)
	v_readfirstlane_b32 s8, v2
	v_add_u32_e32 v1, s8, v1
	v_mov_b32_e32 v2, 0
	ds_write_b32 v2, v1
.LBB1917_4:
	s_or_b64 exec, exec, s[6:7]
	s_load_dwordx4 s[8:11], s[4:5], 0x0
	s_load_dword s6, s[4:5], 0x18
	s_load_dwordx16 s[36:51], s[4:5], 0x40
	v_mov_b32_e32 v3, 0
	s_waitcnt lgkmcnt(0)
	s_barrier
	ds_read_b32 v1, v3
	s_mul_i32 s4, s44, s43
	s_mul_hi_u32 s5, s44, s42
	s_add_i32 s4, s5, s4
	s_mul_i32 s5, s45, s42
	s_add_i32 s7, s4, s5
	s_lshl_b64 s[4:5], s[10:11], 2
	s_add_u32 s4, s8, s4
	s_movk_i32 s8, 0xf00
	s_waitcnt lgkmcnt(0)
	v_mul_lo_u32 v2, v1, s8
	s_mul_i32 s12, s44, s42
	s_addc_u32 s5, s9, s5
	v_readfirstlane_b32 s60, v1
	v_lshlrev_b64 v[2:3], 2, v[2:3]
	v_add_co_u32_e32 v46, vcc, s4, v2
	s_add_u32 s4, s12, s60
	v_mov_b32_e32 v1, s5
	s_addc_u32 s5, s7, 0
	s_add_u32 s12, s46, -1
	s_addc_u32 s13, s47, -1
	s_cmp_eq_u64 s[4:5], s[12:13]
	v_addc_co_u32_e32 v47, vcc, v1, v3, vcc
	s_cselect_b64 s[44:45], -1, 0
	s_cmp_lg_u64 s[4:5], s[12:13]
	s_mov_b64 s[10:11], -1
	s_cselect_b64 s[8:9], -1, 0
	s_mul_i32 s33, s12, 0xfffff100
	s_and_b64 vcc, exec, s[44:45]
	s_barrier
	s_cbranch_vccnz .LBB1917_6
; %bb.5:
	v_lshlrev_b32_e32 v1, 2, v0
	v_add_co_u32_e32 v4, vcc, v46, v1
	v_addc_co_u32_e32 v5, vcc, 0, v47, vcc
	v_add_co_u32_e32 v2, vcc, 0x1000, v4
	v_readfirstlane_b32 s10, v46
	v_readfirstlane_b32 s11, v47
	v_addc_co_u32_e32 v3, vcc, 0, v5, vcc
	s_nop 3
	global_load_dword v6, v1, s[10:11]
	global_load_dword v7, v1, s[10:11] offset:1024
	global_load_dword v8, v1, s[10:11] offset:2048
	;; [unrolled: 1-line block ×3, first 2 shown]
	global_load_dword v10, v[2:3], off
	global_load_dword v11, v[2:3], off offset:1024
	global_load_dword v12, v[2:3], off offset:2048
	;; [unrolled: 1-line block ×3, first 2 shown]
	v_add_co_u32_e32 v2, vcc, 0x2000, v4
	v_addc_co_u32_e32 v3, vcc, 0, v5, vcc
	v_add_co_u32_e32 v4, vcc, 0x3000, v4
	v_addc_co_u32_e32 v5, vcc, 0, v5, vcc
	global_load_dword v14, v[2:3], off
	global_load_dword v15, v[2:3], off offset:1024
	global_load_dword v16, v[2:3], off offset:2048
	;; [unrolled: 1-line block ×3, first 2 shown]
	global_load_dword v30, v[4:5], off
	global_load_dword v31, v[4:5], off offset:1024
	global_load_dword v32, v[4:5], off offset:2048
	v_mad_u32_u24 v33, v0, 56, v1
	s_ashr_i32 s7, s6, 31
	s_movk_i32 s10, 0xffcc
	v_mul_u32_u24_e32 v2, 15, v0
	v_mad_u32_u24 v19, v0, 15, 1
	v_mad_u32_u24 v3, v0, 15, 2
	;; [unrolled: 1-line block ×14, first 2 shown]
	v_pk_mov_b32 v[26:27], s[6:7], s[6:7] op_sel:[0,1]
	v_mad_i32_i24 v34, v0, s10, v33
	s_waitcnt vmcnt(13)
	ds_write2st64_b32 v1, v6, v7 offset1:4
	s_waitcnt vmcnt(11)
	ds_write2st64_b32 v1, v8, v9 offset0:8 offset1:12
	s_waitcnt vmcnt(9)
	ds_write2st64_b32 v1, v10, v11 offset0:16 offset1:20
	;; [unrolled: 2-line block ×6, first 2 shown]
	s_waitcnt vmcnt(0)
	ds_write_b32 v1, v32 offset:14336
	s_waitcnt lgkmcnt(0)
	s_barrier
	ds_read2_b32 v[16:17], v33 offset1:1
	ds_read2_b32 v[14:15], v33 offset0:2 offset1:3
	ds_read2_b32 v[12:13], v33 offset0:4 offset1:5
	;; [unrolled: 1-line block ×6, first 2 shown]
	ds_read_b32 v1, v33 offset:56
	s_waitcnt lgkmcnt(7)
	v_mov_b32_e32 v54, v16
	s_waitcnt lgkmcnt(6)
	v_mov_b32_e32 v55, v14
	;; [unrolled: 2-line block ×7, first 2 shown]
	s_waitcnt lgkmcnt(0)
	s_barrier
	ds_write2st64_b64 v34, v[26:27], v[26:27] offset1:4
	ds_write2st64_b64 v34, v[26:27], v[26:27] offset0:8 offset1:12
	ds_write2st64_b64 v34, v[26:27], v[26:27] offset0:16 offset1:20
	;; [unrolled: 1-line block ×6, first 2 shown]
	ds_write_b64 v34, v[26:27] offset:28672
	s_waitcnt lgkmcnt(0)
	s_barrier
	s_add_i32 s33, s33, s48
	s_cbranch_execz .LBB1917_7
	s_branch .LBB1917_38
.LBB1917_6:
                                        ; implicit-def: $vgpr1
                                        ; implicit-def: $vgpr4
                                        ; implicit-def: $vgpr6
                                        ; implicit-def: $vgpr8
                                        ; implicit-def: $vgpr10
                                        ; implicit-def: $vgpr12
                                        ; implicit-def: $vgpr14
                                        ; implicit-def: $vgpr16
                                        ; implicit-def: $vgpr45
                                        ; implicit-def: $vgpr56
                                        ; implicit-def: $vgpr44
                                        ; implicit-def: $vgpr29
                                        ; implicit-def: $vgpr24
                                        ; implicit-def: $vgpr28
                                        ; implicit-def: $vgpr23
                                        ; implicit-def: $vgpr25
                                        ; implicit-def: $vgpr20
                                        ; implicit-def: $vgpr22
                                        ; implicit-def: $vgpr18
                                        ; implicit-def: $vgpr21
                                        ; implicit-def: $vgpr3
                                        ; implicit-def: $vgpr19
                                        ; implicit-def: $vgpr2
                                        ; implicit-def: $vgpr48_vgpr49
                                        ; implicit-def: $vgpr50_vgpr51
                                        ; implicit-def: $vgpr54_vgpr55
                                        ; implicit-def: $vgpr52_vgpr53
	s_andn2_b64 vcc, exec, s[10:11]
	s_add_i32 s33, s33, s48
	s_cbranch_vccnz .LBB1917_38
.LBB1917_7:
	v_cmp_gt_u32_e32 vcc, s33, v0
                                        ; implicit-def: $vgpr1
	s_and_saveexec_b64 s[10:11], vcc
	s_cbranch_execz .LBB1917_9
; %bb.8:
	v_lshlrev_b32_e32 v1, 2, v0
	v_readfirstlane_b32 s12, v46
	v_readfirstlane_b32 s13, v47
	s_nop 4
	global_load_dword v1, v1, s[12:13]
.LBB1917_9:
	s_or_b64 exec, exec, s[10:11]
	v_or_b32_e32 v2, 0x100, v0
	v_cmp_gt_u32_e32 vcc, s33, v2
                                        ; implicit-def: $vgpr2
	s_and_saveexec_b64 s[10:11], vcc
	s_cbranch_execz .LBB1917_11
; %bb.10:
	v_lshlrev_b32_e32 v2, 2, v0
	v_readfirstlane_b32 s12, v46
	v_readfirstlane_b32 s13, v47
	s_nop 4
	global_load_dword v2, v2, s[12:13] offset:1024
.LBB1917_11:
	s_or_b64 exec, exec, s[10:11]
	v_or_b32_e32 v3, 0x200, v0
	v_cmp_gt_u32_e32 vcc, s33, v3
                                        ; implicit-def: $vgpr3
	s_and_saveexec_b64 s[10:11], vcc
	s_cbranch_execz .LBB1917_13
; %bb.12:
	v_lshlrev_b32_e32 v3, 2, v0
	v_readfirstlane_b32 s12, v46
	v_readfirstlane_b32 s13, v47
	s_nop 4
	global_load_dword v3, v3, s[12:13] offset:2048
.LBB1917_13:
	s_or_b64 exec, exec, s[10:11]
	v_or_b32_e32 v4, 0x300, v0
	v_cmp_gt_u32_e32 vcc, s33, v4
                                        ; implicit-def: $vgpr4
	s_and_saveexec_b64 s[10:11], vcc
	s_cbranch_execz .LBB1917_15
; %bb.14:
	v_lshlrev_b32_e32 v4, 2, v0
	v_readfirstlane_b32 s12, v46
	v_readfirstlane_b32 s13, v47
	s_nop 4
	global_load_dword v4, v4, s[12:13] offset:3072
.LBB1917_15:
	s_or_b64 exec, exec, s[10:11]
	v_or_b32_e32 v6, 0x400, v0
	v_cmp_gt_u32_e32 vcc, s33, v6
                                        ; implicit-def: $vgpr5
	s_and_saveexec_b64 s[10:11], vcc
	s_cbranch_execz .LBB1917_17
; %bb.16:
	v_lshlrev_b32_e32 v5, 2, v6
	v_readfirstlane_b32 s12, v46
	v_readfirstlane_b32 s13, v47
	s_nop 4
	global_load_dword v5, v5, s[12:13]
.LBB1917_17:
	s_or_b64 exec, exec, s[10:11]
	v_or_b32_e32 v7, 0x500, v0
	v_cmp_gt_u32_e32 vcc, s33, v7
                                        ; implicit-def: $vgpr6
	s_and_saveexec_b64 s[10:11], vcc
	s_cbranch_execz .LBB1917_19
; %bb.18:
	v_lshlrev_b32_e32 v6, 2, v7
	v_readfirstlane_b32 s12, v46
	v_readfirstlane_b32 s13, v47
	s_nop 4
	global_load_dword v6, v6, s[12:13]
.LBB1917_19:
	s_or_b64 exec, exec, s[10:11]
	v_or_b32_e32 v8, 0x600, v0
	v_cmp_gt_u32_e32 vcc, s33, v8
                                        ; implicit-def: $vgpr7
	s_and_saveexec_b64 s[10:11], vcc
	s_cbranch_execz .LBB1917_21
; %bb.20:
	v_lshlrev_b32_e32 v7, 2, v8
	v_readfirstlane_b32 s12, v46
	v_readfirstlane_b32 s13, v47
	s_nop 4
	global_load_dword v7, v7, s[12:13]
.LBB1917_21:
	s_or_b64 exec, exec, s[10:11]
	v_or_b32_e32 v9, 0x700, v0
	v_cmp_gt_u32_e32 vcc, s33, v9
                                        ; implicit-def: $vgpr8
	s_and_saveexec_b64 s[10:11], vcc
	s_cbranch_execz .LBB1917_23
; %bb.22:
	v_lshlrev_b32_e32 v8, 2, v9
	v_readfirstlane_b32 s12, v46
	v_readfirstlane_b32 s13, v47
	s_nop 4
	global_load_dword v8, v8, s[12:13]
.LBB1917_23:
	s_or_b64 exec, exec, s[10:11]
	v_or_b32_e32 v10, 0x800, v0
	v_cmp_gt_u32_e32 vcc, s33, v10
                                        ; implicit-def: $vgpr9
	s_and_saveexec_b64 s[10:11], vcc
	s_cbranch_execz .LBB1917_25
; %bb.24:
	v_lshlrev_b32_e32 v9, 2, v10
	v_readfirstlane_b32 s12, v46
	v_readfirstlane_b32 s13, v47
	s_nop 4
	global_load_dword v9, v9, s[12:13]
.LBB1917_25:
	s_or_b64 exec, exec, s[10:11]
	v_or_b32_e32 v11, 0x900, v0
	v_cmp_gt_u32_e32 vcc, s33, v11
                                        ; implicit-def: $vgpr10
	s_and_saveexec_b64 s[10:11], vcc
	s_cbranch_execz .LBB1917_27
; %bb.26:
	v_lshlrev_b32_e32 v10, 2, v11
	v_readfirstlane_b32 s12, v46
	v_readfirstlane_b32 s13, v47
	s_nop 4
	global_load_dword v10, v10, s[12:13]
.LBB1917_27:
	s_or_b64 exec, exec, s[10:11]
	v_or_b32_e32 v12, 0xa00, v0
	v_cmp_gt_u32_e32 vcc, s33, v12
                                        ; implicit-def: $vgpr11
	s_and_saveexec_b64 s[10:11], vcc
	s_cbranch_execz .LBB1917_29
; %bb.28:
	v_lshlrev_b32_e32 v11, 2, v12
	v_readfirstlane_b32 s12, v46
	v_readfirstlane_b32 s13, v47
	s_nop 4
	global_load_dword v11, v11, s[12:13]
.LBB1917_29:
	s_or_b64 exec, exec, s[10:11]
	v_or_b32_e32 v13, 0xb00, v0
	v_cmp_gt_u32_e32 vcc, s33, v13
                                        ; implicit-def: $vgpr12
	s_and_saveexec_b64 s[10:11], vcc
	s_cbranch_execz .LBB1917_31
; %bb.30:
	v_lshlrev_b32_e32 v12, 2, v13
	v_readfirstlane_b32 s12, v46
	v_readfirstlane_b32 s13, v47
	s_nop 4
	global_load_dword v12, v12, s[12:13]
.LBB1917_31:
	s_or_b64 exec, exec, s[10:11]
	v_or_b32_e32 v14, 0xc00, v0
	v_cmp_gt_u32_e32 vcc, s33, v14
                                        ; implicit-def: $vgpr13
	s_and_saveexec_b64 s[10:11], vcc
	s_cbranch_execz .LBB1917_33
; %bb.32:
	v_lshlrev_b32_e32 v13, 2, v14
	v_readfirstlane_b32 s12, v46
	v_readfirstlane_b32 s13, v47
	s_nop 4
	global_load_dword v13, v13, s[12:13]
.LBB1917_33:
	s_or_b64 exec, exec, s[10:11]
	v_or_b32_e32 v15, 0xd00, v0
	v_cmp_gt_u32_e32 vcc, s33, v15
                                        ; implicit-def: $vgpr14
	s_and_saveexec_b64 s[10:11], vcc
	s_cbranch_execz .LBB1917_35
; %bb.34:
	v_lshlrev_b32_e32 v14, 2, v15
	v_readfirstlane_b32 s12, v46
	v_readfirstlane_b32 s13, v47
	s_nop 4
	global_load_dword v14, v14, s[12:13]
.LBB1917_35:
	s_or_b64 exec, exec, s[10:11]
	v_or_b32_e32 v16, 0xe00, v0
	v_cmp_gt_u32_e32 vcc, s33, v16
                                        ; implicit-def: $vgpr15
	s_and_saveexec_b64 s[10:11], vcc
	s_cbranch_execz .LBB1917_37
; %bb.36:
	v_lshlrev_b32_e32 v15, 2, v16
	v_readfirstlane_b32 s12, v46
	v_readfirstlane_b32 s13, v47
	s_nop 4
	global_load_dword v15, v15, s[12:13]
.LBB1917_37:
	s_or_b64 exec, exec, s[10:11]
	v_lshlrev_b32_e32 v16, 2, v0
	v_mad_u32_u24 v26, v0, 56, v16
	s_waitcnt vmcnt(0)
	ds_write2st64_b32 v16, v1, v2 offset1:4
	ds_write2st64_b32 v16, v3, v4 offset0:8 offset1:12
	ds_write2st64_b32 v16, v5, v6 offset0:16 offset1:20
	;; [unrolled: 1-line block ×6, first 2 shown]
	ds_write_b32 v16, v15 offset:14336
	s_waitcnt lgkmcnt(0)
	s_barrier
	ds_read2_b32 v[16:17], v26 offset1:1
	ds_read2_b32 v[14:15], v26 offset0:2 offset1:3
	ds_read2_b32 v[12:13], v26 offset0:4 offset1:5
	;; [unrolled: 1-line block ×6, first 2 shown]
	ds_read_b32 v1, v26 offset:56
	s_ashr_i32 s7, s6, 31
	s_movk_i32 s10, 0xffcc
	v_mul_u32_u24_e32 v2, 15, v0
	v_mad_u32_u24 v19, v0, 15, 1
	v_mad_u32_u24 v3, v0, 15, 2
	;; [unrolled: 1-line block ×14, first 2 shown]
	v_mad_i32_i24 v30, v0, s10, v26
	v_pk_mov_b32 v[26:27], s[6:7], s[6:7] op_sel:[0,1]
	s_waitcnt lgkmcnt(7)
	v_mov_b32_e32 v54, v16
	s_waitcnt lgkmcnt(6)
	v_mov_b32_e32 v55, v14
	;; [unrolled: 2-line block ×7, first 2 shown]
	s_waitcnt lgkmcnt(0)
	s_barrier
	ds_write2st64_b64 v30, v[26:27], v[26:27] offset1:4
	ds_write2st64_b64 v30, v[26:27], v[26:27] offset0:8 offset1:12
	ds_write2st64_b64 v30, v[26:27], v[26:27] offset0:16 offset1:20
	;; [unrolled: 1-line block ×6, first 2 shown]
	ds_write_b64 v30, v[26:27] offset:28672
	s_waitcnt lgkmcnt(0)
	s_barrier
.LBB1917_38:
	v_lshlrev_b32_e32 v2, 3, v2
	v_lshlrev_b32_e32 v3, 3, v3
	v_lshlrev_b32_e32 v19, 3, v19
	v_lshlrev_b32_e32 v21, 3, v21
	ds_read_b64 v[42:43], v2
	ds_read_b64 v[40:41], v19
	ds_read_b64 v[38:39], v3
	ds_read_b64 v[34:35], v21
	v_lshlrev_b32_e32 v2, 3, v18
	v_lshlrev_b32_e32 v3, 3, v22
	v_lshlrev_b32_e32 v18, 3, v20
	v_lshlrev_b32_e32 v19, 3, v25
	ds_read_b64 v[36:37], v2
	ds_read_b64 v[32:33], v3
	ds_read_b64 v[30:31], v18
	ds_read_b64 v[26:27], v19
	;; [unrolled: 8-line block ×3, first 2 shown]
	v_lshlrev_b32_e32 v2, 3, v44
	v_lshlrev_b32_e32 v3, 3, v56
	;; [unrolled: 1-line block ×3, first 2 shown]
	ds_read_b64 v[18:19], v2
	ds_read_b64 v[2:3], v3
	ds_read_b64 v[44:45], v44
	s_cmp_eq_u64 s[4:5], 0
	s_cselect_b64 s[46:47], -1, 0
	s_cmp_lg_u64 s[4:5], 0
	s_mov_b64 s[6:7], 0
	s_cselect_b64 s[10:11], -1, 0
	s_and_b64 vcc, exec, s[8:9]
	s_waitcnt lgkmcnt(0)
	s_barrier
	s_cbranch_vccz .LBB1917_44
; %bb.39:
	s_and_b64 vcc, exec, s[10:11]
	s_cbranch_vccz .LBB1917_45
; %bb.40:
	global_load_dword v53, v[46:47], off offset:-4
	v_lshlrev_b32_e32 v56, 2, v0
	ds_write_b32 v56, v1
	s_waitcnt lgkmcnt(0)
	s_barrier
	s_and_saveexec_b64 s[6:7], s[2:3]
	s_cbranch_execz .LBB1917_42
; %bb.41:
	s_waitcnt vmcnt(0)
	v_add_u32_e32 v53, -4, v56
	ds_read_b32 v53, v53
.LBB1917_42:
	s_or_b64 exec, exec, s[6:7]
	v_cmp_neq_f32_e32 vcc, v54, v17
	v_cndmask_b32_e64 v95, 0, 1, vcc
	v_cmp_neq_f32_e32 vcc, v55, v17
	v_cndmask_b32_e64 v94, 0, 1, vcc
	;; [unrolled: 2-line block ×14, first 2 shown]
	s_waitcnt vmcnt(0) lgkmcnt(0)
	v_cmp_neq_f32_e64 s[8:9], v53, v16
	s_mov_b64 s[6:7], -1
.LBB1917_43:
                                        ; implicit-def: $sgpr14
	s_branch .LBB1917_57
.LBB1917_44:
                                        ; implicit-def: $sgpr8_sgpr9
                                        ; implicit-def: $vgpr82
                                        ; implicit-def: $vgpr83
                                        ; implicit-def: $vgpr84
                                        ; implicit-def: $vgpr85
                                        ; implicit-def: $vgpr86
                                        ; implicit-def: $vgpr87
                                        ; implicit-def: $vgpr88
                                        ; implicit-def: $vgpr89
                                        ; implicit-def: $vgpr90
                                        ; implicit-def: $vgpr91
                                        ; implicit-def: $vgpr92
                                        ; implicit-def: $vgpr93
                                        ; implicit-def: $vgpr94
                                        ; implicit-def: $vgpr95
                                        ; implicit-def: $sgpr14
	s_cbranch_execnz .LBB1917_49
	s_branch .LBB1917_57
.LBB1917_45:
                                        ; implicit-def: $sgpr8_sgpr9
                                        ; implicit-def: $vgpr82
                                        ; implicit-def: $vgpr83
                                        ; implicit-def: $vgpr84
                                        ; implicit-def: $vgpr85
                                        ; implicit-def: $vgpr86
                                        ; implicit-def: $vgpr87
                                        ; implicit-def: $vgpr88
                                        ; implicit-def: $vgpr89
                                        ; implicit-def: $vgpr90
                                        ; implicit-def: $vgpr91
                                        ; implicit-def: $vgpr92
                                        ; implicit-def: $vgpr93
                                        ; implicit-def: $vgpr94
                                        ; implicit-def: $vgpr95
	s_cbranch_execz .LBB1917_43
; %bb.46:
	v_cmp_neq_f32_e32 vcc, v17, v54
	v_cndmask_b32_e64 v95, 0, 1, vcc
	v_cmp_neq_f32_e32 vcc, v17, v55
	v_cndmask_b32_e64 v94, 0, 1, vcc
	;; [unrolled: 2-line block ×13, first 2 shown]
	v_cmp_neq_f32_e32 vcc, v5, v1
	v_lshlrev_b32_e32 v53, 2, v0
	v_cndmask_b32_e64 v82, 0, 1, vcc
	ds_write_b32 v53, v1
	s_waitcnt lgkmcnt(0)
	s_barrier
	s_waitcnt lgkmcnt(0)
                                        ; implicit-def: $sgpr8_sgpr9
	s_and_saveexec_b64 s[12:13], s[2:3]
	s_xor_b64 s[12:13], exec, s[12:13]
	s_cbranch_execz .LBB1917_48
; %bb.47:
	v_add_u32_e32 v48, -4, v53
	ds_read_b32 v48, v48
	s_or_b64 s[6:7], s[6:7], exec
	s_waitcnt lgkmcnt(0)
	v_cmp_neq_f32_e32 vcc, v48, v16
	s_and_b64 s[8:9], vcc, exec
.LBB1917_48:
	s_or_b64 exec, exec, s[12:13]
	s_mov_b32 s14, 1
	s_branch .LBB1917_57
.LBB1917_49:
	s_mul_hi_u32 s8, s4, 0xfffff100
	s_mulk_i32 s5, 0xf100
	s_sub_i32 s8, s8, s4
	s_add_i32 s8, s8, s5
	s_mulk_i32 s4, 0xf100
	s_add_u32 s12, s4, s48
	s_addc_u32 s13, s8, s49
	s_and_b64 vcc, exec, s[10:11]
	s_cbranch_vccz .LBB1917_54
; %bb.50:
	global_load_dword v50, v[46:47], off offset:-4
	v_mad_u32_u24 v48, v0, 15, 14
	v_mov_b32_e32 v49, 0
	v_cmp_gt_u64_e32 vcc, s[12:13], v[48:49]
	v_cmp_neq_f32_e64 s[4:5], v5, v1
	v_mad_u32_u24 v48, v0, 15, 13
	s_and_b64 s[6:7], vcc, s[4:5]
	v_cmp_gt_u64_e32 vcc, s[12:13], v[48:49]
	v_cmp_neq_f32_e64 s[4:5], v4, v5
	v_mad_u32_u24 v48, v0, 15, 12
	s_and_b64 s[8:9], vcc, s[4:5]
	;; [unrolled: 4-line block ×13, first 2 shown]
	v_cmp_gt_u64_e32 vcc, s[12:13], v[48:49]
	v_cmp_neq_f32_e64 s[4:5], v16, v17
	v_lshlrev_b32_e32 v47, 2, v0
	v_mul_u32_u24_e32 v46, 15, v0
	s_and_b64 s[4:5], vcc, s[4:5]
	ds_write_b32 v47, v1
	s_waitcnt lgkmcnt(0)
	s_barrier
	s_and_saveexec_b64 s[58:59], s[2:3]
	s_cbranch_execz .LBB1917_52
; %bb.51:
	v_add_u32_e32 v47, -4, v47
	s_waitcnt vmcnt(0)
	ds_read_b32 v50, v47
.LBB1917_52:
	s_or_b64 exec, exec, s[58:59]
	v_mov_b32_e32 v47, v49
	v_cndmask_b32_e64 v95, 0, 1, s[4:5]
	v_cmp_gt_u64_e32 vcc, s[12:13], v[46:47]
	s_waitcnt vmcnt(0) lgkmcnt(0)
	v_cmp_neq_f32_e64 s[4:5], v50, v16
	v_cndmask_b32_e64 v82, 0, 1, s[6:7]
	v_cndmask_b32_e64 v83, 0, 1, s[8:9]
	;; [unrolled: 1-line block ×13, first 2 shown]
	s_and_b64 s[8:9], vcc, s[4:5]
	s_mov_b64 s[6:7], -1
.LBB1917_53:
                                        ; implicit-def: $sgpr14
	v_mov_b32_e32 v96, s14
	s_and_saveexec_b64 s[2:3], s[6:7]
	s_cbranch_execnz .LBB1917_58
	s_branch .LBB1917_59
.LBB1917_54:
                                        ; implicit-def: $sgpr8_sgpr9
                                        ; implicit-def: $vgpr82
                                        ; implicit-def: $vgpr83
                                        ; implicit-def: $vgpr84
                                        ; implicit-def: $vgpr85
                                        ; implicit-def: $vgpr86
                                        ; implicit-def: $vgpr87
                                        ; implicit-def: $vgpr88
                                        ; implicit-def: $vgpr89
                                        ; implicit-def: $vgpr90
                                        ; implicit-def: $vgpr91
                                        ; implicit-def: $vgpr92
                                        ; implicit-def: $vgpr93
                                        ; implicit-def: $vgpr94
                                        ; implicit-def: $vgpr95
	s_cbranch_execz .LBB1917_53
; %bb.55:
	v_mad_u32_u24 v46, v0, 15, 14
	v_mov_b32_e32 v47, 0
	v_cmp_gt_u64_e32 vcc, s[12:13], v[46:47]
	v_cmp_neq_f32_e64 s[4:5], v5, v1
	s_and_b64 s[4:5], vcc, s[4:5]
	v_mad_u32_u24 v46, v0, 15, 13
	v_cndmask_b32_e64 v82, 0, 1, s[4:5]
	v_cmp_gt_u64_e32 vcc, s[12:13], v[46:47]
	v_cmp_neq_f32_e64 s[4:5], v4, v5
	s_and_b64 s[4:5], vcc, s[4:5]
	v_mad_u32_u24 v46, v0, 15, 12
	v_cndmask_b32_e64 v83, 0, 1, s[4:5]
	;; [unrolled: 5-line block ×13, first 2 shown]
	v_cmp_gt_u64_e32 vcc, s[12:13], v[46:47]
	v_cmp_neq_f32_e64 s[4:5], v16, v17
	s_and_b64 s[4:5], vcc, s[4:5]
	v_lshlrev_b32_e32 v48, 2, v0
	s_mov_b32 s14, 1
	v_cndmask_b32_e64 v95, 0, 1, s[4:5]
	ds_write_b32 v48, v1
	s_waitcnt lgkmcnt(0)
	s_barrier
	s_waitcnt lgkmcnt(0)
                                        ; implicit-def: $sgpr8_sgpr9
	s_and_saveexec_b64 s[4:5], s[2:3]
	s_cbranch_execz .LBB1917_210
; %bb.56:
	v_add_u32_e32 v46, -4, v48
	ds_read_b32 v48, v46
	v_mul_u32_u24_e32 v46, 15, v0
	v_cmp_gt_u64_e32 vcc, s[12:13], v[46:47]
	s_or_b64 s[6:7], s[6:7], exec
	s_waitcnt lgkmcnt(0)
	v_cmp_neq_f32_e64 s[2:3], v48, v16
	s_and_b64 s[2:3], vcc, s[2:3]
	s_and_b64 s[8:9], s[2:3], exec
	s_or_b64 exec, exec, s[4:5]
.LBB1917_57:
	v_mov_b32_e32 v96, s14
	s_and_saveexec_b64 s[2:3], s[6:7]
.LBB1917_58:
	v_cndmask_b32_e64 v96, 0, 1, s[8:9]
.LBB1917_59:
	s_or_b64 exec, exec, s[2:3]
	s_cmp_eq_u64 s[42:43], 0
	v_add3_u32 v46, v95, v96, v94
	s_cselect_b64 s[34:35], -1, 0
	s_cmp_lg_u32 s60, 0
	v_cmp_eq_u32_e64 s[26:27], 0, v95
	v_cmp_eq_u32_e64 s[24:25], 0, v94
	;; [unrolled: 1-line block ×3, first 2 shown]
	v_add3_u32 v99, v46, v93, v92
	v_cmp_eq_u32_e64 s[20:21], 0, v92
	v_cmp_eq_u32_e64 s[18:19], 0, v91
	;; [unrolled: 1-line block ×10, first 2 shown]
	v_cmp_eq_u32_e32 vcc, 0, v82
	v_mbcnt_lo_u32_b32 v98, -1, 0
	s_cbranch_scc0 .LBB1917_130
; %bb.60:
	v_cndmask_b32_e64 v47, 0, v42, s[26:27]
	v_cndmask_b32_e64 v46, 0, v43, s[26:27]
	v_add_co_u32_e64 v47, s[28:29], v47, v40
	v_addc_co_u32_e64 v46, s[28:29], v46, v41, s[28:29]
	v_cndmask_b32_e64 v47, 0, v47, s[24:25]
	v_cndmask_b32_e64 v46, 0, v46, s[24:25]
	v_add_co_u32_e64 v47, s[28:29], v47, v38
	v_addc_co_u32_e64 v46, s[28:29], v46, v39, s[28:29]
	;; [unrolled: 4-line block ×11, first 2 shown]
	v_cndmask_b32_e64 v47, 0, v47, s[4:5]
	v_add3_u32 v48, v99, v91, v90
	v_cndmask_b32_e64 v46, 0, v46, s[4:5]
	v_add_co_u32_e64 v47, s[28:29], v47, v18
	v_add3_u32 v48, v48, v89, v88
	v_addc_co_u32_e64 v46, s[28:29], v46, v19, s[28:29]
	v_cndmask_b32_e64 v47, 0, v47, s[2:3]
	v_add3_u32 v48, v48, v87, v86
	v_cndmask_b32_e64 v46, 0, v46, s[2:3]
	v_add_co_u32_e64 v47, s[28:29], v47, v2
	v_add3_u32 v48, v48, v85, v84
	v_addc_co_u32_e64 v46, s[28:29], v46, v3, s[28:29]
	v_cndmask_b32_e32 v47, 0, v47, vcc
	v_add3_u32 v50, v48, v83, v82
	v_cndmask_b32_e32 v46, 0, v46, vcc
	v_add_co_u32_e32 v48, vcc, v47, v44
	v_mbcnt_hi_u32_b32 v51, -1, v98
	v_addc_co_u32_e32 v49, vcc, v46, v45, vcc
	v_and_b32_e32 v46, 15, v51
	v_mov_b32_dpp v52, v50 row_shr:1 row_mask:0xf bank_mask:0xf
	v_mov_b32_dpp v47, v48 row_shr:1 row_mask:0xf bank_mask:0xf
	;; [unrolled: 1-line block ×3, first 2 shown]
	v_cmp_ne_u32_e32 vcc, 0, v46
	s_and_saveexec_b64 s[28:29], vcc
; %bb.61:
	v_cmp_eq_u32_e32 vcc, 0, v50
	v_cndmask_b32_e32 v47, 0, v47, vcc
	v_add_u32_e32 v52, v52, v50
	v_cndmask_b32_e32 v50, 0, v53, vcc
	v_add_co_u32_e32 v48, vcc, v47, v48
	v_addc_co_u32_e32 v49, vcc, v50, v49, vcc
	v_mov_b32_e32 v50, v52
; %bb.62:
	s_or_b64 exec, exec, s[28:29]
	s_nop 0
	v_mov_b32_dpp v52, v50 row_shr:2 row_mask:0xf bank_mask:0xf
	v_mov_b32_dpp v47, v48 row_shr:2 row_mask:0xf bank_mask:0xf
	v_mov_b32_dpp v53, v49 row_shr:2 row_mask:0xf bank_mask:0xf
	v_cmp_lt_u32_e32 vcc, 1, v46
	s_and_saveexec_b64 s[28:29], vcc
; %bb.63:
	v_cmp_eq_u32_e32 vcc, 0, v50
	v_cndmask_b32_e32 v47, 0, v47, vcc
	v_add_u32_e32 v52, v52, v50
	v_cndmask_b32_e32 v50, 0, v53, vcc
	v_add_co_u32_e32 v48, vcc, v47, v48
	v_addc_co_u32_e32 v49, vcc, v50, v49, vcc
	v_mov_b32_e32 v50, v52
; %bb.64:
	s_or_b64 exec, exec, s[28:29]
	s_nop 0
	v_mov_b32_dpp v52, v50 row_shr:4 row_mask:0xf bank_mask:0xf
	v_mov_b32_dpp v47, v48 row_shr:4 row_mask:0xf bank_mask:0xf
	v_mov_b32_dpp v53, v49 row_shr:4 row_mask:0xf bank_mask:0xf
	v_cmp_lt_u32_e32 vcc, 3, v46
	;; [unrolled: 16-line block ×3, first 2 shown]
	s_and_saveexec_b64 s[28:29], vcc
; %bb.67:
	v_cmp_eq_u32_e32 vcc, 0, v50
	v_cndmask_b32_e32 v47, 0, v47, vcc
	v_add_u32_e32 v46, v52, v50
	v_cndmask_b32_e32 v50, 0, v53, vcc
	v_add_co_u32_e32 v48, vcc, v47, v48
	v_addc_co_u32_e32 v49, vcc, v50, v49, vcc
	v_mov_b32_e32 v50, v46
; %bb.68:
	s_or_b64 exec, exec, s[28:29]
	v_and_b32_e32 v53, 16, v51
	v_mov_b32_dpp v47, v50 row_bcast:15 row_mask:0xf bank_mask:0xf
	v_mov_b32_dpp v46, v48 row_bcast:15 row_mask:0xf bank_mask:0xf
	;; [unrolled: 1-line block ×3, first 2 shown]
	v_cmp_ne_u32_e32 vcc, 0, v53
	s_and_saveexec_b64 s[28:29], vcc
; %bb.69:
	v_cmp_eq_u32_e32 vcc, 0, v50
	v_cndmask_b32_e32 v46, 0, v46, vcc
	v_add_u32_e32 v47, v47, v50
	v_cndmask_b32_e32 v50, 0, v52, vcc
	v_add_co_u32_e32 v48, vcc, v46, v48
	v_addc_co_u32_e32 v49, vcc, v50, v49, vcc
	v_mov_b32_e32 v50, v47
; %bb.70:
	s_or_b64 exec, exec, s[28:29]
	s_nop 0
	v_mov_b32_dpp v47, v50 row_bcast:31 row_mask:0xf bank_mask:0xf
	v_mov_b32_dpp v46, v48 row_bcast:31 row_mask:0xf bank_mask:0xf
	;; [unrolled: 1-line block ×3, first 2 shown]
	v_cmp_lt_u32_e32 vcc, 31, v51
	s_and_saveexec_b64 s[28:29], vcc
; %bb.71:
	v_cmp_eq_u32_e32 vcc, 0, v50
	v_cndmask_b32_e32 v46, 0, v46, vcc
	v_add_u32_e32 v47, v47, v50
	v_cndmask_b32_e32 v50, 0, v52, vcc
	v_add_co_u32_e32 v48, vcc, v46, v48
	v_addc_co_u32_e32 v49, vcc, v50, v49, vcc
	v_mov_b32_e32 v50, v47
; %bb.72:
	s_or_b64 exec, exec, s[28:29]
	v_lshrrev_b32_e32 v46, 6, v0
	v_or_b32_e32 v47, 63, v0
	v_cmp_eq_u32_e32 vcc, v47, v0
	v_lshlrev_b32_e32 v52, 4, v46
	s_and_saveexec_b64 s[28:29], vcc
	s_cbranch_execz .LBB1917_74
; %bb.73:
	ds_write_b32 v52, v50 offset:2080
	ds_write_b64 v52, v[48:49] offset:2088
.LBB1917_74:
	s_or_b64 exec, exec, s[28:29]
	v_cmp_gt_u32_e32 vcc, 4, v0
	s_waitcnt lgkmcnt(0)
	s_barrier
	s_and_saveexec_b64 s[28:29], vcc
	s_cbranch_execz .LBB1917_80
; %bb.75:
	v_lshlrev_b32_e32 v53, 4, v0
	ds_read_b32 v54, v53 offset:2080
	ds_read_b64 v[46:47], v53 offset:2088
	v_and_b32_e32 v55, 3, v51
	v_cmp_ne_u32_e32 vcc, 0, v55
	s_waitcnt lgkmcnt(1)
	v_mov_b32_dpp v57, v54 row_shr:1 row_mask:0xf bank_mask:0xf
	s_waitcnt lgkmcnt(0)
	v_mov_b32_dpp v56, v46 row_shr:1 row_mask:0xf bank_mask:0xf
	v_mov_b32_dpp v58, v47 row_shr:1 row_mask:0xf bank_mask:0xf
	s_and_saveexec_b64 s[42:43], vcc
; %bb.76:
	v_cmp_eq_u32_e32 vcc, 0, v54
	v_cndmask_b32_e32 v56, 0, v56, vcc
	v_add_u32_e32 v57, v57, v54
	v_cndmask_b32_e32 v54, 0, v58, vcc
	v_add_co_u32_e32 v46, vcc, v56, v46
	v_addc_co_u32_e32 v47, vcc, v54, v47, vcc
	v_mov_b32_e32 v54, v57
; %bb.77:
	s_or_b64 exec, exec, s[42:43]
	s_nop 0
	v_mov_b32_dpp v57, v54 row_shr:2 row_mask:0xf bank_mask:0xf
	v_mov_b32_dpp v56, v46 row_shr:2 row_mask:0xf bank_mask:0xf
	;; [unrolled: 1-line block ×3, first 2 shown]
	v_cmp_lt_u32_e32 vcc, 1, v55
	s_and_saveexec_b64 s[42:43], vcc
; %bb.78:
	v_cmp_eq_u32_e32 vcc, 0, v54
	v_cndmask_b32_e32 v56, 0, v56, vcc
	v_add_u32_e32 v55, v57, v54
	v_cndmask_b32_e32 v54, 0, v58, vcc
	v_add_co_u32_e32 v46, vcc, v56, v46
	v_addc_co_u32_e32 v47, vcc, v54, v47, vcc
	v_mov_b32_e32 v54, v55
; %bb.79:
	s_or_b64 exec, exec, s[42:43]
	ds_write_b32 v53, v54 offset:2080
	ds_write_b64 v53, v[46:47] offset:2088
.LBB1917_80:
	s_or_b64 exec, exec, s[28:29]
	v_cmp_gt_u32_e32 vcc, 64, v0
	v_cmp_lt_u32_e64 s[28:29], 63, v0
	v_pk_mov_b32 v[46:47], 0, 0
	v_mov_b32_e32 v58, 0
	s_waitcnt lgkmcnt(0)
	s_barrier
	s_and_saveexec_b64 s[42:43], s[28:29]
	s_cbranch_execz .LBB1917_82
; %bb.81:
	ds_read_b32 v58, v52 offset:2064
	ds_read_b64 v[46:47], v52 offset:2072
	v_cmp_eq_u32_e64 s[28:29], 0, v50
	s_waitcnt lgkmcnt(1)
	v_add_u32_e32 v52, v58, v50
	s_waitcnt lgkmcnt(0)
	v_cndmask_b32_e64 v53, 0, v46, s[28:29]
	v_cndmask_b32_e64 v50, 0, v47, s[28:29]
	v_add_co_u32_e64 v48, s[28:29], v53, v48
	v_addc_co_u32_e64 v49, s[28:29], v50, v49, s[28:29]
	v_mov_b32_e32 v50, v52
.LBB1917_82:
	s_or_b64 exec, exec, s[42:43]
	v_add_u32_e32 v52, -1, v51
	v_and_b32_e32 v53, 64, v51
	v_cmp_lt_i32_e64 s[28:29], v52, v53
	v_cndmask_b32_e64 v52, v52, v51, s[28:29]
	v_lshlrev_b32_e32 v52, 2, v52
	ds_bpermute_b32 v59, v52, v50
	ds_bpermute_b32 v60, v52, v48
	;; [unrolled: 1-line block ×3, first 2 shown]
	v_cmp_eq_u32_e64 s[28:29], 0, v51
	s_and_saveexec_b64 s[42:43], vcc
	s_cbranch_execz .LBB1917_129
; %bb.83:
	v_mov_b32_e32 v53, 0
	ds_read_b32 v62, v53 offset:2128
	ds_read_b64 v[48:49], v53 offset:2136
	s_and_saveexec_b64 s[48:49], s[28:29]
	s_cbranch_execz .LBB1917_85
; %bb.84:
	s_add_i32 s58, s60, 64
	s_mov_b32 s59, 0
	s_lshl_b64 s[62:63], s[58:59], 4
	s_add_u32 s62, s36, s62
	s_addc_u32 s63, s37, s63
	v_mov_b32_e32 v50, s58
	v_mov_b32_e32 v52, 1
	s_waitcnt lgkmcnt(1)
	global_store_dword v53, v62, s[62:63]
	s_waitcnt lgkmcnt(0)
	global_store_dwordx2 v53, v[48:49], s[62:63] offset:8
	s_waitcnt vmcnt(0)
	buffer_wbinvl1_vol
	global_store_byte v50, v52, s[40:41]
.LBB1917_85:
	s_or_b64 exec, exec, s[48:49]
	v_xad_u32 v50, v51, -1, s60
	v_add_u32_e32 v52, 64, v50
	global_load_ubyte v63, v52, s[40:41] glc
	s_waitcnt vmcnt(0)
	v_cmp_eq_u16_e32 vcc, 0, v63
	s_and_saveexec_b64 s[48:49], vcc
	s_cbranch_execz .LBB1917_91
; %bb.86:
	v_mov_b32_e32 v55, s41
	v_add_co_u32_e32 v54, vcc, s40, v52
	v_addc_co_u32_e32 v55, vcc, 0, v55, vcc
	s_mov_b32 s61, 1
	s_mov_b64 s[58:59], 0
.LBB1917_87:                            ; =>This Loop Header: Depth=1
                                        ;     Child Loop BB1917_88 Depth 2
	s_max_u32 s62, s61, 1
.LBB1917_88:                            ;   Parent Loop BB1917_87 Depth=1
                                        ; =>  This Inner Loop Header: Depth=2
	s_add_i32 s62, s62, -1
	s_cmp_eq_u32 s62, 0
	s_sleep 1
	s_cbranch_scc0 .LBB1917_88
; %bb.89:                               ;   in Loop: Header=BB1917_87 Depth=1
	global_load_ubyte v63, v[54:55], off glc
	s_cmp_lt_u32 s61, 32
	s_cselect_b64 s[62:63], -1, 0
	s_cmp_lg_u64 s[62:63], 0
	s_addc_u32 s61, s61, 0
	s_waitcnt vmcnt(0)
	v_cmp_ne_u16_e32 vcc, 0, v63
	s_or_b64 s[58:59], vcc, s[58:59]
	s_andn2_b64 exec, exec, s[58:59]
	s_cbranch_execnz .LBB1917_87
; %bb.90:
	s_or_b64 exec, exec, s[58:59]
.LBB1917_91:
	s_or_b64 exec, exec, s[48:49]
	v_mov_b32_e32 v54, s39
	v_mov_b32_e32 v55, s37
	v_cmp_eq_u16_e32 vcc, 1, v63
	v_cndmask_b32_e32 v54, v54, v55, vcc
	v_mov_b32_e32 v55, s38
	v_mov_b32_e32 v56, s36
	v_cndmask_b32_e32 v55, v55, v56, vcc
	v_lshlrev_b64 v[52:53], 4, v[52:53]
	v_add_co_u32_e32 v52, vcc, v55, v52
	v_addc_co_u32_e32 v53, vcc, v54, v53, vcc
	s_waitcnt lgkmcnt(0)
	buffer_wbinvl1_vol
	global_load_dword v78, v[52:53], off
	global_load_dwordx2 v[56:57], v[52:53], off offset:8
	v_cmp_eq_u16_e32 vcc, 2, v63
	v_lshlrev_b64 v[52:53], v51, -1
	v_and_b32_e32 v64, 63, v51
	v_and_b32_e32 v54, vcc_hi, v53
	v_and_b32_e32 v68, vcc_lo, v52
	v_cmp_ne_u32_e32 vcc, 63, v64
	v_addc_co_u32_e32 v55, vcc, 0, v51, vcc
	v_lshlrev_b32_e32 v65, 2, v55
	v_or_b32_e32 v54, 0x80000000, v54
	v_ffbl_b32_e32 v54, v54
	v_add_u32_e32 v54, 32, v54
	v_ffbl_b32_e32 v68, v68
	v_min_u32_e32 v54, v68, v54
	v_cmp_lt_u32_e32 vcc, v64, v54
	s_waitcnt vmcnt(1)
	ds_bpermute_b32 v66, v65, v78
	s_waitcnt vmcnt(0)
	ds_bpermute_b32 v55, v65, v56
	ds_bpermute_b32 v67, v65, v57
	s_and_saveexec_b64 s[48:49], vcc
	s_cbranch_execz .LBB1917_93
; %bb.92:
	v_cmp_eq_u32_e32 vcc, 0, v78
	s_waitcnt lgkmcnt(1)
	v_cndmask_b32_e32 v55, 0, v55, vcc
	v_add_u32_e32 v66, v66, v78
	s_waitcnt lgkmcnt(0)
	v_cndmask_b32_e32 v67, 0, v67, vcc
	v_add_co_u32_e32 v56, vcc, v55, v56
	v_addc_co_u32_e32 v57, vcc, v67, v57, vcc
	v_mov_b32_e32 v78, v66
.LBB1917_93:
	s_or_b64 exec, exec, s[48:49]
	v_cmp_gt_u32_e32 vcc, 62, v64
	s_waitcnt lgkmcnt(1)
	v_cndmask_b32_e64 v55, 0, 1, vcc
	v_lshlrev_b32_e32 v55, 1, v55
	v_add_lshl_u32 v66, v55, v51, 2
	ds_bpermute_b32 v68, v66, v78
	ds_bpermute_b32 v55, v66, v56
	ds_bpermute_b32 v69, v66, v57
	s_waitcnt lgkmcnt(3)
	v_add_u32_e32 v67, 2, v64
	v_cmp_le_u32_e32 vcc, v67, v54
	s_and_saveexec_b64 s[48:49], vcc
	s_cbranch_execz .LBB1917_95
; %bb.94:
	v_cmp_eq_u32_e32 vcc, 0, v78
	s_waitcnt lgkmcnt(1)
	v_cndmask_b32_e32 v55, 0, v55, vcc
	v_add_u32_e32 v68, v68, v78
	s_waitcnt lgkmcnt(0)
	v_cndmask_b32_e32 v69, 0, v69, vcc
	v_add_co_u32_e32 v56, vcc, v55, v56
	v_addc_co_u32_e32 v57, vcc, v69, v57, vcc
	v_mov_b32_e32 v78, v68
.LBB1917_95:
	s_or_b64 exec, exec, s[48:49]
	v_cmp_gt_u32_e32 vcc, 60, v64
	s_waitcnt lgkmcnt(1)
	v_cndmask_b32_e64 v55, 0, 1, vcc
	v_lshlrev_b32_e32 v55, 2, v55
	v_add_lshl_u32 v68, v55, v51, 2
	ds_bpermute_b32 v70, v68, v78
	ds_bpermute_b32 v55, v68, v56
	ds_bpermute_b32 v71, v68, v57
	s_waitcnt lgkmcnt(3)
	v_add_u32_e32 v69, 4, v64
	v_cmp_le_u32_e32 vcc, v69, v54
	;; [unrolled: 25-line block ×4, first 2 shown]
	s_and_saveexec_b64 s[48:49], vcc
	s_cbranch_execz .LBB1917_101
; %bb.100:
	v_cmp_eq_u32_e32 vcc, 0, v78
	s_waitcnt lgkmcnt(1)
	v_cndmask_b32_e32 v55, 0, v55, vcc
	v_add_u32_e32 v74, v74, v78
	s_waitcnt lgkmcnt(0)
	v_cndmask_b32_e32 v75, 0, v75, vcc
	v_add_co_u32_e32 v56, vcc, v55, v56
	v_addc_co_u32_e32 v57, vcc, v75, v57, vcc
	v_mov_b32_e32 v78, v74
.LBB1917_101:
	s_or_b64 exec, exec, s[48:49]
	v_cmp_gt_u32_e32 vcc, 32, v64
	s_waitcnt lgkmcnt(1)
	v_cndmask_b32_e64 v55, 0, 1, vcc
	v_lshlrev_b32_e32 v55, 5, v55
	v_add_lshl_u32 v74, v55, v51, 2
	ds_bpermute_b32 v55, v74, v78
	ds_bpermute_b32 v51, v74, v56
	s_waitcnt lgkmcnt(2)
	ds_bpermute_b32 v75, v74, v57
	v_add_u32_e32 v76, 32, v64
	v_cmp_le_u32_e32 vcc, v76, v54
	s_and_saveexec_b64 s[48:49], vcc
	s_cbranch_execz .LBB1917_103
; %bb.102:
	v_cmp_eq_u32_e32 vcc, 0, v78
	s_waitcnt lgkmcnt(1)
	v_cndmask_b32_e32 v51, 0, v51, vcc
	v_add_u32_e32 v54, v55, v78
	s_waitcnt lgkmcnt(0)
	v_cndmask_b32_e32 v55, 0, v75, vcc
	v_add_co_u32_e32 v56, vcc, v51, v56
	v_addc_co_u32_e32 v57, vcc, v55, v57, vcc
	v_mov_b32_e32 v78, v54
.LBB1917_103:
	s_or_b64 exec, exec, s[48:49]
	s_waitcnt lgkmcnt(1)
	v_mov_b32_e32 v51, 0
	v_mov_b32_e32 v77, 2
	s_branch .LBB1917_105
.LBB1917_104:                           ;   in Loop: Header=BB1917_105 Depth=1
	s_or_b64 exec, exec, s[48:49]
	v_cmp_eq_u32_e32 vcc, 0, v75
	v_cndmask_b32_e32 v56, 0, v56, vcc
	v_cndmask_b32_e32 v57, 0, v57, vcc
	v_add_co_u32_e32 v56, vcc, v56, v54
	v_subrev_u32_e32 v50, 64, v50
	v_add_u32_e32 v78, v79, v75
	v_addc_co_u32_e32 v57, vcc, v57, v55, vcc
.LBB1917_105:                           ; =>This Loop Header: Depth=1
                                        ;     Child Loop BB1917_108 Depth 2
                                        ;       Child Loop BB1917_109 Depth 3
	v_cmp_ne_u16_sdwa s[48:49], v63, v77 src0_sel:BYTE_0 src1_sel:DWORD
	v_pk_mov_b32 v[54:55], v[56:57], v[56:57] op_sel:[0,1]
	v_cndmask_b32_e64 v56, 0, 1, s[48:49]
	;;#ASMSTART
	;;#ASMEND
	v_cmp_ne_u32_e32 vcc, 0, v56
	s_cmp_lg_u64 vcc, exec
	s_waitcnt lgkmcnt(0)
	v_mov_b32_e32 v75, v78
	s_cbranch_scc1 .LBB1917_124
; %bb.106:                              ;   in Loop: Header=BB1917_105 Depth=1
	global_load_ubyte v63, v50, s[40:41] glc
	s_waitcnt vmcnt(0)
	v_cmp_eq_u16_e32 vcc, 0, v63
	s_and_saveexec_b64 s[48:49], vcc
	s_cbranch_execz .LBB1917_112
; %bb.107:                              ;   in Loop: Header=BB1917_105 Depth=1
	v_mov_b32_e32 v57, s41
	v_add_co_u32_e32 v56, vcc, s40, v50
	v_addc_co_u32_e32 v57, vcc, 0, v57, vcc
	s_mov_b32 s61, 1
	s_mov_b64 s[58:59], 0
.LBB1917_108:                           ;   Parent Loop BB1917_105 Depth=1
                                        ; =>  This Loop Header: Depth=2
                                        ;       Child Loop BB1917_109 Depth 3
	s_max_u32 s62, s61, 1
.LBB1917_109:                           ;   Parent Loop BB1917_105 Depth=1
                                        ;     Parent Loop BB1917_108 Depth=2
                                        ; =>    This Inner Loop Header: Depth=3
	s_add_i32 s62, s62, -1
	s_cmp_eq_u32 s62, 0
	s_sleep 1
	s_cbranch_scc0 .LBB1917_109
; %bb.110:                              ;   in Loop: Header=BB1917_108 Depth=2
	global_load_ubyte v63, v[56:57], off glc
	s_cmp_lt_u32 s61, 32
	s_cselect_b64 s[62:63], -1, 0
	s_cmp_lg_u64 s[62:63], 0
	s_addc_u32 s61, s61, 0
	s_waitcnt vmcnt(0)
	v_cmp_ne_u16_e32 vcc, 0, v63
	s_or_b64 s[58:59], vcc, s[58:59]
	s_andn2_b64 exec, exec, s[58:59]
	s_cbranch_execnz .LBB1917_108
; %bb.111:                              ;   in Loop: Header=BB1917_105 Depth=1
	s_or_b64 exec, exec, s[58:59]
.LBB1917_112:                           ;   in Loop: Header=BB1917_105 Depth=1
	s_or_b64 exec, exec, s[48:49]
	v_mov_b32_e32 v56, s39
	v_mov_b32_e32 v57, s37
	v_cmp_eq_u16_e32 vcc, 1, v63
	v_cndmask_b32_e32 v78, v56, v57, vcc
	v_mov_b32_e32 v56, s38
	v_mov_b32_e32 v57, s36
	v_cndmask_b32_e32 v79, v56, v57, vcc
	v_lshlrev_b64 v[56:57], 4, v[50:51]
	v_add_co_u32_e32 v56, vcc, v79, v56
	v_addc_co_u32_e32 v57, vcc, v78, v57, vcc
	buffer_wbinvl1_vol
	global_load_dword v79, v[56:57], off
	s_nop 0
	global_load_dwordx2 v[56:57], v[56:57], off offset:8
	v_cmp_eq_u16_e32 vcc, 2, v63
	v_and_b32_e32 v78, vcc_hi, v53
	v_or_b32_e32 v78, 0x80000000, v78
	v_and_b32_e32 v100, vcc_lo, v52
	v_ffbl_b32_e32 v78, v78
	v_add_u32_e32 v78, 32, v78
	v_ffbl_b32_e32 v100, v100
	v_min_u32_e32 v78, v100, v78
	v_cmp_lt_u32_e32 vcc, v64, v78
	s_waitcnt vmcnt(1)
	ds_bpermute_b32 v81, v65, v79
	s_waitcnt vmcnt(0)
	ds_bpermute_b32 v80, v65, v56
	ds_bpermute_b32 v97, v65, v57
	s_and_saveexec_b64 s[48:49], vcc
	s_cbranch_execz .LBB1917_114
; %bb.113:                              ;   in Loop: Header=BB1917_105 Depth=1
	v_cmp_eq_u32_e32 vcc, 0, v79
	s_waitcnt lgkmcnt(1)
	v_cndmask_b32_e32 v80, 0, v80, vcc
	v_add_u32_e32 v81, v81, v79
	s_waitcnt lgkmcnt(0)
	v_cndmask_b32_e32 v79, 0, v97, vcc
	v_add_co_u32_e32 v56, vcc, v80, v56
	v_addc_co_u32_e32 v57, vcc, v79, v57, vcc
	v_mov_b32_e32 v79, v81
.LBB1917_114:                           ;   in Loop: Header=BB1917_105 Depth=1
	s_or_b64 exec, exec, s[48:49]
	s_waitcnt lgkmcnt(2)
	ds_bpermute_b32 v81, v66, v79
	s_waitcnt lgkmcnt(2)
	ds_bpermute_b32 v80, v66, v56
	s_waitcnt lgkmcnt(2)
	ds_bpermute_b32 v97, v66, v57
	v_cmp_le_u32_e32 vcc, v67, v78
	s_and_saveexec_b64 s[48:49], vcc
	s_cbranch_execz .LBB1917_116
; %bb.115:                              ;   in Loop: Header=BB1917_105 Depth=1
	v_cmp_eq_u32_e32 vcc, 0, v79
	s_waitcnt lgkmcnt(1)
	v_cndmask_b32_e32 v80, 0, v80, vcc
	v_add_u32_e32 v81, v81, v79
	s_waitcnt lgkmcnt(0)
	v_cndmask_b32_e32 v79, 0, v97, vcc
	v_add_co_u32_e32 v56, vcc, v80, v56
	v_addc_co_u32_e32 v57, vcc, v79, v57, vcc
	v_mov_b32_e32 v79, v81
.LBB1917_116:                           ;   in Loop: Header=BB1917_105 Depth=1
	s_or_b64 exec, exec, s[48:49]
	s_waitcnt lgkmcnt(2)
	ds_bpermute_b32 v81, v68, v79
	s_waitcnt lgkmcnt(2)
	ds_bpermute_b32 v80, v68, v56
	s_waitcnt lgkmcnt(2)
	ds_bpermute_b32 v97, v68, v57
	v_cmp_le_u32_e32 vcc, v69, v78
	;; [unrolled: 21-line block ×5, first 2 shown]
	s_and_saveexec_b64 s[48:49], vcc
	s_cbranch_execz .LBB1917_104
; %bb.123:                              ;   in Loop: Header=BB1917_105 Depth=1
	v_cmp_eq_u32_e32 vcc, 0, v79
	s_waitcnt lgkmcnt(1)
	v_cndmask_b32_e32 v80, 0, v80, vcc
	v_add_u32_e32 v78, v81, v79
	s_waitcnt lgkmcnt(0)
	v_cndmask_b32_e32 v79, 0, v97, vcc
	v_add_co_u32_e32 v56, vcc, v80, v56
	v_addc_co_u32_e32 v57, vcc, v79, v57, vcc
	v_mov_b32_e32 v79, v78
	s_branch .LBB1917_104
.LBB1917_124:                           ;   in Loop: Header=BB1917_105 Depth=1
                                        ; implicit-def: $vgpr56_vgpr57
                                        ; implicit-def: $vgpr78
                                        ; implicit-def: $vgpr63
	s_cbranch_execz .LBB1917_105
; %bb.125:
	s_and_saveexec_b64 s[36:37], s[28:29]
	s_cbranch_execz .LBB1917_127
; %bb.126:
	s_mov_b32 s49, 0
	v_cmp_eq_u32_e32 vcc, 0, v62
	s_add_i32 s48, s60, 64
	v_cndmask_b32_e32 v50, 0, v54, vcc
	s_lshl_b64 s[58:59], s[48:49], 4
	v_cndmask_b32_e32 v51, 0, v55, vcc
	v_add_co_u32_e32 v50, vcc, v50, v48
	s_add_u32 s58, s38, s58
	v_add_u32_e32 v52, v75, v62
	v_addc_co_u32_e32 v51, vcc, v51, v49, vcc
	s_addc_u32 s59, s39, s59
	v_mov_b32_e32 v53, 0
	global_store_dword v53, v52, s[58:59]
	global_store_dwordx2 v53, v[50:51], s[58:59] offset:8
	v_mov_b32_e32 v50, s48
	v_mov_b32_e32 v51, 2
	s_waitcnt vmcnt(0) lgkmcnt(0)
	buffer_wbinvl1_vol
	global_store_byte v50, v51, s[40:41]
	ds_write_b32 v53, v62 offset:2048
	ds_write_b64 v53, v[48:49] offset:2056
	ds_write_b32 v53, v75 offset:2064
	ds_write_b64 v53, v[54:55] offset:2072
.LBB1917_127:
	s_or_b64 exec, exec, s[36:37]
	s_and_b64 exec, exec, s[0:1]
	s_cbranch_execz .LBB1917_129
; %bb.128:
	v_mov_b32_e32 v48, 0
	ds_write_b32 v48, v75 offset:2128
	ds_write_b64 v48, v[54:55] offset:2136
.LBB1917_129:
	s_or_b64 exec, exec, s[42:43]
	v_mov_b32_e32 v51, 0
	s_waitcnt lgkmcnt(0)
	s_barrier
	ds_read_b32 v50, v51 offset:2128
	ds_read_b64 v[48:49], v51 offset:2136
	v_cndmask_b32_e64 v52, v59, v58, s[28:29]
	v_cmp_eq_u32_e32 vcc, 0, v52
	v_cndmask_b32_e64 v46, v60, v46, s[28:29]
	v_cndmask_b32_e64 v47, v61, v47, s[28:29]
	s_waitcnt lgkmcnt(0)
	v_cndmask_b32_e32 v54, 0, v48, vcc
	v_cndmask_b32_e32 v53, 0, v49, vcc
	v_add_co_u32_e32 v46, vcc, v54, v46
	v_addc_co_u32_e32 v47, vcc, v53, v47, vcc
	v_cndmask_b32_e64 v76, v46, v48, s[0:1]
	v_cmp_eq_u32_e32 vcc, 0, v96
	v_cndmask_b32_e64 v52, v52, 0, s[0:1]
	v_cndmask_b32_e64 v77, v47, v49, s[0:1]
	v_cndmask_b32_e32 v47, 0, v76, vcc
	v_add_u32_e32 v97, v50, v52
	v_cndmask_b32_e32 v46, 0, v77, vcc
	v_add_co_u32_e32 v52, vcc, v47, v42
	v_addc_co_u32_e32 v53, vcc, v46, v43, vcc
	v_cndmask_b32_e64 v47, 0, v52, s[26:27]
	v_cndmask_b32_e64 v46, 0, v53, s[26:27]
	v_add_co_u32_e32 v54, vcc, v47, v40
	v_addc_co_u32_e32 v55, vcc, v46, v41, vcc
	v_cndmask_b32_e64 v47, 0, v54, s[24:25]
	v_cndmask_b32_e64 v46, 0, v55, s[24:25]
	;; [unrolled: 4-line block ×11, first 2 shown]
	v_add_co_u32_e32 v74, vcc, v47, v20
	v_addc_co_u32_e32 v75, vcc, v46, v21, vcc
	s_barrier
	ds_read_b32 v46, v51 offset:2048
	ds_read_b64 v[48:49], v51 offset:2056
	ds_read_b32 v50, v51 offset:2064
	ds_read_b64 v[100:101], v51 offset:2072
	v_cndmask_b32_e64 v78, 0, v74, s[4:5]
	v_cndmask_b32_e64 v47, 0, v75, s[4:5]
	v_add_co_u32_e32 v78, vcc, v78, v18
	v_addc_co_u32_e32 v79, vcc, v47, v19, vcc
	s_waitcnt lgkmcnt(3)
	v_cmp_eq_u32_e32 vcc, 0, v46
	s_waitcnt lgkmcnt(0)
	v_cndmask_b32_e32 v51, 0, v100, vcc
	v_cndmask_b32_e32 v47, 0, v101, vcc
	v_add_co_u32_e32 v48, vcc, v51, v48
	v_cndmask_b32_e64 v81, 0, v79, s[2:3]
	v_cndmask_b32_e64 v80, 0, v78, s[2:3]
	v_addc_co_u32_e32 v49, vcc, v47, v49, vcc
	s_branch .LBB1917_158
.LBB1917_130:
                                        ; implicit-def: $vgpr46
                                        ; implicit-def: $vgpr48_vgpr49
                                        ; implicit-def: $vgpr50
                                        ; implicit-def: $vgpr76_vgpr77
                                        ; implicit-def: $vgpr52_vgpr53
                                        ; implicit-def: $vgpr54_vgpr55
                                        ; implicit-def: $vgpr56_vgpr57
                                        ; implicit-def: $vgpr58_vgpr59
                                        ; implicit-def: $vgpr60_vgpr61
                                        ; implicit-def: $vgpr62_vgpr63
                                        ; implicit-def: $vgpr64_vgpr65
                                        ; implicit-def: $vgpr66_vgpr67
                                        ; implicit-def: $vgpr68_vgpr69
                                        ; implicit-def: $vgpr70_vgpr71
                                        ; implicit-def: $vgpr72_vgpr73
                                        ; implicit-def: $vgpr74_vgpr75
                                        ; implicit-def: $vgpr78_vgpr79
                                        ; implicit-def: $vgpr80_vgpr81
                                        ; implicit-def: $vgpr97
	s_cbranch_execz .LBB1917_158
; %bb.131:
	s_and_b64 s[2:3], s[34:35], exec
	s_cselect_b32 s3, 0, s31
	s_cselect_b32 s2, 0, s30
	s_cmp_eq_u64 s[2:3], 0
	v_pk_mov_b32 v[50:51], v[42:43], v[42:43] op_sel:[0,1]
	s_cbranch_scc1 .LBB1917_133
; %bb.132:
	v_mov_b32_e32 v46, 0
	global_load_dwordx2 v[50:51], v46, s[2:3]
.LBB1917_133:
	v_cmp_eq_u32_e64 s[24:25], 0, v95
	v_cndmask_b32_e64 v47, 0, v42, s[24:25]
	v_cndmask_b32_e64 v46, 0, v43, s[24:25]
	v_add_co_u32_e32 v47, vcc, v47, v40
	v_cmp_eq_u32_e64 s[22:23], 0, v94
	v_addc_co_u32_e32 v46, vcc, v46, v41, vcc
	v_cndmask_b32_e64 v47, 0, v47, s[22:23]
	v_cndmask_b32_e64 v46, 0, v46, s[22:23]
	v_add_co_u32_e32 v47, vcc, v47, v38
	v_cmp_eq_u32_e64 s[20:21], 0, v93
	v_addc_co_u32_e32 v46, vcc, v46, v39, vcc
	;; [unrolled: 5-line block ×11, first 2 shown]
	v_cndmask_b32_e64 v47, 0, v47, s[4:5]
	v_cndmask_b32_e64 v46, 0, v46, s[4:5]
	v_add_co_u32_e32 v47, vcc, v47, v18
	v_addc_co_u32_e32 v46, vcc, v46, v19, vcc
	v_cmp_eq_u32_e32 vcc, 0, v83
	v_cndmask_b32_e32 v47, 0, v47, vcc
	v_add3_u32 v48, v99, v91, v90
	v_cndmask_b32_e32 v46, 0, v46, vcc
	v_add_co_u32_e64 v47, s[26:27], v47, v2
	v_add3_u32 v48, v48, v89, v88
	v_addc_co_u32_e64 v46, s[26:27], v46, v3, s[26:27]
	v_add3_u32 v48, v48, v87, v86
	v_cmp_eq_u32_e64 s[26:27], 0, v82
	v_add3_u32 v48, v48, v85, v84
	v_cndmask_b32_e64 v47, 0, v47, s[26:27]
	v_add3_u32 v49, v48, v83, v82
	v_cndmask_b32_e64 v46, 0, v46, s[26:27]
	v_add_co_u32_e64 v44, s[26:27], v47, v44
	v_mbcnt_hi_u32_b32 v48, -1, v98
	v_addc_co_u32_e64 v45, s[26:27], v46, v45, s[26:27]
	v_and_b32_e32 v46, 15, v48
	v_mov_b32_dpp v52, v49 row_shr:1 row_mask:0xf bank_mask:0xf
	v_mov_b32_dpp v47, v44 row_shr:1 row_mask:0xf bank_mask:0xf
	;; [unrolled: 1-line block ×3, first 2 shown]
	v_cmp_ne_u32_e64 s[26:27], 0, v46
	s_and_saveexec_b64 s[28:29], s[26:27]
; %bb.134:
	v_cmp_eq_u32_e64 s[26:27], 0, v49
	v_cndmask_b32_e64 v47, 0, v47, s[26:27]
	v_add_u32_e32 v52, v52, v49
	v_cndmask_b32_e64 v49, 0, v53, s[26:27]
	v_add_co_u32_e64 v44, s[26:27], v47, v44
	v_addc_co_u32_e64 v45, s[26:27], v49, v45, s[26:27]
	v_mov_b32_e32 v49, v52
; %bb.135:
	s_or_b64 exec, exec, s[28:29]
	s_nop 0
	v_mov_b32_dpp v52, v49 row_shr:2 row_mask:0xf bank_mask:0xf
	v_mov_b32_dpp v47, v44 row_shr:2 row_mask:0xf bank_mask:0xf
	v_mov_b32_dpp v53, v45 row_shr:2 row_mask:0xf bank_mask:0xf
	v_cmp_lt_u32_e64 s[26:27], 1, v46
	s_and_saveexec_b64 s[28:29], s[26:27]
; %bb.136:
	v_cmp_eq_u32_e64 s[26:27], 0, v49
	v_cndmask_b32_e64 v47, 0, v47, s[26:27]
	v_add_u32_e32 v52, v52, v49
	v_cndmask_b32_e64 v49, 0, v53, s[26:27]
	v_add_co_u32_e64 v44, s[26:27], v47, v44
	v_addc_co_u32_e64 v45, s[26:27], v49, v45, s[26:27]
	v_mov_b32_e32 v49, v52
; %bb.137:
	s_or_b64 exec, exec, s[28:29]
	s_nop 0
	v_mov_b32_dpp v52, v49 row_shr:4 row_mask:0xf bank_mask:0xf
	v_mov_b32_dpp v47, v44 row_shr:4 row_mask:0xf bank_mask:0xf
	v_mov_b32_dpp v53, v45 row_shr:4 row_mask:0xf bank_mask:0xf
	v_cmp_lt_u32_e64 s[26:27], 3, v46
	;; [unrolled: 16-line block ×3, first 2 shown]
	s_and_saveexec_b64 s[28:29], s[26:27]
; %bb.140:
	v_cmp_eq_u32_e64 s[26:27], 0, v49
	v_cndmask_b32_e64 v47, 0, v47, s[26:27]
	v_add_u32_e32 v46, v52, v49
	v_cndmask_b32_e64 v49, 0, v53, s[26:27]
	v_add_co_u32_e64 v44, s[26:27], v47, v44
	v_addc_co_u32_e64 v45, s[26:27], v49, v45, s[26:27]
	v_mov_b32_e32 v49, v46
; %bb.141:
	s_or_b64 exec, exec, s[28:29]
	v_and_b32_e32 v53, 16, v48
	v_mov_b32_dpp v47, v49 row_bcast:15 row_mask:0xf bank_mask:0xf
	v_mov_b32_dpp v46, v44 row_bcast:15 row_mask:0xf bank_mask:0xf
	;; [unrolled: 1-line block ×3, first 2 shown]
	v_cmp_ne_u32_e64 s[26:27], 0, v53
	s_and_saveexec_b64 s[28:29], s[26:27]
; %bb.142:
	v_cmp_eq_u32_e64 s[26:27], 0, v49
	v_cndmask_b32_e64 v46, 0, v46, s[26:27]
	v_add_u32_e32 v47, v47, v49
	v_cndmask_b32_e64 v49, 0, v52, s[26:27]
	v_add_co_u32_e64 v44, s[26:27], v46, v44
	v_addc_co_u32_e64 v45, s[26:27], v49, v45, s[26:27]
	v_mov_b32_e32 v49, v47
; %bb.143:
	s_or_b64 exec, exec, s[28:29]
	s_nop 0
	v_mov_b32_dpp v47, v49 row_bcast:31 row_mask:0xf bank_mask:0xf
	v_mov_b32_dpp v46, v44 row_bcast:31 row_mask:0xf bank_mask:0xf
	;; [unrolled: 1-line block ×3, first 2 shown]
	v_cmp_lt_u32_e64 s[26:27], 31, v48
	s_and_saveexec_b64 s[28:29], s[26:27]
; %bb.144:
	v_cmp_eq_u32_e64 s[26:27], 0, v49
	v_cndmask_b32_e64 v46, 0, v46, s[26:27]
	v_add_u32_e32 v47, v47, v49
	v_cndmask_b32_e64 v49, 0, v52, s[26:27]
	v_add_co_u32_e64 v44, s[26:27], v46, v44
	v_addc_co_u32_e64 v45, s[26:27], v49, v45, s[26:27]
	v_mov_b32_e32 v49, v47
; %bb.145:
	s_or_b64 exec, exec, s[28:29]
	v_or_b32_e32 v46, 63, v0
	v_lshrrev_b32_e32 v52, 6, v0
	v_cmp_eq_u32_e64 s[26:27], v46, v0
	s_and_saveexec_b64 s[28:29], s[26:27]
	s_cbranch_execz .LBB1917_147
; %bb.146:
	v_lshlrev_b32_e32 v46, 4, v52
	ds_write_b32 v46, v49 offset:2080
	ds_write_b64 v46, v[44:45] offset:2088
.LBB1917_147:
	s_or_b64 exec, exec, s[28:29]
	v_cmp_gt_u32_e64 s[26:27], 4, v0
	s_waitcnt lgkmcnt(0)
	s_barrier
	s_and_saveexec_b64 s[28:29], s[26:27]
	s_cbranch_execz .LBB1917_153
; %bb.148:
	v_lshlrev_b32_e32 v53, 4, v0
	ds_read_b32 v54, v53 offset:2080
	ds_read_b64 v[46:47], v53 offset:2088
	v_and_b32_e32 v55, 3, v48
	v_cmp_ne_u32_e64 s[26:27], 0, v55
	s_waitcnt lgkmcnt(1)
	v_mov_b32_dpp v57, v54 row_shr:1 row_mask:0xf bank_mask:0xf
	s_waitcnt lgkmcnt(0)
	v_mov_b32_dpp v56, v46 row_shr:1 row_mask:0xf bank_mask:0xf
	v_mov_b32_dpp v58, v47 row_shr:1 row_mask:0xf bank_mask:0xf
	s_and_saveexec_b64 s[30:31], s[26:27]
; %bb.149:
	v_cmp_eq_u32_e64 s[26:27], 0, v54
	v_cndmask_b32_e64 v56, 0, v56, s[26:27]
	v_add_u32_e32 v57, v57, v54
	v_cndmask_b32_e64 v54, 0, v58, s[26:27]
	v_add_co_u32_e64 v46, s[26:27], v56, v46
	v_addc_co_u32_e64 v47, s[26:27], v54, v47, s[26:27]
	v_mov_b32_e32 v54, v57
; %bb.150:
	s_or_b64 exec, exec, s[30:31]
	s_nop 0
	v_mov_b32_dpp v57, v54 row_shr:2 row_mask:0xf bank_mask:0xf
	v_mov_b32_dpp v56, v46 row_shr:2 row_mask:0xf bank_mask:0xf
	;; [unrolled: 1-line block ×3, first 2 shown]
	v_cmp_lt_u32_e64 s[26:27], 1, v55
	s_and_saveexec_b64 s[30:31], s[26:27]
; %bb.151:
	v_cmp_eq_u32_e64 s[26:27], 0, v54
	v_cndmask_b32_e64 v56, 0, v56, s[26:27]
	v_add_u32_e32 v55, v57, v54
	v_cndmask_b32_e64 v54, 0, v58, s[26:27]
	v_add_co_u32_e64 v46, s[26:27], v56, v46
	v_addc_co_u32_e64 v47, s[26:27], v54, v47, s[26:27]
	v_mov_b32_e32 v54, v55
; %bb.152:
	s_or_b64 exec, exec, s[30:31]
	ds_write_b32 v53, v54 offset:2080
	ds_write_b64 v53, v[46:47] offset:2088
.LBB1917_153:
	s_or_b64 exec, exec, s[28:29]
	v_cmp_lt_u32_e64 s[26:27], 63, v0
	v_mov_b32_e32 v98, 0
	v_mov_b32_e32 v53, 0
	s_waitcnt vmcnt(0)
	v_pk_mov_b32 v[46:47], v[50:51], v[50:51] op_sel:[0,1]
	s_waitcnt lgkmcnt(0)
	s_barrier
	s_and_saveexec_b64 s[28:29], s[26:27]
	s_cbranch_execz .LBB1917_155
; %bb.154:
	v_lshlrev_b32_e32 v46, 4, v52
	ds_read_b32 v53, v46 offset:2064
	ds_read_b64 v[46:47], v46 offset:2072
	s_waitcnt lgkmcnt(1)
	v_cmp_eq_u32_e64 s[26:27], 0, v53
	v_cndmask_b32_e64 v54, 0, v50, s[26:27]
	v_cndmask_b32_e64 v52, 0, v51, s[26:27]
	s_waitcnt lgkmcnt(0)
	v_add_co_u32_e64 v46, s[26:27], v54, v46
	v_addc_co_u32_e64 v47, s[26:27], v52, v47, s[26:27]
.LBB1917_155:
	s_or_b64 exec, exec, s[28:29]
	v_cmp_eq_u32_e64 s[26:27], 0, v49
	v_cndmask_b32_e64 v54, 0, v46, s[26:27]
	v_add_u32_e32 v52, v53, v49
	v_cndmask_b32_e64 v49, 0, v47, s[26:27]
	v_add_co_u32_e64 v44, s[26:27], v54, v44
	v_addc_co_u32_e64 v45, s[26:27], v49, v45, s[26:27]
	v_add_u32_e32 v49, -1, v48
	v_and_b32_e32 v54, 64, v48
	v_cmp_lt_i32_e64 s[26:27], v49, v54
	v_cndmask_b32_e64 v49, v49, v48, s[26:27]
	v_lshlrev_b32_e32 v49, 2, v49
	ds_bpermute_b32 v44, v49, v44
	ds_bpermute_b32 v52, v49, v52
	;; [unrolled: 1-line block ×3, first 2 shown]
	v_cmp_eq_u32_e64 s[26:27], 0, v48
	s_waitcnt lgkmcnt(2)
	v_cndmask_b32_e64 v76, v44, v46, s[26:27]
	s_waitcnt lgkmcnt(1)
	v_cndmask_b32_e64 v97, v52, v53, s[26:27]
	;; [unrolled: 2-line block ×3, first 2 shown]
	v_cndmask_b32_e64 v44, v76, v50, s[0:1]
	v_cmp_eq_u32_e64 s[26:27], 0, v96
	v_cndmask_b32_e64 v45, v77, v51, s[0:1]
	v_cndmask_b32_e64 v44, 0, v44, s[26:27]
	v_cndmask_b32_e64 v45, 0, v45, s[26:27]
	v_add_co_u32_e64 v52, s[26:27], v44, v42
	v_addc_co_u32_e64 v53, s[26:27], v45, v43, s[26:27]
	v_cndmask_b32_e64 v43, 0, v52, s[24:25]
	v_cndmask_b32_e64 v42, 0, v53, s[24:25]
	v_add_co_u32_e64 v54, s[24:25], v43, v40
	v_addc_co_u32_e64 v55, s[24:25], v42, v41, s[24:25]
	v_cndmask_b32_e64 v41, 0, v54, s[22:23]
	v_cndmask_b32_e64 v40, 0, v55, s[22:23]
	;; [unrolled: 4-line block ×11, first 2 shown]
	v_add_co_u32_e64 v74, s[2:3], v23, v20
	v_addc_co_u32_e64 v75, s[2:3], v22, v21, s[2:3]
	v_cndmask_b32_e64 v21, 0, v74, s[4:5]
	ds_read_b32 v46, v98 offset:2128
	v_cndmask_b32_e64 v20, 0, v75, s[4:5]
	v_add_co_u32_e64 v78, s[2:3], v21, v18
	v_addc_co_u32_e64 v79, s[2:3], v20, v19, s[2:3]
	ds_read_b64 v[18:19], v98 offset:2136
	v_cndmask_b32_e32 v81, 0, v79, vcc
	v_cndmask_b32_e32 v80, 0, v78, vcc
	s_waitcnt lgkmcnt(1)
	v_cmp_eq_u32_e32 vcc, 0, v46
	v_cndmask_b32_e32 v21, 0, v50, vcc
	v_cndmask_b32_e32 v20, 0, v51, vcc
	s_waitcnt lgkmcnt(0)
	v_add_co_u32_e32 v48, vcc, v21, v18
	v_addc_co_u32_e32 v49, vcc, v20, v19, vcc
	s_and_saveexec_b64 s[2:3], s[0:1]
	s_cbranch_execz .LBB1917_157
; %bb.156:
	v_mov_b32_e32 v97, 0
	v_mov_b32_e32 v18, 2
	v_pk_mov_b32 v[76:77], v[50:51], v[50:51] op_sel:[0,1]
	global_store_dword v97, v46, s[38:39] offset:1024
	global_store_dwordx2 v97, v[48:49], s[38:39] offset:1032
	s_waitcnt vmcnt(0)
	buffer_wbinvl1_vol
	global_store_byte v97, v18, s[40:41] offset:64
.LBB1917_157:
	s_or_b64 exec, exec, s[2:3]
	v_mov_b32_e32 v50, 0
.LBB1917_158:
	s_and_b64 s[2:3], s[34:35], exec
	s_cselect_b32 s3, 0, s51
	s_cselect_b32 s2, 0, s50
	s_cmp_eq_u64 s[2:3], 0
	v_pk_mov_b32 v[18:19], 0, 0
	s_barrier
	s_cbranch_scc1 .LBB1917_160
; %bb.159:
	v_mov_b32_e32 v18, 0
	global_load_dwordx2 v[18:19], v18, s[2:3]
.LBB1917_160:
	s_waitcnt vmcnt(0)
	v_lshlrev_b64 v[34:35], 2, v[18:19]
	v_mov_b32_e32 v36, s53
	v_add_co_u32_e32 v37, vcc, s52, v34
	v_mov_b32_e32 v51, 0
	v_addc_co_u32_e32 v36, vcc, v36, v35, vcc
	v_lshlrev_b64 v[34:35], 2, v[50:51]
	v_add_co_u32_e32 v34, vcc, v37, v34
	v_addc_co_u32_e32 v35, vcc, v36, v35, vcc
	v_cmp_eq_u32_e32 vcc, 0, v96
	v_cndmask_b32_e64 v36, 1, 2, vcc
	v_cmp_eq_u32_e32 vcc, 0, v95
	v_cndmask_b32_e64 v37, 1, 2, vcc
	v_cmp_eq_u32_e32 vcc, 0, v94
	v_and_b32_e32 v36, v37, v36
	v_cndmask_b32_e64 v37, 1, 2, vcc
	v_cmp_eq_u32_e32 vcc, 0, v93
	v_add_u32_e32 v33, v97, v96
	v_and_b32_e32 v36, v36, v37
	v_cndmask_b32_e64 v37, 1, 2, vcc
	v_cmp_eq_u32_e32 vcc, 0, v92
	v_add_u32_e32 v32, v33, v95
	;; [unrolled: 4-line block ×12, first 2 shown]
	v_and_b32_e32 v36, v36, v37
	v_cndmask_b32_e64 v37, 1, 2, vcc
	s_movk_i32 s34, 0x100
	v_add_u32_e32 v21, v22, v84
	v_and_b32_e32 v36, v36, v37
	v_cmp_gt_u32_e32 vcc, s34, v46
	v_add_u32_e32 v20, v21, v83
	v_cmp_ne_u32_e64 s[30:31], 0, v96
	v_cmp_ne_u32_e64 s[28:29], 0, v95
	;; [unrolled: 1-line block ×15, first 2 shown]
	s_mov_b64 s[36:37], -1
	v_cmp_gt_i16_e64 s[34:35], 2, v36
	s_cbranch_vccz .LBB1917_167
; %bb.161:
	s_and_saveexec_b64 s[36:37], s[34:35]
	s_cbranch_execz .LBB1917_166
; %bb.162:
	v_cmp_ne_u16_e32 vcc, 1, v36
	s_mov_b64 s[38:39], 0
	s_and_saveexec_b64 s[34:35], vcc
	s_xor_b64 s[34:35], exec, s[34:35]
	s_cbranch_execnz .LBB1917_211
; %bb.163:
	s_andn2_saveexec_b64 s[34:35], s[34:35]
	s_cbranch_execnz .LBB1917_227
.LBB1917_164:
	s_or_b64 exec, exec, s[34:35]
	s_and_b64 exec, exec, s[38:39]
	s_cbranch_execz .LBB1917_166
.LBB1917_165:
	v_sub_u32_e32 v38, v20, v50
	v_mov_b32_e32 v39, 0
	v_lshlrev_b64 v[38:39], 2, v[38:39]
	v_add_co_u32_e32 v38, vcc, v34, v38
	v_addc_co_u32_e32 v39, vcc, v35, v39, vcc
	global_store_dword v[38:39], v1, off
.LBB1917_166:
	s_or_b64 exec, exec, s[36:37]
	s_mov_b64 s[36:37], 0
.LBB1917_167:
	s_and_b64 vcc, exec, s[36:37]
	s_cbranch_vccz .LBB1917_189
; %bb.168:
	v_cmp_gt_i16_e32 vcc, 2, v36
	s_and_saveexec_b64 s[34:35], vcc
	s_cbranch_execz .LBB1917_173
; %bb.169:
	v_cmp_ne_u16_e32 vcc, 1, v36
	s_mov_b64 s[38:39], 0
	s_and_saveexec_b64 s[36:37], vcc
	s_xor_b64 s[36:37], exec, s[36:37]
	s_cbranch_execnz .LBB1917_228
; %bb.170:
	s_andn2_saveexec_b64 s[2:3], s[36:37]
	s_cbranch_execnz .LBB1917_244
.LBB1917_171:
	s_or_b64 exec, exec, s[2:3]
	s_and_b64 exec, exec, s[38:39]
	s_cbranch_execz .LBB1917_173
.LBB1917_172:
	v_sub_u32_e32 v4, v20, v50
	v_lshlrev_b32_e32 v4, 2, v4
	ds_write_b32 v4, v1
.LBB1917_173:
	s_or_b64 exec, exec, s[34:35]
	v_cmp_lt_u32_e32 vcc, v0, v46
	s_waitcnt lgkmcnt(0)
	s_barrier
	s_and_saveexec_b64 s[4:5], vcc
	s_cbranch_execz .LBB1917_188
; %bb.174:
	v_xad_u32 v1, v0, -1, v46
	s_movk_i32 s2, 0x1700
	v_cmp_gt_u32_e64 s[6:7], s2, v1
	s_movk_i32 s2, 0x16ff
	v_cmp_lt_u32_e32 vcc, s2, v1
	v_mov_b32_e32 v4, v0
	s_and_saveexec_b64 s[8:9], vcc
	s_cbranch_execz .LBB1917_185
; %bb.175:
	v_sub_u32_e32 v4, v0, v46
	v_or_b32_e32 v4, 0xff, v4
	v_cmp_ge_u32_e32 vcc, v4, v0
	s_mov_b64 s[2:3], -1
	v_mov_b32_e32 v4, v0
	s_and_saveexec_b64 s[10:11], vcc
	s_cbranch_execz .LBB1917_184
; %bb.176:
	v_lshrrev_b32_e32 v8, 8, v1
	v_add_u32_e32 v4, -1, v8
	v_or_b32_e32 v1, 0x100, v0
	v_lshrrev_b32_e32 v5, 1, v4
	v_add_u32_e32 v10, 1, v5
	v_cmp_lt_u32_e32 vcc, 13, v4
	v_mov_b32_e32 v13, 0
	v_lshlrev_b32_e32 v9, 2, v0
	v_pk_mov_b32 v[4:5], v[0:1], v[0:1] op_sel:[0,1]
	s_and_saveexec_b64 s[12:13], vcc
	s_cbranch_execz .LBB1917_180
; %bb.177:
	v_and_b32_e32 v11, -8, v10
	s_mov_b32 s16, 0
	s_mov_b64 s[14:15], 0
	v_mov_b32_e32 v7, 0
	v_mov_b32_e32 v12, v9
	v_pk_mov_b32 v[4:5], v[0:1], v[0:1] op_sel:[0,1]
.LBB1917_178:                           ; =>This Inner Loop Header: Depth=1
	v_mov_b32_e32 v6, v4
	v_add_u32_e32 v11, -8, v11
	v_lshlrev_b64 v[114:115], 2, v[6:7]
	v_mov_b32_e32 v6, v5
	ds_read2st64_b32 v[14:15], v12 offset1:4
	s_add_i32 s16, s16, 16
	v_cmp_eq_u32_e32 vcc, 0, v11
	v_lshlrev_b64 v[116:117], 2, v[6:7]
	v_add_u32_e32 v6, 0x200, v4
	s_or_b64 s[14:15], vcc, s[14:15]
	v_add_co_u32_e32 v116, vcc, v34, v116
	v_add_u32_e32 v16, 0x200, v5
	v_mov_b32_e32 v17, v7
	ds_read2st64_b32 v[36:37], v12 offset0:8 offset1:12
	ds_read2st64_b32 v[40:41], v12 offset0:16 offset1:20
	v_add_co_u32_e64 v114, s[2:3], v34, v114
	v_addc_co_u32_e32 v117, vcc, v35, v117, vcc
	v_lshlrev_b64 v[118:119], 2, v[6:7]
	v_lshlrev_b64 v[16:17], 2, v[16:17]
	v_addc_co_u32_e64 v115, s[2:3], v35, v115, s[2:3]
	v_add_u32_e32 v6, 0x400, v4
	v_add_co_u32_e32 v118, vcc, v34, v118
	v_add_u32_e32 v38, 0x400, v5
	v_mov_b32_e32 v39, v7
	ds_read2st64_b32 v[44:45], v12 offset0:24 offset1:28
	v_add_co_u32_e64 v16, s[2:3], v34, v16
	v_addc_co_u32_e32 v119, vcc, v35, v119, vcc
	v_lshlrev_b64 v[120:121], 2, v[6:7]
	ds_read2st64_b32 v[100:101], v12 offset0:32 offset1:36
	ds_read2st64_b32 v[104:105], v12 offset0:40 offset1:44
	;; [unrolled: 1-line block ×4, first 2 shown]
	v_lshlrev_b64 v[38:39], 2, v[38:39]
	v_addc_co_u32_e64 v17, s[2:3], v35, v17, s[2:3]
	v_add_u32_e32 v6, 0x600, v4
	s_waitcnt lgkmcnt(7)
	global_store_dword v[114:115], v14, off
	global_store_dword v[116:117], v15, off
	s_waitcnt lgkmcnt(6)
	global_store_dword v[118:119], v36, off
	global_store_dword v[16:17], v37, off
	v_add_co_u32_e32 v14, vcc, v34, v120
	v_add_u32_e32 v42, 0x600, v5
	v_mov_b32_e32 v43, v7
	v_add_co_u32_e64 v38, s[2:3], v34, v38
	v_addc_co_u32_e32 v15, vcc, v35, v121, vcc
	v_lshlrev_b64 v[16:17], 2, v[6:7]
	v_lshlrev_b64 v[42:43], 2, v[42:43]
	v_addc_co_u32_e64 v39, s[2:3], v35, v39, s[2:3]
	v_add_u32_e32 v6, 0x800, v4
	s_waitcnt lgkmcnt(5)
	global_store_dword v[14:15], v40, off
	global_store_dword v[38:39], v41, off
	v_add_co_u32_e32 v14, vcc, v34, v16
	v_add_u32_e32 v98, 0x800, v5
	v_mov_b32_e32 v99, v7
	v_add_co_u32_e64 v42, s[2:3], v34, v42
	v_addc_co_u32_e32 v15, vcc, v35, v17, vcc
	v_lshlrev_b64 v[16:17], 2, v[6:7]
	v_lshlrev_b64 v[98:99], 2, v[98:99]
	v_addc_co_u32_e64 v43, s[2:3], v35, v43, s[2:3]
	v_add_u32_e32 v6, 0xa00, v4
	;; [unrolled: 12-line block ×4, first 2 shown]
	s_waitcnt lgkmcnt(2)
	global_store_dword v[14:15], v104, off
	global_store_dword v[102:103], v105, off
	v_add_co_u32_e32 v14, vcc, v34, v16
	v_add_u32_e32 v110, 0xe00, v5
	v_mov_b32_e32 v111, v7
	v_add_co_u32_e64 v106, s[2:3], v34, v106
	v_addc_co_u32_e32 v15, vcc, v35, v17, vcc
	v_lshlrev_b64 v[16:17], 2, v[6:7]
	v_lshlrev_b64 v[110:111], 2, v[110:111]
	v_addc_co_u32_e64 v107, s[2:3], v35, v107, s[2:3]
	s_waitcnt lgkmcnt(1)
	global_store_dword v[14:15], v108, off
	global_store_dword v[106:107], v109, off
	v_add_co_u32_e32 v14, vcc, v34, v16
	v_add_u32_e32 v12, 0x4000, v12
	v_add_u32_e32 v5, 0x1000, v5
	v_mov_b32_e32 v13, s16
	v_add_co_u32_e64 v110, s[2:3], v34, v110
	v_add_u32_e32 v4, 0x1000, v4
	v_addc_co_u32_e32 v15, vcc, v35, v17, vcc
	v_addc_co_u32_e64 v111, s[2:3], v35, v111, s[2:3]
	s_waitcnt lgkmcnt(0)
	global_store_dword v[14:15], v112, off
	global_store_dword v[110:111], v113, off
	s_andn2_b64 exec, exec, s[14:15]
	s_cbranch_execnz .LBB1917_178
; %bb.179:
	s_or_b64 exec, exec, s[14:15]
.LBB1917_180:
	s_or_b64 exec, exec, s[12:13]
	v_and_b32_e32 v1, 7, v10
	v_cmp_ne_u32_e32 vcc, 0, v1
	s_and_saveexec_b64 s[12:13], vcc
	s_cbranch_execz .LBB1917_183
; %bb.181:
	v_lshl_or_b32 v9, v13, 10, v9
	s_mov_b64 s[14:15], 0
	v_mov_b32_e32 v7, 0
.LBB1917_182:                           ; =>This Inner Loop Header: Depth=1
	ds_read2st64_b32 v[10:11], v9 offset1:4
	v_mov_b32_e32 v6, v4
	v_add_u32_e32 v1, -1, v1
	v_lshlrev_b64 v[12:13], 2, v[6:7]
	v_mov_b32_e32 v6, v5
	v_cmp_eq_u32_e32 vcc, 0, v1
	v_add_co_u32_e64 v12, s[2:3], v34, v12
	v_lshlrev_b64 v[14:15], 2, v[6:7]
	v_add_u32_e32 v4, 0x200, v4
	v_add_u32_e32 v9, 0x800, v9
	;; [unrolled: 1-line block ×3, first 2 shown]
	v_addc_co_u32_e64 v13, s[2:3], v35, v13, s[2:3]
	s_or_b64 s[14:15], vcc, s[14:15]
	v_add_co_u32_e32 v14, vcc, v34, v14
	v_addc_co_u32_e32 v15, vcc, v35, v15, vcc
	s_waitcnt lgkmcnt(0)
	global_store_dword v[12:13], v10, off
	global_store_dword v[14:15], v11, off
	s_andn2_b64 exec, exec, s[14:15]
	s_cbranch_execnz .LBB1917_182
.LBB1917_183:
	s_or_b64 exec, exec, s[12:13]
	v_add_u32_e32 v1, 1, v8
	v_and_b32_e32 v5, 0x1fffffe, v1
	v_cmp_ne_u32_e32 vcc, v1, v5
	v_lshl_or_b32 v4, v5, 8, v0
	s_orn2_b64 s[2:3], vcc, exec
.LBB1917_184:
	s_or_b64 exec, exec, s[10:11]
	s_andn2_b64 s[6:7], s[6:7], exec
	s_and_b64 s[2:3], s[2:3], exec
	s_or_b64 s[6:7], s[6:7], s[2:3]
.LBB1917_185:
	s_or_b64 exec, exec, s[8:9]
	s_and_b64 exec, exec, s[6:7]
	s_cbranch_execz .LBB1917_188
; %bb.186:
	v_lshlrev_b32_e32 v1, 2, v4
	s_mov_b64 s[2:3], 0
	v_mov_b32_e32 v5, 0
.LBB1917_187:                           ; =>This Inner Loop Header: Depth=1
	v_lshlrev_b64 v[6:7], 2, v[4:5]
	ds_read_b32 v8, v1
	v_add_co_u32_e32 v6, vcc, v34, v6
	v_add_u32_e32 v4, 0x100, v4
	v_addc_co_u32_e32 v7, vcc, v35, v7, vcc
	v_cmp_ge_u32_e32 vcc, v4, v46
	v_add_u32_e32 v1, 0x400, v1
	s_or_b64 s[2:3], vcc, s[2:3]
	s_waitcnt lgkmcnt(0)
	global_store_dword v[6:7], v8, off
	s_andn2_b64 exec, exec, s[2:3]
	s_cbranch_execnz .LBB1917_187
.LBB1917_188:
	s_or_b64 exec, exec, s[4:5]
.LBB1917_189:
	s_cmpk_lg_i32 s33, 0xf00
	s_cselect_b64 s[2:3], -1, 0
	v_cndmask_b32_e64 v8, 0, 1, s[46:47]
	s_and_b64 s[2:3], s[2:3], s[44:45]
	v_sub_u32_e32 v1, v46, v8
	v_cndmask_b32_e64 v4, 0, 1, s[2:3]
	s_and_b64 s[0:1], s[0:1], s[46:47]
	v_add_co_u32_e32 v2, vcc, v80, v2
	v_add_u32_e32 v1, v1, v4
	v_cndmask_b32_e64 v4, v96, 0, s[0:1]
	s_mul_hi_u32 s0, s33, 0x88888889
	v_addc_co_u32_e32 v3, vcc, v81, v3, vcc
	s_lshr_b32 s0, s0, 3
	v_mad_i32_i24 v5, v0, -15, s33
	v_cmp_eq_u32_e32 vcc, s0, v0
	v_cmp_ne_u32_e64 s[0:1], 0, v5
	v_cndmask_b32_e64 v6, 1, v4, s[0:1]
	v_cmp_ne_u32_e64 s[0:1], 1, v5
	v_cndmask_b32_e64 v7, 1, v95, s[0:1]
	;; [unrolled: 2-line block ×15, first 2 shown]
	s_and_b64 vcc, vcc, s[44:45]
	v_cndmask_b32_e32 v37, v82, v5, vcc
	v_cndmask_b32_e32 v39, v4, v6, vcc
	v_lshlrev_b64 v[4:5], 3, v[18:19]
	v_cndmask_b32_e32 v36, v83, v36, vcc
	v_cndmask_b32_e32 v35, v84, v35, vcc
	;; [unrolled: 1-line block ×13, first 2 shown]
	v_mov_b32_e32 v6, s55
	v_add_co_u32_e32 v7, vcc, s54, v4
	v_addc_co_u32_e32 v6, vcc, v6, v5, vcc
	v_lshlrev_b64 v[4:5], 3, v[50:51]
	v_add_co_u32_e32 v4, vcc, v7, v4
	v_addc_co_u32_e32 v5, vcc, v6, v5, vcc
	v_lshlrev_b32_e32 v6, 3, v8
	v_add_co_u32_e32 v6, vcc, v6, v4
	v_addc_co_u32_e32 v7, vcc, 0, v5, vcc
	v_add_co_u32_e32 v6, vcc, -8, v6
	v_addc_co_u32_e32 v7, vcc, -1, v7, vcc
	v_cmp_eq_u32_e32 vcc, 0, v39
	v_cmp_ne_u32_e64 s[28:29], 0, v39
	v_cndmask_b32_e64 v39, 1, 2, vcc
	v_cmp_eq_u32_e32 vcc, 0, v38
	v_cmp_ne_u32_e64 s[26:27], 0, v38
	v_cndmask_b32_e64 v38, 1, 2, vcc
	v_cmp_eq_u32_e32 vcc, 0, v9
	v_and_b32_e32 v38, v38, v39
	v_cmp_ne_u32_e64 s[24:25], 0, v9
	v_cndmask_b32_e64 v9, 1, 2, vcc
	v_cmp_eq_u32_e32 vcc, 0, v10
	v_and_b32_e32 v9, v38, v9
	;; [unrolled: 4-line block ×3, first 2 shown]
	v_cndmask_b32_e64 v10, 1, 2, vcc
	v_cmp_eq_u32_e32 vcc, 0, v12
	v_and_b32_e32 v9, v9, v10
	v_cndmask_b32_e64 v10, 1, 2, vcc
	v_cmp_eq_u32_e32 vcc, 0, v13
	v_and_b32_e32 v9, v9, v10
	;; [unrolled: 3-line block ×10, first 2 shown]
	v_cndmask_b32_e64 v10, 1, 2, vcc
	s_movk_i32 s30, 0x100
	v_and_b32_e32 v9, v9, v10
	v_cmp_gt_u32_e32 vcc, s30, v1
	v_add_u32_e32 v8, v50, v8
	v_cmp_ne_u32_e64 s[20:21], 0, v11
	v_cmp_ne_u32_e64 s[18:19], 0, v12
	;; [unrolled: 1-line block ×11, first 2 shown]
	s_mov_b64 s[34:35], -1
	v_cmp_gt_i16_e64 s[30:31], 2, v9
	s_barrier
	s_cbranch_vccz .LBB1917_196
; %bb.190:
	s_and_saveexec_b64 s[34:35], s[30:31]
	s_cbranch_execz .LBB1917_195
; %bb.191:
	v_cmp_ne_u16_e32 vcc, 1, v9
	s_mov_b64 s[36:37], 0
	s_and_saveexec_b64 s[30:31], vcc
	s_xor_b64 s[30:31], exec, s[30:31]
	s_cbranch_execnz .LBB1917_245
; %bb.192:
	s_andn2_saveexec_b64 s[30:31], s[30:31]
	s_cbranch_execnz .LBB1917_261
.LBB1917_193:
	s_or_b64 exec, exec, s[30:31]
	s_and_b64 exec, exec, s[36:37]
	s_cbranch_execz .LBB1917_195
.LBB1917_194:
	v_sub_u32_e32 v10, v20, v8
	v_mov_b32_e32 v11, 0
	v_lshlrev_b64 v[10:11], 3, v[10:11]
	v_add_co_u32_e32 v10, vcc, v6, v10
	v_addc_co_u32_e32 v11, vcc, v7, v11, vcc
	global_store_dwordx2 v[10:11], v[2:3], off
.LBB1917_195:
	s_or_b64 exec, exec, s[34:35]
	s_mov_b64 s[34:35], 0
.LBB1917_196:
	s_and_b64 vcc, exec, s[34:35]
	s_cbranch_vccz .LBB1917_206
; %bb.197:
	v_cmp_gt_i16_e32 vcc, 2, v9
	s_and_saveexec_b64 s[30:31], vcc
	s_cbranch_execz .LBB1917_202
; %bb.198:
	v_cmp_ne_u16_e32 vcc, 1, v9
	s_mov_b64 s[36:37], 0
	s_and_saveexec_b64 s[34:35], vcc
	s_xor_b64 s[34:35], exec, s[34:35]
	s_cbranch_execnz .LBB1917_262
; %bb.199:
	s_andn2_saveexec_b64 s[0:1], s[34:35]
	s_cbranch_execnz .LBB1917_278
.LBB1917_200:
	s_or_b64 exec, exec, s[0:1]
	s_and_b64 exec, exec, s[36:37]
	s_cbranch_execz .LBB1917_202
.LBB1917_201:
	v_sub_u32_e32 v8, v20, v8
	v_lshlrev_b32_e32 v8, 3, v8
	ds_write_b64 v8, v[2:3]
.LBB1917_202:
	s_or_b64 exec, exec, s[30:31]
	v_cmp_lt_u32_e32 vcc, v0, v1
	s_waitcnt lgkmcnt(0)
	s_barrier
	s_and_saveexec_b64 s[0:1], vcc
	s_cbranch_execz .LBB1917_205
; %bb.203:
	v_lshlrev_b32_e32 v8, 3, v0
	s_mov_b64 s[2:3], 0
	v_mov_b32_e32 v3, 0
	v_mov_b32_e32 v2, v0
.LBB1917_204:                           ; =>This Inner Loop Header: Depth=1
	v_lshlrev_b64 v[10:11], 3, v[2:3]
	ds_read_b64 v[12:13], v8
	v_add_co_u32_e32 v10, vcc, v6, v10
	v_add_u32_e32 v2, 0x100, v2
	v_addc_co_u32_e32 v11, vcc, v7, v11, vcc
	v_cmp_ge_u32_e32 vcc, v2, v1
	v_add_u32_e32 v8, 0x800, v8
	s_or_b64 s[2:3], vcc, s[2:3]
	s_waitcnt lgkmcnt(0)
	global_store_dwordx2 v[10:11], v[12:13], off
	s_andn2_b64 exec, exec, s[2:3]
	s_cbranch_execnz .LBB1917_204
.LBB1917_205:
	s_or_b64 exec, exec, s[0:1]
.LBB1917_206:
	s_movk_i32 s0, 0xff
	v_cmp_eq_u32_e32 vcc, s0, v0
	s_and_b64 s[0:1], vcc, s[44:45]
	s_and_saveexec_b64 s[2:3], s[0:1]
	s_cbranch_execz .LBB1917_209
; %bb.207:
	v_add_co_u32_e32 v0, vcc, v46, v50
	v_addc_co_u32_e64 v1, s[0:1], 0, 0, vcc
	v_add_co_u32_e32 v0, vcc, v0, v18
	v_mov_b32_e32 v47, 0
	v_addc_co_u32_e32 v1, vcc, v1, v19, vcc
	s_cmpk_lg_i32 s33, 0xf00
	global_store_dwordx2 v47, v[0:1], s[56:57]
	s_cbranch_scc1 .LBB1917_209
; %bb.208:
	v_lshlrev_b64 v[0:1], 3, v[46:47]
	v_add_co_u32_e32 v0, vcc, v4, v0
	v_addc_co_u32_e32 v1, vcc, v5, v1, vcc
	global_store_dwordx2 v[0:1], v[48:49], off offset:-8
.LBB1917_209:
	s_endpgm
.LBB1917_210:
	s_or_b64 exec, exec, s[4:5]
	v_mov_b32_e32 v96, s14
	s_and_saveexec_b64 s[2:3], s[6:7]
	s_cbranch_execnz .LBB1917_58
	s_branch .LBB1917_59
.LBB1917_211:
	s_and_saveexec_b64 s[38:39], s[30:31]
	s_cbranch_execnz .LBB1917_279
; %bb.212:
	s_or_b64 exec, exec, s[38:39]
	s_and_saveexec_b64 s[38:39], s[28:29]
	s_cbranch_execnz .LBB1917_280
.LBB1917_213:
	s_or_b64 exec, exec, s[38:39]
	s_and_saveexec_b64 s[38:39], s[26:27]
	s_cbranch_execnz .LBB1917_281
.LBB1917_214:
	s_or_b64 exec, exec, s[38:39]
	s_and_saveexec_b64 s[38:39], s[24:25]
	s_cbranch_execnz .LBB1917_282
.LBB1917_215:
	s_or_b64 exec, exec, s[38:39]
	s_and_saveexec_b64 s[38:39], s[22:23]
	s_cbranch_execnz .LBB1917_283
.LBB1917_216:
	s_or_b64 exec, exec, s[38:39]
	s_and_saveexec_b64 s[38:39], s[20:21]
	s_cbranch_execnz .LBB1917_284
.LBB1917_217:
	s_or_b64 exec, exec, s[38:39]
	s_and_saveexec_b64 s[38:39], s[18:19]
	s_cbranch_execnz .LBB1917_285
.LBB1917_218:
	s_or_b64 exec, exec, s[38:39]
	s_and_saveexec_b64 s[38:39], s[16:17]
	s_cbranch_execnz .LBB1917_286
.LBB1917_219:
	s_or_b64 exec, exec, s[38:39]
	s_and_saveexec_b64 s[38:39], s[14:15]
	s_cbranch_execnz .LBB1917_287
.LBB1917_220:
	s_or_b64 exec, exec, s[38:39]
	s_and_saveexec_b64 s[38:39], s[12:13]
	s_cbranch_execnz .LBB1917_288
.LBB1917_221:
	s_or_b64 exec, exec, s[38:39]
	s_and_saveexec_b64 s[38:39], s[10:11]
	s_cbranch_execnz .LBB1917_289
.LBB1917_222:
	s_or_b64 exec, exec, s[38:39]
	s_and_saveexec_b64 s[38:39], s[8:9]
	s_cbranch_execnz .LBB1917_290
.LBB1917_223:
	s_or_b64 exec, exec, s[38:39]
	s_and_saveexec_b64 s[38:39], s[6:7]
	s_cbranch_execnz .LBB1917_291
.LBB1917_224:
	s_or_b64 exec, exec, s[38:39]
	s_and_saveexec_b64 s[38:39], s[4:5]
	s_cbranch_execz .LBB1917_226
.LBB1917_225:
	v_sub_u32_e32 v38, v21, v50
	v_mov_b32_e32 v39, 0
	v_lshlrev_b64 v[38:39], 2, v[38:39]
	v_add_co_u32_e32 v38, vcc, v34, v38
	v_addc_co_u32_e32 v39, vcc, v35, v39, vcc
	global_store_dword v[38:39], v5, off
.LBB1917_226:
	s_or_b64 exec, exec, s[38:39]
	s_and_b64 s[38:39], s[2:3], exec
	s_andn2_saveexec_b64 s[34:35], s[34:35]
	s_cbranch_execz .LBB1917_164
.LBB1917_227:
	v_sub_u32_e32 v38, v97, v50
	v_mov_b32_e32 v39, 0
	v_lshlrev_b64 v[40:41], 2, v[38:39]
	v_add_co_u32_e32 v40, vcc, v34, v40
	v_addc_co_u32_e32 v41, vcc, v35, v41, vcc
	v_sub_u32_e32 v38, v33, v50
	global_store_dword v[40:41], v16, off
	v_lshlrev_b64 v[40:41], 2, v[38:39]
	v_add_co_u32_e32 v40, vcc, v34, v40
	v_addc_co_u32_e32 v41, vcc, v35, v41, vcc
	v_sub_u32_e32 v38, v32, v50
	global_store_dword v[40:41], v17, off
	;; [unrolled: 5-line block ×12, first 2 shown]
	v_lshlrev_b64 v[40:41], 2, v[38:39]
	v_add_co_u32_e32 v40, vcc, v34, v40
	v_sub_u32_e32 v38, v21, v50
	v_addc_co_u32_e32 v41, vcc, v35, v41, vcc
	v_lshlrev_b64 v[38:39], 2, v[38:39]
	v_add_co_u32_e32 v38, vcc, v34, v38
	v_addc_co_u32_e32 v39, vcc, v35, v39, vcc
	s_or_b64 s[38:39], s[38:39], exec
	global_store_dword v[40:41], v4, off
	global_store_dword v[38:39], v5, off
	s_or_b64 exec, exec, s[34:35]
	s_and_b64 exec, exec, s[38:39]
	s_cbranch_execnz .LBB1917_165
	s_branch .LBB1917_166
.LBB1917_228:
	s_and_saveexec_b64 s[38:39], s[30:31]
	s_cbranch_execnz .LBB1917_292
; %bb.229:
	s_or_b64 exec, exec, s[38:39]
	s_and_saveexec_b64 s[30:31], s[28:29]
	s_cbranch_execnz .LBB1917_293
.LBB1917_230:
	s_or_b64 exec, exec, s[30:31]
	s_and_saveexec_b64 s[28:29], s[26:27]
	s_cbranch_execnz .LBB1917_294
.LBB1917_231:
	s_or_b64 exec, exec, s[28:29]
	s_and_saveexec_b64 s[26:27], s[24:25]
	s_cbranch_execnz .LBB1917_295
.LBB1917_232:
	s_or_b64 exec, exec, s[26:27]
	s_and_saveexec_b64 s[24:25], s[22:23]
	s_cbranch_execnz .LBB1917_296
.LBB1917_233:
	s_or_b64 exec, exec, s[24:25]
	s_and_saveexec_b64 s[22:23], s[20:21]
	s_cbranch_execnz .LBB1917_297
.LBB1917_234:
	s_or_b64 exec, exec, s[22:23]
	s_and_saveexec_b64 s[20:21], s[18:19]
	s_cbranch_execnz .LBB1917_298
.LBB1917_235:
	s_or_b64 exec, exec, s[20:21]
	s_and_saveexec_b64 s[18:19], s[16:17]
	s_cbranch_execnz .LBB1917_299
.LBB1917_236:
	s_or_b64 exec, exec, s[18:19]
	s_and_saveexec_b64 s[16:17], s[14:15]
	s_cbranch_execnz .LBB1917_300
.LBB1917_237:
	s_or_b64 exec, exec, s[16:17]
	s_and_saveexec_b64 s[14:15], s[12:13]
	s_cbranch_execnz .LBB1917_301
.LBB1917_238:
	s_or_b64 exec, exec, s[14:15]
	s_and_saveexec_b64 s[12:13], s[10:11]
	s_cbranch_execnz .LBB1917_302
.LBB1917_239:
	s_or_b64 exec, exec, s[12:13]
	s_and_saveexec_b64 s[10:11], s[8:9]
	s_cbranch_execnz .LBB1917_303
.LBB1917_240:
	s_or_b64 exec, exec, s[10:11]
	s_and_saveexec_b64 s[8:9], s[6:7]
	s_cbranch_execnz .LBB1917_304
.LBB1917_241:
	s_or_b64 exec, exec, s[8:9]
	s_and_saveexec_b64 s[6:7], s[4:5]
	s_cbranch_execz .LBB1917_243
.LBB1917_242:
	v_sub_u32_e32 v4, v21, v50
	v_lshlrev_b32_e32 v4, 2, v4
	ds_write_b32 v4, v5
.LBB1917_243:
	s_or_b64 exec, exec, s[6:7]
	s_and_b64 s[38:39], s[2:3], exec
                                        ; implicit-def: $vgpr4
                                        ; implicit-def: $vgpr6
                                        ; implicit-def: $vgpr8
                                        ; implicit-def: $vgpr10
                                        ; implicit-def: $vgpr12
                                        ; implicit-def: $vgpr14
                                        ; implicit-def: $vgpr16
	s_andn2_saveexec_b64 s[2:3], s[36:37]
	s_cbranch_execz .LBB1917_171
.LBB1917_244:
	v_sub_u32_e32 v36, v97, v50
	v_lshlrev_b32_e32 v36, 2, v36
	ds_write_b32 v36, v16
	v_sub_u32_e32 v16, v33, v50
	v_lshlrev_b32_e32 v16, 2, v16
	ds_write_b32 v16, v17
	;; [unrolled: 3-line block ×13, first 2 shown]
	v_sub_u32_e32 v4, v21, v50
	v_lshlrev_b32_e32 v4, 2, v4
	s_or_b64 s[38:39], s[38:39], exec
	ds_write_b32 v4, v5
	s_or_b64 exec, exec, s[2:3]
	s_and_b64 exec, exec, s[38:39]
	s_cbranch_execnz .LBB1917_172
	s_branch .LBB1917_173
.LBB1917_245:
	s_and_saveexec_b64 s[36:37], s[28:29]
	s_cbranch_execnz .LBB1917_305
; %bb.246:
	s_or_b64 exec, exec, s[36:37]
	s_and_saveexec_b64 s[36:37], s[26:27]
	s_cbranch_execnz .LBB1917_306
.LBB1917_247:
	s_or_b64 exec, exec, s[36:37]
	s_and_saveexec_b64 s[36:37], s[24:25]
	s_cbranch_execnz .LBB1917_307
.LBB1917_248:
	s_or_b64 exec, exec, s[36:37]
	s_and_saveexec_b64 s[36:37], s[22:23]
	s_cbranch_execnz .LBB1917_308
.LBB1917_249:
	s_or_b64 exec, exec, s[36:37]
	s_and_saveexec_b64 s[36:37], s[20:21]
	s_cbranch_execnz .LBB1917_309
.LBB1917_250:
	s_or_b64 exec, exec, s[36:37]
	s_and_saveexec_b64 s[36:37], s[18:19]
	s_cbranch_execnz .LBB1917_310
.LBB1917_251:
	s_or_b64 exec, exec, s[36:37]
	s_and_saveexec_b64 s[36:37], s[16:17]
	s_cbranch_execnz .LBB1917_311
.LBB1917_252:
	s_or_b64 exec, exec, s[36:37]
	s_and_saveexec_b64 s[36:37], s[14:15]
	s_cbranch_execnz .LBB1917_312
.LBB1917_253:
	s_or_b64 exec, exec, s[36:37]
	s_and_saveexec_b64 s[36:37], s[12:13]
	s_cbranch_execnz .LBB1917_313
.LBB1917_254:
	s_or_b64 exec, exec, s[36:37]
	s_and_saveexec_b64 s[36:37], s[10:11]
	s_cbranch_execnz .LBB1917_314
.LBB1917_255:
	s_or_b64 exec, exec, s[36:37]
	s_and_saveexec_b64 s[36:37], s[8:9]
	s_cbranch_execnz .LBB1917_315
.LBB1917_256:
	s_or_b64 exec, exec, s[36:37]
	s_and_saveexec_b64 s[36:37], s[6:7]
	s_cbranch_execnz .LBB1917_316
.LBB1917_257:
	s_or_b64 exec, exec, s[36:37]
	s_and_saveexec_b64 s[36:37], s[4:5]
	s_cbranch_execnz .LBB1917_317
.LBB1917_258:
	s_or_b64 exec, exec, s[36:37]
	s_and_saveexec_b64 s[36:37], s[2:3]
	s_cbranch_execz .LBB1917_260
.LBB1917_259:
	v_sub_u32_e32 v10, v21, v8
	v_mov_b32_e32 v11, 0
	v_lshlrev_b64 v[10:11], 3, v[10:11]
	v_add_co_u32_e32 v10, vcc, v6, v10
	v_addc_co_u32_e32 v11, vcc, v7, v11, vcc
	global_store_dwordx2 v[10:11], v[78:79], off
.LBB1917_260:
	s_or_b64 exec, exec, s[36:37]
	s_and_b64 s[36:37], s[0:1], exec
	s_andn2_saveexec_b64 s[30:31], s[30:31]
	s_cbranch_execz .LBB1917_193
.LBB1917_261:
	v_sub_u32_e32 v10, v97, v8
	v_mov_b32_e32 v11, 0
	v_lshlrev_b64 v[12:13], 3, v[10:11]
	v_add_co_u32_e32 v12, vcc, v6, v12
	v_addc_co_u32_e32 v13, vcc, v7, v13, vcc
	v_sub_u32_e32 v10, v33, v8
	global_store_dwordx2 v[12:13], v[76:77], off
	v_lshlrev_b64 v[12:13], 3, v[10:11]
	v_add_co_u32_e32 v12, vcc, v6, v12
	v_addc_co_u32_e32 v13, vcc, v7, v13, vcc
	v_sub_u32_e32 v10, v32, v8
	global_store_dwordx2 v[12:13], v[52:53], off
	;; [unrolled: 5-line block ×12, first 2 shown]
	v_lshlrev_b64 v[12:13], 3, v[10:11]
	v_add_co_u32_e32 v12, vcc, v6, v12
	v_sub_u32_e32 v10, v21, v8
	v_addc_co_u32_e32 v13, vcc, v7, v13, vcc
	v_lshlrev_b64 v[10:11], 3, v[10:11]
	v_add_co_u32_e32 v10, vcc, v6, v10
	v_addc_co_u32_e32 v11, vcc, v7, v11, vcc
	s_or_b64 s[36:37], s[36:37], exec
	global_store_dwordx2 v[12:13], v[74:75], off
	global_store_dwordx2 v[10:11], v[78:79], off
	s_or_b64 exec, exec, s[30:31]
	s_and_b64 exec, exec, s[36:37]
	s_cbranch_execnz .LBB1917_194
	s_branch .LBB1917_195
.LBB1917_262:
	s_and_saveexec_b64 s[36:37], s[28:29]
	s_cbranch_execnz .LBB1917_318
; %bb.263:
	s_or_b64 exec, exec, s[36:37]
	s_and_saveexec_b64 s[28:29], s[26:27]
	s_cbranch_execnz .LBB1917_319
.LBB1917_264:
	s_or_b64 exec, exec, s[28:29]
	s_and_saveexec_b64 s[26:27], s[24:25]
	s_cbranch_execnz .LBB1917_320
.LBB1917_265:
	s_or_b64 exec, exec, s[26:27]
	s_and_saveexec_b64 s[24:25], s[22:23]
	s_cbranch_execnz .LBB1917_321
.LBB1917_266:
	s_or_b64 exec, exec, s[24:25]
	s_and_saveexec_b64 s[22:23], s[20:21]
	s_cbranch_execnz .LBB1917_322
.LBB1917_267:
	s_or_b64 exec, exec, s[22:23]
	s_and_saveexec_b64 s[20:21], s[18:19]
	s_cbranch_execnz .LBB1917_323
.LBB1917_268:
	s_or_b64 exec, exec, s[20:21]
	s_and_saveexec_b64 s[18:19], s[16:17]
	s_cbranch_execnz .LBB1917_324
.LBB1917_269:
	s_or_b64 exec, exec, s[18:19]
	s_and_saveexec_b64 s[16:17], s[14:15]
	s_cbranch_execnz .LBB1917_325
.LBB1917_270:
	s_or_b64 exec, exec, s[16:17]
	s_and_saveexec_b64 s[14:15], s[12:13]
	s_cbranch_execnz .LBB1917_326
.LBB1917_271:
	s_or_b64 exec, exec, s[14:15]
	s_and_saveexec_b64 s[12:13], s[10:11]
	s_cbranch_execnz .LBB1917_327
.LBB1917_272:
	s_or_b64 exec, exec, s[12:13]
	s_and_saveexec_b64 s[10:11], s[8:9]
	s_cbranch_execnz .LBB1917_328
.LBB1917_273:
	s_or_b64 exec, exec, s[10:11]
	s_and_saveexec_b64 s[8:9], s[6:7]
	s_cbranch_execnz .LBB1917_329
.LBB1917_274:
	s_or_b64 exec, exec, s[8:9]
	s_and_saveexec_b64 s[6:7], s[4:5]
	s_cbranch_execnz .LBB1917_330
.LBB1917_275:
	s_or_b64 exec, exec, s[6:7]
	s_and_saveexec_b64 s[4:5], s[2:3]
	s_cbranch_execz .LBB1917_277
.LBB1917_276:
	v_sub_u32_e32 v9, v21, v8
	v_lshlrev_b32_e32 v9, 3, v9
	ds_write_b64 v9, v[78:79]
.LBB1917_277:
	s_or_b64 exec, exec, s[4:5]
	s_and_b64 s[36:37], s[0:1], exec
                                        ; implicit-def: $vgpr76_vgpr77
                                        ; implicit-def: $vgpr52_vgpr53
                                        ; implicit-def: $vgpr54_vgpr55
                                        ; implicit-def: $vgpr56_vgpr57
                                        ; implicit-def: $vgpr58_vgpr59
                                        ; implicit-def: $vgpr60_vgpr61
                                        ; implicit-def: $vgpr62_vgpr63
                                        ; implicit-def: $vgpr64_vgpr65
                                        ; implicit-def: $vgpr66_vgpr67
                                        ; implicit-def: $vgpr68_vgpr69
                                        ; implicit-def: $vgpr70_vgpr71
                                        ; implicit-def: $vgpr72_vgpr73
                                        ; implicit-def: $vgpr74_vgpr75
                                        ; implicit-def: $vgpr78_vgpr79
                                        ; implicit-def: $vgpr97
                                        ; implicit-def: $vgpr33
                                        ; implicit-def: $vgpr32
                                        ; implicit-def: $vgpr31
                                        ; implicit-def: $vgpr30
                                        ; implicit-def: $vgpr29
                                        ; implicit-def: $vgpr28
                                        ; implicit-def: $vgpr27
                                        ; implicit-def: $vgpr26
                                        ; implicit-def: $vgpr25
                                        ; implicit-def: $vgpr24
                                        ; implicit-def: $vgpr23
                                        ; implicit-def: $vgpr22
                                        ; implicit-def: $vgpr21
	s_andn2_saveexec_b64 s[0:1], s[34:35]
	s_cbranch_execz .LBB1917_200
.LBB1917_278:
	v_sub_u32_e32 v9, v97, v8
	v_lshlrev_b32_e32 v9, 3, v9
	ds_write_b64 v9, v[76:77]
	v_sub_u32_e32 v9, v33, v8
	v_lshlrev_b32_e32 v9, 3, v9
	ds_write_b64 v9, v[52:53]
	v_sub_u32_e32 v9, v32, v8
	v_lshlrev_b32_e32 v9, 3, v9
	ds_write_b64 v9, v[54:55]
	v_sub_u32_e32 v9, v31, v8
	v_lshlrev_b32_e32 v9, 3, v9
	ds_write_b64 v9, v[56:57]
	v_sub_u32_e32 v9, v30, v8
	v_lshlrev_b32_e32 v9, 3, v9
	ds_write_b64 v9, v[58:59]
	v_sub_u32_e32 v9, v29, v8
	v_lshlrev_b32_e32 v9, 3, v9
	ds_write_b64 v9, v[60:61]
	v_sub_u32_e32 v9, v28, v8
	v_lshlrev_b32_e32 v9, 3, v9
	ds_write_b64 v9, v[62:63]
	v_sub_u32_e32 v9, v27, v8
	v_lshlrev_b32_e32 v9, 3, v9
	ds_write_b64 v9, v[64:65]
	v_sub_u32_e32 v9, v26, v8
	v_lshlrev_b32_e32 v9, 3, v9
	ds_write_b64 v9, v[66:67]
	v_sub_u32_e32 v9, v25, v8
	v_lshlrev_b32_e32 v9, 3, v9
	ds_write_b64 v9, v[68:69]
	v_sub_u32_e32 v9, v24, v8
	v_lshlrev_b32_e32 v9, 3, v9
	ds_write_b64 v9, v[70:71]
	v_sub_u32_e32 v9, v23, v8
	v_lshlrev_b32_e32 v9, 3, v9
	ds_write_b64 v9, v[72:73]
	v_sub_u32_e32 v9, v22, v8
	v_lshlrev_b32_e32 v9, 3, v9
	ds_write_b64 v9, v[74:75]
	v_sub_u32_e32 v9, v21, v8
	v_lshlrev_b32_e32 v9, 3, v9
	s_or_b64 s[36:37], s[36:37], exec
	ds_write_b64 v9, v[78:79]
	s_or_b64 exec, exec, s[0:1]
	s_and_b64 exec, exec, s[36:37]
	s_cbranch_execnz .LBB1917_201
	s_branch .LBB1917_202
.LBB1917_279:
	v_sub_u32_e32 v38, v97, v50
	v_mov_b32_e32 v39, 0
	v_lshlrev_b64 v[38:39], 2, v[38:39]
	v_add_co_u32_e32 v38, vcc, v34, v38
	v_addc_co_u32_e32 v39, vcc, v35, v39, vcc
	global_store_dword v[38:39], v16, off
	s_or_b64 exec, exec, s[38:39]
	s_and_saveexec_b64 s[38:39], s[28:29]
	s_cbranch_execz .LBB1917_213
.LBB1917_280:
	v_sub_u32_e32 v38, v33, v50
	v_mov_b32_e32 v39, 0
	v_lshlrev_b64 v[38:39], 2, v[38:39]
	v_add_co_u32_e32 v38, vcc, v34, v38
	v_addc_co_u32_e32 v39, vcc, v35, v39, vcc
	global_store_dword v[38:39], v17, off
	s_or_b64 exec, exec, s[38:39]
	s_and_saveexec_b64 s[38:39], s[26:27]
	s_cbranch_execz .LBB1917_214
.LBB1917_281:
	v_sub_u32_e32 v38, v32, v50
	v_mov_b32_e32 v39, 0
	v_lshlrev_b64 v[38:39], 2, v[38:39]
	v_add_co_u32_e32 v38, vcc, v34, v38
	v_addc_co_u32_e32 v39, vcc, v35, v39, vcc
	global_store_dword v[38:39], v14, off
	s_or_b64 exec, exec, s[38:39]
	s_and_saveexec_b64 s[38:39], s[24:25]
	s_cbranch_execz .LBB1917_215
.LBB1917_282:
	v_sub_u32_e32 v38, v31, v50
	v_mov_b32_e32 v39, 0
	v_lshlrev_b64 v[38:39], 2, v[38:39]
	v_add_co_u32_e32 v38, vcc, v34, v38
	v_addc_co_u32_e32 v39, vcc, v35, v39, vcc
	global_store_dword v[38:39], v15, off
	s_or_b64 exec, exec, s[38:39]
	s_and_saveexec_b64 s[38:39], s[22:23]
	s_cbranch_execz .LBB1917_216
.LBB1917_283:
	v_sub_u32_e32 v38, v30, v50
	v_mov_b32_e32 v39, 0
	v_lshlrev_b64 v[38:39], 2, v[38:39]
	v_add_co_u32_e32 v38, vcc, v34, v38
	v_addc_co_u32_e32 v39, vcc, v35, v39, vcc
	global_store_dword v[38:39], v12, off
	s_or_b64 exec, exec, s[38:39]
	s_and_saveexec_b64 s[38:39], s[20:21]
	s_cbranch_execz .LBB1917_217
.LBB1917_284:
	v_sub_u32_e32 v38, v29, v50
	v_mov_b32_e32 v39, 0
	v_lshlrev_b64 v[38:39], 2, v[38:39]
	v_add_co_u32_e32 v38, vcc, v34, v38
	v_addc_co_u32_e32 v39, vcc, v35, v39, vcc
	global_store_dword v[38:39], v13, off
	s_or_b64 exec, exec, s[38:39]
	s_and_saveexec_b64 s[38:39], s[18:19]
	s_cbranch_execz .LBB1917_218
.LBB1917_285:
	v_sub_u32_e32 v38, v28, v50
	v_mov_b32_e32 v39, 0
	v_lshlrev_b64 v[38:39], 2, v[38:39]
	v_add_co_u32_e32 v38, vcc, v34, v38
	v_addc_co_u32_e32 v39, vcc, v35, v39, vcc
	global_store_dword v[38:39], v10, off
	s_or_b64 exec, exec, s[38:39]
	s_and_saveexec_b64 s[38:39], s[16:17]
	s_cbranch_execz .LBB1917_219
.LBB1917_286:
	v_sub_u32_e32 v38, v27, v50
	v_mov_b32_e32 v39, 0
	v_lshlrev_b64 v[38:39], 2, v[38:39]
	v_add_co_u32_e32 v38, vcc, v34, v38
	v_addc_co_u32_e32 v39, vcc, v35, v39, vcc
	global_store_dword v[38:39], v11, off
	s_or_b64 exec, exec, s[38:39]
	s_and_saveexec_b64 s[38:39], s[14:15]
	s_cbranch_execz .LBB1917_220
.LBB1917_287:
	v_sub_u32_e32 v38, v26, v50
	v_mov_b32_e32 v39, 0
	v_lshlrev_b64 v[38:39], 2, v[38:39]
	v_add_co_u32_e32 v38, vcc, v34, v38
	v_addc_co_u32_e32 v39, vcc, v35, v39, vcc
	global_store_dword v[38:39], v8, off
	s_or_b64 exec, exec, s[38:39]
	s_and_saveexec_b64 s[38:39], s[12:13]
	s_cbranch_execz .LBB1917_221
.LBB1917_288:
	v_sub_u32_e32 v38, v25, v50
	v_mov_b32_e32 v39, 0
	v_lshlrev_b64 v[38:39], 2, v[38:39]
	v_add_co_u32_e32 v38, vcc, v34, v38
	v_addc_co_u32_e32 v39, vcc, v35, v39, vcc
	global_store_dword v[38:39], v9, off
	s_or_b64 exec, exec, s[38:39]
	s_and_saveexec_b64 s[38:39], s[10:11]
	s_cbranch_execz .LBB1917_222
.LBB1917_289:
	v_sub_u32_e32 v38, v24, v50
	v_mov_b32_e32 v39, 0
	v_lshlrev_b64 v[38:39], 2, v[38:39]
	v_add_co_u32_e32 v38, vcc, v34, v38
	v_addc_co_u32_e32 v39, vcc, v35, v39, vcc
	global_store_dword v[38:39], v6, off
	s_or_b64 exec, exec, s[38:39]
	s_and_saveexec_b64 s[38:39], s[8:9]
	s_cbranch_execz .LBB1917_223
.LBB1917_290:
	v_sub_u32_e32 v38, v23, v50
	v_mov_b32_e32 v39, 0
	v_lshlrev_b64 v[38:39], 2, v[38:39]
	v_add_co_u32_e32 v38, vcc, v34, v38
	v_addc_co_u32_e32 v39, vcc, v35, v39, vcc
	global_store_dword v[38:39], v7, off
	s_or_b64 exec, exec, s[38:39]
	s_and_saveexec_b64 s[38:39], s[6:7]
	s_cbranch_execz .LBB1917_224
.LBB1917_291:
	v_sub_u32_e32 v38, v22, v50
	v_mov_b32_e32 v39, 0
	v_lshlrev_b64 v[38:39], 2, v[38:39]
	v_add_co_u32_e32 v38, vcc, v34, v38
	v_addc_co_u32_e32 v39, vcc, v35, v39, vcc
	global_store_dword v[38:39], v4, off
	s_or_b64 exec, exec, s[38:39]
	s_and_saveexec_b64 s[38:39], s[4:5]
	s_cbranch_execnz .LBB1917_225
	s_branch .LBB1917_226
.LBB1917_292:
	v_sub_u32_e32 v36, v97, v50
	v_lshlrev_b32_e32 v36, 2, v36
	ds_write_b32 v36, v16
	s_or_b64 exec, exec, s[38:39]
	s_and_saveexec_b64 s[30:31], s[28:29]
	s_cbranch_execz .LBB1917_230
.LBB1917_293:
	v_sub_u32_e32 v16, v33, v50
	v_lshlrev_b32_e32 v16, 2, v16
	ds_write_b32 v16, v17
	s_or_b64 exec, exec, s[30:31]
	s_and_saveexec_b64 s[28:29], s[26:27]
	s_cbranch_execz .LBB1917_231
.LBB1917_294:
	v_sub_u32_e32 v16, v32, v50
	v_lshlrev_b32_e32 v16, 2, v16
	ds_write_b32 v16, v14
	s_or_b64 exec, exec, s[28:29]
	s_and_saveexec_b64 s[26:27], s[24:25]
	s_cbranch_execz .LBB1917_232
.LBB1917_295:
	v_sub_u32_e32 v14, v31, v50
	v_lshlrev_b32_e32 v14, 2, v14
	ds_write_b32 v14, v15
	s_or_b64 exec, exec, s[26:27]
	s_and_saveexec_b64 s[24:25], s[22:23]
	s_cbranch_execz .LBB1917_233
.LBB1917_296:
	v_sub_u32_e32 v14, v30, v50
	v_lshlrev_b32_e32 v14, 2, v14
	ds_write_b32 v14, v12
	s_or_b64 exec, exec, s[24:25]
	s_and_saveexec_b64 s[22:23], s[20:21]
	s_cbranch_execz .LBB1917_234
.LBB1917_297:
	v_sub_u32_e32 v12, v29, v50
	v_lshlrev_b32_e32 v12, 2, v12
	ds_write_b32 v12, v13
	s_or_b64 exec, exec, s[22:23]
	s_and_saveexec_b64 s[20:21], s[18:19]
	s_cbranch_execz .LBB1917_235
.LBB1917_298:
	v_sub_u32_e32 v12, v28, v50
	v_lshlrev_b32_e32 v12, 2, v12
	ds_write_b32 v12, v10
	s_or_b64 exec, exec, s[20:21]
	s_and_saveexec_b64 s[18:19], s[16:17]
	s_cbranch_execz .LBB1917_236
.LBB1917_299:
	v_sub_u32_e32 v10, v27, v50
	v_lshlrev_b32_e32 v10, 2, v10
	ds_write_b32 v10, v11
	s_or_b64 exec, exec, s[18:19]
	s_and_saveexec_b64 s[16:17], s[14:15]
	s_cbranch_execz .LBB1917_237
.LBB1917_300:
	v_sub_u32_e32 v10, v26, v50
	v_lshlrev_b32_e32 v10, 2, v10
	ds_write_b32 v10, v8
	s_or_b64 exec, exec, s[16:17]
	s_and_saveexec_b64 s[14:15], s[12:13]
	s_cbranch_execz .LBB1917_238
.LBB1917_301:
	v_sub_u32_e32 v8, v25, v50
	v_lshlrev_b32_e32 v8, 2, v8
	ds_write_b32 v8, v9
	s_or_b64 exec, exec, s[14:15]
	s_and_saveexec_b64 s[12:13], s[10:11]
	s_cbranch_execz .LBB1917_239
.LBB1917_302:
	v_sub_u32_e32 v8, v24, v50
	v_lshlrev_b32_e32 v8, 2, v8
	ds_write_b32 v8, v6
	s_or_b64 exec, exec, s[12:13]
	s_and_saveexec_b64 s[10:11], s[8:9]
	s_cbranch_execz .LBB1917_240
.LBB1917_303:
	v_sub_u32_e32 v6, v23, v50
	v_lshlrev_b32_e32 v6, 2, v6
	ds_write_b32 v6, v7
	s_or_b64 exec, exec, s[10:11]
	s_and_saveexec_b64 s[8:9], s[6:7]
	s_cbranch_execz .LBB1917_241
.LBB1917_304:
	v_sub_u32_e32 v6, v22, v50
	v_lshlrev_b32_e32 v6, 2, v6
	ds_write_b32 v6, v4
	s_or_b64 exec, exec, s[8:9]
	s_and_saveexec_b64 s[6:7], s[4:5]
	s_cbranch_execnz .LBB1917_242
	s_branch .LBB1917_243
.LBB1917_305:
	v_sub_u32_e32 v10, v97, v8
	v_mov_b32_e32 v11, 0
	v_lshlrev_b64 v[10:11], 3, v[10:11]
	v_add_co_u32_e32 v10, vcc, v6, v10
	v_addc_co_u32_e32 v11, vcc, v7, v11, vcc
	global_store_dwordx2 v[10:11], v[76:77], off
	s_or_b64 exec, exec, s[36:37]
	s_and_saveexec_b64 s[36:37], s[26:27]
	s_cbranch_execz .LBB1917_247
.LBB1917_306:
	v_sub_u32_e32 v10, v33, v8
	v_mov_b32_e32 v11, 0
	v_lshlrev_b64 v[10:11], 3, v[10:11]
	v_add_co_u32_e32 v10, vcc, v6, v10
	v_addc_co_u32_e32 v11, vcc, v7, v11, vcc
	global_store_dwordx2 v[10:11], v[52:53], off
	s_or_b64 exec, exec, s[36:37]
	s_and_saveexec_b64 s[36:37], s[24:25]
	s_cbranch_execz .LBB1917_248
.LBB1917_307:
	v_sub_u32_e32 v10, v32, v8
	v_mov_b32_e32 v11, 0
	v_lshlrev_b64 v[10:11], 3, v[10:11]
	v_add_co_u32_e32 v10, vcc, v6, v10
	v_addc_co_u32_e32 v11, vcc, v7, v11, vcc
	global_store_dwordx2 v[10:11], v[54:55], off
	s_or_b64 exec, exec, s[36:37]
	s_and_saveexec_b64 s[36:37], s[22:23]
	s_cbranch_execz .LBB1917_249
.LBB1917_308:
	v_sub_u32_e32 v10, v31, v8
	v_mov_b32_e32 v11, 0
	v_lshlrev_b64 v[10:11], 3, v[10:11]
	v_add_co_u32_e32 v10, vcc, v6, v10
	v_addc_co_u32_e32 v11, vcc, v7, v11, vcc
	global_store_dwordx2 v[10:11], v[56:57], off
	s_or_b64 exec, exec, s[36:37]
	s_and_saveexec_b64 s[36:37], s[20:21]
	s_cbranch_execz .LBB1917_250
.LBB1917_309:
	v_sub_u32_e32 v10, v30, v8
	v_mov_b32_e32 v11, 0
	v_lshlrev_b64 v[10:11], 3, v[10:11]
	v_add_co_u32_e32 v10, vcc, v6, v10
	v_addc_co_u32_e32 v11, vcc, v7, v11, vcc
	global_store_dwordx2 v[10:11], v[58:59], off
	s_or_b64 exec, exec, s[36:37]
	s_and_saveexec_b64 s[36:37], s[18:19]
	s_cbranch_execz .LBB1917_251
.LBB1917_310:
	v_sub_u32_e32 v10, v29, v8
	v_mov_b32_e32 v11, 0
	v_lshlrev_b64 v[10:11], 3, v[10:11]
	v_add_co_u32_e32 v10, vcc, v6, v10
	v_addc_co_u32_e32 v11, vcc, v7, v11, vcc
	global_store_dwordx2 v[10:11], v[60:61], off
	s_or_b64 exec, exec, s[36:37]
	s_and_saveexec_b64 s[36:37], s[16:17]
	s_cbranch_execz .LBB1917_252
.LBB1917_311:
	v_sub_u32_e32 v10, v28, v8
	v_mov_b32_e32 v11, 0
	v_lshlrev_b64 v[10:11], 3, v[10:11]
	v_add_co_u32_e32 v10, vcc, v6, v10
	v_addc_co_u32_e32 v11, vcc, v7, v11, vcc
	global_store_dwordx2 v[10:11], v[62:63], off
	s_or_b64 exec, exec, s[36:37]
	s_and_saveexec_b64 s[36:37], s[14:15]
	s_cbranch_execz .LBB1917_253
.LBB1917_312:
	v_sub_u32_e32 v10, v27, v8
	v_mov_b32_e32 v11, 0
	v_lshlrev_b64 v[10:11], 3, v[10:11]
	v_add_co_u32_e32 v10, vcc, v6, v10
	v_addc_co_u32_e32 v11, vcc, v7, v11, vcc
	global_store_dwordx2 v[10:11], v[64:65], off
	s_or_b64 exec, exec, s[36:37]
	s_and_saveexec_b64 s[36:37], s[12:13]
	s_cbranch_execz .LBB1917_254
.LBB1917_313:
	v_sub_u32_e32 v10, v26, v8
	v_mov_b32_e32 v11, 0
	v_lshlrev_b64 v[10:11], 3, v[10:11]
	v_add_co_u32_e32 v10, vcc, v6, v10
	v_addc_co_u32_e32 v11, vcc, v7, v11, vcc
	global_store_dwordx2 v[10:11], v[66:67], off
	s_or_b64 exec, exec, s[36:37]
	s_and_saveexec_b64 s[36:37], s[10:11]
	s_cbranch_execz .LBB1917_255
.LBB1917_314:
	v_sub_u32_e32 v10, v25, v8
	v_mov_b32_e32 v11, 0
	v_lshlrev_b64 v[10:11], 3, v[10:11]
	v_add_co_u32_e32 v10, vcc, v6, v10
	v_addc_co_u32_e32 v11, vcc, v7, v11, vcc
	global_store_dwordx2 v[10:11], v[68:69], off
	s_or_b64 exec, exec, s[36:37]
	s_and_saveexec_b64 s[36:37], s[8:9]
	s_cbranch_execz .LBB1917_256
.LBB1917_315:
	v_sub_u32_e32 v10, v24, v8
	v_mov_b32_e32 v11, 0
	v_lshlrev_b64 v[10:11], 3, v[10:11]
	v_add_co_u32_e32 v10, vcc, v6, v10
	v_addc_co_u32_e32 v11, vcc, v7, v11, vcc
	global_store_dwordx2 v[10:11], v[70:71], off
	s_or_b64 exec, exec, s[36:37]
	s_and_saveexec_b64 s[36:37], s[6:7]
	s_cbranch_execz .LBB1917_257
.LBB1917_316:
	v_sub_u32_e32 v10, v23, v8
	v_mov_b32_e32 v11, 0
	v_lshlrev_b64 v[10:11], 3, v[10:11]
	v_add_co_u32_e32 v10, vcc, v6, v10
	v_addc_co_u32_e32 v11, vcc, v7, v11, vcc
	global_store_dwordx2 v[10:11], v[72:73], off
	s_or_b64 exec, exec, s[36:37]
	s_and_saveexec_b64 s[36:37], s[4:5]
	s_cbranch_execz .LBB1917_258
.LBB1917_317:
	v_sub_u32_e32 v10, v22, v8
	v_mov_b32_e32 v11, 0
	v_lshlrev_b64 v[10:11], 3, v[10:11]
	v_add_co_u32_e32 v10, vcc, v6, v10
	v_addc_co_u32_e32 v11, vcc, v7, v11, vcc
	global_store_dwordx2 v[10:11], v[74:75], off
	s_or_b64 exec, exec, s[36:37]
	s_and_saveexec_b64 s[36:37], s[2:3]
	s_cbranch_execnz .LBB1917_259
	s_branch .LBB1917_260
.LBB1917_318:
	v_sub_u32_e32 v9, v97, v8
	v_lshlrev_b32_e32 v9, 3, v9
	ds_write_b64 v9, v[76:77]
	s_or_b64 exec, exec, s[36:37]
	s_and_saveexec_b64 s[28:29], s[26:27]
	s_cbranch_execz .LBB1917_264
.LBB1917_319:
	v_sub_u32_e32 v9, v33, v8
	v_lshlrev_b32_e32 v9, 3, v9
	ds_write_b64 v9, v[52:53]
	s_or_b64 exec, exec, s[28:29]
	s_and_saveexec_b64 s[26:27], s[24:25]
	s_cbranch_execz .LBB1917_265
.LBB1917_320:
	v_sub_u32_e32 v9, v32, v8
	v_lshlrev_b32_e32 v9, 3, v9
	ds_write_b64 v9, v[54:55]
	s_or_b64 exec, exec, s[26:27]
	s_and_saveexec_b64 s[24:25], s[22:23]
	s_cbranch_execz .LBB1917_266
.LBB1917_321:
	v_sub_u32_e32 v9, v31, v8
	v_lshlrev_b32_e32 v9, 3, v9
	ds_write_b64 v9, v[56:57]
	s_or_b64 exec, exec, s[24:25]
	s_and_saveexec_b64 s[22:23], s[20:21]
	s_cbranch_execz .LBB1917_267
.LBB1917_322:
	v_sub_u32_e32 v9, v30, v8
	v_lshlrev_b32_e32 v9, 3, v9
	ds_write_b64 v9, v[58:59]
	s_or_b64 exec, exec, s[22:23]
	s_and_saveexec_b64 s[20:21], s[18:19]
	s_cbranch_execz .LBB1917_268
.LBB1917_323:
	v_sub_u32_e32 v9, v29, v8
	v_lshlrev_b32_e32 v9, 3, v9
	ds_write_b64 v9, v[60:61]
	s_or_b64 exec, exec, s[20:21]
	s_and_saveexec_b64 s[18:19], s[16:17]
	s_cbranch_execz .LBB1917_269
.LBB1917_324:
	v_sub_u32_e32 v9, v28, v8
	v_lshlrev_b32_e32 v9, 3, v9
	ds_write_b64 v9, v[62:63]
	s_or_b64 exec, exec, s[18:19]
	s_and_saveexec_b64 s[16:17], s[14:15]
	s_cbranch_execz .LBB1917_270
.LBB1917_325:
	v_sub_u32_e32 v9, v27, v8
	v_lshlrev_b32_e32 v9, 3, v9
	ds_write_b64 v9, v[64:65]
	s_or_b64 exec, exec, s[16:17]
	s_and_saveexec_b64 s[14:15], s[12:13]
	s_cbranch_execz .LBB1917_271
.LBB1917_326:
	v_sub_u32_e32 v9, v26, v8
	v_lshlrev_b32_e32 v9, 3, v9
	ds_write_b64 v9, v[66:67]
	s_or_b64 exec, exec, s[14:15]
	s_and_saveexec_b64 s[12:13], s[10:11]
	s_cbranch_execz .LBB1917_272
.LBB1917_327:
	v_sub_u32_e32 v9, v25, v8
	v_lshlrev_b32_e32 v9, 3, v9
	ds_write_b64 v9, v[68:69]
	s_or_b64 exec, exec, s[12:13]
	s_and_saveexec_b64 s[10:11], s[8:9]
	s_cbranch_execz .LBB1917_273
.LBB1917_328:
	v_sub_u32_e32 v9, v24, v8
	v_lshlrev_b32_e32 v9, 3, v9
	ds_write_b64 v9, v[70:71]
	s_or_b64 exec, exec, s[10:11]
	s_and_saveexec_b64 s[8:9], s[6:7]
	s_cbranch_execz .LBB1917_274
.LBB1917_329:
	v_sub_u32_e32 v9, v23, v8
	v_lshlrev_b32_e32 v9, 3, v9
	ds_write_b64 v9, v[72:73]
	s_or_b64 exec, exec, s[8:9]
	s_and_saveexec_b64 s[6:7], s[4:5]
	s_cbranch_execz .LBB1917_275
.LBB1917_330:
	v_sub_u32_e32 v9, v22, v8
	v_lshlrev_b32_e32 v9, 3, v9
	ds_write_b64 v9, v[74:75]
	s_or_b64 exec, exec, s[6:7]
	s_and_saveexec_b64 s[4:5], s[2:3]
	s_cbranch_execnz .LBB1917_276
	s_branch .LBB1917_277
	.section	.rodata,"a",@progbits
	.p2align	6, 0x0
	.amdhsa_kernel _ZN7rocprim17ROCPRIM_400000_NS6detail17trampoline_kernelINS0_14default_configENS1_29reduce_by_key_config_selectorIflN6thrust23THRUST_200600_302600_NS4plusIlEEEEZZNS1_33reduce_by_key_impl_wrapped_configILNS1_25lookback_scan_determinismE0ES3_S9_PfNS6_17constant_iteratorIiNS6_11use_defaultESE_EENS6_10device_ptrIfEENSG_IlEEPmS8_NS6_8equal_toIfEEEE10hipError_tPvRmT2_T3_mT4_T5_T6_T7_T8_P12ihipStream_tbENKUlT_T0_E_clISt17integral_constantIbLb1EES13_EEDaSY_SZ_EUlSY_E_NS1_11comp_targetILNS1_3genE4ELNS1_11target_archE910ELNS1_3gpuE8ELNS1_3repE0EEENS1_30default_config_static_selectorELNS0_4arch9wavefront6targetE1EEEvT1_
		.amdhsa_group_segment_fixed_size 30720
		.amdhsa_private_segment_fixed_size 0
		.amdhsa_kernarg_size 144
		.amdhsa_user_sgpr_count 6
		.amdhsa_user_sgpr_private_segment_buffer 1
		.amdhsa_user_sgpr_dispatch_ptr 0
		.amdhsa_user_sgpr_queue_ptr 0
		.amdhsa_user_sgpr_kernarg_segment_ptr 1
		.amdhsa_user_sgpr_dispatch_id 0
		.amdhsa_user_sgpr_flat_scratch_init 0
		.amdhsa_user_sgpr_kernarg_preload_length 0
		.amdhsa_user_sgpr_kernarg_preload_offset 0
		.amdhsa_user_sgpr_private_segment_size 0
		.amdhsa_uses_dynamic_stack 0
		.amdhsa_system_sgpr_private_segment_wavefront_offset 0
		.amdhsa_system_sgpr_workgroup_id_x 1
		.amdhsa_system_sgpr_workgroup_id_y 0
		.amdhsa_system_sgpr_workgroup_id_z 0
		.amdhsa_system_sgpr_workgroup_info 0
		.amdhsa_system_vgpr_workitem_id 0
		.amdhsa_next_free_vgpr 122
		.amdhsa_next_free_sgpr 64
		.amdhsa_accum_offset 124
		.amdhsa_reserve_vcc 1
		.amdhsa_reserve_flat_scratch 0
		.amdhsa_float_round_mode_32 0
		.amdhsa_float_round_mode_16_64 0
		.amdhsa_float_denorm_mode_32 3
		.amdhsa_float_denorm_mode_16_64 3
		.amdhsa_dx10_clamp 1
		.amdhsa_ieee_mode 1
		.amdhsa_fp16_overflow 0
		.amdhsa_tg_split 0
		.amdhsa_exception_fp_ieee_invalid_op 0
		.amdhsa_exception_fp_denorm_src 0
		.amdhsa_exception_fp_ieee_div_zero 0
		.amdhsa_exception_fp_ieee_overflow 0
		.amdhsa_exception_fp_ieee_underflow 0
		.amdhsa_exception_fp_ieee_inexact 0
		.amdhsa_exception_int_div_zero 0
	.end_amdhsa_kernel
	.section	.text._ZN7rocprim17ROCPRIM_400000_NS6detail17trampoline_kernelINS0_14default_configENS1_29reduce_by_key_config_selectorIflN6thrust23THRUST_200600_302600_NS4plusIlEEEEZZNS1_33reduce_by_key_impl_wrapped_configILNS1_25lookback_scan_determinismE0ES3_S9_PfNS6_17constant_iteratorIiNS6_11use_defaultESE_EENS6_10device_ptrIfEENSG_IlEEPmS8_NS6_8equal_toIfEEEE10hipError_tPvRmT2_T3_mT4_T5_T6_T7_T8_P12ihipStream_tbENKUlT_T0_E_clISt17integral_constantIbLb1EES13_EEDaSY_SZ_EUlSY_E_NS1_11comp_targetILNS1_3genE4ELNS1_11target_archE910ELNS1_3gpuE8ELNS1_3repE0EEENS1_30default_config_static_selectorELNS0_4arch9wavefront6targetE1EEEvT1_,"axG",@progbits,_ZN7rocprim17ROCPRIM_400000_NS6detail17trampoline_kernelINS0_14default_configENS1_29reduce_by_key_config_selectorIflN6thrust23THRUST_200600_302600_NS4plusIlEEEEZZNS1_33reduce_by_key_impl_wrapped_configILNS1_25lookback_scan_determinismE0ES3_S9_PfNS6_17constant_iteratorIiNS6_11use_defaultESE_EENS6_10device_ptrIfEENSG_IlEEPmS8_NS6_8equal_toIfEEEE10hipError_tPvRmT2_T3_mT4_T5_T6_T7_T8_P12ihipStream_tbENKUlT_T0_E_clISt17integral_constantIbLb1EES13_EEDaSY_SZ_EUlSY_E_NS1_11comp_targetILNS1_3genE4ELNS1_11target_archE910ELNS1_3gpuE8ELNS1_3repE0EEENS1_30default_config_static_selectorELNS0_4arch9wavefront6targetE1EEEvT1_,comdat
.Lfunc_end1917:
	.size	_ZN7rocprim17ROCPRIM_400000_NS6detail17trampoline_kernelINS0_14default_configENS1_29reduce_by_key_config_selectorIflN6thrust23THRUST_200600_302600_NS4plusIlEEEEZZNS1_33reduce_by_key_impl_wrapped_configILNS1_25lookback_scan_determinismE0ES3_S9_PfNS6_17constant_iteratorIiNS6_11use_defaultESE_EENS6_10device_ptrIfEENSG_IlEEPmS8_NS6_8equal_toIfEEEE10hipError_tPvRmT2_T3_mT4_T5_T6_T7_T8_P12ihipStream_tbENKUlT_T0_E_clISt17integral_constantIbLb1EES13_EEDaSY_SZ_EUlSY_E_NS1_11comp_targetILNS1_3genE4ELNS1_11target_archE910ELNS1_3gpuE8ELNS1_3repE0EEENS1_30default_config_static_selectorELNS0_4arch9wavefront6targetE1EEEvT1_, .Lfunc_end1917-_ZN7rocprim17ROCPRIM_400000_NS6detail17trampoline_kernelINS0_14default_configENS1_29reduce_by_key_config_selectorIflN6thrust23THRUST_200600_302600_NS4plusIlEEEEZZNS1_33reduce_by_key_impl_wrapped_configILNS1_25lookback_scan_determinismE0ES3_S9_PfNS6_17constant_iteratorIiNS6_11use_defaultESE_EENS6_10device_ptrIfEENSG_IlEEPmS8_NS6_8equal_toIfEEEE10hipError_tPvRmT2_T3_mT4_T5_T6_T7_T8_P12ihipStream_tbENKUlT_T0_E_clISt17integral_constantIbLb1EES13_EEDaSY_SZ_EUlSY_E_NS1_11comp_targetILNS1_3genE4ELNS1_11target_archE910ELNS1_3gpuE8ELNS1_3repE0EEENS1_30default_config_static_selectorELNS0_4arch9wavefront6targetE1EEEvT1_
                                        ; -- End function
	.section	.AMDGPU.csdata,"",@progbits
; Kernel info:
; codeLenInByte = 17344
; NumSgprs: 68
; NumVgprs: 122
; NumAgprs: 0
; TotalNumVgprs: 122
; ScratchSize: 0
; MemoryBound: 0
; FloatMode: 240
; IeeeMode: 1
; LDSByteSize: 30720 bytes/workgroup (compile time only)
; SGPRBlocks: 8
; VGPRBlocks: 15
; NumSGPRsForWavesPerEU: 68
; NumVGPRsForWavesPerEU: 122
; AccumOffset: 124
; Occupancy: 2
; WaveLimiterHint : 1
; COMPUTE_PGM_RSRC2:SCRATCH_EN: 0
; COMPUTE_PGM_RSRC2:USER_SGPR: 6
; COMPUTE_PGM_RSRC2:TRAP_HANDLER: 0
; COMPUTE_PGM_RSRC2:TGID_X_EN: 1
; COMPUTE_PGM_RSRC2:TGID_Y_EN: 0
; COMPUTE_PGM_RSRC2:TGID_Z_EN: 0
; COMPUTE_PGM_RSRC2:TIDIG_COMP_CNT: 0
; COMPUTE_PGM_RSRC3_GFX90A:ACCUM_OFFSET: 30
; COMPUTE_PGM_RSRC3_GFX90A:TG_SPLIT: 0
	.section	.text._ZN7rocprim17ROCPRIM_400000_NS6detail17trampoline_kernelINS0_14default_configENS1_29reduce_by_key_config_selectorIflN6thrust23THRUST_200600_302600_NS4plusIlEEEEZZNS1_33reduce_by_key_impl_wrapped_configILNS1_25lookback_scan_determinismE0ES3_S9_PfNS6_17constant_iteratorIiNS6_11use_defaultESE_EENS6_10device_ptrIfEENSG_IlEEPmS8_NS6_8equal_toIfEEEE10hipError_tPvRmT2_T3_mT4_T5_T6_T7_T8_P12ihipStream_tbENKUlT_T0_E_clISt17integral_constantIbLb1EES13_EEDaSY_SZ_EUlSY_E_NS1_11comp_targetILNS1_3genE3ELNS1_11target_archE908ELNS1_3gpuE7ELNS1_3repE0EEENS1_30default_config_static_selectorELNS0_4arch9wavefront6targetE1EEEvT1_,"axG",@progbits,_ZN7rocprim17ROCPRIM_400000_NS6detail17trampoline_kernelINS0_14default_configENS1_29reduce_by_key_config_selectorIflN6thrust23THRUST_200600_302600_NS4plusIlEEEEZZNS1_33reduce_by_key_impl_wrapped_configILNS1_25lookback_scan_determinismE0ES3_S9_PfNS6_17constant_iteratorIiNS6_11use_defaultESE_EENS6_10device_ptrIfEENSG_IlEEPmS8_NS6_8equal_toIfEEEE10hipError_tPvRmT2_T3_mT4_T5_T6_T7_T8_P12ihipStream_tbENKUlT_T0_E_clISt17integral_constantIbLb1EES13_EEDaSY_SZ_EUlSY_E_NS1_11comp_targetILNS1_3genE3ELNS1_11target_archE908ELNS1_3gpuE7ELNS1_3repE0EEENS1_30default_config_static_selectorELNS0_4arch9wavefront6targetE1EEEvT1_,comdat
	.protected	_ZN7rocprim17ROCPRIM_400000_NS6detail17trampoline_kernelINS0_14default_configENS1_29reduce_by_key_config_selectorIflN6thrust23THRUST_200600_302600_NS4plusIlEEEEZZNS1_33reduce_by_key_impl_wrapped_configILNS1_25lookback_scan_determinismE0ES3_S9_PfNS6_17constant_iteratorIiNS6_11use_defaultESE_EENS6_10device_ptrIfEENSG_IlEEPmS8_NS6_8equal_toIfEEEE10hipError_tPvRmT2_T3_mT4_T5_T6_T7_T8_P12ihipStream_tbENKUlT_T0_E_clISt17integral_constantIbLb1EES13_EEDaSY_SZ_EUlSY_E_NS1_11comp_targetILNS1_3genE3ELNS1_11target_archE908ELNS1_3gpuE7ELNS1_3repE0EEENS1_30default_config_static_selectorELNS0_4arch9wavefront6targetE1EEEvT1_ ; -- Begin function _ZN7rocprim17ROCPRIM_400000_NS6detail17trampoline_kernelINS0_14default_configENS1_29reduce_by_key_config_selectorIflN6thrust23THRUST_200600_302600_NS4plusIlEEEEZZNS1_33reduce_by_key_impl_wrapped_configILNS1_25lookback_scan_determinismE0ES3_S9_PfNS6_17constant_iteratorIiNS6_11use_defaultESE_EENS6_10device_ptrIfEENSG_IlEEPmS8_NS6_8equal_toIfEEEE10hipError_tPvRmT2_T3_mT4_T5_T6_T7_T8_P12ihipStream_tbENKUlT_T0_E_clISt17integral_constantIbLb1EES13_EEDaSY_SZ_EUlSY_E_NS1_11comp_targetILNS1_3genE3ELNS1_11target_archE908ELNS1_3gpuE7ELNS1_3repE0EEENS1_30default_config_static_selectorELNS0_4arch9wavefront6targetE1EEEvT1_
	.globl	_ZN7rocprim17ROCPRIM_400000_NS6detail17trampoline_kernelINS0_14default_configENS1_29reduce_by_key_config_selectorIflN6thrust23THRUST_200600_302600_NS4plusIlEEEEZZNS1_33reduce_by_key_impl_wrapped_configILNS1_25lookback_scan_determinismE0ES3_S9_PfNS6_17constant_iteratorIiNS6_11use_defaultESE_EENS6_10device_ptrIfEENSG_IlEEPmS8_NS6_8equal_toIfEEEE10hipError_tPvRmT2_T3_mT4_T5_T6_T7_T8_P12ihipStream_tbENKUlT_T0_E_clISt17integral_constantIbLb1EES13_EEDaSY_SZ_EUlSY_E_NS1_11comp_targetILNS1_3genE3ELNS1_11target_archE908ELNS1_3gpuE7ELNS1_3repE0EEENS1_30default_config_static_selectorELNS0_4arch9wavefront6targetE1EEEvT1_
	.p2align	8
	.type	_ZN7rocprim17ROCPRIM_400000_NS6detail17trampoline_kernelINS0_14default_configENS1_29reduce_by_key_config_selectorIflN6thrust23THRUST_200600_302600_NS4plusIlEEEEZZNS1_33reduce_by_key_impl_wrapped_configILNS1_25lookback_scan_determinismE0ES3_S9_PfNS6_17constant_iteratorIiNS6_11use_defaultESE_EENS6_10device_ptrIfEENSG_IlEEPmS8_NS6_8equal_toIfEEEE10hipError_tPvRmT2_T3_mT4_T5_T6_T7_T8_P12ihipStream_tbENKUlT_T0_E_clISt17integral_constantIbLb1EES13_EEDaSY_SZ_EUlSY_E_NS1_11comp_targetILNS1_3genE3ELNS1_11target_archE908ELNS1_3gpuE7ELNS1_3repE0EEENS1_30default_config_static_selectorELNS0_4arch9wavefront6targetE1EEEvT1_,@function
_ZN7rocprim17ROCPRIM_400000_NS6detail17trampoline_kernelINS0_14default_configENS1_29reduce_by_key_config_selectorIflN6thrust23THRUST_200600_302600_NS4plusIlEEEEZZNS1_33reduce_by_key_impl_wrapped_configILNS1_25lookback_scan_determinismE0ES3_S9_PfNS6_17constant_iteratorIiNS6_11use_defaultESE_EENS6_10device_ptrIfEENSG_IlEEPmS8_NS6_8equal_toIfEEEE10hipError_tPvRmT2_T3_mT4_T5_T6_T7_T8_P12ihipStream_tbENKUlT_T0_E_clISt17integral_constantIbLb1EES13_EEDaSY_SZ_EUlSY_E_NS1_11comp_targetILNS1_3genE3ELNS1_11target_archE908ELNS1_3gpuE7ELNS1_3repE0EEENS1_30default_config_static_selectorELNS0_4arch9wavefront6targetE1EEEvT1_: ; @_ZN7rocprim17ROCPRIM_400000_NS6detail17trampoline_kernelINS0_14default_configENS1_29reduce_by_key_config_selectorIflN6thrust23THRUST_200600_302600_NS4plusIlEEEEZZNS1_33reduce_by_key_impl_wrapped_configILNS1_25lookback_scan_determinismE0ES3_S9_PfNS6_17constant_iteratorIiNS6_11use_defaultESE_EENS6_10device_ptrIfEENSG_IlEEPmS8_NS6_8equal_toIfEEEE10hipError_tPvRmT2_T3_mT4_T5_T6_T7_T8_P12ihipStream_tbENKUlT_T0_E_clISt17integral_constantIbLb1EES13_EEDaSY_SZ_EUlSY_E_NS1_11comp_targetILNS1_3genE3ELNS1_11target_archE908ELNS1_3gpuE7ELNS1_3repE0EEENS1_30default_config_static_selectorELNS0_4arch9wavefront6targetE1EEEvT1_
; %bb.0:
	.section	.rodata,"a",@progbits
	.p2align	6, 0x0
	.amdhsa_kernel _ZN7rocprim17ROCPRIM_400000_NS6detail17trampoline_kernelINS0_14default_configENS1_29reduce_by_key_config_selectorIflN6thrust23THRUST_200600_302600_NS4plusIlEEEEZZNS1_33reduce_by_key_impl_wrapped_configILNS1_25lookback_scan_determinismE0ES3_S9_PfNS6_17constant_iteratorIiNS6_11use_defaultESE_EENS6_10device_ptrIfEENSG_IlEEPmS8_NS6_8equal_toIfEEEE10hipError_tPvRmT2_T3_mT4_T5_T6_T7_T8_P12ihipStream_tbENKUlT_T0_E_clISt17integral_constantIbLb1EES13_EEDaSY_SZ_EUlSY_E_NS1_11comp_targetILNS1_3genE3ELNS1_11target_archE908ELNS1_3gpuE7ELNS1_3repE0EEENS1_30default_config_static_selectorELNS0_4arch9wavefront6targetE1EEEvT1_
		.amdhsa_group_segment_fixed_size 0
		.amdhsa_private_segment_fixed_size 0
		.amdhsa_kernarg_size 144
		.amdhsa_user_sgpr_count 6
		.amdhsa_user_sgpr_private_segment_buffer 1
		.amdhsa_user_sgpr_dispatch_ptr 0
		.amdhsa_user_sgpr_queue_ptr 0
		.amdhsa_user_sgpr_kernarg_segment_ptr 1
		.amdhsa_user_sgpr_dispatch_id 0
		.amdhsa_user_sgpr_flat_scratch_init 0
		.amdhsa_user_sgpr_kernarg_preload_length 0
		.amdhsa_user_sgpr_kernarg_preload_offset 0
		.amdhsa_user_sgpr_private_segment_size 0
		.amdhsa_uses_dynamic_stack 0
		.amdhsa_system_sgpr_private_segment_wavefront_offset 0
		.amdhsa_system_sgpr_workgroup_id_x 1
		.amdhsa_system_sgpr_workgroup_id_y 0
		.amdhsa_system_sgpr_workgroup_id_z 0
		.amdhsa_system_sgpr_workgroup_info 0
		.amdhsa_system_vgpr_workitem_id 0
		.amdhsa_next_free_vgpr 1
		.amdhsa_next_free_sgpr 0
		.amdhsa_accum_offset 4
		.amdhsa_reserve_vcc 0
		.amdhsa_reserve_flat_scratch 0
		.amdhsa_float_round_mode_32 0
		.amdhsa_float_round_mode_16_64 0
		.amdhsa_float_denorm_mode_32 3
		.amdhsa_float_denorm_mode_16_64 3
		.amdhsa_dx10_clamp 1
		.amdhsa_ieee_mode 1
		.amdhsa_fp16_overflow 0
		.amdhsa_tg_split 0
		.amdhsa_exception_fp_ieee_invalid_op 0
		.amdhsa_exception_fp_denorm_src 0
		.amdhsa_exception_fp_ieee_div_zero 0
		.amdhsa_exception_fp_ieee_overflow 0
		.amdhsa_exception_fp_ieee_underflow 0
		.amdhsa_exception_fp_ieee_inexact 0
		.amdhsa_exception_int_div_zero 0
	.end_amdhsa_kernel
	.section	.text._ZN7rocprim17ROCPRIM_400000_NS6detail17trampoline_kernelINS0_14default_configENS1_29reduce_by_key_config_selectorIflN6thrust23THRUST_200600_302600_NS4plusIlEEEEZZNS1_33reduce_by_key_impl_wrapped_configILNS1_25lookback_scan_determinismE0ES3_S9_PfNS6_17constant_iteratorIiNS6_11use_defaultESE_EENS6_10device_ptrIfEENSG_IlEEPmS8_NS6_8equal_toIfEEEE10hipError_tPvRmT2_T3_mT4_T5_T6_T7_T8_P12ihipStream_tbENKUlT_T0_E_clISt17integral_constantIbLb1EES13_EEDaSY_SZ_EUlSY_E_NS1_11comp_targetILNS1_3genE3ELNS1_11target_archE908ELNS1_3gpuE7ELNS1_3repE0EEENS1_30default_config_static_selectorELNS0_4arch9wavefront6targetE1EEEvT1_,"axG",@progbits,_ZN7rocprim17ROCPRIM_400000_NS6detail17trampoline_kernelINS0_14default_configENS1_29reduce_by_key_config_selectorIflN6thrust23THRUST_200600_302600_NS4plusIlEEEEZZNS1_33reduce_by_key_impl_wrapped_configILNS1_25lookback_scan_determinismE0ES3_S9_PfNS6_17constant_iteratorIiNS6_11use_defaultESE_EENS6_10device_ptrIfEENSG_IlEEPmS8_NS6_8equal_toIfEEEE10hipError_tPvRmT2_T3_mT4_T5_T6_T7_T8_P12ihipStream_tbENKUlT_T0_E_clISt17integral_constantIbLb1EES13_EEDaSY_SZ_EUlSY_E_NS1_11comp_targetILNS1_3genE3ELNS1_11target_archE908ELNS1_3gpuE7ELNS1_3repE0EEENS1_30default_config_static_selectorELNS0_4arch9wavefront6targetE1EEEvT1_,comdat
.Lfunc_end1918:
	.size	_ZN7rocprim17ROCPRIM_400000_NS6detail17trampoline_kernelINS0_14default_configENS1_29reduce_by_key_config_selectorIflN6thrust23THRUST_200600_302600_NS4plusIlEEEEZZNS1_33reduce_by_key_impl_wrapped_configILNS1_25lookback_scan_determinismE0ES3_S9_PfNS6_17constant_iteratorIiNS6_11use_defaultESE_EENS6_10device_ptrIfEENSG_IlEEPmS8_NS6_8equal_toIfEEEE10hipError_tPvRmT2_T3_mT4_T5_T6_T7_T8_P12ihipStream_tbENKUlT_T0_E_clISt17integral_constantIbLb1EES13_EEDaSY_SZ_EUlSY_E_NS1_11comp_targetILNS1_3genE3ELNS1_11target_archE908ELNS1_3gpuE7ELNS1_3repE0EEENS1_30default_config_static_selectorELNS0_4arch9wavefront6targetE1EEEvT1_, .Lfunc_end1918-_ZN7rocprim17ROCPRIM_400000_NS6detail17trampoline_kernelINS0_14default_configENS1_29reduce_by_key_config_selectorIflN6thrust23THRUST_200600_302600_NS4plusIlEEEEZZNS1_33reduce_by_key_impl_wrapped_configILNS1_25lookback_scan_determinismE0ES3_S9_PfNS6_17constant_iteratorIiNS6_11use_defaultESE_EENS6_10device_ptrIfEENSG_IlEEPmS8_NS6_8equal_toIfEEEE10hipError_tPvRmT2_T3_mT4_T5_T6_T7_T8_P12ihipStream_tbENKUlT_T0_E_clISt17integral_constantIbLb1EES13_EEDaSY_SZ_EUlSY_E_NS1_11comp_targetILNS1_3genE3ELNS1_11target_archE908ELNS1_3gpuE7ELNS1_3repE0EEENS1_30default_config_static_selectorELNS0_4arch9wavefront6targetE1EEEvT1_
                                        ; -- End function
	.section	.AMDGPU.csdata,"",@progbits
; Kernel info:
; codeLenInByte = 0
; NumSgprs: 4
; NumVgprs: 0
; NumAgprs: 0
; TotalNumVgprs: 0
; ScratchSize: 0
; MemoryBound: 0
; FloatMode: 240
; IeeeMode: 1
; LDSByteSize: 0 bytes/workgroup (compile time only)
; SGPRBlocks: 0
; VGPRBlocks: 0
; NumSGPRsForWavesPerEU: 4
; NumVGPRsForWavesPerEU: 1
; AccumOffset: 4
; Occupancy: 8
; WaveLimiterHint : 0
; COMPUTE_PGM_RSRC2:SCRATCH_EN: 0
; COMPUTE_PGM_RSRC2:USER_SGPR: 6
; COMPUTE_PGM_RSRC2:TRAP_HANDLER: 0
; COMPUTE_PGM_RSRC2:TGID_X_EN: 1
; COMPUTE_PGM_RSRC2:TGID_Y_EN: 0
; COMPUTE_PGM_RSRC2:TGID_Z_EN: 0
; COMPUTE_PGM_RSRC2:TIDIG_COMP_CNT: 0
; COMPUTE_PGM_RSRC3_GFX90A:ACCUM_OFFSET: 0
; COMPUTE_PGM_RSRC3_GFX90A:TG_SPLIT: 0
	.section	.text._ZN7rocprim17ROCPRIM_400000_NS6detail17trampoline_kernelINS0_14default_configENS1_29reduce_by_key_config_selectorIflN6thrust23THRUST_200600_302600_NS4plusIlEEEEZZNS1_33reduce_by_key_impl_wrapped_configILNS1_25lookback_scan_determinismE0ES3_S9_PfNS6_17constant_iteratorIiNS6_11use_defaultESE_EENS6_10device_ptrIfEENSG_IlEEPmS8_NS6_8equal_toIfEEEE10hipError_tPvRmT2_T3_mT4_T5_T6_T7_T8_P12ihipStream_tbENKUlT_T0_E_clISt17integral_constantIbLb1EES13_EEDaSY_SZ_EUlSY_E_NS1_11comp_targetILNS1_3genE2ELNS1_11target_archE906ELNS1_3gpuE6ELNS1_3repE0EEENS1_30default_config_static_selectorELNS0_4arch9wavefront6targetE1EEEvT1_,"axG",@progbits,_ZN7rocprim17ROCPRIM_400000_NS6detail17trampoline_kernelINS0_14default_configENS1_29reduce_by_key_config_selectorIflN6thrust23THRUST_200600_302600_NS4plusIlEEEEZZNS1_33reduce_by_key_impl_wrapped_configILNS1_25lookback_scan_determinismE0ES3_S9_PfNS6_17constant_iteratorIiNS6_11use_defaultESE_EENS6_10device_ptrIfEENSG_IlEEPmS8_NS6_8equal_toIfEEEE10hipError_tPvRmT2_T3_mT4_T5_T6_T7_T8_P12ihipStream_tbENKUlT_T0_E_clISt17integral_constantIbLb1EES13_EEDaSY_SZ_EUlSY_E_NS1_11comp_targetILNS1_3genE2ELNS1_11target_archE906ELNS1_3gpuE6ELNS1_3repE0EEENS1_30default_config_static_selectorELNS0_4arch9wavefront6targetE1EEEvT1_,comdat
	.protected	_ZN7rocprim17ROCPRIM_400000_NS6detail17trampoline_kernelINS0_14default_configENS1_29reduce_by_key_config_selectorIflN6thrust23THRUST_200600_302600_NS4plusIlEEEEZZNS1_33reduce_by_key_impl_wrapped_configILNS1_25lookback_scan_determinismE0ES3_S9_PfNS6_17constant_iteratorIiNS6_11use_defaultESE_EENS6_10device_ptrIfEENSG_IlEEPmS8_NS6_8equal_toIfEEEE10hipError_tPvRmT2_T3_mT4_T5_T6_T7_T8_P12ihipStream_tbENKUlT_T0_E_clISt17integral_constantIbLb1EES13_EEDaSY_SZ_EUlSY_E_NS1_11comp_targetILNS1_3genE2ELNS1_11target_archE906ELNS1_3gpuE6ELNS1_3repE0EEENS1_30default_config_static_selectorELNS0_4arch9wavefront6targetE1EEEvT1_ ; -- Begin function _ZN7rocprim17ROCPRIM_400000_NS6detail17trampoline_kernelINS0_14default_configENS1_29reduce_by_key_config_selectorIflN6thrust23THRUST_200600_302600_NS4plusIlEEEEZZNS1_33reduce_by_key_impl_wrapped_configILNS1_25lookback_scan_determinismE0ES3_S9_PfNS6_17constant_iteratorIiNS6_11use_defaultESE_EENS6_10device_ptrIfEENSG_IlEEPmS8_NS6_8equal_toIfEEEE10hipError_tPvRmT2_T3_mT4_T5_T6_T7_T8_P12ihipStream_tbENKUlT_T0_E_clISt17integral_constantIbLb1EES13_EEDaSY_SZ_EUlSY_E_NS1_11comp_targetILNS1_3genE2ELNS1_11target_archE906ELNS1_3gpuE6ELNS1_3repE0EEENS1_30default_config_static_selectorELNS0_4arch9wavefront6targetE1EEEvT1_
	.globl	_ZN7rocprim17ROCPRIM_400000_NS6detail17trampoline_kernelINS0_14default_configENS1_29reduce_by_key_config_selectorIflN6thrust23THRUST_200600_302600_NS4plusIlEEEEZZNS1_33reduce_by_key_impl_wrapped_configILNS1_25lookback_scan_determinismE0ES3_S9_PfNS6_17constant_iteratorIiNS6_11use_defaultESE_EENS6_10device_ptrIfEENSG_IlEEPmS8_NS6_8equal_toIfEEEE10hipError_tPvRmT2_T3_mT4_T5_T6_T7_T8_P12ihipStream_tbENKUlT_T0_E_clISt17integral_constantIbLb1EES13_EEDaSY_SZ_EUlSY_E_NS1_11comp_targetILNS1_3genE2ELNS1_11target_archE906ELNS1_3gpuE6ELNS1_3repE0EEENS1_30default_config_static_selectorELNS0_4arch9wavefront6targetE1EEEvT1_
	.p2align	8
	.type	_ZN7rocprim17ROCPRIM_400000_NS6detail17trampoline_kernelINS0_14default_configENS1_29reduce_by_key_config_selectorIflN6thrust23THRUST_200600_302600_NS4plusIlEEEEZZNS1_33reduce_by_key_impl_wrapped_configILNS1_25lookback_scan_determinismE0ES3_S9_PfNS6_17constant_iteratorIiNS6_11use_defaultESE_EENS6_10device_ptrIfEENSG_IlEEPmS8_NS6_8equal_toIfEEEE10hipError_tPvRmT2_T3_mT4_T5_T6_T7_T8_P12ihipStream_tbENKUlT_T0_E_clISt17integral_constantIbLb1EES13_EEDaSY_SZ_EUlSY_E_NS1_11comp_targetILNS1_3genE2ELNS1_11target_archE906ELNS1_3gpuE6ELNS1_3repE0EEENS1_30default_config_static_selectorELNS0_4arch9wavefront6targetE1EEEvT1_,@function
_ZN7rocprim17ROCPRIM_400000_NS6detail17trampoline_kernelINS0_14default_configENS1_29reduce_by_key_config_selectorIflN6thrust23THRUST_200600_302600_NS4plusIlEEEEZZNS1_33reduce_by_key_impl_wrapped_configILNS1_25lookback_scan_determinismE0ES3_S9_PfNS6_17constant_iteratorIiNS6_11use_defaultESE_EENS6_10device_ptrIfEENSG_IlEEPmS8_NS6_8equal_toIfEEEE10hipError_tPvRmT2_T3_mT4_T5_T6_T7_T8_P12ihipStream_tbENKUlT_T0_E_clISt17integral_constantIbLb1EES13_EEDaSY_SZ_EUlSY_E_NS1_11comp_targetILNS1_3genE2ELNS1_11target_archE906ELNS1_3gpuE6ELNS1_3repE0EEENS1_30default_config_static_selectorELNS0_4arch9wavefront6targetE1EEEvT1_: ; @_ZN7rocprim17ROCPRIM_400000_NS6detail17trampoline_kernelINS0_14default_configENS1_29reduce_by_key_config_selectorIflN6thrust23THRUST_200600_302600_NS4plusIlEEEEZZNS1_33reduce_by_key_impl_wrapped_configILNS1_25lookback_scan_determinismE0ES3_S9_PfNS6_17constant_iteratorIiNS6_11use_defaultESE_EENS6_10device_ptrIfEENSG_IlEEPmS8_NS6_8equal_toIfEEEE10hipError_tPvRmT2_T3_mT4_T5_T6_T7_T8_P12ihipStream_tbENKUlT_T0_E_clISt17integral_constantIbLb1EES13_EEDaSY_SZ_EUlSY_E_NS1_11comp_targetILNS1_3genE2ELNS1_11target_archE906ELNS1_3gpuE6ELNS1_3repE0EEENS1_30default_config_static_selectorELNS0_4arch9wavefront6targetE1EEEvT1_
; %bb.0:
	.section	.rodata,"a",@progbits
	.p2align	6, 0x0
	.amdhsa_kernel _ZN7rocprim17ROCPRIM_400000_NS6detail17trampoline_kernelINS0_14default_configENS1_29reduce_by_key_config_selectorIflN6thrust23THRUST_200600_302600_NS4plusIlEEEEZZNS1_33reduce_by_key_impl_wrapped_configILNS1_25lookback_scan_determinismE0ES3_S9_PfNS6_17constant_iteratorIiNS6_11use_defaultESE_EENS6_10device_ptrIfEENSG_IlEEPmS8_NS6_8equal_toIfEEEE10hipError_tPvRmT2_T3_mT4_T5_T6_T7_T8_P12ihipStream_tbENKUlT_T0_E_clISt17integral_constantIbLb1EES13_EEDaSY_SZ_EUlSY_E_NS1_11comp_targetILNS1_3genE2ELNS1_11target_archE906ELNS1_3gpuE6ELNS1_3repE0EEENS1_30default_config_static_selectorELNS0_4arch9wavefront6targetE1EEEvT1_
		.amdhsa_group_segment_fixed_size 0
		.amdhsa_private_segment_fixed_size 0
		.amdhsa_kernarg_size 144
		.amdhsa_user_sgpr_count 6
		.amdhsa_user_sgpr_private_segment_buffer 1
		.amdhsa_user_sgpr_dispatch_ptr 0
		.amdhsa_user_sgpr_queue_ptr 0
		.amdhsa_user_sgpr_kernarg_segment_ptr 1
		.amdhsa_user_sgpr_dispatch_id 0
		.amdhsa_user_sgpr_flat_scratch_init 0
		.amdhsa_user_sgpr_kernarg_preload_length 0
		.amdhsa_user_sgpr_kernarg_preload_offset 0
		.amdhsa_user_sgpr_private_segment_size 0
		.amdhsa_uses_dynamic_stack 0
		.amdhsa_system_sgpr_private_segment_wavefront_offset 0
		.amdhsa_system_sgpr_workgroup_id_x 1
		.amdhsa_system_sgpr_workgroup_id_y 0
		.amdhsa_system_sgpr_workgroup_id_z 0
		.amdhsa_system_sgpr_workgroup_info 0
		.amdhsa_system_vgpr_workitem_id 0
		.amdhsa_next_free_vgpr 1
		.amdhsa_next_free_sgpr 0
		.amdhsa_accum_offset 4
		.amdhsa_reserve_vcc 0
		.amdhsa_reserve_flat_scratch 0
		.amdhsa_float_round_mode_32 0
		.amdhsa_float_round_mode_16_64 0
		.amdhsa_float_denorm_mode_32 3
		.amdhsa_float_denorm_mode_16_64 3
		.amdhsa_dx10_clamp 1
		.amdhsa_ieee_mode 1
		.amdhsa_fp16_overflow 0
		.amdhsa_tg_split 0
		.amdhsa_exception_fp_ieee_invalid_op 0
		.amdhsa_exception_fp_denorm_src 0
		.amdhsa_exception_fp_ieee_div_zero 0
		.amdhsa_exception_fp_ieee_overflow 0
		.amdhsa_exception_fp_ieee_underflow 0
		.amdhsa_exception_fp_ieee_inexact 0
		.amdhsa_exception_int_div_zero 0
	.end_amdhsa_kernel
	.section	.text._ZN7rocprim17ROCPRIM_400000_NS6detail17trampoline_kernelINS0_14default_configENS1_29reduce_by_key_config_selectorIflN6thrust23THRUST_200600_302600_NS4plusIlEEEEZZNS1_33reduce_by_key_impl_wrapped_configILNS1_25lookback_scan_determinismE0ES3_S9_PfNS6_17constant_iteratorIiNS6_11use_defaultESE_EENS6_10device_ptrIfEENSG_IlEEPmS8_NS6_8equal_toIfEEEE10hipError_tPvRmT2_T3_mT4_T5_T6_T7_T8_P12ihipStream_tbENKUlT_T0_E_clISt17integral_constantIbLb1EES13_EEDaSY_SZ_EUlSY_E_NS1_11comp_targetILNS1_3genE2ELNS1_11target_archE906ELNS1_3gpuE6ELNS1_3repE0EEENS1_30default_config_static_selectorELNS0_4arch9wavefront6targetE1EEEvT1_,"axG",@progbits,_ZN7rocprim17ROCPRIM_400000_NS6detail17trampoline_kernelINS0_14default_configENS1_29reduce_by_key_config_selectorIflN6thrust23THRUST_200600_302600_NS4plusIlEEEEZZNS1_33reduce_by_key_impl_wrapped_configILNS1_25lookback_scan_determinismE0ES3_S9_PfNS6_17constant_iteratorIiNS6_11use_defaultESE_EENS6_10device_ptrIfEENSG_IlEEPmS8_NS6_8equal_toIfEEEE10hipError_tPvRmT2_T3_mT4_T5_T6_T7_T8_P12ihipStream_tbENKUlT_T0_E_clISt17integral_constantIbLb1EES13_EEDaSY_SZ_EUlSY_E_NS1_11comp_targetILNS1_3genE2ELNS1_11target_archE906ELNS1_3gpuE6ELNS1_3repE0EEENS1_30default_config_static_selectorELNS0_4arch9wavefront6targetE1EEEvT1_,comdat
.Lfunc_end1919:
	.size	_ZN7rocprim17ROCPRIM_400000_NS6detail17trampoline_kernelINS0_14default_configENS1_29reduce_by_key_config_selectorIflN6thrust23THRUST_200600_302600_NS4plusIlEEEEZZNS1_33reduce_by_key_impl_wrapped_configILNS1_25lookback_scan_determinismE0ES3_S9_PfNS6_17constant_iteratorIiNS6_11use_defaultESE_EENS6_10device_ptrIfEENSG_IlEEPmS8_NS6_8equal_toIfEEEE10hipError_tPvRmT2_T3_mT4_T5_T6_T7_T8_P12ihipStream_tbENKUlT_T0_E_clISt17integral_constantIbLb1EES13_EEDaSY_SZ_EUlSY_E_NS1_11comp_targetILNS1_3genE2ELNS1_11target_archE906ELNS1_3gpuE6ELNS1_3repE0EEENS1_30default_config_static_selectorELNS0_4arch9wavefront6targetE1EEEvT1_, .Lfunc_end1919-_ZN7rocprim17ROCPRIM_400000_NS6detail17trampoline_kernelINS0_14default_configENS1_29reduce_by_key_config_selectorIflN6thrust23THRUST_200600_302600_NS4plusIlEEEEZZNS1_33reduce_by_key_impl_wrapped_configILNS1_25lookback_scan_determinismE0ES3_S9_PfNS6_17constant_iteratorIiNS6_11use_defaultESE_EENS6_10device_ptrIfEENSG_IlEEPmS8_NS6_8equal_toIfEEEE10hipError_tPvRmT2_T3_mT4_T5_T6_T7_T8_P12ihipStream_tbENKUlT_T0_E_clISt17integral_constantIbLb1EES13_EEDaSY_SZ_EUlSY_E_NS1_11comp_targetILNS1_3genE2ELNS1_11target_archE906ELNS1_3gpuE6ELNS1_3repE0EEENS1_30default_config_static_selectorELNS0_4arch9wavefront6targetE1EEEvT1_
                                        ; -- End function
	.section	.AMDGPU.csdata,"",@progbits
; Kernel info:
; codeLenInByte = 0
; NumSgprs: 4
; NumVgprs: 0
; NumAgprs: 0
; TotalNumVgprs: 0
; ScratchSize: 0
; MemoryBound: 0
; FloatMode: 240
; IeeeMode: 1
; LDSByteSize: 0 bytes/workgroup (compile time only)
; SGPRBlocks: 0
; VGPRBlocks: 0
; NumSGPRsForWavesPerEU: 4
; NumVGPRsForWavesPerEU: 1
; AccumOffset: 4
; Occupancy: 8
; WaveLimiterHint : 0
; COMPUTE_PGM_RSRC2:SCRATCH_EN: 0
; COMPUTE_PGM_RSRC2:USER_SGPR: 6
; COMPUTE_PGM_RSRC2:TRAP_HANDLER: 0
; COMPUTE_PGM_RSRC2:TGID_X_EN: 1
; COMPUTE_PGM_RSRC2:TGID_Y_EN: 0
; COMPUTE_PGM_RSRC2:TGID_Z_EN: 0
; COMPUTE_PGM_RSRC2:TIDIG_COMP_CNT: 0
; COMPUTE_PGM_RSRC3_GFX90A:ACCUM_OFFSET: 0
; COMPUTE_PGM_RSRC3_GFX90A:TG_SPLIT: 0
	.section	.text._ZN7rocprim17ROCPRIM_400000_NS6detail17trampoline_kernelINS0_14default_configENS1_29reduce_by_key_config_selectorIflN6thrust23THRUST_200600_302600_NS4plusIlEEEEZZNS1_33reduce_by_key_impl_wrapped_configILNS1_25lookback_scan_determinismE0ES3_S9_PfNS6_17constant_iteratorIiNS6_11use_defaultESE_EENS6_10device_ptrIfEENSG_IlEEPmS8_NS6_8equal_toIfEEEE10hipError_tPvRmT2_T3_mT4_T5_T6_T7_T8_P12ihipStream_tbENKUlT_T0_E_clISt17integral_constantIbLb1EES13_EEDaSY_SZ_EUlSY_E_NS1_11comp_targetILNS1_3genE10ELNS1_11target_archE1201ELNS1_3gpuE5ELNS1_3repE0EEENS1_30default_config_static_selectorELNS0_4arch9wavefront6targetE1EEEvT1_,"axG",@progbits,_ZN7rocprim17ROCPRIM_400000_NS6detail17trampoline_kernelINS0_14default_configENS1_29reduce_by_key_config_selectorIflN6thrust23THRUST_200600_302600_NS4plusIlEEEEZZNS1_33reduce_by_key_impl_wrapped_configILNS1_25lookback_scan_determinismE0ES3_S9_PfNS6_17constant_iteratorIiNS6_11use_defaultESE_EENS6_10device_ptrIfEENSG_IlEEPmS8_NS6_8equal_toIfEEEE10hipError_tPvRmT2_T3_mT4_T5_T6_T7_T8_P12ihipStream_tbENKUlT_T0_E_clISt17integral_constantIbLb1EES13_EEDaSY_SZ_EUlSY_E_NS1_11comp_targetILNS1_3genE10ELNS1_11target_archE1201ELNS1_3gpuE5ELNS1_3repE0EEENS1_30default_config_static_selectorELNS0_4arch9wavefront6targetE1EEEvT1_,comdat
	.protected	_ZN7rocprim17ROCPRIM_400000_NS6detail17trampoline_kernelINS0_14default_configENS1_29reduce_by_key_config_selectorIflN6thrust23THRUST_200600_302600_NS4plusIlEEEEZZNS1_33reduce_by_key_impl_wrapped_configILNS1_25lookback_scan_determinismE0ES3_S9_PfNS6_17constant_iteratorIiNS6_11use_defaultESE_EENS6_10device_ptrIfEENSG_IlEEPmS8_NS6_8equal_toIfEEEE10hipError_tPvRmT2_T3_mT4_T5_T6_T7_T8_P12ihipStream_tbENKUlT_T0_E_clISt17integral_constantIbLb1EES13_EEDaSY_SZ_EUlSY_E_NS1_11comp_targetILNS1_3genE10ELNS1_11target_archE1201ELNS1_3gpuE5ELNS1_3repE0EEENS1_30default_config_static_selectorELNS0_4arch9wavefront6targetE1EEEvT1_ ; -- Begin function _ZN7rocprim17ROCPRIM_400000_NS6detail17trampoline_kernelINS0_14default_configENS1_29reduce_by_key_config_selectorIflN6thrust23THRUST_200600_302600_NS4plusIlEEEEZZNS1_33reduce_by_key_impl_wrapped_configILNS1_25lookback_scan_determinismE0ES3_S9_PfNS6_17constant_iteratorIiNS6_11use_defaultESE_EENS6_10device_ptrIfEENSG_IlEEPmS8_NS6_8equal_toIfEEEE10hipError_tPvRmT2_T3_mT4_T5_T6_T7_T8_P12ihipStream_tbENKUlT_T0_E_clISt17integral_constantIbLb1EES13_EEDaSY_SZ_EUlSY_E_NS1_11comp_targetILNS1_3genE10ELNS1_11target_archE1201ELNS1_3gpuE5ELNS1_3repE0EEENS1_30default_config_static_selectorELNS0_4arch9wavefront6targetE1EEEvT1_
	.globl	_ZN7rocprim17ROCPRIM_400000_NS6detail17trampoline_kernelINS0_14default_configENS1_29reduce_by_key_config_selectorIflN6thrust23THRUST_200600_302600_NS4plusIlEEEEZZNS1_33reduce_by_key_impl_wrapped_configILNS1_25lookback_scan_determinismE0ES3_S9_PfNS6_17constant_iteratorIiNS6_11use_defaultESE_EENS6_10device_ptrIfEENSG_IlEEPmS8_NS6_8equal_toIfEEEE10hipError_tPvRmT2_T3_mT4_T5_T6_T7_T8_P12ihipStream_tbENKUlT_T0_E_clISt17integral_constantIbLb1EES13_EEDaSY_SZ_EUlSY_E_NS1_11comp_targetILNS1_3genE10ELNS1_11target_archE1201ELNS1_3gpuE5ELNS1_3repE0EEENS1_30default_config_static_selectorELNS0_4arch9wavefront6targetE1EEEvT1_
	.p2align	8
	.type	_ZN7rocprim17ROCPRIM_400000_NS6detail17trampoline_kernelINS0_14default_configENS1_29reduce_by_key_config_selectorIflN6thrust23THRUST_200600_302600_NS4plusIlEEEEZZNS1_33reduce_by_key_impl_wrapped_configILNS1_25lookback_scan_determinismE0ES3_S9_PfNS6_17constant_iteratorIiNS6_11use_defaultESE_EENS6_10device_ptrIfEENSG_IlEEPmS8_NS6_8equal_toIfEEEE10hipError_tPvRmT2_T3_mT4_T5_T6_T7_T8_P12ihipStream_tbENKUlT_T0_E_clISt17integral_constantIbLb1EES13_EEDaSY_SZ_EUlSY_E_NS1_11comp_targetILNS1_3genE10ELNS1_11target_archE1201ELNS1_3gpuE5ELNS1_3repE0EEENS1_30default_config_static_selectorELNS0_4arch9wavefront6targetE1EEEvT1_,@function
_ZN7rocprim17ROCPRIM_400000_NS6detail17trampoline_kernelINS0_14default_configENS1_29reduce_by_key_config_selectorIflN6thrust23THRUST_200600_302600_NS4plusIlEEEEZZNS1_33reduce_by_key_impl_wrapped_configILNS1_25lookback_scan_determinismE0ES3_S9_PfNS6_17constant_iteratorIiNS6_11use_defaultESE_EENS6_10device_ptrIfEENSG_IlEEPmS8_NS6_8equal_toIfEEEE10hipError_tPvRmT2_T3_mT4_T5_T6_T7_T8_P12ihipStream_tbENKUlT_T0_E_clISt17integral_constantIbLb1EES13_EEDaSY_SZ_EUlSY_E_NS1_11comp_targetILNS1_3genE10ELNS1_11target_archE1201ELNS1_3gpuE5ELNS1_3repE0EEENS1_30default_config_static_selectorELNS0_4arch9wavefront6targetE1EEEvT1_: ; @_ZN7rocprim17ROCPRIM_400000_NS6detail17trampoline_kernelINS0_14default_configENS1_29reduce_by_key_config_selectorIflN6thrust23THRUST_200600_302600_NS4plusIlEEEEZZNS1_33reduce_by_key_impl_wrapped_configILNS1_25lookback_scan_determinismE0ES3_S9_PfNS6_17constant_iteratorIiNS6_11use_defaultESE_EENS6_10device_ptrIfEENSG_IlEEPmS8_NS6_8equal_toIfEEEE10hipError_tPvRmT2_T3_mT4_T5_T6_T7_T8_P12ihipStream_tbENKUlT_T0_E_clISt17integral_constantIbLb1EES13_EEDaSY_SZ_EUlSY_E_NS1_11comp_targetILNS1_3genE10ELNS1_11target_archE1201ELNS1_3gpuE5ELNS1_3repE0EEENS1_30default_config_static_selectorELNS0_4arch9wavefront6targetE1EEEvT1_
; %bb.0:
	.section	.rodata,"a",@progbits
	.p2align	6, 0x0
	.amdhsa_kernel _ZN7rocprim17ROCPRIM_400000_NS6detail17trampoline_kernelINS0_14default_configENS1_29reduce_by_key_config_selectorIflN6thrust23THRUST_200600_302600_NS4plusIlEEEEZZNS1_33reduce_by_key_impl_wrapped_configILNS1_25lookback_scan_determinismE0ES3_S9_PfNS6_17constant_iteratorIiNS6_11use_defaultESE_EENS6_10device_ptrIfEENSG_IlEEPmS8_NS6_8equal_toIfEEEE10hipError_tPvRmT2_T3_mT4_T5_T6_T7_T8_P12ihipStream_tbENKUlT_T0_E_clISt17integral_constantIbLb1EES13_EEDaSY_SZ_EUlSY_E_NS1_11comp_targetILNS1_3genE10ELNS1_11target_archE1201ELNS1_3gpuE5ELNS1_3repE0EEENS1_30default_config_static_selectorELNS0_4arch9wavefront6targetE1EEEvT1_
		.amdhsa_group_segment_fixed_size 0
		.amdhsa_private_segment_fixed_size 0
		.amdhsa_kernarg_size 144
		.amdhsa_user_sgpr_count 6
		.amdhsa_user_sgpr_private_segment_buffer 1
		.amdhsa_user_sgpr_dispatch_ptr 0
		.amdhsa_user_sgpr_queue_ptr 0
		.amdhsa_user_sgpr_kernarg_segment_ptr 1
		.amdhsa_user_sgpr_dispatch_id 0
		.amdhsa_user_sgpr_flat_scratch_init 0
		.amdhsa_user_sgpr_kernarg_preload_length 0
		.amdhsa_user_sgpr_kernarg_preload_offset 0
		.amdhsa_user_sgpr_private_segment_size 0
		.amdhsa_uses_dynamic_stack 0
		.amdhsa_system_sgpr_private_segment_wavefront_offset 0
		.amdhsa_system_sgpr_workgroup_id_x 1
		.amdhsa_system_sgpr_workgroup_id_y 0
		.amdhsa_system_sgpr_workgroup_id_z 0
		.amdhsa_system_sgpr_workgroup_info 0
		.amdhsa_system_vgpr_workitem_id 0
		.amdhsa_next_free_vgpr 1
		.amdhsa_next_free_sgpr 0
		.amdhsa_accum_offset 4
		.amdhsa_reserve_vcc 0
		.amdhsa_reserve_flat_scratch 0
		.amdhsa_float_round_mode_32 0
		.amdhsa_float_round_mode_16_64 0
		.amdhsa_float_denorm_mode_32 3
		.amdhsa_float_denorm_mode_16_64 3
		.amdhsa_dx10_clamp 1
		.amdhsa_ieee_mode 1
		.amdhsa_fp16_overflow 0
		.amdhsa_tg_split 0
		.amdhsa_exception_fp_ieee_invalid_op 0
		.amdhsa_exception_fp_denorm_src 0
		.amdhsa_exception_fp_ieee_div_zero 0
		.amdhsa_exception_fp_ieee_overflow 0
		.amdhsa_exception_fp_ieee_underflow 0
		.amdhsa_exception_fp_ieee_inexact 0
		.amdhsa_exception_int_div_zero 0
	.end_amdhsa_kernel
	.section	.text._ZN7rocprim17ROCPRIM_400000_NS6detail17trampoline_kernelINS0_14default_configENS1_29reduce_by_key_config_selectorIflN6thrust23THRUST_200600_302600_NS4plusIlEEEEZZNS1_33reduce_by_key_impl_wrapped_configILNS1_25lookback_scan_determinismE0ES3_S9_PfNS6_17constant_iteratorIiNS6_11use_defaultESE_EENS6_10device_ptrIfEENSG_IlEEPmS8_NS6_8equal_toIfEEEE10hipError_tPvRmT2_T3_mT4_T5_T6_T7_T8_P12ihipStream_tbENKUlT_T0_E_clISt17integral_constantIbLb1EES13_EEDaSY_SZ_EUlSY_E_NS1_11comp_targetILNS1_3genE10ELNS1_11target_archE1201ELNS1_3gpuE5ELNS1_3repE0EEENS1_30default_config_static_selectorELNS0_4arch9wavefront6targetE1EEEvT1_,"axG",@progbits,_ZN7rocprim17ROCPRIM_400000_NS6detail17trampoline_kernelINS0_14default_configENS1_29reduce_by_key_config_selectorIflN6thrust23THRUST_200600_302600_NS4plusIlEEEEZZNS1_33reduce_by_key_impl_wrapped_configILNS1_25lookback_scan_determinismE0ES3_S9_PfNS6_17constant_iteratorIiNS6_11use_defaultESE_EENS6_10device_ptrIfEENSG_IlEEPmS8_NS6_8equal_toIfEEEE10hipError_tPvRmT2_T3_mT4_T5_T6_T7_T8_P12ihipStream_tbENKUlT_T0_E_clISt17integral_constantIbLb1EES13_EEDaSY_SZ_EUlSY_E_NS1_11comp_targetILNS1_3genE10ELNS1_11target_archE1201ELNS1_3gpuE5ELNS1_3repE0EEENS1_30default_config_static_selectorELNS0_4arch9wavefront6targetE1EEEvT1_,comdat
.Lfunc_end1920:
	.size	_ZN7rocprim17ROCPRIM_400000_NS6detail17trampoline_kernelINS0_14default_configENS1_29reduce_by_key_config_selectorIflN6thrust23THRUST_200600_302600_NS4plusIlEEEEZZNS1_33reduce_by_key_impl_wrapped_configILNS1_25lookback_scan_determinismE0ES3_S9_PfNS6_17constant_iteratorIiNS6_11use_defaultESE_EENS6_10device_ptrIfEENSG_IlEEPmS8_NS6_8equal_toIfEEEE10hipError_tPvRmT2_T3_mT4_T5_T6_T7_T8_P12ihipStream_tbENKUlT_T0_E_clISt17integral_constantIbLb1EES13_EEDaSY_SZ_EUlSY_E_NS1_11comp_targetILNS1_3genE10ELNS1_11target_archE1201ELNS1_3gpuE5ELNS1_3repE0EEENS1_30default_config_static_selectorELNS0_4arch9wavefront6targetE1EEEvT1_, .Lfunc_end1920-_ZN7rocprim17ROCPRIM_400000_NS6detail17trampoline_kernelINS0_14default_configENS1_29reduce_by_key_config_selectorIflN6thrust23THRUST_200600_302600_NS4plusIlEEEEZZNS1_33reduce_by_key_impl_wrapped_configILNS1_25lookback_scan_determinismE0ES3_S9_PfNS6_17constant_iteratorIiNS6_11use_defaultESE_EENS6_10device_ptrIfEENSG_IlEEPmS8_NS6_8equal_toIfEEEE10hipError_tPvRmT2_T3_mT4_T5_T6_T7_T8_P12ihipStream_tbENKUlT_T0_E_clISt17integral_constantIbLb1EES13_EEDaSY_SZ_EUlSY_E_NS1_11comp_targetILNS1_3genE10ELNS1_11target_archE1201ELNS1_3gpuE5ELNS1_3repE0EEENS1_30default_config_static_selectorELNS0_4arch9wavefront6targetE1EEEvT1_
                                        ; -- End function
	.section	.AMDGPU.csdata,"",@progbits
; Kernel info:
; codeLenInByte = 0
; NumSgprs: 4
; NumVgprs: 0
; NumAgprs: 0
; TotalNumVgprs: 0
; ScratchSize: 0
; MemoryBound: 0
; FloatMode: 240
; IeeeMode: 1
; LDSByteSize: 0 bytes/workgroup (compile time only)
; SGPRBlocks: 0
; VGPRBlocks: 0
; NumSGPRsForWavesPerEU: 4
; NumVGPRsForWavesPerEU: 1
; AccumOffset: 4
; Occupancy: 8
; WaveLimiterHint : 0
; COMPUTE_PGM_RSRC2:SCRATCH_EN: 0
; COMPUTE_PGM_RSRC2:USER_SGPR: 6
; COMPUTE_PGM_RSRC2:TRAP_HANDLER: 0
; COMPUTE_PGM_RSRC2:TGID_X_EN: 1
; COMPUTE_PGM_RSRC2:TGID_Y_EN: 0
; COMPUTE_PGM_RSRC2:TGID_Z_EN: 0
; COMPUTE_PGM_RSRC2:TIDIG_COMP_CNT: 0
; COMPUTE_PGM_RSRC3_GFX90A:ACCUM_OFFSET: 0
; COMPUTE_PGM_RSRC3_GFX90A:TG_SPLIT: 0
	.section	.text._ZN7rocprim17ROCPRIM_400000_NS6detail17trampoline_kernelINS0_14default_configENS1_29reduce_by_key_config_selectorIflN6thrust23THRUST_200600_302600_NS4plusIlEEEEZZNS1_33reduce_by_key_impl_wrapped_configILNS1_25lookback_scan_determinismE0ES3_S9_PfNS6_17constant_iteratorIiNS6_11use_defaultESE_EENS6_10device_ptrIfEENSG_IlEEPmS8_NS6_8equal_toIfEEEE10hipError_tPvRmT2_T3_mT4_T5_T6_T7_T8_P12ihipStream_tbENKUlT_T0_E_clISt17integral_constantIbLb1EES13_EEDaSY_SZ_EUlSY_E_NS1_11comp_targetILNS1_3genE10ELNS1_11target_archE1200ELNS1_3gpuE4ELNS1_3repE0EEENS1_30default_config_static_selectorELNS0_4arch9wavefront6targetE1EEEvT1_,"axG",@progbits,_ZN7rocprim17ROCPRIM_400000_NS6detail17trampoline_kernelINS0_14default_configENS1_29reduce_by_key_config_selectorIflN6thrust23THRUST_200600_302600_NS4plusIlEEEEZZNS1_33reduce_by_key_impl_wrapped_configILNS1_25lookback_scan_determinismE0ES3_S9_PfNS6_17constant_iteratorIiNS6_11use_defaultESE_EENS6_10device_ptrIfEENSG_IlEEPmS8_NS6_8equal_toIfEEEE10hipError_tPvRmT2_T3_mT4_T5_T6_T7_T8_P12ihipStream_tbENKUlT_T0_E_clISt17integral_constantIbLb1EES13_EEDaSY_SZ_EUlSY_E_NS1_11comp_targetILNS1_3genE10ELNS1_11target_archE1200ELNS1_3gpuE4ELNS1_3repE0EEENS1_30default_config_static_selectorELNS0_4arch9wavefront6targetE1EEEvT1_,comdat
	.protected	_ZN7rocprim17ROCPRIM_400000_NS6detail17trampoline_kernelINS0_14default_configENS1_29reduce_by_key_config_selectorIflN6thrust23THRUST_200600_302600_NS4plusIlEEEEZZNS1_33reduce_by_key_impl_wrapped_configILNS1_25lookback_scan_determinismE0ES3_S9_PfNS6_17constant_iteratorIiNS6_11use_defaultESE_EENS6_10device_ptrIfEENSG_IlEEPmS8_NS6_8equal_toIfEEEE10hipError_tPvRmT2_T3_mT4_T5_T6_T7_T8_P12ihipStream_tbENKUlT_T0_E_clISt17integral_constantIbLb1EES13_EEDaSY_SZ_EUlSY_E_NS1_11comp_targetILNS1_3genE10ELNS1_11target_archE1200ELNS1_3gpuE4ELNS1_3repE0EEENS1_30default_config_static_selectorELNS0_4arch9wavefront6targetE1EEEvT1_ ; -- Begin function _ZN7rocprim17ROCPRIM_400000_NS6detail17trampoline_kernelINS0_14default_configENS1_29reduce_by_key_config_selectorIflN6thrust23THRUST_200600_302600_NS4plusIlEEEEZZNS1_33reduce_by_key_impl_wrapped_configILNS1_25lookback_scan_determinismE0ES3_S9_PfNS6_17constant_iteratorIiNS6_11use_defaultESE_EENS6_10device_ptrIfEENSG_IlEEPmS8_NS6_8equal_toIfEEEE10hipError_tPvRmT2_T3_mT4_T5_T6_T7_T8_P12ihipStream_tbENKUlT_T0_E_clISt17integral_constantIbLb1EES13_EEDaSY_SZ_EUlSY_E_NS1_11comp_targetILNS1_3genE10ELNS1_11target_archE1200ELNS1_3gpuE4ELNS1_3repE0EEENS1_30default_config_static_selectorELNS0_4arch9wavefront6targetE1EEEvT1_
	.globl	_ZN7rocprim17ROCPRIM_400000_NS6detail17trampoline_kernelINS0_14default_configENS1_29reduce_by_key_config_selectorIflN6thrust23THRUST_200600_302600_NS4plusIlEEEEZZNS1_33reduce_by_key_impl_wrapped_configILNS1_25lookback_scan_determinismE0ES3_S9_PfNS6_17constant_iteratorIiNS6_11use_defaultESE_EENS6_10device_ptrIfEENSG_IlEEPmS8_NS6_8equal_toIfEEEE10hipError_tPvRmT2_T3_mT4_T5_T6_T7_T8_P12ihipStream_tbENKUlT_T0_E_clISt17integral_constantIbLb1EES13_EEDaSY_SZ_EUlSY_E_NS1_11comp_targetILNS1_3genE10ELNS1_11target_archE1200ELNS1_3gpuE4ELNS1_3repE0EEENS1_30default_config_static_selectorELNS0_4arch9wavefront6targetE1EEEvT1_
	.p2align	8
	.type	_ZN7rocprim17ROCPRIM_400000_NS6detail17trampoline_kernelINS0_14default_configENS1_29reduce_by_key_config_selectorIflN6thrust23THRUST_200600_302600_NS4plusIlEEEEZZNS1_33reduce_by_key_impl_wrapped_configILNS1_25lookback_scan_determinismE0ES3_S9_PfNS6_17constant_iteratorIiNS6_11use_defaultESE_EENS6_10device_ptrIfEENSG_IlEEPmS8_NS6_8equal_toIfEEEE10hipError_tPvRmT2_T3_mT4_T5_T6_T7_T8_P12ihipStream_tbENKUlT_T0_E_clISt17integral_constantIbLb1EES13_EEDaSY_SZ_EUlSY_E_NS1_11comp_targetILNS1_3genE10ELNS1_11target_archE1200ELNS1_3gpuE4ELNS1_3repE0EEENS1_30default_config_static_selectorELNS0_4arch9wavefront6targetE1EEEvT1_,@function
_ZN7rocprim17ROCPRIM_400000_NS6detail17trampoline_kernelINS0_14default_configENS1_29reduce_by_key_config_selectorIflN6thrust23THRUST_200600_302600_NS4plusIlEEEEZZNS1_33reduce_by_key_impl_wrapped_configILNS1_25lookback_scan_determinismE0ES3_S9_PfNS6_17constant_iteratorIiNS6_11use_defaultESE_EENS6_10device_ptrIfEENSG_IlEEPmS8_NS6_8equal_toIfEEEE10hipError_tPvRmT2_T3_mT4_T5_T6_T7_T8_P12ihipStream_tbENKUlT_T0_E_clISt17integral_constantIbLb1EES13_EEDaSY_SZ_EUlSY_E_NS1_11comp_targetILNS1_3genE10ELNS1_11target_archE1200ELNS1_3gpuE4ELNS1_3repE0EEENS1_30default_config_static_selectorELNS0_4arch9wavefront6targetE1EEEvT1_: ; @_ZN7rocprim17ROCPRIM_400000_NS6detail17trampoline_kernelINS0_14default_configENS1_29reduce_by_key_config_selectorIflN6thrust23THRUST_200600_302600_NS4plusIlEEEEZZNS1_33reduce_by_key_impl_wrapped_configILNS1_25lookback_scan_determinismE0ES3_S9_PfNS6_17constant_iteratorIiNS6_11use_defaultESE_EENS6_10device_ptrIfEENSG_IlEEPmS8_NS6_8equal_toIfEEEE10hipError_tPvRmT2_T3_mT4_T5_T6_T7_T8_P12ihipStream_tbENKUlT_T0_E_clISt17integral_constantIbLb1EES13_EEDaSY_SZ_EUlSY_E_NS1_11comp_targetILNS1_3genE10ELNS1_11target_archE1200ELNS1_3gpuE4ELNS1_3repE0EEENS1_30default_config_static_selectorELNS0_4arch9wavefront6targetE1EEEvT1_
; %bb.0:
	.section	.rodata,"a",@progbits
	.p2align	6, 0x0
	.amdhsa_kernel _ZN7rocprim17ROCPRIM_400000_NS6detail17trampoline_kernelINS0_14default_configENS1_29reduce_by_key_config_selectorIflN6thrust23THRUST_200600_302600_NS4plusIlEEEEZZNS1_33reduce_by_key_impl_wrapped_configILNS1_25lookback_scan_determinismE0ES3_S9_PfNS6_17constant_iteratorIiNS6_11use_defaultESE_EENS6_10device_ptrIfEENSG_IlEEPmS8_NS6_8equal_toIfEEEE10hipError_tPvRmT2_T3_mT4_T5_T6_T7_T8_P12ihipStream_tbENKUlT_T0_E_clISt17integral_constantIbLb1EES13_EEDaSY_SZ_EUlSY_E_NS1_11comp_targetILNS1_3genE10ELNS1_11target_archE1200ELNS1_3gpuE4ELNS1_3repE0EEENS1_30default_config_static_selectorELNS0_4arch9wavefront6targetE1EEEvT1_
		.amdhsa_group_segment_fixed_size 0
		.amdhsa_private_segment_fixed_size 0
		.amdhsa_kernarg_size 144
		.amdhsa_user_sgpr_count 6
		.amdhsa_user_sgpr_private_segment_buffer 1
		.amdhsa_user_sgpr_dispatch_ptr 0
		.amdhsa_user_sgpr_queue_ptr 0
		.amdhsa_user_sgpr_kernarg_segment_ptr 1
		.amdhsa_user_sgpr_dispatch_id 0
		.amdhsa_user_sgpr_flat_scratch_init 0
		.amdhsa_user_sgpr_kernarg_preload_length 0
		.amdhsa_user_sgpr_kernarg_preload_offset 0
		.amdhsa_user_sgpr_private_segment_size 0
		.amdhsa_uses_dynamic_stack 0
		.amdhsa_system_sgpr_private_segment_wavefront_offset 0
		.amdhsa_system_sgpr_workgroup_id_x 1
		.amdhsa_system_sgpr_workgroup_id_y 0
		.amdhsa_system_sgpr_workgroup_id_z 0
		.amdhsa_system_sgpr_workgroup_info 0
		.amdhsa_system_vgpr_workitem_id 0
		.amdhsa_next_free_vgpr 1
		.amdhsa_next_free_sgpr 0
		.amdhsa_accum_offset 4
		.amdhsa_reserve_vcc 0
		.amdhsa_reserve_flat_scratch 0
		.amdhsa_float_round_mode_32 0
		.amdhsa_float_round_mode_16_64 0
		.amdhsa_float_denorm_mode_32 3
		.amdhsa_float_denorm_mode_16_64 3
		.amdhsa_dx10_clamp 1
		.amdhsa_ieee_mode 1
		.amdhsa_fp16_overflow 0
		.amdhsa_tg_split 0
		.amdhsa_exception_fp_ieee_invalid_op 0
		.amdhsa_exception_fp_denorm_src 0
		.amdhsa_exception_fp_ieee_div_zero 0
		.amdhsa_exception_fp_ieee_overflow 0
		.amdhsa_exception_fp_ieee_underflow 0
		.amdhsa_exception_fp_ieee_inexact 0
		.amdhsa_exception_int_div_zero 0
	.end_amdhsa_kernel
	.section	.text._ZN7rocprim17ROCPRIM_400000_NS6detail17trampoline_kernelINS0_14default_configENS1_29reduce_by_key_config_selectorIflN6thrust23THRUST_200600_302600_NS4plusIlEEEEZZNS1_33reduce_by_key_impl_wrapped_configILNS1_25lookback_scan_determinismE0ES3_S9_PfNS6_17constant_iteratorIiNS6_11use_defaultESE_EENS6_10device_ptrIfEENSG_IlEEPmS8_NS6_8equal_toIfEEEE10hipError_tPvRmT2_T3_mT4_T5_T6_T7_T8_P12ihipStream_tbENKUlT_T0_E_clISt17integral_constantIbLb1EES13_EEDaSY_SZ_EUlSY_E_NS1_11comp_targetILNS1_3genE10ELNS1_11target_archE1200ELNS1_3gpuE4ELNS1_3repE0EEENS1_30default_config_static_selectorELNS0_4arch9wavefront6targetE1EEEvT1_,"axG",@progbits,_ZN7rocprim17ROCPRIM_400000_NS6detail17trampoline_kernelINS0_14default_configENS1_29reduce_by_key_config_selectorIflN6thrust23THRUST_200600_302600_NS4plusIlEEEEZZNS1_33reduce_by_key_impl_wrapped_configILNS1_25lookback_scan_determinismE0ES3_S9_PfNS6_17constant_iteratorIiNS6_11use_defaultESE_EENS6_10device_ptrIfEENSG_IlEEPmS8_NS6_8equal_toIfEEEE10hipError_tPvRmT2_T3_mT4_T5_T6_T7_T8_P12ihipStream_tbENKUlT_T0_E_clISt17integral_constantIbLb1EES13_EEDaSY_SZ_EUlSY_E_NS1_11comp_targetILNS1_3genE10ELNS1_11target_archE1200ELNS1_3gpuE4ELNS1_3repE0EEENS1_30default_config_static_selectorELNS0_4arch9wavefront6targetE1EEEvT1_,comdat
.Lfunc_end1921:
	.size	_ZN7rocprim17ROCPRIM_400000_NS6detail17trampoline_kernelINS0_14default_configENS1_29reduce_by_key_config_selectorIflN6thrust23THRUST_200600_302600_NS4plusIlEEEEZZNS1_33reduce_by_key_impl_wrapped_configILNS1_25lookback_scan_determinismE0ES3_S9_PfNS6_17constant_iteratorIiNS6_11use_defaultESE_EENS6_10device_ptrIfEENSG_IlEEPmS8_NS6_8equal_toIfEEEE10hipError_tPvRmT2_T3_mT4_T5_T6_T7_T8_P12ihipStream_tbENKUlT_T0_E_clISt17integral_constantIbLb1EES13_EEDaSY_SZ_EUlSY_E_NS1_11comp_targetILNS1_3genE10ELNS1_11target_archE1200ELNS1_3gpuE4ELNS1_3repE0EEENS1_30default_config_static_selectorELNS0_4arch9wavefront6targetE1EEEvT1_, .Lfunc_end1921-_ZN7rocprim17ROCPRIM_400000_NS6detail17trampoline_kernelINS0_14default_configENS1_29reduce_by_key_config_selectorIflN6thrust23THRUST_200600_302600_NS4plusIlEEEEZZNS1_33reduce_by_key_impl_wrapped_configILNS1_25lookback_scan_determinismE0ES3_S9_PfNS6_17constant_iteratorIiNS6_11use_defaultESE_EENS6_10device_ptrIfEENSG_IlEEPmS8_NS6_8equal_toIfEEEE10hipError_tPvRmT2_T3_mT4_T5_T6_T7_T8_P12ihipStream_tbENKUlT_T0_E_clISt17integral_constantIbLb1EES13_EEDaSY_SZ_EUlSY_E_NS1_11comp_targetILNS1_3genE10ELNS1_11target_archE1200ELNS1_3gpuE4ELNS1_3repE0EEENS1_30default_config_static_selectorELNS0_4arch9wavefront6targetE1EEEvT1_
                                        ; -- End function
	.section	.AMDGPU.csdata,"",@progbits
; Kernel info:
; codeLenInByte = 0
; NumSgprs: 4
; NumVgprs: 0
; NumAgprs: 0
; TotalNumVgprs: 0
; ScratchSize: 0
; MemoryBound: 0
; FloatMode: 240
; IeeeMode: 1
; LDSByteSize: 0 bytes/workgroup (compile time only)
; SGPRBlocks: 0
; VGPRBlocks: 0
; NumSGPRsForWavesPerEU: 4
; NumVGPRsForWavesPerEU: 1
; AccumOffset: 4
; Occupancy: 8
; WaveLimiterHint : 0
; COMPUTE_PGM_RSRC2:SCRATCH_EN: 0
; COMPUTE_PGM_RSRC2:USER_SGPR: 6
; COMPUTE_PGM_RSRC2:TRAP_HANDLER: 0
; COMPUTE_PGM_RSRC2:TGID_X_EN: 1
; COMPUTE_PGM_RSRC2:TGID_Y_EN: 0
; COMPUTE_PGM_RSRC2:TGID_Z_EN: 0
; COMPUTE_PGM_RSRC2:TIDIG_COMP_CNT: 0
; COMPUTE_PGM_RSRC3_GFX90A:ACCUM_OFFSET: 0
; COMPUTE_PGM_RSRC3_GFX90A:TG_SPLIT: 0
	.section	.text._ZN7rocprim17ROCPRIM_400000_NS6detail17trampoline_kernelINS0_14default_configENS1_29reduce_by_key_config_selectorIflN6thrust23THRUST_200600_302600_NS4plusIlEEEEZZNS1_33reduce_by_key_impl_wrapped_configILNS1_25lookback_scan_determinismE0ES3_S9_PfNS6_17constant_iteratorIiNS6_11use_defaultESE_EENS6_10device_ptrIfEENSG_IlEEPmS8_NS6_8equal_toIfEEEE10hipError_tPvRmT2_T3_mT4_T5_T6_T7_T8_P12ihipStream_tbENKUlT_T0_E_clISt17integral_constantIbLb1EES13_EEDaSY_SZ_EUlSY_E_NS1_11comp_targetILNS1_3genE9ELNS1_11target_archE1100ELNS1_3gpuE3ELNS1_3repE0EEENS1_30default_config_static_selectorELNS0_4arch9wavefront6targetE1EEEvT1_,"axG",@progbits,_ZN7rocprim17ROCPRIM_400000_NS6detail17trampoline_kernelINS0_14default_configENS1_29reduce_by_key_config_selectorIflN6thrust23THRUST_200600_302600_NS4plusIlEEEEZZNS1_33reduce_by_key_impl_wrapped_configILNS1_25lookback_scan_determinismE0ES3_S9_PfNS6_17constant_iteratorIiNS6_11use_defaultESE_EENS6_10device_ptrIfEENSG_IlEEPmS8_NS6_8equal_toIfEEEE10hipError_tPvRmT2_T3_mT4_T5_T6_T7_T8_P12ihipStream_tbENKUlT_T0_E_clISt17integral_constantIbLb1EES13_EEDaSY_SZ_EUlSY_E_NS1_11comp_targetILNS1_3genE9ELNS1_11target_archE1100ELNS1_3gpuE3ELNS1_3repE0EEENS1_30default_config_static_selectorELNS0_4arch9wavefront6targetE1EEEvT1_,comdat
	.protected	_ZN7rocprim17ROCPRIM_400000_NS6detail17trampoline_kernelINS0_14default_configENS1_29reduce_by_key_config_selectorIflN6thrust23THRUST_200600_302600_NS4plusIlEEEEZZNS1_33reduce_by_key_impl_wrapped_configILNS1_25lookback_scan_determinismE0ES3_S9_PfNS6_17constant_iteratorIiNS6_11use_defaultESE_EENS6_10device_ptrIfEENSG_IlEEPmS8_NS6_8equal_toIfEEEE10hipError_tPvRmT2_T3_mT4_T5_T6_T7_T8_P12ihipStream_tbENKUlT_T0_E_clISt17integral_constantIbLb1EES13_EEDaSY_SZ_EUlSY_E_NS1_11comp_targetILNS1_3genE9ELNS1_11target_archE1100ELNS1_3gpuE3ELNS1_3repE0EEENS1_30default_config_static_selectorELNS0_4arch9wavefront6targetE1EEEvT1_ ; -- Begin function _ZN7rocprim17ROCPRIM_400000_NS6detail17trampoline_kernelINS0_14default_configENS1_29reduce_by_key_config_selectorIflN6thrust23THRUST_200600_302600_NS4plusIlEEEEZZNS1_33reduce_by_key_impl_wrapped_configILNS1_25lookback_scan_determinismE0ES3_S9_PfNS6_17constant_iteratorIiNS6_11use_defaultESE_EENS6_10device_ptrIfEENSG_IlEEPmS8_NS6_8equal_toIfEEEE10hipError_tPvRmT2_T3_mT4_T5_T6_T7_T8_P12ihipStream_tbENKUlT_T0_E_clISt17integral_constantIbLb1EES13_EEDaSY_SZ_EUlSY_E_NS1_11comp_targetILNS1_3genE9ELNS1_11target_archE1100ELNS1_3gpuE3ELNS1_3repE0EEENS1_30default_config_static_selectorELNS0_4arch9wavefront6targetE1EEEvT1_
	.globl	_ZN7rocprim17ROCPRIM_400000_NS6detail17trampoline_kernelINS0_14default_configENS1_29reduce_by_key_config_selectorIflN6thrust23THRUST_200600_302600_NS4plusIlEEEEZZNS1_33reduce_by_key_impl_wrapped_configILNS1_25lookback_scan_determinismE0ES3_S9_PfNS6_17constant_iteratorIiNS6_11use_defaultESE_EENS6_10device_ptrIfEENSG_IlEEPmS8_NS6_8equal_toIfEEEE10hipError_tPvRmT2_T3_mT4_T5_T6_T7_T8_P12ihipStream_tbENKUlT_T0_E_clISt17integral_constantIbLb1EES13_EEDaSY_SZ_EUlSY_E_NS1_11comp_targetILNS1_3genE9ELNS1_11target_archE1100ELNS1_3gpuE3ELNS1_3repE0EEENS1_30default_config_static_selectorELNS0_4arch9wavefront6targetE1EEEvT1_
	.p2align	8
	.type	_ZN7rocprim17ROCPRIM_400000_NS6detail17trampoline_kernelINS0_14default_configENS1_29reduce_by_key_config_selectorIflN6thrust23THRUST_200600_302600_NS4plusIlEEEEZZNS1_33reduce_by_key_impl_wrapped_configILNS1_25lookback_scan_determinismE0ES3_S9_PfNS6_17constant_iteratorIiNS6_11use_defaultESE_EENS6_10device_ptrIfEENSG_IlEEPmS8_NS6_8equal_toIfEEEE10hipError_tPvRmT2_T3_mT4_T5_T6_T7_T8_P12ihipStream_tbENKUlT_T0_E_clISt17integral_constantIbLb1EES13_EEDaSY_SZ_EUlSY_E_NS1_11comp_targetILNS1_3genE9ELNS1_11target_archE1100ELNS1_3gpuE3ELNS1_3repE0EEENS1_30default_config_static_selectorELNS0_4arch9wavefront6targetE1EEEvT1_,@function
_ZN7rocprim17ROCPRIM_400000_NS6detail17trampoline_kernelINS0_14default_configENS1_29reduce_by_key_config_selectorIflN6thrust23THRUST_200600_302600_NS4plusIlEEEEZZNS1_33reduce_by_key_impl_wrapped_configILNS1_25lookback_scan_determinismE0ES3_S9_PfNS6_17constant_iteratorIiNS6_11use_defaultESE_EENS6_10device_ptrIfEENSG_IlEEPmS8_NS6_8equal_toIfEEEE10hipError_tPvRmT2_T3_mT4_T5_T6_T7_T8_P12ihipStream_tbENKUlT_T0_E_clISt17integral_constantIbLb1EES13_EEDaSY_SZ_EUlSY_E_NS1_11comp_targetILNS1_3genE9ELNS1_11target_archE1100ELNS1_3gpuE3ELNS1_3repE0EEENS1_30default_config_static_selectorELNS0_4arch9wavefront6targetE1EEEvT1_: ; @_ZN7rocprim17ROCPRIM_400000_NS6detail17trampoline_kernelINS0_14default_configENS1_29reduce_by_key_config_selectorIflN6thrust23THRUST_200600_302600_NS4plusIlEEEEZZNS1_33reduce_by_key_impl_wrapped_configILNS1_25lookback_scan_determinismE0ES3_S9_PfNS6_17constant_iteratorIiNS6_11use_defaultESE_EENS6_10device_ptrIfEENSG_IlEEPmS8_NS6_8equal_toIfEEEE10hipError_tPvRmT2_T3_mT4_T5_T6_T7_T8_P12ihipStream_tbENKUlT_T0_E_clISt17integral_constantIbLb1EES13_EEDaSY_SZ_EUlSY_E_NS1_11comp_targetILNS1_3genE9ELNS1_11target_archE1100ELNS1_3gpuE3ELNS1_3repE0EEENS1_30default_config_static_selectorELNS0_4arch9wavefront6targetE1EEEvT1_
; %bb.0:
	.section	.rodata,"a",@progbits
	.p2align	6, 0x0
	.amdhsa_kernel _ZN7rocprim17ROCPRIM_400000_NS6detail17trampoline_kernelINS0_14default_configENS1_29reduce_by_key_config_selectorIflN6thrust23THRUST_200600_302600_NS4plusIlEEEEZZNS1_33reduce_by_key_impl_wrapped_configILNS1_25lookback_scan_determinismE0ES3_S9_PfNS6_17constant_iteratorIiNS6_11use_defaultESE_EENS6_10device_ptrIfEENSG_IlEEPmS8_NS6_8equal_toIfEEEE10hipError_tPvRmT2_T3_mT4_T5_T6_T7_T8_P12ihipStream_tbENKUlT_T0_E_clISt17integral_constantIbLb1EES13_EEDaSY_SZ_EUlSY_E_NS1_11comp_targetILNS1_3genE9ELNS1_11target_archE1100ELNS1_3gpuE3ELNS1_3repE0EEENS1_30default_config_static_selectorELNS0_4arch9wavefront6targetE1EEEvT1_
		.amdhsa_group_segment_fixed_size 0
		.amdhsa_private_segment_fixed_size 0
		.amdhsa_kernarg_size 144
		.amdhsa_user_sgpr_count 6
		.amdhsa_user_sgpr_private_segment_buffer 1
		.amdhsa_user_sgpr_dispatch_ptr 0
		.amdhsa_user_sgpr_queue_ptr 0
		.amdhsa_user_sgpr_kernarg_segment_ptr 1
		.amdhsa_user_sgpr_dispatch_id 0
		.amdhsa_user_sgpr_flat_scratch_init 0
		.amdhsa_user_sgpr_kernarg_preload_length 0
		.amdhsa_user_sgpr_kernarg_preload_offset 0
		.amdhsa_user_sgpr_private_segment_size 0
		.amdhsa_uses_dynamic_stack 0
		.amdhsa_system_sgpr_private_segment_wavefront_offset 0
		.amdhsa_system_sgpr_workgroup_id_x 1
		.amdhsa_system_sgpr_workgroup_id_y 0
		.amdhsa_system_sgpr_workgroup_id_z 0
		.amdhsa_system_sgpr_workgroup_info 0
		.amdhsa_system_vgpr_workitem_id 0
		.amdhsa_next_free_vgpr 1
		.amdhsa_next_free_sgpr 0
		.amdhsa_accum_offset 4
		.amdhsa_reserve_vcc 0
		.amdhsa_reserve_flat_scratch 0
		.amdhsa_float_round_mode_32 0
		.amdhsa_float_round_mode_16_64 0
		.amdhsa_float_denorm_mode_32 3
		.amdhsa_float_denorm_mode_16_64 3
		.amdhsa_dx10_clamp 1
		.amdhsa_ieee_mode 1
		.amdhsa_fp16_overflow 0
		.amdhsa_tg_split 0
		.amdhsa_exception_fp_ieee_invalid_op 0
		.amdhsa_exception_fp_denorm_src 0
		.amdhsa_exception_fp_ieee_div_zero 0
		.amdhsa_exception_fp_ieee_overflow 0
		.amdhsa_exception_fp_ieee_underflow 0
		.amdhsa_exception_fp_ieee_inexact 0
		.amdhsa_exception_int_div_zero 0
	.end_amdhsa_kernel
	.section	.text._ZN7rocprim17ROCPRIM_400000_NS6detail17trampoline_kernelINS0_14default_configENS1_29reduce_by_key_config_selectorIflN6thrust23THRUST_200600_302600_NS4plusIlEEEEZZNS1_33reduce_by_key_impl_wrapped_configILNS1_25lookback_scan_determinismE0ES3_S9_PfNS6_17constant_iteratorIiNS6_11use_defaultESE_EENS6_10device_ptrIfEENSG_IlEEPmS8_NS6_8equal_toIfEEEE10hipError_tPvRmT2_T3_mT4_T5_T6_T7_T8_P12ihipStream_tbENKUlT_T0_E_clISt17integral_constantIbLb1EES13_EEDaSY_SZ_EUlSY_E_NS1_11comp_targetILNS1_3genE9ELNS1_11target_archE1100ELNS1_3gpuE3ELNS1_3repE0EEENS1_30default_config_static_selectorELNS0_4arch9wavefront6targetE1EEEvT1_,"axG",@progbits,_ZN7rocprim17ROCPRIM_400000_NS6detail17trampoline_kernelINS0_14default_configENS1_29reduce_by_key_config_selectorIflN6thrust23THRUST_200600_302600_NS4plusIlEEEEZZNS1_33reduce_by_key_impl_wrapped_configILNS1_25lookback_scan_determinismE0ES3_S9_PfNS6_17constant_iteratorIiNS6_11use_defaultESE_EENS6_10device_ptrIfEENSG_IlEEPmS8_NS6_8equal_toIfEEEE10hipError_tPvRmT2_T3_mT4_T5_T6_T7_T8_P12ihipStream_tbENKUlT_T0_E_clISt17integral_constantIbLb1EES13_EEDaSY_SZ_EUlSY_E_NS1_11comp_targetILNS1_3genE9ELNS1_11target_archE1100ELNS1_3gpuE3ELNS1_3repE0EEENS1_30default_config_static_selectorELNS0_4arch9wavefront6targetE1EEEvT1_,comdat
.Lfunc_end1922:
	.size	_ZN7rocprim17ROCPRIM_400000_NS6detail17trampoline_kernelINS0_14default_configENS1_29reduce_by_key_config_selectorIflN6thrust23THRUST_200600_302600_NS4plusIlEEEEZZNS1_33reduce_by_key_impl_wrapped_configILNS1_25lookback_scan_determinismE0ES3_S9_PfNS6_17constant_iteratorIiNS6_11use_defaultESE_EENS6_10device_ptrIfEENSG_IlEEPmS8_NS6_8equal_toIfEEEE10hipError_tPvRmT2_T3_mT4_T5_T6_T7_T8_P12ihipStream_tbENKUlT_T0_E_clISt17integral_constantIbLb1EES13_EEDaSY_SZ_EUlSY_E_NS1_11comp_targetILNS1_3genE9ELNS1_11target_archE1100ELNS1_3gpuE3ELNS1_3repE0EEENS1_30default_config_static_selectorELNS0_4arch9wavefront6targetE1EEEvT1_, .Lfunc_end1922-_ZN7rocprim17ROCPRIM_400000_NS6detail17trampoline_kernelINS0_14default_configENS1_29reduce_by_key_config_selectorIflN6thrust23THRUST_200600_302600_NS4plusIlEEEEZZNS1_33reduce_by_key_impl_wrapped_configILNS1_25lookback_scan_determinismE0ES3_S9_PfNS6_17constant_iteratorIiNS6_11use_defaultESE_EENS6_10device_ptrIfEENSG_IlEEPmS8_NS6_8equal_toIfEEEE10hipError_tPvRmT2_T3_mT4_T5_T6_T7_T8_P12ihipStream_tbENKUlT_T0_E_clISt17integral_constantIbLb1EES13_EEDaSY_SZ_EUlSY_E_NS1_11comp_targetILNS1_3genE9ELNS1_11target_archE1100ELNS1_3gpuE3ELNS1_3repE0EEENS1_30default_config_static_selectorELNS0_4arch9wavefront6targetE1EEEvT1_
                                        ; -- End function
	.section	.AMDGPU.csdata,"",@progbits
; Kernel info:
; codeLenInByte = 0
; NumSgprs: 4
; NumVgprs: 0
; NumAgprs: 0
; TotalNumVgprs: 0
; ScratchSize: 0
; MemoryBound: 0
; FloatMode: 240
; IeeeMode: 1
; LDSByteSize: 0 bytes/workgroup (compile time only)
; SGPRBlocks: 0
; VGPRBlocks: 0
; NumSGPRsForWavesPerEU: 4
; NumVGPRsForWavesPerEU: 1
; AccumOffset: 4
; Occupancy: 8
; WaveLimiterHint : 0
; COMPUTE_PGM_RSRC2:SCRATCH_EN: 0
; COMPUTE_PGM_RSRC2:USER_SGPR: 6
; COMPUTE_PGM_RSRC2:TRAP_HANDLER: 0
; COMPUTE_PGM_RSRC2:TGID_X_EN: 1
; COMPUTE_PGM_RSRC2:TGID_Y_EN: 0
; COMPUTE_PGM_RSRC2:TGID_Z_EN: 0
; COMPUTE_PGM_RSRC2:TIDIG_COMP_CNT: 0
; COMPUTE_PGM_RSRC3_GFX90A:ACCUM_OFFSET: 0
; COMPUTE_PGM_RSRC3_GFX90A:TG_SPLIT: 0
	.section	.text._ZN7rocprim17ROCPRIM_400000_NS6detail17trampoline_kernelINS0_14default_configENS1_29reduce_by_key_config_selectorIflN6thrust23THRUST_200600_302600_NS4plusIlEEEEZZNS1_33reduce_by_key_impl_wrapped_configILNS1_25lookback_scan_determinismE0ES3_S9_PfNS6_17constant_iteratorIiNS6_11use_defaultESE_EENS6_10device_ptrIfEENSG_IlEEPmS8_NS6_8equal_toIfEEEE10hipError_tPvRmT2_T3_mT4_T5_T6_T7_T8_P12ihipStream_tbENKUlT_T0_E_clISt17integral_constantIbLb1EES13_EEDaSY_SZ_EUlSY_E_NS1_11comp_targetILNS1_3genE8ELNS1_11target_archE1030ELNS1_3gpuE2ELNS1_3repE0EEENS1_30default_config_static_selectorELNS0_4arch9wavefront6targetE1EEEvT1_,"axG",@progbits,_ZN7rocprim17ROCPRIM_400000_NS6detail17trampoline_kernelINS0_14default_configENS1_29reduce_by_key_config_selectorIflN6thrust23THRUST_200600_302600_NS4plusIlEEEEZZNS1_33reduce_by_key_impl_wrapped_configILNS1_25lookback_scan_determinismE0ES3_S9_PfNS6_17constant_iteratorIiNS6_11use_defaultESE_EENS6_10device_ptrIfEENSG_IlEEPmS8_NS6_8equal_toIfEEEE10hipError_tPvRmT2_T3_mT4_T5_T6_T7_T8_P12ihipStream_tbENKUlT_T0_E_clISt17integral_constantIbLb1EES13_EEDaSY_SZ_EUlSY_E_NS1_11comp_targetILNS1_3genE8ELNS1_11target_archE1030ELNS1_3gpuE2ELNS1_3repE0EEENS1_30default_config_static_selectorELNS0_4arch9wavefront6targetE1EEEvT1_,comdat
	.protected	_ZN7rocprim17ROCPRIM_400000_NS6detail17trampoline_kernelINS0_14default_configENS1_29reduce_by_key_config_selectorIflN6thrust23THRUST_200600_302600_NS4plusIlEEEEZZNS1_33reduce_by_key_impl_wrapped_configILNS1_25lookback_scan_determinismE0ES3_S9_PfNS6_17constant_iteratorIiNS6_11use_defaultESE_EENS6_10device_ptrIfEENSG_IlEEPmS8_NS6_8equal_toIfEEEE10hipError_tPvRmT2_T3_mT4_T5_T6_T7_T8_P12ihipStream_tbENKUlT_T0_E_clISt17integral_constantIbLb1EES13_EEDaSY_SZ_EUlSY_E_NS1_11comp_targetILNS1_3genE8ELNS1_11target_archE1030ELNS1_3gpuE2ELNS1_3repE0EEENS1_30default_config_static_selectorELNS0_4arch9wavefront6targetE1EEEvT1_ ; -- Begin function _ZN7rocprim17ROCPRIM_400000_NS6detail17trampoline_kernelINS0_14default_configENS1_29reduce_by_key_config_selectorIflN6thrust23THRUST_200600_302600_NS4plusIlEEEEZZNS1_33reduce_by_key_impl_wrapped_configILNS1_25lookback_scan_determinismE0ES3_S9_PfNS6_17constant_iteratorIiNS6_11use_defaultESE_EENS6_10device_ptrIfEENSG_IlEEPmS8_NS6_8equal_toIfEEEE10hipError_tPvRmT2_T3_mT4_T5_T6_T7_T8_P12ihipStream_tbENKUlT_T0_E_clISt17integral_constantIbLb1EES13_EEDaSY_SZ_EUlSY_E_NS1_11comp_targetILNS1_3genE8ELNS1_11target_archE1030ELNS1_3gpuE2ELNS1_3repE0EEENS1_30default_config_static_selectorELNS0_4arch9wavefront6targetE1EEEvT1_
	.globl	_ZN7rocprim17ROCPRIM_400000_NS6detail17trampoline_kernelINS0_14default_configENS1_29reduce_by_key_config_selectorIflN6thrust23THRUST_200600_302600_NS4plusIlEEEEZZNS1_33reduce_by_key_impl_wrapped_configILNS1_25lookback_scan_determinismE0ES3_S9_PfNS6_17constant_iteratorIiNS6_11use_defaultESE_EENS6_10device_ptrIfEENSG_IlEEPmS8_NS6_8equal_toIfEEEE10hipError_tPvRmT2_T3_mT4_T5_T6_T7_T8_P12ihipStream_tbENKUlT_T0_E_clISt17integral_constantIbLb1EES13_EEDaSY_SZ_EUlSY_E_NS1_11comp_targetILNS1_3genE8ELNS1_11target_archE1030ELNS1_3gpuE2ELNS1_3repE0EEENS1_30default_config_static_selectorELNS0_4arch9wavefront6targetE1EEEvT1_
	.p2align	8
	.type	_ZN7rocprim17ROCPRIM_400000_NS6detail17trampoline_kernelINS0_14default_configENS1_29reduce_by_key_config_selectorIflN6thrust23THRUST_200600_302600_NS4plusIlEEEEZZNS1_33reduce_by_key_impl_wrapped_configILNS1_25lookback_scan_determinismE0ES3_S9_PfNS6_17constant_iteratorIiNS6_11use_defaultESE_EENS6_10device_ptrIfEENSG_IlEEPmS8_NS6_8equal_toIfEEEE10hipError_tPvRmT2_T3_mT4_T5_T6_T7_T8_P12ihipStream_tbENKUlT_T0_E_clISt17integral_constantIbLb1EES13_EEDaSY_SZ_EUlSY_E_NS1_11comp_targetILNS1_3genE8ELNS1_11target_archE1030ELNS1_3gpuE2ELNS1_3repE0EEENS1_30default_config_static_selectorELNS0_4arch9wavefront6targetE1EEEvT1_,@function
_ZN7rocprim17ROCPRIM_400000_NS6detail17trampoline_kernelINS0_14default_configENS1_29reduce_by_key_config_selectorIflN6thrust23THRUST_200600_302600_NS4plusIlEEEEZZNS1_33reduce_by_key_impl_wrapped_configILNS1_25lookback_scan_determinismE0ES3_S9_PfNS6_17constant_iteratorIiNS6_11use_defaultESE_EENS6_10device_ptrIfEENSG_IlEEPmS8_NS6_8equal_toIfEEEE10hipError_tPvRmT2_T3_mT4_T5_T6_T7_T8_P12ihipStream_tbENKUlT_T0_E_clISt17integral_constantIbLb1EES13_EEDaSY_SZ_EUlSY_E_NS1_11comp_targetILNS1_3genE8ELNS1_11target_archE1030ELNS1_3gpuE2ELNS1_3repE0EEENS1_30default_config_static_selectorELNS0_4arch9wavefront6targetE1EEEvT1_: ; @_ZN7rocprim17ROCPRIM_400000_NS6detail17trampoline_kernelINS0_14default_configENS1_29reduce_by_key_config_selectorIflN6thrust23THRUST_200600_302600_NS4plusIlEEEEZZNS1_33reduce_by_key_impl_wrapped_configILNS1_25lookback_scan_determinismE0ES3_S9_PfNS6_17constant_iteratorIiNS6_11use_defaultESE_EENS6_10device_ptrIfEENSG_IlEEPmS8_NS6_8equal_toIfEEEE10hipError_tPvRmT2_T3_mT4_T5_T6_T7_T8_P12ihipStream_tbENKUlT_T0_E_clISt17integral_constantIbLb1EES13_EEDaSY_SZ_EUlSY_E_NS1_11comp_targetILNS1_3genE8ELNS1_11target_archE1030ELNS1_3gpuE2ELNS1_3repE0EEENS1_30default_config_static_selectorELNS0_4arch9wavefront6targetE1EEEvT1_
; %bb.0:
	.section	.rodata,"a",@progbits
	.p2align	6, 0x0
	.amdhsa_kernel _ZN7rocprim17ROCPRIM_400000_NS6detail17trampoline_kernelINS0_14default_configENS1_29reduce_by_key_config_selectorIflN6thrust23THRUST_200600_302600_NS4plusIlEEEEZZNS1_33reduce_by_key_impl_wrapped_configILNS1_25lookback_scan_determinismE0ES3_S9_PfNS6_17constant_iteratorIiNS6_11use_defaultESE_EENS6_10device_ptrIfEENSG_IlEEPmS8_NS6_8equal_toIfEEEE10hipError_tPvRmT2_T3_mT4_T5_T6_T7_T8_P12ihipStream_tbENKUlT_T0_E_clISt17integral_constantIbLb1EES13_EEDaSY_SZ_EUlSY_E_NS1_11comp_targetILNS1_3genE8ELNS1_11target_archE1030ELNS1_3gpuE2ELNS1_3repE0EEENS1_30default_config_static_selectorELNS0_4arch9wavefront6targetE1EEEvT1_
		.amdhsa_group_segment_fixed_size 0
		.amdhsa_private_segment_fixed_size 0
		.amdhsa_kernarg_size 144
		.amdhsa_user_sgpr_count 6
		.amdhsa_user_sgpr_private_segment_buffer 1
		.amdhsa_user_sgpr_dispatch_ptr 0
		.amdhsa_user_sgpr_queue_ptr 0
		.amdhsa_user_sgpr_kernarg_segment_ptr 1
		.amdhsa_user_sgpr_dispatch_id 0
		.amdhsa_user_sgpr_flat_scratch_init 0
		.amdhsa_user_sgpr_kernarg_preload_length 0
		.amdhsa_user_sgpr_kernarg_preload_offset 0
		.amdhsa_user_sgpr_private_segment_size 0
		.amdhsa_uses_dynamic_stack 0
		.amdhsa_system_sgpr_private_segment_wavefront_offset 0
		.amdhsa_system_sgpr_workgroup_id_x 1
		.amdhsa_system_sgpr_workgroup_id_y 0
		.amdhsa_system_sgpr_workgroup_id_z 0
		.amdhsa_system_sgpr_workgroup_info 0
		.amdhsa_system_vgpr_workitem_id 0
		.amdhsa_next_free_vgpr 1
		.amdhsa_next_free_sgpr 0
		.amdhsa_accum_offset 4
		.amdhsa_reserve_vcc 0
		.amdhsa_reserve_flat_scratch 0
		.amdhsa_float_round_mode_32 0
		.amdhsa_float_round_mode_16_64 0
		.amdhsa_float_denorm_mode_32 3
		.amdhsa_float_denorm_mode_16_64 3
		.amdhsa_dx10_clamp 1
		.amdhsa_ieee_mode 1
		.amdhsa_fp16_overflow 0
		.amdhsa_tg_split 0
		.amdhsa_exception_fp_ieee_invalid_op 0
		.amdhsa_exception_fp_denorm_src 0
		.amdhsa_exception_fp_ieee_div_zero 0
		.amdhsa_exception_fp_ieee_overflow 0
		.amdhsa_exception_fp_ieee_underflow 0
		.amdhsa_exception_fp_ieee_inexact 0
		.amdhsa_exception_int_div_zero 0
	.end_amdhsa_kernel
	.section	.text._ZN7rocprim17ROCPRIM_400000_NS6detail17trampoline_kernelINS0_14default_configENS1_29reduce_by_key_config_selectorIflN6thrust23THRUST_200600_302600_NS4plusIlEEEEZZNS1_33reduce_by_key_impl_wrapped_configILNS1_25lookback_scan_determinismE0ES3_S9_PfNS6_17constant_iteratorIiNS6_11use_defaultESE_EENS6_10device_ptrIfEENSG_IlEEPmS8_NS6_8equal_toIfEEEE10hipError_tPvRmT2_T3_mT4_T5_T6_T7_T8_P12ihipStream_tbENKUlT_T0_E_clISt17integral_constantIbLb1EES13_EEDaSY_SZ_EUlSY_E_NS1_11comp_targetILNS1_3genE8ELNS1_11target_archE1030ELNS1_3gpuE2ELNS1_3repE0EEENS1_30default_config_static_selectorELNS0_4arch9wavefront6targetE1EEEvT1_,"axG",@progbits,_ZN7rocprim17ROCPRIM_400000_NS6detail17trampoline_kernelINS0_14default_configENS1_29reduce_by_key_config_selectorIflN6thrust23THRUST_200600_302600_NS4plusIlEEEEZZNS1_33reduce_by_key_impl_wrapped_configILNS1_25lookback_scan_determinismE0ES3_S9_PfNS6_17constant_iteratorIiNS6_11use_defaultESE_EENS6_10device_ptrIfEENSG_IlEEPmS8_NS6_8equal_toIfEEEE10hipError_tPvRmT2_T3_mT4_T5_T6_T7_T8_P12ihipStream_tbENKUlT_T0_E_clISt17integral_constantIbLb1EES13_EEDaSY_SZ_EUlSY_E_NS1_11comp_targetILNS1_3genE8ELNS1_11target_archE1030ELNS1_3gpuE2ELNS1_3repE0EEENS1_30default_config_static_selectorELNS0_4arch9wavefront6targetE1EEEvT1_,comdat
.Lfunc_end1923:
	.size	_ZN7rocprim17ROCPRIM_400000_NS6detail17trampoline_kernelINS0_14default_configENS1_29reduce_by_key_config_selectorIflN6thrust23THRUST_200600_302600_NS4plusIlEEEEZZNS1_33reduce_by_key_impl_wrapped_configILNS1_25lookback_scan_determinismE0ES3_S9_PfNS6_17constant_iteratorIiNS6_11use_defaultESE_EENS6_10device_ptrIfEENSG_IlEEPmS8_NS6_8equal_toIfEEEE10hipError_tPvRmT2_T3_mT4_T5_T6_T7_T8_P12ihipStream_tbENKUlT_T0_E_clISt17integral_constantIbLb1EES13_EEDaSY_SZ_EUlSY_E_NS1_11comp_targetILNS1_3genE8ELNS1_11target_archE1030ELNS1_3gpuE2ELNS1_3repE0EEENS1_30default_config_static_selectorELNS0_4arch9wavefront6targetE1EEEvT1_, .Lfunc_end1923-_ZN7rocprim17ROCPRIM_400000_NS6detail17trampoline_kernelINS0_14default_configENS1_29reduce_by_key_config_selectorIflN6thrust23THRUST_200600_302600_NS4plusIlEEEEZZNS1_33reduce_by_key_impl_wrapped_configILNS1_25lookback_scan_determinismE0ES3_S9_PfNS6_17constant_iteratorIiNS6_11use_defaultESE_EENS6_10device_ptrIfEENSG_IlEEPmS8_NS6_8equal_toIfEEEE10hipError_tPvRmT2_T3_mT4_T5_T6_T7_T8_P12ihipStream_tbENKUlT_T0_E_clISt17integral_constantIbLb1EES13_EEDaSY_SZ_EUlSY_E_NS1_11comp_targetILNS1_3genE8ELNS1_11target_archE1030ELNS1_3gpuE2ELNS1_3repE0EEENS1_30default_config_static_selectorELNS0_4arch9wavefront6targetE1EEEvT1_
                                        ; -- End function
	.section	.AMDGPU.csdata,"",@progbits
; Kernel info:
; codeLenInByte = 0
; NumSgprs: 4
; NumVgprs: 0
; NumAgprs: 0
; TotalNumVgprs: 0
; ScratchSize: 0
; MemoryBound: 0
; FloatMode: 240
; IeeeMode: 1
; LDSByteSize: 0 bytes/workgroup (compile time only)
; SGPRBlocks: 0
; VGPRBlocks: 0
; NumSGPRsForWavesPerEU: 4
; NumVGPRsForWavesPerEU: 1
; AccumOffset: 4
; Occupancy: 8
; WaveLimiterHint : 0
; COMPUTE_PGM_RSRC2:SCRATCH_EN: 0
; COMPUTE_PGM_RSRC2:USER_SGPR: 6
; COMPUTE_PGM_RSRC2:TRAP_HANDLER: 0
; COMPUTE_PGM_RSRC2:TGID_X_EN: 1
; COMPUTE_PGM_RSRC2:TGID_Y_EN: 0
; COMPUTE_PGM_RSRC2:TGID_Z_EN: 0
; COMPUTE_PGM_RSRC2:TIDIG_COMP_CNT: 0
; COMPUTE_PGM_RSRC3_GFX90A:ACCUM_OFFSET: 0
; COMPUTE_PGM_RSRC3_GFX90A:TG_SPLIT: 0
	.section	.text._ZN7rocprim17ROCPRIM_400000_NS6detail17trampoline_kernelINS0_14default_configENS1_29reduce_by_key_config_selectorIflN6thrust23THRUST_200600_302600_NS4plusIlEEEEZZNS1_33reduce_by_key_impl_wrapped_configILNS1_25lookback_scan_determinismE0ES3_S9_PfNS6_17constant_iteratorIiNS6_11use_defaultESE_EENS6_10device_ptrIfEENSG_IlEEPmS8_NS6_8equal_toIfEEEE10hipError_tPvRmT2_T3_mT4_T5_T6_T7_T8_P12ihipStream_tbENKUlT_T0_E_clISt17integral_constantIbLb1EES12_IbLb0EEEEDaSY_SZ_EUlSY_E_NS1_11comp_targetILNS1_3genE0ELNS1_11target_archE4294967295ELNS1_3gpuE0ELNS1_3repE0EEENS1_30default_config_static_selectorELNS0_4arch9wavefront6targetE1EEEvT1_,"axG",@progbits,_ZN7rocprim17ROCPRIM_400000_NS6detail17trampoline_kernelINS0_14default_configENS1_29reduce_by_key_config_selectorIflN6thrust23THRUST_200600_302600_NS4plusIlEEEEZZNS1_33reduce_by_key_impl_wrapped_configILNS1_25lookback_scan_determinismE0ES3_S9_PfNS6_17constant_iteratorIiNS6_11use_defaultESE_EENS6_10device_ptrIfEENSG_IlEEPmS8_NS6_8equal_toIfEEEE10hipError_tPvRmT2_T3_mT4_T5_T6_T7_T8_P12ihipStream_tbENKUlT_T0_E_clISt17integral_constantIbLb1EES12_IbLb0EEEEDaSY_SZ_EUlSY_E_NS1_11comp_targetILNS1_3genE0ELNS1_11target_archE4294967295ELNS1_3gpuE0ELNS1_3repE0EEENS1_30default_config_static_selectorELNS0_4arch9wavefront6targetE1EEEvT1_,comdat
	.protected	_ZN7rocprim17ROCPRIM_400000_NS6detail17trampoline_kernelINS0_14default_configENS1_29reduce_by_key_config_selectorIflN6thrust23THRUST_200600_302600_NS4plusIlEEEEZZNS1_33reduce_by_key_impl_wrapped_configILNS1_25lookback_scan_determinismE0ES3_S9_PfNS6_17constant_iteratorIiNS6_11use_defaultESE_EENS6_10device_ptrIfEENSG_IlEEPmS8_NS6_8equal_toIfEEEE10hipError_tPvRmT2_T3_mT4_T5_T6_T7_T8_P12ihipStream_tbENKUlT_T0_E_clISt17integral_constantIbLb1EES12_IbLb0EEEEDaSY_SZ_EUlSY_E_NS1_11comp_targetILNS1_3genE0ELNS1_11target_archE4294967295ELNS1_3gpuE0ELNS1_3repE0EEENS1_30default_config_static_selectorELNS0_4arch9wavefront6targetE1EEEvT1_ ; -- Begin function _ZN7rocprim17ROCPRIM_400000_NS6detail17trampoline_kernelINS0_14default_configENS1_29reduce_by_key_config_selectorIflN6thrust23THRUST_200600_302600_NS4plusIlEEEEZZNS1_33reduce_by_key_impl_wrapped_configILNS1_25lookback_scan_determinismE0ES3_S9_PfNS6_17constant_iteratorIiNS6_11use_defaultESE_EENS6_10device_ptrIfEENSG_IlEEPmS8_NS6_8equal_toIfEEEE10hipError_tPvRmT2_T3_mT4_T5_T6_T7_T8_P12ihipStream_tbENKUlT_T0_E_clISt17integral_constantIbLb1EES12_IbLb0EEEEDaSY_SZ_EUlSY_E_NS1_11comp_targetILNS1_3genE0ELNS1_11target_archE4294967295ELNS1_3gpuE0ELNS1_3repE0EEENS1_30default_config_static_selectorELNS0_4arch9wavefront6targetE1EEEvT1_
	.globl	_ZN7rocprim17ROCPRIM_400000_NS6detail17trampoline_kernelINS0_14default_configENS1_29reduce_by_key_config_selectorIflN6thrust23THRUST_200600_302600_NS4plusIlEEEEZZNS1_33reduce_by_key_impl_wrapped_configILNS1_25lookback_scan_determinismE0ES3_S9_PfNS6_17constant_iteratorIiNS6_11use_defaultESE_EENS6_10device_ptrIfEENSG_IlEEPmS8_NS6_8equal_toIfEEEE10hipError_tPvRmT2_T3_mT4_T5_T6_T7_T8_P12ihipStream_tbENKUlT_T0_E_clISt17integral_constantIbLb1EES12_IbLb0EEEEDaSY_SZ_EUlSY_E_NS1_11comp_targetILNS1_3genE0ELNS1_11target_archE4294967295ELNS1_3gpuE0ELNS1_3repE0EEENS1_30default_config_static_selectorELNS0_4arch9wavefront6targetE1EEEvT1_
	.p2align	8
	.type	_ZN7rocprim17ROCPRIM_400000_NS6detail17trampoline_kernelINS0_14default_configENS1_29reduce_by_key_config_selectorIflN6thrust23THRUST_200600_302600_NS4plusIlEEEEZZNS1_33reduce_by_key_impl_wrapped_configILNS1_25lookback_scan_determinismE0ES3_S9_PfNS6_17constant_iteratorIiNS6_11use_defaultESE_EENS6_10device_ptrIfEENSG_IlEEPmS8_NS6_8equal_toIfEEEE10hipError_tPvRmT2_T3_mT4_T5_T6_T7_T8_P12ihipStream_tbENKUlT_T0_E_clISt17integral_constantIbLb1EES12_IbLb0EEEEDaSY_SZ_EUlSY_E_NS1_11comp_targetILNS1_3genE0ELNS1_11target_archE4294967295ELNS1_3gpuE0ELNS1_3repE0EEENS1_30default_config_static_selectorELNS0_4arch9wavefront6targetE1EEEvT1_,@function
_ZN7rocprim17ROCPRIM_400000_NS6detail17trampoline_kernelINS0_14default_configENS1_29reduce_by_key_config_selectorIflN6thrust23THRUST_200600_302600_NS4plusIlEEEEZZNS1_33reduce_by_key_impl_wrapped_configILNS1_25lookback_scan_determinismE0ES3_S9_PfNS6_17constant_iteratorIiNS6_11use_defaultESE_EENS6_10device_ptrIfEENSG_IlEEPmS8_NS6_8equal_toIfEEEE10hipError_tPvRmT2_T3_mT4_T5_T6_T7_T8_P12ihipStream_tbENKUlT_T0_E_clISt17integral_constantIbLb1EES12_IbLb0EEEEDaSY_SZ_EUlSY_E_NS1_11comp_targetILNS1_3genE0ELNS1_11target_archE4294967295ELNS1_3gpuE0ELNS1_3repE0EEENS1_30default_config_static_selectorELNS0_4arch9wavefront6targetE1EEEvT1_: ; @_ZN7rocprim17ROCPRIM_400000_NS6detail17trampoline_kernelINS0_14default_configENS1_29reduce_by_key_config_selectorIflN6thrust23THRUST_200600_302600_NS4plusIlEEEEZZNS1_33reduce_by_key_impl_wrapped_configILNS1_25lookback_scan_determinismE0ES3_S9_PfNS6_17constant_iteratorIiNS6_11use_defaultESE_EENS6_10device_ptrIfEENSG_IlEEPmS8_NS6_8equal_toIfEEEE10hipError_tPvRmT2_T3_mT4_T5_T6_T7_T8_P12ihipStream_tbENKUlT_T0_E_clISt17integral_constantIbLb1EES12_IbLb0EEEEDaSY_SZ_EUlSY_E_NS1_11comp_targetILNS1_3genE0ELNS1_11target_archE4294967295ELNS1_3gpuE0ELNS1_3repE0EEENS1_30default_config_static_selectorELNS0_4arch9wavefront6targetE1EEEvT1_
; %bb.0:
	.section	.rodata,"a",@progbits
	.p2align	6, 0x0
	.amdhsa_kernel _ZN7rocprim17ROCPRIM_400000_NS6detail17trampoline_kernelINS0_14default_configENS1_29reduce_by_key_config_selectorIflN6thrust23THRUST_200600_302600_NS4plusIlEEEEZZNS1_33reduce_by_key_impl_wrapped_configILNS1_25lookback_scan_determinismE0ES3_S9_PfNS6_17constant_iteratorIiNS6_11use_defaultESE_EENS6_10device_ptrIfEENSG_IlEEPmS8_NS6_8equal_toIfEEEE10hipError_tPvRmT2_T3_mT4_T5_T6_T7_T8_P12ihipStream_tbENKUlT_T0_E_clISt17integral_constantIbLb1EES12_IbLb0EEEEDaSY_SZ_EUlSY_E_NS1_11comp_targetILNS1_3genE0ELNS1_11target_archE4294967295ELNS1_3gpuE0ELNS1_3repE0EEENS1_30default_config_static_selectorELNS0_4arch9wavefront6targetE1EEEvT1_
		.amdhsa_group_segment_fixed_size 0
		.amdhsa_private_segment_fixed_size 0
		.amdhsa_kernarg_size 144
		.amdhsa_user_sgpr_count 6
		.amdhsa_user_sgpr_private_segment_buffer 1
		.amdhsa_user_sgpr_dispatch_ptr 0
		.amdhsa_user_sgpr_queue_ptr 0
		.amdhsa_user_sgpr_kernarg_segment_ptr 1
		.amdhsa_user_sgpr_dispatch_id 0
		.amdhsa_user_sgpr_flat_scratch_init 0
		.amdhsa_user_sgpr_kernarg_preload_length 0
		.amdhsa_user_sgpr_kernarg_preload_offset 0
		.amdhsa_user_sgpr_private_segment_size 0
		.amdhsa_uses_dynamic_stack 0
		.amdhsa_system_sgpr_private_segment_wavefront_offset 0
		.amdhsa_system_sgpr_workgroup_id_x 1
		.amdhsa_system_sgpr_workgroup_id_y 0
		.amdhsa_system_sgpr_workgroup_id_z 0
		.amdhsa_system_sgpr_workgroup_info 0
		.amdhsa_system_vgpr_workitem_id 0
		.amdhsa_next_free_vgpr 1
		.amdhsa_next_free_sgpr 0
		.amdhsa_accum_offset 4
		.amdhsa_reserve_vcc 0
		.amdhsa_reserve_flat_scratch 0
		.amdhsa_float_round_mode_32 0
		.amdhsa_float_round_mode_16_64 0
		.amdhsa_float_denorm_mode_32 3
		.amdhsa_float_denorm_mode_16_64 3
		.amdhsa_dx10_clamp 1
		.amdhsa_ieee_mode 1
		.amdhsa_fp16_overflow 0
		.amdhsa_tg_split 0
		.amdhsa_exception_fp_ieee_invalid_op 0
		.amdhsa_exception_fp_denorm_src 0
		.amdhsa_exception_fp_ieee_div_zero 0
		.amdhsa_exception_fp_ieee_overflow 0
		.amdhsa_exception_fp_ieee_underflow 0
		.amdhsa_exception_fp_ieee_inexact 0
		.amdhsa_exception_int_div_zero 0
	.end_amdhsa_kernel
	.section	.text._ZN7rocprim17ROCPRIM_400000_NS6detail17trampoline_kernelINS0_14default_configENS1_29reduce_by_key_config_selectorIflN6thrust23THRUST_200600_302600_NS4plusIlEEEEZZNS1_33reduce_by_key_impl_wrapped_configILNS1_25lookback_scan_determinismE0ES3_S9_PfNS6_17constant_iteratorIiNS6_11use_defaultESE_EENS6_10device_ptrIfEENSG_IlEEPmS8_NS6_8equal_toIfEEEE10hipError_tPvRmT2_T3_mT4_T5_T6_T7_T8_P12ihipStream_tbENKUlT_T0_E_clISt17integral_constantIbLb1EES12_IbLb0EEEEDaSY_SZ_EUlSY_E_NS1_11comp_targetILNS1_3genE0ELNS1_11target_archE4294967295ELNS1_3gpuE0ELNS1_3repE0EEENS1_30default_config_static_selectorELNS0_4arch9wavefront6targetE1EEEvT1_,"axG",@progbits,_ZN7rocprim17ROCPRIM_400000_NS6detail17trampoline_kernelINS0_14default_configENS1_29reduce_by_key_config_selectorIflN6thrust23THRUST_200600_302600_NS4plusIlEEEEZZNS1_33reduce_by_key_impl_wrapped_configILNS1_25lookback_scan_determinismE0ES3_S9_PfNS6_17constant_iteratorIiNS6_11use_defaultESE_EENS6_10device_ptrIfEENSG_IlEEPmS8_NS6_8equal_toIfEEEE10hipError_tPvRmT2_T3_mT4_T5_T6_T7_T8_P12ihipStream_tbENKUlT_T0_E_clISt17integral_constantIbLb1EES12_IbLb0EEEEDaSY_SZ_EUlSY_E_NS1_11comp_targetILNS1_3genE0ELNS1_11target_archE4294967295ELNS1_3gpuE0ELNS1_3repE0EEENS1_30default_config_static_selectorELNS0_4arch9wavefront6targetE1EEEvT1_,comdat
.Lfunc_end1924:
	.size	_ZN7rocprim17ROCPRIM_400000_NS6detail17trampoline_kernelINS0_14default_configENS1_29reduce_by_key_config_selectorIflN6thrust23THRUST_200600_302600_NS4plusIlEEEEZZNS1_33reduce_by_key_impl_wrapped_configILNS1_25lookback_scan_determinismE0ES3_S9_PfNS6_17constant_iteratorIiNS6_11use_defaultESE_EENS6_10device_ptrIfEENSG_IlEEPmS8_NS6_8equal_toIfEEEE10hipError_tPvRmT2_T3_mT4_T5_T6_T7_T8_P12ihipStream_tbENKUlT_T0_E_clISt17integral_constantIbLb1EES12_IbLb0EEEEDaSY_SZ_EUlSY_E_NS1_11comp_targetILNS1_3genE0ELNS1_11target_archE4294967295ELNS1_3gpuE0ELNS1_3repE0EEENS1_30default_config_static_selectorELNS0_4arch9wavefront6targetE1EEEvT1_, .Lfunc_end1924-_ZN7rocprim17ROCPRIM_400000_NS6detail17trampoline_kernelINS0_14default_configENS1_29reduce_by_key_config_selectorIflN6thrust23THRUST_200600_302600_NS4plusIlEEEEZZNS1_33reduce_by_key_impl_wrapped_configILNS1_25lookback_scan_determinismE0ES3_S9_PfNS6_17constant_iteratorIiNS6_11use_defaultESE_EENS6_10device_ptrIfEENSG_IlEEPmS8_NS6_8equal_toIfEEEE10hipError_tPvRmT2_T3_mT4_T5_T6_T7_T8_P12ihipStream_tbENKUlT_T0_E_clISt17integral_constantIbLb1EES12_IbLb0EEEEDaSY_SZ_EUlSY_E_NS1_11comp_targetILNS1_3genE0ELNS1_11target_archE4294967295ELNS1_3gpuE0ELNS1_3repE0EEENS1_30default_config_static_selectorELNS0_4arch9wavefront6targetE1EEEvT1_
                                        ; -- End function
	.section	.AMDGPU.csdata,"",@progbits
; Kernel info:
; codeLenInByte = 0
; NumSgprs: 4
; NumVgprs: 0
; NumAgprs: 0
; TotalNumVgprs: 0
; ScratchSize: 0
; MemoryBound: 0
; FloatMode: 240
; IeeeMode: 1
; LDSByteSize: 0 bytes/workgroup (compile time only)
; SGPRBlocks: 0
; VGPRBlocks: 0
; NumSGPRsForWavesPerEU: 4
; NumVGPRsForWavesPerEU: 1
; AccumOffset: 4
; Occupancy: 8
; WaveLimiterHint : 0
; COMPUTE_PGM_RSRC2:SCRATCH_EN: 0
; COMPUTE_PGM_RSRC2:USER_SGPR: 6
; COMPUTE_PGM_RSRC2:TRAP_HANDLER: 0
; COMPUTE_PGM_RSRC2:TGID_X_EN: 1
; COMPUTE_PGM_RSRC2:TGID_Y_EN: 0
; COMPUTE_PGM_RSRC2:TGID_Z_EN: 0
; COMPUTE_PGM_RSRC2:TIDIG_COMP_CNT: 0
; COMPUTE_PGM_RSRC3_GFX90A:ACCUM_OFFSET: 0
; COMPUTE_PGM_RSRC3_GFX90A:TG_SPLIT: 0
	.section	.text._ZN7rocprim17ROCPRIM_400000_NS6detail17trampoline_kernelINS0_14default_configENS1_29reduce_by_key_config_selectorIflN6thrust23THRUST_200600_302600_NS4plusIlEEEEZZNS1_33reduce_by_key_impl_wrapped_configILNS1_25lookback_scan_determinismE0ES3_S9_PfNS6_17constant_iteratorIiNS6_11use_defaultESE_EENS6_10device_ptrIfEENSG_IlEEPmS8_NS6_8equal_toIfEEEE10hipError_tPvRmT2_T3_mT4_T5_T6_T7_T8_P12ihipStream_tbENKUlT_T0_E_clISt17integral_constantIbLb1EES12_IbLb0EEEEDaSY_SZ_EUlSY_E_NS1_11comp_targetILNS1_3genE5ELNS1_11target_archE942ELNS1_3gpuE9ELNS1_3repE0EEENS1_30default_config_static_selectorELNS0_4arch9wavefront6targetE1EEEvT1_,"axG",@progbits,_ZN7rocprim17ROCPRIM_400000_NS6detail17trampoline_kernelINS0_14default_configENS1_29reduce_by_key_config_selectorIflN6thrust23THRUST_200600_302600_NS4plusIlEEEEZZNS1_33reduce_by_key_impl_wrapped_configILNS1_25lookback_scan_determinismE0ES3_S9_PfNS6_17constant_iteratorIiNS6_11use_defaultESE_EENS6_10device_ptrIfEENSG_IlEEPmS8_NS6_8equal_toIfEEEE10hipError_tPvRmT2_T3_mT4_T5_T6_T7_T8_P12ihipStream_tbENKUlT_T0_E_clISt17integral_constantIbLb1EES12_IbLb0EEEEDaSY_SZ_EUlSY_E_NS1_11comp_targetILNS1_3genE5ELNS1_11target_archE942ELNS1_3gpuE9ELNS1_3repE0EEENS1_30default_config_static_selectorELNS0_4arch9wavefront6targetE1EEEvT1_,comdat
	.protected	_ZN7rocprim17ROCPRIM_400000_NS6detail17trampoline_kernelINS0_14default_configENS1_29reduce_by_key_config_selectorIflN6thrust23THRUST_200600_302600_NS4plusIlEEEEZZNS1_33reduce_by_key_impl_wrapped_configILNS1_25lookback_scan_determinismE0ES3_S9_PfNS6_17constant_iteratorIiNS6_11use_defaultESE_EENS6_10device_ptrIfEENSG_IlEEPmS8_NS6_8equal_toIfEEEE10hipError_tPvRmT2_T3_mT4_T5_T6_T7_T8_P12ihipStream_tbENKUlT_T0_E_clISt17integral_constantIbLb1EES12_IbLb0EEEEDaSY_SZ_EUlSY_E_NS1_11comp_targetILNS1_3genE5ELNS1_11target_archE942ELNS1_3gpuE9ELNS1_3repE0EEENS1_30default_config_static_selectorELNS0_4arch9wavefront6targetE1EEEvT1_ ; -- Begin function _ZN7rocprim17ROCPRIM_400000_NS6detail17trampoline_kernelINS0_14default_configENS1_29reduce_by_key_config_selectorIflN6thrust23THRUST_200600_302600_NS4plusIlEEEEZZNS1_33reduce_by_key_impl_wrapped_configILNS1_25lookback_scan_determinismE0ES3_S9_PfNS6_17constant_iteratorIiNS6_11use_defaultESE_EENS6_10device_ptrIfEENSG_IlEEPmS8_NS6_8equal_toIfEEEE10hipError_tPvRmT2_T3_mT4_T5_T6_T7_T8_P12ihipStream_tbENKUlT_T0_E_clISt17integral_constantIbLb1EES12_IbLb0EEEEDaSY_SZ_EUlSY_E_NS1_11comp_targetILNS1_3genE5ELNS1_11target_archE942ELNS1_3gpuE9ELNS1_3repE0EEENS1_30default_config_static_selectorELNS0_4arch9wavefront6targetE1EEEvT1_
	.globl	_ZN7rocprim17ROCPRIM_400000_NS6detail17trampoline_kernelINS0_14default_configENS1_29reduce_by_key_config_selectorIflN6thrust23THRUST_200600_302600_NS4plusIlEEEEZZNS1_33reduce_by_key_impl_wrapped_configILNS1_25lookback_scan_determinismE0ES3_S9_PfNS6_17constant_iteratorIiNS6_11use_defaultESE_EENS6_10device_ptrIfEENSG_IlEEPmS8_NS6_8equal_toIfEEEE10hipError_tPvRmT2_T3_mT4_T5_T6_T7_T8_P12ihipStream_tbENKUlT_T0_E_clISt17integral_constantIbLb1EES12_IbLb0EEEEDaSY_SZ_EUlSY_E_NS1_11comp_targetILNS1_3genE5ELNS1_11target_archE942ELNS1_3gpuE9ELNS1_3repE0EEENS1_30default_config_static_selectorELNS0_4arch9wavefront6targetE1EEEvT1_
	.p2align	8
	.type	_ZN7rocprim17ROCPRIM_400000_NS6detail17trampoline_kernelINS0_14default_configENS1_29reduce_by_key_config_selectorIflN6thrust23THRUST_200600_302600_NS4plusIlEEEEZZNS1_33reduce_by_key_impl_wrapped_configILNS1_25lookback_scan_determinismE0ES3_S9_PfNS6_17constant_iteratorIiNS6_11use_defaultESE_EENS6_10device_ptrIfEENSG_IlEEPmS8_NS6_8equal_toIfEEEE10hipError_tPvRmT2_T3_mT4_T5_T6_T7_T8_P12ihipStream_tbENKUlT_T0_E_clISt17integral_constantIbLb1EES12_IbLb0EEEEDaSY_SZ_EUlSY_E_NS1_11comp_targetILNS1_3genE5ELNS1_11target_archE942ELNS1_3gpuE9ELNS1_3repE0EEENS1_30default_config_static_selectorELNS0_4arch9wavefront6targetE1EEEvT1_,@function
_ZN7rocprim17ROCPRIM_400000_NS6detail17trampoline_kernelINS0_14default_configENS1_29reduce_by_key_config_selectorIflN6thrust23THRUST_200600_302600_NS4plusIlEEEEZZNS1_33reduce_by_key_impl_wrapped_configILNS1_25lookback_scan_determinismE0ES3_S9_PfNS6_17constant_iteratorIiNS6_11use_defaultESE_EENS6_10device_ptrIfEENSG_IlEEPmS8_NS6_8equal_toIfEEEE10hipError_tPvRmT2_T3_mT4_T5_T6_T7_T8_P12ihipStream_tbENKUlT_T0_E_clISt17integral_constantIbLb1EES12_IbLb0EEEEDaSY_SZ_EUlSY_E_NS1_11comp_targetILNS1_3genE5ELNS1_11target_archE942ELNS1_3gpuE9ELNS1_3repE0EEENS1_30default_config_static_selectorELNS0_4arch9wavefront6targetE1EEEvT1_: ; @_ZN7rocprim17ROCPRIM_400000_NS6detail17trampoline_kernelINS0_14default_configENS1_29reduce_by_key_config_selectorIflN6thrust23THRUST_200600_302600_NS4plusIlEEEEZZNS1_33reduce_by_key_impl_wrapped_configILNS1_25lookback_scan_determinismE0ES3_S9_PfNS6_17constant_iteratorIiNS6_11use_defaultESE_EENS6_10device_ptrIfEENSG_IlEEPmS8_NS6_8equal_toIfEEEE10hipError_tPvRmT2_T3_mT4_T5_T6_T7_T8_P12ihipStream_tbENKUlT_T0_E_clISt17integral_constantIbLb1EES12_IbLb0EEEEDaSY_SZ_EUlSY_E_NS1_11comp_targetILNS1_3genE5ELNS1_11target_archE942ELNS1_3gpuE9ELNS1_3repE0EEENS1_30default_config_static_selectorELNS0_4arch9wavefront6targetE1EEEvT1_
; %bb.0:
	.section	.rodata,"a",@progbits
	.p2align	6, 0x0
	.amdhsa_kernel _ZN7rocprim17ROCPRIM_400000_NS6detail17trampoline_kernelINS0_14default_configENS1_29reduce_by_key_config_selectorIflN6thrust23THRUST_200600_302600_NS4plusIlEEEEZZNS1_33reduce_by_key_impl_wrapped_configILNS1_25lookback_scan_determinismE0ES3_S9_PfNS6_17constant_iteratorIiNS6_11use_defaultESE_EENS6_10device_ptrIfEENSG_IlEEPmS8_NS6_8equal_toIfEEEE10hipError_tPvRmT2_T3_mT4_T5_T6_T7_T8_P12ihipStream_tbENKUlT_T0_E_clISt17integral_constantIbLb1EES12_IbLb0EEEEDaSY_SZ_EUlSY_E_NS1_11comp_targetILNS1_3genE5ELNS1_11target_archE942ELNS1_3gpuE9ELNS1_3repE0EEENS1_30default_config_static_selectorELNS0_4arch9wavefront6targetE1EEEvT1_
		.amdhsa_group_segment_fixed_size 0
		.amdhsa_private_segment_fixed_size 0
		.amdhsa_kernarg_size 144
		.amdhsa_user_sgpr_count 6
		.amdhsa_user_sgpr_private_segment_buffer 1
		.amdhsa_user_sgpr_dispatch_ptr 0
		.amdhsa_user_sgpr_queue_ptr 0
		.amdhsa_user_sgpr_kernarg_segment_ptr 1
		.amdhsa_user_sgpr_dispatch_id 0
		.amdhsa_user_sgpr_flat_scratch_init 0
		.amdhsa_user_sgpr_kernarg_preload_length 0
		.amdhsa_user_sgpr_kernarg_preload_offset 0
		.amdhsa_user_sgpr_private_segment_size 0
		.amdhsa_uses_dynamic_stack 0
		.amdhsa_system_sgpr_private_segment_wavefront_offset 0
		.amdhsa_system_sgpr_workgroup_id_x 1
		.amdhsa_system_sgpr_workgroup_id_y 0
		.amdhsa_system_sgpr_workgroup_id_z 0
		.amdhsa_system_sgpr_workgroup_info 0
		.amdhsa_system_vgpr_workitem_id 0
		.amdhsa_next_free_vgpr 1
		.amdhsa_next_free_sgpr 0
		.amdhsa_accum_offset 4
		.amdhsa_reserve_vcc 0
		.amdhsa_reserve_flat_scratch 0
		.amdhsa_float_round_mode_32 0
		.amdhsa_float_round_mode_16_64 0
		.amdhsa_float_denorm_mode_32 3
		.amdhsa_float_denorm_mode_16_64 3
		.amdhsa_dx10_clamp 1
		.amdhsa_ieee_mode 1
		.amdhsa_fp16_overflow 0
		.amdhsa_tg_split 0
		.amdhsa_exception_fp_ieee_invalid_op 0
		.amdhsa_exception_fp_denorm_src 0
		.amdhsa_exception_fp_ieee_div_zero 0
		.amdhsa_exception_fp_ieee_overflow 0
		.amdhsa_exception_fp_ieee_underflow 0
		.amdhsa_exception_fp_ieee_inexact 0
		.amdhsa_exception_int_div_zero 0
	.end_amdhsa_kernel
	.section	.text._ZN7rocprim17ROCPRIM_400000_NS6detail17trampoline_kernelINS0_14default_configENS1_29reduce_by_key_config_selectorIflN6thrust23THRUST_200600_302600_NS4plusIlEEEEZZNS1_33reduce_by_key_impl_wrapped_configILNS1_25lookback_scan_determinismE0ES3_S9_PfNS6_17constant_iteratorIiNS6_11use_defaultESE_EENS6_10device_ptrIfEENSG_IlEEPmS8_NS6_8equal_toIfEEEE10hipError_tPvRmT2_T3_mT4_T5_T6_T7_T8_P12ihipStream_tbENKUlT_T0_E_clISt17integral_constantIbLb1EES12_IbLb0EEEEDaSY_SZ_EUlSY_E_NS1_11comp_targetILNS1_3genE5ELNS1_11target_archE942ELNS1_3gpuE9ELNS1_3repE0EEENS1_30default_config_static_selectorELNS0_4arch9wavefront6targetE1EEEvT1_,"axG",@progbits,_ZN7rocprim17ROCPRIM_400000_NS6detail17trampoline_kernelINS0_14default_configENS1_29reduce_by_key_config_selectorIflN6thrust23THRUST_200600_302600_NS4plusIlEEEEZZNS1_33reduce_by_key_impl_wrapped_configILNS1_25lookback_scan_determinismE0ES3_S9_PfNS6_17constant_iteratorIiNS6_11use_defaultESE_EENS6_10device_ptrIfEENSG_IlEEPmS8_NS6_8equal_toIfEEEE10hipError_tPvRmT2_T3_mT4_T5_T6_T7_T8_P12ihipStream_tbENKUlT_T0_E_clISt17integral_constantIbLb1EES12_IbLb0EEEEDaSY_SZ_EUlSY_E_NS1_11comp_targetILNS1_3genE5ELNS1_11target_archE942ELNS1_3gpuE9ELNS1_3repE0EEENS1_30default_config_static_selectorELNS0_4arch9wavefront6targetE1EEEvT1_,comdat
.Lfunc_end1925:
	.size	_ZN7rocprim17ROCPRIM_400000_NS6detail17trampoline_kernelINS0_14default_configENS1_29reduce_by_key_config_selectorIflN6thrust23THRUST_200600_302600_NS4plusIlEEEEZZNS1_33reduce_by_key_impl_wrapped_configILNS1_25lookback_scan_determinismE0ES3_S9_PfNS6_17constant_iteratorIiNS6_11use_defaultESE_EENS6_10device_ptrIfEENSG_IlEEPmS8_NS6_8equal_toIfEEEE10hipError_tPvRmT2_T3_mT4_T5_T6_T7_T8_P12ihipStream_tbENKUlT_T0_E_clISt17integral_constantIbLb1EES12_IbLb0EEEEDaSY_SZ_EUlSY_E_NS1_11comp_targetILNS1_3genE5ELNS1_11target_archE942ELNS1_3gpuE9ELNS1_3repE0EEENS1_30default_config_static_selectorELNS0_4arch9wavefront6targetE1EEEvT1_, .Lfunc_end1925-_ZN7rocprim17ROCPRIM_400000_NS6detail17trampoline_kernelINS0_14default_configENS1_29reduce_by_key_config_selectorIflN6thrust23THRUST_200600_302600_NS4plusIlEEEEZZNS1_33reduce_by_key_impl_wrapped_configILNS1_25lookback_scan_determinismE0ES3_S9_PfNS6_17constant_iteratorIiNS6_11use_defaultESE_EENS6_10device_ptrIfEENSG_IlEEPmS8_NS6_8equal_toIfEEEE10hipError_tPvRmT2_T3_mT4_T5_T6_T7_T8_P12ihipStream_tbENKUlT_T0_E_clISt17integral_constantIbLb1EES12_IbLb0EEEEDaSY_SZ_EUlSY_E_NS1_11comp_targetILNS1_3genE5ELNS1_11target_archE942ELNS1_3gpuE9ELNS1_3repE0EEENS1_30default_config_static_selectorELNS0_4arch9wavefront6targetE1EEEvT1_
                                        ; -- End function
	.section	.AMDGPU.csdata,"",@progbits
; Kernel info:
; codeLenInByte = 0
; NumSgprs: 4
; NumVgprs: 0
; NumAgprs: 0
; TotalNumVgprs: 0
; ScratchSize: 0
; MemoryBound: 0
; FloatMode: 240
; IeeeMode: 1
; LDSByteSize: 0 bytes/workgroup (compile time only)
; SGPRBlocks: 0
; VGPRBlocks: 0
; NumSGPRsForWavesPerEU: 4
; NumVGPRsForWavesPerEU: 1
; AccumOffset: 4
; Occupancy: 8
; WaveLimiterHint : 0
; COMPUTE_PGM_RSRC2:SCRATCH_EN: 0
; COMPUTE_PGM_RSRC2:USER_SGPR: 6
; COMPUTE_PGM_RSRC2:TRAP_HANDLER: 0
; COMPUTE_PGM_RSRC2:TGID_X_EN: 1
; COMPUTE_PGM_RSRC2:TGID_Y_EN: 0
; COMPUTE_PGM_RSRC2:TGID_Z_EN: 0
; COMPUTE_PGM_RSRC2:TIDIG_COMP_CNT: 0
; COMPUTE_PGM_RSRC3_GFX90A:ACCUM_OFFSET: 0
; COMPUTE_PGM_RSRC3_GFX90A:TG_SPLIT: 0
	.section	.text._ZN7rocprim17ROCPRIM_400000_NS6detail17trampoline_kernelINS0_14default_configENS1_29reduce_by_key_config_selectorIflN6thrust23THRUST_200600_302600_NS4plusIlEEEEZZNS1_33reduce_by_key_impl_wrapped_configILNS1_25lookback_scan_determinismE0ES3_S9_PfNS6_17constant_iteratorIiNS6_11use_defaultESE_EENS6_10device_ptrIfEENSG_IlEEPmS8_NS6_8equal_toIfEEEE10hipError_tPvRmT2_T3_mT4_T5_T6_T7_T8_P12ihipStream_tbENKUlT_T0_E_clISt17integral_constantIbLb1EES12_IbLb0EEEEDaSY_SZ_EUlSY_E_NS1_11comp_targetILNS1_3genE4ELNS1_11target_archE910ELNS1_3gpuE8ELNS1_3repE0EEENS1_30default_config_static_selectorELNS0_4arch9wavefront6targetE1EEEvT1_,"axG",@progbits,_ZN7rocprim17ROCPRIM_400000_NS6detail17trampoline_kernelINS0_14default_configENS1_29reduce_by_key_config_selectorIflN6thrust23THRUST_200600_302600_NS4plusIlEEEEZZNS1_33reduce_by_key_impl_wrapped_configILNS1_25lookback_scan_determinismE0ES3_S9_PfNS6_17constant_iteratorIiNS6_11use_defaultESE_EENS6_10device_ptrIfEENSG_IlEEPmS8_NS6_8equal_toIfEEEE10hipError_tPvRmT2_T3_mT4_T5_T6_T7_T8_P12ihipStream_tbENKUlT_T0_E_clISt17integral_constantIbLb1EES12_IbLb0EEEEDaSY_SZ_EUlSY_E_NS1_11comp_targetILNS1_3genE4ELNS1_11target_archE910ELNS1_3gpuE8ELNS1_3repE0EEENS1_30default_config_static_selectorELNS0_4arch9wavefront6targetE1EEEvT1_,comdat
	.protected	_ZN7rocprim17ROCPRIM_400000_NS6detail17trampoline_kernelINS0_14default_configENS1_29reduce_by_key_config_selectorIflN6thrust23THRUST_200600_302600_NS4plusIlEEEEZZNS1_33reduce_by_key_impl_wrapped_configILNS1_25lookback_scan_determinismE0ES3_S9_PfNS6_17constant_iteratorIiNS6_11use_defaultESE_EENS6_10device_ptrIfEENSG_IlEEPmS8_NS6_8equal_toIfEEEE10hipError_tPvRmT2_T3_mT4_T5_T6_T7_T8_P12ihipStream_tbENKUlT_T0_E_clISt17integral_constantIbLb1EES12_IbLb0EEEEDaSY_SZ_EUlSY_E_NS1_11comp_targetILNS1_3genE4ELNS1_11target_archE910ELNS1_3gpuE8ELNS1_3repE0EEENS1_30default_config_static_selectorELNS0_4arch9wavefront6targetE1EEEvT1_ ; -- Begin function _ZN7rocprim17ROCPRIM_400000_NS6detail17trampoline_kernelINS0_14default_configENS1_29reduce_by_key_config_selectorIflN6thrust23THRUST_200600_302600_NS4plusIlEEEEZZNS1_33reduce_by_key_impl_wrapped_configILNS1_25lookback_scan_determinismE0ES3_S9_PfNS6_17constant_iteratorIiNS6_11use_defaultESE_EENS6_10device_ptrIfEENSG_IlEEPmS8_NS6_8equal_toIfEEEE10hipError_tPvRmT2_T3_mT4_T5_T6_T7_T8_P12ihipStream_tbENKUlT_T0_E_clISt17integral_constantIbLb1EES12_IbLb0EEEEDaSY_SZ_EUlSY_E_NS1_11comp_targetILNS1_3genE4ELNS1_11target_archE910ELNS1_3gpuE8ELNS1_3repE0EEENS1_30default_config_static_selectorELNS0_4arch9wavefront6targetE1EEEvT1_
	.globl	_ZN7rocprim17ROCPRIM_400000_NS6detail17trampoline_kernelINS0_14default_configENS1_29reduce_by_key_config_selectorIflN6thrust23THRUST_200600_302600_NS4plusIlEEEEZZNS1_33reduce_by_key_impl_wrapped_configILNS1_25lookback_scan_determinismE0ES3_S9_PfNS6_17constant_iteratorIiNS6_11use_defaultESE_EENS6_10device_ptrIfEENSG_IlEEPmS8_NS6_8equal_toIfEEEE10hipError_tPvRmT2_T3_mT4_T5_T6_T7_T8_P12ihipStream_tbENKUlT_T0_E_clISt17integral_constantIbLb1EES12_IbLb0EEEEDaSY_SZ_EUlSY_E_NS1_11comp_targetILNS1_3genE4ELNS1_11target_archE910ELNS1_3gpuE8ELNS1_3repE0EEENS1_30default_config_static_selectorELNS0_4arch9wavefront6targetE1EEEvT1_
	.p2align	8
	.type	_ZN7rocprim17ROCPRIM_400000_NS6detail17trampoline_kernelINS0_14default_configENS1_29reduce_by_key_config_selectorIflN6thrust23THRUST_200600_302600_NS4plusIlEEEEZZNS1_33reduce_by_key_impl_wrapped_configILNS1_25lookback_scan_determinismE0ES3_S9_PfNS6_17constant_iteratorIiNS6_11use_defaultESE_EENS6_10device_ptrIfEENSG_IlEEPmS8_NS6_8equal_toIfEEEE10hipError_tPvRmT2_T3_mT4_T5_T6_T7_T8_P12ihipStream_tbENKUlT_T0_E_clISt17integral_constantIbLb1EES12_IbLb0EEEEDaSY_SZ_EUlSY_E_NS1_11comp_targetILNS1_3genE4ELNS1_11target_archE910ELNS1_3gpuE8ELNS1_3repE0EEENS1_30default_config_static_selectorELNS0_4arch9wavefront6targetE1EEEvT1_,@function
_ZN7rocprim17ROCPRIM_400000_NS6detail17trampoline_kernelINS0_14default_configENS1_29reduce_by_key_config_selectorIflN6thrust23THRUST_200600_302600_NS4plusIlEEEEZZNS1_33reduce_by_key_impl_wrapped_configILNS1_25lookback_scan_determinismE0ES3_S9_PfNS6_17constant_iteratorIiNS6_11use_defaultESE_EENS6_10device_ptrIfEENSG_IlEEPmS8_NS6_8equal_toIfEEEE10hipError_tPvRmT2_T3_mT4_T5_T6_T7_T8_P12ihipStream_tbENKUlT_T0_E_clISt17integral_constantIbLb1EES12_IbLb0EEEEDaSY_SZ_EUlSY_E_NS1_11comp_targetILNS1_3genE4ELNS1_11target_archE910ELNS1_3gpuE8ELNS1_3repE0EEENS1_30default_config_static_selectorELNS0_4arch9wavefront6targetE1EEEvT1_: ; @_ZN7rocprim17ROCPRIM_400000_NS6detail17trampoline_kernelINS0_14default_configENS1_29reduce_by_key_config_selectorIflN6thrust23THRUST_200600_302600_NS4plusIlEEEEZZNS1_33reduce_by_key_impl_wrapped_configILNS1_25lookback_scan_determinismE0ES3_S9_PfNS6_17constant_iteratorIiNS6_11use_defaultESE_EENS6_10device_ptrIfEENSG_IlEEPmS8_NS6_8equal_toIfEEEE10hipError_tPvRmT2_T3_mT4_T5_T6_T7_T8_P12ihipStream_tbENKUlT_T0_E_clISt17integral_constantIbLb1EES12_IbLb0EEEEDaSY_SZ_EUlSY_E_NS1_11comp_targetILNS1_3genE4ELNS1_11target_archE910ELNS1_3gpuE8ELNS1_3repE0EEENS1_30default_config_static_selectorELNS0_4arch9wavefront6targetE1EEEvT1_
; %bb.0:
	s_load_dwordx16 s[36:51], s[4:5], 0x40
	s_load_dwordx4 s[0:3], s[4:5], 0x0
	s_load_dword s10, s[4:5], 0x18
	s_load_dwordx4 s[52:55], s[4:5], 0x20
	s_load_dwordx2 s[34:35], s[4:5], 0x30
	s_waitcnt lgkmcnt(0)
	s_mul_i32 s7, s44, s43
	s_mul_hi_u32 s8, s44, s42
	s_add_i32 s7, s8, s7
	s_mul_i32 s8, s45, s42
	s_add_i32 s7, s7, s8
	s_lshl_b64 s[2:3], s[2:3], 2
	s_add_u32 s2, s0, s2
	s_addc_u32 s3, s1, s3
	s_mul_i32 s0, s6, 0xf00
	s_mov_b32 s1, 0
	s_lshl_b64 s[0:1], s[0:1], 2
	s_add_u32 s0, s2, s0
	s_mul_i32 s8, s44, s42
	s_addc_u32 s1, s3, s1
	s_add_u32 s2, s8, s6
	s_addc_u32 s3, s7, 0
	s_add_u32 s14, s46, -1
	s_addc_u32 s15, s47, -1
	s_cmp_eq_u64 s[2:3], s[14:15]
	s_cselect_b64 s[44:45], -1, 0
	s_cmp_lg_u64 s[2:3], s[14:15]
	s_mov_b64 s[12:13], -1
	s_cselect_b64 s[8:9], -1, 0
	s_mul_i32 s33, s14, 0xfffff100
	s_and_b64 vcc, exec, s[44:45]
	s_cbranch_vccnz .LBB1926_2
; %bb.1:
	v_lshlrev_b32_e32 v1, 2, v0
	v_mov_b32_e32 v2, s1
	v_add_co_u32_e32 v4, vcc, s0, v1
	v_addc_co_u32_e32 v5, vcc, 0, v2, vcc
	v_add_co_u32_e32 v2, vcc, 0x1000, v4
	v_addc_co_u32_e32 v3, vcc, 0, v5, vcc
	global_load_dword v6, v1, s[0:1]
	global_load_dword v7, v1, s[0:1] offset:1024
	global_load_dword v8, v1, s[0:1] offset:2048
	;; [unrolled: 1-line block ×3, first 2 shown]
	global_load_dword v10, v[2:3], off
	global_load_dword v11, v[2:3], off offset:1024
	global_load_dword v12, v[2:3], off offset:2048
	;; [unrolled: 1-line block ×3, first 2 shown]
	v_add_co_u32_e32 v2, vcc, 0x2000, v4
	v_addc_co_u32_e32 v3, vcc, 0, v5, vcc
	v_add_co_u32_e32 v4, vcc, 0x3000, v4
	v_addc_co_u32_e32 v5, vcc, 0, v5, vcc
	global_load_dword v14, v[2:3], off
	global_load_dword v15, v[2:3], off offset:1024
	global_load_dword v16, v[2:3], off offset:2048
	;; [unrolled: 1-line block ×3, first 2 shown]
	global_load_dword v30, v[4:5], off
	global_load_dword v31, v[4:5], off offset:1024
	global_load_dword v32, v[4:5], off offset:2048
	v_mad_u32_u24 v33, v0, 56, v1
	s_ashr_i32 s11, s10, 31
	s_movk_i32 s7, 0xffcc
	v_mul_u32_u24_e32 v2, 15, v0
	v_mad_u32_u24 v19, v0, 15, 1
	v_mad_u32_u24 v3, v0, 15, 2
	;; [unrolled: 1-line block ×14, first 2 shown]
	v_pk_mov_b32 v[26:27], s[10:11], s[10:11] op_sel:[0,1]
	v_mad_i32_i24 v34, v0, s7, v33
	s_waitcnt vmcnt(13)
	ds_write2st64_b32 v1, v6, v7 offset1:4
	s_waitcnt vmcnt(11)
	ds_write2st64_b32 v1, v8, v9 offset0:8 offset1:12
	s_waitcnt vmcnt(9)
	ds_write2st64_b32 v1, v10, v11 offset0:16 offset1:20
	;; [unrolled: 2-line block ×6, first 2 shown]
	s_waitcnt vmcnt(0)
	ds_write_b32 v1, v32 offset:14336
	s_waitcnt lgkmcnt(0)
	s_barrier
	ds_read2_b32 v[16:17], v33 offset1:1
	ds_read2_b32 v[14:15], v33 offset0:2 offset1:3
	ds_read2_b32 v[12:13], v33 offset0:4 offset1:5
	;; [unrolled: 1-line block ×6, first 2 shown]
	ds_read_b32 v1, v33 offset:56
	s_waitcnt lgkmcnt(7)
	v_mov_b32_e32 v52, v16
	s_waitcnt lgkmcnt(6)
	v_mov_b32_e32 v53, v14
	;; [unrolled: 2-line block ×7, first 2 shown]
	s_waitcnt lgkmcnt(0)
	s_barrier
	ds_write2st64_b64 v34, v[26:27], v[26:27] offset1:4
	ds_write2st64_b64 v34, v[26:27], v[26:27] offset0:8 offset1:12
	ds_write2st64_b64 v34, v[26:27], v[26:27] offset0:16 offset1:20
	;; [unrolled: 1-line block ×6, first 2 shown]
	ds_write_b64 v34, v[26:27] offset:28672
	s_waitcnt lgkmcnt(0)
	s_barrier
	s_load_dwordx2 s[30:31], s[4:5], 0x80
	s_add_i32 s33, s33, s48
	s_cbranch_execz .LBB1926_3
	s_branch .LBB1926_34
.LBB1926_2:
                                        ; implicit-def: $vgpr1
                                        ; implicit-def: $vgpr4
                                        ; implicit-def: $vgpr6
                                        ; implicit-def: $vgpr8
                                        ; implicit-def: $vgpr10
                                        ; implicit-def: $vgpr12
                                        ; implicit-def: $vgpr14
                                        ; implicit-def: $vgpr16
                                        ; implicit-def: $vgpr45
                                        ; implicit-def: $vgpr54
                                        ; implicit-def: $vgpr44
                                        ; implicit-def: $vgpr29
                                        ; implicit-def: $vgpr24
                                        ; implicit-def: $vgpr28
                                        ; implicit-def: $vgpr23
                                        ; implicit-def: $vgpr25
                                        ; implicit-def: $vgpr20
                                        ; implicit-def: $vgpr22
                                        ; implicit-def: $vgpr18
                                        ; implicit-def: $vgpr21
                                        ; implicit-def: $vgpr3
                                        ; implicit-def: $vgpr19
                                        ; implicit-def: $vgpr2
                                        ; implicit-def: $vgpr46_vgpr47
                                        ; implicit-def: $vgpr48_vgpr49
                                        ; implicit-def: $vgpr52_vgpr53
                                        ; implicit-def: $vgpr50_vgpr51
	s_load_dwordx2 s[30:31], s[4:5], 0x80
	s_andn2_b64 vcc, exec, s[12:13]
	s_add_i32 s33, s33, s48
	s_cbranch_vccnz .LBB1926_34
.LBB1926_3:
	v_cmp_gt_u32_e32 vcc, s33, v0
                                        ; implicit-def: $vgpr1
	s_and_saveexec_b64 s[4:5], vcc
	s_cbranch_execz .LBB1926_5
; %bb.4:
	v_lshlrev_b32_e32 v1, 2, v0
	global_load_dword v1, v1, s[0:1]
.LBB1926_5:
	s_or_b64 exec, exec, s[4:5]
	v_or_b32_e32 v2, 0x100, v0
	v_cmp_gt_u32_e32 vcc, s33, v2
                                        ; implicit-def: $vgpr2
	s_and_saveexec_b64 s[4:5], vcc
	s_cbranch_execz .LBB1926_7
; %bb.6:
	v_lshlrev_b32_e32 v2, 2, v0
	global_load_dword v2, v2, s[0:1] offset:1024
.LBB1926_7:
	s_or_b64 exec, exec, s[4:5]
	v_or_b32_e32 v3, 0x200, v0
	v_cmp_gt_u32_e32 vcc, s33, v3
                                        ; implicit-def: $vgpr3
	s_and_saveexec_b64 s[4:5], vcc
	s_cbranch_execz .LBB1926_9
; %bb.8:
	v_lshlrev_b32_e32 v3, 2, v0
	global_load_dword v3, v3, s[0:1] offset:2048
.LBB1926_9:
	s_or_b64 exec, exec, s[4:5]
	v_or_b32_e32 v4, 0x300, v0
	v_cmp_gt_u32_e32 vcc, s33, v4
                                        ; implicit-def: $vgpr4
	s_and_saveexec_b64 s[4:5], vcc
	s_cbranch_execz .LBB1926_11
; %bb.10:
	v_lshlrev_b32_e32 v4, 2, v0
	global_load_dword v4, v4, s[0:1] offset:3072
.LBB1926_11:
	s_or_b64 exec, exec, s[4:5]
	v_or_b32_e32 v6, 0x400, v0
	v_cmp_gt_u32_e32 vcc, s33, v6
                                        ; implicit-def: $vgpr5
	s_and_saveexec_b64 s[4:5], vcc
	s_cbranch_execz .LBB1926_13
; %bb.12:
	v_lshlrev_b32_e32 v5, 2, v6
	global_load_dword v5, v5, s[0:1]
.LBB1926_13:
	s_or_b64 exec, exec, s[4:5]
	v_or_b32_e32 v7, 0x500, v0
	v_cmp_gt_u32_e32 vcc, s33, v7
                                        ; implicit-def: $vgpr6
	s_and_saveexec_b64 s[4:5], vcc
	s_cbranch_execz .LBB1926_15
; %bb.14:
	v_lshlrev_b32_e32 v6, 2, v7
	global_load_dword v6, v6, s[0:1]
.LBB1926_15:
	s_or_b64 exec, exec, s[4:5]
	v_or_b32_e32 v8, 0x600, v0
	v_cmp_gt_u32_e32 vcc, s33, v8
                                        ; implicit-def: $vgpr7
	s_and_saveexec_b64 s[4:5], vcc
	s_cbranch_execz .LBB1926_17
; %bb.16:
	v_lshlrev_b32_e32 v7, 2, v8
	global_load_dword v7, v7, s[0:1]
.LBB1926_17:
	s_or_b64 exec, exec, s[4:5]
	v_or_b32_e32 v9, 0x700, v0
	v_cmp_gt_u32_e32 vcc, s33, v9
                                        ; implicit-def: $vgpr8
	s_and_saveexec_b64 s[4:5], vcc
	s_cbranch_execz .LBB1926_19
; %bb.18:
	v_lshlrev_b32_e32 v8, 2, v9
	global_load_dword v8, v8, s[0:1]
.LBB1926_19:
	s_or_b64 exec, exec, s[4:5]
	v_or_b32_e32 v10, 0x800, v0
	v_cmp_gt_u32_e32 vcc, s33, v10
                                        ; implicit-def: $vgpr9
	s_and_saveexec_b64 s[4:5], vcc
	s_cbranch_execz .LBB1926_21
; %bb.20:
	v_lshlrev_b32_e32 v9, 2, v10
	global_load_dword v9, v9, s[0:1]
.LBB1926_21:
	s_or_b64 exec, exec, s[4:5]
	v_or_b32_e32 v11, 0x900, v0
	v_cmp_gt_u32_e32 vcc, s33, v11
                                        ; implicit-def: $vgpr10
	s_and_saveexec_b64 s[4:5], vcc
	s_cbranch_execz .LBB1926_23
; %bb.22:
	v_lshlrev_b32_e32 v10, 2, v11
	global_load_dword v10, v10, s[0:1]
.LBB1926_23:
	s_or_b64 exec, exec, s[4:5]
	v_or_b32_e32 v12, 0xa00, v0
	v_cmp_gt_u32_e32 vcc, s33, v12
                                        ; implicit-def: $vgpr11
	s_and_saveexec_b64 s[4:5], vcc
	s_cbranch_execz .LBB1926_25
; %bb.24:
	v_lshlrev_b32_e32 v11, 2, v12
	global_load_dword v11, v11, s[0:1]
.LBB1926_25:
	s_or_b64 exec, exec, s[4:5]
	v_or_b32_e32 v13, 0xb00, v0
	v_cmp_gt_u32_e32 vcc, s33, v13
                                        ; implicit-def: $vgpr12
	s_and_saveexec_b64 s[4:5], vcc
	s_cbranch_execz .LBB1926_27
; %bb.26:
	v_lshlrev_b32_e32 v12, 2, v13
	global_load_dword v12, v12, s[0:1]
.LBB1926_27:
	s_or_b64 exec, exec, s[4:5]
	v_or_b32_e32 v14, 0xc00, v0
	v_cmp_gt_u32_e32 vcc, s33, v14
                                        ; implicit-def: $vgpr13
	s_and_saveexec_b64 s[4:5], vcc
	s_cbranch_execz .LBB1926_29
; %bb.28:
	v_lshlrev_b32_e32 v13, 2, v14
	global_load_dword v13, v13, s[0:1]
.LBB1926_29:
	s_or_b64 exec, exec, s[4:5]
	v_or_b32_e32 v15, 0xd00, v0
	v_cmp_gt_u32_e32 vcc, s33, v15
                                        ; implicit-def: $vgpr14
	s_and_saveexec_b64 s[4:5], vcc
	s_cbranch_execz .LBB1926_31
; %bb.30:
	v_lshlrev_b32_e32 v14, 2, v15
	global_load_dword v14, v14, s[0:1]
.LBB1926_31:
	s_or_b64 exec, exec, s[4:5]
	v_or_b32_e32 v16, 0xe00, v0
	v_cmp_gt_u32_e32 vcc, s33, v16
                                        ; implicit-def: $vgpr15
	s_and_saveexec_b64 s[4:5], vcc
	s_cbranch_execz .LBB1926_33
; %bb.32:
	v_lshlrev_b32_e32 v15, 2, v16
	global_load_dword v15, v15, s[0:1]
.LBB1926_33:
	s_or_b64 exec, exec, s[4:5]
	v_lshlrev_b32_e32 v16, 2, v0
	v_mad_u32_u24 v26, v0, 56, v16
	s_waitcnt vmcnt(0)
	ds_write2st64_b32 v16, v1, v2 offset1:4
	ds_write2st64_b32 v16, v3, v4 offset0:8 offset1:12
	ds_write2st64_b32 v16, v5, v6 offset0:16 offset1:20
	;; [unrolled: 1-line block ×6, first 2 shown]
	ds_write_b32 v16, v15 offset:14336
	s_waitcnt lgkmcnt(0)
	s_barrier
	ds_read2_b32 v[16:17], v26 offset1:1
	ds_read2_b32 v[14:15], v26 offset0:2 offset1:3
	ds_read2_b32 v[12:13], v26 offset0:4 offset1:5
	;; [unrolled: 1-line block ×6, first 2 shown]
	ds_read_b32 v1, v26 offset:56
	s_ashr_i32 s11, s10, 31
	s_movk_i32 s4, 0xffcc
	v_mul_u32_u24_e32 v2, 15, v0
	v_mad_u32_u24 v19, v0, 15, 1
	v_mad_u32_u24 v3, v0, 15, 2
	;; [unrolled: 1-line block ×14, first 2 shown]
	v_mad_i32_i24 v30, v0, s4, v26
	v_pk_mov_b32 v[26:27], s[10:11], s[10:11] op_sel:[0,1]
	s_waitcnt lgkmcnt(7)
	v_mov_b32_e32 v52, v16
	s_waitcnt lgkmcnt(6)
	v_mov_b32_e32 v53, v14
	;; [unrolled: 2-line block ×7, first 2 shown]
	s_waitcnt lgkmcnt(0)
	s_barrier
	ds_write2st64_b64 v30, v[26:27], v[26:27] offset1:4
	ds_write2st64_b64 v30, v[26:27], v[26:27] offset0:8 offset1:12
	ds_write2st64_b64 v30, v[26:27], v[26:27] offset0:16 offset1:20
	;; [unrolled: 1-line block ×6, first 2 shown]
	ds_write_b64 v30, v[26:27] offset:28672
	s_waitcnt lgkmcnt(0)
	s_barrier
.LBB1926_34:
	v_lshlrev_b32_e32 v2, 3, v2
	v_lshlrev_b32_e32 v3, 3, v3
	s_waitcnt lgkmcnt(0)
	v_lshlrev_b32_e32 v19, 3, v19
	v_lshlrev_b32_e32 v21, 3, v21
	ds_read_b64 v[42:43], v2
	ds_read_b64 v[40:41], v19
	ds_read_b64 v[38:39], v3
	ds_read_b64 v[34:35], v21
	v_lshlrev_b32_e32 v2, 3, v18
	v_lshlrev_b32_e32 v3, 3, v22
	v_lshlrev_b32_e32 v18, 3, v20
	v_lshlrev_b32_e32 v19, 3, v25
	ds_read_b64 v[36:37], v2
	ds_read_b64 v[32:33], v3
	ds_read_b64 v[30:31], v18
	ds_read_b64 v[26:27], v19
	v_lshlrev_b32_e32 v2, 3, v23
	v_lshlrev_b32_e32 v3, 3, v28
	;; [unrolled: 8-line block ×3, first 2 shown]
	v_lshlrev_b32_e32 v44, 3, v45
	ds_read_b64 v[18:19], v2
	ds_read_b64 v[2:3], v3
	;; [unrolled: 1-line block ×3, first 2 shown]
	s_cmp_eq_u64 s[2:3], 0
	s_cselect_b64 s[46:47], -1, 0
	s_cmp_lg_u64 s[2:3], 0
	s_mov_b64 s[4:5], 0
	s_cselect_b64 s[10:11], -1, 0
	s_and_b64 vcc, exec, s[8:9]
	s_waitcnt lgkmcnt(0)
	s_barrier
	s_cbranch_vccz .LBB1926_40
; %bb.35:
	s_and_b64 vcc, exec, s[10:11]
	s_cbranch_vccz .LBB1926_41
; %bb.36:
	s_add_u32 s4, s0, -4
	s_addc_u32 s5, s1, -1
	s_load_dword s4, s[4:5], 0x0
	v_lshlrev_b32_e32 v54, 2, v0
	v_cmp_ne_u32_e32 vcc, 0, v0
	ds_write_b32 v54, v1
	s_waitcnt lgkmcnt(0)
	v_mov_b32_e32 v51, s4
	s_barrier
	s_and_saveexec_b64 s[4:5], vcc
	s_cbranch_execz .LBB1926_38
; %bb.37:
	v_add_u32_e32 v51, -4, v54
	ds_read_b32 v51, v51
.LBB1926_38:
	s_or_b64 exec, exec, s[4:5]
	v_cmp_neq_f32_e32 vcc, v52, v17
	v_cndmask_b32_e64 v95, 0, 1, vcc
	v_cmp_neq_f32_e32 vcc, v53, v17
	v_cndmask_b32_e64 v94, 0, 1, vcc
	;; [unrolled: 2-line block ×14, first 2 shown]
	s_waitcnt lgkmcnt(0)
	v_cmp_neq_f32_e64 s[8:9], v51, v16
	s_mov_b64 s[4:5], -1
.LBB1926_39:
                                        ; implicit-def: $sgpr7
	s_branch .LBB1926_53
.LBB1926_40:
                                        ; implicit-def: $sgpr8_sgpr9
                                        ; implicit-def: $vgpr82
                                        ; implicit-def: $vgpr83
                                        ; implicit-def: $vgpr84
                                        ; implicit-def: $vgpr85
                                        ; implicit-def: $vgpr86
                                        ; implicit-def: $vgpr87
                                        ; implicit-def: $vgpr88
                                        ; implicit-def: $vgpr89
                                        ; implicit-def: $vgpr90
                                        ; implicit-def: $vgpr91
                                        ; implicit-def: $vgpr92
                                        ; implicit-def: $vgpr93
                                        ; implicit-def: $vgpr94
                                        ; implicit-def: $vgpr95
                                        ; implicit-def: $sgpr7
	s_cbranch_execnz .LBB1926_45
	s_branch .LBB1926_53
.LBB1926_41:
                                        ; implicit-def: $sgpr8_sgpr9
                                        ; implicit-def: $vgpr82
                                        ; implicit-def: $vgpr83
                                        ; implicit-def: $vgpr84
                                        ; implicit-def: $vgpr85
                                        ; implicit-def: $vgpr86
                                        ; implicit-def: $vgpr87
                                        ; implicit-def: $vgpr88
                                        ; implicit-def: $vgpr89
                                        ; implicit-def: $vgpr90
                                        ; implicit-def: $vgpr91
                                        ; implicit-def: $vgpr92
                                        ; implicit-def: $vgpr93
                                        ; implicit-def: $vgpr94
                                        ; implicit-def: $vgpr95
	s_cbranch_execz .LBB1926_39
; %bb.42:
	v_cmp_neq_f32_e32 vcc, v17, v52
	v_cndmask_b32_e64 v95, 0, 1, vcc
	v_cmp_neq_f32_e32 vcc, v17, v53
	v_cndmask_b32_e64 v94, 0, 1, vcc
	;; [unrolled: 2-line block ×13, first 2 shown]
	v_cmp_neq_f32_e32 vcc, v5, v1
	v_lshlrev_b32_e32 v51, 2, v0
	v_cndmask_b32_e64 v82, 0, 1, vcc
	v_cmp_ne_u32_e32 vcc, 0, v0
	ds_write_b32 v51, v1
	s_waitcnt lgkmcnt(0)
	s_barrier
	s_waitcnt lgkmcnt(0)
                                        ; implicit-def: $sgpr8_sgpr9
	s_and_saveexec_b64 s[12:13], vcc
	s_xor_b64 s[12:13], exec, s[12:13]
	s_cbranch_execz .LBB1926_44
; %bb.43:
	v_add_u32_e32 v46, -4, v51
	ds_read_b32 v46, v46
	s_or_b64 s[4:5], s[4:5], exec
	s_waitcnt lgkmcnt(0)
	v_cmp_neq_f32_e32 vcc, v46, v16
	s_and_b64 s[8:9], vcc, exec
.LBB1926_44:
	s_or_b64 exec, exec, s[12:13]
	s_mov_b32 s7, 1
	s_branch .LBB1926_53
.LBB1926_45:
	s_mul_hi_u32 s7, s2, 0xfffff100
	s_mulk_i32 s3, 0xf100
	s_sub_i32 s7, s7, s2
	s_add_i32 s7, s7, s3
	s_mulk_i32 s2, 0xf100
	s_add_u32 s2, s2, s48
	s_addc_u32 s3, s7, s49
	s_and_b64 vcc, exec, s[10:11]
	s_cbranch_vccz .LBB1926_50
; %bb.46:
	s_add_u32 s0, s0, -4
	s_addc_u32 s1, s1, -1
	v_mad_u32_u24 v48, v0, 15, 14
	v_mov_b32_e32 v49, 0
	s_load_dword s7, s[0:1], 0x0
	v_cmp_gt_u64_e32 vcc, s[2:3], v[48:49]
	v_cmp_neq_f32_e64 s[0:1], v5, v1
	v_mad_u32_u24 v48, v0, 15, 13
	s_and_b64 s[4:5], vcc, s[0:1]
	v_cmp_gt_u64_e32 vcc, s[2:3], v[48:49]
	v_cmp_neq_f32_e64 s[0:1], v4, v5
	v_mad_u32_u24 v48, v0, 15, 12
	s_and_b64 s[8:9], vcc, s[0:1]
	;; [unrolled: 4-line block ×13, first 2 shown]
	v_cmp_gt_u64_e32 vcc, s[2:3], v[48:49]
	v_cmp_neq_f32_e64 s[0:1], v16, v17
	v_lshlrev_b32_e32 v47, 2, v0
	v_mul_u32_u24_e32 v46, 15, v0
	s_and_b64 s[0:1], vcc, s[0:1]
	v_cmp_ne_u32_e32 vcc, 0, v0
	s_waitcnt lgkmcnt(0)
	v_mov_b32_e32 v48, s7
	ds_write_b32 v47, v1
	s_waitcnt lgkmcnt(0)
	s_barrier
	s_and_saveexec_b64 s[56:57], vcc
	s_cbranch_execz .LBB1926_48
; %bb.47:
	v_add_u32_e32 v47, -4, v47
	ds_read_b32 v48, v47
.LBB1926_48:
	s_or_b64 exec, exec, s[56:57]
	v_mov_b32_e32 v47, v49
	v_cndmask_b32_e64 v95, 0, 1, s[0:1]
	v_cmp_gt_u64_e32 vcc, s[2:3], v[46:47]
	s_waitcnt lgkmcnt(0)
	v_cmp_neq_f32_e64 s[0:1], v48, v16
	v_cndmask_b32_e64 v82, 0, 1, s[4:5]
	v_cndmask_b32_e64 v83, 0, 1, s[8:9]
	;; [unrolled: 1-line block ×13, first 2 shown]
	s_and_b64 s[8:9], vcc, s[0:1]
	s_mov_b64 s[4:5], -1
.LBB1926_49:
                                        ; implicit-def: $sgpr7
	v_mov_b32_e32 v96, s7
	s_and_saveexec_b64 s[0:1], s[4:5]
	s_cbranch_execnz .LBB1926_54
	s_branch .LBB1926_55
.LBB1926_50:
                                        ; implicit-def: $sgpr8_sgpr9
                                        ; implicit-def: $vgpr82
                                        ; implicit-def: $vgpr83
                                        ; implicit-def: $vgpr84
                                        ; implicit-def: $vgpr85
                                        ; implicit-def: $vgpr86
                                        ; implicit-def: $vgpr87
                                        ; implicit-def: $vgpr88
                                        ; implicit-def: $vgpr89
                                        ; implicit-def: $vgpr90
                                        ; implicit-def: $vgpr91
                                        ; implicit-def: $vgpr92
                                        ; implicit-def: $vgpr93
                                        ; implicit-def: $vgpr94
                                        ; implicit-def: $vgpr95
	s_cbranch_execz .LBB1926_49
; %bb.51:
	v_mad_u32_u24 v46, v0, 15, 14
	v_mov_b32_e32 v47, 0
	v_cmp_gt_u64_e32 vcc, s[2:3], v[46:47]
	v_cmp_neq_f32_e64 s[0:1], v5, v1
	s_and_b64 s[0:1], vcc, s[0:1]
	v_mad_u32_u24 v46, v0, 15, 13
	v_cndmask_b32_e64 v82, 0, 1, s[0:1]
	v_cmp_gt_u64_e32 vcc, s[2:3], v[46:47]
	v_cmp_neq_f32_e64 s[0:1], v4, v5
	s_and_b64 s[0:1], vcc, s[0:1]
	v_mad_u32_u24 v46, v0, 15, 12
	v_cndmask_b32_e64 v83, 0, 1, s[0:1]
	;; [unrolled: 5-line block ×13, first 2 shown]
	v_cmp_gt_u64_e32 vcc, s[2:3], v[46:47]
	v_cmp_neq_f32_e64 s[0:1], v16, v17
	s_and_b64 s[0:1], vcc, s[0:1]
	v_lshlrev_b32_e32 v48, 2, v0
	s_mov_b32 s7, 1
	v_cndmask_b32_e64 v95, 0, 1, s[0:1]
	v_cmp_ne_u32_e32 vcc, 0, v0
	ds_write_b32 v48, v1
	s_waitcnt lgkmcnt(0)
	s_barrier
	s_waitcnt lgkmcnt(0)
                                        ; implicit-def: $sgpr8_sgpr9
	s_and_saveexec_b64 s[10:11], vcc
	s_cbranch_execz .LBB1926_206
; %bb.52:
	v_add_u32_e32 v46, -4, v48
	ds_read_b32 v48, v46
	v_mul_u32_u24_e32 v46, 15, v0
	v_cmp_gt_u64_e32 vcc, s[2:3], v[46:47]
	s_or_b64 s[4:5], s[4:5], exec
	s_waitcnt lgkmcnt(0)
	v_cmp_neq_f32_e64 s[0:1], v48, v16
	s_and_b64 s[0:1], vcc, s[0:1]
	s_and_b64 s[8:9], s[0:1], exec
	s_or_b64 exec, exec, s[10:11]
.LBB1926_53:
	v_mov_b32_e32 v96, s7
	s_and_saveexec_b64 s[0:1], s[4:5]
.LBB1926_54:
	v_cndmask_b32_e64 v96, 0, 1, s[8:9]
.LBB1926_55:
	s_or_b64 exec, exec, s[0:1]
	s_cmp_eq_u64 s[42:43], 0
	v_add3_u32 v46, v95, v96, v94
	s_cselect_b64 s[42:43], -1, 0
	s_cmp_lg_u32 s6, 0
	v_cmp_eq_u32_e64 s[24:25], 0, v95
	v_cmp_eq_u32_e64 s[22:23], 0, v94
	;; [unrolled: 1-line block ×3, first 2 shown]
	v_add3_u32 v99, v46, v93, v92
	v_cmp_eq_u32_e64 s[18:19], 0, v92
	v_cmp_eq_u32_e64 s[16:17], 0, v91
	;; [unrolled: 1-line block ×10, first 2 shown]
	v_cmp_eq_u32_e32 vcc, 0, v82
	v_mbcnt_lo_u32_b32 v98, -1, 0
	s_cbranch_scc0 .LBB1926_126
; %bb.56:
	v_cndmask_b32_e64 v47, 0, v42, s[24:25]
	v_cndmask_b32_e64 v46, 0, v43, s[24:25]
	v_add_co_u32_e64 v47, s[26:27], v47, v40
	v_addc_co_u32_e64 v46, s[26:27], v46, v41, s[26:27]
	v_cndmask_b32_e64 v47, 0, v47, s[22:23]
	v_cndmask_b32_e64 v46, 0, v46, s[22:23]
	v_add_co_u32_e64 v47, s[26:27], v47, v38
	v_addc_co_u32_e64 v46, s[26:27], v46, v39, s[26:27]
	;; [unrolled: 4-line block ×11, first 2 shown]
	v_cndmask_b32_e64 v47, 0, v47, s[2:3]
	v_add3_u32 v48, v99, v91, v90
	v_cndmask_b32_e64 v46, 0, v46, s[2:3]
	v_add_co_u32_e64 v47, s[26:27], v47, v18
	v_add3_u32 v48, v48, v89, v88
	v_addc_co_u32_e64 v46, s[26:27], v46, v19, s[26:27]
	v_cndmask_b32_e64 v47, 0, v47, s[0:1]
	v_add3_u32 v48, v48, v87, v86
	v_cndmask_b32_e64 v46, 0, v46, s[0:1]
	v_add_co_u32_e64 v47, s[26:27], v47, v2
	v_add3_u32 v48, v48, v85, v84
	v_addc_co_u32_e64 v46, s[26:27], v46, v3, s[26:27]
	v_cndmask_b32_e32 v47, 0, v47, vcc
	v_add3_u32 v50, v48, v83, v82
	v_cndmask_b32_e32 v46, 0, v46, vcc
	v_add_co_u32_e32 v48, vcc, v47, v44
	v_mbcnt_hi_u32_b32 v51, -1, v98
	v_addc_co_u32_e32 v49, vcc, v46, v45, vcc
	v_and_b32_e32 v46, 15, v51
	v_mov_b32_dpp v52, v50 row_shr:1 row_mask:0xf bank_mask:0xf
	v_mov_b32_dpp v47, v48 row_shr:1 row_mask:0xf bank_mask:0xf
	;; [unrolled: 1-line block ×3, first 2 shown]
	v_cmp_ne_u32_e32 vcc, 0, v46
	s_and_saveexec_b64 s[26:27], vcc
; %bb.57:
	v_cmp_eq_u32_e32 vcc, 0, v50
	v_cndmask_b32_e32 v47, 0, v47, vcc
	v_add_u32_e32 v52, v52, v50
	v_cndmask_b32_e32 v50, 0, v53, vcc
	v_add_co_u32_e32 v48, vcc, v47, v48
	v_addc_co_u32_e32 v49, vcc, v50, v49, vcc
	v_mov_b32_e32 v50, v52
; %bb.58:
	s_or_b64 exec, exec, s[26:27]
	s_nop 0
	v_mov_b32_dpp v52, v50 row_shr:2 row_mask:0xf bank_mask:0xf
	v_mov_b32_dpp v47, v48 row_shr:2 row_mask:0xf bank_mask:0xf
	v_mov_b32_dpp v53, v49 row_shr:2 row_mask:0xf bank_mask:0xf
	v_cmp_lt_u32_e32 vcc, 1, v46
	s_and_saveexec_b64 s[26:27], vcc
; %bb.59:
	v_cmp_eq_u32_e32 vcc, 0, v50
	v_cndmask_b32_e32 v47, 0, v47, vcc
	v_add_u32_e32 v52, v52, v50
	v_cndmask_b32_e32 v50, 0, v53, vcc
	v_add_co_u32_e32 v48, vcc, v47, v48
	v_addc_co_u32_e32 v49, vcc, v50, v49, vcc
	v_mov_b32_e32 v50, v52
; %bb.60:
	s_or_b64 exec, exec, s[26:27]
	s_nop 0
	v_mov_b32_dpp v52, v50 row_shr:4 row_mask:0xf bank_mask:0xf
	v_mov_b32_dpp v47, v48 row_shr:4 row_mask:0xf bank_mask:0xf
	v_mov_b32_dpp v53, v49 row_shr:4 row_mask:0xf bank_mask:0xf
	v_cmp_lt_u32_e32 vcc, 3, v46
	;; [unrolled: 16-line block ×3, first 2 shown]
	s_and_saveexec_b64 s[26:27], vcc
; %bb.63:
	v_cmp_eq_u32_e32 vcc, 0, v50
	v_cndmask_b32_e32 v47, 0, v47, vcc
	v_add_u32_e32 v46, v52, v50
	v_cndmask_b32_e32 v50, 0, v53, vcc
	v_add_co_u32_e32 v48, vcc, v47, v48
	v_addc_co_u32_e32 v49, vcc, v50, v49, vcc
	v_mov_b32_e32 v50, v46
; %bb.64:
	s_or_b64 exec, exec, s[26:27]
	v_and_b32_e32 v53, 16, v51
	v_mov_b32_dpp v47, v50 row_bcast:15 row_mask:0xf bank_mask:0xf
	v_mov_b32_dpp v46, v48 row_bcast:15 row_mask:0xf bank_mask:0xf
	;; [unrolled: 1-line block ×3, first 2 shown]
	v_cmp_ne_u32_e32 vcc, 0, v53
	s_and_saveexec_b64 s[26:27], vcc
; %bb.65:
	v_cmp_eq_u32_e32 vcc, 0, v50
	v_cndmask_b32_e32 v46, 0, v46, vcc
	v_add_u32_e32 v47, v47, v50
	v_cndmask_b32_e32 v50, 0, v52, vcc
	v_add_co_u32_e32 v48, vcc, v46, v48
	v_addc_co_u32_e32 v49, vcc, v50, v49, vcc
	v_mov_b32_e32 v50, v47
; %bb.66:
	s_or_b64 exec, exec, s[26:27]
	s_nop 0
	v_mov_b32_dpp v47, v50 row_bcast:31 row_mask:0xf bank_mask:0xf
	v_mov_b32_dpp v46, v48 row_bcast:31 row_mask:0xf bank_mask:0xf
	;; [unrolled: 1-line block ×3, first 2 shown]
	v_cmp_lt_u32_e32 vcc, 31, v51
	s_and_saveexec_b64 s[26:27], vcc
; %bb.67:
	v_cmp_eq_u32_e32 vcc, 0, v50
	v_cndmask_b32_e32 v46, 0, v46, vcc
	v_add_u32_e32 v47, v47, v50
	v_cndmask_b32_e32 v50, 0, v52, vcc
	v_add_co_u32_e32 v48, vcc, v46, v48
	v_addc_co_u32_e32 v49, vcc, v50, v49, vcc
	v_mov_b32_e32 v50, v47
; %bb.68:
	s_or_b64 exec, exec, s[26:27]
	v_lshrrev_b32_e32 v46, 6, v0
	v_or_b32_e32 v47, 63, v0
	v_cmp_eq_u32_e32 vcc, v47, v0
	v_lshlrev_b32_e32 v52, 4, v46
	s_and_saveexec_b64 s[26:27], vcc
	s_cbranch_execz .LBB1926_70
; %bb.69:
	ds_write_b32 v52, v50 offset:2080
	ds_write_b64 v52, v[48:49] offset:2088
.LBB1926_70:
	s_or_b64 exec, exec, s[26:27]
	v_cmp_gt_u32_e32 vcc, 4, v0
	s_waitcnt lgkmcnt(0)
	s_barrier
	s_and_saveexec_b64 s[26:27], vcc
	s_cbranch_execz .LBB1926_76
; %bb.71:
	v_lshlrev_b32_e32 v53, 4, v0
	ds_read_b32 v54, v53 offset:2080
	ds_read_b64 v[46:47], v53 offset:2088
	v_and_b32_e32 v55, 3, v51
	v_cmp_ne_u32_e32 vcc, 0, v55
	s_waitcnt lgkmcnt(1)
	v_mov_b32_dpp v57, v54 row_shr:1 row_mask:0xf bank_mask:0xf
	s_waitcnt lgkmcnt(0)
	v_mov_b32_dpp v56, v46 row_shr:1 row_mask:0xf bank_mask:0xf
	v_mov_b32_dpp v58, v47 row_shr:1 row_mask:0xf bank_mask:0xf
	s_and_saveexec_b64 s[48:49], vcc
; %bb.72:
	v_cmp_eq_u32_e32 vcc, 0, v54
	v_cndmask_b32_e32 v56, 0, v56, vcc
	v_add_u32_e32 v57, v57, v54
	v_cndmask_b32_e32 v54, 0, v58, vcc
	v_add_co_u32_e32 v46, vcc, v56, v46
	v_addc_co_u32_e32 v47, vcc, v54, v47, vcc
	v_mov_b32_e32 v54, v57
; %bb.73:
	s_or_b64 exec, exec, s[48:49]
	s_nop 0
	v_mov_b32_dpp v57, v54 row_shr:2 row_mask:0xf bank_mask:0xf
	v_mov_b32_dpp v56, v46 row_shr:2 row_mask:0xf bank_mask:0xf
	;; [unrolled: 1-line block ×3, first 2 shown]
	v_cmp_lt_u32_e32 vcc, 1, v55
	s_and_saveexec_b64 s[48:49], vcc
; %bb.74:
	v_cmp_eq_u32_e32 vcc, 0, v54
	v_cndmask_b32_e32 v56, 0, v56, vcc
	v_add_u32_e32 v55, v57, v54
	v_cndmask_b32_e32 v54, 0, v58, vcc
	v_add_co_u32_e32 v46, vcc, v56, v46
	v_addc_co_u32_e32 v47, vcc, v54, v47, vcc
	v_mov_b32_e32 v54, v55
; %bb.75:
	s_or_b64 exec, exec, s[48:49]
	ds_write_b32 v53, v54 offset:2080
	ds_write_b64 v53, v[46:47] offset:2088
.LBB1926_76:
	s_or_b64 exec, exec, s[26:27]
	v_cmp_gt_u32_e32 vcc, 64, v0
	v_cmp_lt_u32_e64 s[26:27], 63, v0
	v_pk_mov_b32 v[46:47], 0, 0
	v_mov_b32_e32 v58, 0
	s_waitcnt lgkmcnt(0)
	s_barrier
	s_and_saveexec_b64 s[48:49], s[26:27]
	s_cbranch_execz .LBB1926_78
; %bb.77:
	ds_read_b32 v58, v52 offset:2064
	ds_read_b64 v[46:47], v52 offset:2072
	v_cmp_eq_u32_e64 s[26:27], 0, v50
	s_waitcnt lgkmcnt(1)
	v_add_u32_e32 v52, v58, v50
	s_waitcnt lgkmcnt(0)
	v_cndmask_b32_e64 v53, 0, v46, s[26:27]
	v_cndmask_b32_e64 v50, 0, v47, s[26:27]
	v_add_co_u32_e64 v48, s[26:27], v53, v48
	v_addc_co_u32_e64 v49, s[26:27], v50, v49, s[26:27]
	v_mov_b32_e32 v50, v52
.LBB1926_78:
	s_or_b64 exec, exec, s[48:49]
	v_add_u32_e32 v52, -1, v51
	v_and_b32_e32 v53, 64, v51
	v_cmp_lt_i32_e64 s[26:27], v52, v53
	v_cndmask_b32_e64 v52, v52, v51, s[26:27]
	v_lshlrev_b32_e32 v52, 2, v52
	ds_bpermute_b32 v59, v52, v50
	ds_bpermute_b32 v60, v52, v48
	;; [unrolled: 1-line block ×3, first 2 shown]
	v_cmp_eq_u32_e64 s[26:27], 0, v51
	s_and_saveexec_b64 s[48:49], vcc
	s_cbranch_execz .LBB1926_125
; %bb.79:
	v_mov_b32_e32 v53, 0
	ds_read_b32 v62, v53 offset:2128
	ds_read_b64 v[48:49], v53 offset:2136
	s_and_saveexec_b64 s[56:57], s[26:27]
	s_cbranch_execz .LBB1926_81
; %bb.80:
	s_add_i32 s58, s6, 64
	s_mov_b32 s59, 0
	s_lshl_b64 s[60:61], s[58:59], 4
	s_add_u32 s60, s36, s60
	s_addc_u32 s61, s37, s61
	v_mov_b32_e32 v50, s58
	v_mov_b32_e32 v52, 1
	s_waitcnt lgkmcnt(1)
	global_store_dword v53, v62, s[60:61]
	s_waitcnt lgkmcnt(0)
	global_store_dwordx2 v53, v[48:49], s[60:61] offset:8
	s_waitcnt vmcnt(0)
	buffer_wbinvl1_vol
	global_store_byte v50, v52, s[40:41]
.LBB1926_81:
	s_or_b64 exec, exec, s[56:57]
	v_xad_u32 v50, v51, -1, s6
	v_add_u32_e32 v52, 64, v50
	global_load_ubyte v63, v52, s[40:41] glc
	s_waitcnt vmcnt(0)
	v_cmp_eq_u16_e32 vcc, 0, v63
	s_and_saveexec_b64 s[56:57], vcc
	s_cbranch_execz .LBB1926_87
; %bb.82:
	v_mov_b32_e32 v55, s41
	v_add_co_u32_e32 v54, vcc, s40, v52
	v_addc_co_u32_e32 v55, vcc, 0, v55, vcc
	s_mov_b32 s7, 1
	s_mov_b64 s[58:59], 0
.LBB1926_83:                            ; =>This Loop Header: Depth=1
                                        ;     Child Loop BB1926_84 Depth 2
	s_max_u32 s60, s7, 1
.LBB1926_84:                            ;   Parent Loop BB1926_83 Depth=1
                                        ; =>  This Inner Loop Header: Depth=2
	s_add_i32 s60, s60, -1
	s_cmp_eq_u32 s60, 0
	s_sleep 1
	s_cbranch_scc0 .LBB1926_84
; %bb.85:                               ;   in Loop: Header=BB1926_83 Depth=1
	global_load_ubyte v63, v[54:55], off glc
	s_cmp_lt_u32 s7, 32
	s_cselect_b64 s[60:61], -1, 0
	s_cmp_lg_u64 s[60:61], 0
	s_addc_u32 s7, s7, 0
	s_waitcnt vmcnt(0)
	v_cmp_ne_u16_e32 vcc, 0, v63
	s_or_b64 s[58:59], vcc, s[58:59]
	s_andn2_b64 exec, exec, s[58:59]
	s_cbranch_execnz .LBB1926_83
; %bb.86:
	s_or_b64 exec, exec, s[58:59]
.LBB1926_87:
	s_or_b64 exec, exec, s[56:57]
	v_mov_b32_e32 v54, s39
	v_mov_b32_e32 v55, s37
	v_cmp_eq_u16_e32 vcc, 1, v63
	v_cndmask_b32_e32 v54, v54, v55, vcc
	v_mov_b32_e32 v55, s38
	v_mov_b32_e32 v56, s36
	v_cndmask_b32_e32 v55, v55, v56, vcc
	v_lshlrev_b64 v[52:53], 4, v[52:53]
	v_add_co_u32_e32 v52, vcc, v55, v52
	v_addc_co_u32_e32 v53, vcc, v54, v53, vcc
	s_waitcnt lgkmcnt(0)
	buffer_wbinvl1_vol
	global_load_dword v78, v[52:53], off
	global_load_dwordx2 v[56:57], v[52:53], off offset:8
	v_cmp_eq_u16_e32 vcc, 2, v63
	v_lshlrev_b64 v[52:53], v51, -1
	v_and_b32_e32 v64, 63, v51
	v_and_b32_e32 v54, vcc_hi, v53
	v_and_b32_e32 v68, vcc_lo, v52
	v_cmp_ne_u32_e32 vcc, 63, v64
	v_addc_co_u32_e32 v55, vcc, 0, v51, vcc
	v_lshlrev_b32_e32 v65, 2, v55
	v_or_b32_e32 v54, 0x80000000, v54
	v_ffbl_b32_e32 v54, v54
	v_add_u32_e32 v54, 32, v54
	v_ffbl_b32_e32 v68, v68
	v_min_u32_e32 v54, v68, v54
	v_cmp_lt_u32_e32 vcc, v64, v54
	s_waitcnt vmcnt(1)
	ds_bpermute_b32 v66, v65, v78
	s_waitcnt vmcnt(0)
	ds_bpermute_b32 v55, v65, v56
	ds_bpermute_b32 v67, v65, v57
	s_and_saveexec_b64 s[56:57], vcc
	s_cbranch_execz .LBB1926_89
; %bb.88:
	v_cmp_eq_u32_e32 vcc, 0, v78
	s_waitcnt lgkmcnt(1)
	v_cndmask_b32_e32 v55, 0, v55, vcc
	v_add_u32_e32 v66, v66, v78
	s_waitcnt lgkmcnt(0)
	v_cndmask_b32_e32 v67, 0, v67, vcc
	v_add_co_u32_e32 v56, vcc, v55, v56
	v_addc_co_u32_e32 v57, vcc, v67, v57, vcc
	v_mov_b32_e32 v78, v66
.LBB1926_89:
	s_or_b64 exec, exec, s[56:57]
	v_cmp_gt_u32_e32 vcc, 62, v64
	s_waitcnt lgkmcnt(1)
	v_cndmask_b32_e64 v55, 0, 1, vcc
	v_lshlrev_b32_e32 v55, 1, v55
	v_add_lshl_u32 v66, v55, v51, 2
	ds_bpermute_b32 v68, v66, v78
	ds_bpermute_b32 v55, v66, v56
	ds_bpermute_b32 v69, v66, v57
	s_waitcnt lgkmcnt(3)
	v_add_u32_e32 v67, 2, v64
	v_cmp_le_u32_e32 vcc, v67, v54
	s_and_saveexec_b64 s[56:57], vcc
	s_cbranch_execz .LBB1926_91
; %bb.90:
	v_cmp_eq_u32_e32 vcc, 0, v78
	s_waitcnt lgkmcnt(1)
	v_cndmask_b32_e32 v55, 0, v55, vcc
	v_add_u32_e32 v68, v68, v78
	s_waitcnt lgkmcnt(0)
	v_cndmask_b32_e32 v69, 0, v69, vcc
	v_add_co_u32_e32 v56, vcc, v55, v56
	v_addc_co_u32_e32 v57, vcc, v69, v57, vcc
	v_mov_b32_e32 v78, v68
.LBB1926_91:
	s_or_b64 exec, exec, s[56:57]
	v_cmp_gt_u32_e32 vcc, 60, v64
	s_waitcnt lgkmcnt(1)
	v_cndmask_b32_e64 v55, 0, 1, vcc
	v_lshlrev_b32_e32 v55, 2, v55
	v_add_lshl_u32 v68, v55, v51, 2
	ds_bpermute_b32 v70, v68, v78
	ds_bpermute_b32 v55, v68, v56
	ds_bpermute_b32 v71, v68, v57
	s_waitcnt lgkmcnt(3)
	v_add_u32_e32 v69, 4, v64
	v_cmp_le_u32_e32 vcc, v69, v54
	;; [unrolled: 25-line block ×4, first 2 shown]
	s_and_saveexec_b64 s[56:57], vcc
	s_cbranch_execz .LBB1926_97
; %bb.96:
	v_cmp_eq_u32_e32 vcc, 0, v78
	s_waitcnt lgkmcnt(1)
	v_cndmask_b32_e32 v55, 0, v55, vcc
	v_add_u32_e32 v74, v74, v78
	s_waitcnt lgkmcnt(0)
	v_cndmask_b32_e32 v75, 0, v75, vcc
	v_add_co_u32_e32 v56, vcc, v55, v56
	v_addc_co_u32_e32 v57, vcc, v75, v57, vcc
	v_mov_b32_e32 v78, v74
.LBB1926_97:
	s_or_b64 exec, exec, s[56:57]
	v_cmp_gt_u32_e32 vcc, 32, v64
	s_waitcnt lgkmcnt(1)
	v_cndmask_b32_e64 v55, 0, 1, vcc
	v_lshlrev_b32_e32 v55, 5, v55
	v_add_lshl_u32 v74, v55, v51, 2
	ds_bpermute_b32 v55, v74, v78
	ds_bpermute_b32 v51, v74, v56
	s_waitcnt lgkmcnt(2)
	ds_bpermute_b32 v75, v74, v57
	v_add_u32_e32 v76, 32, v64
	v_cmp_le_u32_e32 vcc, v76, v54
	s_and_saveexec_b64 s[56:57], vcc
	s_cbranch_execz .LBB1926_99
; %bb.98:
	v_cmp_eq_u32_e32 vcc, 0, v78
	s_waitcnt lgkmcnt(1)
	v_cndmask_b32_e32 v51, 0, v51, vcc
	v_add_u32_e32 v54, v55, v78
	s_waitcnt lgkmcnt(0)
	v_cndmask_b32_e32 v55, 0, v75, vcc
	v_add_co_u32_e32 v56, vcc, v51, v56
	v_addc_co_u32_e32 v57, vcc, v55, v57, vcc
	v_mov_b32_e32 v78, v54
.LBB1926_99:
	s_or_b64 exec, exec, s[56:57]
	s_waitcnt lgkmcnt(1)
	v_mov_b32_e32 v51, 0
	v_mov_b32_e32 v77, 2
	s_branch .LBB1926_101
.LBB1926_100:                           ;   in Loop: Header=BB1926_101 Depth=1
	s_or_b64 exec, exec, s[56:57]
	v_cmp_eq_u32_e32 vcc, 0, v75
	v_cndmask_b32_e32 v56, 0, v56, vcc
	v_cndmask_b32_e32 v57, 0, v57, vcc
	v_add_co_u32_e32 v56, vcc, v56, v54
	v_subrev_u32_e32 v50, 64, v50
	v_add_u32_e32 v78, v79, v75
	v_addc_co_u32_e32 v57, vcc, v57, v55, vcc
.LBB1926_101:                           ; =>This Loop Header: Depth=1
                                        ;     Child Loop BB1926_104 Depth 2
                                        ;       Child Loop BB1926_105 Depth 3
	v_cmp_ne_u16_sdwa s[56:57], v63, v77 src0_sel:BYTE_0 src1_sel:DWORD
	v_pk_mov_b32 v[54:55], v[56:57], v[56:57] op_sel:[0,1]
	v_cndmask_b32_e64 v56, 0, 1, s[56:57]
	;;#ASMSTART
	;;#ASMEND
	v_cmp_ne_u32_e32 vcc, 0, v56
	s_cmp_lg_u64 vcc, exec
	s_waitcnt lgkmcnt(0)
	v_mov_b32_e32 v75, v78
	s_cbranch_scc1 .LBB1926_120
; %bb.102:                              ;   in Loop: Header=BB1926_101 Depth=1
	global_load_ubyte v63, v50, s[40:41] glc
	s_waitcnt vmcnt(0)
	v_cmp_eq_u16_e32 vcc, 0, v63
	s_and_saveexec_b64 s[56:57], vcc
	s_cbranch_execz .LBB1926_108
; %bb.103:                              ;   in Loop: Header=BB1926_101 Depth=1
	v_mov_b32_e32 v57, s41
	v_add_co_u32_e32 v56, vcc, s40, v50
	v_addc_co_u32_e32 v57, vcc, 0, v57, vcc
	s_mov_b32 s7, 1
	s_mov_b64 s[58:59], 0
.LBB1926_104:                           ;   Parent Loop BB1926_101 Depth=1
                                        ; =>  This Loop Header: Depth=2
                                        ;       Child Loop BB1926_105 Depth 3
	s_max_u32 s60, s7, 1
.LBB1926_105:                           ;   Parent Loop BB1926_101 Depth=1
                                        ;     Parent Loop BB1926_104 Depth=2
                                        ; =>    This Inner Loop Header: Depth=3
	s_add_i32 s60, s60, -1
	s_cmp_eq_u32 s60, 0
	s_sleep 1
	s_cbranch_scc0 .LBB1926_105
; %bb.106:                              ;   in Loop: Header=BB1926_104 Depth=2
	global_load_ubyte v63, v[56:57], off glc
	s_cmp_lt_u32 s7, 32
	s_cselect_b64 s[60:61], -1, 0
	s_cmp_lg_u64 s[60:61], 0
	s_addc_u32 s7, s7, 0
	s_waitcnt vmcnt(0)
	v_cmp_ne_u16_e32 vcc, 0, v63
	s_or_b64 s[58:59], vcc, s[58:59]
	s_andn2_b64 exec, exec, s[58:59]
	s_cbranch_execnz .LBB1926_104
; %bb.107:                              ;   in Loop: Header=BB1926_101 Depth=1
	s_or_b64 exec, exec, s[58:59]
.LBB1926_108:                           ;   in Loop: Header=BB1926_101 Depth=1
	s_or_b64 exec, exec, s[56:57]
	v_mov_b32_e32 v56, s39
	v_mov_b32_e32 v57, s37
	v_cmp_eq_u16_e32 vcc, 1, v63
	v_cndmask_b32_e32 v78, v56, v57, vcc
	v_mov_b32_e32 v56, s38
	v_mov_b32_e32 v57, s36
	v_cndmask_b32_e32 v79, v56, v57, vcc
	v_lshlrev_b64 v[56:57], 4, v[50:51]
	v_add_co_u32_e32 v56, vcc, v79, v56
	v_addc_co_u32_e32 v57, vcc, v78, v57, vcc
	buffer_wbinvl1_vol
	global_load_dword v79, v[56:57], off
	s_nop 0
	global_load_dwordx2 v[56:57], v[56:57], off offset:8
	v_cmp_eq_u16_e32 vcc, 2, v63
	v_and_b32_e32 v78, vcc_hi, v53
	v_or_b32_e32 v78, 0x80000000, v78
	v_and_b32_e32 v100, vcc_lo, v52
	v_ffbl_b32_e32 v78, v78
	v_add_u32_e32 v78, 32, v78
	v_ffbl_b32_e32 v100, v100
	v_min_u32_e32 v78, v100, v78
	v_cmp_lt_u32_e32 vcc, v64, v78
	s_waitcnt vmcnt(1)
	ds_bpermute_b32 v81, v65, v79
	s_waitcnt vmcnt(0)
	ds_bpermute_b32 v80, v65, v56
	ds_bpermute_b32 v97, v65, v57
	s_and_saveexec_b64 s[56:57], vcc
	s_cbranch_execz .LBB1926_110
; %bb.109:                              ;   in Loop: Header=BB1926_101 Depth=1
	v_cmp_eq_u32_e32 vcc, 0, v79
	s_waitcnt lgkmcnt(1)
	v_cndmask_b32_e32 v80, 0, v80, vcc
	v_add_u32_e32 v81, v81, v79
	s_waitcnt lgkmcnt(0)
	v_cndmask_b32_e32 v79, 0, v97, vcc
	v_add_co_u32_e32 v56, vcc, v80, v56
	v_addc_co_u32_e32 v57, vcc, v79, v57, vcc
	v_mov_b32_e32 v79, v81
.LBB1926_110:                           ;   in Loop: Header=BB1926_101 Depth=1
	s_or_b64 exec, exec, s[56:57]
	s_waitcnt lgkmcnt(2)
	ds_bpermute_b32 v81, v66, v79
	s_waitcnt lgkmcnt(2)
	ds_bpermute_b32 v80, v66, v56
	s_waitcnt lgkmcnt(2)
	ds_bpermute_b32 v97, v66, v57
	v_cmp_le_u32_e32 vcc, v67, v78
	s_and_saveexec_b64 s[56:57], vcc
	s_cbranch_execz .LBB1926_112
; %bb.111:                              ;   in Loop: Header=BB1926_101 Depth=1
	v_cmp_eq_u32_e32 vcc, 0, v79
	s_waitcnt lgkmcnt(1)
	v_cndmask_b32_e32 v80, 0, v80, vcc
	v_add_u32_e32 v81, v81, v79
	s_waitcnt lgkmcnt(0)
	v_cndmask_b32_e32 v79, 0, v97, vcc
	v_add_co_u32_e32 v56, vcc, v80, v56
	v_addc_co_u32_e32 v57, vcc, v79, v57, vcc
	v_mov_b32_e32 v79, v81
.LBB1926_112:                           ;   in Loop: Header=BB1926_101 Depth=1
	s_or_b64 exec, exec, s[56:57]
	s_waitcnt lgkmcnt(2)
	ds_bpermute_b32 v81, v68, v79
	s_waitcnt lgkmcnt(2)
	ds_bpermute_b32 v80, v68, v56
	s_waitcnt lgkmcnt(2)
	ds_bpermute_b32 v97, v68, v57
	v_cmp_le_u32_e32 vcc, v69, v78
	;; [unrolled: 21-line block ×5, first 2 shown]
	s_and_saveexec_b64 s[56:57], vcc
	s_cbranch_execz .LBB1926_100
; %bb.119:                              ;   in Loop: Header=BB1926_101 Depth=1
	v_cmp_eq_u32_e32 vcc, 0, v79
	s_waitcnt lgkmcnt(1)
	v_cndmask_b32_e32 v80, 0, v80, vcc
	v_add_u32_e32 v78, v81, v79
	s_waitcnt lgkmcnt(0)
	v_cndmask_b32_e32 v79, 0, v97, vcc
	v_add_co_u32_e32 v56, vcc, v80, v56
	v_addc_co_u32_e32 v57, vcc, v79, v57, vcc
	v_mov_b32_e32 v79, v78
	s_branch .LBB1926_100
.LBB1926_120:                           ;   in Loop: Header=BB1926_101 Depth=1
                                        ; implicit-def: $vgpr56_vgpr57
                                        ; implicit-def: $vgpr78
                                        ; implicit-def: $vgpr63
	s_cbranch_execz .LBB1926_101
; %bb.121:
	s_and_saveexec_b64 s[36:37], s[26:27]
	s_cbranch_execz .LBB1926_123
; %bb.122:
	s_mov_b32 s7, 0
	v_cmp_eq_u32_e32 vcc, 0, v62
	s_add_i32 s6, s6, 64
	v_cndmask_b32_e32 v50, 0, v54, vcc
	s_lshl_b64 s[56:57], s[6:7], 4
	v_cndmask_b32_e32 v51, 0, v55, vcc
	v_add_co_u32_e32 v50, vcc, v50, v48
	s_add_u32 s56, s38, s56
	v_add_u32_e32 v52, v75, v62
	v_addc_co_u32_e32 v51, vcc, v51, v49, vcc
	s_addc_u32 s57, s39, s57
	v_mov_b32_e32 v53, 0
	global_store_dword v53, v52, s[56:57]
	global_store_dwordx2 v53, v[50:51], s[56:57] offset:8
	v_mov_b32_e32 v50, s6
	v_mov_b32_e32 v51, 2
	s_waitcnt vmcnt(0) lgkmcnt(0)
	buffer_wbinvl1_vol
	global_store_byte v50, v51, s[40:41]
	ds_write_b32 v53, v62 offset:2048
	ds_write_b64 v53, v[48:49] offset:2056
	ds_write_b32 v53, v75 offset:2064
	ds_write_b64 v53, v[54:55] offset:2072
.LBB1926_123:
	s_or_b64 exec, exec, s[36:37]
	v_cmp_eq_u32_e32 vcc, 0, v0
	s_and_b64 exec, exec, vcc
	s_cbranch_execz .LBB1926_125
; %bb.124:
	v_mov_b32_e32 v48, 0
	ds_write_b32 v48, v75 offset:2128
	ds_write_b64 v48, v[54:55] offset:2136
.LBB1926_125:
	s_or_b64 exec, exec, s[48:49]
	v_mov_b32_e32 v51, 0
	s_waitcnt lgkmcnt(0)
	s_barrier
	ds_read_b32 v50, v51 offset:2128
	ds_read_b64 v[48:49], v51 offset:2136
	v_cndmask_b32_e64 v52, v59, v58, s[26:27]
	v_cmp_eq_u32_e32 vcc, 0, v52
	v_cndmask_b32_e64 v46, v60, v46, s[26:27]
	v_cndmask_b32_e64 v47, v61, v47, s[26:27]
	s_waitcnt lgkmcnt(0)
	v_cndmask_b32_e32 v54, 0, v48, vcc
	v_cndmask_b32_e32 v53, 0, v49, vcc
	v_add_co_u32_e32 v46, vcc, v54, v46
	v_addc_co_u32_e32 v47, vcc, v53, v47, vcc
	v_cmp_eq_u32_e32 vcc, 0, v0
	v_cndmask_b32_e64 v52, v52, 0, vcc
	v_cndmask_b32_e32 v77, v47, v49, vcc
	v_cndmask_b32_e32 v76, v46, v48, vcc
	v_cmp_eq_u32_e32 vcc, 0, v96
	v_cndmask_b32_e32 v47, 0, v76, vcc
	v_add_u32_e32 v97, v50, v52
	v_cndmask_b32_e32 v46, 0, v77, vcc
	v_add_co_u32_e32 v52, vcc, v47, v42
	v_addc_co_u32_e32 v53, vcc, v46, v43, vcc
	v_cndmask_b32_e64 v47, 0, v52, s[24:25]
	v_cndmask_b32_e64 v46, 0, v53, s[24:25]
	v_add_co_u32_e32 v54, vcc, v47, v40
	v_addc_co_u32_e32 v55, vcc, v46, v41, vcc
	v_cndmask_b32_e64 v47, 0, v54, s[22:23]
	v_cndmask_b32_e64 v46, 0, v55, s[22:23]
	;; [unrolled: 4-line block ×11, first 2 shown]
	v_add_co_u32_e32 v74, vcc, v47, v20
	v_addc_co_u32_e32 v75, vcc, v46, v21, vcc
	s_barrier
	ds_read_b32 v46, v51 offset:2048
	ds_read_b64 v[48:49], v51 offset:2056
	ds_read_b32 v50, v51 offset:2064
	ds_read_b64 v[100:101], v51 offset:2072
	v_cndmask_b32_e64 v78, 0, v74, s[2:3]
	v_cndmask_b32_e64 v47, 0, v75, s[2:3]
	v_add_co_u32_e32 v78, vcc, v78, v18
	v_addc_co_u32_e32 v79, vcc, v47, v19, vcc
	s_waitcnt lgkmcnt(3)
	v_cmp_eq_u32_e32 vcc, 0, v46
	s_waitcnt lgkmcnt(0)
	v_cndmask_b32_e32 v51, 0, v100, vcc
	v_cndmask_b32_e32 v47, 0, v101, vcc
	v_add_co_u32_e32 v48, vcc, v51, v48
	v_cndmask_b32_e64 v81, 0, v79, s[0:1]
	v_cndmask_b32_e64 v80, 0, v78, s[0:1]
	v_addc_co_u32_e32 v49, vcc, v47, v49, vcc
	s_branch .LBB1926_154
.LBB1926_126:
                                        ; implicit-def: $vgpr46
                                        ; implicit-def: $vgpr48_vgpr49
                                        ; implicit-def: $vgpr50
                                        ; implicit-def: $vgpr76_vgpr77
                                        ; implicit-def: $vgpr52_vgpr53
                                        ; implicit-def: $vgpr54_vgpr55
                                        ; implicit-def: $vgpr56_vgpr57
                                        ; implicit-def: $vgpr58_vgpr59
                                        ; implicit-def: $vgpr60_vgpr61
                                        ; implicit-def: $vgpr62_vgpr63
                                        ; implicit-def: $vgpr64_vgpr65
                                        ; implicit-def: $vgpr66_vgpr67
                                        ; implicit-def: $vgpr68_vgpr69
                                        ; implicit-def: $vgpr70_vgpr71
                                        ; implicit-def: $vgpr72_vgpr73
                                        ; implicit-def: $vgpr74_vgpr75
                                        ; implicit-def: $vgpr78_vgpr79
                                        ; implicit-def: $vgpr80_vgpr81
                                        ; implicit-def: $vgpr97
	s_cbranch_execz .LBB1926_154
; %bb.127:
	s_and_b64 s[0:1], s[42:43], exec
	s_cselect_b32 s1, 0, s31
	s_cselect_b32 s0, 0, s30
	s_cmp_eq_u64 s[0:1], 0
	v_pk_mov_b32 v[50:51], v[42:43], v[42:43] op_sel:[0,1]
	s_cbranch_scc1 .LBB1926_129
; %bb.128:
	v_mov_b32_e32 v46, 0
	global_load_dwordx2 v[50:51], v46, s[0:1]
.LBB1926_129:
	v_cmp_eq_u32_e64 s[22:23], 0, v95
	v_cndmask_b32_e64 v47, 0, v42, s[22:23]
	v_cndmask_b32_e64 v46, 0, v43, s[22:23]
	v_add_co_u32_e32 v47, vcc, v47, v40
	v_cmp_eq_u32_e64 s[20:21], 0, v94
	v_addc_co_u32_e32 v46, vcc, v46, v41, vcc
	v_cndmask_b32_e64 v47, 0, v47, s[20:21]
	v_cndmask_b32_e64 v46, 0, v46, s[20:21]
	v_add_co_u32_e32 v47, vcc, v47, v38
	v_cmp_eq_u32_e64 s[18:19], 0, v93
	v_addc_co_u32_e32 v46, vcc, v46, v39, vcc
	;; [unrolled: 5-line block ×11, first 2 shown]
	v_cndmask_b32_e64 v47, 0, v47, s[2:3]
	v_cndmask_b32_e64 v46, 0, v46, s[2:3]
	v_add_co_u32_e32 v47, vcc, v47, v18
	v_addc_co_u32_e32 v46, vcc, v46, v19, vcc
	v_cmp_eq_u32_e32 vcc, 0, v83
	v_cndmask_b32_e32 v47, 0, v47, vcc
	v_add3_u32 v48, v99, v91, v90
	v_cndmask_b32_e32 v46, 0, v46, vcc
	v_add_co_u32_e64 v47, s[24:25], v47, v2
	v_add3_u32 v48, v48, v89, v88
	v_addc_co_u32_e64 v46, s[24:25], v46, v3, s[24:25]
	v_add3_u32 v48, v48, v87, v86
	v_cmp_eq_u32_e64 s[24:25], 0, v82
	v_add3_u32 v48, v48, v85, v84
	v_cndmask_b32_e64 v47, 0, v47, s[24:25]
	v_add3_u32 v49, v48, v83, v82
	v_cndmask_b32_e64 v46, 0, v46, s[24:25]
	v_add_co_u32_e64 v44, s[24:25], v47, v44
	v_mbcnt_hi_u32_b32 v48, -1, v98
	v_addc_co_u32_e64 v45, s[24:25], v46, v45, s[24:25]
	v_and_b32_e32 v46, 15, v48
	v_mov_b32_dpp v52, v49 row_shr:1 row_mask:0xf bank_mask:0xf
	v_mov_b32_dpp v47, v44 row_shr:1 row_mask:0xf bank_mask:0xf
	v_mov_b32_dpp v53, v45 row_shr:1 row_mask:0xf bank_mask:0xf
	v_cmp_ne_u32_e64 s[24:25], 0, v46
	s_and_saveexec_b64 s[26:27], s[24:25]
; %bb.130:
	v_cmp_eq_u32_e64 s[24:25], 0, v49
	v_cndmask_b32_e64 v47, 0, v47, s[24:25]
	v_add_u32_e32 v52, v52, v49
	v_cndmask_b32_e64 v49, 0, v53, s[24:25]
	v_add_co_u32_e64 v44, s[24:25], v47, v44
	v_addc_co_u32_e64 v45, s[24:25], v49, v45, s[24:25]
	v_mov_b32_e32 v49, v52
; %bb.131:
	s_or_b64 exec, exec, s[26:27]
	s_nop 0
	v_mov_b32_dpp v52, v49 row_shr:2 row_mask:0xf bank_mask:0xf
	v_mov_b32_dpp v47, v44 row_shr:2 row_mask:0xf bank_mask:0xf
	v_mov_b32_dpp v53, v45 row_shr:2 row_mask:0xf bank_mask:0xf
	v_cmp_lt_u32_e64 s[24:25], 1, v46
	s_and_saveexec_b64 s[26:27], s[24:25]
; %bb.132:
	v_cmp_eq_u32_e64 s[24:25], 0, v49
	v_cndmask_b32_e64 v47, 0, v47, s[24:25]
	v_add_u32_e32 v52, v52, v49
	v_cndmask_b32_e64 v49, 0, v53, s[24:25]
	v_add_co_u32_e64 v44, s[24:25], v47, v44
	v_addc_co_u32_e64 v45, s[24:25], v49, v45, s[24:25]
	v_mov_b32_e32 v49, v52
; %bb.133:
	s_or_b64 exec, exec, s[26:27]
	s_nop 0
	v_mov_b32_dpp v52, v49 row_shr:4 row_mask:0xf bank_mask:0xf
	v_mov_b32_dpp v47, v44 row_shr:4 row_mask:0xf bank_mask:0xf
	v_mov_b32_dpp v53, v45 row_shr:4 row_mask:0xf bank_mask:0xf
	v_cmp_lt_u32_e64 s[24:25], 3, v46
	;; [unrolled: 16-line block ×3, first 2 shown]
	s_and_saveexec_b64 s[26:27], s[24:25]
; %bb.136:
	v_cmp_eq_u32_e64 s[24:25], 0, v49
	v_cndmask_b32_e64 v47, 0, v47, s[24:25]
	v_add_u32_e32 v46, v52, v49
	v_cndmask_b32_e64 v49, 0, v53, s[24:25]
	v_add_co_u32_e64 v44, s[24:25], v47, v44
	v_addc_co_u32_e64 v45, s[24:25], v49, v45, s[24:25]
	v_mov_b32_e32 v49, v46
; %bb.137:
	s_or_b64 exec, exec, s[26:27]
	v_and_b32_e32 v53, 16, v48
	v_mov_b32_dpp v47, v49 row_bcast:15 row_mask:0xf bank_mask:0xf
	v_mov_b32_dpp v46, v44 row_bcast:15 row_mask:0xf bank_mask:0xf
	;; [unrolled: 1-line block ×3, first 2 shown]
	v_cmp_ne_u32_e64 s[24:25], 0, v53
	s_and_saveexec_b64 s[26:27], s[24:25]
; %bb.138:
	v_cmp_eq_u32_e64 s[24:25], 0, v49
	v_cndmask_b32_e64 v46, 0, v46, s[24:25]
	v_add_u32_e32 v47, v47, v49
	v_cndmask_b32_e64 v49, 0, v52, s[24:25]
	v_add_co_u32_e64 v44, s[24:25], v46, v44
	v_addc_co_u32_e64 v45, s[24:25], v49, v45, s[24:25]
	v_mov_b32_e32 v49, v47
; %bb.139:
	s_or_b64 exec, exec, s[26:27]
	s_nop 0
	v_mov_b32_dpp v47, v49 row_bcast:31 row_mask:0xf bank_mask:0xf
	v_mov_b32_dpp v46, v44 row_bcast:31 row_mask:0xf bank_mask:0xf
	;; [unrolled: 1-line block ×3, first 2 shown]
	v_cmp_lt_u32_e64 s[24:25], 31, v48
	s_and_saveexec_b64 s[26:27], s[24:25]
; %bb.140:
	v_cmp_eq_u32_e64 s[24:25], 0, v49
	v_cndmask_b32_e64 v46, 0, v46, s[24:25]
	v_add_u32_e32 v47, v47, v49
	v_cndmask_b32_e64 v49, 0, v52, s[24:25]
	v_add_co_u32_e64 v44, s[24:25], v46, v44
	v_addc_co_u32_e64 v45, s[24:25], v49, v45, s[24:25]
	v_mov_b32_e32 v49, v47
; %bb.141:
	s_or_b64 exec, exec, s[26:27]
	v_or_b32_e32 v46, 63, v0
	v_lshrrev_b32_e32 v52, 6, v0
	v_cmp_eq_u32_e64 s[24:25], v46, v0
	s_and_saveexec_b64 s[26:27], s[24:25]
	s_cbranch_execz .LBB1926_143
; %bb.142:
	v_lshlrev_b32_e32 v46, 4, v52
	ds_write_b32 v46, v49 offset:2080
	ds_write_b64 v46, v[44:45] offset:2088
.LBB1926_143:
	s_or_b64 exec, exec, s[26:27]
	v_cmp_gt_u32_e64 s[24:25], 4, v0
	s_waitcnt lgkmcnt(0)
	s_barrier
	s_and_saveexec_b64 s[26:27], s[24:25]
	s_cbranch_execz .LBB1926_149
; %bb.144:
	v_lshlrev_b32_e32 v53, 4, v0
	ds_read_b32 v54, v53 offset:2080
	ds_read_b64 v[46:47], v53 offset:2088
	v_and_b32_e32 v55, 3, v48
	v_cmp_ne_u32_e64 s[24:25], 0, v55
	s_waitcnt lgkmcnt(1)
	v_mov_b32_dpp v57, v54 row_shr:1 row_mask:0xf bank_mask:0xf
	s_waitcnt lgkmcnt(0)
	v_mov_b32_dpp v56, v46 row_shr:1 row_mask:0xf bank_mask:0xf
	v_mov_b32_dpp v58, v47 row_shr:1 row_mask:0xf bank_mask:0xf
	s_and_saveexec_b64 s[28:29], s[24:25]
; %bb.145:
	v_cmp_eq_u32_e64 s[24:25], 0, v54
	v_cndmask_b32_e64 v56, 0, v56, s[24:25]
	v_add_u32_e32 v57, v57, v54
	v_cndmask_b32_e64 v54, 0, v58, s[24:25]
	v_add_co_u32_e64 v46, s[24:25], v56, v46
	v_addc_co_u32_e64 v47, s[24:25], v54, v47, s[24:25]
	v_mov_b32_e32 v54, v57
; %bb.146:
	s_or_b64 exec, exec, s[28:29]
	s_nop 0
	v_mov_b32_dpp v57, v54 row_shr:2 row_mask:0xf bank_mask:0xf
	v_mov_b32_dpp v56, v46 row_shr:2 row_mask:0xf bank_mask:0xf
	;; [unrolled: 1-line block ×3, first 2 shown]
	v_cmp_lt_u32_e64 s[24:25], 1, v55
	s_and_saveexec_b64 s[28:29], s[24:25]
; %bb.147:
	v_cmp_eq_u32_e64 s[24:25], 0, v54
	v_cndmask_b32_e64 v56, 0, v56, s[24:25]
	v_add_u32_e32 v55, v57, v54
	v_cndmask_b32_e64 v54, 0, v58, s[24:25]
	v_add_co_u32_e64 v46, s[24:25], v56, v46
	v_addc_co_u32_e64 v47, s[24:25], v54, v47, s[24:25]
	v_mov_b32_e32 v54, v55
; %bb.148:
	s_or_b64 exec, exec, s[28:29]
	ds_write_b32 v53, v54 offset:2080
	ds_write_b64 v53, v[46:47] offset:2088
.LBB1926_149:
	s_or_b64 exec, exec, s[26:27]
	v_cmp_lt_u32_e64 s[24:25], 63, v0
	v_mov_b32_e32 v98, 0
	v_mov_b32_e32 v53, 0
	s_waitcnt vmcnt(0)
	v_pk_mov_b32 v[46:47], v[50:51], v[50:51] op_sel:[0,1]
	s_waitcnt lgkmcnt(0)
	s_barrier
	s_and_saveexec_b64 s[26:27], s[24:25]
	s_cbranch_execz .LBB1926_151
; %bb.150:
	v_lshlrev_b32_e32 v46, 4, v52
	ds_read_b32 v53, v46 offset:2064
	ds_read_b64 v[46:47], v46 offset:2072
	s_waitcnt lgkmcnt(1)
	v_cmp_eq_u32_e64 s[24:25], 0, v53
	v_cndmask_b32_e64 v54, 0, v50, s[24:25]
	v_cndmask_b32_e64 v52, 0, v51, s[24:25]
	s_waitcnt lgkmcnt(0)
	v_add_co_u32_e64 v46, s[24:25], v54, v46
	v_addc_co_u32_e64 v47, s[24:25], v52, v47, s[24:25]
.LBB1926_151:
	s_or_b64 exec, exec, s[26:27]
	v_cmp_eq_u32_e64 s[24:25], 0, v49
	v_cndmask_b32_e64 v54, 0, v46, s[24:25]
	v_add_u32_e32 v52, v53, v49
	v_cndmask_b32_e64 v49, 0, v47, s[24:25]
	v_add_co_u32_e64 v44, s[24:25], v54, v44
	v_addc_co_u32_e64 v45, s[24:25], v49, v45, s[24:25]
	v_add_u32_e32 v49, -1, v48
	v_and_b32_e32 v54, 64, v48
	v_cmp_lt_i32_e64 s[24:25], v49, v54
	v_cndmask_b32_e64 v49, v49, v48, s[24:25]
	v_lshlrev_b32_e32 v49, 2, v49
	ds_bpermute_b32 v52, v49, v52
	ds_bpermute_b32 v45, v49, v45
	;; [unrolled: 1-line block ×3, first 2 shown]
	v_cmp_eq_u32_e64 s[24:25], 0, v48
	v_cmp_eq_u32_e64 s[26:27], 0, v96
	s_waitcnt lgkmcnt(2)
	v_cndmask_b32_e64 v97, v52, v53, s[24:25]
	s_waitcnt lgkmcnt(1)
	v_cndmask_b32_e64 v77, v45, v47, s[24:25]
	;; [unrolled: 2-line block ×3, first 2 shown]
	v_cmp_eq_u32_e64 s[24:25], 0, v0
	v_cndmask_b32_e64 v44, v76, v50, s[24:25]
	v_cndmask_b32_e64 v45, v77, v51, s[24:25]
	;; [unrolled: 1-line block ×4, first 2 shown]
	v_add_co_u32_e64 v52, s[26:27], v44, v42
	v_addc_co_u32_e64 v53, s[26:27], v45, v43, s[26:27]
	v_cndmask_b32_e64 v43, 0, v52, s[22:23]
	v_cndmask_b32_e64 v42, 0, v53, s[22:23]
	v_add_co_u32_e64 v54, s[22:23], v43, v40
	v_addc_co_u32_e64 v55, s[22:23], v42, v41, s[22:23]
	v_cndmask_b32_e64 v41, 0, v54, s[20:21]
	v_cndmask_b32_e64 v40, 0, v55, s[20:21]
	;; [unrolled: 4-line block ×11, first 2 shown]
	v_add_co_u32_e64 v74, s[0:1], v23, v20
	v_addc_co_u32_e64 v75, s[0:1], v22, v21, s[0:1]
	v_cndmask_b32_e64 v21, 0, v74, s[2:3]
	ds_read_b32 v46, v98 offset:2128
	v_cndmask_b32_e64 v20, 0, v75, s[2:3]
	v_add_co_u32_e64 v78, s[0:1], v21, v18
	v_addc_co_u32_e64 v79, s[0:1], v20, v19, s[0:1]
	ds_read_b64 v[18:19], v98 offset:2136
	v_cndmask_b32_e32 v81, 0, v79, vcc
	v_cndmask_b32_e32 v80, 0, v78, vcc
	s_waitcnt lgkmcnt(1)
	v_cmp_eq_u32_e32 vcc, 0, v46
	v_cndmask_b32_e32 v21, 0, v50, vcc
	v_cndmask_b32_e32 v20, 0, v51, vcc
	s_waitcnt lgkmcnt(0)
	v_add_co_u32_e32 v48, vcc, v21, v18
	v_addc_co_u32_e32 v49, vcc, v20, v19, vcc
	s_and_saveexec_b64 s[0:1], s[24:25]
	s_cbranch_execz .LBB1926_153
; %bb.152:
	v_mov_b32_e32 v97, 0
	v_mov_b32_e32 v18, 2
	v_pk_mov_b32 v[76:77], v[50:51], v[50:51] op_sel:[0,1]
	global_store_dword v97, v46, s[38:39] offset:1024
	global_store_dwordx2 v97, v[48:49], s[38:39] offset:1032
	s_waitcnt vmcnt(0)
	buffer_wbinvl1_vol
	global_store_byte v97, v18, s[40:41] offset:64
.LBB1926_153:
	s_or_b64 exec, exec, s[0:1]
	v_mov_b32_e32 v50, 0
.LBB1926_154:
	s_and_b64 s[0:1], s[42:43], exec
	s_cselect_b32 s1, 0, s51
	s_cselect_b32 s0, 0, s50
	s_cmp_eq_u64 s[0:1], 0
	v_pk_mov_b32 v[18:19], 0, 0
	s_barrier
	s_cbranch_scc1 .LBB1926_156
; %bb.155:
	v_mov_b32_e32 v18, 0
	global_load_dwordx2 v[18:19], v18, s[0:1]
.LBB1926_156:
	s_waitcnt vmcnt(0)
	v_lshlrev_b64 v[34:35], 2, v[18:19]
	v_mov_b32_e32 v36, s53
	v_add_co_u32_e32 v37, vcc, s52, v34
	v_mov_b32_e32 v51, 0
	v_addc_co_u32_e32 v36, vcc, v36, v35, vcc
	v_lshlrev_b64 v[34:35], 2, v[50:51]
	v_add_co_u32_e32 v34, vcc, v37, v34
	v_addc_co_u32_e32 v35, vcc, v36, v35, vcc
	v_cmp_eq_u32_e32 vcc, 0, v96
	v_cndmask_b32_e64 v36, 1, 2, vcc
	v_cmp_eq_u32_e32 vcc, 0, v95
	v_cndmask_b32_e64 v37, 1, 2, vcc
	v_cmp_eq_u32_e32 vcc, 0, v94
	v_and_b32_e32 v36, v37, v36
	v_cndmask_b32_e64 v37, 1, 2, vcc
	v_cmp_eq_u32_e32 vcc, 0, v93
	v_add_u32_e32 v33, v97, v96
	v_and_b32_e32 v36, v36, v37
	v_cndmask_b32_e64 v37, 1, 2, vcc
	v_cmp_eq_u32_e32 vcc, 0, v92
	v_add_u32_e32 v32, v33, v95
	;; [unrolled: 4-line block ×12, first 2 shown]
	v_and_b32_e32 v36, v36, v37
	v_cndmask_b32_e64 v37, 1, 2, vcc
	s_movk_i32 s30, 0x100
	v_add_u32_e32 v21, v22, v84
	v_and_b32_e32 v36, v36, v37
	v_cmp_gt_u32_e32 vcc, s30, v46
	v_add_u32_e32 v20, v21, v83
	v_cmp_ne_u32_e64 s[28:29], 0, v96
	v_cmp_ne_u32_e64 s[26:27], 0, v95
	;; [unrolled: 1-line block ×15, first 2 shown]
	s_mov_b64 s[36:37], -1
	v_cmp_gt_i16_e64 s[30:31], 2, v36
	s_cbranch_vccz .LBB1926_163
; %bb.157:
	s_and_saveexec_b64 s[36:37], s[30:31]
	s_cbranch_execz .LBB1926_162
; %bb.158:
	v_cmp_ne_u16_e32 vcc, 1, v36
	s_mov_b64 s[38:39], 0
	s_and_saveexec_b64 s[30:31], vcc
	s_xor_b64 s[30:31], exec, s[30:31]
	s_cbranch_execnz .LBB1926_207
; %bb.159:
	s_andn2_saveexec_b64 s[30:31], s[30:31]
	s_cbranch_execnz .LBB1926_223
.LBB1926_160:
	s_or_b64 exec, exec, s[30:31]
	s_and_b64 exec, exec, s[38:39]
	s_cbranch_execz .LBB1926_162
.LBB1926_161:
	v_sub_u32_e32 v38, v20, v50
	v_mov_b32_e32 v39, 0
	v_lshlrev_b64 v[38:39], 2, v[38:39]
	v_add_co_u32_e32 v38, vcc, v34, v38
	v_addc_co_u32_e32 v39, vcc, v35, v39, vcc
	global_store_dword v[38:39], v1, off
.LBB1926_162:
	s_or_b64 exec, exec, s[36:37]
	s_mov_b64 s[36:37], 0
.LBB1926_163:
	s_and_b64 vcc, exec, s[36:37]
	s_cbranch_vccz .LBB1926_185
; %bb.164:
	v_cmp_gt_i16_e32 vcc, 2, v36
	s_and_saveexec_b64 s[30:31], vcc
	s_cbranch_execz .LBB1926_169
; %bb.165:
	v_cmp_ne_u16_e32 vcc, 1, v36
	s_mov_b64 s[38:39], 0
	s_and_saveexec_b64 s[36:37], vcc
	s_xor_b64 s[36:37], exec, s[36:37]
	s_cbranch_execnz .LBB1926_224
; %bb.166:
	s_andn2_saveexec_b64 s[0:1], s[36:37]
	s_cbranch_execnz .LBB1926_240
.LBB1926_167:
	s_or_b64 exec, exec, s[0:1]
	s_and_b64 exec, exec, s[38:39]
	s_cbranch_execz .LBB1926_169
.LBB1926_168:
	v_sub_u32_e32 v4, v20, v50
	v_lshlrev_b32_e32 v4, 2, v4
	ds_write_b32 v4, v1
.LBB1926_169:
	s_or_b64 exec, exec, s[30:31]
	v_cmp_lt_u32_e32 vcc, v0, v46
	s_waitcnt lgkmcnt(0)
	s_barrier
	s_and_saveexec_b64 s[2:3], vcc
	s_cbranch_execz .LBB1926_184
; %bb.170:
	v_xad_u32 v1, v0, -1, v46
	s_movk_i32 s0, 0x1700
	v_cmp_gt_u32_e64 s[4:5], s0, v1
	s_movk_i32 s0, 0x16ff
	v_cmp_lt_u32_e32 vcc, s0, v1
	v_mov_b32_e32 v4, v0
	s_and_saveexec_b64 s[6:7], vcc
	s_cbranch_execz .LBB1926_181
; %bb.171:
	v_sub_u32_e32 v4, v0, v46
	v_or_b32_e32 v4, 0xff, v4
	v_cmp_ge_u32_e32 vcc, v4, v0
	s_mov_b64 s[0:1], -1
	v_mov_b32_e32 v4, v0
	s_and_saveexec_b64 s[8:9], vcc
	s_cbranch_execz .LBB1926_180
; %bb.172:
	v_lshrrev_b32_e32 v8, 8, v1
	v_add_u32_e32 v4, -1, v8
	v_or_b32_e32 v1, 0x100, v0
	v_lshrrev_b32_e32 v5, 1, v4
	v_add_u32_e32 v10, 1, v5
	v_cmp_lt_u32_e32 vcc, 13, v4
	v_mov_b32_e32 v13, 0
	v_lshlrev_b32_e32 v9, 2, v0
	v_pk_mov_b32 v[4:5], v[0:1], v[0:1] op_sel:[0,1]
	s_and_saveexec_b64 s[10:11], vcc
	s_cbranch_execz .LBB1926_176
; %bb.173:
	v_and_b32_e32 v11, -8, v10
	s_mov_b32 s14, 0
	s_mov_b64 s[12:13], 0
	v_mov_b32_e32 v7, 0
	v_mov_b32_e32 v12, v9
	v_pk_mov_b32 v[4:5], v[0:1], v[0:1] op_sel:[0,1]
.LBB1926_174:                           ; =>This Inner Loop Header: Depth=1
	v_mov_b32_e32 v6, v4
	v_add_u32_e32 v11, -8, v11
	v_lshlrev_b64 v[114:115], 2, v[6:7]
	v_mov_b32_e32 v6, v5
	ds_read2st64_b32 v[14:15], v12 offset1:4
	s_add_i32 s14, s14, 16
	v_cmp_eq_u32_e32 vcc, 0, v11
	v_lshlrev_b64 v[116:117], 2, v[6:7]
	v_add_u32_e32 v6, 0x200, v4
	s_or_b64 s[12:13], vcc, s[12:13]
	v_add_co_u32_e32 v116, vcc, v34, v116
	v_add_u32_e32 v16, 0x200, v5
	v_mov_b32_e32 v17, v7
	ds_read2st64_b32 v[36:37], v12 offset0:8 offset1:12
	ds_read2st64_b32 v[40:41], v12 offset0:16 offset1:20
	v_add_co_u32_e64 v114, s[0:1], v34, v114
	v_addc_co_u32_e32 v117, vcc, v35, v117, vcc
	v_lshlrev_b64 v[118:119], 2, v[6:7]
	v_lshlrev_b64 v[16:17], 2, v[16:17]
	v_addc_co_u32_e64 v115, s[0:1], v35, v115, s[0:1]
	v_add_u32_e32 v6, 0x400, v4
	v_add_co_u32_e32 v118, vcc, v34, v118
	v_add_u32_e32 v38, 0x400, v5
	v_mov_b32_e32 v39, v7
	ds_read2st64_b32 v[44:45], v12 offset0:24 offset1:28
	v_add_co_u32_e64 v16, s[0:1], v34, v16
	v_addc_co_u32_e32 v119, vcc, v35, v119, vcc
	v_lshlrev_b64 v[120:121], 2, v[6:7]
	ds_read2st64_b32 v[100:101], v12 offset0:32 offset1:36
	ds_read2st64_b32 v[104:105], v12 offset0:40 offset1:44
	;; [unrolled: 1-line block ×4, first 2 shown]
	v_lshlrev_b64 v[38:39], 2, v[38:39]
	v_addc_co_u32_e64 v17, s[0:1], v35, v17, s[0:1]
	v_add_u32_e32 v6, 0x600, v4
	s_waitcnt lgkmcnt(7)
	global_store_dword v[114:115], v14, off
	global_store_dword v[116:117], v15, off
	s_waitcnt lgkmcnt(6)
	global_store_dword v[118:119], v36, off
	global_store_dword v[16:17], v37, off
	v_add_co_u32_e32 v14, vcc, v34, v120
	v_add_u32_e32 v42, 0x600, v5
	v_mov_b32_e32 v43, v7
	v_add_co_u32_e64 v38, s[0:1], v34, v38
	v_addc_co_u32_e32 v15, vcc, v35, v121, vcc
	v_lshlrev_b64 v[16:17], 2, v[6:7]
	v_lshlrev_b64 v[42:43], 2, v[42:43]
	v_addc_co_u32_e64 v39, s[0:1], v35, v39, s[0:1]
	v_add_u32_e32 v6, 0x800, v4
	s_waitcnt lgkmcnt(5)
	global_store_dword v[14:15], v40, off
	global_store_dword v[38:39], v41, off
	v_add_co_u32_e32 v14, vcc, v34, v16
	v_add_u32_e32 v98, 0x800, v5
	v_mov_b32_e32 v99, v7
	v_add_co_u32_e64 v42, s[0:1], v34, v42
	v_addc_co_u32_e32 v15, vcc, v35, v17, vcc
	v_lshlrev_b64 v[16:17], 2, v[6:7]
	v_lshlrev_b64 v[98:99], 2, v[98:99]
	v_addc_co_u32_e64 v43, s[0:1], v35, v43, s[0:1]
	v_add_u32_e32 v6, 0xa00, v4
	;; [unrolled: 12-line block ×4, first 2 shown]
	s_waitcnt lgkmcnt(2)
	global_store_dword v[14:15], v104, off
	global_store_dword v[102:103], v105, off
	v_add_co_u32_e32 v14, vcc, v34, v16
	v_add_u32_e32 v110, 0xe00, v5
	v_mov_b32_e32 v111, v7
	v_add_co_u32_e64 v106, s[0:1], v34, v106
	v_addc_co_u32_e32 v15, vcc, v35, v17, vcc
	v_lshlrev_b64 v[16:17], 2, v[6:7]
	v_lshlrev_b64 v[110:111], 2, v[110:111]
	v_addc_co_u32_e64 v107, s[0:1], v35, v107, s[0:1]
	s_waitcnt lgkmcnt(1)
	global_store_dword v[14:15], v108, off
	global_store_dword v[106:107], v109, off
	v_add_co_u32_e32 v14, vcc, v34, v16
	v_add_u32_e32 v12, 0x4000, v12
	v_add_u32_e32 v5, 0x1000, v5
	v_mov_b32_e32 v13, s14
	v_add_co_u32_e64 v110, s[0:1], v34, v110
	v_add_u32_e32 v4, 0x1000, v4
	v_addc_co_u32_e32 v15, vcc, v35, v17, vcc
	v_addc_co_u32_e64 v111, s[0:1], v35, v111, s[0:1]
	s_waitcnt lgkmcnt(0)
	global_store_dword v[14:15], v112, off
	global_store_dword v[110:111], v113, off
	s_andn2_b64 exec, exec, s[12:13]
	s_cbranch_execnz .LBB1926_174
; %bb.175:
	s_or_b64 exec, exec, s[12:13]
.LBB1926_176:
	s_or_b64 exec, exec, s[10:11]
	v_and_b32_e32 v1, 7, v10
	v_cmp_ne_u32_e32 vcc, 0, v1
	s_and_saveexec_b64 s[10:11], vcc
	s_cbranch_execz .LBB1926_179
; %bb.177:
	v_lshl_or_b32 v9, v13, 10, v9
	s_mov_b64 s[12:13], 0
	v_mov_b32_e32 v7, 0
.LBB1926_178:                           ; =>This Inner Loop Header: Depth=1
	ds_read2st64_b32 v[10:11], v9 offset1:4
	v_mov_b32_e32 v6, v4
	v_add_u32_e32 v1, -1, v1
	v_lshlrev_b64 v[12:13], 2, v[6:7]
	v_mov_b32_e32 v6, v5
	v_cmp_eq_u32_e32 vcc, 0, v1
	v_add_co_u32_e64 v12, s[0:1], v34, v12
	v_lshlrev_b64 v[14:15], 2, v[6:7]
	v_add_u32_e32 v4, 0x200, v4
	v_add_u32_e32 v9, 0x800, v9
	;; [unrolled: 1-line block ×3, first 2 shown]
	v_addc_co_u32_e64 v13, s[0:1], v35, v13, s[0:1]
	s_or_b64 s[12:13], vcc, s[12:13]
	v_add_co_u32_e32 v14, vcc, v34, v14
	v_addc_co_u32_e32 v15, vcc, v35, v15, vcc
	s_waitcnt lgkmcnt(0)
	global_store_dword v[12:13], v10, off
	global_store_dword v[14:15], v11, off
	s_andn2_b64 exec, exec, s[12:13]
	s_cbranch_execnz .LBB1926_178
.LBB1926_179:
	s_or_b64 exec, exec, s[10:11]
	v_add_u32_e32 v1, 1, v8
	v_and_b32_e32 v5, 0x1fffffe, v1
	v_cmp_ne_u32_e32 vcc, v1, v5
	v_lshl_or_b32 v4, v5, 8, v0
	s_orn2_b64 s[0:1], vcc, exec
.LBB1926_180:
	s_or_b64 exec, exec, s[8:9]
	s_andn2_b64 s[4:5], s[4:5], exec
	s_and_b64 s[0:1], s[0:1], exec
	s_or_b64 s[4:5], s[4:5], s[0:1]
.LBB1926_181:
	s_or_b64 exec, exec, s[6:7]
	s_and_b64 exec, exec, s[4:5]
	s_cbranch_execz .LBB1926_184
; %bb.182:
	v_lshlrev_b32_e32 v1, 2, v4
	s_mov_b64 s[0:1], 0
	v_mov_b32_e32 v5, 0
.LBB1926_183:                           ; =>This Inner Loop Header: Depth=1
	v_lshlrev_b64 v[6:7], 2, v[4:5]
	ds_read_b32 v8, v1
	v_add_co_u32_e32 v6, vcc, v34, v6
	v_add_u32_e32 v4, 0x100, v4
	v_addc_co_u32_e32 v7, vcc, v35, v7, vcc
	v_cmp_ge_u32_e32 vcc, v4, v46
	v_add_u32_e32 v1, 0x400, v1
	s_or_b64 s[0:1], vcc, s[0:1]
	s_waitcnt lgkmcnt(0)
	global_store_dword v[6:7], v8, off
	s_andn2_b64 exec, exec, s[0:1]
	s_cbranch_execnz .LBB1926_183
.LBB1926_184:
	s_or_b64 exec, exec, s[2:3]
.LBB1926_185:
	v_add_co_u32_e32 v2, vcc, v80, v2
	s_cmpk_lg_i32 s33, 0xf00
	v_addc_co_u32_e32 v3, vcc, v81, v3, vcc
	s_cselect_b64 s[0:1], -1, 0
	v_cndmask_b32_e64 v8, 0, 1, s[46:47]
	s_and_b64 s[0:1], s[44:45], s[0:1]
	v_cmp_eq_u32_e32 vcc, 0, v0
	v_sub_u32_e32 v1, v46, v8
	v_cndmask_b32_e64 v4, 0, 1, s[0:1]
	s_and_b64 s[0:1], vcc, s[46:47]
	v_add_u32_e32 v1, v1, v4
	v_cndmask_b32_e64 v4, v96, 0, s[0:1]
	s_mul_hi_u32 s0, s33, 0x88888889
	s_lshr_b32 s0, s0, 3
	v_mad_i32_i24 v5, v0, -15, s33
	v_cmp_eq_u32_e32 vcc, s0, v0
	v_cmp_ne_u32_e64 s[0:1], 0, v5
	v_cndmask_b32_e64 v6, 1, v4, s[0:1]
	v_cmp_ne_u32_e64 s[0:1], 1, v5
	v_cndmask_b32_e64 v7, 1, v95, s[0:1]
	;; [unrolled: 2-line block ×15, first 2 shown]
	s_and_b64 vcc, s[44:45], vcc
	v_cndmask_b32_e32 v37, v82, v5, vcc
	v_cndmask_b32_e32 v39, v4, v6, vcc
	v_lshlrev_b64 v[4:5], 3, v[18:19]
	v_cndmask_b32_e32 v36, v83, v36, vcc
	v_cndmask_b32_e32 v35, v84, v35, vcc
	;; [unrolled: 1-line block ×13, first 2 shown]
	v_mov_b32_e32 v6, s55
	v_add_co_u32_e32 v7, vcc, s54, v4
	v_addc_co_u32_e32 v6, vcc, v6, v5, vcc
	v_lshlrev_b64 v[4:5], 3, v[50:51]
	v_add_co_u32_e32 v4, vcc, v7, v4
	v_addc_co_u32_e32 v5, vcc, v6, v5, vcc
	v_lshlrev_b32_e32 v6, 3, v8
	v_add_co_u32_e32 v6, vcc, v6, v4
	v_addc_co_u32_e32 v7, vcc, 0, v5, vcc
	v_add_co_u32_e32 v6, vcc, -8, v6
	v_addc_co_u32_e32 v7, vcc, -1, v7, vcc
	v_cmp_eq_u32_e32 vcc, 0, v39
	v_cmp_ne_u32_e64 s[28:29], 0, v39
	v_cndmask_b32_e64 v39, 1, 2, vcc
	v_cmp_eq_u32_e32 vcc, 0, v38
	v_cmp_ne_u32_e64 s[26:27], 0, v38
	v_cndmask_b32_e64 v38, 1, 2, vcc
	v_cmp_eq_u32_e32 vcc, 0, v9
	v_and_b32_e32 v38, v38, v39
	v_cmp_ne_u32_e64 s[24:25], 0, v9
	v_cndmask_b32_e64 v9, 1, 2, vcc
	v_cmp_eq_u32_e32 vcc, 0, v10
	v_and_b32_e32 v9, v38, v9
	;; [unrolled: 4-line block ×3, first 2 shown]
	v_cndmask_b32_e64 v10, 1, 2, vcc
	v_cmp_eq_u32_e32 vcc, 0, v12
	v_and_b32_e32 v9, v9, v10
	v_cndmask_b32_e64 v10, 1, 2, vcc
	v_cmp_eq_u32_e32 vcc, 0, v13
	v_and_b32_e32 v9, v9, v10
	;; [unrolled: 3-line block ×10, first 2 shown]
	v_cndmask_b32_e64 v10, 1, 2, vcc
	s_movk_i32 s30, 0x100
	v_and_b32_e32 v9, v9, v10
	v_cmp_gt_u32_e32 vcc, s30, v1
	v_add_u32_e32 v8, v50, v8
	v_cmp_ne_u32_e64 s[20:21], 0, v11
	v_cmp_ne_u32_e64 s[18:19], 0, v12
	;; [unrolled: 1-line block ×11, first 2 shown]
	s_mov_b64 s[36:37], -1
	v_cmp_gt_i16_e64 s[30:31], 2, v9
	s_barrier
	s_cbranch_vccz .LBB1926_192
; %bb.186:
	s_and_saveexec_b64 s[36:37], s[30:31]
	s_cbranch_execz .LBB1926_191
; %bb.187:
	v_cmp_ne_u16_e32 vcc, 1, v9
	s_mov_b64 s[38:39], 0
	s_and_saveexec_b64 s[30:31], vcc
	s_xor_b64 s[30:31], exec, s[30:31]
	s_cbranch_execnz .LBB1926_241
; %bb.188:
	s_andn2_saveexec_b64 s[30:31], s[30:31]
	s_cbranch_execnz .LBB1926_257
.LBB1926_189:
	s_or_b64 exec, exec, s[30:31]
	s_and_b64 exec, exec, s[38:39]
	s_cbranch_execz .LBB1926_191
.LBB1926_190:
	v_sub_u32_e32 v10, v20, v8
	v_mov_b32_e32 v11, 0
	v_lshlrev_b64 v[10:11], 3, v[10:11]
	v_add_co_u32_e32 v10, vcc, v6, v10
	v_addc_co_u32_e32 v11, vcc, v7, v11, vcc
	global_store_dwordx2 v[10:11], v[2:3], off
.LBB1926_191:
	s_or_b64 exec, exec, s[36:37]
	s_mov_b64 s[36:37], 0
.LBB1926_192:
	s_and_b64 vcc, exec, s[36:37]
	s_cbranch_vccz .LBB1926_202
; %bb.193:
	v_cmp_gt_i16_e32 vcc, 2, v9
	s_and_saveexec_b64 s[30:31], vcc
	s_cbranch_execz .LBB1926_198
; %bb.194:
	v_cmp_ne_u16_e32 vcc, 1, v9
	s_mov_b64 s[38:39], 0
	s_and_saveexec_b64 s[36:37], vcc
	s_xor_b64 s[36:37], exec, s[36:37]
	s_cbranch_execnz .LBB1926_258
; %bb.195:
	s_andn2_saveexec_b64 s[0:1], s[36:37]
	s_cbranch_execnz .LBB1926_274
.LBB1926_196:
	s_or_b64 exec, exec, s[0:1]
	s_and_b64 exec, exec, s[38:39]
	s_cbranch_execz .LBB1926_198
.LBB1926_197:
	v_sub_u32_e32 v8, v20, v8
	v_lshlrev_b32_e32 v8, 3, v8
	ds_write_b64 v8, v[2:3]
.LBB1926_198:
	s_or_b64 exec, exec, s[30:31]
	v_cmp_lt_u32_e32 vcc, v0, v1
	s_waitcnt lgkmcnt(0)
	s_barrier
	s_and_saveexec_b64 s[0:1], vcc
	s_cbranch_execz .LBB1926_201
; %bb.199:
	v_lshlrev_b32_e32 v8, 3, v0
	s_mov_b64 s[2:3], 0
	v_mov_b32_e32 v3, 0
	v_mov_b32_e32 v2, v0
.LBB1926_200:                           ; =>This Inner Loop Header: Depth=1
	v_lshlrev_b64 v[10:11], 3, v[2:3]
	ds_read_b64 v[12:13], v8
	v_add_co_u32_e32 v10, vcc, v6, v10
	v_add_u32_e32 v2, 0x100, v2
	v_addc_co_u32_e32 v11, vcc, v7, v11, vcc
	v_cmp_ge_u32_e32 vcc, v2, v1
	v_add_u32_e32 v8, 0x800, v8
	s_or_b64 s[2:3], vcc, s[2:3]
	s_waitcnt lgkmcnt(0)
	global_store_dwordx2 v[10:11], v[12:13], off
	s_andn2_b64 exec, exec, s[2:3]
	s_cbranch_execnz .LBB1926_200
.LBB1926_201:
	s_or_b64 exec, exec, s[0:1]
.LBB1926_202:
	s_movk_i32 s0, 0xff
	v_cmp_eq_u32_e32 vcc, s0, v0
	s_and_b64 s[0:1], vcc, s[44:45]
	s_and_saveexec_b64 s[2:3], s[0:1]
	s_cbranch_execz .LBB1926_205
; %bb.203:
	v_add_co_u32_e32 v0, vcc, v46, v50
	v_addc_co_u32_e64 v1, s[0:1], 0, 0, vcc
	v_add_co_u32_e32 v0, vcc, v0, v18
	v_mov_b32_e32 v47, 0
	v_addc_co_u32_e32 v1, vcc, v1, v19, vcc
	s_cmpk_lg_i32 s33, 0xf00
	global_store_dwordx2 v47, v[0:1], s[34:35]
	s_cbranch_scc1 .LBB1926_205
; %bb.204:
	v_lshlrev_b64 v[0:1], 3, v[46:47]
	v_add_co_u32_e32 v0, vcc, v4, v0
	v_addc_co_u32_e32 v1, vcc, v5, v1, vcc
	global_store_dwordx2 v[0:1], v[48:49], off offset:-8
.LBB1926_205:
	s_endpgm
.LBB1926_206:
	s_or_b64 exec, exec, s[10:11]
	v_mov_b32_e32 v96, s7
	s_and_saveexec_b64 s[0:1], s[4:5]
	s_cbranch_execnz .LBB1926_54
	s_branch .LBB1926_55
.LBB1926_207:
	s_and_saveexec_b64 s[38:39], s[28:29]
	s_cbranch_execnz .LBB1926_275
; %bb.208:
	s_or_b64 exec, exec, s[38:39]
	s_and_saveexec_b64 s[38:39], s[26:27]
	s_cbranch_execnz .LBB1926_276
.LBB1926_209:
	s_or_b64 exec, exec, s[38:39]
	s_and_saveexec_b64 s[38:39], s[24:25]
	s_cbranch_execnz .LBB1926_277
.LBB1926_210:
	s_or_b64 exec, exec, s[38:39]
	s_and_saveexec_b64 s[38:39], s[22:23]
	s_cbranch_execnz .LBB1926_278
.LBB1926_211:
	s_or_b64 exec, exec, s[38:39]
	s_and_saveexec_b64 s[38:39], s[20:21]
	s_cbranch_execnz .LBB1926_279
.LBB1926_212:
	s_or_b64 exec, exec, s[38:39]
	s_and_saveexec_b64 s[38:39], s[18:19]
	s_cbranch_execnz .LBB1926_280
.LBB1926_213:
	s_or_b64 exec, exec, s[38:39]
	s_and_saveexec_b64 s[38:39], s[16:17]
	s_cbranch_execnz .LBB1926_281
.LBB1926_214:
	s_or_b64 exec, exec, s[38:39]
	s_and_saveexec_b64 s[38:39], s[14:15]
	s_cbranch_execnz .LBB1926_282
.LBB1926_215:
	s_or_b64 exec, exec, s[38:39]
	s_and_saveexec_b64 s[38:39], s[12:13]
	s_cbranch_execnz .LBB1926_283
.LBB1926_216:
	s_or_b64 exec, exec, s[38:39]
	s_and_saveexec_b64 s[38:39], s[10:11]
	s_cbranch_execnz .LBB1926_284
.LBB1926_217:
	s_or_b64 exec, exec, s[38:39]
	s_and_saveexec_b64 s[38:39], s[8:9]
	s_cbranch_execnz .LBB1926_285
.LBB1926_218:
	s_or_b64 exec, exec, s[38:39]
	s_and_saveexec_b64 s[38:39], s[6:7]
	s_cbranch_execnz .LBB1926_286
.LBB1926_219:
	s_or_b64 exec, exec, s[38:39]
	s_and_saveexec_b64 s[38:39], s[4:5]
	s_cbranch_execnz .LBB1926_287
.LBB1926_220:
	s_or_b64 exec, exec, s[38:39]
	s_and_saveexec_b64 s[38:39], s[2:3]
	s_cbranch_execz .LBB1926_222
.LBB1926_221:
	v_sub_u32_e32 v38, v21, v50
	v_mov_b32_e32 v39, 0
	v_lshlrev_b64 v[38:39], 2, v[38:39]
	v_add_co_u32_e32 v38, vcc, v34, v38
	v_addc_co_u32_e32 v39, vcc, v35, v39, vcc
	global_store_dword v[38:39], v5, off
.LBB1926_222:
	s_or_b64 exec, exec, s[38:39]
	s_and_b64 s[38:39], s[0:1], exec
	s_andn2_saveexec_b64 s[30:31], s[30:31]
	s_cbranch_execz .LBB1926_160
.LBB1926_223:
	v_sub_u32_e32 v38, v97, v50
	v_mov_b32_e32 v39, 0
	v_lshlrev_b64 v[40:41], 2, v[38:39]
	v_add_co_u32_e32 v40, vcc, v34, v40
	v_addc_co_u32_e32 v41, vcc, v35, v41, vcc
	v_sub_u32_e32 v38, v33, v50
	global_store_dword v[40:41], v16, off
	v_lshlrev_b64 v[40:41], 2, v[38:39]
	v_add_co_u32_e32 v40, vcc, v34, v40
	v_addc_co_u32_e32 v41, vcc, v35, v41, vcc
	v_sub_u32_e32 v38, v32, v50
	global_store_dword v[40:41], v17, off
	v_lshlrev_b64 v[40:41], 2, v[38:39]
	v_add_co_u32_e32 v40, vcc, v34, v40
	v_addc_co_u32_e32 v41, vcc, v35, v41, vcc
	v_sub_u32_e32 v38, v31, v50
	global_store_dword v[40:41], v14, off
	v_lshlrev_b64 v[40:41], 2, v[38:39]
	v_add_co_u32_e32 v40, vcc, v34, v40
	v_addc_co_u32_e32 v41, vcc, v35, v41, vcc
	v_sub_u32_e32 v38, v30, v50
	global_store_dword v[40:41], v15, off
	v_lshlrev_b64 v[40:41], 2, v[38:39]
	v_add_co_u32_e32 v40, vcc, v34, v40
	v_addc_co_u32_e32 v41, vcc, v35, v41, vcc
	v_sub_u32_e32 v38, v29, v50
	global_store_dword v[40:41], v12, off
	v_lshlrev_b64 v[40:41], 2, v[38:39]
	v_add_co_u32_e32 v40, vcc, v34, v40
	v_addc_co_u32_e32 v41, vcc, v35, v41, vcc
	v_sub_u32_e32 v38, v28, v50
	global_store_dword v[40:41], v13, off
	v_lshlrev_b64 v[40:41], 2, v[38:39]
	v_add_co_u32_e32 v40, vcc, v34, v40
	v_addc_co_u32_e32 v41, vcc, v35, v41, vcc
	v_sub_u32_e32 v38, v27, v50
	global_store_dword v[40:41], v10, off
	v_lshlrev_b64 v[40:41], 2, v[38:39]
	v_add_co_u32_e32 v40, vcc, v34, v40
	v_addc_co_u32_e32 v41, vcc, v35, v41, vcc
	v_sub_u32_e32 v38, v26, v50
	global_store_dword v[40:41], v11, off
	v_lshlrev_b64 v[40:41], 2, v[38:39]
	v_add_co_u32_e32 v40, vcc, v34, v40
	v_addc_co_u32_e32 v41, vcc, v35, v41, vcc
	v_sub_u32_e32 v38, v25, v50
	global_store_dword v[40:41], v8, off
	v_lshlrev_b64 v[40:41], 2, v[38:39]
	v_add_co_u32_e32 v40, vcc, v34, v40
	v_addc_co_u32_e32 v41, vcc, v35, v41, vcc
	v_sub_u32_e32 v38, v24, v50
	global_store_dword v[40:41], v9, off
	v_lshlrev_b64 v[40:41], 2, v[38:39]
	v_add_co_u32_e32 v40, vcc, v34, v40
	v_addc_co_u32_e32 v41, vcc, v35, v41, vcc
	v_sub_u32_e32 v38, v23, v50
	global_store_dword v[40:41], v6, off
	v_lshlrev_b64 v[40:41], 2, v[38:39]
	v_add_co_u32_e32 v40, vcc, v34, v40
	v_addc_co_u32_e32 v41, vcc, v35, v41, vcc
	v_sub_u32_e32 v38, v22, v50
	global_store_dword v[40:41], v7, off
	v_lshlrev_b64 v[40:41], 2, v[38:39]
	v_add_co_u32_e32 v40, vcc, v34, v40
	v_sub_u32_e32 v38, v21, v50
	v_addc_co_u32_e32 v41, vcc, v35, v41, vcc
	v_lshlrev_b64 v[38:39], 2, v[38:39]
	v_add_co_u32_e32 v38, vcc, v34, v38
	v_addc_co_u32_e32 v39, vcc, v35, v39, vcc
	s_or_b64 s[38:39], s[38:39], exec
	global_store_dword v[40:41], v4, off
	global_store_dword v[38:39], v5, off
	s_or_b64 exec, exec, s[30:31]
	s_and_b64 exec, exec, s[38:39]
	s_cbranch_execnz .LBB1926_161
	s_branch .LBB1926_162
.LBB1926_224:
	s_and_saveexec_b64 s[38:39], s[28:29]
	s_cbranch_execnz .LBB1926_288
; %bb.225:
	s_or_b64 exec, exec, s[38:39]
	s_and_saveexec_b64 s[28:29], s[26:27]
	s_cbranch_execnz .LBB1926_289
.LBB1926_226:
	s_or_b64 exec, exec, s[28:29]
	s_and_saveexec_b64 s[26:27], s[24:25]
	s_cbranch_execnz .LBB1926_290
.LBB1926_227:
	s_or_b64 exec, exec, s[26:27]
	s_and_saveexec_b64 s[24:25], s[22:23]
	s_cbranch_execnz .LBB1926_291
.LBB1926_228:
	s_or_b64 exec, exec, s[24:25]
	s_and_saveexec_b64 s[22:23], s[20:21]
	s_cbranch_execnz .LBB1926_292
.LBB1926_229:
	s_or_b64 exec, exec, s[22:23]
	s_and_saveexec_b64 s[20:21], s[18:19]
	s_cbranch_execnz .LBB1926_293
.LBB1926_230:
	s_or_b64 exec, exec, s[20:21]
	s_and_saveexec_b64 s[18:19], s[16:17]
	s_cbranch_execnz .LBB1926_294
.LBB1926_231:
	s_or_b64 exec, exec, s[18:19]
	s_and_saveexec_b64 s[16:17], s[14:15]
	s_cbranch_execnz .LBB1926_295
.LBB1926_232:
	s_or_b64 exec, exec, s[16:17]
	s_and_saveexec_b64 s[14:15], s[12:13]
	s_cbranch_execnz .LBB1926_296
.LBB1926_233:
	s_or_b64 exec, exec, s[14:15]
	s_and_saveexec_b64 s[12:13], s[10:11]
	s_cbranch_execnz .LBB1926_297
.LBB1926_234:
	s_or_b64 exec, exec, s[12:13]
	s_and_saveexec_b64 s[10:11], s[8:9]
	s_cbranch_execnz .LBB1926_298
.LBB1926_235:
	s_or_b64 exec, exec, s[10:11]
	s_and_saveexec_b64 s[8:9], s[6:7]
	s_cbranch_execnz .LBB1926_299
.LBB1926_236:
	s_or_b64 exec, exec, s[8:9]
	s_and_saveexec_b64 s[6:7], s[4:5]
	s_cbranch_execnz .LBB1926_300
.LBB1926_237:
	s_or_b64 exec, exec, s[6:7]
	s_and_saveexec_b64 s[4:5], s[2:3]
	s_cbranch_execz .LBB1926_239
.LBB1926_238:
	v_sub_u32_e32 v4, v21, v50
	v_lshlrev_b32_e32 v4, 2, v4
	ds_write_b32 v4, v5
.LBB1926_239:
	s_or_b64 exec, exec, s[4:5]
	s_and_b64 s[38:39], s[0:1], exec
                                        ; implicit-def: $vgpr4
                                        ; implicit-def: $vgpr6
                                        ; implicit-def: $vgpr8
                                        ; implicit-def: $vgpr10
                                        ; implicit-def: $vgpr12
                                        ; implicit-def: $vgpr14
                                        ; implicit-def: $vgpr16
	s_andn2_saveexec_b64 s[0:1], s[36:37]
	s_cbranch_execz .LBB1926_167
.LBB1926_240:
	v_sub_u32_e32 v36, v97, v50
	v_lshlrev_b32_e32 v36, 2, v36
	ds_write_b32 v36, v16
	v_sub_u32_e32 v16, v33, v50
	v_lshlrev_b32_e32 v16, 2, v16
	ds_write_b32 v16, v17
	v_sub_u32_e32 v16, v32, v50
	v_lshlrev_b32_e32 v16, 2, v16
	ds_write_b32 v16, v14
	v_sub_u32_e32 v14, v31, v50
	v_lshlrev_b32_e32 v14, 2, v14
	ds_write_b32 v14, v15
	v_sub_u32_e32 v14, v30, v50
	v_lshlrev_b32_e32 v14, 2, v14
	ds_write_b32 v14, v12
	v_sub_u32_e32 v12, v29, v50
	v_lshlrev_b32_e32 v12, 2, v12
	ds_write_b32 v12, v13
	v_sub_u32_e32 v12, v28, v50
	v_lshlrev_b32_e32 v12, 2, v12
	ds_write_b32 v12, v10
	v_sub_u32_e32 v10, v27, v50
	v_lshlrev_b32_e32 v10, 2, v10
	ds_write_b32 v10, v11
	v_sub_u32_e32 v10, v26, v50
	v_lshlrev_b32_e32 v10, 2, v10
	ds_write_b32 v10, v8
	v_sub_u32_e32 v8, v25, v50
	v_lshlrev_b32_e32 v8, 2, v8
	ds_write_b32 v8, v9
	v_sub_u32_e32 v8, v24, v50
	v_lshlrev_b32_e32 v8, 2, v8
	ds_write_b32 v8, v6
	v_sub_u32_e32 v6, v23, v50
	v_lshlrev_b32_e32 v6, 2, v6
	ds_write_b32 v6, v7
	v_sub_u32_e32 v6, v22, v50
	v_lshlrev_b32_e32 v6, 2, v6
	ds_write_b32 v6, v4
	v_sub_u32_e32 v4, v21, v50
	v_lshlrev_b32_e32 v4, 2, v4
	s_or_b64 s[38:39], s[38:39], exec
	ds_write_b32 v4, v5
	s_or_b64 exec, exec, s[0:1]
	s_and_b64 exec, exec, s[38:39]
	s_cbranch_execnz .LBB1926_168
	s_branch .LBB1926_169
.LBB1926_241:
	s_and_saveexec_b64 s[38:39], s[28:29]
	s_cbranch_execnz .LBB1926_301
; %bb.242:
	s_or_b64 exec, exec, s[38:39]
	s_and_saveexec_b64 s[38:39], s[26:27]
	s_cbranch_execnz .LBB1926_302
.LBB1926_243:
	s_or_b64 exec, exec, s[38:39]
	s_and_saveexec_b64 s[38:39], s[24:25]
	s_cbranch_execnz .LBB1926_303
.LBB1926_244:
	s_or_b64 exec, exec, s[38:39]
	s_and_saveexec_b64 s[38:39], s[22:23]
	s_cbranch_execnz .LBB1926_304
.LBB1926_245:
	s_or_b64 exec, exec, s[38:39]
	s_and_saveexec_b64 s[38:39], s[20:21]
	s_cbranch_execnz .LBB1926_305
.LBB1926_246:
	s_or_b64 exec, exec, s[38:39]
	s_and_saveexec_b64 s[38:39], s[18:19]
	s_cbranch_execnz .LBB1926_306
.LBB1926_247:
	s_or_b64 exec, exec, s[38:39]
	s_and_saveexec_b64 s[38:39], s[16:17]
	s_cbranch_execnz .LBB1926_307
.LBB1926_248:
	s_or_b64 exec, exec, s[38:39]
	s_and_saveexec_b64 s[38:39], s[14:15]
	s_cbranch_execnz .LBB1926_308
.LBB1926_249:
	s_or_b64 exec, exec, s[38:39]
	s_and_saveexec_b64 s[38:39], s[12:13]
	s_cbranch_execnz .LBB1926_309
.LBB1926_250:
	s_or_b64 exec, exec, s[38:39]
	s_and_saveexec_b64 s[38:39], s[10:11]
	s_cbranch_execnz .LBB1926_310
.LBB1926_251:
	s_or_b64 exec, exec, s[38:39]
	s_and_saveexec_b64 s[38:39], s[8:9]
	s_cbranch_execnz .LBB1926_311
.LBB1926_252:
	s_or_b64 exec, exec, s[38:39]
	s_and_saveexec_b64 s[38:39], s[6:7]
	s_cbranch_execnz .LBB1926_312
.LBB1926_253:
	s_or_b64 exec, exec, s[38:39]
	s_and_saveexec_b64 s[38:39], s[4:5]
	s_cbranch_execnz .LBB1926_313
.LBB1926_254:
	s_or_b64 exec, exec, s[38:39]
	s_and_saveexec_b64 s[38:39], s[2:3]
	s_cbranch_execz .LBB1926_256
.LBB1926_255:
	v_sub_u32_e32 v10, v21, v8
	v_mov_b32_e32 v11, 0
	v_lshlrev_b64 v[10:11], 3, v[10:11]
	v_add_co_u32_e32 v10, vcc, v6, v10
	v_addc_co_u32_e32 v11, vcc, v7, v11, vcc
	global_store_dwordx2 v[10:11], v[78:79], off
.LBB1926_256:
	s_or_b64 exec, exec, s[38:39]
	s_and_b64 s[38:39], s[0:1], exec
	s_andn2_saveexec_b64 s[30:31], s[30:31]
	s_cbranch_execz .LBB1926_189
.LBB1926_257:
	v_sub_u32_e32 v10, v97, v8
	v_mov_b32_e32 v11, 0
	v_lshlrev_b64 v[12:13], 3, v[10:11]
	v_add_co_u32_e32 v12, vcc, v6, v12
	v_addc_co_u32_e32 v13, vcc, v7, v13, vcc
	v_sub_u32_e32 v10, v33, v8
	global_store_dwordx2 v[12:13], v[76:77], off
	v_lshlrev_b64 v[12:13], 3, v[10:11]
	v_add_co_u32_e32 v12, vcc, v6, v12
	v_addc_co_u32_e32 v13, vcc, v7, v13, vcc
	v_sub_u32_e32 v10, v32, v8
	global_store_dwordx2 v[12:13], v[52:53], off
	;; [unrolled: 5-line block ×12, first 2 shown]
	v_lshlrev_b64 v[12:13], 3, v[10:11]
	v_add_co_u32_e32 v12, vcc, v6, v12
	v_sub_u32_e32 v10, v21, v8
	v_addc_co_u32_e32 v13, vcc, v7, v13, vcc
	v_lshlrev_b64 v[10:11], 3, v[10:11]
	v_add_co_u32_e32 v10, vcc, v6, v10
	v_addc_co_u32_e32 v11, vcc, v7, v11, vcc
	s_or_b64 s[38:39], s[38:39], exec
	global_store_dwordx2 v[12:13], v[74:75], off
	global_store_dwordx2 v[10:11], v[78:79], off
	s_or_b64 exec, exec, s[30:31]
	s_and_b64 exec, exec, s[38:39]
	s_cbranch_execnz .LBB1926_190
	s_branch .LBB1926_191
.LBB1926_258:
	s_and_saveexec_b64 s[38:39], s[28:29]
	s_cbranch_execnz .LBB1926_314
; %bb.259:
	s_or_b64 exec, exec, s[38:39]
	s_and_saveexec_b64 s[28:29], s[26:27]
	s_cbranch_execnz .LBB1926_315
.LBB1926_260:
	s_or_b64 exec, exec, s[28:29]
	s_and_saveexec_b64 s[26:27], s[24:25]
	s_cbranch_execnz .LBB1926_316
.LBB1926_261:
	s_or_b64 exec, exec, s[26:27]
	s_and_saveexec_b64 s[24:25], s[22:23]
	s_cbranch_execnz .LBB1926_317
.LBB1926_262:
	s_or_b64 exec, exec, s[24:25]
	s_and_saveexec_b64 s[22:23], s[20:21]
	s_cbranch_execnz .LBB1926_318
.LBB1926_263:
	s_or_b64 exec, exec, s[22:23]
	s_and_saveexec_b64 s[20:21], s[18:19]
	s_cbranch_execnz .LBB1926_319
.LBB1926_264:
	s_or_b64 exec, exec, s[20:21]
	s_and_saveexec_b64 s[18:19], s[16:17]
	s_cbranch_execnz .LBB1926_320
.LBB1926_265:
	s_or_b64 exec, exec, s[18:19]
	s_and_saveexec_b64 s[16:17], s[14:15]
	s_cbranch_execnz .LBB1926_321
.LBB1926_266:
	s_or_b64 exec, exec, s[16:17]
	s_and_saveexec_b64 s[14:15], s[12:13]
	s_cbranch_execnz .LBB1926_322
.LBB1926_267:
	s_or_b64 exec, exec, s[14:15]
	s_and_saveexec_b64 s[12:13], s[10:11]
	s_cbranch_execnz .LBB1926_323
.LBB1926_268:
	s_or_b64 exec, exec, s[12:13]
	s_and_saveexec_b64 s[10:11], s[8:9]
	s_cbranch_execnz .LBB1926_324
.LBB1926_269:
	s_or_b64 exec, exec, s[10:11]
	s_and_saveexec_b64 s[8:9], s[6:7]
	s_cbranch_execnz .LBB1926_325
.LBB1926_270:
	s_or_b64 exec, exec, s[8:9]
	s_and_saveexec_b64 s[6:7], s[4:5]
	s_cbranch_execnz .LBB1926_326
.LBB1926_271:
	s_or_b64 exec, exec, s[6:7]
	s_and_saveexec_b64 s[4:5], s[2:3]
	s_cbranch_execz .LBB1926_273
.LBB1926_272:
	v_sub_u32_e32 v9, v21, v8
	v_lshlrev_b32_e32 v9, 3, v9
	ds_write_b64 v9, v[78:79]
.LBB1926_273:
	s_or_b64 exec, exec, s[4:5]
	s_and_b64 s[38:39], s[0:1], exec
                                        ; implicit-def: $vgpr76_vgpr77
                                        ; implicit-def: $vgpr52_vgpr53
                                        ; implicit-def: $vgpr54_vgpr55
                                        ; implicit-def: $vgpr56_vgpr57
                                        ; implicit-def: $vgpr58_vgpr59
                                        ; implicit-def: $vgpr60_vgpr61
                                        ; implicit-def: $vgpr62_vgpr63
                                        ; implicit-def: $vgpr64_vgpr65
                                        ; implicit-def: $vgpr66_vgpr67
                                        ; implicit-def: $vgpr68_vgpr69
                                        ; implicit-def: $vgpr70_vgpr71
                                        ; implicit-def: $vgpr72_vgpr73
                                        ; implicit-def: $vgpr74_vgpr75
                                        ; implicit-def: $vgpr78_vgpr79
                                        ; implicit-def: $vgpr97
                                        ; implicit-def: $vgpr33
                                        ; implicit-def: $vgpr32
                                        ; implicit-def: $vgpr31
                                        ; implicit-def: $vgpr30
                                        ; implicit-def: $vgpr29
                                        ; implicit-def: $vgpr28
                                        ; implicit-def: $vgpr27
                                        ; implicit-def: $vgpr26
                                        ; implicit-def: $vgpr25
                                        ; implicit-def: $vgpr24
                                        ; implicit-def: $vgpr23
                                        ; implicit-def: $vgpr22
                                        ; implicit-def: $vgpr21
	s_andn2_saveexec_b64 s[0:1], s[36:37]
	s_cbranch_execz .LBB1926_196
.LBB1926_274:
	v_sub_u32_e32 v9, v97, v8
	v_lshlrev_b32_e32 v9, 3, v9
	ds_write_b64 v9, v[76:77]
	v_sub_u32_e32 v9, v33, v8
	v_lshlrev_b32_e32 v9, 3, v9
	ds_write_b64 v9, v[52:53]
	;; [unrolled: 3-line block ×13, first 2 shown]
	v_sub_u32_e32 v9, v21, v8
	v_lshlrev_b32_e32 v9, 3, v9
	s_or_b64 s[38:39], s[38:39], exec
	ds_write_b64 v9, v[78:79]
	s_or_b64 exec, exec, s[0:1]
	s_and_b64 exec, exec, s[38:39]
	s_cbranch_execnz .LBB1926_197
	s_branch .LBB1926_198
.LBB1926_275:
	v_sub_u32_e32 v38, v97, v50
	v_mov_b32_e32 v39, 0
	v_lshlrev_b64 v[38:39], 2, v[38:39]
	v_add_co_u32_e32 v38, vcc, v34, v38
	v_addc_co_u32_e32 v39, vcc, v35, v39, vcc
	global_store_dword v[38:39], v16, off
	s_or_b64 exec, exec, s[38:39]
	s_and_saveexec_b64 s[38:39], s[26:27]
	s_cbranch_execz .LBB1926_209
.LBB1926_276:
	v_sub_u32_e32 v38, v33, v50
	v_mov_b32_e32 v39, 0
	v_lshlrev_b64 v[38:39], 2, v[38:39]
	v_add_co_u32_e32 v38, vcc, v34, v38
	v_addc_co_u32_e32 v39, vcc, v35, v39, vcc
	global_store_dword v[38:39], v17, off
	s_or_b64 exec, exec, s[38:39]
	s_and_saveexec_b64 s[38:39], s[24:25]
	s_cbranch_execz .LBB1926_210
.LBB1926_277:
	v_sub_u32_e32 v38, v32, v50
	v_mov_b32_e32 v39, 0
	v_lshlrev_b64 v[38:39], 2, v[38:39]
	v_add_co_u32_e32 v38, vcc, v34, v38
	v_addc_co_u32_e32 v39, vcc, v35, v39, vcc
	global_store_dword v[38:39], v14, off
	s_or_b64 exec, exec, s[38:39]
	s_and_saveexec_b64 s[38:39], s[22:23]
	s_cbranch_execz .LBB1926_211
.LBB1926_278:
	v_sub_u32_e32 v38, v31, v50
	v_mov_b32_e32 v39, 0
	v_lshlrev_b64 v[38:39], 2, v[38:39]
	v_add_co_u32_e32 v38, vcc, v34, v38
	v_addc_co_u32_e32 v39, vcc, v35, v39, vcc
	global_store_dword v[38:39], v15, off
	s_or_b64 exec, exec, s[38:39]
	s_and_saveexec_b64 s[38:39], s[20:21]
	s_cbranch_execz .LBB1926_212
.LBB1926_279:
	v_sub_u32_e32 v38, v30, v50
	v_mov_b32_e32 v39, 0
	v_lshlrev_b64 v[38:39], 2, v[38:39]
	v_add_co_u32_e32 v38, vcc, v34, v38
	v_addc_co_u32_e32 v39, vcc, v35, v39, vcc
	global_store_dword v[38:39], v12, off
	s_or_b64 exec, exec, s[38:39]
	s_and_saveexec_b64 s[38:39], s[18:19]
	s_cbranch_execz .LBB1926_213
.LBB1926_280:
	v_sub_u32_e32 v38, v29, v50
	v_mov_b32_e32 v39, 0
	v_lshlrev_b64 v[38:39], 2, v[38:39]
	v_add_co_u32_e32 v38, vcc, v34, v38
	v_addc_co_u32_e32 v39, vcc, v35, v39, vcc
	global_store_dword v[38:39], v13, off
	s_or_b64 exec, exec, s[38:39]
	s_and_saveexec_b64 s[38:39], s[16:17]
	s_cbranch_execz .LBB1926_214
.LBB1926_281:
	v_sub_u32_e32 v38, v28, v50
	v_mov_b32_e32 v39, 0
	v_lshlrev_b64 v[38:39], 2, v[38:39]
	v_add_co_u32_e32 v38, vcc, v34, v38
	v_addc_co_u32_e32 v39, vcc, v35, v39, vcc
	global_store_dword v[38:39], v10, off
	s_or_b64 exec, exec, s[38:39]
	s_and_saveexec_b64 s[38:39], s[14:15]
	s_cbranch_execz .LBB1926_215
.LBB1926_282:
	v_sub_u32_e32 v38, v27, v50
	v_mov_b32_e32 v39, 0
	v_lshlrev_b64 v[38:39], 2, v[38:39]
	v_add_co_u32_e32 v38, vcc, v34, v38
	v_addc_co_u32_e32 v39, vcc, v35, v39, vcc
	global_store_dword v[38:39], v11, off
	s_or_b64 exec, exec, s[38:39]
	s_and_saveexec_b64 s[38:39], s[12:13]
	s_cbranch_execz .LBB1926_216
.LBB1926_283:
	v_sub_u32_e32 v38, v26, v50
	v_mov_b32_e32 v39, 0
	v_lshlrev_b64 v[38:39], 2, v[38:39]
	v_add_co_u32_e32 v38, vcc, v34, v38
	v_addc_co_u32_e32 v39, vcc, v35, v39, vcc
	global_store_dword v[38:39], v8, off
	s_or_b64 exec, exec, s[38:39]
	s_and_saveexec_b64 s[38:39], s[10:11]
	s_cbranch_execz .LBB1926_217
.LBB1926_284:
	v_sub_u32_e32 v38, v25, v50
	v_mov_b32_e32 v39, 0
	v_lshlrev_b64 v[38:39], 2, v[38:39]
	v_add_co_u32_e32 v38, vcc, v34, v38
	v_addc_co_u32_e32 v39, vcc, v35, v39, vcc
	global_store_dword v[38:39], v9, off
	s_or_b64 exec, exec, s[38:39]
	s_and_saveexec_b64 s[38:39], s[8:9]
	s_cbranch_execz .LBB1926_218
.LBB1926_285:
	v_sub_u32_e32 v38, v24, v50
	v_mov_b32_e32 v39, 0
	v_lshlrev_b64 v[38:39], 2, v[38:39]
	v_add_co_u32_e32 v38, vcc, v34, v38
	v_addc_co_u32_e32 v39, vcc, v35, v39, vcc
	global_store_dword v[38:39], v6, off
	s_or_b64 exec, exec, s[38:39]
	s_and_saveexec_b64 s[38:39], s[6:7]
	s_cbranch_execz .LBB1926_219
.LBB1926_286:
	v_sub_u32_e32 v38, v23, v50
	v_mov_b32_e32 v39, 0
	v_lshlrev_b64 v[38:39], 2, v[38:39]
	v_add_co_u32_e32 v38, vcc, v34, v38
	v_addc_co_u32_e32 v39, vcc, v35, v39, vcc
	global_store_dword v[38:39], v7, off
	s_or_b64 exec, exec, s[38:39]
	s_and_saveexec_b64 s[38:39], s[4:5]
	s_cbranch_execz .LBB1926_220
.LBB1926_287:
	v_sub_u32_e32 v38, v22, v50
	v_mov_b32_e32 v39, 0
	v_lshlrev_b64 v[38:39], 2, v[38:39]
	v_add_co_u32_e32 v38, vcc, v34, v38
	v_addc_co_u32_e32 v39, vcc, v35, v39, vcc
	global_store_dword v[38:39], v4, off
	s_or_b64 exec, exec, s[38:39]
	s_and_saveexec_b64 s[38:39], s[2:3]
	s_cbranch_execnz .LBB1926_221
	s_branch .LBB1926_222
.LBB1926_288:
	v_sub_u32_e32 v36, v97, v50
	v_lshlrev_b32_e32 v36, 2, v36
	ds_write_b32 v36, v16
	s_or_b64 exec, exec, s[38:39]
	s_and_saveexec_b64 s[28:29], s[26:27]
	s_cbranch_execz .LBB1926_226
.LBB1926_289:
	v_sub_u32_e32 v16, v33, v50
	v_lshlrev_b32_e32 v16, 2, v16
	ds_write_b32 v16, v17
	s_or_b64 exec, exec, s[28:29]
	s_and_saveexec_b64 s[26:27], s[24:25]
	s_cbranch_execz .LBB1926_227
.LBB1926_290:
	v_sub_u32_e32 v16, v32, v50
	v_lshlrev_b32_e32 v16, 2, v16
	ds_write_b32 v16, v14
	s_or_b64 exec, exec, s[26:27]
	s_and_saveexec_b64 s[24:25], s[22:23]
	s_cbranch_execz .LBB1926_228
.LBB1926_291:
	v_sub_u32_e32 v14, v31, v50
	v_lshlrev_b32_e32 v14, 2, v14
	ds_write_b32 v14, v15
	s_or_b64 exec, exec, s[24:25]
	s_and_saveexec_b64 s[22:23], s[20:21]
	s_cbranch_execz .LBB1926_229
.LBB1926_292:
	v_sub_u32_e32 v14, v30, v50
	v_lshlrev_b32_e32 v14, 2, v14
	ds_write_b32 v14, v12
	s_or_b64 exec, exec, s[22:23]
	s_and_saveexec_b64 s[20:21], s[18:19]
	s_cbranch_execz .LBB1926_230
.LBB1926_293:
	v_sub_u32_e32 v12, v29, v50
	v_lshlrev_b32_e32 v12, 2, v12
	ds_write_b32 v12, v13
	s_or_b64 exec, exec, s[20:21]
	s_and_saveexec_b64 s[18:19], s[16:17]
	s_cbranch_execz .LBB1926_231
.LBB1926_294:
	v_sub_u32_e32 v12, v28, v50
	v_lshlrev_b32_e32 v12, 2, v12
	ds_write_b32 v12, v10
	s_or_b64 exec, exec, s[18:19]
	s_and_saveexec_b64 s[16:17], s[14:15]
	s_cbranch_execz .LBB1926_232
.LBB1926_295:
	v_sub_u32_e32 v10, v27, v50
	v_lshlrev_b32_e32 v10, 2, v10
	ds_write_b32 v10, v11
	s_or_b64 exec, exec, s[16:17]
	s_and_saveexec_b64 s[14:15], s[12:13]
	s_cbranch_execz .LBB1926_233
.LBB1926_296:
	v_sub_u32_e32 v10, v26, v50
	v_lshlrev_b32_e32 v10, 2, v10
	ds_write_b32 v10, v8
	s_or_b64 exec, exec, s[14:15]
	s_and_saveexec_b64 s[12:13], s[10:11]
	s_cbranch_execz .LBB1926_234
.LBB1926_297:
	v_sub_u32_e32 v8, v25, v50
	v_lshlrev_b32_e32 v8, 2, v8
	ds_write_b32 v8, v9
	s_or_b64 exec, exec, s[12:13]
	s_and_saveexec_b64 s[10:11], s[8:9]
	s_cbranch_execz .LBB1926_235
.LBB1926_298:
	v_sub_u32_e32 v8, v24, v50
	v_lshlrev_b32_e32 v8, 2, v8
	ds_write_b32 v8, v6
	s_or_b64 exec, exec, s[10:11]
	s_and_saveexec_b64 s[8:9], s[6:7]
	s_cbranch_execz .LBB1926_236
.LBB1926_299:
	v_sub_u32_e32 v6, v23, v50
	v_lshlrev_b32_e32 v6, 2, v6
	ds_write_b32 v6, v7
	s_or_b64 exec, exec, s[8:9]
	s_and_saveexec_b64 s[6:7], s[4:5]
	s_cbranch_execz .LBB1926_237
.LBB1926_300:
	v_sub_u32_e32 v6, v22, v50
	v_lshlrev_b32_e32 v6, 2, v6
	ds_write_b32 v6, v4
	s_or_b64 exec, exec, s[6:7]
	s_and_saveexec_b64 s[4:5], s[2:3]
	s_cbranch_execnz .LBB1926_238
	s_branch .LBB1926_239
.LBB1926_301:
	v_sub_u32_e32 v10, v97, v8
	v_mov_b32_e32 v11, 0
	v_lshlrev_b64 v[10:11], 3, v[10:11]
	v_add_co_u32_e32 v10, vcc, v6, v10
	v_addc_co_u32_e32 v11, vcc, v7, v11, vcc
	global_store_dwordx2 v[10:11], v[76:77], off
	s_or_b64 exec, exec, s[38:39]
	s_and_saveexec_b64 s[38:39], s[26:27]
	s_cbranch_execz .LBB1926_243
.LBB1926_302:
	v_sub_u32_e32 v10, v33, v8
	v_mov_b32_e32 v11, 0
	v_lshlrev_b64 v[10:11], 3, v[10:11]
	v_add_co_u32_e32 v10, vcc, v6, v10
	v_addc_co_u32_e32 v11, vcc, v7, v11, vcc
	global_store_dwordx2 v[10:11], v[52:53], off
	s_or_b64 exec, exec, s[38:39]
	s_and_saveexec_b64 s[38:39], s[24:25]
	s_cbranch_execz .LBB1926_244
.LBB1926_303:
	v_sub_u32_e32 v10, v32, v8
	v_mov_b32_e32 v11, 0
	v_lshlrev_b64 v[10:11], 3, v[10:11]
	v_add_co_u32_e32 v10, vcc, v6, v10
	v_addc_co_u32_e32 v11, vcc, v7, v11, vcc
	global_store_dwordx2 v[10:11], v[54:55], off
	s_or_b64 exec, exec, s[38:39]
	s_and_saveexec_b64 s[38:39], s[22:23]
	s_cbranch_execz .LBB1926_245
.LBB1926_304:
	v_sub_u32_e32 v10, v31, v8
	v_mov_b32_e32 v11, 0
	v_lshlrev_b64 v[10:11], 3, v[10:11]
	v_add_co_u32_e32 v10, vcc, v6, v10
	v_addc_co_u32_e32 v11, vcc, v7, v11, vcc
	global_store_dwordx2 v[10:11], v[56:57], off
	s_or_b64 exec, exec, s[38:39]
	s_and_saveexec_b64 s[38:39], s[20:21]
	s_cbranch_execz .LBB1926_246
.LBB1926_305:
	v_sub_u32_e32 v10, v30, v8
	v_mov_b32_e32 v11, 0
	v_lshlrev_b64 v[10:11], 3, v[10:11]
	v_add_co_u32_e32 v10, vcc, v6, v10
	v_addc_co_u32_e32 v11, vcc, v7, v11, vcc
	global_store_dwordx2 v[10:11], v[58:59], off
	s_or_b64 exec, exec, s[38:39]
	s_and_saveexec_b64 s[38:39], s[18:19]
	s_cbranch_execz .LBB1926_247
.LBB1926_306:
	v_sub_u32_e32 v10, v29, v8
	v_mov_b32_e32 v11, 0
	v_lshlrev_b64 v[10:11], 3, v[10:11]
	v_add_co_u32_e32 v10, vcc, v6, v10
	v_addc_co_u32_e32 v11, vcc, v7, v11, vcc
	global_store_dwordx2 v[10:11], v[60:61], off
	s_or_b64 exec, exec, s[38:39]
	s_and_saveexec_b64 s[38:39], s[16:17]
	s_cbranch_execz .LBB1926_248
.LBB1926_307:
	v_sub_u32_e32 v10, v28, v8
	v_mov_b32_e32 v11, 0
	v_lshlrev_b64 v[10:11], 3, v[10:11]
	v_add_co_u32_e32 v10, vcc, v6, v10
	v_addc_co_u32_e32 v11, vcc, v7, v11, vcc
	global_store_dwordx2 v[10:11], v[62:63], off
	s_or_b64 exec, exec, s[38:39]
	s_and_saveexec_b64 s[38:39], s[14:15]
	s_cbranch_execz .LBB1926_249
.LBB1926_308:
	v_sub_u32_e32 v10, v27, v8
	v_mov_b32_e32 v11, 0
	v_lshlrev_b64 v[10:11], 3, v[10:11]
	v_add_co_u32_e32 v10, vcc, v6, v10
	v_addc_co_u32_e32 v11, vcc, v7, v11, vcc
	global_store_dwordx2 v[10:11], v[64:65], off
	s_or_b64 exec, exec, s[38:39]
	s_and_saveexec_b64 s[38:39], s[12:13]
	s_cbranch_execz .LBB1926_250
.LBB1926_309:
	v_sub_u32_e32 v10, v26, v8
	v_mov_b32_e32 v11, 0
	v_lshlrev_b64 v[10:11], 3, v[10:11]
	v_add_co_u32_e32 v10, vcc, v6, v10
	v_addc_co_u32_e32 v11, vcc, v7, v11, vcc
	global_store_dwordx2 v[10:11], v[66:67], off
	s_or_b64 exec, exec, s[38:39]
	s_and_saveexec_b64 s[38:39], s[10:11]
	s_cbranch_execz .LBB1926_251
.LBB1926_310:
	v_sub_u32_e32 v10, v25, v8
	v_mov_b32_e32 v11, 0
	v_lshlrev_b64 v[10:11], 3, v[10:11]
	v_add_co_u32_e32 v10, vcc, v6, v10
	v_addc_co_u32_e32 v11, vcc, v7, v11, vcc
	global_store_dwordx2 v[10:11], v[68:69], off
	s_or_b64 exec, exec, s[38:39]
	s_and_saveexec_b64 s[38:39], s[8:9]
	s_cbranch_execz .LBB1926_252
.LBB1926_311:
	v_sub_u32_e32 v10, v24, v8
	v_mov_b32_e32 v11, 0
	v_lshlrev_b64 v[10:11], 3, v[10:11]
	v_add_co_u32_e32 v10, vcc, v6, v10
	v_addc_co_u32_e32 v11, vcc, v7, v11, vcc
	global_store_dwordx2 v[10:11], v[70:71], off
	s_or_b64 exec, exec, s[38:39]
	s_and_saveexec_b64 s[38:39], s[6:7]
	s_cbranch_execz .LBB1926_253
.LBB1926_312:
	v_sub_u32_e32 v10, v23, v8
	v_mov_b32_e32 v11, 0
	v_lshlrev_b64 v[10:11], 3, v[10:11]
	v_add_co_u32_e32 v10, vcc, v6, v10
	v_addc_co_u32_e32 v11, vcc, v7, v11, vcc
	global_store_dwordx2 v[10:11], v[72:73], off
	s_or_b64 exec, exec, s[38:39]
	s_and_saveexec_b64 s[38:39], s[4:5]
	s_cbranch_execz .LBB1926_254
.LBB1926_313:
	v_sub_u32_e32 v10, v22, v8
	v_mov_b32_e32 v11, 0
	v_lshlrev_b64 v[10:11], 3, v[10:11]
	v_add_co_u32_e32 v10, vcc, v6, v10
	v_addc_co_u32_e32 v11, vcc, v7, v11, vcc
	global_store_dwordx2 v[10:11], v[74:75], off
	s_or_b64 exec, exec, s[38:39]
	s_and_saveexec_b64 s[38:39], s[2:3]
	s_cbranch_execnz .LBB1926_255
	s_branch .LBB1926_256
.LBB1926_314:
	v_sub_u32_e32 v9, v97, v8
	v_lshlrev_b32_e32 v9, 3, v9
	ds_write_b64 v9, v[76:77]
	s_or_b64 exec, exec, s[38:39]
	s_and_saveexec_b64 s[28:29], s[26:27]
	s_cbranch_execz .LBB1926_260
.LBB1926_315:
	v_sub_u32_e32 v9, v33, v8
	v_lshlrev_b32_e32 v9, 3, v9
	ds_write_b64 v9, v[52:53]
	s_or_b64 exec, exec, s[28:29]
	s_and_saveexec_b64 s[26:27], s[24:25]
	s_cbranch_execz .LBB1926_261
.LBB1926_316:
	v_sub_u32_e32 v9, v32, v8
	v_lshlrev_b32_e32 v9, 3, v9
	ds_write_b64 v9, v[54:55]
	s_or_b64 exec, exec, s[26:27]
	s_and_saveexec_b64 s[24:25], s[22:23]
	s_cbranch_execz .LBB1926_262
.LBB1926_317:
	v_sub_u32_e32 v9, v31, v8
	v_lshlrev_b32_e32 v9, 3, v9
	ds_write_b64 v9, v[56:57]
	s_or_b64 exec, exec, s[24:25]
	s_and_saveexec_b64 s[22:23], s[20:21]
	s_cbranch_execz .LBB1926_263
.LBB1926_318:
	v_sub_u32_e32 v9, v30, v8
	v_lshlrev_b32_e32 v9, 3, v9
	ds_write_b64 v9, v[58:59]
	s_or_b64 exec, exec, s[22:23]
	s_and_saveexec_b64 s[20:21], s[18:19]
	s_cbranch_execz .LBB1926_264
.LBB1926_319:
	v_sub_u32_e32 v9, v29, v8
	v_lshlrev_b32_e32 v9, 3, v9
	ds_write_b64 v9, v[60:61]
	s_or_b64 exec, exec, s[20:21]
	s_and_saveexec_b64 s[18:19], s[16:17]
	s_cbranch_execz .LBB1926_265
.LBB1926_320:
	v_sub_u32_e32 v9, v28, v8
	v_lshlrev_b32_e32 v9, 3, v9
	ds_write_b64 v9, v[62:63]
	s_or_b64 exec, exec, s[18:19]
	s_and_saveexec_b64 s[16:17], s[14:15]
	s_cbranch_execz .LBB1926_266
.LBB1926_321:
	v_sub_u32_e32 v9, v27, v8
	v_lshlrev_b32_e32 v9, 3, v9
	ds_write_b64 v9, v[64:65]
	s_or_b64 exec, exec, s[16:17]
	s_and_saveexec_b64 s[14:15], s[12:13]
	s_cbranch_execz .LBB1926_267
.LBB1926_322:
	v_sub_u32_e32 v9, v26, v8
	v_lshlrev_b32_e32 v9, 3, v9
	ds_write_b64 v9, v[66:67]
	s_or_b64 exec, exec, s[14:15]
	s_and_saveexec_b64 s[12:13], s[10:11]
	s_cbranch_execz .LBB1926_268
.LBB1926_323:
	v_sub_u32_e32 v9, v25, v8
	v_lshlrev_b32_e32 v9, 3, v9
	ds_write_b64 v9, v[68:69]
	s_or_b64 exec, exec, s[12:13]
	s_and_saveexec_b64 s[10:11], s[8:9]
	s_cbranch_execz .LBB1926_269
.LBB1926_324:
	v_sub_u32_e32 v9, v24, v8
	v_lshlrev_b32_e32 v9, 3, v9
	ds_write_b64 v9, v[70:71]
	s_or_b64 exec, exec, s[10:11]
	s_and_saveexec_b64 s[8:9], s[6:7]
	s_cbranch_execz .LBB1926_270
.LBB1926_325:
	v_sub_u32_e32 v9, v23, v8
	v_lshlrev_b32_e32 v9, 3, v9
	ds_write_b64 v9, v[72:73]
	s_or_b64 exec, exec, s[8:9]
	s_and_saveexec_b64 s[6:7], s[4:5]
	s_cbranch_execz .LBB1926_271
.LBB1926_326:
	v_sub_u32_e32 v9, v22, v8
	v_lshlrev_b32_e32 v9, 3, v9
	ds_write_b64 v9, v[74:75]
	s_or_b64 exec, exec, s[6:7]
	s_and_saveexec_b64 s[4:5], s[2:3]
	s_cbranch_execnz .LBB1926_272
	s_branch .LBB1926_273
	.section	.rodata,"a",@progbits
	.p2align	6, 0x0
	.amdhsa_kernel _ZN7rocprim17ROCPRIM_400000_NS6detail17trampoline_kernelINS0_14default_configENS1_29reduce_by_key_config_selectorIflN6thrust23THRUST_200600_302600_NS4plusIlEEEEZZNS1_33reduce_by_key_impl_wrapped_configILNS1_25lookback_scan_determinismE0ES3_S9_PfNS6_17constant_iteratorIiNS6_11use_defaultESE_EENS6_10device_ptrIfEENSG_IlEEPmS8_NS6_8equal_toIfEEEE10hipError_tPvRmT2_T3_mT4_T5_T6_T7_T8_P12ihipStream_tbENKUlT_T0_E_clISt17integral_constantIbLb1EES12_IbLb0EEEEDaSY_SZ_EUlSY_E_NS1_11comp_targetILNS1_3genE4ELNS1_11target_archE910ELNS1_3gpuE8ELNS1_3repE0EEENS1_30default_config_static_selectorELNS0_4arch9wavefront6targetE1EEEvT1_
		.amdhsa_group_segment_fixed_size 30720
		.amdhsa_private_segment_fixed_size 0
		.amdhsa_kernarg_size 144
		.amdhsa_user_sgpr_count 6
		.amdhsa_user_sgpr_private_segment_buffer 1
		.amdhsa_user_sgpr_dispatch_ptr 0
		.amdhsa_user_sgpr_queue_ptr 0
		.amdhsa_user_sgpr_kernarg_segment_ptr 1
		.amdhsa_user_sgpr_dispatch_id 0
		.amdhsa_user_sgpr_flat_scratch_init 0
		.amdhsa_user_sgpr_kernarg_preload_length 0
		.amdhsa_user_sgpr_kernarg_preload_offset 0
		.amdhsa_user_sgpr_private_segment_size 0
		.amdhsa_uses_dynamic_stack 0
		.amdhsa_system_sgpr_private_segment_wavefront_offset 0
		.amdhsa_system_sgpr_workgroup_id_x 1
		.amdhsa_system_sgpr_workgroup_id_y 0
		.amdhsa_system_sgpr_workgroup_id_z 0
		.amdhsa_system_sgpr_workgroup_info 0
		.amdhsa_system_vgpr_workitem_id 0
		.amdhsa_next_free_vgpr 122
		.amdhsa_next_free_sgpr 62
		.amdhsa_accum_offset 124
		.amdhsa_reserve_vcc 1
		.amdhsa_reserve_flat_scratch 0
		.amdhsa_float_round_mode_32 0
		.amdhsa_float_round_mode_16_64 0
		.amdhsa_float_denorm_mode_32 3
		.amdhsa_float_denorm_mode_16_64 3
		.amdhsa_dx10_clamp 1
		.amdhsa_ieee_mode 1
		.amdhsa_fp16_overflow 0
		.amdhsa_tg_split 0
		.amdhsa_exception_fp_ieee_invalid_op 0
		.amdhsa_exception_fp_denorm_src 0
		.amdhsa_exception_fp_ieee_div_zero 0
		.amdhsa_exception_fp_ieee_overflow 0
		.amdhsa_exception_fp_ieee_underflow 0
		.amdhsa_exception_fp_ieee_inexact 0
		.amdhsa_exception_int_div_zero 0
	.end_amdhsa_kernel
	.section	.text._ZN7rocprim17ROCPRIM_400000_NS6detail17trampoline_kernelINS0_14default_configENS1_29reduce_by_key_config_selectorIflN6thrust23THRUST_200600_302600_NS4plusIlEEEEZZNS1_33reduce_by_key_impl_wrapped_configILNS1_25lookback_scan_determinismE0ES3_S9_PfNS6_17constant_iteratorIiNS6_11use_defaultESE_EENS6_10device_ptrIfEENSG_IlEEPmS8_NS6_8equal_toIfEEEE10hipError_tPvRmT2_T3_mT4_T5_T6_T7_T8_P12ihipStream_tbENKUlT_T0_E_clISt17integral_constantIbLb1EES12_IbLb0EEEEDaSY_SZ_EUlSY_E_NS1_11comp_targetILNS1_3genE4ELNS1_11target_archE910ELNS1_3gpuE8ELNS1_3repE0EEENS1_30default_config_static_selectorELNS0_4arch9wavefront6targetE1EEEvT1_,"axG",@progbits,_ZN7rocprim17ROCPRIM_400000_NS6detail17trampoline_kernelINS0_14default_configENS1_29reduce_by_key_config_selectorIflN6thrust23THRUST_200600_302600_NS4plusIlEEEEZZNS1_33reduce_by_key_impl_wrapped_configILNS1_25lookback_scan_determinismE0ES3_S9_PfNS6_17constant_iteratorIiNS6_11use_defaultESE_EENS6_10device_ptrIfEENSG_IlEEPmS8_NS6_8equal_toIfEEEE10hipError_tPvRmT2_T3_mT4_T5_T6_T7_T8_P12ihipStream_tbENKUlT_T0_E_clISt17integral_constantIbLb1EES12_IbLb0EEEEDaSY_SZ_EUlSY_E_NS1_11comp_targetILNS1_3genE4ELNS1_11target_archE910ELNS1_3gpuE8ELNS1_3repE0EEENS1_30default_config_static_selectorELNS0_4arch9wavefront6targetE1EEEvT1_,comdat
.Lfunc_end1926:
	.size	_ZN7rocprim17ROCPRIM_400000_NS6detail17trampoline_kernelINS0_14default_configENS1_29reduce_by_key_config_selectorIflN6thrust23THRUST_200600_302600_NS4plusIlEEEEZZNS1_33reduce_by_key_impl_wrapped_configILNS1_25lookback_scan_determinismE0ES3_S9_PfNS6_17constant_iteratorIiNS6_11use_defaultESE_EENS6_10device_ptrIfEENSG_IlEEPmS8_NS6_8equal_toIfEEEE10hipError_tPvRmT2_T3_mT4_T5_T6_T7_T8_P12ihipStream_tbENKUlT_T0_E_clISt17integral_constantIbLb1EES12_IbLb0EEEEDaSY_SZ_EUlSY_E_NS1_11comp_targetILNS1_3genE4ELNS1_11target_archE910ELNS1_3gpuE8ELNS1_3repE0EEENS1_30default_config_static_selectorELNS0_4arch9wavefront6targetE1EEEvT1_, .Lfunc_end1926-_ZN7rocprim17ROCPRIM_400000_NS6detail17trampoline_kernelINS0_14default_configENS1_29reduce_by_key_config_selectorIflN6thrust23THRUST_200600_302600_NS4plusIlEEEEZZNS1_33reduce_by_key_impl_wrapped_configILNS1_25lookback_scan_determinismE0ES3_S9_PfNS6_17constant_iteratorIiNS6_11use_defaultESE_EENS6_10device_ptrIfEENSG_IlEEPmS8_NS6_8equal_toIfEEEE10hipError_tPvRmT2_T3_mT4_T5_T6_T7_T8_P12ihipStream_tbENKUlT_T0_E_clISt17integral_constantIbLb1EES12_IbLb0EEEEDaSY_SZ_EUlSY_E_NS1_11comp_targetILNS1_3genE4ELNS1_11target_archE910ELNS1_3gpuE8ELNS1_3repE0EEENS1_30default_config_static_selectorELNS0_4arch9wavefront6targetE1EEEvT1_
                                        ; -- End function
	.section	.AMDGPU.csdata,"",@progbits
; Kernel info:
; codeLenInByte = 17060
; NumSgprs: 66
; NumVgprs: 122
; NumAgprs: 0
; TotalNumVgprs: 122
; ScratchSize: 0
; MemoryBound: 0
; FloatMode: 240
; IeeeMode: 1
; LDSByteSize: 30720 bytes/workgroup (compile time only)
; SGPRBlocks: 8
; VGPRBlocks: 15
; NumSGPRsForWavesPerEU: 66
; NumVGPRsForWavesPerEU: 122
; AccumOffset: 124
; Occupancy: 2
; WaveLimiterHint : 1
; COMPUTE_PGM_RSRC2:SCRATCH_EN: 0
; COMPUTE_PGM_RSRC2:USER_SGPR: 6
; COMPUTE_PGM_RSRC2:TRAP_HANDLER: 0
; COMPUTE_PGM_RSRC2:TGID_X_EN: 1
; COMPUTE_PGM_RSRC2:TGID_Y_EN: 0
; COMPUTE_PGM_RSRC2:TGID_Z_EN: 0
; COMPUTE_PGM_RSRC2:TIDIG_COMP_CNT: 0
; COMPUTE_PGM_RSRC3_GFX90A:ACCUM_OFFSET: 30
; COMPUTE_PGM_RSRC3_GFX90A:TG_SPLIT: 0
	.section	.text._ZN7rocprim17ROCPRIM_400000_NS6detail17trampoline_kernelINS0_14default_configENS1_29reduce_by_key_config_selectorIflN6thrust23THRUST_200600_302600_NS4plusIlEEEEZZNS1_33reduce_by_key_impl_wrapped_configILNS1_25lookback_scan_determinismE0ES3_S9_PfNS6_17constant_iteratorIiNS6_11use_defaultESE_EENS6_10device_ptrIfEENSG_IlEEPmS8_NS6_8equal_toIfEEEE10hipError_tPvRmT2_T3_mT4_T5_T6_T7_T8_P12ihipStream_tbENKUlT_T0_E_clISt17integral_constantIbLb1EES12_IbLb0EEEEDaSY_SZ_EUlSY_E_NS1_11comp_targetILNS1_3genE3ELNS1_11target_archE908ELNS1_3gpuE7ELNS1_3repE0EEENS1_30default_config_static_selectorELNS0_4arch9wavefront6targetE1EEEvT1_,"axG",@progbits,_ZN7rocprim17ROCPRIM_400000_NS6detail17trampoline_kernelINS0_14default_configENS1_29reduce_by_key_config_selectorIflN6thrust23THRUST_200600_302600_NS4plusIlEEEEZZNS1_33reduce_by_key_impl_wrapped_configILNS1_25lookback_scan_determinismE0ES3_S9_PfNS6_17constant_iteratorIiNS6_11use_defaultESE_EENS6_10device_ptrIfEENSG_IlEEPmS8_NS6_8equal_toIfEEEE10hipError_tPvRmT2_T3_mT4_T5_T6_T7_T8_P12ihipStream_tbENKUlT_T0_E_clISt17integral_constantIbLb1EES12_IbLb0EEEEDaSY_SZ_EUlSY_E_NS1_11comp_targetILNS1_3genE3ELNS1_11target_archE908ELNS1_3gpuE7ELNS1_3repE0EEENS1_30default_config_static_selectorELNS0_4arch9wavefront6targetE1EEEvT1_,comdat
	.protected	_ZN7rocprim17ROCPRIM_400000_NS6detail17trampoline_kernelINS0_14default_configENS1_29reduce_by_key_config_selectorIflN6thrust23THRUST_200600_302600_NS4plusIlEEEEZZNS1_33reduce_by_key_impl_wrapped_configILNS1_25lookback_scan_determinismE0ES3_S9_PfNS6_17constant_iteratorIiNS6_11use_defaultESE_EENS6_10device_ptrIfEENSG_IlEEPmS8_NS6_8equal_toIfEEEE10hipError_tPvRmT2_T3_mT4_T5_T6_T7_T8_P12ihipStream_tbENKUlT_T0_E_clISt17integral_constantIbLb1EES12_IbLb0EEEEDaSY_SZ_EUlSY_E_NS1_11comp_targetILNS1_3genE3ELNS1_11target_archE908ELNS1_3gpuE7ELNS1_3repE0EEENS1_30default_config_static_selectorELNS0_4arch9wavefront6targetE1EEEvT1_ ; -- Begin function _ZN7rocprim17ROCPRIM_400000_NS6detail17trampoline_kernelINS0_14default_configENS1_29reduce_by_key_config_selectorIflN6thrust23THRUST_200600_302600_NS4plusIlEEEEZZNS1_33reduce_by_key_impl_wrapped_configILNS1_25lookback_scan_determinismE0ES3_S9_PfNS6_17constant_iteratorIiNS6_11use_defaultESE_EENS6_10device_ptrIfEENSG_IlEEPmS8_NS6_8equal_toIfEEEE10hipError_tPvRmT2_T3_mT4_T5_T6_T7_T8_P12ihipStream_tbENKUlT_T0_E_clISt17integral_constantIbLb1EES12_IbLb0EEEEDaSY_SZ_EUlSY_E_NS1_11comp_targetILNS1_3genE3ELNS1_11target_archE908ELNS1_3gpuE7ELNS1_3repE0EEENS1_30default_config_static_selectorELNS0_4arch9wavefront6targetE1EEEvT1_
	.globl	_ZN7rocprim17ROCPRIM_400000_NS6detail17trampoline_kernelINS0_14default_configENS1_29reduce_by_key_config_selectorIflN6thrust23THRUST_200600_302600_NS4plusIlEEEEZZNS1_33reduce_by_key_impl_wrapped_configILNS1_25lookback_scan_determinismE0ES3_S9_PfNS6_17constant_iteratorIiNS6_11use_defaultESE_EENS6_10device_ptrIfEENSG_IlEEPmS8_NS6_8equal_toIfEEEE10hipError_tPvRmT2_T3_mT4_T5_T6_T7_T8_P12ihipStream_tbENKUlT_T0_E_clISt17integral_constantIbLb1EES12_IbLb0EEEEDaSY_SZ_EUlSY_E_NS1_11comp_targetILNS1_3genE3ELNS1_11target_archE908ELNS1_3gpuE7ELNS1_3repE0EEENS1_30default_config_static_selectorELNS0_4arch9wavefront6targetE1EEEvT1_
	.p2align	8
	.type	_ZN7rocprim17ROCPRIM_400000_NS6detail17trampoline_kernelINS0_14default_configENS1_29reduce_by_key_config_selectorIflN6thrust23THRUST_200600_302600_NS4plusIlEEEEZZNS1_33reduce_by_key_impl_wrapped_configILNS1_25lookback_scan_determinismE0ES3_S9_PfNS6_17constant_iteratorIiNS6_11use_defaultESE_EENS6_10device_ptrIfEENSG_IlEEPmS8_NS6_8equal_toIfEEEE10hipError_tPvRmT2_T3_mT4_T5_T6_T7_T8_P12ihipStream_tbENKUlT_T0_E_clISt17integral_constantIbLb1EES12_IbLb0EEEEDaSY_SZ_EUlSY_E_NS1_11comp_targetILNS1_3genE3ELNS1_11target_archE908ELNS1_3gpuE7ELNS1_3repE0EEENS1_30default_config_static_selectorELNS0_4arch9wavefront6targetE1EEEvT1_,@function
_ZN7rocprim17ROCPRIM_400000_NS6detail17trampoline_kernelINS0_14default_configENS1_29reduce_by_key_config_selectorIflN6thrust23THRUST_200600_302600_NS4plusIlEEEEZZNS1_33reduce_by_key_impl_wrapped_configILNS1_25lookback_scan_determinismE0ES3_S9_PfNS6_17constant_iteratorIiNS6_11use_defaultESE_EENS6_10device_ptrIfEENSG_IlEEPmS8_NS6_8equal_toIfEEEE10hipError_tPvRmT2_T3_mT4_T5_T6_T7_T8_P12ihipStream_tbENKUlT_T0_E_clISt17integral_constantIbLb1EES12_IbLb0EEEEDaSY_SZ_EUlSY_E_NS1_11comp_targetILNS1_3genE3ELNS1_11target_archE908ELNS1_3gpuE7ELNS1_3repE0EEENS1_30default_config_static_selectorELNS0_4arch9wavefront6targetE1EEEvT1_: ; @_ZN7rocprim17ROCPRIM_400000_NS6detail17trampoline_kernelINS0_14default_configENS1_29reduce_by_key_config_selectorIflN6thrust23THRUST_200600_302600_NS4plusIlEEEEZZNS1_33reduce_by_key_impl_wrapped_configILNS1_25lookback_scan_determinismE0ES3_S9_PfNS6_17constant_iteratorIiNS6_11use_defaultESE_EENS6_10device_ptrIfEENSG_IlEEPmS8_NS6_8equal_toIfEEEE10hipError_tPvRmT2_T3_mT4_T5_T6_T7_T8_P12ihipStream_tbENKUlT_T0_E_clISt17integral_constantIbLb1EES12_IbLb0EEEEDaSY_SZ_EUlSY_E_NS1_11comp_targetILNS1_3genE3ELNS1_11target_archE908ELNS1_3gpuE7ELNS1_3repE0EEENS1_30default_config_static_selectorELNS0_4arch9wavefront6targetE1EEEvT1_
; %bb.0:
	.section	.rodata,"a",@progbits
	.p2align	6, 0x0
	.amdhsa_kernel _ZN7rocprim17ROCPRIM_400000_NS6detail17trampoline_kernelINS0_14default_configENS1_29reduce_by_key_config_selectorIflN6thrust23THRUST_200600_302600_NS4plusIlEEEEZZNS1_33reduce_by_key_impl_wrapped_configILNS1_25lookback_scan_determinismE0ES3_S9_PfNS6_17constant_iteratorIiNS6_11use_defaultESE_EENS6_10device_ptrIfEENSG_IlEEPmS8_NS6_8equal_toIfEEEE10hipError_tPvRmT2_T3_mT4_T5_T6_T7_T8_P12ihipStream_tbENKUlT_T0_E_clISt17integral_constantIbLb1EES12_IbLb0EEEEDaSY_SZ_EUlSY_E_NS1_11comp_targetILNS1_3genE3ELNS1_11target_archE908ELNS1_3gpuE7ELNS1_3repE0EEENS1_30default_config_static_selectorELNS0_4arch9wavefront6targetE1EEEvT1_
		.amdhsa_group_segment_fixed_size 0
		.amdhsa_private_segment_fixed_size 0
		.amdhsa_kernarg_size 144
		.amdhsa_user_sgpr_count 6
		.amdhsa_user_sgpr_private_segment_buffer 1
		.amdhsa_user_sgpr_dispatch_ptr 0
		.amdhsa_user_sgpr_queue_ptr 0
		.amdhsa_user_sgpr_kernarg_segment_ptr 1
		.amdhsa_user_sgpr_dispatch_id 0
		.amdhsa_user_sgpr_flat_scratch_init 0
		.amdhsa_user_sgpr_kernarg_preload_length 0
		.amdhsa_user_sgpr_kernarg_preload_offset 0
		.amdhsa_user_sgpr_private_segment_size 0
		.amdhsa_uses_dynamic_stack 0
		.amdhsa_system_sgpr_private_segment_wavefront_offset 0
		.amdhsa_system_sgpr_workgroup_id_x 1
		.amdhsa_system_sgpr_workgroup_id_y 0
		.amdhsa_system_sgpr_workgroup_id_z 0
		.amdhsa_system_sgpr_workgroup_info 0
		.amdhsa_system_vgpr_workitem_id 0
		.amdhsa_next_free_vgpr 1
		.amdhsa_next_free_sgpr 0
		.amdhsa_accum_offset 4
		.amdhsa_reserve_vcc 0
		.amdhsa_reserve_flat_scratch 0
		.amdhsa_float_round_mode_32 0
		.amdhsa_float_round_mode_16_64 0
		.amdhsa_float_denorm_mode_32 3
		.amdhsa_float_denorm_mode_16_64 3
		.amdhsa_dx10_clamp 1
		.amdhsa_ieee_mode 1
		.amdhsa_fp16_overflow 0
		.amdhsa_tg_split 0
		.amdhsa_exception_fp_ieee_invalid_op 0
		.amdhsa_exception_fp_denorm_src 0
		.amdhsa_exception_fp_ieee_div_zero 0
		.amdhsa_exception_fp_ieee_overflow 0
		.amdhsa_exception_fp_ieee_underflow 0
		.amdhsa_exception_fp_ieee_inexact 0
		.amdhsa_exception_int_div_zero 0
	.end_amdhsa_kernel
	.section	.text._ZN7rocprim17ROCPRIM_400000_NS6detail17trampoline_kernelINS0_14default_configENS1_29reduce_by_key_config_selectorIflN6thrust23THRUST_200600_302600_NS4plusIlEEEEZZNS1_33reduce_by_key_impl_wrapped_configILNS1_25lookback_scan_determinismE0ES3_S9_PfNS6_17constant_iteratorIiNS6_11use_defaultESE_EENS6_10device_ptrIfEENSG_IlEEPmS8_NS6_8equal_toIfEEEE10hipError_tPvRmT2_T3_mT4_T5_T6_T7_T8_P12ihipStream_tbENKUlT_T0_E_clISt17integral_constantIbLb1EES12_IbLb0EEEEDaSY_SZ_EUlSY_E_NS1_11comp_targetILNS1_3genE3ELNS1_11target_archE908ELNS1_3gpuE7ELNS1_3repE0EEENS1_30default_config_static_selectorELNS0_4arch9wavefront6targetE1EEEvT1_,"axG",@progbits,_ZN7rocprim17ROCPRIM_400000_NS6detail17trampoline_kernelINS0_14default_configENS1_29reduce_by_key_config_selectorIflN6thrust23THRUST_200600_302600_NS4plusIlEEEEZZNS1_33reduce_by_key_impl_wrapped_configILNS1_25lookback_scan_determinismE0ES3_S9_PfNS6_17constant_iteratorIiNS6_11use_defaultESE_EENS6_10device_ptrIfEENSG_IlEEPmS8_NS6_8equal_toIfEEEE10hipError_tPvRmT2_T3_mT4_T5_T6_T7_T8_P12ihipStream_tbENKUlT_T0_E_clISt17integral_constantIbLb1EES12_IbLb0EEEEDaSY_SZ_EUlSY_E_NS1_11comp_targetILNS1_3genE3ELNS1_11target_archE908ELNS1_3gpuE7ELNS1_3repE0EEENS1_30default_config_static_selectorELNS0_4arch9wavefront6targetE1EEEvT1_,comdat
.Lfunc_end1927:
	.size	_ZN7rocprim17ROCPRIM_400000_NS6detail17trampoline_kernelINS0_14default_configENS1_29reduce_by_key_config_selectorIflN6thrust23THRUST_200600_302600_NS4plusIlEEEEZZNS1_33reduce_by_key_impl_wrapped_configILNS1_25lookback_scan_determinismE0ES3_S9_PfNS6_17constant_iteratorIiNS6_11use_defaultESE_EENS6_10device_ptrIfEENSG_IlEEPmS8_NS6_8equal_toIfEEEE10hipError_tPvRmT2_T3_mT4_T5_T6_T7_T8_P12ihipStream_tbENKUlT_T0_E_clISt17integral_constantIbLb1EES12_IbLb0EEEEDaSY_SZ_EUlSY_E_NS1_11comp_targetILNS1_3genE3ELNS1_11target_archE908ELNS1_3gpuE7ELNS1_3repE0EEENS1_30default_config_static_selectorELNS0_4arch9wavefront6targetE1EEEvT1_, .Lfunc_end1927-_ZN7rocprim17ROCPRIM_400000_NS6detail17trampoline_kernelINS0_14default_configENS1_29reduce_by_key_config_selectorIflN6thrust23THRUST_200600_302600_NS4plusIlEEEEZZNS1_33reduce_by_key_impl_wrapped_configILNS1_25lookback_scan_determinismE0ES3_S9_PfNS6_17constant_iteratorIiNS6_11use_defaultESE_EENS6_10device_ptrIfEENSG_IlEEPmS8_NS6_8equal_toIfEEEE10hipError_tPvRmT2_T3_mT4_T5_T6_T7_T8_P12ihipStream_tbENKUlT_T0_E_clISt17integral_constantIbLb1EES12_IbLb0EEEEDaSY_SZ_EUlSY_E_NS1_11comp_targetILNS1_3genE3ELNS1_11target_archE908ELNS1_3gpuE7ELNS1_3repE0EEENS1_30default_config_static_selectorELNS0_4arch9wavefront6targetE1EEEvT1_
                                        ; -- End function
	.section	.AMDGPU.csdata,"",@progbits
; Kernel info:
; codeLenInByte = 0
; NumSgprs: 4
; NumVgprs: 0
; NumAgprs: 0
; TotalNumVgprs: 0
; ScratchSize: 0
; MemoryBound: 0
; FloatMode: 240
; IeeeMode: 1
; LDSByteSize: 0 bytes/workgroup (compile time only)
; SGPRBlocks: 0
; VGPRBlocks: 0
; NumSGPRsForWavesPerEU: 4
; NumVGPRsForWavesPerEU: 1
; AccumOffset: 4
; Occupancy: 8
; WaveLimiterHint : 0
; COMPUTE_PGM_RSRC2:SCRATCH_EN: 0
; COMPUTE_PGM_RSRC2:USER_SGPR: 6
; COMPUTE_PGM_RSRC2:TRAP_HANDLER: 0
; COMPUTE_PGM_RSRC2:TGID_X_EN: 1
; COMPUTE_PGM_RSRC2:TGID_Y_EN: 0
; COMPUTE_PGM_RSRC2:TGID_Z_EN: 0
; COMPUTE_PGM_RSRC2:TIDIG_COMP_CNT: 0
; COMPUTE_PGM_RSRC3_GFX90A:ACCUM_OFFSET: 0
; COMPUTE_PGM_RSRC3_GFX90A:TG_SPLIT: 0
	.section	.text._ZN7rocprim17ROCPRIM_400000_NS6detail17trampoline_kernelINS0_14default_configENS1_29reduce_by_key_config_selectorIflN6thrust23THRUST_200600_302600_NS4plusIlEEEEZZNS1_33reduce_by_key_impl_wrapped_configILNS1_25lookback_scan_determinismE0ES3_S9_PfNS6_17constant_iteratorIiNS6_11use_defaultESE_EENS6_10device_ptrIfEENSG_IlEEPmS8_NS6_8equal_toIfEEEE10hipError_tPvRmT2_T3_mT4_T5_T6_T7_T8_P12ihipStream_tbENKUlT_T0_E_clISt17integral_constantIbLb1EES12_IbLb0EEEEDaSY_SZ_EUlSY_E_NS1_11comp_targetILNS1_3genE2ELNS1_11target_archE906ELNS1_3gpuE6ELNS1_3repE0EEENS1_30default_config_static_selectorELNS0_4arch9wavefront6targetE1EEEvT1_,"axG",@progbits,_ZN7rocprim17ROCPRIM_400000_NS6detail17trampoline_kernelINS0_14default_configENS1_29reduce_by_key_config_selectorIflN6thrust23THRUST_200600_302600_NS4plusIlEEEEZZNS1_33reduce_by_key_impl_wrapped_configILNS1_25lookback_scan_determinismE0ES3_S9_PfNS6_17constant_iteratorIiNS6_11use_defaultESE_EENS6_10device_ptrIfEENSG_IlEEPmS8_NS6_8equal_toIfEEEE10hipError_tPvRmT2_T3_mT4_T5_T6_T7_T8_P12ihipStream_tbENKUlT_T0_E_clISt17integral_constantIbLb1EES12_IbLb0EEEEDaSY_SZ_EUlSY_E_NS1_11comp_targetILNS1_3genE2ELNS1_11target_archE906ELNS1_3gpuE6ELNS1_3repE0EEENS1_30default_config_static_selectorELNS0_4arch9wavefront6targetE1EEEvT1_,comdat
	.protected	_ZN7rocprim17ROCPRIM_400000_NS6detail17trampoline_kernelINS0_14default_configENS1_29reduce_by_key_config_selectorIflN6thrust23THRUST_200600_302600_NS4plusIlEEEEZZNS1_33reduce_by_key_impl_wrapped_configILNS1_25lookback_scan_determinismE0ES3_S9_PfNS6_17constant_iteratorIiNS6_11use_defaultESE_EENS6_10device_ptrIfEENSG_IlEEPmS8_NS6_8equal_toIfEEEE10hipError_tPvRmT2_T3_mT4_T5_T6_T7_T8_P12ihipStream_tbENKUlT_T0_E_clISt17integral_constantIbLb1EES12_IbLb0EEEEDaSY_SZ_EUlSY_E_NS1_11comp_targetILNS1_3genE2ELNS1_11target_archE906ELNS1_3gpuE6ELNS1_3repE0EEENS1_30default_config_static_selectorELNS0_4arch9wavefront6targetE1EEEvT1_ ; -- Begin function _ZN7rocprim17ROCPRIM_400000_NS6detail17trampoline_kernelINS0_14default_configENS1_29reduce_by_key_config_selectorIflN6thrust23THRUST_200600_302600_NS4plusIlEEEEZZNS1_33reduce_by_key_impl_wrapped_configILNS1_25lookback_scan_determinismE0ES3_S9_PfNS6_17constant_iteratorIiNS6_11use_defaultESE_EENS6_10device_ptrIfEENSG_IlEEPmS8_NS6_8equal_toIfEEEE10hipError_tPvRmT2_T3_mT4_T5_T6_T7_T8_P12ihipStream_tbENKUlT_T0_E_clISt17integral_constantIbLb1EES12_IbLb0EEEEDaSY_SZ_EUlSY_E_NS1_11comp_targetILNS1_3genE2ELNS1_11target_archE906ELNS1_3gpuE6ELNS1_3repE0EEENS1_30default_config_static_selectorELNS0_4arch9wavefront6targetE1EEEvT1_
	.globl	_ZN7rocprim17ROCPRIM_400000_NS6detail17trampoline_kernelINS0_14default_configENS1_29reduce_by_key_config_selectorIflN6thrust23THRUST_200600_302600_NS4plusIlEEEEZZNS1_33reduce_by_key_impl_wrapped_configILNS1_25lookback_scan_determinismE0ES3_S9_PfNS6_17constant_iteratorIiNS6_11use_defaultESE_EENS6_10device_ptrIfEENSG_IlEEPmS8_NS6_8equal_toIfEEEE10hipError_tPvRmT2_T3_mT4_T5_T6_T7_T8_P12ihipStream_tbENKUlT_T0_E_clISt17integral_constantIbLb1EES12_IbLb0EEEEDaSY_SZ_EUlSY_E_NS1_11comp_targetILNS1_3genE2ELNS1_11target_archE906ELNS1_3gpuE6ELNS1_3repE0EEENS1_30default_config_static_selectorELNS0_4arch9wavefront6targetE1EEEvT1_
	.p2align	8
	.type	_ZN7rocprim17ROCPRIM_400000_NS6detail17trampoline_kernelINS0_14default_configENS1_29reduce_by_key_config_selectorIflN6thrust23THRUST_200600_302600_NS4plusIlEEEEZZNS1_33reduce_by_key_impl_wrapped_configILNS1_25lookback_scan_determinismE0ES3_S9_PfNS6_17constant_iteratorIiNS6_11use_defaultESE_EENS6_10device_ptrIfEENSG_IlEEPmS8_NS6_8equal_toIfEEEE10hipError_tPvRmT2_T3_mT4_T5_T6_T7_T8_P12ihipStream_tbENKUlT_T0_E_clISt17integral_constantIbLb1EES12_IbLb0EEEEDaSY_SZ_EUlSY_E_NS1_11comp_targetILNS1_3genE2ELNS1_11target_archE906ELNS1_3gpuE6ELNS1_3repE0EEENS1_30default_config_static_selectorELNS0_4arch9wavefront6targetE1EEEvT1_,@function
_ZN7rocprim17ROCPRIM_400000_NS6detail17trampoline_kernelINS0_14default_configENS1_29reduce_by_key_config_selectorIflN6thrust23THRUST_200600_302600_NS4plusIlEEEEZZNS1_33reduce_by_key_impl_wrapped_configILNS1_25lookback_scan_determinismE0ES3_S9_PfNS6_17constant_iteratorIiNS6_11use_defaultESE_EENS6_10device_ptrIfEENSG_IlEEPmS8_NS6_8equal_toIfEEEE10hipError_tPvRmT2_T3_mT4_T5_T6_T7_T8_P12ihipStream_tbENKUlT_T0_E_clISt17integral_constantIbLb1EES12_IbLb0EEEEDaSY_SZ_EUlSY_E_NS1_11comp_targetILNS1_3genE2ELNS1_11target_archE906ELNS1_3gpuE6ELNS1_3repE0EEENS1_30default_config_static_selectorELNS0_4arch9wavefront6targetE1EEEvT1_: ; @_ZN7rocprim17ROCPRIM_400000_NS6detail17trampoline_kernelINS0_14default_configENS1_29reduce_by_key_config_selectorIflN6thrust23THRUST_200600_302600_NS4plusIlEEEEZZNS1_33reduce_by_key_impl_wrapped_configILNS1_25lookback_scan_determinismE0ES3_S9_PfNS6_17constant_iteratorIiNS6_11use_defaultESE_EENS6_10device_ptrIfEENSG_IlEEPmS8_NS6_8equal_toIfEEEE10hipError_tPvRmT2_T3_mT4_T5_T6_T7_T8_P12ihipStream_tbENKUlT_T0_E_clISt17integral_constantIbLb1EES12_IbLb0EEEEDaSY_SZ_EUlSY_E_NS1_11comp_targetILNS1_3genE2ELNS1_11target_archE906ELNS1_3gpuE6ELNS1_3repE0EEENS1_30default_config_static_selectorELNS0_4arch9wavefront6targetE1EEEvT1_
; %bb.0:
	.section	.rodata,"a",@progbits
	.p2align	6, 0x0
	.amdhsa_kernel _ZN7rocprim17ROCPRIM_400000_NS6detail17trampoline_kernelINS0_14default_configENS1_29reduce_by_key_config_selectorIflN6thrust23THRUST_200600_302600_NS4plusIlEEEEZZNS1_33reduce_by_key_impl_wrapped_configILNS1_25lookback_scan_determinismE0ES3_S9_PfNS6_17constant_iteratorIiNS6_11use_defaultESE_EENS6_10device_ptrIfEENSG_IlEEPmS8_NS6_8equal_toIfEEEE10hipError_tPvRmT2_T3_mT4_T5_T6_T7_T8_P12ihipStream_tbENKUlT_T0_E_clISt17integral_constantIbLb1EES12_IbLb0EEEEDaSY_SZ_EUlSY_E_NS1_11comp_targetILNS1_3genE2ELNS1_11target_archE906ELNS1_3gpuE6ELNS1_3repE0EEENS1_30default_config_static_selectorELNS0_4arch9wavefront6targetE1EEEvT1_
		.amdhsa_group_segment_fixed_size 0
		.amdhsa_private_segment_fixed_size 0
		.amdhsa_kernarg_size 144
		.amdhsa_user_sgpr_count 6
		.amdhsa_user_sgpr_private_segment_buffer 1
		.amdhsa_user_sgpr_dispatch_ptr 0
		.amdhsa_user_sgpr_queue_ptr 0
		.amdhsa_user_sgpr_kernarg_segment_ptr 1
		.amdhsa_user_sgpr_dispatch_id 0
		.amdhsa_user_sgpr_flat_scratch_init 0
		.amdhsa_user_sgpr_kernarg_preload_length 0
		.amdhsa_user_sgpr_kernarg_preload_offset 0
		.amdhsa_user_sgpr_private_segment_size 0
		.amdhsa_uses_dynamic_stack 0
		.amdhsa_system_sgpr_private_segment_wavefront_offset 0
		.amdhsa_system_sgpr_workgroup_id_x 1
		.amdhsa_system_sgpr_workgroup_id_y 0
		.amdhsa_system_sgpr_workgroup_id_z 0
		.amdhsa_system_sgpr_workgroup_info 0
		.amdhsa_system_vgpr_workitem_id 0
		.amdhsa_next_free_vgpr 1
		.amdhsa_next_free_sgpr 0
		.amdhsa_accum_offset 4
		.amdhsa_reserve_vcc 0
		.amdhsa_reserve_flat_scratch 0
		.amdhsa_float_round_mode_32 0
		.amdhsa_float_round_mode_16_64 0
		.amdhsa_float_denorm_mode_32 3
		.amdhsa_float_denorm_mode_16_64 3
		.amdhsa_dx10_clamp 1
		.amdhsa_ieee_mode 1
		.amdhsa_fp16_overflow 0
		.amdhsa_tg_split 0
		.amdhsa_exception_fp_ieee_invalid_op 0
		.amdhsa_exception_fp_denorm_src 0
		.amdhsa_exception_fp_ieee_div_zero 0
		.amdhsa_exception_fp_ieee_overflow 0
		.amdhsa_exception_fp_ieee_underflow 0
		.amdhsa_exception_fp_ieee_inexact 0
		.amdhsa_exception_int_div_zero 0
	.end_amdhsa_kernel
	.section	.text._ZN7rocprim17ROCPRIM_400000_NS6detail17trampoline_kernelINS0_14default_configENS1_29reduce_by_key_config_selectorIflN6thrust23THRUST_200600_302600_NS4plusIlEEEEZZNS1_33reduce_by_key_impl_wrapped_configILNS1_25lookback_scan_determinismE0ES3_S9_PfNS6_17constant_iteratorIiNS6_11use_defaultESE_EENS6_10device_ptrIfEENSG_IlEEPmS8_NS6_8equal_toIfEEEE10hipError_tPvRmT2_T3_mT4_T5_T6_T7_T8_P12ihipStream_tbENKUlT_T0_E_clISt17integral_constantIbLb1EES12_IbLb0EEEEDaSY_SZ_EUlSY_E_NS1_11comp_targetILNS1_3genE2ELNS1_11target_archE906ELNS1_3gpuE6ELNS1_3repE0EEENS1_30default_config_static_selectorELNS0_4arch9wavefront6targetE1EEEvT1_,"axG",@progbits,_ZN7rocprim17ROCPRIM_400000_NS6detail17trampoline_kernelINS0_14default_configENS1_29reduce_by_key_config_selectorIflN6thrust23THRUST_200600_302600_NS4plusIlEEEEZZNS1_33reduce_by_key_impl_wrapped_configILNS1_25lookback_scan_determinismE0ES3_S9_PfNS6_17constant_iteratorIiNS6_11use_defaultESE_EENS6_10device_ptrIfEENSG_IlEEPmS8_NS6_8equal_toIfEEEE10hipError_tPvRmT2_T3_mT4_T5_T6_T7_T8_P12ihipStream_tbENKUlT_T0_E_clISt17integral_constantIbLb1EES12_IbLb0EEEEDaSY_SZ_EUlSY_E_NS1_11comp_targetILNS1_3genE2ELNS1_11target_archE906ELNS1_3gpuE6ELNS1_3repE0EEENS1_30default_config_static_selectorELNS0_4arch9wavefront6targetE1EEEvT1_,comdat
.Lfunc_end1928:
	.size	_ZN7rocprim17ROCPRIM_400000_NS6detail17trampoline_kernelINS0_14default_configENS1_29reduce_by_key_config_selectorIflN6thrust23THRUST_200600_302600_NS4plusIlEEEEZZNS1_33reduce_by_key_impl_wrapped_configILNS1_25lookback_scan_determinismE0ES3_S9_PfNS6_17constant_iteratorIiNS6_11use_defaultESE_EENS6_10device_ptrIfEENSG_IlEEPmS8_NS6_8equal_toIfEEEE10hipError_tPvRmT2_T3_mT4_T5_T6_T7_T8_P12ihipStream_tbENKUlT_T0_E_clISt17integral_constantIbLb1EES12_IbLb0EEEEDaSY_SZ_EUlSY_E_NS1_11comp_targetILNS1_3genE2ELNS1_11target_archE906ELNS1_3gpuE6ELNS1_3repE0EEENS1_30default_config_static_selectorELNS0_4arch9wavefront6targetE1EEEvT1_, .Lfunc_end1928-_ZN7rocprim17ROCPRIM_400000_NS6detail17trampoline_kernelINS0_14default_configENS1_29reduce_by_key_config_selectorIflN6thrust23THRUST_200600_302600_NS4plusIlEEEEZZNS1_33reduce_by_key_impl_wrapped_configILNS1_25lookback_scan_determinismE0ES3_S9_PfNS6_17constant_iteratorIiNS6_11use_defaultESE_EENS6_10device_ptrIfEENSG_IlEEPmS8_NS6_8equal_toIfEEEE10hipError_tPvRmT2_T3_mT4_T5_T6_T7_T8_P12ihipStream_tbENKUlT_T0_E_clISt17integral_constantIbLb1EES12_IbLb0EEEEDaSY_SZ_EUlSY_E_NS1_11comp_targetILNS1_3genE2ELNS1_11target_archE906ELNS1_3gpuE6ELNS1_3repE0EEENS1_30default_config_static_selectorELNS0_4arch9wavefront6targetE1EEEvT1_
                                        ; -- End function
	.section	.AMDGPU.csdata,"",@progbits
; Kernel info:
; codeLenInByte = 0
; NumSgprs: 4
; NumVgprs: 0
; NumAgprs: 0
; TotalNumVgprs: 0
; ScratchSize: 0
; MemoryBound: 0
; FloatMode: 240
; IeeeMode: 1
; LDSByteSize: 0 bytes/workgroup (compile time only)
; SGPRBlocks: 0
; VGPRBlocks: 0
; NumSGPRsForWavesPerEU: 4
; NumVGPRsForWavesPerEU: 1
; AccumOffset: 4
; Occupancy: 8
; WaveLimiterHint : 0
; COMPUTE_PGM_RSRC2:SCRATCH_EN: 0
; COMPUTE_PGM_RSRC2:USER_SGPR: 6
; COMPUTE_PGM_RSRC2:TRAP_HANDLER: 0
; COMPUTE_PGM_RSRC2:TGID_X_EN: 1
; COMPUTE_PGM_RSRC2:TGID_Y_EN: 0
; COMPUTE_PGM_RSRC2:TGID_Z_EN: 0
; COMPUTE_PGM_RSRC2:TIDIG_COMP_CNT: 0
; COMPUTE_PGM_RSRC3_GFX90A:ACCUM_OFFSET: 0
; COMPUTE_PGM_RSRC3_GFX90A:TG_SPLIT: 0
	.section	.text._ZN7rocprim17ROCPRIM_400000_NS6detail17trampoline_kernelINS0_14default_configENS1_29reduce_by_key_config_selectorIflN6thrust23THRUST_200600_302600_NS4plusIlEEEEZZNS1_33reduce_by_key_impl_wrapped_configILNS1_25lookback_scan_determinismE0ES3_S9_PfNS6_17constant_iteratorIiNS6_11use_defaultESE_EENS6_10device_ptrIfEENSG_IlEEPmS8_NS6_8equal_toIfEEEE10hipError_tPvRmT2_T3_mT4_T5_T6_T7_T8_P12ihipStream_tbENKUlT_T0_E_clISt17integral_constantIbLb1EES12_IbLb0EEEEDaSY_SZ_EUlSY_E_NS1_11comp_targetILNS1_3genE10ELNS1_11target_archE1201ELNS1_3gpuE5ELNS1_3repE0EEENS1_30default_config_static_selectorELNS0_4arch9wavefront6targetE1EEEvT1_,"axG",@progbits,_ZN7rocprim17ROCPRIM_400000_NS6detail17trampoline_kernelINS0_14default_configENS1_29reduce_by_key_config_selectorIflN6thrust23THRUST_200600_302600_NS4plusIlEEEEZZNS1_33reduce_by_key_impl_wrapped_configILNS1_25lookback_scan_determinismE0ES3_S9_PfNS6_17constant_iteratorIiNS6_11use_defaultESE_EENS6_10device_ptrIfEENSG_IlEEPmS8_NS6_8equal_toIfEEEE10hipError_tPvRmT2_T3_mT4_T5_T6_T7_T8_P12ihipStream_tbENKUlT_T0_E_clISt17integral_constantIbLb1EES12_IbLb0EEEEDaSY_SZ_EUlSY_E_NS1_11comp_targetILNS1_3genE10ELNS1_11target_archE1201ELNS1_3gpuE5ELNS1_3repE0EEENS1_30default_config_static_selectorELNS0_4arch9wavefront6targetE1EEEvT1_,comdat
	.protected	_ZN7rocprim17ROCPRIM_400000_NS6detail17trampoline_kernelINS0_14default_configENS1_29reduce_by_key_config_selectorIflN6thrust23THRUST_200600_302600_NS4plusIlEEEEZZNS1_33reduce_by_key_impl_wrapped_configILNS1_25lookback_scan_determinismE0ES3_S9_PfNS6_17constant_iteratorIiNS6_11use_defaultESE_EENS6_10device_ptrIfEENSG_IlEEPmS8_NS6_8equal_toIfEEEE10hipError_tPvRmT2_T3_mT4_T5_T6_T7_T8_P12ihipStream_tbENKUlT_T0_E_clISt17integral_constantIbLb1EES12_IbLb0EEEEDaSY_SZ_EUlSY_E_NS1_11comp_targetILNS1_3genE10ELNS1_11target_archE1201ELNS1_3gpuE5ELNS1_3repE0EEENS1_30default_config_static_selectorELNS0_4arch9wavefront6targetE1EEEvT1_ ; -- Begin function _ZN7rocprim17ROCPRIM_400000_NS6detail17trampoline_kernelINS0_14default_configENS1_29reduce_by_key_config_selectorIflN6thrust23THRUST_200600_302600_NS4plusIlEEEEZZNS1_33reduce_by_key_impl_wrapped_configILNS1_25lookback_scan_determinismE0ES3_S9_PfNS6_17constant_iteratorIiNS6_11use_defaultESE_EENS6_10device_ptrIfEENSG_IlEEPmS8_NS6_8equal_toIfEEEE10hipError_tPvRmT2_T3_mT4_T5_T6_T7_T8_P12ihipStream_tbENKUlT_T0_E_clISt17integral_constantIbLb1EES12_IbLb0EEEEDaSY_SZ_EUlSY_E_NS1_11comp_targetILNS1_3genE10ELNS1_11target_archE1201ELNS1_3gpuE5ELNS1_3repE0EEENS1_30default_config_static_selectorELNS0_4arch9wavefront6targetE1EEEvT1_
	.globl	_ZN7rocprim17ROCPRIM_400000_NS6detail17trampoline_kernelINS0_14default_configENS1_29reduce_by_key_config_selectorIflN6thrust23THRUST_200600_302600_NS4plusIlEEEEZZNS1_33reduce_by_key_impl_wrapped_configILNS1_25lookback_scan_determinismE0ES3_S9_PfNS6_17constant_iteratorIiNS6_11use_defaultESE_EENS6_10device_ptrIfEENSG_IlEEPmS8_NS6_8equal_toIfEEEE10hipError_tPvRmT2_T3_mT4_T5_T6_T7_T8_P12ihipStream_tbENKUlT_T0_E_clISt17integral_constantIbLb1EES12_IbLb0EEEEDaSY_SZ_EUlSY_E_NS1_11comp_targetILNS1_3genE10ELNS1_11target_archE1201ELNS1_3gpuE5ELNS1_3repE0EEENS1_30default_config_static_selectorELNS0_4arch9wavefront6targetE1EEEvT1_
	.p2align	8
	.type	_ZN7rocprim17ROCPRIM_400000_NS6detail17trampoline_kernelINS0_14default_configENS1_29reduce_by_key_config_selectorIflN6thrust23THRUST_200600_302600_NS4plusIlEEEEZZNS1_33reduce_by_key_impl_wrapped_configILNS1_25lookback_scan_determinismE0ES3_S9_PfNS6_17constant_iteratorIiNS6_11use_defaultESE_EENS6_10device_ptrIfEENSG_IlEEPmS8_NS6_8equal_toIfEEEE10hipError_tPvRmT2_T3_mT4_T5_T6_T7_T8_P12ihipStream_tbENKUlT_T0_E_clISt17integral_constantIbLb1EES12_IbLb0EEEEDaSY_SZ_EUlSY_E_NS1_11comp_targetILNS1_3genE10ELNS1_11target_archE1201ELNS1_3gpuE5ELNS1_3repE0EEENS1_30default_config_static_selectorELNS0_4arch9wavefront6targetE1EEEvT1_,@function
_ZN7rocprim17ROCPRIM_400000_NS6detail17trampoline_kernelINS0_14default_configENS1_29reduce_by_key_config_selectorIflN6thrust23THRUST_200600_302600_NS4plusIlEEEEZZNS1_33reduce_by_key_impl_wrapped_configILNS1_25lookback_scan_determinismE0ES3_S9_PfNS6_17constant_iteratorIiNS6_11use_defaultESE_EENS6_10device_ptrIfEENSG_IlEEPmS8_NS6_8equal_toIfEEEE10hipError_tPvRmT2_T3_mT4_T5_T6_T7_T8_P12ihipStream_tbENKUlT_T0_E_clISt17integral_constantIbLb1EES12_IbLb0EEEEDaSY_SZ_EUlSY_E_NS1_11comp_targetILNS1_3genE10ELNS1_11target_archE1201ELNS1_3gpuE5ELNS1_3repE0EEENS1_30default_config_static_selectorELNS0_4arch9wavefront6targetE1EEEvT1_: ; @_ZN7rocprim17ROCPRIM_400000_NS6detail17trampoline_kernelINS0_14default_configENS1_29reduce_by_key_config_selectorIflN6thrust23THRUST_200600_302600_NS4plusIlEEEEZZNS1_33reduce_by_key_impl_wrapped_configILNS1_25lookback_scan_determinismE0ES3_S9_PfNS6_17constant_iteratorIiNS6_11use_defaultESE_EENS6_10device_ptrIfEENSG_IlEEPmS8_NS6_8equal_toIfEEEE10hipError_tPvRmT2_T3_mT4_T5_T6_T7_T8_P12ihipStream_tbENKUlT_T0_E_clISt17integral_constantIbLb1EES12_IbLb0EEEEDaSY_SZ_EUlSY_E_NS1_11comp_targetILNS1_3genE10ELNS1_11target_archE1201ELNS1_3gpuE5ELNS1_3repE0EEENS1_30default_config_static_selectorELNS0_4arch9wavefront6targetE1EEEvT1_
; %bb.0:
	.section	.rodata,"a",@progbits
	.p2align	6, 0x0
	.amdhsa_kernel _ZN7rocprim17ROCPRIM_400000_NS6detail17trampoline_kernelINS0_14default_configENS1_29reduce_by_key_config_selectorIflN6thrust23THRUST_200600_302600_NS4plusIlEEEEZZNS1_33reduce_by_key_impl_wrapped_configILNS1_25lookback_scan_determinismE0ES3_S9_PfNS6_17constant_iteratorIiNS6_11use_defaultESE_EENS6_10device_ptrIfEENSG_IlEEPmS8_NS6_8equal_toIfEEEE10hipError_tPvRmT2_T3_mT4_T5_T6_T7_T8_P12ihipStream_tbENKUlT_T0_E_clISt17integral_constantIbLb1EES12_IbLb0EEEEDaSY_SZ_EUlSY_E_NS1_11comp_targetILNS1_3genE10ELNS1_11target_archE1201ELNS1_3gpuE5ELNS1_3repE0EEENS1_30default_config_static_selectorELNS0_4arch9wavefront6targetE1EEEvT1_
		.amdhsa_group_segment_fixed_size 0
		.amdhsa_private_segment_fixed_size 0
		.amdhsa_kernarg_size 144
		.amdhsa_user_sgpr_count 6
		.amdhsa_user_sgpr_private_segment_buffer 1
		.amdhsa_user_sgpr_dispatch_ptr 0
		.amdhsa_user_sgpr_queue_ptr 0
		.amdhsa_user_sgpr_kernarg_segment_ptr 1
		.amdhsa_user_sgpr_dispatch_id 0
		.amdhsa_user_sgpr_flat_scratch_init 0
		.amdhsa_user_sgpr_kernarg_preload_length 0
		.amdhsa_user_sgpr_kernarg_preload_offset 0
		.amdhsa_user_sgpr_private_segment_size 0
		.amdhsa_uses_dynamic_stack 0
		.amdhsa_system_sgpr_private_segment_wavefront_offset 0
		.amdhsa_system_sgpr_workgroup_id_x 1
		.amdhsa_system_sgpr_workgroup_id_y 0
		.amdhsa_system_sgpr_workgroup_id_z 0
		.amdhsa_system_sgpr_workgroup_info 0
		.amdhsa_system_vgpr_workitem_id 0
		.amdhsa_next_free_vgpr 1
		.amdhsa_next_free_sgpr 0
		.amdhsa_accum_offset 4
		.amdhsa_reserve_vcc 0
		.amdhsa_reserve_flat_scratch 0
		.amdhsa_float_round_mode_32 0
		.amdhsa_float_round_mode_16_64 0
		.amdhsa_float_denorm_mode_32 3
		.amdhsa_float_denorm_mode_16_64 3
		.amdhsa_dx10_clamp 1
		.amdhsa_ieee_mode 1
		.amdhsa_fp16_overflow 0
		.amdhsa_tg_split 0
		.amdhsa_exception_fp_ieee_invalid_op 0
		.amdhsa_exception_fp_denorm_src 0
		.amdhsa_exception_fp_ieee_div_zero 0
		.amdhsa_exception_fp_ieee_overflow 0
		.amdhsa_exception_fp_ieee_underflow 0
		.amdhsa_exception_fp_ieee_inexact 0
		.amdhsa_exception_int_div_zero 0
	.end_amdhsa_kernel
	.section	.text._ZN7rocprim17ROCPRIM_400000_NS6detail17trampoline_kernelINS0_14default_configENS1_29reduce_by_key_config_selectorIflN6thrust23THRUST_200600_302600_NS4plusIlEEEEZZNS1_33reduce_by_key_impl_wrapped_configILNS1_25lookback_scan_determinismE0ES3_S9_PfNS6_17constant_iteratorIiNS6_11use_defaultESE_EENS6_10device_ptrIfEENSG_IlEEPmS8_NS6_8equal_toIfEEEE10hipError_tPvRmT2_T3_mT4_T5_T6_T7_T8_P12ihipStream_tbENKUlT_T0_E_clISt17integral_constantIbLb1EES12_IbLb0EEEEDaSY_SZ_EUlSY_E_NS1_11comp_targetILNS1_3genE10ELNS1_11target_archE1201ELNS1_3gpuE5ELNS1_3repE0EEENS1_30default_config_static_selectorELNS0_4arch9wavefront6targetE1EEEvT1_,"axG",@progbits,_ZN7rocprim17ROCPRIM_400000_NS6detail17trampoline_kernelINS0_14default_configENS1_29reduce_by_key_config_selectorIflN6thrust23THRUST_200600_302600_NS4plusIlEEEEZZNS1_33reduce_by_key_impl_wrapped_configILNS1_25lookback_scan_determinismE0ES3_S9_PfNS6_17constant_iteratorIiNS6_11use_defaultESE_EENS6_10device_ptrIfEENSG_IlEEPmS8_NS6_8equal_toIfEEEE10hipError_tPvRmT2_T3_mT4_T5_T6_T7_T8_P12ihipStream_tbENKUlT_T0_E_clISt17integral_constantIbLb1EES12_IbLb0EEEEDaSY_SZ_EUlSY_E_NS1_11comp_targetILNS1_3genE10ELNS1_11target_archE1201ELNS1_3gpuE5ELNS1_3repE0EEENS1_30default_config_static_selectorELNS0_4arch9wavefront6targetE1EEEvT1_,comdat
.Lfunc_end1929:
	.size	_ZN7rocprim17ROCPRIM_400000_NS6detail17trampoline_kernelINS0_14default_configENS1_29reduce_by_key_config_selectorIflN6thrust23THRUST_200600_302600_NS4plusIlEEEEZZNS1_33reduce_by_key_impl_wrapped_configILNS1_25lookback_scan_determinismE0ES3_S9_PfNS6_17constant_iteratorIiNS6_11use_defaultESE_EENS6_10device_ptrIfEENSG_IlEEPmS8_NS6_8equal_toIfEEEE10hipError_tPvRmT2_T3_mT4_T5_T6_T7_T8_P12ihipStream_tbENKUlT_T0_E_clISt17integral_constantIbLb1EES12_IbLb0EEEEDaSY_SZ_EUlSY_E_NS1_11comp_targetILNS1_3genE10ELNS1_11target_archE1201ELNS1_3gpuE5ELNS1_3repE0EEENS1_30default_config_static_selectorELNS0_4arch9wavefront6targetE1EEEvT1_, .Lfunc_end1929-_ZN7rocprim17ROCPRIM_400000_NS6detail17trampoline_kernelINS0_14default_configENS1_29reduce_by_key_config_selectorIflN6thrust23THRUST_200600_302600_NS4plusIlEEEEZZNS1_33reduce_by_key_impl_wrapped_configILNS1_25lookback_scan_determinismE0ES3_S9_PfNS6_17constant_iteratorIiNS6_11use_defaultESE_EENS6_10device_ptrIfEENSG_IlEEPmS8_NS6_8equal_toIfEEEE10hipError_tPvRmT2_T3_mT4_T5_T6_T7_T8_P12ihipStream_tbENKUlT_T0_E_clISt17integral_constantIbLb1EES12_IbLb0EEEEDaSY_SZ_EUlSY_E_NS1_11comp_targetILNS1_3genE10ELNS1_11target_archE1201ELNS1_3gpuE5ELNS1_3repE0EEENS1_30default_config_static_selectorELNS0_4arch9wavefront6targetE1EEEvT1_
                                        ; -- End function
	.section	.AMDGPU.csdata,"",@progbits
; Kernel info:
; codeLenInByte = 0
; NumSgprs: 4
; NumVgprs: 0
; NumAgprs: 0
; TotalNumVgprs: 0
; ScratchSize: 0
; MemoryBound: 0
; FloatMode: 240
; IeeeMode: 1
; LDSByteSize: 0 bytes/workgroup (compile time only)
; SGPRBlocks: 0
; VGPRBlocks: 0
; NumSGPRsForWavesPerEU: 4
; NumVGPRsForWavesPerEU: 1
; AccumOffset: 4
; Occupancy: 8
; WaveLimiterHint : 0
; COMPUTE_PGM_RSRC2:SCRATCH_EN: 0
; COMPUTE_PGM_RSRC2:USER_SGPR: 6
; COMPUTE_PGM_RSRC2:TRAP_HANDLER: 0
; COMPUTE_PGM_RSRC2:TGID_X_EN: 1
; COMPUTE_PGM_RSRC2:TGID_Y_EN: 0
; COMPUTE_PGM_RSRC2:TGID_Z_EN: 0
; COMPUTE_PGM_RSRC2:TIDIG_COMP_CNT: 0
; COMPUTE_PGM_RSRC3_GFX90A:ACCUM_OFFSET: 0
; COMPUTE_PGM_RSRC3_GFX90A:TG_SPLIT: 0
	.section	.text._ZN7rocprim17ROCPRIM_400000_NS6detail17trampoline_kernelINS0_14default_configENS1_29reduce_by_key_config_selectorIflN6thrust23THRUST_200600_302600_NS4plusIlEEEEZZNS1_33reduce_by_key_impl_wrapped_configILNS1_25lookback_scan_determinismE0ES3_S9_PfNS6_17constant_iteratorIiNS6_11use_defaultESE_EENS6_10device_ptrIfEENSG_IlEEPmS8_NS6_8equal_toIfEEEE10hipError_tPvRmT2_T3_mT4_T5_T6_T7_T8_P12ihipStream_tbENKUlT_T0_E_clISt17integral_constantIbLb1EES12_IbLb0EEEEDaSY_SZ_EUlSY_E_NS1_11comp_targetILNS1_3genE10ELNS1_11target_archE1200ELNS1_3gpuE4ELNS1_3repE0EEENS1_30default_config_static_selectorELNS0_4arch9wavefront6targetE1EEEvT1_,"axG",@progbits,_ZN7rocprim17ROCPRIM_400000_NS6detail17trampoline_kernelINS0_14default_configENS1_29reduce_by_key_config_selectorIflN6thrust23THRUST_200600_302600_NS4plusIlEEEEZZNS1_33reduce_by_key_impl_wrapped_configILNS1_25lookback_scan_determinismE0ES3_S9_PfNS6_17constant_iteratorIiNS6_11use_defaultESE_EENS6_10device_ptrIfEENSG_IlEEPmS8_NS6_8equal_toIfEEEE10hipError_tPvRmT2_T3_mT4_T5_T6_T7_T8_P12ihipStream_tbENKUlT_T0_E_clISt17integral_constantIbLb1EES12_IbLb0EEEEDaSY_SZ_EUlSY_E_NS1_11comp_targetILNS1_3genE10ELNS1_11target_archE1200ELNS1_3gpuE4ELNS1_3repE0EEENS1_30default_config_static_selectorELNS0_4arch9wavefront6targetE1EEEvT1_,comdat
	.protected	_ZN7rocprim17ROCPRIM_400000_NS6detail17trampoline_kernelINS0_14default_configENS1_29reduce_by_key_config_selectorIflN6thrust23THRUST_200600_302600_NS4plusIlEEEEZZNS1_33reduce_by_key_impl_wrapped_configILNS1_25lookback_scan_determinismE0ES3_S9_PfNS6_17constant_iteratorIiNS6_11use_defaultESE_EENS6_10device_ptrIfEENSG_IlEEPmS8_NS6_8equal_toIfEEEE10hipError_tPvRmT2_T3_mT4_T5_T6_T7_T8_P12ihipStream_tbENKUlT_T0_E_clISt17integral_constantIbLb1EES12_IbLb0EEEEDaSY_SZ_EUlSY_E_NS1_11comp_targetILNS1_3genE10ELNS1_11target_archE1200ELNS1_3gpuE4ELNS1_3repE0EEENS1_30default_config_static_selectorELNS0_4arch9wavefront6targetE1EEEvT1_ ; -- Begin function _ZN7rocprim17ROCPRIM_400000_NS6detail17trampoline_kernelINS0_14default_configENS1_29reduce_by_key_config_selectorIflN6thrust23THRUST_200600_302600_NS4plusIlEEEEZZNS1_33reduce_by_key_impl_wrapped_configILNS1_25lookback_scan_determinismE0ES3_S9_PfNS6_17constant_iteratorIiNS6_11use_defaultESE_EENS6_10device_ptrIfEENSG_IlEEPmS8_NS6_8equal_toIfEEEE10hipError_tPvRmT2_T3_mT4_T5_T6_T7_T8_P12ihipStream_tbENKUlT_T0_E_clISt17integral_constantIbLb1EES12_IbLb0EEEEDaSY_SZ_EUlSY_E_NS1_11comp_targetILNS1_3genE10ELNS1_11target_archE1200ELNS1_3gpuE4ELNS1_3repE0EEENS1_30default_config_static_selectorELNS0_4arch9wavefront6targetE1EEEvT1_
	.globl	_ZN7rocprim17ROCPRIM_400000_NS6detail17trampoline_kernelINS0_14default_configENS1_29reduce_by_key_config_selectorIflN6thrust23THRUST_200600_302600_NS4plusIlEEEEZZNS1_33reduce_by_key_impl_wrapped_configILNS1_25lookback_scan_determinismE0ES3_S9_PfNS6_17constant_iteratorIiNS6_11use_defaultESE_EENS6_10device_ptrIfEENSG_IlEEPmS8_NS6_8equal_toIfEEEE10hipError_tPvRmT2_T3_mT4_T5_T6_T7_T8_P12ihipStream_tbENKUlT_T0_E_clISt17integral_constantIbLb1EES12_IbLb0EEEEDaSY_SZ_EUlSY_E_NS1_11comp_targetILNS1_3genE10ELNS1_11target_archE1200ELNS1_3gpuE4ELNS1_3repE0EEENS1_30default_config_static_selectorELNS0_4arch9wavefront6targetE1EEEvT1_
	.p2align	8
	.type	_ZN7rocprim17ROCPRIM_400000_NS6detail17trampoline_kernelINS0_14default_configENS1_29reduce_by_key_config_selectorIflN6thrust23THRUST_200600_302600_NS4plusIlEEEEZZNS1_33reduce_by_key_impl_wrapped_configILNS1_25lookback_scan_determinismE0ES3_S9_PfNS6_17constant_iteratorIiNS6_11use_defaultESE_EENS6_10device_ptrIfEENSG_IlEEPmS8_NS6_8equal_toIfEEEE10hipError_tPvRmT2_T3_mT4_T5_T6_T7_T8_P12ihipStream_tbENKUlT_T0_E_clISt17integral_constantIbLb1EES12_IbLb0EEEEDaSY_SZ_EUlSY_E_NS1_11comp_targetILNS1_3genE10ELNS1_11target_archE1200ELNS1_3gpuE4ELNS1_3repE0EEENS1_30default_config_static_selectorELNS0_4arch9wavefront6targetE1EEEvT1_,@function
_ZN7rocprim17ROCPRIM_400000_NS6detail17trampoline_kernelINS0_14default_configENS1_29reduce_by_key_config_selectorIflN6thrust23THRUST_200600_302600_NS4plusIlEEEEZZNS1_33reduce_by_key_impl_wrapped_configILNS1_25lookback_scan_determinismE0ES3_S9_PfNS6_17constant_iteratorIiNS6_11use_defaultESE_EENS6_10device_ptrIfEENSG_IlEEPmS8_NS6_8equal_toIfEEEE10hipError_tPvRmT2_T3_mT4_T5_T6_T7_T8_P12ihipStream_tbENKUlT_T0_E_clISt17integral_constantIbLb1EES12_IbLb0EEEEDaSY_SZ_EUlSY_E_NS1_11comp_targetILNS1_3genE10ELNS1_11target_archE1200ELNS1_3gpuE4ELNS1_3repE0EEENS1_30default_config_static_selectorELNS0_4arch9wavefront6targetE1EEEvT1_: ; @_ZN7rocprim17ROCPRIM_400000_NS6detail17trampoline_kernelINS0_14default_configENS1_29reduce_by_key_config_selectorIflN6thrust23THRUST_200600_302600_NS4plusIlEEEEZZNS1_33reduce_by_key_impl_wrapped_configILNS1_25lookback_scan_determinismE0ES3_S9_PfNS6_17constant_iteratorIiNS6_11use_defaultESE_EENS6_10device_ptrIfEENSG_IlEEPmS8_NS6_8equal_toIfEEEE10hipError_tPvRmT2_T3_mT4_T5_T6_T7_T8_P12ihipStream_tbENKUlT_T0_E_clISt17integral_constantIbLb1EES12_IbLb0EEEEDaSY_SZ_EUlSY_E_NS1_11comp_targetILNS1_3genE10ELNS1_11target_archE1200ELNS1_3gpuE4ELNS1_3repE0EEENS1_30default_config_static_selectorELNS0_4arch9wavefront6targetE1EEEvT1_
; %bb.0:
	.section	.rodata,"a",@progbits
	.p2align	6, 0x0
	.amdhsa_kernel _ZN7rocprim17ROCPRIM_400000_NS6detail17trampoline_kernelINS0_14default_configENS1_29reduce_by_key_config_selectorIflN6thrust23THRUST_200600_302600_NS4plusIlEEEEZZNS1_33reduce_by_key_impl_wrapped_configILNS1_25lookback_scan_determinismE0ES3_S9_PfNS6_17constant_iteratorIiNS6_11use_defaultESE_EENS6_10device_ptrIfEENSG_IlEEPmS8_NS6_8equal_toIfEEEE10hipError_tPvRmT2_T3_mT4_T5_T6_T7_T8_P12ihipStream_tbENKUlT_T0_E_clISt17integral_constantIbLb1EES12_IbLb0EEEEDaSY_SZ_EUlSY_E_NS1_11comp_targetILNS1_3genE10ELNS1_11target_archE1200ELNS1_3gpuE4ELNS1_3repE0EEENS1_30default_config_static_selectorELNS0_4arch9wavefront6targetE1EEEvT1_
		.amdhsa_group_segment_fixed_size 0
		.amdhsa_private_segment_fixed_size 0
		.amdhsa_kernarg_size 144
		.amdhsa_user_sgpr_count 6
		.amdhsa_user_sgpr_private_segment_buffer 1
		.amdhsa_user_sgpr_dispatch_ptr 0
		.amdhsa_user_sgpr_queue_ptr 0
		.amdhsa_user_sgpr_kernarg_segment_ptr 1
		.amdhsa_user_sgpr_dispatch_id 0
		.amdhsa_user_sgpr_flat_scratch_init 0
		.amdhsa_user_sgpr_kernarg_preload_length 0
		.amdhsa_user_sgpr_kernarg_preload_offset 0
		.amdhsa_user_sgpr_private_segment_size 0
		.amdhsa_uses_dynamic_stack 0
		.amdhsa_system_sgpr_private_segment_wavefront_offset 0
		.amdhsa_system_sgpr_workgroup_id_x 1
		.amdhsa_system_sgpr_workgroup_id_y 0
		.amdhsa_system_sgpr_workgroup_id_z 0
		.amdhsa_system_sgpr_workgroup_info 0
		.amdhsa_system_vgpr_workitem_id 0
		.amdhsa_next_free_vgpr 1
		.amdhsa_next_free_sgpr 0
		.amdhsa_accum_offset 4
		.amdhsa_reserve_vcc 0
		.amdhsa_reserve_flat_scratch 0
		.amdhsa_float_round_mode_32 0
		.amdhsa_float_round_mode_16_64 0
		.amdhsa_float_denorm_mode_32 3
		.amdhsa_float_denorm_mode_16_64 3
		.amdhsa_dx10_clamp 1
		.amdhsa_ieee_mode 1
		.amdhsa_fp16_overflow 0
		.amdhsa_tg_split 0
		.amdhsa_exception_fp_ieee_invalid_op 0
		.amdhsa_exception_fp_denorm_src 0
		.amdhsa_exception_fp_ieee_div_zero 0
		.amdhsa_exception_fp_ieee_overflow 0
		.amdhsa_exception_fp_ieee_underflow 0
		.amdhsa_exception_fp_ieee_inexact 0
		.amdhsa_exception_int_div_zero 0
	.end_amdhsa_kernel
	.section	.text._ZN7rocprim17ROCPRIM_400000_NS6detail17trampoline_kernelINS0_14default_configENS1_29reduce_by_key_config_selectorIflN6thrust23THRUST_200600_302600_NS4plusIlEEEEZZNS1_33reduce_by_key_impl_wrapped_configILNS1_25lookback_scan_determinismE0ES3_S9_PfNS6_17constant_iteratorIiNS6_11use_defaultESE_EENS6_10device_ptrIfEENSG_IlEEPmS8_NS6_8equal_toIfEEEE10hipError_tPvRmT2_T3_mT4_T5_T6_T7_T8_P12ihipStream_tbENKUlT_T0_E_clISt17integral_constantIbLb1EES12_IbLb0EEEEDaSY_SZ_EUlSY_E_NS1_11comp_targetILNS1_3genE10ELNS1_11target_archE1200ELNS1_3gpuE4ELNS1_3repE0EEENS1_30default_config_static_selectorELNS0_4arch9wavefront6targetE1EEEvT1_,"axG",@progbits,_ZN7rocprim17ROCPRIM_400000_NS6detail17trampoline_kernelINS0_14default_configENS1_29reduce_by_key_config_selectorIflN6thrust23THRUST_200600_302600_NS4plusIlEEEEZZNS1_33reduce_by_key_impl_wrapped_configILNS1_25lookback_scan_determinismE0ES3_S9_PfNS6_17constant_iteratorIiNS6_11use_defaultESE_EENS6_10device_ptrIfEENSG_IlEEPmS8_NS6_8equal_toIfEEEE10hipError_tPvRmT2_T3_mT4_T5_T6_T7_T8_P12ihipStream_tbENKUlT_T0_E_clISt17integral_constantIbLb1EES12_IbLb0EEEEDaSY_SZ_EUlSY_E_NS1_11comp_targetILNS1_3genE10ELNS1_11target_archE1200ELNS1_3gpuE4ELNS1_3repE0EEENS1_30default_config_static_selectorELNS0_4arch9wavefront6targetE1EEEvT1_,comdat
.Lfunc_end1930:
	.size	_ZN7rocprim17ROCPRIM_400000_NS6detail17trampoline_kernelINS0_14default_configENS1_29reduce_by_key_config_selectorIflN6thrust23THRUST_200600_302600_NS4plusIlEEEEZZNS1_33reduce_by_key_impl_wrapped_configILNS1_25lookback_scan_determinismE0ES3_S9_PfNS6_17constant_iteratorIiNS6_11use_defaultESE_EENS6_10device_ptrIfEENSG_IlEEPmS8_NS6_8equal_toIfEEEE10hipError_tPvRmT2_T3_mT4_T5_T6_T7_T8_P12ihipStream_tbENKUlT_T0_E_clISt17integral_constantIbLb1EES12_IbLb0EEEEDaSY_SZ_EUlSY_E_NS1_11comp_targetILNS1_3genE10ELNS1_11target_archE1200ELNS1_3gpuE4ELNS1_3repE0EEENS1_30default_config_static_selectorELNS0_4arch9wavefront6targetE1EEEvT1_, .Lfunc_end1930-_ZN7rocprim17ROCPRIM_400000_NS6detail17trampoline_kernelINS0_14default_configENS1_29reduce_by_key_config_selectorIflN6thrust23THRUST_200600_302600_NS4plusIlEEEEZZNS1_33reduce_by_key_impl_wrapped_configILNS1_25lookback_scan_determinismE0ES3_S9_PfNS6_17constant_iteratorIiNS6_11use_defaultESE_EENS6_10device_ptrIfEENSG_IlEEPmS8_NS6_8equal_toIfEEEE10hipError_tPvRmT2_T3_mT4_T5_T6_T7_T8_P12ihipStream_tbENKUlT_T0_E_clISt17integral_constantIbLb1EES12_IbLb0EEEEDaSY_SZ_EUlSY_E_NS1_11comp_targetILNS1_3genE10ELNS1_11target_archE1200ELNS1_3gpuE4ELNS1_3repE0EEENS1_30default_config_static_selectorELNS0_4arch9wavefront6targetE1EEEvT1_
                                        ; -- End function
	.section	.AMDGPU.csdata,"",@progbits
; Kernel info:
; codeLenInByte = 0
; NumSgprs: 4
; NumVgprs: 0
; NumAgprs: 0
; TotalNumVgprs: 0
; ScratchSize: 0
; MemoryBound: 0
; FloatMode: 240
; IeeeMode: 1
; LDSByteSize: 0 bytes/workgroup (compile time only)
; SGPRBlocks: 0
; VGPRBlocks: 0
; NumSGPRsForWavesPerEU: 4
; NumVGPRsForWavesPerEU: 1
; AccumOffset: 4
; Occupancy: 8
; WaveLimiterHint : 0
; COMPUTE_PGM_RSRC2:SCRATCH_EN: 0
; COMPUTE_PGM_RSRC2:USER_SGPR: 6
; COMPUTE_PGM_RSRC2:TRAP_HANDLER: 0
; COMPUTE_PGM_RSRC2:TGID_X_EN: 1
; COMPUTE_PGM_RSRC2:TGID_Y_EN: 0
; COMPUTE_PGM_RSRC2:TGID_Z_EN: 0
; COMPUTE_PGM_RSRC2:TIDIG_COMP_CNT: 0
; COMPUTE_PGM_RSRC3_GFX90A:ACCUM_OFFSET: 0
; COMPUTE_PGM_RSRC3_GFX90A:TG_SPLIT: 0
	.section	.text._ZN7rocprim17ROCPRIM_400000_NS6detail17trampoline_kernelINS0_14default_configENS1_29reduce_by_key_config_selectorIflN6thrust23THRUST_200600_302600_NS4plusIlEEEEZZNS1_33reduce_by_key_impl_wrapped_configILNS1_25lookback_scan_determinismE0ES3_S9_PfNS6_17constant_iteratorIiNS6_11use_defaultESE_EENS6_10device_ptrIfEENSG_IlEEPmS8_NS6_8equal_toIfEEEE10hipError_tPvRmT2_T3_mT4_T5_T6_T7_T8_P12ihipStream_tbENKUlT_T0_E_clISt17integral_constantIbLb1EES12_IbLb0EEEEDaSY_SZ_EUlSY_E_NS1_11comp_targetILNS1_3genE9ELNS1_11target_archE1100ELNS1_3gpuE3ELNS1_3repE0EEENS1_30default_config_static_selectorELNS0_4arch9wavefront6targetE1EEEvT1_,"axG",@progbits,_ZN7rocprim17ROCPRIM_400000_NS6detail17trampoline_kernelINS0_14default_configENS1_29reduce_by_key_config_selectorIflN6thrust23THRUST_200600_302600_NS4plusIlEEEEZZNS1_33reduce_by_key_impl_wrapped_configILNS1_25lookback_scan_determinismE0ES3_S9_PfNS6_17constant_iteratorIiNS6_11use_defaultESE_EENS6_10device_ptrIfEENSG_IlEEPmS8_NS6_8equal_toIfEEEE10hipError_tPvRmT2_T3_mT4_T5_T6_T7_T8_P12ihipStream_tbENKUlT_T0_E_clISt17integral_constantIbLb1EES12_IbLb0EEEEDaSY_SZ_EUlSY_E_NS1_11comp_targetILNS1_3genE9ELNS1_11target_archE1100ELNS1_3gpuE3ELNS1_3repE0EEENS1_30default_config_static_selectorELNS0_4arch9wavefront6targetE1EEEvT1_,comdat
	.protected	_ZN7rocprim17ROCPRIM_400000_NS6detail17trampoline_kernelINS0_14default_configENS1_29reduce_by_key_config_selectorIflN6thrust23THRUST_200600_302600_NS4plusIlEEEEZZNS1_33reduce_by_key_impl_wrapped_configILNS1_25lookback_scan_determinismE0ES3_S9_PfNS6_17constant_iteratorIiNS6_11use_defaultESE_EENS6_10device_ptrIfEENSG_IlEEPmS8_NS6_8equal_toIfEEEE10hipError_tPvRmT2_T3_mT4_T5_T6_T7_T8_P12ihipStream_tbENKUlT_T0_E_clISt17integral_constantIbLb1EES12_IbLb0EEEEDaSY_SZ_EUlSY_E_NS1_11comp_targetILNS1_3genE9ELNS1_11target_archE1100ELNS1_3gpuE3ELNS1_3repE0EEENS1_30default_config_static_selectorELNS0_4arch9wavefront6targetE1EEEvT1_ ; -- Begin function _ZN7rocprim17ROCPRIM_400000_NS6detail17trampoline_kernelINS0_14default_configENS1_29reduce_by_key_config_selectorIflN6thrust23THRUST_200600_302600_NS4plusIlEEEEZZNS1_33reduce_by_key_impl_wrapped_configILNS1_25lookback_scan_determinismE0ES3_S9_PfNS6_17constant_iteratorIiNS6_11use_defaultESE_EENS6_10device_ptrIfEENSG_IlEEPmS8_NS6_8equal_toIfEEEE10hipError_tPvRmT2_T3_mT4_T5_T6_T7_T8_P12ihipStream_tbENKUlT_T0_E_clISt17integral_constantIbLb1EES12_IbLb0EEEEDaSY_SZ_EUlSY_E_NS1_11comp_targetILNS1_3genE9ELNS1_11target_archE1100ELNS1_3gpuE3ELNS1_3repE0EEENS1_30default_config_static_selectorELNS0_4arch9wavefront6targetE1EEEvT1_
	.globl	_ZN7rocprim17ROCPRIM_400000_NS6detail17trampoline_kernelINS0_14default_configENS1_29reduce_by_key_config_selectorIflN6thrust23THRUST_200600_302600_NS4plusIlEEEEZZNS1_33reduce_by_key_impl_wrapped_configILNS1_25lookback_scan_determinismE0ES3_S9_PfNS6_17constant_iteratorIiNS6_11use_defaultESE_EENS6_10device_ptrIfEENSG_IlEEPmS8_NS6_8equal_toIfEEEE10hipError_tPvRmT2_T3_mT4_T5_T6_T7_T8_P12ihipStream_tbENKUlT_T0_E_clISt17integral_constantIbLb1EES12_IbLb0EEEEDaSY_SZ_EUlSY_E_NS1_11comp_targetILNS1_3genE9ELNS1_11target_archE1100ELNS1_3gpuE3ELNS1_3repE0EEENS1_30default_config_static_selectorELNS0_4arch9wavefront6targetE1EEEvT1_
	.p2align	8
	.type	_ZN7rocprim17ROCPRIM_400000_NS6detail17trampoline_kernelINS0_14default_configENS1_29reduce_by_key_config_selectorIflN6thrust23THRUST_200600_302600_NS4plusIlEEEEZZNS1_33reduce_by_key_impl_wrapped_configILNS1_25lookback_scan_determinismE0ES3_S9_PfNS6_17constant_iteratorIiNS6_11use_defaultESE_EENS6_10device_ptrIfEENSG_IlEEPmS8_NS6_8equal_toIfEEEE10hipError_tPvRmT2_T3_mT4_T5_T6_T7_T8_P12ihipStream_tbENKUlT_T0_E_clISt17integral_constantIbLb1EES12_IbLb0EEEEDaSY_SZ_EUlSY_E_NS1_11comp_targetILNS1_3genE9ELNS1_11target_archE1100ELNS1_3gpuE3ELNS1_3repE0EEENS1_30default_config_static_selectorELNS0_4arch9wavefront6targetE1EEEvT1_,@function
_ZN7rocprim17ROCPRIM_400000_NS6detail17trampoline_kernelINS0_14default_configENS1_29reduce_by_key_config_selectorIflN6thrust23THRUST_200600_302600_NS4plusIlEEEEZZNS1_33reduce_by_key_impl_wrapped_configILNS1_25lookback_scan_determinismE0ES3_S9_PfNS6_17constant_iteratorIiNS6_11use_defaultESE_EENS6_10device_ptrIfEENSG_IlEEPmS8_NS6_8equal_toIfEEEE10hipError_tPvRmT2_T3_mT4_T5_T6_T7_T8_P12ihipStream_tbENKUlT_T0_E_clISt17integral_constantIbLb1EES12_IbLb0EEEEDaSY_SZ_EUlSY_E_NS1_11comp_targetILNS1_3genE9ELNS1_11target_archE1100ELNS1_3gpuE3ELNS1_3repE0EEENS1_30default_config_static_selectorELNS0_4arch9wavefront6targetE1EEEvT1_: ; @_ZN7rocprim17ROCPRIM_400000_NS6detail17trampoline_kernelINS0_14default_configENS1_29reduce_by_key_config_selectorIflN6thrust23THRUST_200600_302600_NS4plusIlEEEEZZNS1_33reduce_by_key_impl_wrapped_configILNS1_25lookback_scan_determinismE0ES3_S9_PfNS6_17constant_iteratorIiNS6_11use_defaultESE_EENS6_10device_ptrIfEENSG_IlEEPmS8_NS6_8equal_toIfEEEE10hipError_tPvRmT2_T3_mT4_T5_T6_T7_T8_P12ihipStream_tbENKUlT_T0_E_clISt17integral_constantIbLb1EES12_IbLb0EEEEDaSY_SZ_EUlSY_E_NS1_11comp_targetILNS1_3genE9ELNS1_11target_archE1100ELNS1_3gpuE3ELNS1_3repE0EEENS1_30default_config_static_selectorELNS0_4arch9wavefront6targetE1EEEvT1_
; %bb.0:
	.section	.rodata,"a",@progbits
	.p2align	6, 0x0
	.amdhsa_kernel _ZN7rocprim17ROCPRIM_400000_NS6detail17trampoline_kernelINS0_14default_configENS1_29reduce_by_key_config_selectorIflN6thrust23THRUST_200600_302600_NS4plusIlEEEEZZNS1_33reduce_by_key_impl_wrapped_configILNS1_25lookback_scan_determinismE0ES3_S9_PfNS6_17constant_iteratorIiNS6_11use_defaultESE_EENS6_10device_ptrIfEENSG_IlEEPmS8_NS6_8equal_toIfEEEE10hipError_tPvRmT2_T3_mT4_T5_T6_T7_T8_P12ihipStream_tbENKUlT_T0_E_clISt17integral_constantIbLb1EES12_IbLb0EEEEDaSY_SZ_EUlSY_E_NS1_11comp_targetILNS1_3genE9ELNS1_11target_archE1100ELNS1_3gpuE3ELNS1_3repE0EEENS1_30default_config_static_selectorELNS0_4arch9wavefront6targetE1EEEvT1_
		.amdhsa_group_segment_fixed_size 0
		.amdhsa_private_segment_fixed_size 0
		.amdhsa_kernarg_size 144
		.amdhsa_user_sgpr_count 6
		.amdhsa_user_sgpr_private_segment_buffer 1
		.amdhsa_user_sgpr_dispatch_ptr 0
		.amdhsa_user_sgpr_queue_ptr 0
		.amdhsa_user_sgpr_kernarg_segment_ptr 1
		.amdhsa_user_sgpr_dispatch_id 0
		.amdhsa_user_sgpr_flat_scratch_init 0
		.amdhsa_user_sgpr_kernarg_preload_length 0
		.amdhsa_user_sgpr_kernarg_preload_offset 0
		.amdhsa_user_sgpr_private_segment_size 0
		.amdhsa_uses_dynamic_stack 0
		.amdhsa_system_sgpr_private_segment_wavefront_offset 0
		.amdhsa_system_sgpr_workgroup_id_x 1
		.amdhsa_system_sgpr_workgroup_id_y 0
		.amdhsa_system_sgpr_workgroup_id_z 0
		.amdhsa_system_sgpr_workgroup_info 0
		.amdhsa_system_vgpr_workitem_id 0
		.amdhsa_next_free_vgpr 1
		.amdhsa_next_free_sgpr 0
		.amdhsa_accum_offset 4
		.amdhsa_reserve_vcc 0
		.amdhsa_reserve_flat_scratch 0
		.amdhsa_float_round_mode_32 0
		.amdhsa_float_round_mode_16_64 0
		.amdhsa_float_denorm_mode_32 3
		.amdhsa_float_denorm_mode_16_64 3
		.amdhsa_dx10_clamp 1
		.amdhsa_ieee_mode 1
		.amdhsa_fp16_overflow 0
		.amdhsa_tg_split 0
		.amdhsa_exception_fp_ieee_invalid_op 0
		.amdhsa_exception_fp_denorm_src 0
		.amdhsa_exception_fp_ieee_div_zero 0
		.amdhsa_exception_fp_ieee_overflow 0
		.amdhsa_exception_fp_ieee_underflow 0
		.amdhsa_exception_fp_ieee_inexact 0
		.amdhsa_exception_int_div_zero 0
	.end_amdhsa_kernel
	.section	.text._ZN7rocprim17ROCPRIM_400000_NS6detail17trampoline_kernelINS0_14default_configENS1_29reduce_by_key_config_selectorIflN6thrust23THRUST_200600_302600_NS4plusIlEEEEZZNS1_33reduce_by_key_impl_wrapped_configILNS1_25lookback_scan_determinismE0ES3_S9_PfNS6_17constant_iteratorIiNS6_11use_defaultESE_EENS6_10device_ptrIfEENSG_IlEEPmS8_NS6_8equal_toIfEEEE10hipError_tPvRmT2_T3_mT4_T5_T6_T7_T8_P12ihipStream_tbENKUlT_T0_E_clISt17integral_constantIbLb1EES12_IbLb0EEEEDaSY_SZ_EUlSY_E_NS1_11comp_targetILNS1_3genE9ELNS1_11target_archE1100ELNS1_3gpuE3ELNS1_3repE0EEENS1_30default_config_static_selectorELNS0_4arch9wavefront6targetE1EEEvT1_,"axG",@progbits,_ZN7rocprim17ROCPRIM_400000_NS6detail17trampoline_kernelINS0_14default_configENS1_29reduce_by_key_config_selectorIflN6thrust23THRUST_200600_302600_NS4plusIlEEEEZZNS1_33reduce_by_key_impl_wrapped_configILNS1_25lookback_scan_determinismE0ES3_S9_PfNS6_17constant_iteratorIiNS6_11use_defaultESE_EENS6_10device_ptrIfEENSG_IlEEPmS8_NS6_8equal_toIfEEEE10hipError_tPvRmT2_T3_mT4_T5_T6_T7_T8_P12ihipStream_tbENKUlT_T0_E_clISt17integral_constantIbLb1EES12_IbLb0EEEEDaSY_SZ_EUlSY_E_NS1_11comp_targetILNS1_3genE9ELNS1_11target_archE1100ELNS1_3gpuE3ELNS1_3repE0EEENS1_30default_config_static_selectorELNS0_4arch9wavefront6targetE1EEEvT1_,comdat
.Lfunc_end1931:
	.size	_ZN7rocprim17ROCPRIM_400000_NS6detail17trampoline_kernelINS0_14default_configENS1_29reduce_by_key_config_selectorIflN6thrust23THRUST_200600_302600_NS4plusIlEEEEZZNS1_33reduce_by_key_impl_wrapped_configILNS1_25lookback_scan_determinismE0ES3_S9_PfNS6_17constant_iteratorIiNS6_11use_defaultESE_EENS6_10device_ptrIfEENSG_IlEEPmS8_NS6_8equal_toIfEEEE10hipError_tPvRmT2_T3_mT4_T5_T6_T7_T8_P12ihipStream_tbENKUlT_T0_E_clISt17integral_constantIbLb1EES12_IbLb0EEEEDaSY_SZ_EUlSY_E_NS1_11comp_targetILNS1_3genE9ELNS1_11target_archE1100ELNS1_3gpuE3ELNS1_3repE0EEENS1_30default_config_static_selectorELNS0_4arch9wavefront6targetE1EEEvT1_, .Lfunc_end1931-_ZN7rocprim17ROCPRIM_400000_NS6detail17trampoline_kernelINS0_14default_configENS1_29reduce_by_key_config_selectorIflN6thrust23THRUST_200600_302600_NS4plusIlEEEEZZNS1_33reduce_by_key_impl_wrapped_configILNS1_25lookback_scan_determinismE0ES3_S9_PfNS6_17constant_iteratorIiNS6_11use_defaultESE_EENS6_10device_ptrIfEENSG_IlEEPmS8_NS6_8equal_toIfEEEE10hipError_tPvRmT2_T3_mT4_T5_T6_T7_T8_P12ihipStream_tbENKUlT_T0_E_clISt17integral_constantIbLb1EES12_IbLb0EEEEDaSY_SZ_EUlSY_E_NS1_11comp_targetILNS1_3genE9ELNS1_11target_archE1100ELNS1_3gpuE3ELNS1_3repE0EEENS1_30default_config_static_selectorELNS0_4arch9wavefront6targetE1EEEvT1_
                                        ; -- End function
	.section	.AMDGPU.csdata,"",@progbits
; Kernel info:
; codeLenInByte = 0
; NumSgprs: 4
; NumVgprs: 0
; NumAgprs: 0
; TotalNumVgprs: 0
; ScratchSize: 0
; MemoryBound: 0
; FloatMode: 240
; IeeeMode: 1
; LDSByteSize: 0 bytes/workgroup (compile time only)
; SGPRBlocks: 0
; VGPRBlocks: 0
; NumSGPRsForWavesPerEU: 4
; NumVGPRsForWavesPerEU: 1
; AccumOffset: 4
; Occupancy: 8
; WaveLimiterHint : 0
; COMPUTE_PGM_RSRC2:SCRATCH_EN: 0
; COMPUTE_PGM_RSRC2:USER_SGPR: 6
; COMPUTE_PGM_RSRC2:TRAP_HANDLER: 0
; COMPUTE_PGM_RSRC2:TGID_X_EN: 1
; COMPUTE_PGM_RSRC2:TGID_Y_EN: 0
; COMPUTE_PGM_RSRC2:TGID_Z_EN: 0
; COMPUTE_PGM_RSRC2:TIDIG_COMP_CNT: 0
; COMPUTE_PGM_RSRC3_GFX90A:ACCUM_OFFSET: 0
; COMPUTE_PGM_RSRC3_GFX90A:TG_SPLIT: 0
	.section	.text._ZN7rocprim17ROCPRIM_400000_NS6detail17trampoline_kernelINS0_14default_configENS1_29reduce_by_key_config_selectorIflN6thrust23THRUST_200600_302600_NS4plusIlEEEEZZNS1_33reduce_by_key_impl_wrapped_configILNS1_25lookback_scan_determinismE0ES3_S9_PfNS6_17constant_iteratorIiNS6_11use_defaultESE_EENS6_10device_ptrIfEENSG_IlEEPmS8_NS6_8equal_toIfEEEE10hipError_tPvRmT2_T3_mT4_T5_T6_T7_T8_P12ihipStream_tbENKUlT_T0_E_clISt17integral_constantIbLb1EES12_IbLb0EEEEDaSY_SZ_EUlSY_E_NS1_11comp_targetILNS1_3genE8ELNS1_11target_archE1030ELNS1_3gpuE2ELNS1_3repE0EEENS1_30default_config_static_selectorELNS0_4arch9wavefront6targetE1EEEvT1_,"axG",@progbits,_ZN7rocprim17ROCPRIM_400000_NS6detail17trampoline_kernelINS0_14default_configENS1_29reduce_by_key_config_selectorIflN6thrust23THRUST_200600_302600_NS4plusIlEEEEZZNS1_33reduce_by_key_impl_wrapped_configILNS1_25lookback_scan_determinismE0ES3_S9_PfNS6_17constant_iteratorIiNS6_11use_defaultESE_EENS6_10device_ptrIfEENSG_IlEEPmS8_NS6_8equal_toIfEEEE10hipError_tPvRmT2_T3_mT4_T5_T6_T7_T8_P12ihipStream_tbENKUlT_T0_E_clISt17integral_constantIbLb1EES12_IbLb0EEEEDaSY_SZ_EUlSY_E_NS1_11comp_targetILNS1_3genE8ELNS1_11target_archE1030ELNS1_3gpuE2ELNS1_3repE0EEENS1_30default_config_static_selectorELNS0_4arch9wavefront6targetE1EEEvT1_,comdat
	.protected	_ZN7rocprim17ROCPRIM_400000_NS6detail17trampoline_kernelINS0_14default_configENS1_29reduce_by_key_config_selectorIflN6thrust23THRUST_200600_302600_NS4plusIlEEEEZZNS1_33reduce_by_key_impl_wrapped_configILNS1_25lookback_scan_determinismE0ES3_S9_PfNS6_17constant_iteratorIiNS6_11use_defaultESE_EENS6_10device_ptrIfEENSG_IlEEPmS8_NS6_8equal_toIfEEEE10hipError_tPvRmT2_T3_mT4_T5_T6_T7_T8_P12ihipStream_tbENKUlT_T0_E_clISt17integral_constantIbLb1EES12_IbLb0EEEEDaSY_SZ_EUlSY_E_NS1_11comp_targetILNS1_3genE8ELNS1_11target_archE1030ELNS1_3gpuE2ELNS1_3repE0EEENS1_30default_config_static_selectorELNS0_4arch9wavefront6targetE1EEEvT1_ ; -- Begin function _ZN7rocprim17ROCPRIM_400000_NS6detail17trampoline_kernelINS0_14default_configENS1_29reduce_by_key_config_selectorIflN6thrust23THRUST_200600_302600_NS4plusIlEEEEZZNS1_33reduce_by_key_impl_wrapped_configILNS1_25lookback_scan_determinismE0ES3_S9_PfNS6_17constant_iteratorIiNS6_11use_defaultESE_EENS6_10device_ptrIfEENSG_IlEEPmS8_NS6_8equal_toIfEEEE10hipError_tPvRmT2_T3_mT4_T5_T6_T7_T8_P12ihipStream_tbENKUlT_T0_E_clISt17integral_constantIbLb1EES12_IbLb0EEEEDaSY_SZ_EUlSY_E_NS1_11comp_targetILNS1_3genE8ELNS1_11target_archE1030ELNS1_3gpuE2ELNS1_3repE0EEENS1_30default_config_static_selectorELNS0_4arch9wavefront6targetE1EEEvT1_
	.globl	_ZN7rocprim17ROCPRIM_400000_NS6detail17trampoline_kernelINS0_14default_configENS1_29reduce_by_key_config_selectorIflN6thrust23THRUST_200600_302600_NS4plusIlEEEEZZNS1_33reduce_by_key_impl_wrapped_configILNS1_25lookback_scan_determinismE0ES3_S9_PfNS6_17constant_iteratorIiNS6_11use_defaultESE_EENS6_10device_ptrIfEENSG_IlEEPmS8_NS6_8equal_toIfEEEE10hipError_tPvRmT2_T3_mT4_T5_T6_T7_T8_P12ihipStream_tbENKUlT_T0_E_clISt17integral_constantIbLb1EES12_IbLb0EEEEDaSY_SZ_EUlSY_E_NS1_11comp_targetILNS1_3genE8ELNS1_11target_archE1030ELNS1_3gpuE2ELNS1_3repE0EEENS1_30default_config_static_selectorELNS0_4arch9wavefront6targetE1EEEvT1_
	.p2align	8
	.type	_ZN7rocprim17ROCPRIM_400000_NS6detail17trampoline_kernelINS0_14default_configENS1_29reduce_by_key_config_selectorIflN6thrust23THRUST_200600_302600_NS4plusIlEEEEZZNS1_33reduce_by_key_impl_wrapped_configILNS1_25lookback_scan_determinismE0ES3_S9_PfNS6_17constant_iteratorIiNS6_11use_defaultESE_EENS6_10device_ptrIfEENSG_IlEEPmS8_NS6_8equal_toIfEEEE10hipError_tPvRmT2_T3_mT4_T5_T6_T7_T8_P12ihipStream_tbENKUlT_T0_E_clISt17integral_constantIbLb1EES12_IbLb0EEEEDaSY_SZ_EUlSY_E_NS1_11comp_targetILNS1_3genE8ELNS1_11target_archE1030ELNS1_3gpuE2ELNS1_3repE0EEENS1_30default_config_static_selectorELNS0_4arch9wavefront6targetE1EEEvT1_,@function
_ZN7rocprim17ROCPRIM_400000_NS6detail17trampoline_kernelINS0_14default_configENS1_29reduce_by_key_config_selectorIflN6thrust23THRUST_200600_302600_NS4plusIlEEEEZZNS1_33reduce_by_key_impl_wrapped_configILNS1_25lookback_scan_determinismE0ES3_S9_PfNS6_17constant_iteratorIiNS6_11use_defaultESE_EENS6_10device_ptrIfEENSG_IlEEPmS8_NS6_8equal_toIfEEEE10hipError_tPvRmT2_T3_mT4_T5_T6_T7_T8_P12ihipStream_tbENKUlT_T0_E_clISt17integral_constantIbLb1EES12_IbLb0EEEEDaSY_SZ_EUlSY_E_NS1_11comp_targetILNS1_3genE8ELNS1_11target_archE1030ELNS1_3gpuE2ELNS1_3repE0EEENS1_30default_config_static_selectorELNS0_4arch9wavefront6targetE1EEEvT1_: ; @_ZN7rocprim17ROCPRIM_400000_NS6detail17trampoline_kernelINS0_14default_configENS1_29reduce_by_key_config_selectorIflN6thrust23THRUST_200600_302600_NS4plusIlEEEEZZNS1_33reduce_by_key_impl_wrapped_configILNS1_25lookback_scan_determinismE0ES3_S9_PfNS6_17constant_iteratorIiNS6_11use_defaultESE_EENS6_10device_ptrIfEENSG_IlEEPmS8_NS6_8equal_toIfEEEE10hipError_tPvRmT2_T3_mT4_T5_T6_T7_T8_P12ihipStream_tbENKUlT_T0_E_clISt17integral_constantIbLb1EES12_IbLb0EEEEDaSY_SZ_EUlSY_E_NS1_11comp_targetILNS1_3genE8ELNS1_11target_archE1030ELNS1_3gpuE2ELNS1_3repE0EEENS1_30default_config_static_selectorELNS0_4arch9wavefront6targetE1EEEvT1_
; %bb.0:
	.section	.rodata,"a",@progbits
	.p2align	6, 0x0
	.amdhsa_kernel _ZN7rocprim17ROCPRIM_400000_NS6detail17trampoline_kernelINS0_14default_configENS1_29reduce_by_key_config_selectorIflN6thrust23THRUST_200600_302600_NS4plusIlEEEEZZNS1_33reduce_by_key_impl_wrapped_configILNS1_25lookback_scan_determinismE0ES3_S9_PfNS6_17constant_iteratorIiNS6_11use_defaultESE_EENS6_10device_ptrIfEENSG_IlEEPmS8_NS6_8equal_toIfEEEE10hipError_tPvRmT2_T3_mT4_T5_T6_T7_T8_P12ihipStream_tbENKUlT_T0_E_clISt17integral_constantIbLb1EES12_IbLb0EEEEDaSY_SZ_EUlSY_E_NS1_11comp_targetILNS1_3genE8ELNS1_11target_archE1030ELNS1_3gpuE2ELNS1_3repE0EEENS1_30default_config_static_selectorELNS0_4arch9wavefront6targetE1EEEvT1_
		.amdhsa_group_segment_fixed_size 0
		.amdhsa_private_segment_fixed_size 0
		.amdhsa_kernarg_size 144
		.amdhsa_user_sgpr_count 6
		.amdhsa_user_sgpr_private_segment_buffer 1
		.amdhsa_user_sgpr_dispatch_ptr 0
		.amdhsa_user_sgpr_queue_ptr 0
		.amdhsa_user_sgpr_kernarg_segment_ptr 1
		.amdhsa_user_sgpr_dispatch_id 0
		.amdhsa_user_sgpr_flat_scratch_init 0
		.amdhsa_user_sgpr_kernarg_preload_length 0
		.amdhsa_user_sgpr_kernarg_preload_offset 0
		.amdhsa_user_sgpr_private_segment_size 0
		.amdhsa_uses_dynamic_stack 0
		.amdhsa_system_sgpr_private_segment_wavefront_offset 0
		.amdhsa_system_sgpr_workgroup_id_x 1
		.amdhsa_system_sgpr_workgroup_id_y 0
		.amdhsa_system_sgpr_workgroup_id_z 0
		.amdhsa_system_sgpr_workgroup_info 0
		.amdhsa_system_vgpr_workitem_id 0
		.amdhsa_next_free_vgpr 1
		.amdhsa_next_free_sgpr 0
		.amdhsa_accum_offset 4
		.amdhsa_reserve_vcc 0
		.amdhsa_reserve_flat_scratch 0
		.amdhsa_float_round_mode_32 0
		.amdhsa_float_round_mode_16_64 0
		.amdhsa_float_denorm_mode_32 3
		.amdhsa_float_denorm_mode_16_64 3
		.amdhsa_dx10_clamp 1
		.amdhsa_ieee_mode 1
		.amdhsa_fp16_overflow 0
		.amdhsa_tg_split 0
		.amdhsa_exception_fp_ieee_invalid_op 0
		.amdhsa_exception_fp_denorm_src 0
		.amdhsa_exception_fp_ieee_div_zero 0
		.amdhsa_exception_fp_ieee_overflow 0
		.amdhsa_exception_fp_ieee_underflow 0
		.amdhsa_exception_fp_ieee_inexact 0
		.amdhsa_exception_int_div_zero 0
	.end_amdhsa_kernel
	.section	.text._ZN7rocprim17ROCPRIM_400000_NS6detail17trampoline_kernelINS0_14default_configENS1_29reduce_by_key_config_selectorIflN6thrust23THRUST_200600_302600_NS4plusIlEEEEZZNS1_33reduce_by_key_impl_wrapped_configILNS1_25lookback_scan_determinismE0ES3_S9_PfNS6_17constant_iteratorIiNS6_11use_defaultESE_EENS6_10device_ptrIfEENSG_IlEEPmS8_NS6_8equal_toIfEEEE10hipError_tPvRmT2_T3_mT4_T5_T6_T7_T8_P12ihipStream_tbENKUlT_T0_E_clISt17integral_constantIbLb1EES12_IbLb0EEEEDaSY_SZ_EUlSY_E_NS1_11comp_targetILNS1_3genE8ELNS1_11target_archE1030ELNS1_3gpuE2ELNS1_3repE0EEENS1_30default_config_static_selectorELNS0_4arch9wavefront6targetE1EEEvT1_,"axG",@progbits,_ZN7rocprim17ROCPRIM_400000_NS6detail17trampoline_kernelINS0_14default_configENS1_29reduce_by_key_config_selectorIflN6thrust23THRUST_200600_302600_NS4plusIlEEEEZZNS1_33reduce_by_key_impl_wrapped_configILNS1_25lookback_scan_determinismE0ES3_S9_PfNS6_17constant_iteratorIiNS6_11use_defaultESE_EENS6_10device_ptrIfEENSG_IlEEPmS8_NS6_8equal_toIfEEEE10hipError_tPvRmT2_T3_mT4_T5_T6_T7_T8_P12ihipStream_tbENKUlT_T0_E_clISt17integral_constantIbLb1EES12_IbLb0EEEEDaSY_SZ_EUlSY_E_NS1_11comp_targetILNS1_3genE8ELNS1_11target_archE1030ELNS1_3gpuE2ELNS1_3repE0EEENS1_30default_config_static_selectorELNS0_4arch9wavefront6targetE1EEEvT1_,comdat
.Lfunc_end1932:
	.size	_ZN7rocprim17ROCPRIM_400000_NS6detail17trampoline_kernelINS0_14default_configENS1_29reduce_by_key_config_selectorIflN6thrust23THRUST_200600_302600_NS4plusIlEEEEZZNS1_33reduce_by_key_impl_wrapped_configILNS1_25lookback_scan_determinismE0ES3_S9_PfNS6_17constant_iteratorIiNS6_11use_defaultESE_EENS6_10device_ptrIfEENSG_IlEEPmS8_NS6_8equal_toIfEEEE10hipError_tPvRmT2_T3_mT4_T5_T6_T7_T8_P12ihipStream_tbENKUlT_T0_E_clISt17integral_constantIbLb1EES12_IbLb0EEEEDaSY_SZ_EUlSY_E_NS1_11comp_targetILNS1_3genE8ELNS1_11target_archE1030ELNS1_3gpuE2ELNS1_3repE0EEENS1_30default_config_static_selectorELNS0_4arch9wavefront6targetE1EEEvT1_, .Lfunc_end1932-_ZN7rocprim17ROCPRIM_400000_NS6detail17trampoline_kernelINS0_14default_configENS1_29reduce_by_key_config_selectorIflN6thrust23THRUST_200600_302600_NS4plusIlEEEEZZNS1_33reduce_by_key_impl_wrapped_configILNS1_25lookback_scan_determinismE0ES3_S9_PfNS6_17constant_iteratorIiNS6_11use_defaultESE_EENS6_10device_ptrIfEENSG_IlEEPmS8_NS6_8equal_toIfEEEE10hipError_tPvRmT2_T3_mT4_T5_T6_T7_T8_P12ihipStream_tbENKUlT_T0_E_clISt17integral_constantIbLb1EES12_IbLb0EEEEDaSY_SZ_EUlSY_E_NS1_11comp_targetILNS1_3genE8ELNS1_11target_archE1030ELNS1_3gpuE2ELNS1_3repE0EEENS1_30default_config_static_selectorELNS0_4arch9wavefront6targetE1EEEvT1_
                                        ; -- End function
	.section	.AMDGPU.csdata,"",@progbits
; Kernel info:
; codeLenInByte = 0
; NumSgprs: 4
; NumVgprs: 0
; NumAgprs: 0
; TotalNumVgprs: 0
; ScratchSize: 0
; MemoryBound: 0
; FloatMode: 240
; IeeeMode: 1
; LDSByteSize: 0 bytes/workgroup (compile time only)
; SGPRBlocks: 0
; VGPRBlocks: 0
; NumSGPRsForWavesPerEU: 4
; NumVGPRsForWavesPerEU: 1
; AccumOffset: 4
; Occupancy: 8
; WaveLimiterHint : 0
; COMPUTE_PGM_RSRC2:SCRATCH_EN: 0
; COMPUTE_PGM_RSRC2:USER_SGPR: 6
; COMPUTE_PGM_RSRC2:TRAP_HANDLER: 0
; COMPUTE_PGM_RSRC2:TGID_X_EN: 1
; COMPUTE_PGM_RSRC2:TGID_Y_EN: 0
; COMPUTE_PGM_RSRC2:TGID_Z_EN: 0
; COMPUTE_PGM_RSRC2:TIDIG_COMP_CNT: 0
; COMPUTE_PGM_RSRC3_GFX90A:ACCUM_OFFSET: 0
; COMPUTE_PGM_RSRC3_GFX90A:TG_SPLIT: 0
	.section	.text._ZN7rocprim17ROCPRIM_400000_NS6detail17trampoline_kernelINS0_14default_configENS1_29reduce_by_key_config_selectorIflN6thrust23THRUST_200600_302600_NS4plusIlEEEEZZNS1_33reduce_by_key_impl_wrapped_configILNS1_25lookback_scan_determinismE0ES3_S9_PfNS6_17constant_iteratorIiNS6_11use_defaultESE_EENS6_10device_ptrIfEENSG_IlEEPmS8_NS6_8equal_toIfEEEE10hipError_tPvRmT2_T3_mT4_T5_T6_T7_T8_P12ihipStream_tbENKUlT_T0_E_clISt17integral_constantIbLb0EES12_IbLb1EEEEDaSY_SZ_EUlSY_E_NS1_11comp_targetILNS1_3genE0ELNS1_11target_archE4294967295ELNS1_3gpuE0ELNS1_3repE0EEENS1_30default_config_static_selectorELNS0_4arch9wavefront6targetE1EEEvT1_,"axG",@progbits,_ZN7rocprim17ROCPRIM_400000_NS6detail17trampoline_kernelINS0_14default_configENS1_29reduce_by_key_config_selectorIflN6thrust23THRUST_200600_302600_NS4plusIlEEEEZZNS1_33reduce_by_key_impl_wrapped_configILNS1_25lookback_scan_determinismE0ES3_S9_PfNS6_17constant_iteratorIiNS6_11use_defaultESE_EENS6_10device_ptrIfEENSG_IlEEPmS8_NS6_8equal_toIfEEEE10hipError_tPvRmT2_T3_mT4_T5_T6_T7_T8_P12ihipStream_tbENKUlT_T0_E_clISt17integral_constantIbLb0EES12_IbLb1EEEEDaSY_SZ_EUlSY_E_NS1_11comp_targetILNS1_3genE0ELNS1_11target_archE4294967295ELNS1_3gpuE0ELNS1_3repE0EEENS1_30default_config_static_selectorELNS0_4arch9wavefront6targetE1EEEvT1_,comdat
	.protected	_ZN7rocprim17ROCPRIM_400000_NS6detail17trampoline_kernelINS0_14default_configENS1_29reduce_by_key_config_selectorIflN6thrust23THRUST_200600_302600_NS4plusIlEEEEZZNS1_33reduce_by_key_impl_wrapped_configILNS1_25lookback_scan_determinismE0ES3_S9_PfNS6_17constant_iteratorIiNS6_11use_defaultESE_EENS6_10device_ptrIfEENSG_IlEEPmS8_NS6_8equal_toIfEEEE10hipError_tPvRmT2_T3_mT4_T5_T6_T7_T8_P12ihipStream_tbENKUlT_T0_E_clISt17integral_constantIbLb0EES12_IbLb1EEEEDaSY_SZ_EUlSY_E_NS1_11comp_targetILNS1_3genE0ELNS1_11target_archE4294967295ELNS1_3gpuE0ELNS1_3repE0EEENS1_30default_config_static_selectorELNS0_4arch9wavefront6targetE1EEEvT1_ ; -- Begin function _ZN7rocprim17ROCPRIM_400000_NS6detail17trampoline_kernelINS0_14default_configENS1_29reduce_by_key_config_selectorIflN6thrust23THRUST_200600_302600_NS4plusIlEEEEZZNS1_33reduce_by_key_impl_wrapped_configILNS1_25lookback_scan_determinismE0ES3_S9_PfNS6_17constant_iteratorIiNS6_11use_defaultESE_EENS6_10device_ptrIfEENSG_IlEEPmS8_NS6_8equal_toIfEEEE10hipError_tPvRmT2_T3_mT4_T5_T6_T7_T8_P12ihipStream_tbENKUlT_T0_E_clISt17integral_constantIbLb0EES12_IbLb1EEEEDaSY_SZ_EUlSY_E_NS1_11comp_targetILNS1_3genE0ELNS1_11target_archE4294967295ELNS1_3gpuE0ELNS1_3repE0EEENS1_30default_config_static_selectorELNS0_4arch9wavefront6targetE1EEEvT1_
	.globl	_ZN7rocprim17ROCPRIM_400000_NS6detail17trampoline_kernelINS0_14default_configENS1_29reduce_by_key_config_selectorIflN6thrust23THRUST_200600_302600_NS4plusIlEEEEZZNS1_33reduce_by_key_impl_wrapped_configILNS1_25lookback_scan_determinismE0ES3_S9_PfNS6_17constant_iteratorIiNS6_11use_defaultESE_EENS6_10device_ptrIfEENSG_IlEEPmS8_NS6_8equal_toIfEEEE10hipError_tPvRmT2_T3_mT4_T5_T6_T7_T8_P12ihipStream_tbENKUlT_T0_E_clISt17integral_constantIbLb0EES12_IbLb1EEEEDaSY_SZ_EUlSY_E_NS1_11comp_targetILNS1_3genE0ELNS1_11target_archE4294967295ELNS1_3gpuE0ELNS1_3repE0EEENS1_30default_config_static_selectorELNS0_4arch9wavefront6targetE1EEEvT1_
	.p2align	8
	.type	_ZN7rocprim17ROCPRIM_400000_NS6detail17trampoline_kernelINS0_14default_configENS1_29reduce_by_key_config_selectorIflN6thrust23THRUST_200600_302600_NS4plusIlEEEEZZNS1_33reduce_by_key_impl_wrapped_configILNS1_25lookback_scan_determinismE0ES3_S9_PfNS6_17constant_iteratorIiNS6_11use_defaultESE_EENS6_10device_ptrIfEENSG_IlEEPmS8_NS6_8equal_toIfEEEE10hipError_tPvRmT2_T3_mT4_T5_T6_T7_T8_P12ihipStream_tbENKUlT_T0_E_clISt17integral_constantIbLb0EES12_IbLb1EEEEDaSY_SZ_EUlSY_E_NS1_11comp_targetILNS1_3genE0ELNS1_11target_archE4294967295ELNS1_3gpuE0ELNS1_3repE0EEENS1_30default_config_static_selectorELNS0_4arch9wavefront6targetE1EEEvT1_,@function
_ZN7rocprim17ROCPRIM_400000_NS6detail17trampoline_kernelINS0_14default_configENS1_29reduce_by_key_config_selectorIflN6thrust23THRUST_200600_302600_NS4plusIlEEEEZZNS1_33reduce_by_key_impl_wrapped_configILNS1_25lookback_scan_determinismE0ES3_S9_PfNS6_17constant_iteratorIiNS6_11use_defaultESE_EENS6_10device_ptrIfEENSG_IlEEPmS8_NS6_8equal_toIfEEEE10hipError_tPvRmT2_T3_mT4_T5_T6_T7_T8_P12ihipStream_tbENKUlT_T0_E_clISt17integral_constantIbLb0EES12_IbLb1EEEEDaSY_SZ_EUlSY_E_NS1_11comp_targetILNS1_3genE0ELNS1_11target_archE4294967295ELNS1_3gpuE0ELNS1_3repE0EEENS1_30default_config_static_selectorELNS0_4arch9wavefront6targetE1EEEvT1_: ; @_ZN7rocprim17ROCPRIM_400000_NS6detail17trampoline_kernelINS0_14default_configENS1_29reduce_by_key_config_selectorIflN6thrust23THRUST_200600_302600_NS4plusIlEEEEZZNS1_33reduce_by_key_impl_wrapped_configILNS1_25lookback_scan_determinismE0ES3_S9_PfNS6_17constant_iteratorIiNS6_11use_defaultESE_EENS6_10device_ptrIfEENSG_IlEEPmS8_NS6_8equal_toIfEEEE10hipError_tPvRmT2_T3_mT4_T5_T6_T7_T8_P12ihipStream_tbENKUlT_T0_E_clISt17integral_constantIbLb0EES12_IbLb1EEEEDaSY_SZ_EUlSY_E_NS1_11comp_targetILNS1_3genE0ELNS1_11target_archE4294967295ELNS1_3gpuE0ELNS1_3repE0EEENS1_30default_config_static_selectorELNS0_4arch9wavefront6targetE1EEEvT1_
; %bb.0:
	.section	.rodata,"a",@progbits
	.p2align	6, 0x0
	.amdhsa_kernel _ZN7rocprim17ROCPRIM_400000_NS6detail17trampoline_kernelINS0_14default_configENS1_29reduce_by_key_config_selectorIflN6thrust23THRUST_200600_302600_NS4plusIlEEEEZZNS1_33reduce_by_key_impl_wrapped_configILNS1_25lookback_scan_determinismE0ES3_S9_PfNS6_17constant_iteratorIiNS6_11use_defaultESE_EENS6_10device_ptrIfEENSG_IlEEPmS8_NS6_8equal_toIfEEEE10hipError_tPvRmT2_T3_mT4_T5_T6_T7_T8_P12ihipStream_tbENKUlT_T0_E_clISt17integral_constantIbLb0EES12_IbLb1EEEEDaSY_SZ_EUlSY_E_NS1_11comp_targetILNS1_3genE0ELNS1_11target_archE4294967295ELNS1_3gpuE0ELNS1_3repE0EEENS1_30default_config_static_selectorELNS0_4arch9wavefront6targetE1EEEvT1_
		.amdhsa_group_segment_fixed_size 0
		.amdhsa_private_segment_fixed_size 0
		.amdhsa_kernarg_size 144
		.amdhsa_user_sgpr_count 6
		.amdhsa_user_sgpr_private_segment_buffer 1
		.amdhsa_user_sgpr_dispatch_ptr 0
		.amdhsa_user_sgpr_queue_ptr 0
		.amdhsa_user_sgpr_kernarg_segment_ptr 1
		.amdhsa_user_sgpr_dispatch_id 0
		.amdhsa_user_sgpr_flat_scratch_init 0
		.amdhsa_user_sgpr_kernarg_preload_length 0
		.amdhsa_user_sgpr_kernarg_preload_offset 0
		.amdhsa_user_sgpr_private_segment_size 0
		.amdhsa_uses_dynamic_stack 0
		.amdhsa_system_sgpr_private_segment_wavefront_offset 0
		.amdhsa_system_sgpr_workgroup_id_x 1
		.amdhsa_system_sgpr_workgroup_id_y 0
		.amdhsa_system_sgpr_workgroup_id_z 0
		.amdhsa_system_sgpr_workgroup_info 0
		.amdhsa_system_vgpr_workitem_id 0
		.amdhsa_next_free_vgpr 1
		.amdhsa_next_free_sgpr 0
		.amdhsa_accum_offset 4
		.amdhsa_reserve_vcc 0
		.amdhsa_reserve_flat_scratch 0
		.amdhsa_float_round_mode_32 0
		.amdhsa_float_round_mode_16_64 0
		.amdhsa_float_denorm_mode_32 3
		.amdhsa_float_denorm_mode_16_64 3
		.amdhsa_dx10_clamp 1
		.amdhsa_ieee_mode 1
		.amdhsa_fp16_overflow 0
		.amdhsa_tg_split 0
		.amdhsa_exception_fp_ieee_invalid_op 0
		.amdhsa_exception_fp_denorm_src 0
		.amdhsa_exception_fp_ieee_div_zero 0
		.amdhsa_exception_fp_ieee_overflow 0
		.amdhsa_exception_fp_ieee_underflow 0
		.amdhsa_exception_fp_ieee_inexact 0
		.amdhsa_exception_int_div_zero 0
	.end_amdhsa_kernel
	.section	.text._ZN7rocprim17ROCPRIM_400000_NS6detail17trampoline_kernelINS0_14default_configENS1_29reduce_by_key_config_selectorIflN6thrust23THRUST_200600_302600_NS4plusIlEEEEZZNS1_33reduce_by_key_impl_wrapped_configILNS1_25lookback_scan_determinismE0ES3_S9_PfNS6_17constant_iteratorIiNS6_11use_defaultESE_EENS6_10device_ptrIfEENSG_IlEEPmS8_NS6_8equal_toIfEEEE10hipError_tPvRmT2_T3_mT4_T5_T6_T7_T8_P12ihipStream_tbENKUlT_T0_E_clISt17integral_constantIbLb0EES12_IbLb1EEEEDaSY_SZ_EUlSY_E_NS1_11comp_targetILNS1_3genE0ELNS1_11target_archE4294967295ELNS1_3gpuE0ELNS1_3repE0EEENS1_30default_config_static_selectorELNS0_4arch9wavefront6targetE1EEEvT1_,"axG",@progbits,_ZN7rocprim17ROCPRIM_400000_NS6detail17trampoline_kernelINS0_14default_configENS1_29reduce_by_key_config_selectorIflN6thrust23THRUST_200600_302600_NS4plusIlEEEEZZNS1_33reduce_by_key_impl_wrapped_configILNS1_25lookback_scan_determinismE0ES3_S9_PfNS6_17constant_iteratorIiNS6_11use_defaultESE_EENS6_10device_ptrIfEENSG_IlEEPmS8_NS6_8equal_toIfEEEE10hipError_tPvRmT2_T3_mT4_T5_T6_T7_T8_P12ihipStream_tbENKUlT_T0_E_clISt17integral_constantIbLb0EES12_IbLb1EEEEDaSY_SZ_EUlSY_E_NS1_11comp_targetILNS1_3genE0ELNS1_11target_archE4294967295ELNS1_3gpuE0ELNS1_3repE0EEENS1_30default_config_static_selectorELNS0_4arch9wavefront6targetE1EEEvT1_,comdat
.Lfunc_end1933:
	.size	_ZN7rocprim17ROCPRIM_400000_NS6detail17trampoline_kernelINS0_14default_configENS1_29reduce_by_key_config_selectorIflN6thrust23THRUST_200600_302600_NS4plusIlEEEEZZNS1_33reduce_by_key_impl_wrapped_configILNS1_25lookback_scan_determinismE0ES3_S9_PfNS6_17constant_iteratorIiNS6_11use_defaultESE_EENS6_10device_ptrIfEENSG_IlEEPmS8_NS6_8equal_toIfEEEE10hipError_tPvRmT2_T3_mT4_T5_T6_T7_T8_P12ihipStream_tbENKUlT_T0_E_clISt17integral_constantIbLb0EES12_IbLb1EEEEDaSY_SZ_EUlSY_E_NS1_11comp_targetILNS1_3genE0ELNS1_11target_archE4294967295ELNS1_3gpuE0ELNS1_3repE0EEENS1_30default_config_static_selectorELNS0_4arch9wavefront6targetE1EEEvT1_, .Lfunc_end1933-_ZN7rocprim17ROCPRIM_400000_NS6detail17trampoline_kernelINS0_14default_configENS1_29reduce_by_key_config_selectorIflN6thrust23THRUST_200600_302600_NS4plusIlEEEEZZNS1_33reduce_by_key_impl_wrapped_configILNS1_25lookback_scan_determinismE0ES3_S9_PfNS6_17constant_iteratorIiNS6_11use_defaultESE_EENS6_10device_ptrIfEENSG_IlEEPmS8_NS6_8equal_toIfEEEE10hipError_tPvRmT2_T3_mT4_T5_T6_T7_T8_P12ihipStream_tbENKUlT_T0_E_clISt17integral_constantIbLb0EES12_IbLb1EEEEDaSY_SZ_EUlSY_E_NS1_11comp_targetILNS1_3genE0ELNS1_11target_archE4294967295ELNS1_3gpuE0ELNS1_3repE0EEENS1_30default_config_static_selectorELNS0_4arch9wavefront6targetE1EEEvT1_
                                        ; -- End function
	.section	.AMDGPU.csdata,"",@progbits
; Kernel info:
; codeLenInByte = 0
; NumSgprs: 4
; NumVgprs: 0
; NumAgprs: 0
; TotalNumVgprs: 0
; ScratchSize: 0
; MemoryBound: 0
; FloatMode: 240
; IeeeMode: 1
; LDSByteSize: 0 bytes/workgroup (compile time only)
; SGPRBlocks: 0
; VGPRBlocks: 0
; NumSGPRsForWavesPerEU: 4
; NumVGPRsForWavesPerEU: 1
; AccumOffset: 4
; Occupancy: 8
; WaveLimiterHint : 0
; COMPUTE_PGM_RSRC2:SCRATCH_EN: 0
; COMPUTE_PGM_RSRC2:USER_SGPR: 6
; COMPUTE_PGM_RSRC2:TRAP_HANDLER: 0
; COMPUTE_PGM_RSRC2:TGID_X_EN: 1
; COMPUTE_PGM_RSRC2:TGID_Y_EN: 0
; COMPUTE_PGM_RSRC2:TGID_Z_EN: 0
; COMPUTE_PGM_RSRC2:TIDIG_COMP_CNT: 0
; COMPUTE_PGM_RSRC3_GFX90A:ACCUM_OFFSET: 0
; COMPUTE_PGM_RSRC3_GFX90A:TG_SPLIT: 0
	.section	.text._ZN7rocprim17ROCPRIM_400000_NS6detail17trampoline_kernelINS0_14default_configENS1_29reduce_by_key_config_selectorIflN6thrust23THRUST_200600_302600_NS4plusIlEEEEZZNS1_33reduce_by_key_impl_wrapped_configILNS1_25lookback_scan_determinismE0ES3_S9_PfNS6_17constant_iteratorIiNS6_11use_defaultESE_EENS6_10device_ptrIfEENSG_IlEEPmS8_NS6_8equal_toIfEEEE10hipError_tPvRmT2_T3_mT4_T5_T6_T7_T8_P12ihipStream_tbENKUlT_T0_E_clISt17integral_constantIbLb0EES12_IbLb1EEEEDaSY_SZ_EUlSY_E_NS1_11comp_targetILNS1_3genE5ELNS1_11target_archE942ELNS1_3gpuE9ELNS1_3repE0EEENS1_30default_config_static_selectorELNS0_4arch9wavefront6targetE1EEEvT1_,"axG",@progbits,_ZN7rocprim17ROCPRIM_400000_NS6detail17trampoline_kernelINS0_14default_configENS1_29reduce_by_key_config_selectorIflN6thrust23THRUST_200600_302600_NS4plusIlEEEEZZNS1_33reduce_by_key_impl_wrapped_configILNS1_25lookback_scan_determinismE0ES3_S9_PfNS6_17constant_iteratorIiNS6_11use_defaultESE_EENS6_10device_ptrIfEENSG_IlEEPmS8_NS6_8equal_toIfEEEE10hipError_tPvRmT2_T3_mT4_T5_T6_T7_T8_P12ihipStream_tbENKUlT_T0_E_clISt17integral_constantIbLb0EES12_IbLb1EEEEDaSY_SZ_EUlSY_E_NS1_11comp_targetILNS1_3genE5ELNS1_11target_archE942ELNS1_3gpuE9ELNS1_3repE0EEENS1_30default_config_static_selectorELNS0_4arch9wavefront6targetE1EEEvT1_,comdat
	.protected	_ZN7rocprim17ROCPRIM_400000_NS6detail17trampoline_kernelINS0_14default_configENS1_29reduce_by_key_config_selectorIflN6thrust23THRUST_200600_302600_NS4plusIlEEEEZZNS1_33reduce_by_key_impl_wrapped_configILNS1_25lookback_scan_determinismE0ES3_S9_PfNS6_17constant_iteratorIiNS6_11use_defaultESE_EENS6_10device_ptrIfEENSG_IlEEPmS8_NS6_8equal_toIfEEEE10hipError_tPvRmT2_T3_mT4_T5_T6_T7_T8_P12ihipStream_tbENKUlT_T0_E_clISt17integral_constantIbLb0EES12_IbLb1EEEEDaSY_SZ_EUlSY_E_NS1_11comp_targetILNS1_3genE5ELNS1_11target_archE942ELNS1_3gpuE9ELNS1_3repE0EEENS1_30default_config_static_selectorELNS0_4arch9wavefront6targetE1EEEvT1_ ; -- Begin function _ZN7rocprim17ROCPRIM_400000_NS6detail17trampoline_kernelINS0_14default_configENS1_29reduce_by_key_config_selectorIflN6thrust23THRUST_200600_302600_NS4plusIlEEEEZZNS1_33reduce_by_key_impl_wrapped_configILNS1_25lookback_scan_determinismE0ES3_S9_PfNS6_17constant_iteratorIiNS6_11use_defaultESE_EENS6_10device_ptrIfEENSG_IlEEPmS8_NS6_8equal_toIfEEEE10hipError_tPvRmT2_T3_mT4_T5_T6_T7_T8_P12ihipStream_tbENKUlT_T0_E_clISt17integral_constantIbLb0EES12_IbLb1EEEEDaSY_SZ_EUlSY_E_NS1_11comp_targetILNS1_3genE5ELNS1_11target_archE942ELNS1_3gpuE9ELNS1_3repE0EEENS1_30default_config_static_selectorELNS0_4arch9wavefront6targetE1EEEvT1_
	.globl	_ZN7rocprim17ROCPRIM_400000_NS6detail17trampoline_kernelINS0_14default_configENS1_29reduce_by_key_config_selectorIflN6thrust23THRUST_200600_302600_NS4plusIlEEEEZZNS1_33reduce_by_key_impl_wrapped_configILNS1_25lookback_scan_determinismE0ES3_S9_PfNS6_17constant_iteratorIiNS6_11use_defaultESE_EENS6_10device_ptrIfEENSG_IlEEPmS8_NS6_8equal_toIfEEEE10hipError_tPvRmT2_T3_mT4_T5_T6_T7_T8_P12ihipStream_tbENKUlT_T0_E_clISt17integral_constantIbLb0EES12_IbLb1EEEEDaSY_SZ_EUlSY_E_NS1_11comp_targetILNS1_3genE5ELNS1_11target_archE942ELNS1_3gpuE9ELNS1_3repE0EEENS1_30default_config_static_selectorELNS0_4arch9wavefront6targetE1EEEvT1_
	.p2align	8
	.type	_ZN7rocprim17ROCPRIM_400000_NS6detail17trampoline_kernelINS0_14default_configENS1_29reduce_by_key_config_selectorIflN6thrust23THRUST_200600_302600_NS4plusIlEEEEZZNS1_33reduce_by_key_impl_wrapped_configILNS1_25lookback_scan_determinismE0ES3_S9_PfNS6_17constant_iteratorIiNS6_11use_defaultESE_EENS6_10device_ptrIfEENSG_IlEEPmS8_NS6_8equal_toIfEEEE10hipError_tPvRmT2_T3_mT4_T5_T6_T7_T8_P12ihipStream_tbENKUlT_T0_E_clISt17integral_constantIbLb0EES12_IbLb1EEEEDaSY_SZ_EUlSY_E_NS1_11comp_targetILNS1_3genE5ELNS1_11target_archE942ELNS1_3gpuE9ELNS1_3repE0EEENS1_30default_config_static_selectorELNS0_4arch9wavefront6targetE1EEEvT1_,@function
_ZN7rocprim17ROCPRIM_400000_NS6detail17trampoline_kernelINS0_14default_configENS1_29reduce_by_key_config_selectorIflN6thrust23THRUST_200600_302600_NS4plusIlEEEEZZNS1_33reduce_by_key_impl_wrapped_configILNS1_25lookback_scan_determinismE0ES3_S9_PfNS6_17constant_iteratorIiNS6_11use_defaultESE_EENS6_10device_ptrIfEENSG_IlEEPmS8_NS6_8equal_toIfEEEE10hipError_tPvRmT2_T3_mT4_T5_T6_T7_T8_P12ihipStream_tbENKUlT_T0_E_clISt17integral_constantIbLb0EES12_IbLb1EEEEDaSY_SZ_EUlSY_E_NS1_11comp_targetILNS1_3genE5ELNS1_11target_archE942ELNS1_3gpuE9ELNS1_3repE0EEENS1_30default_config_static_selectorELNS0_4arch9wavefront6targetE1EEEvT1_: ; @_ZN7rocprim17ROCPRIM_400000_NS6detail17trampoline_kernelINS0_14default_configENS1_29reduce_by_key_config_selectorIflN6thrust23THRUST_200600_302600_NS4plusIlEEEEZZNS1_33reduce_by_key_impl_wrapped_configILNS1_25lookback_scan_determinismE0ES3_S9_PfNS6_17constant_iteratorIiNS6_11use_defaultESE_EENS6_10device_ptrIfEENSG_IlEEPmS8_NS6_8equal_toIfEEEE10hipError_tPvRmT2_T3_mT4_T5_T6_T7_T8_P12ihipStream_tbENKUlT_T0_E_clISt17integral_constantIbLb0EES12_IbLb1EEEEDaSY_SZ_EUlSY_E_NS1_11comp_targetILNS1_3genE5ELNS1_11target_archE942ELNS1_3gpuE9ELNS1_3repE0EEENS1_30default_config_static_selectorELNS0_4arch9wavefront6targetE1EEEvT1_
; %bb.0:
	.section	.rodata,"a",@progbits
	.p2align	6, 0x0
	.amdhsa_kernel _ZN7rocprim17ROCPRIM_400000_NS6detail17trampoline_kernelINS0_14default_configENS1_29reduce_by_key_config_selectorIflN6thrust23THRUST_200600_302600_NS4plusIlEEEEZZNS1_33reduce_by_key_impl_wrapped_configILNS1_25lookback_scan_determinismE0ES3_S9_PfNS6_17constant_iteratorIiNS6_11use_defaultESE_EENS6_10device_ptrIfEENSG_IlEEPmS8_NS6_8equal_toIfEEEE10hipError_tPvRmT2_T3_mT4_T5_T6_T7_T8_P12ihipStream_tbENKUlT_T0_E_clISt17integral_constantIbLb0EES12_IbLb1EEEEDaSY_SZ_EUlSY_E_NS1_11comp_targetILNS1_3genE5ELNS1_11target_archE942ELNS1_3gpuE9ELNS1_3repE0EEENS1_30default_config_static_selectorELNS0_4arch9wavefront6targetE1EEEvT1_
		.amdhsa_group_segment_fixed_size 0
		.amdhsa_private_segment_fixed_size 0
		.amdhsa_kernarg_size 144
		.amdhsa_user_sgpr_count 6
		.amdhsa_user_sgpr_private_segment_buffer 1
		.amdhsa_user_sgpr_dispatch_ptr 0
		.amdhsa_user_sgpr_queue_ptr 0
		.amdhsa_user_sgpr_kernarg_segment_ptr 1
		.amdhsa_user_sgpr_dispatch_id 0
		.amdhsa_user_sgpr_flat_scratch_init 0
		.amdhsa_user_sgpr_kernarg_preload_length 0
		.amdhsa_user_sgpr_kernarg_preload_offset 0
		.amdhsa_user_sgpr_private_segment_size 0
		.amdhsa_uses_dynamic_stack 0
		.amdhsa_system_sgpr_private_segment_wavefront_offset 0
		.amdhsa_system_sgpr_workgroup_id_x 1
		.amdhsa_system_sgpr_workgroup_id_y 0
		.amdhsa_system_sgpr_workgroup_id_z 0
		.amdhsa_system_sgpr_workgroup_info 0
		.amdhsa_system_vgpr_workitem_id 0
		.amdhsa_next_free_vgpr 1
		.amdhsa_next_free_sgpr 0
		.amdhsa_accum_offset 4
		.amdhsa_reserve_vcc 0
		.amdhsa_reserve_flat_scratch 0
		.amdhsa_float_round_mode_32 0
		.amdhsa_float_round_mode_16_64 0
		.amdhsa_float_denorm_mode_32 3
		.amdhsa_float_denorm_mode_16_64 3
		.amdhsa_dx10_clamp 1
		.amdhsa_ieee_mode 1
		.amdhsa_fp16_overflow 0
		.amdhsa_tg_split 0
		.amdhsa_exception_fp_ieee_invalid_op 0
		.amdhsa_exception_fp_denorm_src 0
		.amdhsa_exception_fp_ieee_div_zero 0
		.amdhsa_exception_fp_ieee_overflow 0
		.amdhsa_exception_fp_ieee_underflow 0
		.amdhsa_exception_fp_ieee_inexact 0
		.amdhsa_exception_int_div_zero 0
	.end_amdhsa_kernel
	.section	.text._ZN7rocprim17ROCPRIM_400000_NS6detail17trampoline_kernelINS0_14default_configENS1_29reduce_by_key_config_selectorIflN6thrust23THRUST_200600_302600_NS4plusIlEEEEZZNS1_33reduce_by_key_impl_wrapped_configILNS1_25lookback_scan_determinismE0ES3_S9_PfNS6_17constant_iteratorIiNS6_11use_defaultESE_EENS6_10device_ptrIfEENSG_IlEEPmS8_NS6_8equal_toIfEEEE10hipError_tPvRmT2_T3_mT4_T5_T6_T7_T8_P12ihipStream_tbENKUlT_T0_E_clISt17integral_constantIbLb0EES12_IbLb1EEEEDaSY_SZ_EUlSY_E_NS1_11comp_targetILNS1_3genE5ELNS1_11target_archE942ELNS1_3gpuE9ELNS1_3repE0EEENS1_30default_config_static_selectorELNS0_4arch9wavefront6targetE1EEEvT1_,"axG",@progbits,_ZN7rocprim17ROCPRIM_400000_NS6detail17trampoline_kernelINS0_14default_configENS1_29reduce_by_key_config_selectorIflN6thrust23THRUST_200600_302600_NS4plusIlEEEEZZNS1_33reduce_by_key_impl_wrapped_configILNS1_25lookback_scan_determinismE0ES3_S9_PfNS6_17constant_iteratorIiNS6_11use_defaultESE_EENS6_10device_ptrIfEENSG_IlEEPmS8_NS6_8equal_toIfEEEE10hipError_tPvRmT2_T3_mT4_T5_T6_T7_T8_P12ihipStream_tbENKUlT_T0_E_clISt17integral_constantIbLb0EES12_IbLb1EEEEDaSY_SZ_EUlSY_E_NS1_11comp_targetILNS1_3genE5ELNS1_11target_archE942ELNS1_3gpuE9ELNS1_3repE0EEENS1_30default_config_static_selectorELNS0_4arch9wavefront6targetE1EEEvT1_,comdat
.Lfunc_end1934:
	.size	_ZN7rocprim17ROCPRIM_400000_NS6detail17trampoline_kernelINS0_14default_configENS1_29reduce_by_key_config_selectorIflN6thrust23THRUST_200600_302600_NS4plusIlEEEEZZNS1_33reduce_by_key_impl_wrapped_configILNS1_25lookback_scan_determinismE0ES3_S9_PfNS6_17constant_iteratorIiNS6_11use_defaultESE_EENS6_10device_ptrIfEENSG_IlEEPmS8_NS6_8equal_toIfEEEE10hipError_tPvRmT2_T3_mT4_T5_T6_T7_T8_P12ihipStream_tbENKUlT_T0_E_clISt17integral_constantIbLb0EES12_IbLb1EEEEDaSY_SZ_EUlSY_E_NS1_11comp_targetILNS1_3genE5ELNS1_11target_archE942ELNS1_3gpuE9ELNS1_3repE0EEENS1_30default_config_static_selectorELNS0_4arch9wavefront6targetE1EEEvT1_, .Lfunc_end1934-_ZN7rocprim17ROCPRIM_400000_NS6detail17trampoline_kernelINS0_14default_configENS1_29reduce_by_key_config_selectorIflN6thrust23THRUST_200600_302600_NS4plusIlEEEEZZNS1_33reduce_by_key_impl_wrapped_configILNS1_25lookback_scan_determinismE0ES3_S9_PfNS6_17constant_iteratorIiNS6_11use_defaultESE_EENS6_10device_ptrIfEENSG_IlEEPmS8_NS6_8equal_toIfEEEE10hipError_tPvRmT2_T3_mT4_T5_T6_T7_T8_P12ihipStream_tbENKUlT_T0_E_clISt17integral_constantIbLb0EES12_IbLb1EEEEDaSY_SZ_EUlSY_E_NS1_11comp_targetILNS1_3genE5ELNS1_11target_archE942ELNS1_3gpuE9ELNS1_3repE0EEENS1_30default_config_static_selectorELNS0_4arch9wavefront6targetE1EEEvT1_
                                        ; -- End function
	.section	.AMDGPU.csdata,"",@progbits
; Kernel info:
; codeLenInByte = 0
; NumSgprs: 4
; NumVgprs: 0
; NumAgprs: 0
; TotalNumVgprs: 0
; ScratchSize: 0
; MemoryBound: 0
; FloatMode: 240
; IeeeMode: 1
; LDSByteSize: 0 bytes/workgroup (compile time only)
; SGPRBlocks: 0
; VGPRBlocks: 0
; NumSGPRsForWavesPerEU: 4
; NumVGPRsForWavesPerEU: 1
; AccumOffset: 4
; Occupancy: 8
; WaveLimiterHint : 0
; COMPUTE_PGM_RSRC2:SCRATCH_EN: 0
; COMPUTE_PGM_RSRC2:USER_SGPR: 6
; COMPUTE_PGM_RSRC2:TRAP_HANDLER: 0
; COMPUTE_PGM_RSRC2:TGID_X_EN: 1
; COMPUTE_PGM_RSRC2:TGID_Y_EN: 0
; COMPUTE_PGM_RSRC2:TGID_Z_EN: 0
; COMPUTE_PGM_RSRC2:TIDIG_COMP_CNT: 0
; COMPUTE_PGM_RSRC3_GFX90A:ACCUM_OFFSET: 0
; COMPUTE_PGM_RSRC3_GFX90A:TG_SPLIT: 0
	.section	.text._ZN7rocprim17ROCPRIM_400000_NS6detail17trampoline_kernelINS0_14default_configENS1_29reduce_by_key_config_selectorIflN6thrust23THRUST_200600_302600_NS4plusIlEEEEZZNS1_33reduce_by_key_impl_wrapped_configILNS1_25lookback_scan_determinismE0ES3_S9_PfNS6_17constant_iteratorIiNS6_11use_defaultESE_EENS6_10device_ptrIfEENSG_IlEEPmS8_NS6_8equal_toIfEEEE10hipError_tPvRmT2_T3_mT4_T5_T6_T7_T8_P12ihipStream_tbENKUlT_T0_E_clISt17integral_constantIbLb0EES12_IbLb1EEEEDaSY_SZ_EUlSY_E_NS1_11comp_targetILNS1_3genE4ELNS1_11target_archE910ELNS1_3gpuE8ELNS1_3repE0EEENS1_30default_config_static_selectorELNS0_4arch9wavefront6targetE1EEEvT1_,"axG",@progbits,_ZN7rocprim17ROCPRIM_400000_NS6detail17trampoline_kernelINS0_14default_configENS1_29reduce_by_key_config_selectorIflN6thrust23THRUST_200600_302600_NS4plusIlEEEEZZNS1_33reduce_by_key_impl_wrapped_configILNS1_25lookback_scan_determinismE0ES3_S9_PfNS6_17constant_iteratorIiNS6_11use_defaultESE_EENS6_10device_ptrIfEENSG_IlEEPmS8_NS6_8equal_toIfEEEE10hipError_tPvRmT2_T3_mT4_T5_T6_T7_T8_P12ihipStream_tbENKUlT_T0_E_clISt17integral_constantIbLb0EES12_IbLb1EEEEDaSY_SZ_EUlSY_E_NS1_11comp_targetILNS1_3genE4ELNS1_11target_archE910ELNS1_3gpuE8ELNS1_3repE0EEENS1_30default_config_static_selectorELNS0_4arch9wavefront6targetE1EEEvT1_,comdat
	.protected	_ZN7rocprim17ROCPRIM_400000_NS6detail17trampoline_kernelINS0_14default_configENS1_29reduce_by_key_config_selectorIflN6thrust23THRUST_200600_302600_NS4plusIlEEEEZZNS1_33reduce_by_key_impl_wrapped_configILNS1_25lookback_scan_determinismE0ES3_S9_PfNS6_17constant_iteratorIiNS6_11use_defaultESE_EENS6_10device_ptrIfEENSG_IlEEPmS8_NS6_8equal_toIfEEEE10hipError_tPvRmT2_T3_mT4_T5_T6_T7_T8_P12ihipStream_tbENKUlT_T0_E_clISt17integral_constantIbLb0EES12_IbLb1EEEEDaSY_SZ_EUlSY_E_NS1_11comp_targetILNS1_3genE4ELNS1_11target_archE910ELNS1_3gpuE8ELNS1_3repE0EEENS1_30default_config_static_selectorELNS0_4arch9wavefront6targetE1EEEvT1_ ; -- Begin function _ZN7rocprim17ROCPRIM_400000_NS6detail17trampoline_kernelINS0_14default_configENS1_29reduce_by_key_config_selectorIflN6thrust23THRUST_200600_302600_NS4plusIlEEEEZZNS1_33reduce_by_key_impl_wrapped_configILNS1_25lookback_scan_determinismE0ES3_S9_PfNS6_17constant_iteratorIiNS6_11use_defaultESE_EENS6_10device_ptrIfEENSG_IlEEPmS8_NS6_8equal_toIfEEEE10hipError_tPvRmT2_T3_mT4_T5_T6_T7_T8_P12ihipStream_tbENKUlT_T0_E_clISt17integral_constantIbLb0EES12_IbLb1EEEEDaSY_SZ_EUlSY_E_NS1_11comp_targetILNS1_3genE4ELNS1_11target_archE910ELNS1_3gpuE8ELNS1_3repE0EEENS1_30default_config_static_selectorELNS0_4arch9wavefront6targetE1EEEvT1_
	.globl	_ZN7rocprim17ROCPRIM_400000_NS6detail17trampoline_kernelINS0_14default_configENS1_29reduce_by_key_config_selectorIflN6thrust23THRUST_200600_302600_NS4plusIlEEEEZZNS1_33reduce_by_key_impl_wrapped_configILNS1_25lookback_scan_determinismE0ES3_S9_PfNS6_17constant_iteratorIiNS6_11use_defaultESE_EENS6_10device_ptrIfEENSG_IlEEPmS8_NS6_8equal_toIfEEEE10hipError_tPvRmT2_T3_mT4_T5_T6_T7_T8_P12ihipStream_tbENKUlT_T0_E_clISt17integral_constantIbLb0EES12_IbLb1EEEEDaSY_SZ_EUlSY_E_NS1_11comp_targetILNS1_3genE4ELNS1_11target_archE910ELNS1_3gpuE8ELNS1_3repE0EEENS1_30default_config_static_selectorELNS0_4arch9wavefront6targetE1EEEvT1_
	.p2align	8
	.type	_ZN7rocprim17ROCPRIM_400000_NS6detail17trampoline_kernelINS0_14default_configENS1_29reduce_by_key_config_selectorIflN6thrust23THRUST_200600_302600_NS4plusIlEEEEZZNS1_33reduce_by_key_impl_wrapped_configILNS1_25lookback_scan_determinismE0ES3_S9_PfNS6_17constant_iteratorIiNS6_11use_defaultESE_EENS6_10device_ptrIfEENSG_IlEEPmS8_NS6_8equal_toIfEEEE10hipError_tPvRmT2_T3_mT4_T5_T6_T7_T8_P12ihipStream_tbENKUlT_T0_E_clISt17integral_constantIbLb0EES12_IbLb1EEEEDaSY_SZ_EUlSY_E_NS1_11comp_targetILNS1_3genE4ELNS1_11target_archE910ELNS1_3gpuE8ELNS1_3repE0EEENS1_30default_config_static_selectorELNS0_4arch9wavefront6targetE1EEEvT1_,@function
_ZN7rocprim17ROCPRIM_400000_NS6detail17trampoline_kernelINS0_14default_configENS1_29reduce_by_key_config_selectorIflN6thrust23THRUST_200600_302600_NS4plusIlEEEEZZNS1_33reduce_by_key_impl_wrapped_configILNS1_25lookback_scan_determinismE0ES3_S9_PfNS6_17constant_iteratorIiNS6_11use_defaultESE_EENS6_10device_ptrIfEENSG_IlEEPmS8_NS6_8equal_toIfEEEE10hipError_tPvRmT2_T3_mT4_T5_T6_T7_T8_P12ihipStream_tbENKUlT_T0_E_clISt17integral_constantIbLb0EES12_IbLb1EEEEDaSY_SZ_EUlSY_E_NS1_11comp_targetILNS1_3genE4ELNS1_11target_archE910ELNS1_3gpuE8ELNS1_3repE0EEENS1_30default_config_static_selectorELNS0_4arch9wavefront6targetE1EEEvT1_: ; @_ZN7rocprim17ROCPRIM_400000_NS6detail17trampoline_kernelINS0_14default_configENS1_29reduce_by_key_config_selectorIflN6thrust23THRUST_200600_302600_NS4plusIlEEEEZZNS1_33reduce_by_key_impl_wrapped_configILNS1_25lookback_scan_determinismE0ES3_S9_PfNS6_17constant_iteratorIiNS6_11use_defaultESE_EENS6_10device_ptrIfEENSG_IlEEPmS8_NS6_8equal_toIfEEEE10hipError_tPvRmT2_T3_mT4_T5_T6_T7_T8_P12ihipStream_tbENKUlT_T0_E_clISt17integral_constantIbLb0EES12_IbLb1EEEEDaSY_SZ_EUlSY_E_NS1_11comp_targetILNS1_3genE4ELNS1_11target_archE910ELNS1_3gpuE8ELNS1_3repE0EEENS1_30default_config_static_selectorELNS0_4arch9wavefront6targetE1EEEvT1_
; %bb.0:
	s_load_dwordx4 s[52:55], s[4:5], 0x20
	s_load_dwordx2 s[56:57], s[4:5], 0x30
	s_load_dwordx2 s[34:35], s[4:5], 0x80
	v_cmp_ne_u32_e64 s[2:3], 0, v0
	v_cmp_eq_u32_e64 s[0:1], 0, v0
	s_and_saveexec_b64 s[6:7], s[0:1]
	s_cbranch_execz .LBB1935_4
; %bb.1:
	s_mov_b64 s[10:11], exec
	v_mbcnt_lo_u32_b32 v1, s10, 0
	v_mbcnt_hi_u32_b32 v1, s11, v1
	v_cmp_eq_u32_e32 vcc, 0, v1
                                        ; implicit-def: $vgpr2
	s_and_saveexec_b64 s[8:9], vcc
	s_cbranch_execz .LBB1935_3
; %bb.2:
	s_load_dwordx2 s[12:13], s[4:5], 0x88
	s_bcnt1_i32_b64 s10, s[10:11]
	v_mov_b32_e32 v2, 0
	v_mov_b32_e32 v3, s10
	s_waitcnt lgkmcnt(0)
	global_atomic_add v2, v2, v3, s[12:13] glc
.LBB1935_3:
	s_or_b64 exec, exec, s[8:9]
	s_waitcnt vmcnt(0)
	v_readfirstlane_b32 s8, v2
	v_add_u32_e32 v1, s8, v1
	v_mov_b32_e32 v2, 0
	ds_write_b32 v2, v1
.LBB1935_4:
	s_or_b64 exec, exec, s[6:7]
	s_load_dwordx4 s[8:11], s[4:5], 0x0
	s_load_dword s12, s[4:5], 0x18
	s_load_dwordx16 s[36:51], s[4:5], 0x40
	v_mov_b32_e32 v3, 0
	s_waitcnt lgkmcnt(0)
	s_barrier
	ds_read_b32 v1, v3
	s_mul_i32 s4, s44, s43
	s_mul_hi_u32 s5, s44, s42
	s_add_i32 s4, s5, s4
	s_mul_i32 s5, s45, s42
	s_add_i32 s6, s4, s5
	s_lshl_b64 s[4:5], s[10:11], 2
	s_add_u32 s4, s8, s4
	s_movk_i32 s8, 0xf00
	s_waitcnt lgkmcnt(0)
	v_mul_lo_u32 v2, v1, s8
	s_mul_i32 s7, s44, s42
	s_addc_u32 s5, s9, s5
	v_readfirstlane_b32 s60, v1
	v_lshlrev_b64 v[2:3], 2, v[2:3]
	v_add_co_u32_e32 v74, vcc, s4, v2
	s_add_u32 s4, s7, s60
	v_mov_b32_e32 v1, s5
	s_addc_u32 s5, s6, 0
	s_add_u32 s10, s46, -1
	s_addc_u32 s11, s47, -1
	s_cmp_eq_u64 s[4:5], s[10:11]
	v_addc_co_u32_e32 v75, vcc, v1, v3, vcc
	s_cselect_b64 s[44:45], -1, 0
	s_cmp_lg_u64 s[4:5], s[10:11]
	s_mov_b64 s[8:9], -1
	s_cselect_b64 s[6:7], -1, 0
	s_mul_i32 s33, s10, 0xfffff100
	s_and_b64 vcc, exec, s[44:45]
	v_mad_u32_u24 v48, v0, 15, 1
	v_mad_u32_u24 v50, v0, 15, 2
	;; [unrolled: 1-line block ×14, first 2 shown]
	s_barrier
	s_cbranch_vccnz .LBB1935_6
; %bb.5:
	v_lshlrev_b32_e32 v1, 2, v0
	v_add_co_u32_e32 v4, vcc, v74, v1
	v_addc_co_u32_e32 v5, vcc, 0, v75, vcc
	v_add_co_u32_e32 v2, vcc, 0x1000, v4
	v_readfirstlane_b32 s8, v74
	v_readfirstlane_b32 s9, v75
	v_addc_co_u32_e32 v3, vcc, 0, v5, vcc
	s_nop 3
	global_load_dword v6, v1, s[8:9]
	global_load_dword v7, v1, s[8:9] offset:1024
	global_load_dword v8, v1, s[8:9] offset:2048
	;; [unrolled: 1-line block ×3, first 2 shown]
	global_load_dword v10, v[2:3], off
	global_load_dword v11, v[2:3], off offset:1024
	global_load_dword v12, v[2:3], off offset:2048
	;; [unrolled: 1-line block ×3, first 2 shown]
	v_add_co_u32_e32 v2, vcc, 0x2000, v4
	v_addc_co_u32_e32 v3, vcc, 0, v5, vcc
	v_add_co_u32_e32 v4, vcc, 0x3000, v4
	v_addc_co_u32_e32 v5, vcc, 0, v5, vcc
	global_load_dword v14, v[2:3], off
	global_load_dword v15, v[2:3], off offset:1024
	global_load_dword v16, v[2:3], off offset:2048
	;; [unrolled: 1-line block ×3, first 2 shown]
	global_load_dword v31, v[4:5], off
	global_load_dword v34, v[4:5], off offset:1024
	global_load_dword v35, v[4:5], off offset:2048
	v_mad_u32_u24 v36, v0, 56, v1
	s_ashr_i32 s13, s12, 31
	s_movk_i32 s8, 0xffcc
	v_mul_u32_u24_e32 v2, 15, v0
	v_mad_u32_u24 v30, v0, 15, 1
	v_mad_u32_u24 v29, v0, 15, 2
	;; [unrolled: 1-line block ×14, first 2 shown]
	v_pk_mov_b32 v[32:33], s[12:13], s[12:13] op_sel:[0,1]
	v_mad_i32_i24 v37, v0, s8, v36
	s_waitcnt vmcnt(13)
	ds_write2st64_b32 v1, v6, v7 offset1:4
	s_waitcnt vmcnt(11)
	ds_write2st64_b32 v1, v8, v9 offset0:8 offset1:12
	s_waitcnt vmcnt(9)
	ds_write2st64_b32 v1, v10, v11 offset0:16 offset1:20
	;; [unrolled: 2-line block ×6, first 2 shown]
	s_waitcnt vmcnt(0)
	ds_write_b32 v1, v35 offset:14336
	s_waitcnt lgkmcnt(0)
	s_barrier
	ds_read2_b32 v[16:17], v36 offset1:1
	ds_read2_b32 v[14:15], v36 offset0:2 offset1:3
	ds_read2_b32 v[12:13], v36 offset0:4 offset1:5
	;; [unrolled: 1-line block ×6, first 2 shown]
	ds_read_b32 v1, v36 offset:56
	s_waitcnt lgkmcnt(7)
	v_mov_b32_e32 v82, v16
	s_waitcnt lgkmcnt(6)
	v_mov_b32_e32 v83, v14
	;; [unrolled: 2-line block ×7, first 2 shown]
	s_waitcnt lgkmcnt(0)
	s_barrier
	ds_write2st64_b64 v37, v[32:33], v[32:33] offset1:4
	ds_write2st64_b64 v37, v[32:33], v[32:33] offset0:8 offset1:12
	ds_write2st64_b64 v37, v[32:33], v[32:33] offset0:16 offset1:20
	;; [unrolled: 1-line block ×6, first 2 shown]
	ds_write_b64 v37, v[32:33] offset:28672
	s_waitcnt lgkmcnt(0)
	s_barrier
	s_add_i32 s33, s33, s48
	s_cbranch_execz .LBB1935_7
	s_branch .LBB1935_38
.LBB1935_6:
                                        ; implicit-def: $vgpr1
                                        ; implicit-def: $vgpr4
                                        ; implicit-def: $vgpr6
                                        ; implicit-def: $vgpr8
                                        ; implicit-def: $vgpr10
                                        ; implicit-def: $vgpr12
                                        ; implicit-def: $vgpr14
                                        ; implicit-def: $vgpr16
                                        ; implicit-def: $vgpr3
                                        ; implicit-def: $vgpr18
                                        ; implicit-def: $vgpr19
                                        ; implicit-def: $vgpr20
                                        ; implicit-def: $vgpr21
                                        ; implicit-def: $vgpr22
                                        ; implicit-def: $vgpr23
                                        ; implicit-def: $vgpr24
                                        ; implicit-def: $vgpr25
                                        ; implicit-def: $vgpr26
                                        ; implicit-def: $vgpr27
                                        ; implicit-def: $vgpr28
                                        ; implicit-def: $vgpr29
                                        ; implicit-def: $vgpr30
                                        ; implicit-def: $vgpr2
                                        ; implicit-def: $vgpr76_vgpr77
                                        ; implicit-def: $vgpr78_vgpr79
                                        ; implicit-def: $vgpr82_vgpr83
                                        ; implicit-def: $vgpr80_vgpr81
	s_andn2_b64 vcc, exec, s[8:9]
	s_add_i32 s33, s33, s48
	s_cbranch_vccnz .LBB1935_38
.LBB1935_7:
	v_cmp_gt_u32_e32 vcc, s33, v0
                                        ; implicit-def: $vgpr1
	s_and_saveexec_b64 s[8:9], vcc
	s_cbranch_execz .LBB1935_9
; %bb.8:
	v_lshlrev_b32_e32 v1, 2, v0
	v_readfirstlane_b32 s10, v74
	v_readfirstlane_b32 s11, v75
	s_nop 4
	global_load_dword v1, v1, s[10:11]
.LBB1935_9:
	s_or_b64 exec, exec, s[8:9]
	v_or_b32_e32 v2, 0x100, v0
	v_cmp_gt_u32_e32 vcc, s33, v2
                                        ; implicit-def: $vgpr2
	s_and_saveexec_b64 s[8:9], vcc
	s_cbranch_execz .LBB1935_11
; %bb.10:
	v_lshlrev_b32_e32 v2, 2, v0
	v_readfirstlane_b32 s10, v74
	v_readfirstlane_b32 s11, v75
	s_nop 4
	global_load_dword v2, v2, s[10:11] offset:1024
.LBB1935_11:
	s_or_b64 exec, exec, s[8:9]
	v_or_b32_e32 v3, 0x200, v0
	v_cmp_gt_u32_e32 vcc, s33, v3
                                        ; implicit-def: $vgpr3
	s_and_saveexec_b64 s[8:9], vcc
	s_cbranch_execz .LBB1935_13
; %bb.12:
	v_lshlrev_b32_e32 v3, 2, v0
	v_readfirstlane_b32 s10, v74
	v_readfirstlane_b32 s11, v75
	s_nop 4
	global_load_dword v3, v3, s[10:11] offset:2048
.LBB1935_13:
	s_or_b64 exec, exec, s[8:9]
	v_or_b32_e32 v4, 0x300, v0
	v_cmp_gt_u32_e32 vcc, s33, v4
                                        ; implicit-def: $vgpr4
	s_and_saveexec_b64 s[8:9], vcc
	s_cbranch_execz .LBB1935_15
; %bb.14:
	v_lshlrev_b32_e32 v4, 2, v0
	v_readfirstlane_b32 s10, v74
	v_readfirstlane_b32 s11, v75
	s_nop 4
	global_load_dword v4, v4, s[10:11] offset:3072
.LBB1935_15:
	s_or_b64 exec, exec, s[8:9]
	v_or_b32_e32 v6, 0x400, v0
	v_cmp_gt_u32_e32 vcc, s33, v6
                                        ; implicit-def: $vgpr5
	s_and_saveexec_b64 s[8:9], vcc
	s_cbranch_execz .LBB1935_17
; %bb.16:
	v_lshlrev_b32_e32 v5, 2, v6
	v_readfirstlane_b32 s10, v74
	v_readfirstlane_b32 s11, v75
	s_nop 4
	global_load_dword v5, v5, s[10:11]
.LBB1935_17:
	s_or_b64 exec, exec, s[8:9]
	v_or_b32_e32 v7, 0x500, v0
	v_cmp_gt_u32_e32 vcc, s33, v7
                                        ; implicit-def: $vgpr6
	s_and_saveexec_b64 s[8:9], vcc
	s_cbranch_execz .LBB1935_19
; %bb.18:
	v_lshlrev_b32_e32 v6, 2, v7
	v_readfirstlane_b32 s10, v74
	v_readfirstlane_b32 s11, v75
	s_nop 4
	global_load_dword v6, v6, s[10:11]
.LBB1935_19:
	s_or_b64 exec, exec, s[8:9]
	v_or_b32_e32 v8, 0x600, v0
	v_cmp_gt_u32_e32 vcc, s33, v8
                                        ; implicit-def: $vgpr7
	s_and_saveexec_b64 s[8:9], vcc
	s_cbranch_execz .LBB1935_21
; %bb.20:
	v_lshlrev_b32_e32 v7, 2, v8
	v_readfirstlane_b32 s10, v74
	v_readfirstlane_b32 s11, v75
	s_nop 4
	global_load_dword v7, v7, s[10:11]
.LBB1935_21:
	s_or_b64 exec, exec, s[8:9]
	v_or_b32_e32 v9, 0x700, v0
	v_cmp_gt_u32_e32 vcc, s33, v9
                                        ; implicit-def: $vgpr8
	s_and_saveexec_b64 s[8:9], vcc
	s_cbranch_execz .LBB1935_23
; %bb.22:
	v_lshlrev_b32_e32 v8, 2, v9
	v_readfirstlane_b32 s10, v74
	v_readfirstlane_b32 s11, v75
	s_nop 4
	global_load_dword v8, v8, s[10:11]
.LBB1935_23:
	s_or_b64 exec, exec, s[8:9]
	v_or_b32_e32 v10, 0x800, v0
	v_cmp_gt_u32_e32 vcc, s33, v10
                                        ; implicit-def: $vgpr9
	s_and_saveexec_b64 s[8:9], vcc
	s_cbranch_execz .LBB1935_25
; %bb.24:
	v_lshlrev_b32_e32 v9, 2, v10
	v_readfirstlane_b32 s10, v74
	v_readfirstlane_b32 s11, v75
	s_nop 4
	global_load_dword v9, v9, s[10:11]
.LBB1935_25:
	s_or_b64 exec, exec, s[8:9]
	v_or_b32_e32 v11, 0x900, v0
	v_cmp_gt_u32_e32 vcc, s33, v11
                                        ; implicit-def: $vgpr10
	s_and_saveexec_b64 s[8:9], vcc
	s_cbranch_execz .LBB1935_27
; %bb.26:
	v_lshlrev_b32_e32 v10, 2, v11
	v_readfirstlane_b32 s10, v74
	v_readfirstlane_b32 s11, v75
	s_nop 4
	global_load_dword v10, v10, s[10:11]
.LBB1935_27:
	s_or_b64 exec, exec, s[8:9]
	v_or_b32_e32 v12, 0xa00, v0
	v_cmp_gt_u32_e32 vcc, s33, v12
                                        ; implicit-def: $vgpr11
	s_and_saveexec_b64 s[8:9], vcc
	s_cbranch_execz .LBB1935_29
; %bb.28:
	v_lshlrev_b32_e32 v11, 2, v12
	v_readfirstlane_b32 s10, v74
	v_readfirstlane_b32 s11, v75
	s_nop 4
	global_load_dword v11, v11, s[10:11]
.LBB1935_29:
	s_or_b64 exec, exec, s[8:9]
	v_or_b32_e32 v13, 0xb00, v0
	v_cmp_gt_u32_e32 vcc, s33, v13
                                        ; implicit-def: $vgpr12
	s_and_saveexec_b64 s[8:9], vcc
	s_cbranch_execz .LBB1935_31
; %bb.30:
	v_lshlrev_b32_e32 v12, 2, v13
	v_readfirstlane_b32 s10, v74
	v_readfirstlane_b32 s11, v75
	s_nop 4
	global_load_dword v12, v12, s[10:11]
.LBB1935_31:
	s_or_b64 exec, exec, s[8:9]
	v_or_b32_e32 v14, 0xc00, v0
	v_cmp_gt_u32_e32 vcc, s33, v14
                                        ; implicit-def: $vgpr13
	s_and_saveexec_b64 s[8:9], vcc
	s_cbranch_execz .LBB1935_33
; %bb.32:
	v_lshlrev_b32_e32 v13, 2, v14
	v_readfirstlane_b32 s10, v74
	v_readfirstlane_b32 s11, v75
	s_nop 4
	global_load_dword v13, v13, s[10:11]
.LBB1935_33:
	s_or_b64 exec, exec, s[8:9]
	v_or_b32_e32 v15, 0xd00, v0
	v_cmp_gt_u32_e32 vcc, s33, v15
                                        ; implicit-def: $vgpr14
	s_and_saveexec_b64 s[8:9], vcc
	s_cbranch_execz .LBB1935_35
; %bb.34:
	v_lshlrev_b32_e32 v14, 2, v15
	v_readfirstlane_b32 s10, v74
	v_readfirstlane_b32 s11, v75
	s_nop 4
	global_load_dword v14, v14, s[10:11]
.LBB1935_35:
	s_or_b64 exec, exec, s[8:9]
	v_or_b32_e32 v16, 0xe00, v0
	v_cmp_gt_u32_e32 vcc, s33, v16
                                        ; implicit-def: $vgpr15
	s_and_saveexec_b64 s[8:9], vcc
	s_cbranch_execz .LBB1935_37
; %bb.36:
	v_lshlrev_b32_e32 v15, 2, v16
	v_readfirstlane_b32 s10, v74
	v_readfirstlane_b32 s11, v75
	s_nop 4
	global_load_dword v15, v15, s[10:11]
.LBB1935_37:
	s_or_b64 exec, exec, s[8:9]
	v_lshlrev_b32_e32 v16, 2, v0
	s_waitcnt vmcnt(0)
	ds_write2st64_b32 v16, v1, v2 offset1:4
	ds_write2st64_b32 v16, v3, v4 offset0:8 offset1:12
	ds_write2st64_b32 v16, v5, v6 offset0:16 offset1:20
	;; [unrolled: 1-line block ×6, first 2 shown]
	ds_write_b32 v16, v15 offset:14336
	v_mad_u32_u24 v3, v0, 56, v16
	s_waitcnt lgkmcnt(0)
	s_barrier
	ds_read2_b32 v[16:17], v3 offset1:1
	ds_read2_b32 v[14:15], v3 offset0:2 offset1:3
	ds_read2_b32 v[12:13], v3 offset0:4 offset1:5
	;; [unrolled: 1-line block ×6, first 2 shown]
	ds_read_b32 v1, v3 offset:56
	s_ashr_i32 s13, s12, 31
	s_movk_i32 s8, 0xffcc
	v_mad_i32_i24 v3, v0, s8, v3
	v_pk_mov_b32 v[18:19], s[12:13], s[12:13] op_sel:[0,1]
	v_mul_u32_u24_e32 v2, 15, v0
	s_waitcnt lgkmcnt(0)
	s_barrier
	ds_write2st64_b64 v3, v[18:19], v[18:19] offset1:4
	ds_write2st64_b64 v3, v[18:19], v[18:19] offset0:8 offset1:12
	ds_write2st64_b64 v3, v[18:19], v[18:19] offset0:16 offset1:20
	;; [unrolled: 1-line block ×6, first 2 shown]
	ds_write_b64 v3, v[18:19] offset:28672
	v_mov_b32_e32 v82, v16
	v_mov_b32_e32 v83, v14
	;; [unrolled: 1-line block ×21, first 2 shown]
	s_waitcnt lgkmcnt(0)
	s_barrier
.LBB1935_38:
	v_lshlrev_b32_e32 v2, 3, v2
	v_lshlrev_b32_e32 v30, 3, v30
	v_lshlrev_b32_e32 v29, 3, v29
	v_lshlrev_b32_e32 v28, 3, v28
	ds_read_b64 v[42:43], v2
	ds_read_b64 v[40:41], v30
	ds_read_b64 v[38:39], v29
	ds_read_b64 v[34:35], v28
	v_lshlrev_b32_e32 v2, 3, v27
	v_lshlrev_b32_e32 v26, 3, v26
	v_lshlrev_b32_e32 v25, 3, v25
	v_lshlrev_b32_e32 v24, 3, v24
	ds_read_b64 v[36:37], v2
	ds_read_b64 v[32:33], v26
	ds_read_b64 v[30:31], v25
	ds_read_b64 v[26:27], v24
	;; [unrolled: 8-line block ×3, first 2 shown]
	v_lshlrev_b32_e32 v2, 3, v19
	v_lshlrev_b32_e32 v44, 3, v18
	;; [unrolled: 1-line block ×3, first 2 shown]
	ds_read_b64 v[18:19], v2
	ds_read_b64 v[2:3], v44
	;; [unrolled: 1-line block ×3, first 2 shown]
	s_cmp_eq_u64 s[4:5], 0
	s_cselect_b64 s[46:47], -1, 0
	s_cmp_lg_u64 s[4:5], 0
	s_mov_b64 s[58:59], 0
	s_cselect_b64 s[8:9], -1, 0
	s_and_b64 vcc, exec, s[6:7]
	s_waitcnt lgkmcnt(0)
	s_barrier
	s_cbranch_vccz .LBB1935_44
; %bb.39:
	s_and_b64 vcc, exec, s[8:9]
	s_cbranch_vccz .LBB1935_45
; %bb.40:
	global_load_dword v47, v[74:75], off offset:-4
	v_lshlrev_b32_e32 v49, 2, v0
	ds_write_b32 v49, v1
	s_waitcnt lgkmcnt(0)
	s_barrier
	s_and_saveexec_b64 s[6:7], s[2:3]
	s_cbranch_execz .LBB1935_42
; %bb.41:
	s_waitcnt vmcnt(0)
	v_add_u32_e32 v47, -4, v49
	ds_read_b32 v47, v47
.LBB1935_42:
	s_or_b64 exec, exec, s[6:7]
	v_cmp_neq_f32_e32 vcc, v82, v17
	v_cndmask_b32_e64 v97, 0, 1, vcc
	v_cmp_neq_f32_e32 vcc, v83, v17
	v_cndmask_b32_e64 v96, 0, 1, vcc
	v_cmp_neq_f32_e32 vcc, v83, v15
	v_cndmask_b32_e64 v95, 0, 1, vcc
	v_cmp_neq_f32_e32 vcc, v78, v15
	v_cndmask_b32_e64 v94, 0, 1, vcc
	v_cmp_neq_f32_e32 vcc, v78, v13
	v_cndmask_b32_e64 v93, 0, 1, vcc
	v_cmp_neq_f32_e32 vcc, v79, v13
	v_cndmask_b32_e64 v92, 0, 1, vcc
	v_cmp_neq_f32_e32 vcc, v79, v11
	v_cndmask_b32_e64 v91, 0, 1, vcc
	v_cmp_neq_f32_e32 vcc, v76, v11
	v_cndmask_b32_e64 v90, 0, 1, vcc
	v_cmp_neq_f32_e32 vcc, v76, v9
	v_cndmask_b32_e64 v89, 0, 1, vcc
	v_cmp_neq_f32_e32 vcc, v77, v9
	v_cndmask_b32_e64 v88, 0, 1, vcc
	v_cmp_neq_f32_e32 vcc, v77, v7
	v_cndmask_b32_e64 v87, 0, 1, vcc
	v_cmp_neq_f32_e32 vcc, v80, v7
	v_cndmask_b32_e64 v86, 0, 1, vcc
	v_cmp_neq_f32_e32 vcc, v80, v5
	v_cndmask_b32_e64 v85, 0, 1, vcc
	v_cmp_neq_f32_e32 vcc, v1, v5
	v_cndmask_b32_e64 v84, 0, 1, vcc
	s_waitcnt vmcnt(0) lgkmcnt(0)
	v_cmp_neq_f32_e64 s[6:7], v47, v16
	s_mov_b64 s[58:59], -1
.LBB1935_43:
                                        ; implicit-def: $sgpr12
	s_branch .LBB1935_57
.LBB1935_44:
                                        ; implicit-def: $sgpr6_sgpr7
                                        ; implicit-def: $vgpr84
                                        ; implicit-def: $vgpr85
                                        ; implicit-def: $vgpr86
                                        ; implicit-def: $vgpr87
                                        ; implicit-def: $vgpr88
                                        ; implicit-def: $vgpr89
                                        ; implicit-def: $vgpr90
                                        ; implicit-def: $vgpr91
                                        ; implicit-def: $vgpr92
                                        ; implicit-def: $vgpr93
                                        ; implicit-def: $vgpr94
                                        ; implicit-def: $vgpr95
                                        ; implicit-def: $vgpr96
                                        ; implicit-def: $vgpr97
                                        ; implicit-def: $sgpr12
	s_cbranch_execnz .LBB1935_49
	s_branch .LBB1935_57
.LBB1935_45:
                                        ; implicit-def: $sgpr6_sgpr7
                                        ; implicit-def: $vgpr84
                                        ; implicit-def: $vgpr85
                                        ; implicit-def: $vgpr86
                                        ; implicit-def: $vgpr87
                                        ; implicit-def: $vgpr88
                                        ; implicit-def: $vgpr89
                                        ; implicit-def: $vgpr90
                                        ; implicit-def: $vgpr91
                                        ; implicit-def: $vgpr92
                                        ; implicit-def: $vgpr93
                                        ; implicit-def: $vgpr94
                                        ; implicit-def: $vgpr95
                                        ; implicit-def: $vgpr96
                                        ; implicit-def: $vgpr97
	s_cbranch_execz .LBB1935_43
; %bb.46:
	v_cmp_neq_f32_e32 vcc, v17, v82
	v_cndmask_b32_e64 v97, 0, 1, vcc
	v_cmp_neq_f32_e32 vcc, v17, v83
	v_cndmask_b32_e64 v96, 0, 1, vcc
	;; [unrolled: 2-line block ×13, first 2 shown]
	v_cmp_neq_f32_e32 vcc, v5, v1
	v_lshlrev_b32_e32 v47, 2, v0
	v_cndmask_b32_e64 v84, 0, 1, vcc
	ds_write_b32 v47, v1
	s_waitcnt lgkmcnt(0)
	s_barrier
	s_waitcnt lgkmcnt(0)
                                        ; implicit-def: $sgpr6_sgpr7
	s_and_saveexec_b64 s[10:11], s[2:3]
	s_xor_b64 s[10:11], exec, s[10:11]
	s_cbranch_execz .LBB1935_48
; %bb.47:
	v_add_u32_e32 v47, -4, v47
	ds_read_b32 v47, v47
	s_or_b64 s[58:59], s[58:59], exec
	s_waitcnt lgkmcnt(0)
	v_cmp_neq_f32_e32 vcc, v47, v16
	s_and_b64 s[6:7], vcc, exec
.LBB1935_48:
	s_or_b64 exec, exec, s[10:11]
	s_mov_b32 s12, 1
	s_branch .LBB1935_57
.LBB1935_49:
	s_mul_hi_u32 s6, s4, 0xfffff100
	s_mulk_i32 s5, 0xf100
	s_sub_i32 s6, s6, s4
	s_add_i32 s6, s6, s5
	s_mulk_i32 s4, 0xf100
	s_add_u32 s48, s4, s48
	s_addc_u32 s49, s6, s49
	s_and_b64 vcc, exec, s[8:9]
	v_cmp_neq_f32_e64 s[30:31], v5, v1
	v_cmp_neq_f32_e64 s[28:29], v4, v5
	;; [unrolled: 1-line block ×14, first 2 shown]
	s_cbranch_vccz .LBB1935_54
; %bb.50:
	global_load_dword v76, v[74:75], off offset:-4
	v_mov_b32_e32 v47, 0
	v_cmp_gt_u64_e32 vcc, s[48:49], v[46:47]
	v_mov_b32_e32 v73, v47
	s_and_b64 s[30:31], vcc, s[30:31]
	v_cmp_gt_u64_e32 vcc, s[48:49], v[72:73]
	v_mov_b32_e32 v71, v47
	s_and_b64 s[28:29], vcc, s[28:29]
	;; [unrolled: 3-line block ×13, first 2 shown]
	v_cmp_gt_u64_e32 vcc, s[48:49], v[48:49]
	v_lshlrev_b32_e32 v75, 2, v0
	v_mul_u32_u24_e32 v74, 15, v0
	s_and_b64 s[4:5], vcc, s[4:5]
	ds_write_b32 v75, v1
	s_waitcnt lgkmcnt(0)
	s_barrier
	s_and_saveexec_b64 s[58:59], s[2:3]
	s_cbranch_execz .LBB1935_52
; %bb.51:
	v_add_u32_e32 v49, -4, v75
	s_waitcnt vmcnt(0)
	ds_read_b32 v76, v49
.LBB1935_52:
	s_or_b64 exec, exec, s[58:59]
	v_mov_b32_e32 v75, v47
	v_cndmask_b32_e64 v97, 0, 1, s[4:5]
	v_cmp_gt_u64_e32 vcc, s[48:49], v[74:75]
	s_waitcnt vmcnt(0) lgkmcnt(0)
	v_cmp_neq_f32_e64 s[4:5], v76, v16
	v_cndmask_b32_e64 v84, 0, 1, s[30:31]
	v_cndmask_b32_e64 v85, 0, 1, s[28:29]
	;; [unrolled: 1-line block ×13, first 2 shown]
	s_and_b64 s[6:7], vcc, s[4:5]
	s_mov_b64 s[58:59], -1
.LBB1935_53:
                                        ; implicit-def: $sgpr12
	v_mov_b32_e32 v82, s12
	s_and_saveexec_b64 s[2:3], s[58:59]
	s_cbranch_execnz .LBB1935_58
	s_branch .LBB1935_59
.LBB1935_54:
                                        ; implicit-def: $sgpr6_sgpr7
                                        ; implicit-def: $vgpr84
                                        ; implicit-def: $vgpr85
                                        ; implicit-def: $vgpr86
                                        ; implicit-def: $vgpr87
                                        ; implicit-def: $vgpr88
                                        ; implicit-def: $vgpr89
                                        ; implicit-def: $vgpr90
                                        ; implicit-def: $vgpr91
                                        ; implicit-def: $vgpr92
                                        ; implicit-def: $vgpr93
                                        ; implicit-def: $vgpr94
                                        ; implicit-def: $vgpr95
                                        ; implicit-def: $vgpr96
                                        ; implicit-def: $vgpr97
	s_cbranch_execz .LBB1935_53
; %bb.55:
	v_mov_b32_e32 v47, 0
	v_cmp_gt_u64_e32 vcc, s[48:49], v[46:47]
	v_cmp_neq_f32_e64 s[4:5], v5, v1
	s_and_b64 s[4:5], vcc, s[4:5]
	v_mov_b32_e32 v73, v47
	v_cndmask_b32_e64 v84, 0, 1, s[4:5]
	v_cmp_gt_u64_e32 vcc, s[48:49], v[72:73]
	v_cmp_neq_f32_e64 s[4:5], v4, v5
	s_and_b64 s[4:5], vcc, s[4:5]
	v_mov_b32_e32 v71, v47
	v_cndmask_b32_e64 v85, 0, 1, s[4:5]
	;; [unrolled: 5-line block ×13, first 2 shown]
	v_cmp_gt_u64_e32 vcc, s[48:49], v[48:49]
	v_cmp_neq_f32_e64 s[4:5], v16, v17
	s_and_b64 s[4:5], vcc, s[4:5]
	v_lshlrev_b32_e32 v74, 2, v0
	s_mov_b32 s12, 1
	v_cndmask_b32_e64 v97, 0, 1, s[4:5]
	ds_write_b32 v74, v1
	s_waitcnt lgkmcnt(0)
	s_barrier
	s_waitcnt lgkmcnt(0)
                                        ; implicit-def: $sgpr6_sgpr7
	s_and_saveexec_b64 s[4:5], s[2:3]
	s_cbranch_execz .LBB1935_206
; %bb.56:
	v_add_u32_e32 v46, -4, v74
	ds_read_b32 v48, v46
	v_mul_u32_u24_e32 v46, 15, v0
	v_cmp_gt_u64_e32 vcc, s[48:49], v[46:47]
	s_or_b64 s[58:59], s[58:59], exec
	s_waitcnt lgkmcnt(0)
	v_cmp_neq_f32_e64 s[2:3], v48, v16
	s_and_b64 s[2:3], vcc, s[2:3]
	s_and_b64 s[6:7], s[2:3], exec
	s_or_b64 exec, exec, s[4:5]
.LBB1935_57:
	v_mov_b32_e32 v82, s12
	s_and_saveexec_b64 s[2:3], s[58:59]
.LBB1935_58:
	v_cndmask_b32_e64 v82, 0, 1, s[6:7]
.LBB1935_59:
	s_or_b64 exec, exec, s[2:3]
	s_cmp_eq_u64 s[42:43], 0
	v_add3_u32 v46, v97, v82, v96
	s_cselect_b64 s[30:31], -1, 0
	s_cmp_lg_u32 s60, 0
	v_cmp_eq_u32_e64 s[26:27], 0, v97
	v_cmp_eq_u32_e64 s[24:25], 0, v96
	;; [unrolled: 1-line block ×3, first 2 shown]
	v_add3_u32 v99, v46, v95, v94
	v_cmp_eq_u32_e64 s[20:21], 0, v94
	v_cmp_eq_u32_e64 s[18:19], 0, v93
	;; [unrolled: 1-line block ×10, first 2 shown]
	v_cmp_eq_u32_e32 vcc, 0, v84
	v_mbcnt_lo_u32_b32 v98, -1, 0
	s_cbranch_scc0 .LBB1935_126
; %bb.60:
	v_cndmask_b32_e64 v47, 0, v42, s[26:27]
	v_cndmask_b32_e64 v46, 0, v43, s[26:27]
	v_add_co_u32_e64 v47, s[28:29], v47, v40
	v_addc_co_u32_e64 v46, s[28:29], v46, v41, s[28:29]
	v_cndmask_b32_e64 v47, 0, v47, s[24:25]
	v_cndmask_b32_e64 v46, 0, v46, s[24:25]
	v_add_co_u32_e64 v47, s[28:29], v47, v38
	v_addc_co_u32_e64 v46, s[28:29], v46, v39, s[28:29]
	;; [unrolled: 4-line block ×11, first 2 shown]
	v_cndmask_b32_e64 v47, 0, v47, s[4:5]
	v_add3_u32 v48, v99, v93, v92
	v_cndmask_b32_e64 v46, 0, v46, s[4:5]
	v_add_co_u32_e64 v47, s[28:29], v47, v18
	v_add3_u32 v48, v48, v91, v90
	v_addc_co_u32_e64 v46, s[28:29], v46, v19, s[28:29]
	v_cndmask_b32_e64 v47, 0, v47, s[2:3]
	v_add3_u32 v48, v48, v89, v88
	v_cndmask_b32_e64 v46, 0, v46, s[2:3]
	v_add_co_u32_e64 v47, s[28:29], v47, v2
	v_add3_u32 v48, v48, v87, v86
	v_addc_co_u32_e64 v46, s[28:29], v46, v3, s[28:29]
	v_cndmask_b32_e32 v47, 0, v47, vcc
	v_add3_u32 v50, v48, v85, v84
	v_cndmask_b32_e32 v46, 0, v46, vcc
	v_add_co_u32_e32 v48, vcc, v47, v44
	v_mbcnt_hi_u32_b32 v51, -1, v98
	v_addc_co_u32_e32 v49, vcc, v46, v45, vcc
	v_and_b32_e32 v46, 15, v51
	v_mov_b32_dpp v52, v50 row_shr:1 row_mask:0xf bank_mask:0xf
	v_mov_b32_dpp v47, v48 row_shr:1 row_mask:0xf bank_mask:0xf
	;; [unrolled: 1-line block ×3, first 2 shown]
	v_cmp_ne_u32_e32 vcc, 0, v46
	s_and_saveexec_b64 s[28:29], vcc
; %bb.61:
	v_cmp_eq_u32_e32 vcc, 0, v50
	v_cndmask_b32_e32 v47, 0, v47, vcc
	v_add_u32_e32 v52, v52, v50
	v_cndmask_b32_e32 v50, 0, v53, vcc
	v_add_co_u32_e32 v48, vcc, v47, v48
	v_addc_co_u32_e32 v49, vcc, v50, v49, vcc
	v_mov_b32_e32 v50, v52
; %bb.62:
	s_or_b64 exec, exec, s[28:29]
	s_nop 0
	v_mov_b32_dpp v52, v50 row_shr:2 row_mask:0xf bank_mask:0xf
	v_mov_b32_dpp v47, v48 row_shr:2 row_mask:0xf bank_mask:0xf
	v_mov_b32_dpp v53, v49 row_shr:2 row_mask:0xf bank_mask:0xf
	v_cmp_lt_u32_e32 vcc, 1, v46
	s_and_saveexec_b64 s[28:29], vcc
; %bb.63:
	v_cmp_eq_u32_e32 vcc, 0, v50
	v_cndmask_b32_e32 v47, 0, v47, vcc
	v_add_u32_e32 v52, v52, v50
	v_cndmask_b32_e32 v50, 0, v53, vcc
	v_add_co_u32_e32 v48, vcc, v47, v48
	v_addc_co_u32_e32 v49, vcc, v50, v49, vcc
	v_mov_b32_e32 v50, v52
; %bb.64:
	s_or_b64 exec, exec, s[28:29]
	s_nop 0
	v_mov_b32_dpp v52, v50 row_shr:4 row_mask:0xf bank_mask:0xf
	v_mov_b32_dpp v47, v48 row_shr:4 row_mask:0xf bank_mask:0xf
	v_mov_b32_dpp v53, v49 row_shr:4 row_mask:0xf bank_mask:0xf
	v_cmp_lt_u32_e32 vcc, 3, v46
	;; [unrolled: 16-line block ×3, first 2 shown]
	s_and_saveexec_b64 s[28:29], vcc
; %bb.67:
	v_cmp_eq_u32_e32 vcc, 0, v50
	v_cndmask_b32_e32 v47, 0, v47, vcc
	v_add_u32_e32 v46, v52, v50
	v_cndmask_b32_e32 v50, 0, v53, vcc
	v_add_co_u32_e32 v48, vcc, v47, v48
	v_addc_co_u32_e32 v49, vcc, v50, v49, vcc
	v_mov_b32_e32 v50, v46
; %bb.68:
	s_or_b64 exec, exec, s[28:29]
	v_and_b32_e32 v53, 16, v51
	v_mov_b32_dpp v47, v50 row_bcast:15 row_mask:0xf bank_mask:0xf
	v_mov_b32_dpp v46, v48 row_bcast:15 row_mask:0xf bank_mask:0xf
	;; [unrolled: 1-line block ×3, first 2 shown]
	v_cmp_ne_u32_e32 vcc, 0, v53
	s_and_saveexec_b64 s[28:29], vcc
; %bb.69:
	v_cmp_eq_u32_e32 vcc, 0, v50
	v_cndmask_b32_e32 v46, 0, v46, vcc
	v_add_u32_e32 v47, v47, v50
	v_cndmask_b32_e32 v50, 0, v52, vcc
	v_add_co_u32_e32 v48, vcc, v46, v48
	v_addc_co_u32_e32 v49, vcc, v50, v49, vcc
	v_mov_b32_e32 v50, v47
; %bb.70:
	s_or_b64 exec, exec, s[28:29]
	s_nop 0
	v_mov_b32_dpp v47, v50 row_bcast:31 row_mask:0xf bank_mask:0xf
	v_mov_b32_dpp v46, v48 row_bcast:31 row_mask:0xf bank_mask:0xf
	;; [unrolled: 1-line block ×3, first 2 shown]
	v_cmp_lt_u32_e32 vcc, 31, v51
	s_and_saveexec_b64 s[28:29], vcc
; %bb.71:
	v_cmp_eq_u32_e32 vcc, 0, v50
	v_cndmask_b32_e32 v46, 0, v46, vcc
	v_add_u32_e32 v47, v47, v50
	v_cndmask_b32_e32 v50, 0, v52, vcc
	v_add_co_u32_e32 v48, vcc, v46, v48
	v_addc_co_u32_e32 v49, vcc, v50, v49, vcc
	v_mov_b32_e32 v50, v47
; %bb.72:
	s_or_b64 exec, exec, s[28:29]
	v_lshrrev_b32_e32 v46, 6, v0
	v_or_b32_e32 v47, 63, v0
	v_cmp_eq_u32_e32 vcc, v47, v0
	v_lshlrev_b32_e32 v52, 4, v46
	s_and_saveexec_b64 s[28:29], vcc
	s_cbranch_execz .LBB1935_74
; %bb.73:
	ds_write_b32 v52, v50 offset:2080
	ds_write_b64 v52, v[48:49] offset:2088
.LBB1935_74:
	s_or_b64 exec, exec, s[28:29]
	v_cmp_gt_u32_e32 vcc, 4, v0
	s_waitcnt lgkmcnt(0)
	s_barrier
	s_and_saveexec_b64 s[28:29], vcc
	s_cbranch_execz .LBB1935_80
; %bb.75:
	v_lshlrev_b32_e32 v53, 4, v0
	ds_read_b32 v54, v53 offset:2080
	ds_read_b64 v[46:47], v53 offset:2088
	v_and_b32_e32 v55, 3, v51
	v_cmp_ne_u32_e32 vcc, 0, v55
	s_waitcnt lgkmcnt(1)
	v_mov_b32_dpp v57, v54 row_shr:1 row_mask:0xf bank_mask:0xf
	s_waitcnt lgkmcnt(0)
	v_mov_b32_dpp v56, v46 row_shr:1 row_mask:0xf bank_mask:0xf
	v_mov_b32_dpp v58, v47 row_shr:1 row_mask:0xf bank_mask:0xf
	s_and_saveexec_b64 s[42:43], vcc
; %bb.76:
	v_cmp_eq_u32_e32 vcc, 0, v54
	v_cndmask_b32_e32 v56, 0, v56, vcc
	v_add_u32_e32 v57, v57, v54
	v_cndmask_b32_e32 v54, 0, v58, vcc
	v_add_co_u32_e32 v46, vcc, v56, v46
	v_addc_co_u32_e32 v47, vcc, v54, v47, vcc
	v_mov_b32_e32 v54, v57
; %bb.77:
	s_or_b64 exec, exec, s[42:43]
	s_nop 0
	v_mov_b32_dpp v57, v54 row_shr:2 row_mask:0xf bank_mask:0xf
	v_mov_b32_dpp v56, v46 row_shr:2 row_mask:0xf bank_mask:0xf
	;; [unrolled: 1-line block ×3, first 2 shown]
	v_cmp_lt_u32_e32 vcc, 1, v55
	s_and_saveexec_b64 s[42:43], vcc
; %bb.78:
	v_cmp_eq_u32_e32 vcc, 0, v54
	v_cndmask_b32_e32 v56, 0, v56, vcc
	v_add_u32_e32 v55, v57, v54
	v_cndmask_b32_e32 v54, 0, v58, vcc
	v_add_co_u32_e32 v46, vcc, v56, v46
	v_addc_co_u32_e32 v47, vcc, v54, v47, vcc
	v_mov_b32_e32 v54, v55
; %bb.79:
	s_or_b64 exec, exec, s[42:43]
	ds_write_b32 v53, v54 offset:2080
	ds_write_b64 v53, v[46:47] offset:2088
.LBB1935_80:
	s_or_b64 exec, exec, s[28:29]
	v_cmp_gt_u32_e32 vcc, 64, v0
	v_cmp_lt_u32_e64 s[28:29], 63, v0
	v_pk_mov_b32 v[46:47], 0, 0
	v_mov_b32_e32 v58, 0
	s_waitcnt lgkmcnt(0)
	s_barrier
	s_and_saveexec_b64 s[42:43], s[28:29]
	s_cbranch_execz .LBB1935_82
; %bb.81:
	ds_read_b32 v58, v52 offset:2064
	ds_read_b64 v[46:47], v52 offset:2072
	v_cmp_eq_u32_e64 s[28:29], 0, v50
	s_waitcnt lgkmcnt(1)
	v_add_u32_e32 v52, v58, v50
	s_waitcnt lgkmcnt(0)
	v_cndmask_b32_e64 v53, 0, v46, s[28:29]
	v_cndmask_b32_e64 v50, 0, v47, s[28:29]
	v_add_co_u32_e64 v48, s[28:29], v53, v48
	v_addc_co_u32_e64 v49, s[28:29], v50, v49, s[28:29]
	v_mov_b32_e32 v50, v52
.LBB1935_82:
	s_or_b64 exec, exec, s[42:43]
	v_add_u32_e32 v52, -1, v51
	v_and_b32_e32 v53, 64, v51
	v_cmp_lt_i32_e64 s[28:29], v52, v53
	v_cndmask_b32_e64 v52, v52, v51, s[28:29]
	v_lshlrev_b32_e32 v52, 2, v52
	ds_bpermute_b32 v59, v52, v50
	ds_bpermute_b32 v60, v52, v48
	;; [unrolled: 1-line block ×3, first 2 shown]
	v_cmp_eq_u32_e64 s[28:29], 0, v51
	s_and_saveexec_b64 s[42:43], vcc
	s_cbranch_execz .LBB1935_125
; %bb.83:
	v_mov_b32_e32 v53, 0
	ds_read_b32 v62, v53 offset:2128
	ds_read_b64 v[48:49], v53 offset:2136
	s_and_saveexec_b64 s[48:49], s[28:29]
	s_cbranch_execz .LBB1935_85
; %bb.84:
	s_add_i32 s58, s60, 64
	s_mov_b32 s59, 0
	s_lshl_b64 s[62:63], s[58:59], 4
	s_add_u32 s62, s36, s62
	s_addc_u32 s63, s37, s63
	v_mov_b32_e32 v50, s58
	v_mov_b32_e32 v52, 1
	s_waitcnt lgkmcnt(1)
	global_store_dword v53, v62, s[62:63]
	s_waitcnt lgkmcnt(0)
	global_store_dwordx2 v53, v[48:49], s[62:63] offset:8
	s_waitcnt vmcnt(0)
	buffer_wbinvl1_vol
	global_store_byte v50, v52, s[40:41]
.LBB1935_85:
	s_or_b64 exec, exec, s[48:49]
	v_xad_u32 v50, v51, -1, s60
	v_add_u32_e32 v52, 64, v50
	global_load_ubyte v63, v52, s[40:41] glc
	s_waitcnt vmcnt(0)
	v_cmp_eq_u16_e32 vcc, 0, v63
	s_and_saveexec_b64 s[48:49], vcc
	s_cbranch_execz .LBB1935_89
; %bb.86:
	v_mov_b32_e32 v55, s41
	v_add_co_u32_e32 v54, vcc, s40, v52
	v_addc_co_u32_e32 v55, vcc, 0, v55, vcc
	s_mov_b64 s[58:59], 0
.LBB1935_87:                            ; =>This Inner Loop Header: Depth=1
	global_load_ubyte v63, v[54:55], off glc
	s_waitcnt vmcnt(0)
	v_cmp_ne_u16_e32 vcc, 0, v63
	s_or_b64 s[58:59], vcc, s[58:59]
	s_andn2_b64 exec, exec, s[58:59]
	s_cbranch_execnz .LBB1935_87
; %bb.88:
	s_or_b64 exec, exec, s[58:59]
.LBB1935_89:
	s_or_b64 exec, exec, s[48:49]
	v_mov_b32_e32 v54, s39
	v_mov_b32_e32 v55, s37
	v_cmp_eq_u16_e32 vcc, 1, v63
	v_cndmask_b32_e32 v54, v54, v55, vcc
	v_mov_b32_e32 v55, s38
	v_mov_b32_e32 v56, s36
	v_cndmask_b32_e32 v55, v55, v56, vcc
	v_lshlrev_b64 v[52:53], 4, v[52:53]
	v_add_co_u32_e32 v52, vcc, v55, v52
	v_addc_co_u32_e32 v53, vcc, v54, v53, vcc
	s_waitcnt lgkmcnt(0)
	buffer_wbinvl1_vol
	global_load_dword v78, v[52:53], off
	global_load_dwordx2 v[56:57], v[52:53], off offset:8
	v_cmp_eq_u16_e32 vcc, 2, v63
	v_lshlrev_b64 v[52:53], v51, -1
	v_and_b32_e32 v64, 63, v51
	v_and_b32_e32 v54, vcc_hi, v53
	v_and_b32_e32 v68, vcc_lo, v52
	v_cmp_ne_u32_e32 vcc, 63, v64
	v_addc_co_u32_e32 v55, vcc, 0, v51, vcc
	v_lshlrev_b32_e32 v65, 2, v55
	v_or_b32_e32 v54, 0x80000000, v54
	v_ffbl_b32_e32 v54, v54
	v_add_u32_e32 v54, 32, v54
	v_ffbl_b32_e32 v68, v68
	v_min_u32_e32 v54, v68, v54
	v_cmp_lt_u32_e32 vcc, v64, v54
	s_waitcnt vmcnt(1)
	ds_bpermute_b32 v66, v65, v78
	s_waitcnt vmcnt(0)
	ds_bpermute_b32 v55, v65, v56
	ds_bpermute_b32 v67, v65, v57
	s_and_saveexec_b64 s[48:49], vcc
	s_cbranch_execz .LBB1935_91
; %bb.90:
	v_cmp_eq_u32_e32 vcc, 0, v78
	s_waitcnt lgkmcnt(1)
	v_cndmask_b32_e32 v55, 0, v55, vcc
	v_add_u32_e32 v66, v66, v78
	s_waitcnt lgkmcnt(0)
	v_cndmask_b32_e32 v67, 0, v67, vcc
	v_add_co_u32_e32 v56, vcc, v55, v56
	v_addc_co_u32_e32 v57, vcc, v67, v57, vcc
	v_mov_b32_e32 v78, v66
.LBB1935_91:
	s_or_b64 exec, exec, s[48:49]
	v_cmp_gt_u32_e32 vcc, 62, v64
	s_waitcnt lgkmcnt(1)
	v_cndmask_b32_e64 v55, 0, 1, vcc
	v_lshlrev_b32_e32 v55, 1, v55
	v_add_lshl_u32 v66, v55, v51, 2
	ds_bpermute_b32 v68, v66, v78
	ds_bpermute_b32 v55, v66, v56
	ds_bpermute_b32 v69, v66, v57
	s_waitcnt lgkmcnt(3)
	v_add_u32_e32 v67, 2, v64
	v_cmp_le_u32_e32 vcc, v67, v54
	s_and_saveexec_b64 s[48:49], vcc
	s_cbranch_execz .LBB1935_93
; %bb.92:
	v_cmp_eq_u32_e32 vcc, 0, v78
	s_waitcnt lgkmcnt(1)
	v_cndmask_b32_e32 v55, 0, v55, vcc
	v_add_u32_e32 v68, v68, v78
	s_waitcnt lgkmcnt(0)
	v_cndmask_b32_e32 v69, 0, v69, vcc
	v_add_co_u32_e32 v56, vcc, v55, v56
	v_addc_co_u32_e32 v57, vcc, v69, v57, vcc
	v_mov_b32_e32 v78, v68
.LBB1935_93:
	s_or_b64 exec, exec, s[48:49]
	v_cmp_gt_u32_e32 vcc, 60, v64
	s_waitcnt lgkmcnt(1)
	v_cndmask_b32_e64 v55, 0, 1, vcc
	v_lshlrev_b32_e32 v55, 2, v55
	v_add_lshl_u32 v68, v55, v51, 2
	ds_bpermute_b32 v70, v68, v78
	ds_bpermute_b32 v55, v68, v56
	ds_bpermute_b32 v71, v68, v57
	s_waitcnt lgkmcnt(3)
	v_add_u32_e32 v69, 4, v64
	v_cmp_le_u32_e32 vcc, v69, v54
	;; [unrolled: 25-line block ×4, first 2 shown]
	s_and_saveexec_b64 s[48:49], vcc
	s_cbranch_execz .LBB1935_99
; %bb.98:
	v_cmp_eq_u32_e32 vcc, 0, v78
	s_waitcnt lgkmcnt(1)
	v_cndmask_b32_e32 v55, 0, v55, vcc
	v_add_u32_e32 v74, v74, v78
	s_waitcnt lgkmcnt(0)
	v_cndmask_b32_e32 v75, 0, v75, vcc
	v_add_co_u32_e32 v56, vcc, v55, v56
	v_addc_co_u32_e32 v57, vcc, v75, v57, vcc
	v_mov_b32_e32 v78, v74
.LBB1935_99:
	s_or_b64 exec, exec, s[48:49]
	v_cmp_gt_u32_e32 vcc, 32, v64
	s_waitcnt lgkmcnt(1)
	v_cndmask_b32_e64 v55, 0, 1, vcc
	v_lshlrev_b32_e32 v55, 5, v55
	v_add_lshl_u32 v74, v55, v51, 2
	ds_bpermute_b32 v55, v74, v78
	ds_bpermute_b32 v51, v74, v56
	s_waitcnt lgkmcnt(2)
	ds_bpermute_b32 v75, v74, v57
	v_add_u32_e32 v76, 32, v64
	v_cmp_le_u32_e32 vcc, v76, v54
	s_and_saveexec_b64 s[48:49], vcc
	s_cbranch_execz .LBB1935_101
; %bb.100:
	v_cmp_eq_u32_e32 vcc, 0, v78
	s_waitcnt lgkmcnt(1)
	v_cndmask_b32_e32 v51, 0, v51, vcc
	v_add_u32_e32 v54, v55, v78
	s_waitcnt lgkmcnt(0)
	v_cndmask_b32_e32 v55, 0, v75, vcc
	v_add_co_u32_e32 v56, vcc, v51, v56
	v_addc_co_u32_e32 v57, vcc, v55, v57, vcc
	v_mov_b32_e32 v78, v54
.LBB1935_101:
	s_or_b64 exec, exec, s[48:49]
	s_waitcnt lgkmcnt(1)
	v_mov_b32_e32 v51, 0
	v_mov_b32_e32 v77, 2
	s_branch .LBB1935_103
.LBB1935_102:                           ;   in Loop: Header=BB1935_103 Depth=1
	s_or_b64 exec, exec, s[48:49]
	v_cmp_eq_u32_e32 vcc, 0, v75
	v_cndmask_b32_e32 v56, 0, v56, vcc
	v_cndmask_b32_e32 v57, 0, v57, vcc
	v_add_co_u32_e32 v56, vcc, v56, v54
	v_subrev_u32_e32 v50, 64, v50
	v_add_u32_e32 v78, v79, v75
	v_addc_co_u32_e32 v57, vcc, v57, v55, vcc
.LBB1935_103:                           ; =>This Loop Header: Depth=1
                                        ;     Child Loop BB1935_106 Depth 2
	v_cmp_ne_u16_sdwa s[48:49], v63, v77 src0_sel:BYTE_0 src1_sel:DWORD
	v_pk_mov_b32 v[54:55], v[56:57], v[56:57] op_sel:[0,1]
	v_cndmask_b32_e64 v56, 0, 1, s[48:49]
	;;#ASMSTART
	;;#ASMEND
	v_cmp_ne_u32_e32 vcc, 0, v56
	s_cmp_lg_u64 vcc, exec
	s_waitcnt lgkmcnt(0)
	v_mov_b32_e32 v75, v78
	s_cbranch_scc1 .LBB1935_120
; %bb.104:                              ;   in Loop: Header=BB1935_103 Depth=1
	global_load_ubyte v63, v50, s[40:41] glc
	s_waitcnt vmcnt(0)
	v_cmp_eq_u16_e32 vcc, 0, v63
	s_and_saveexec_b64 s[48:49], vcc
	s_cbranch_execz .LBB1935_108
; %bb.105:                              ;   in Loop: Header=BB1935_103 Depth=1
	v_mov_b32_e32 v57, s41
	v_add_co_u32_e32 v56, vcc, s40, v50
	v_addc_co_u32_e32 v57, vcc, 0, v57, vcc
	s_mov_b64 s[58:59], 0
.LBB1935_106:                           ;   Parent Loop BB1935_103 Depth=1
                                        ; =>  This Inner Loop Header: Depth=2
	global_load_ubyte v63, v[56:57], off glc
	s_waitcnt vmcnt(0)
	v_cmp_ne_u16_e32 vcc, 0, v63
	s_or_b64 s[58:59], vcc, s[58:59]
	s_andn2_b64 exec, exec, s[58:59]
	s_cbranch_execnz .LBB1935_106
; %bb.107:                              ;   in Loop: Header=BB1935_103 Depth=1
	s_or_b64 exec, exec, s[58:59]
.LBB1935_108:                           ;   in Loop: Header=BB1935_103 Depth=1
	s_or_b64 exec, exec, s[48:49]
	v_mov_b32_e32 v56, s39
	v_mov_b32_e32 v57, s37
	v_cmp_eq_u16_e32 vcc, 1, v63
	v_cndmask_b32_e32 v78, v56, v57, vcc
	v_mov_b32_e32 v56, s38
	v_mov_b32_e32 v57, s36
	v_cndmask_b32_e32 v79, v56, v57, vcc
	v_lshlrev_b64 v[56:57], 4, v[50:51]
	v_add_co_u32_e32 v56, vcc, v79, v56
	v_addc_co_u32_e32 v57, vcc, v78, v57, vcc
	buffer_wbinvl1_vol
	global_load_dword v79, v[56:57], off
	s_nop 0
	global_load_dwordx2 v[56:57], v[56:57], off offset:8
	v_cmp_eq_u16_e32 vcc, 2, v63
	v_and_b32_e32 v78, vcc_hi, v53
	v_or_b32_e32 v78, 0x80000000, v78
	v_and_b32_e32 v100, vcc_lo, v52
	v_ffbl_b32_e32 v78, v78
	v_add_u32_e32 v78, 32, v78
	v_ffbl_b32_e32 v100, v100
	v_min_u32_e32 v78, v100, v78
	v_cmp_lt_u32_e32 vcc, v64, v78
	s_waitcnt vmcnt(1)
	ds_bpermute_b32 v81, v65, v79
	s_waitcnt vmcnt(0)
	ds_bpermute_b32 v80, v65, v56
	ds_bpermute_b32 v83, v65, v57
	s_and_saveexec_b64 s[48:49], vcc
	s_cbranch_execz .LBB1935_110
; %bb.109:                              ;   in Loop: Header=BB1935_103 Depth=1
	v_cmp_eq_u32_e32 vcc, 0, v79
	s_waitcnt lgkmcnt(1)
	v_cndmask_b32_e32 v80, 0, v80, vcc
	v_add_u32_e32 v81, v81, v79
	s_waitcnt lgkmcnt(0)
	v_cndmask_b32_e32 v79, 0, v83, vcc
	v_add_co_u32_e32 v56, vcc, v80, v56
	v_addc_co_u32_e32 v57, vcc, v79, v57, vcc
	v_mov_b32_e32 v79, v81
.LBB1935_110:                           ;   in Loop: Header=BB1935_103 Depth=1
	s_or_b64 exec, exec, s[48:49]
	s_waitcnt lgkmcnt(2)
	ds_bpermute_b32 v81, v66, v79
	s_waitcnt lgkmcnt(2)
	ds_bpermute_b32 v80, v66, v56
	s_waitcnt lgkmcnt(2)
	ds_bpermute_b32 v83, v66, v57
	v_cmp_le_u32_e32 vcc, v67, v78
	s_and_saveexec_b64 s[48:49], vcc
	s_cbranch_execz .LBB1935_112
; %bb.111:                              ;   in Loop: Header=BB1935_103 Depth=1
	v_cmp_eq_u32_e32 vcc, 0, v79
	s_waitcnt lgkmcnt(1)
	v_cndmask_b32_e32 v80, 0, v80, vcc
	v_add_u32_e32 v81, v81, v79
	s_waitcnt lgkmcnt(0)
	v_cndmask_b32_e32 v79, 0, v83, vcc
	v_add_co_u32_e32 v56, vcc, v80, v56
	v_addc_co_u32_e32 v57, vcc, v79, v57, vcc
	v_mov_b32_e32 v79, v81
.LBB1935_112:                           ;   in Loop: Header=BB1935_103 Depth=1
	s_or_b64 exec, exec, s[48:49]
	s_waitcnt lgkmcnt(2)
	ds_bpermute_b32 v81, v68, v79
	s_waitcnt lgkmcnt(2)
	ds_bpermute_b32 v80, v68, v56
	s_waitcnt lgkmcnt(2)
	ds_bpermute_b32 v83, v68, v57
	v_cmp_le_u32_e32 vcc, v69, v78
	;; [unrolled: 21-line block ×5, first 2 shown]
	s_and_saveexec_b64 s[48:49], vcc
	s_cbranch_execz .LBB1935_102
; %bb.119:                              ;   in Loop: Header=BB1935_103 Depth=1
	v_cmp_eq_u32_e32 vcc, 0, v79
	s_waitcnt lgkmcnt(1)
	v_cndmask_b32_e32 v80, 0, v80, vcc
	v_add_u32_e32 v78, v81, v79
	s_waitcnt lgkmcnt(0)
	v_cndmask_b32_e32 v79, 0, v83, vcc
	v_add_co_u32_e32 v56, vcc, v80, v56
	v_addc_co_u32_e32 v57, vcc, v79, v57, vcc
	v_mov_b32_e32 v79, v78
	s_branch .LBB1935_102
.LBB1935_120:                           ;   in Loop: Header=BB1935_103 Depth=1
                                        ; implicit-def: $vgpr56_vgpr57
                                        ; implicit-def: $vgpr78
                                        ; implicit-def: $vgpr63
	s_cbranch_execz .LBB1935_103
; %bb.121:
	s_and_saveexec_b64 s[36:37], s[28:29]
	s_cbranch_execz .LBB1935_123
; %bb.122:
	s_mov_b32 s49, 0
	v_cmp_eq_u32_e32 vcc, 0, v62
	s_add_i32 s48, s60, 64
	v_cndmask_b32_e32 v50, 0, v54, vcc
	s_lshl_b64 s[58:59], s[48:49], 4
	v_cndmask_b32_e32 v51, 0, v55, vcc
	v_add_co_u32_e32 v50, vcc, v50, v48
	s_add_u32 s58, s38, s58
	v_add_u32_e32 v52, v75, v62
	v_addc_co_u32_e32 v51, vcc, v51, v49, vcc
	s_addc_u32 s59, s39, s59
	v_mov_b32_e32 v53, 0
	global_store_dword v53, v52, s[58:59]
	global_store_dwordx2 v53, v[50:51], s[58:59] offset:8
	v_mov_b32_e32 v50, s48
	v_mov_b32_e32 v51, 2
	s_waitcnt vmcnt(0) lgkmcnt(0)
	buffer_wbinvl1_vol
	global_store_byte v50, v51, s[40:41]
	ds_write_b32 v53, v62 offset:2048
	ds_write_b64 v53, v[48:49] offset:2056
	ds_write_b32 v53, v75 offset:2064
	ds_write_b64 v53, v[54:55] offset:2072
.LBB1935_123:
	s_or_b64 exec, exec, s[36:37]
	s_and_b64 exec, exec, s[0:1]
	s_cbranch_execz .LBB1935_125
; %bb.124:
	v_mov_b32_e32 v48, 0
	ds_write_b32 v48, v75 offset:2128
	ds_write_b64 v48, v[54:55] offset:2136
.LBB1935_125:
	s_or_b64 exec, exec, s[42:43]
	v_mov_b32_e32 v51, 0
	s_waitcnt lgkmcnt(0)
	s_barrier
	ds_read_b32 v50, v51 offset:2128
	ds_read_b64 v[48:49], v51 offset:2136
	v_cndmask_b32_e64 v52, v59, v58, s[28:29]
	v_cmp_eq_u32_e32 vcc, 0, v52
	v_cndmask_b32_e64 v46, v60, v46, s[28:29]
	v_cndmask_b32_e64 v47, v61, v47, s[28:29]
	s_waitcnt lgkmcnt(0)
	v_cndmask_b32_e32 v54, 0, v48, vcc
	v_cndmask_b32_e32 v53, 0, v49, vcc
	v_add_co_u32_e32 v46, vcc, v54, v46
	v_addc_co_u32_e32 v47, vcc, v53, v47, vcc
	v_cndmask_b32_e64 v76, v46, v48, s[0:1]
	v_cmp_eq_u32_e32 vcc, 0, v82
	v_cndmask_b32_e64 v52, v52, 0, s[0:1]
	v_cndmask_b32_e64 v77, v47, v49, s[0:1]
	v_cndmask_b32_e32 v47, 0, v76, vcc
	v_add_u32_e32 v83, v50, v52
	v_cndmask_b32_e32 v46, 0, v77, vcc
	v_add_co_u32_e32 v52, vcc, v47, v42
	v_addc_co_u32_e32 v53, vcc, v46, v43, vcc
	v_cndmask_b32_e64 v47, 0, v52, s[26:27]
	v_cndmask_b32_e64 v46, 0, v53, s[26:27]
	v_add_co_u32_e32 v54, vcc, v47, v40
	v_addc_co_u32_e32 v55, vcc, v46, v41, vcc
	v_cndmask_b32_e64 v47, 0, v54, s[24:25]
	v_cndmask_b32_e64 v46, 0, v55, s[24:25]
	;; [unrolled: 4-line block ×11, first 2 shown]
	v_add_co_u32_e32 v74, vcc, v47, v20
	v_addc_co_u32_e32 v75, vcc, v46, v21, vcc
	s_barrier
	ds_read_b32 v46, v51 offset:2048
	ds_read_b64 v[48:49], v51 offset:2056
	ds_read_b32 v50, v51 offset:2064
	ds_read_b64 v[100:101], v51 offset:2072
	v_cndmask_b32_e64 v78, 0, v74, s[4:5]
	v_cndmask_b32_e64 v47, 0, v75, s[4:5]
	v_add_co_u32_e32 v78, vcc, v78, v18
	v_addc_co_u32_e32 v79, vcc, v47, v19, vcc
	s_waitcnt lgkmcnt(3)
	v_cmp_eq_u32_e32 vcc, 0, v46
	s_waitcnt lgkmcnt(0)
	v_cndmask_b32_e32 v51, 0, v100, vcc
	v_cndmask_b32_e32 v47, 0, v101, vcc
	v_add_co_u32_e32 v48, vcc, v51, v48
	v_cndmask_b32_e64 v81, 0, v79, s[2:3]
	v_cndmask_b32_e64 v80, 0, v78, s[2:3]
	v_addc_co_u32_e32 v49, vcc, v47, v49, vcc
	s_branch .LBB1935_154
.LBB1935_126:
                                        ; implicit-def: $vgpr46
                                        ; implicit-def: $vgpr48_vgpr49
                                        ; implicit-def: $vgpr50
                                        ; implicit-def: $vgpr76_vgpr77
                                        ; implicit-def: $vgpr52_vgpr53
                                        ; implicit-def: $vgpr54_vgpr55
                                        ; implicit-def: $vgpr56_vgpr57
                                        ; implicit-def: $vgpr58_vgpr59
                                        ; implicit-def: $vgpr60_vgpr61
                                        ; implicit-def: $vgpr62_vgpr63
                                        ; implicit-def: $vgpr64_vgpr65
                                        ; implicit-def: $vgpr66_vgpr67
                                        ; implicit-def: $vgpr68_vgpr69
                                        ; implicit-def: $vgpr70_vgpr71
                                        ; implicit-def: $vgpr72_vgpr73
                                        ; implicit-def: $vgpr74_vgpr75
                                        ; implicit-def: $vgpr78_vgpr79
                                        ; implicit-def: $vgpr80_vgpr81
                                        ; implicit-def: $vgpr83
	s_cbranch_execz .LBB1935_154
; %bb.127:
	s_and_b64 s[2:3], s[30:31], exec
	s_cselect_b32 s3, 0, s35
	s_cselect_b32 s2, 0, s34
	s_cmp_eq_u64 s[2:3], 0
	v_pk_mov_b32 v[50:51], v[42:43], v[42:43] op_sel:[0,1]
	s_cbranch_scc1 .LBB1935_129
; %bb.128:
	v_mov_b32_e32 v46, 0
	global_load_dwordx2 v[50:51], v46, s[2:3]
.LBB1935_129:
	v_cmp_eq_u32_e64 s[24:25], 0, v97
	v_cndmask_b32_e64 v47, 0, v42, s[24:25]
	v_cndmask_b32_e64 v46, 0, v43, s[24:25]
	v_add_co_u32_e32 v47, vcc, v47, v40
	v_cmp_eq_u32_e64 s[22:23], 0, v96
	v_addc_co_u32_e32 v46, vcc, v46, v41, vcc
	v_cndmask_b32_e64 v47, 0, v47, s[22:23]
	v_cndmask_b32_e64 v46, 0, v46, s[22:23]
	v_add_co_u32_e32 v47, vcc, v47, v38
	v_cmp_eq_u32_e64 s[20:21], 0, v95
	v_addc_co_u32_e32 v46, vcc, v46, v39, vcc
	;; [unrolled: 5-line block ×11, first 2 shown]
	v_cndmask_b32_e64 v47, 0, v47, s[4:5]
	v_cndmask_b32_e64 v46, 0, v46, s[4:5]
	v_add_co_u32_e32 v47, vcc, v47, v18
	v_addc_co_u32_e32 v46, vcc, v46, v19, vcc
	v_cmp_eq_u32_e32 vcc, 0, v85
	v_cndmask_b32_e32 v47, 0, v47, vcc
	v_add3_u32 v48, v99, v93, v92
	v_cndmask_b32_e32 v46, 0, v46, vcc
	v_add_co_u32_e64 v47, s[26:27], v47, v2
	v_add3_u32 v48, v48, v91, v90
	v_addc_co_u32_e64 v46, s[26:27], v46, v3, s[26:27]
	v_add3_u32 v48, v48, v89, v88
	v_cmp_eq_u32_e64 s[26:27], 0, v84
	v_add3_u32 v48, v48, v87, v86
	v_cndmask_b32_e64 v47, 0, v47, s[26:27]
	v_add3_u32 v49, v48, v85, v84
	v_cndmask_b32_e64 v46, 0, v46, s[26:27]
	v_add_co_u32_e64 v44, s[26:27], v47, v44
	v_mbcnt_hi_u32_b32 v48, -1, v98
	v_addc_co_u32_e64 v45, s[26:27], v46, v45, s[26:27]
	v_and_b32_e32 v46, 15, v48
	v_mov_b32_dpp v52, v49 row_shr:1 row_mask:0xf bank_mask:0xf
	v_mov_b32_dpp v47, v44 row_shr:1 row_mask:0xf bank_mask:0xf
	;; [unrolled: 1-line block ×3, first 2 shown]
	v_cmp_ne_u32_e64 s[26:27], 0, v46
	s_and_saveexec_b64 s[28:29], s[26:27]
; %bb.130:
	v_cmp_eq_u32_e64 s[26:27], 0, v49
	v_cndmask_b32_e64 v47, 0, v47, s[26:27]
	v_add_u32_e32 v52, v52, v49
	v_cndmask_b32_e64 v49, 0, v53, s[26:27]
	v_add_co_u32_e64 v44, s[26:27], v47, v44
	v_addc_co_u32_e64 v45, s[26:27], v49, v45, s[26:27]
	v_mov_b32_e32 v49, v52
; %bb.131:
	s_or_b64 exec, exec, s[28:29]
	s_nop 0
	v_mov_b32_dpp v52, v49 row_shr:2 row_mask:0xf bank_mask:0xf
	v_mov_b32_dpp v47, v44 row_shr:2 row_mask:0xf bank_mask:0xf
	v_mov_b32_dpp v53, v45 row_shr:2 row_mask:0xf bank_mask:0xf
	v_cmp_lt_u32_e64 s[26:27], 1, v46
	s_and_saveexec_b64 s[28:29], s[26:27]
; %bb.132:
	v_cmp_eq_u32_e64 s[26:27], 0, v49
	v_cndmask_b32_e64 v47, 0, v47, s[26:27]
	v_add_u32_e32 v52, v52, v49
	v_cndmask_b32_e64 v49, 0, v53, s[26:27]
	v_add_co_u32_e64 v44, s[26:27], v47, v44
	v_addc_co_u32_e64 v45, s[26:27], v49, v45, s[26:27]
	v_mov_b32_e32 v49, v52
; %bb.133:
	s_or_b64 exec, exec, s[28:29]
	s_nop 0
	v_mov_b32_dpp v52, v49 row_shr:4 row_mask:0xf bank_mask:0xf
	v_mov_b32_dpp v47, v44 row_shr:4 row_mask:0xf bank_mask:0xf
	v_mov_b32_dpp v53, v45 row_shr:4 row_mask:0xf bank_mask:0xf
	v_cmp_lt_u32_e64 s[26:27], 3, v46
	;; [unrolled: 16-line block ×3, first 2 shown]
	s_and_saveexec_b64 s[28:29], s[26:27]
; %bb.136:
	v_cmp_eq_u32_e64 s[26:27], 0, v49
	v_cndmask_b32_e64 v47, 0, v47, s[26:27]
	v_add_u32_e32 v46, v52, v49
	v_cndmask_b32_e64 v49, 0, v53, s[26:27]
	v_add_co_u32_e64 v44, s[26:27], v47, v44
	v_addc_co_u32_e64 v45, s[26:27], v49, v45, s[26:27]
	v_mov_b32_e32 v49, v46
; %bb.137:
	s_or_b64 exec, exec, s[28:29]
	v_and_b32_e32 v53, 16, v48
	v_mov_b32_dpp v47, v49 row_bcast:15 row_mask:0xf bank_mask:0xf
	v_mov_b32_dpp v46, v44 row_bcast:15 row_mask:0xf bank_mask:0xf
	;; [unrolled: 1-line block ×3, first 2 shown]
	v_cmp_ne_u32_e64 s[26:27], 0, v53
	s_and_saveexec_b64 s[28:29], s[26:27]
; %bb.138:
	v_cmp_eq_u32_e64 s[26:27], 0, v49
	v_cndmask_b32_e64 v46, 0, v46, s[26:27]
	v_add_u32_e32 v47, v47, v49
	v_cndmask_b32_e64 v49, 0, v52, s[26:27]
	v_add_co_u32_e64 v44, s[26:27], v46, v44
	v_addc_co_u32_e64 v45, s[26:27], v49, v45, s[26:27]
	v_mov_b32_e32 v49, v47
; %bb.139:
	s_or_b64 exec, exec, s[28:29]
	s_nop 0
	v_mov_b32_dpp v47, v49 row_bcast:31 row_mask:0xf bank_mask:0xf
	v_mov_b32_dpp v46, v44 row_bcast:31 row_mask:0xf bank_mask:0xf
	;; [unrolled: 1-line block ×3, first 2 shown]
	v_cmp_lt_u32_e64 s[26:27], 31, v48
	s_and_saveexec_b64 s[28:29], s[26:27]
; %bb.140:
	v_cmp_eq_u32_e64 s[26:27], 0, v49
	v_cndmask_b32_e64 v46, 0, v46, s[26:27]
	v_add_u32_e32 v47, v47, v49
	v_cndmask_b32_e64 v49, 0, v52, s[26:27]
	v_add_co_u32_e64 v44, s[26:27], v46, v44
	v_addc_co_u32_e64 v45, s[26:27], v49, v45, s[26:27]
	v_mov_b32_e32 v49, v47
; %bb.141:
	s_or_b64 exec, exec, s[28:29]
	v_lshrrev_b32_e32 v46, 6, v0
	v_or_b32_e32 v47, 63, v0
	v_cmp_eq_u32_e64 s[26:27], v47, v0
	v_lshlrev_b32_e32 v52, 4, v46
	s_and_saveexec_b64 s[28:29], s[26:27]
	s_cbranch_execz .LBB1935_143
; %bb.142:
	ds_write_b32 v52, v49 offset:2080
	ds_write_b64 v52, v[44:45] offset:2088
.LBB1935_143:
	s_or_b64 exec, exec, s[28:29]
	v_cmp_gt_u32_e64 s[26:27], 4, v0
	s_waitcnt lgkmcnt(0)
	s_barrier
	s_and_saveexec_b64 s[28:29], s[26:27]
	s_cbranch_execz .LBB1935_149
; %bb.144:
	v_lshlrev_b32_e32 v53, 4, v0
	ds_read_b32 v54, v53 offset:2080
	ds_read_b64 v[46:47], v53 offset:2088
	v_and_b32_e32 v55, 3, v48
	v_cmp_ne_u32_e64 s[26:27], 0, v55
	s_waitcnt lgkmcnt(1)
	v_mov_b32_dpp v57, v54 row_shr:1 row_mask:0xf bank_mask:0xf
	s_waitcnt lgkmcnt(0)
	v_mov_b32_dpp v56, v46 row_shr:1 row_mask:0xf bank_mask:0xf
	v_mov_b32_dpp v58, v47 row_shr:1 row_mask:0xf bank_mask:0xf
	s_and_saveexec_b64 s[34:35], s[26:27]
; %bb.145:
	v_cmp_eq_u32_e64 s[26:27], 0, v54
	v_cndmask_b32_e64 v56, 0, v56, s[26:27]
	v_add_u32_e32 v57, v57, v54
	v_cndmask_b32_e64 v54, 0, v58, s[26:27]
	v_add_co_u32_e64 v46, s[26:27], v56, v46
	v_addc_co_u32_e64 v47, s[26:27], v54, v47, s[26:27]
	v_mov_b32_e32 v54, v57
; %bb.146:
	s_or_b64 exec, exec, s[34:35]
	s_nop 0
	v_mov_b32_dpp v57, v54 row_shr:2 row_mask:0xf bank_mask:0xf
	v_mov_b32_dpp v56, v46 row_shr:2 row_mask:0xf bank_mask:0xf
	;; [unrolled: 1-line block ×3, first 2 shown]
	v_cmp_lt_u32_e64 s[26:27], 1, v55
	s_and_saveexec_b64 s[34:35], s[26:27]
; %bb.147:
	v_cmp_eq_u32_e64 s[26:27], 0, v54
	v_cndmask_b32_e64 v56, 0, v56, s[26:27]
	v_add_u32_e32 v55, v57, v54
	v_cndmask_b32_e64 v54, 0, v58, s[26:27]
	v_add_co_u32_e64 v46, s[26:27], v56, v46
	v_addc_co_u32_e64 v47, s[26:27], v54, v47, s[26:27]
	v_mov_b32_e32 v54, v55
; %bb.148:
	s_or_b64 exec, exec, s[34:35]
	ds_write_b32 v53, v54 offset:2080
	ds_write_b64 v53, v[46:47] offset:2088
.LBB1935_149:
	s_or_b64 exec, exec, s[28:29]
	v_cmp_lt_u32_e64 s[26:27], 63, v0
	v_mov_b32_e32 v98, 0
	v_mov_b32_e32 v53, 0
	s_waitcnt vmcnt(0)
	v_pk_mov_b32 v[46:47], v[50:51], v[50:51] op_sel:[0,1]
	s_waitcnt lgkmcnt(0)
	s_barrier
	s_and_saveexec_b64 s[28:29], s[26:27]
	s_cbranch_execz .LBB1935_151
; %bb.150:
	ds_read_b32 v53, v52 offset:2064
	ds_read_b64 v[46:47], v52 offset:2072
	s_waitcnt lgkmcnt(1)
	v_cmp_eq_u32_e64 s[26:27], 0, v53
	v_cndmask_b32_e64 v54, 0, v50, s[26:27]
	v_cndmask_b32_e64 v52, 0, v51, s[26:27]
	s_waitcnt lgkmcnt(0)
	v_add_co_u32_e64 v46, s[26:27], v54, v46
	v_addc_co_u32_e64 v47, s[26:27], v52, v47, s[26:27]
.LBB1935_151:
	s_or_b64 exec, exec, s[28:29]
	v_cmp_eq_u32_e64 s[26:27], 0, v49
	v_cndmask_b32_e64 v54, 0, v46, s[26:27]
	v_add_u32_e32 v52, v53, v49
	v_cndmask_b32_e64 v49, 0, v47, s[26:27]
	v_add_co_u32_e64 v44, s[26:27], v54, v44
	v_addc_co_u32_e64 v45, s[26:27], v49, v45, s[26:27]
	v_add_u32_e32 v49, -1, v48
	v_and_b32_e32 v54, 64, v48
	v_cmp_lt_i32_e64 s[26:27], v49, v54
	v_cndmask_b32_e64 v49, v49, v48, s[26:27]
	v_lshlrev_b32_e32 v49, 2, v49
	ds_bpermute_b32 v44, v49, v44
	ds_bpermute_b32 v52, v49, v52
	;; [unrolled: 1-line block ×3, first 2 shown]
	v_cmp_eq_u32_e64 s[26:27], 0, v48
	s_waitcnt lgkmcnt(2)
	v_cndmask_b32_e64 v76, v44, v46, s[26:27]
	s_waitcnt lgkmcnt(1)
	v_cndmask_b32_e64 v83, v52, v53, s[26:27]
	s_waitcnt lgkmcnt(0)
	v_cndmask_b32_e64 v77, v45, v47, s[26:27]
	v_cndmask_b32_e64 v44, v76, v50, s[0:1]
	v_cmp_eq_u32_e64 s[26:27], 0, v82
	v_cndmask_b32_e64 v45, v77, v51, s[0:1]
	v_cndmask_b32_e64 v44, 0, v44, s[26:27]
	;; [unrolled: 1-line block ×3, first 2 shown]
	v_add_co_u32_e64 v52, s[26:27], v44, v42
	v_addc_co_u32_e64 v53, s[26:27], v45, v43, s[26:27]
	v_cndmask_b32_e64 v43, 0, v52, s[24:25]
	v_cndmask_b32_e64 v42, 0, v53, s[24:25]
	v_add_co_u32_e64 v54, s[24:25], v43, v40
	v_addc_co_u32_e64 v55, s[24:25], v42, v41, s[24:25]
	v_cndmask_b32_e64 v41, 0, v54, s[22:23]
	v_cndmask_b32_e64 v40, 0, v55, s[22:23]
	;; [unrolled: 4-line block ×11, first 2 shown]
	v_add_co_u32_e64 v74, s[2:3], v23, v20
	v_addc_co_u32_e64 v75, s[2:3], v22, v21, s[2:3]
	v_cndmask_b32_e64 v21, 0, v74, s[4:5]
	ds_read_b32 v46, v98 offset:2128
	v_cndmask_b32_e64 v20, 0, v75, s[4:5]
	v_add_co_u32_e64 v78, s[2:3], v21, v18
	v_addc_co_u32_e64 v79, s[2:3], v20, v19, s[2:3]
	ds_read_b64 v[18:19], v98 offset:2136
	v_cndmask_b32_e32 v81, 0, v79, vcc
	v_cndmask_b32_e32 v80, 0, v78, vcc
	s_waitcnt lgkmcnt(1)
	v_cmp_eq_u32_e32 vcc, 0, v46
	v_cndmask_b32_e32 v21, 0, v50, vcc
	v_cndmask_b32_e32 v20, 0, v51, vcc
	s_waitcnt lgkmcnt(0)
	v_add_co_u32_e32 v48, vcc, v21, v18
	v_addc_co_u32_e32 v49, vcc, v20, v19, vcc
	s_and_saveexec_b64 s[2:3], s[0:1]
	s_cbranch_execz .LBB1935_153
; %bb.152:
	v_mov_b32_e32 v83, 0
	v_mov_b32_e32 v18, 2
	v_pk_mov_b32 v[76:77], v[50:51], v[50:51] op_sel:[0,1]
	global_store_dword v83, v46, s[38:39] offset:1024
	global_store_dwordx2 v83, v[48:49], s[38:39] offset:1032
	s_waitcnt vmcnt(0)
	buffer_wbinvl1_vol
	global_store_byte v83, v18, s[40:41] offset:64
.LBB1935_153:
	s_or_b64 exec, exec, s[2:3]
	v_mov_b32_e32 v50, 0
.LBB1935_154:
	s_and_b64 s[2:3], s[30:31], exec
	s_cselect_b32 s3, 0, s51
	s_cselect_b32 s2, 0, s50
	s_cmp_eq_u64 s[2:3], 0
	v_pk_mov_b32 v[18:19], 0, 0
	s_barrier
	s_cbranch_scc1 .LBB1935_156
; %bb.155:
	v_mov_b32_e32 v18, 0
	global_load_dwordx2 v[18:19], v18, s[2:3]
.LBB1935_156:
	s_waitcnt vmcnt(0)
	v_lshlrev_b64 v[34:35], 2, v[18:19]
	v_mov_b32_e32 v36, s53
	v_add_co_u32_e32 v37, vcc, s52, v34
	v_mov_b32_e32 v51, 0
	v_addc_co_u32_e32 v36, vcc, v36, v35, vcc
	v_lshlrev_b64 v[34:35], 2, v[50:51]
	v_add_co_u32_e32 v34, vcc, v37, v34
	v_addc_co_u32_e32 v35, vcc, v36, v35, vcc
	v_cmp_eq_u32_e32 vcc, 0, v82
	v_cndmask_b32_e64 v36, 1, 2, vcc
	v_cmp_eq_u32_e32 vcc, 0, v97
	v_cndmask_b32_e64 v37, 1, 2, vcc
	v_cmp_eq_u32_e32 vcc, 0, v96
	v_and_b32_e32 v36, v37, v36
	v_cndmask_b32_e64 v37, 1, 2, vcc
	v_cmp_eq_u32_e32 vcc, 0, v95
	v_add_u32_e32 v33, v83, v82
	v_and_b32_e32 v36, v36, v37
	v_cndmask_b32_e64 v37, 1, 2, vcc
	v_cmp_eq_u32_e32 vcc, 0, v94
	v_add_u32_e32 v32, v33, v97
	;; [unrolled: 4-line block ×12, first 2 shown]
	v_and_b32_e32 v36, v36, v37
	v_cndmask_b32_e64 v37, 1, 2, vcc
	s_movk_i32 s34, 0x100
	v_add_u32_e32 v21, v22, v86
	v_and_b32_e32 v36, v36, v37
	v_cmp_gt_u32_e32 vcc, s34, v46
	v_add_u32_e32 v20, v21, v85
	v_cmp_ne_u32_e64 s[30:31], 0, v82
	v_cmp_ne_u32_e64 s[28:29], 0, v97
	;; [unrolled: 1-line block ×15, first 2 shown]
	s_mov_b64 s[36:37], -1
	v_cmp_gt_i16_e64 s[34:35], 2, v36
	s_cbranch_vccz .LBB1935_163
; %bb.157:
	s_and_saveexec_b64 s[36:37], s[34:35]
	s_cbranch_execz .LBB1935_162
; %bb.158:
	v_cmp_ne_u16_e32 vcc, 1, v36
	s_mov_b64 s[38:39], 0
	s_and_saveexec_b64 s[34:35], vcc
	s_xor_b64 s[34:35], exec, s[34:35]
	s_cbranch_execnz .LBB1935_207
; %bb.159:
	s_andn2_saveexec_b64 s[34:35], s[34:35]
	s_cbranch_execnz .LBB1935_223
.LBB1935_160:
	s_or_b64 exec, exec, s[34:35]
	s_and_b64 exec, exec, s[38:39]
	s_cbranch_execz .LBB1935_162
.LBB1935_161:
	v_sub_u32_e32 v38, v20, v50
	v_mov_b32_e32 v39, 0
	v_lshlrev_b64 v[38:39], 2, v[38:39]
	v_add_co_u32_e32 v38, vcc, v34, v38
	v_addc_co_u32_e32 v39, vcc, v35, v39, vcc
	global_store_dword v[38:39], v1, off
.LBB1935_162:
	s_or_b64 exec, exec, s[36:37]
	s_mov_b64 s[36:37], 0
.LBB1935_163:
	s_and_b64 vcc, exec, s[36:37]
	s_cbranch_vccz .LBB1935_185
; %bb.164:
	v_cmp_gt_i16_e32 vcc, 2, v36
	s_and_saveexec_b64 s[34:35], vcc
	s_cbranch_execz .LBB1935_169
; %bb.165:
	v_cmp_ne_u16_e32 vcc, 1, v36
	s_mov_b64 s[38:39], 0
	s_and_saveexec_b64 s[36:37], vcc
	s_xor_b64 s[36:37], exec, s[36:37]
	s_cbranch_execnz .LBB1935_224
; %bb.166:
	s_andn2_saveexec_b64 s[2:3], s[36:37]
	s_cbranch_execnz .LBB1935_240
.LBB1935_167:
	s_or_b64 exec, exec, s[2:3]
	s_and_b64 exec, exec, s[38:39]
	s_cbranch_execz .LBB1935_169
.LBB1935_168:
	v_sub_u32_e32 v4, v20, v50
	v_lshlrev_b32_e32 v4, 2, v4
	ds_write_b32 v4, v1
.LBB1935_169:
	s_or_b64 exec, exec, s[34:35]
	v_cmp_lt_u32_e32 vcc, v0, v46
	s_waitcnt lgkmcnt(0)
	s_barrier
	s_and_saveexec_b64 s[4:5], vcc
	s_cbranch_execz .LBB1935_184
; %bb.170:
	v_xad_u32 v1, v0, -1, v46
	s_movk_i32 s2, 0x1700
	v_cmp_gt_u32_e64 s[6:7], s2, v1
	s_movk_i32 s2, 0x16ff
	v_cmp_lt_u32_e32 vcc, s2, v1
	v_mov_b32_e32 v4, v0
	s_and_saveexec_b64 s[8:9], vcc
	s_cbranch_execz .LBB1935_181
; %bb.171:
	v_sub_u32_e32 v4, v0, v46
	v_or_b32_e32 v4, 0xff, v4
	v_cmp_ge_u32_e32 vcc, v4, v0
	s_mov_b64 s[2:3], -1
	v_mov_b32_e32 v4, v0
	s_and_saveexec_b64 s[10:11], vcc
	s_cbranch_execz .LBB1935_180
; %bb.172:
	v_lshrrev_b32_e32 v8, 8, v1
	v_add_u32_e32 v4, -1, v8
	v_or_b32_e32 v1, 0x100, v0
	v_lshrrev_b32_e32 v5, 1, v4
	v_add_u32_e32 v10, 1, v5
	v_cmp_lt_u32_e32 vcc, 13, v4
	v_mov_b32_e32 v13, 0
	v_lshlrev_b32_e32 v9, 2, v0
	v_pk_mov_b32 v[4:5], v[0:1], v[0:1] op_sel:[0,1]
	s_and_saveexec_b64 s[12:13], vcc
	s_cbranch_execz .LBB1935_176
; %bb.173:
	v_and_b32_e32 v11, -8, v10
	s_mov_b32 s16, 0
	s_mov_b64 s[14:15], 0
	v_mov_b32_e32 v7, 0
	v_mov_b32_e32 v12, v9
	v_pk_mov_b32 v[4:5], v[0:1], v[0:1] op_sel:[0,1]
.LBB1935_174:                           ; =>This Inner Loop Header: Depth=1
	v_mov_b32_e32 v6, v4
	v_add_u32_e32 v11, -8, v11
	v_lshlrev_b64 v[114:115], 2, v[6:7]
	v_mov_b32_e32 v6, v5
	ds_read2st64_b32 v[14:15], v12 offset1:4
	s_add_i32 s16, s16, 16
	v_cmp_eq_u32_e32 vcc, 0, v11
	v_lshlrev_b64 v[116:117], 2, v[6:7]
	v_add_u32_e32 v6, 0x200, v4
	s_or_b64 s[14:15], vcc, s[14:15]
	v_add_co_u32_e32 v116, vcc, v34, v116
	v_add_u32_e32 v16, 0x200, v5
	v_mov_b32_e32 v17, v7
	ds_read2st64_b32 v[36:37], v12 offset0:8 offset1:12
	ds_read2st64_b32 v[40:41], v12 offset0:16 offset1:20
	v_add_co_u32_e64 v114, s[2:3], v34, v114
	v_addc_co_u32_e32 v117, vcc, v35, v117, vcc
	v_lshlrev_b64 v[118:119], 2, v[6:7]
	v_lshlrev_b64 v[16:17], 2, v[16:17]
	v_addc_co_u32_e64 v115, s[2:3], v35, v115, s[2:3]
	v_add_u32_e32 v6, 0x400, v4
	v_add_co_u32_e32 v118, vcc, v34, v118
	v_add_u32_e32 v38, 0x400, v5
	v_mov_b32_e32 v39, v7
	ds_read2st64_b32 v[44:45], v12 offset0:24 offset1:28
	v_add_co_u32_e64 v16, s[2:3], v34, v16
	v_addc_co_u32_e32 v119, vcc, v35, v119, vcc
	v_lshlrev_b64 v[120:121], 2, v[6:7]
	ds_read2st64_b32 v[100:101], v12 offset0:32 offset1:36
	ds_read2st64_b32 v[104:105], v12 offset0:40 offset1:44
	;; [unrolled: 1-line block ×4, first 2 shown]
	v_lshlrev_b64 v[38:39], 2, v[38:39]
	v_addc_co_u32_e64 v17, s[2:3], v35, v17, s[2:3]
	v_add_u32_e32 v6, 0x600, v4
	s_waitcnt lgkmcnt(7)
	global_store_dword v[114:115], v14, off
	global_store_dword v[116:117], v15, off
	s_waitcnt lgkmcnt(6)
	global_store_dword v[118:119], v36, off
	global_store_dword v[16:17], v37, off
	v_add_co_u32_e32 v14, vcc, v34, v120
	v_add_u32_e32 v42, 0x600, v5
	v_mov_b32_e32 v43, v7
	v_add_co_u32_e64 v38, s[2:3], v34, v38
	v_addc_co_u32_e32 v15, vcc, v35, v121, vcc
	v_lshlrev_b64 v[16:17], 2, v[6:7]
	v_lshlrev_b64 v[42:43], 2, v[42:43]
	v_addc_co_u32_e64 v39, s[2:3], v35, v39, s[2:3]
	v_add_u32_e32 v6, 0x800, v4
	s_waitcnt lgkmcnt(5)
	global_store_dword v[14:15], v40, off
	global_store_dword v[38:39], v41, off
	v_add_co_u32_e32 v14, vcc, v34, v16
	v_add_u32_e32 v98, 0x800, v5
	v_mov_b32_e32 v99, v7
	v_add_co_u32_e64 v42, s[2:3], v34, v42
	v_addc_co_u32_e32 v15, vcc, v35, v17, vcc
	v_lshlrev_b64 v[16:17], 2, v[6:7]
	v_lshlrev_b64 v[98:99], 2, v[98:99]
	v_addc_co_u32_e64 v43, s[2:3], v35, v43, s[2:3]
	v_add_u32_e32 v6, 0xa00, v4
	;; [unrolled: 12-line block ×4, first 2 shown]
	s_waitcnt lgkmcnt(2)
	global_store_dword v[14:15], v104, off
	global_store_dword v[102:103], v105, off
	v_add_co_u32_e32 v14, vcc, v34, v16
	v_add_u32_e32 v110, 0xe00, v5
	v_mov_b32_e32 v111, v7
	v_add_co_u32_e64 v106, s[2:3], v34, v106
	v_addc_co_u32_e32 v15, vcc, v35, v17, vcc
	v_lshlrev_b64 v[16:17], 2, v[6:7]
	v_lshlrev_b64 v[110:111], 2, v[110:111]
	v_addc_co_u32_e64 v107, s[2:3], v35, v107, s[2:3]
	s_waitcnt lgkmcnt(1)
	global_store_dword v[14:15], v108, off
	global_store_dword v[106:107], v109, off
	v_add_co_u32_e32 v14, vcc, v34, v16
	v_add_u32_e32 v12, 0x4000, v12
	v_add_u32_e32 v5, 0x1000, v5
	v_mov_b32_e32 v13, s16
	v_add_co_u32_e64 v110, s[2:3], v34, v110
	v_add_u32_e32 v4, 0x1000, v4
	v_addc_co_u32_e32 v15, vcc, v35, v17, vcc
	v_addc_co_u32_e64 v111, s[2:3], v35, v111, s[2:3]
	s_waitcnt lgkmcnt(0)
	global_store_dword v[14:15], v112, off
	global_store_dword v[110:111], v113, off
	s_andn2_b64 exec, exec, s[14:15]
	s_cbranch_execnz .LBB1935_174
; %bb.175:
	s_or_b64 exec, exec, s[14:15]
.LBB1935_176:
	s_or_b64 exec, exec, s[12:13]
	v_and_b32_e32 v1, 7, v10
	v_cmp_ne_u32_e32 vcc, 0, v1
	s_and_saveexec_b64 s[12:13], vcc
	s_cbranch_execz .LBB1935_179
; %bb.177:
	v_lshl_or_b32 v9, v13, 10, v9
	s_mov_b64 s[14:15], 0
	v_mov_b32_e32 v7, 0
.LBB1935_178:                           ; =>This Inner Loop Header: Depth=1
	ds_read2st64_b32 v[10:11], v9 offset1:4
	v_mov_b32_e32 v6, v4
	v_add_u32_e32 v1, -1, v1
	v_lshlrev_b64 v[12:13], 2, v[6:7]
	v_mov_b32_e32 v6, v5
	v_cmp_eq_u32_e32 vcc, 0, v1
	v_add_co_u32_e64 v12, s[2:3], v34, v12
	v_lshlrev_b64 v[14:15], 2, v[6:7]
	v_add_u32_e32 v4, 0x200, v4
	v_add_u32_e32 v9, 0x800, v9
	v_add_u32_e32 v5, 0x200, v5
	v_addc_co_u32_e64 v13, s[2:3], v35, v13, s[2:3]
	s_or_b64 s[14:15], vcc, s[14:15]
	v_add_co_u32_e32 v14, vcc, v34, v14
	v_addc_co_u32_e32 v15, vcc, v35, v15, vcc
	s_waitcnt lgkmcnt(0)
	global_store_dword v[12:13], v10, off
	global_store_dword v[14:15], v11, off
	s_andn2_b64 exec, exec, s[14:15]
	s_cbranch_execnz .LBB1935_178
.LBB1935_179:
	s_or_b64 exec, exec, s[12:13]
	v_add_u32_e32 v1, 1, v8
	v_and_b32_e32 v5, 0x1fffffe, v1
	v_cmp_ne_u32_e32 vcc, v1, v5
	v_lshl_or_b32 v4, v5, 8, v0
	s_orn2_b64 s[2:3], vcc, exec
.LBB1935_180:
	s_or_b64 exec, exec, s[10:11]
	s_andn2_b64 s[6:7], s[6:7], exec
	s_and_b64 s[2:3], s[2:3], exec
	s_or_b64 s[6:7], s[6:7], s[2:3]
.LBB1935_181:
	s_or_b64 exec, exec, s[8:9]
	s_and_b64 exec, exec, s[6:7]
	s_cbranch_execz .LBB1935_184
; %bb.182:
	v_lshlrev_b32_e32 v1, 2, v4
	s_mov_b64 s[2:3], 0
	v_mov_b32_e32 v5, 0
.LBB1935_183:                           ; =>This Inner Loop Header: Depth=1
	v_lshlrev_b64 v[6:7], 2, v[4:5]
	ds_read_b32 v8, v1
	v_add_co_u32_e32 v6, vcc, v34, v6
	v_add_u32_e32 v4, 0x100, v4
	v_addc_co_u32_e32 v7, vcc, v35, v7, vcc
	v_cmp_ge_u32_e32 vcc, v4, v46
	v_add_u32_e32 v1, 0x400, v1
	s_or_b64 s[2:3], vcc, s[2:3]
	s_waitcnt lgkmcnt(0)
	global_store_dword v[6:7], v8, off
	s_andn2_b64 exec, exec, s[2:3]
	s_cbranch_execnz .LBB1935_183
.LBB1935_184:
	s_or_b64 exec, exec, s[4:5]
.LBB1935_185:
	s_cmpk_lg_i32 s33, 0xf00
	s_cselect_b64 s[2:3], -1, 0
	v_cndmask_b32_e64 v8, 0, 1, s[46:47]
	s_and_b64 s[2:3], s[2:3], s[44:45]
	v_sub_u32_e32 v1, v46, v8
	v_cndmask_b32_e64 v4, 0, 1, s[2:3]
	s_and_b64 s[0:1], s[0:1], s[46:47]
	v_add_co_u32_e32 v2, vcc, v80, v2
	v_add_u32_e32 v1, v1, v4
	v_cndmask_b32_e64 v4, v82, 0, s[0:1]
	s_mul_hi_u32 s0, s33, 0x88888889
	v_addc_co_u32_e32 v3, vcc, v81, v3, vcc
	s_lshr_b32 s0, s0, 3
	v_mad_i32_i24 v5, v0, -15, s33
	v_cmp_eq_u32_e32 vcc, s0, v0
	v_cmp_ne_u32_e64 s[0:1], 0, v5
	v_cndmask_b32_e64 v6, 1, v4, s[0:1]
	v_cmp_ne_u32_e64 s[0:1], 1, v5
	v_cndmask_b32_e64 v7, 1, v97, s[0:1]
	;; [unrolled: 2-line block ×15, first 2 shown]
	s_and_b64 vcc, vcc, s[44:45]
	v_cndmask_b32_e32 v37, v84, v5, vcc
	v_cndmask_b32_e32 v39, v4, v6, vcc
	v_lshlrev_b64 v[4:5], 3, v[18:19]
	v_cndmask_b32_e32 v36, v85, v36, vcc
	v_cndmask_b32_e32 v35, v86, v35, vcc
	;; [unrolled: 1-line block ×13, first 2 shown]
	v_mov_b32_e32 v6, s55
	v_add_co_u32_e32 v7, vcc, s54, v4
	v_addc_co_u32_e32 v6, vcc, v6, v5, vcc
	v_lshlrev_b64 v[4:5], 3, v[50:51]
	v_add_co_u32_e32 v4, vcc, v7, v4
	v_addc_co_u32_e32 v5, vcc, v6, v5, vcc
	v_lshlrev_b32_e32 v6, 3, v8
	v_add_co_u32_e32 v6, vcc, v6, v4
	v_addc_co_u32_e32 v7, vcc, 0, v5, vcc
	v_add_co_u32_e32 v6, vcc, -8, v6
	v_addc_co_u32_e32 v7, vcc, -1, v7, vcc
	v_cmp_eq_u32_e32 vcc, 0, v39
	v_cmp_ne_u32_e64 s[28:29], 0, v39
	v_cndmask_b32_e64 v39, 1, 2, vcc
	v_cmp_eq_u32_e32 vcc, 0, v38
	v_cmp_ne_u32_e64 s[26:27], 0, v38
	v_cndmask_b32_e64 v38, 1, 2, vcc
	v_cmp_eq_u32_e32 vcc, 0, v9
	v_and_b32_e32 v38, v38, v39
	v_cmp_ne_u32_e64 s[24:25], 0, v9
	v_cndmask_b32_e64 v9, 1, 2, vcc
	v_cmp_eq_u32_e32 vcc, 0, v10
	v_and_b32_e32 v9, v38, v9
	;; [unrolled: 4-line block ×3, first 2 shown]
	v_cndmask_b32_e64 v10, 1, 2, vcc
	v_cmp_eq_u32_e32 vcc, 0, v12
	v_and_b32_e32 v9, v9, v10
	v_cndmask_b32_e64 v10, 1, 2, vcc
	v_cmp_eq_u32_e32 vcc, 0, v13
	v_and_b32_e32 v9, v9, v10
	;; [unrolled: 3-line block ×10, first 2 shown]
	v_cndmask_b32_e64 v10, 1, 2, vcc
	s_movk_i32 s30, 0x100
	v_and_b32_e32 v9, v9, v10
	v_cmp_gt_u32_e32 vcc, s30, v1
	v_add_u32_e32 v8, v50, v8
	v_cmp_ne_u32_e64 s[20:21], 0, v11
	v_cmp_ne_u32_e64 s[18:19], 0, v12
	;; [unrolled: 1-line block ×11, first 2 shown]
	s_mov_b64 s[34:35], -1
	v_cmp_gt_i16_e64 s[30:31], 2, v9
	s_barrier
	s_cbranch_vccz .LBB1935_192
; %bb.186:
	s_and_saveexec_b64 s[34:35], s[30:31]
	s_cbranch_execz .LBB1935_191
; %bb.187:
	v_cmp_ne_u16_e32 vcc, 1, v9
	s_mov_b64 s[36:37], 0
	s_and_saveexec_b64 s[30:31], vcc
	s_xor_b64 s[30:31], exec, s[30:31]
	s_cbranch_execnz .LBB1935_241
; %bb.188:
	s_andn2_saveexec_b64 s[30:31], s[30:31]
	s_cbranch_execnz .LBB1935_257
.LBB1935_189:
	s_or_b64 exec, exec, s[30:31]
	s_and_b64 exec, exec, s[36:37]
	s_cbranch_execz .LBB1935_191
.LBB1935_190:
	v_sub_u32_e32 v10, v20, v8
	v_mov_b32_e32 v11, 0
	v_lshlrev_b64 v[10:11], 3, v[10:11]
	v_add_co_u32_e32 v10, vcc, v6, v10
	v_addc_co_u32_e32 v11, vcc, v7, v11, vcc
	global_store_dwordx2 v[10:11], v[2:3], off
.LBB1935_191:
	s_or_b64 exec, exec, s[34:35]
	s_mov_b64 s[34:35], 0
.LBB1935_192:
	s_and_b64 vcc, exec, s[34:35]
	s_cbranch_vccz .LBB1935_202
; %bb.193:
	v_cmp_gt_i16_e32 vcc, 2, v9
	s_and_saveexec_b64 s[30:31], vcc
	s_cbranch_execz .LBB1935_198
; %bb.194:
	v_cmp_ne_u16_e32 vcc, 1, v9
	s_mov_b64 s[36:37], 0
	s_and_saveexec_b64 s[34:35], vcc
	s_xor_b64 s[34:35], exec, s[34:35]
	s_cbranch_execnz .LBB1935_258
; %bb.195:
	s_andn2_saveexec_b64 s[0:1], s[34:35]
	s_cbranch_execnz .LBB1935_274
.LBB1935_196:
	s_or_b64 exec, exec, s[0:1]
	s_and_b64 exec, exec, s[36:37]
	s_cbranch_execz .LBB1935_198
.LBB1935_197:
	v_sub_u32_e32 v8, v20, v8
	v_lshlrev_b32_e32 v8, 3, v8
	ds_write_b64 v8, v[2:3]
.LBB1935_198:
	s_or_b64 exec, exec, s[30:31]
	v_cmp_lt_u32_e32 vcc, v0, v1
	s_waitcnt lgkmcnt(0)
	s_barrier
	s_and_saveexec_b64 s[0:1], vcc
	s_cbranch_execz .LBB1935_201
; %bb.199:
	v_lshlrev_b32_e32 v8, 3, v0
	s_mov_b64 s[2:3], 0
	v_mov_b32_e32 v3, 0
	v_mov_b32_e32 v2, v0
.LBB1935_200:                           ; =>This Inner Loop Header: Depth=1
	v_lshlrev_b64 v[10:11], 3, v[2:3]
	ds_read_b64 v[12:13], v8
	v_add_co_u32_e32 v10, vcc, v6, v10
	v_add_u32_e32 v2, 0x100, v2
	v_addc_co_u32_e32 v11, vcc, v7, v11, vcc
	v_cmp_ge_u32_e32 vcc, v2, v1
	v_add_u32_e32 v8, 0x800, v8
	s_or_b64 s[2:3], vcc, s[2:3]
	s_waitcnt lgkmcnt(0)
	global_store_dwordx2 v[10:11], v[12:13], off
	s_andn2_b64 exec, exec, s[2:3]
	s_cbranch_execnz .LBB1935_200
.LBB1935_201:
	s_or_b64 exec, exec, s[0:1]
.LBB1935_202:
	s_movk_i32 s0, 0xff
	v_cmp_eq_u32_e32 vcc, s0, v0
	s_and_b64 s[0:1], vcc, s[44:45]
	s_and_saveexec_b64 s[2:3], s[0:1]
	s_cbranch_execz .LBB1935_205
; %bb.203:
	v_add_co_u32_e32 v0, vcc, v46, v50
	v_addc_co_u32_e64 v1, s[0:1], 0, 0, vcc
	v_add_co_u32_e32 v0, vcc, v0, v18
	v_mov_b32_e32 v47, 0
	v_addc_co_u32_e32 v1, vcc, v1, v19, vcc
	s_cmpk_lg_i32 s33, 0xf00
	global_store_dwordx2 v47, v[0:1], s[56:57]
	s_cbranch_scc1 .LBB1935_205
; %bb.204:
	v_lshlrev_b64 v[0:1], 3, v[46:47]
	v_add_co_u32_e32 v0, vcc, v4, v0
	v_addc_co_u32_e32 v1, vcc, v5, v1, vcc
	global_store_dwordx2 v[0:1], v[48:49], off offset:-8
.LBB1935_205:
	s_endpgm
.LBB1935_206:
	s_or_b64 exec, exec, s[4:5]
	v_mov_b32_e32 v82, s12
	s_and_saveexec_b64 s[2:3], s[58:59]
	s_cbranch_execnz .LBB1935_58
	s_branch .LBB1935_59
.LBB1935_207:
	s_and_saveexec_b64 s[38:39], s[30:31]
	s_cbranch_execnz .LBB1935_275
; %bb.208:
	s_or_b64 exec, exec, s[38:39]
	s_and_saveexec_b64 s[38:39], s[28:29]
	s_cbranch_execnz .LBB1935_276
.LBB1935_209:
	s_or_b64 exec, exec, s[38:39]
	s_and_saveexec_b64 s[38:39], s[26:27]
	s_cbranch_execnz .LBB1935_277
.LBB1935_210:
	s_or_b64 exec, exec, s[38:39]
	s_and_saveexec_b64 s[38:39], s[24:25]
	s_cbranch_execnz .LBB1935_278
.LBB1935_211:
	s_or_b64 exec, exec, s[38:39]
	s_and_saveexec_b64 s[38:39], s[22:23]
	s_cbranch_execnz .LBB1935_279
.LBB1935_212:
	s_or_b64 exec, exec, s[38:39]
	s_and_saveexec_b64 s[38:39], s[20:21]
	s_cbranch_execnz .LBB1935_280
.LBB1935_213:
	s_or_b64 exec, exec, s[38:39]
	s_and_saveexec_b64 s[38:39], s[18:19]
	s_cbranch_execnz .LBB1935_281
.LBB1935_214:
	s_or_b64 exec, exec, s[38:39]
	s_and_saveexec_b64 s[38:39], s[16:17]
	s_cbranch_execnz .LBB1935_282
.LBB1935_215:
	s_or_b64 exec, exec, s[38:39]
	s_and_saveexec_b64 s[38:39], s[14:15]
	s_cbranch_execnz .LBB1935_283
.LBB1935_216:
	s_or_b64 exec, exec, s[38:39]
	s_and_saveexec_b64 s[38:39], s[12:13]
	s_cbranch_execnz .LBB1935_284
.LBB1935_217:
	s_or_b64 exec, exec, s[38:39]
	s_and_saveexec_b64 s[38:39], s[10:11]
	s_cbranch_execnz .LBB1935_285
.LBB1935_218:
	s_or_b64 exec, exec, s[38:39]
	s_and_saveexec_b64 s[38:39], s[8:9]
	s_cbranch_execnz .LBB1935_286
.LBB1935_219:
	s_or_b64 exec, exec, s[38:39]
	s_and_saveexec_b64 s[38:39], s[6:7]
	s_cbranch_execnz .LBB1935_287
.LBB1935_220:
	s_or_b64 exec, exec, s[38:39]
	s_and_saveexec_b64 s[38:39], s[4:5]
	s_cbranch_execz .LBB1935_222
.LBB1935_221:
	v_sub_u32_e32 v38, v21, v50
	v_mov_b32_e32 v39, 0
	v_lshlrev_b64 v[38:39], 2, v[38:39]
	v_add_co_u32_e32 v38, vcc, v34, v38
	v_addc_co_u32_e32 v39, vcc, v35, v39, vcc
	global_store_dword v[38:39], v5, off
.LBB1935_222:
	s_or_b64 exec, exec, s[38:39]
	s_and_b64 s[38:39], s[2:3], exec
	s_andn2_saveexec_b64 s[34:35], s[34:35]
	s_cbranch_execz .LBB1935_160
.LBB1935_223:
	v_sub_u32_e32 v38, v83, v50
	v_mov_b32_e32 v39, 0
	v_lshlrev_b64 v[40:41], 2, v[38:39]
	v_add_co_u32_e32 v40, vcc, v34, v40
	v_addc_co_u32_e32 v41, vcc, v35, v41, vcc
	v_sub_u32_e32 v38, v33, v50
	global_store_dword v[40:41], v16, off
	v_lshlrev_b64 v[40:41], 2, v[38:39]
	v_add_co_u32_e32 v40, vcc, v34, v40
	v_addc_co_u32_e32 v41, vcc, v35, v41, vcc
	v_sub_u32_e32 v38, v32, v50
	global_store_dword v[40:41], v17, off
	;; [unrolled: 5-line block ×12, first 2 shown]
	v_lshlrev_b64 v[40:41], 2, v[38:39]
	v_add_co_u32_e32 v40, vcc, v34, v40
	v_sub_u32_e32 v38, v21, v50
	v_addc_co_u32_e32 v41, vcc, v35, v41, vcc
	v_lshlrev_b64 v[38:39], 2, v[38:39]
	v_add_co_u32_e32 v38, vcc, v34, v38
	v_addc_co_u32_e32 v39, vcc, v35, v39, vcc
	s_or_b64 s[38:39], s[38:39], exec
	global_store_dword v[40:41], v4, off
	global_store_dword v[38:39], v5, off
	s_or_b64 exec, exec, s[34:35]
	s_and_b64 exec, exec, s[38:39]
	s_cbranch_execnz .LBB1935_161
	s_branch .LBB1935_162
.LBB1935_224:
	s_and_saveexec_b64 s[38:39], s[30:31]
	s_cbranch_execnz .LBB1935_288
; %bb.225:
	s_or_b64 exec, exec, s[38:39]
	s_and_saveexec_b64 s[30:31], s[28:29]
	s_cbranch_execnz .LBB1935_289
.LBB1935_226:
	s_or_b64 exec, exec, s[30:31]
	s_and_saveexec_b64 s[28:29], s[26:27]
	s_cbranch_execnz .LBB1935_290
.LBB1935_227:
	s_or_b64 exec, exec, s[28:29]
	s_and_saveexec_b64 s[26:27], s[24:25]
	s_cbranch_execnz .LBB1935_291
.LBB1935_228:
	s_or_b64 exec, exec, s[26:27]
	s_and_saveexec_b64 s[24:25], s[22:23]
	s_cbranch_execnz .LBB1935_292
.LBB1935_229:
	s_or_b64 exec, exec, s[24:25]
	s_and_saveexec_b64 s[22:23], s[20:21]
	s_cbranch_execnz .LBB1935_293
.LBB1935_230:
	s_or_b64 exec, exec, s[22:23]
	s_and_saveexec_b64 s[20:21], s[18:19]
	s_cbranch_execnz .LBB1935_294
.LBB1935_231:
	s_or_b64 exec, exec, s[20:21]
	s_and_saveexec_b64 s[18:19], s[16:17]
	s_cbranch_execnz .LBB1935_295
.LBB1935_232:
	s_or_b64 exec, exec, s[18:19]
	s_and_saveexec_b64 s[16:17], s[14:15]
	s_cbranch_execnz .LBB1935_296
.LBB1935_233:
	s_or_b64 exec, exec, s[16:17]
	s_and_saveexec_b64 s[14:15], s[12:13]
	s_cbranch_execnz .LBB1935_297
.LBB1935_234:
	s_or_b64 exec, exec, s[14:15]
	s_and_saveexec_b64 s[12:13], s[10:11]
	s_cbranch_execnz .LBB1935_298
.LBB1935_235:
	s_or_b64 exec, exec, s[12:13]
	s_and_saveexec_b64 s[10:11], s[8:9]
	s_cbranch_execnz .LBB1935_299
.LBB1935_236:
	s_or_b64 exec, exec, s[10:11]
	s_and_saveexec_b64 s[8:9], s[6:7]
	s_cbranch_execnz .LBB1935_300
.LBB1935_237:
	s_or_b64 exec, exec, s[8:9]
	s_and_saveexec_b64 s[6:7], s[4:5]
	s_cbranch_execz .LBB1935_239
.LBB1935_238:
	v_sub_u32_e32 v4, v21, v50
	v_lshlrev_b32_e32 v4, 2, v4
	ds_write_b32 v4, v5
.LBB1935_239:
	s_or_b64 exec, exec, s[6:7]
	s_and_b64 s[38:39], s[2:3], exec
                                        ; implicit-def: $vgpr4
                                        ; implicit-def: $vgpr6
                                        ; implicit-def: $vgpr8
                                        ; implicit-def: $vgpr10
                                        ; implicit-def: $vgpr12
                                        ; implicit-def: $vgpr14
                                        ; implicit-def: $vgpr16
	s_andn2_saveexec_b64 s[2:3], s[36:37]
	s_cbranch_execz .LBB1935_167
.LBB1935_240:
	v_sub_u32_e32 v36, v83, v50
	v_lshlrev_b32_e32 v36, 2, v36
	ds_write_b32 v36, v16
	v_sub_u32_e32 v16, v33, v50
	v_lshlrev_b32_e32 v16, 2, v16
	ds_write_b32 v16, v17
	;; [unrolled: 3-line block ×13, first 2 shown]
	v_sub_u32_e32 v4, v21, v50
	v_lshlrev_b32_e32 v4, 2, v4
	s_or_b64 s[38:39], s[38:39], exec
	ds_write_b32 v4, v5
	s_or_b64 exec, exec, s[2:3]
	s_and_b64 exec, exec, s[38:39]
	s_cbranch_execnz .LBB1935_168
	s_branch .LBB1935_169
.LBB1935_241:
	s_and_saveexec_b64 s[36:37], s[28:29]
	s_cbranch_execnz .LBB1935_301
; %bb.242:
	s_or_b64 exec, exec, s[36:37]
	s_and_saveexec_b64 s[36:37], s[26:27]
	s_cbranch_execnz .LBB1935_302
.LBB1935_243:
	s_or_b64 exec, exec, s[36:37]
	s_and_saveexec_b64 s[36:37], s[24:25]
	s_cbranch_execnz .LBB1935_303
.LBB1935_244:
	s_or_b64 exec, exec, s[36:37]
	s_and_saveexec_b64 s[36:37], s[22:23]
	s_cbranch_execnz .LBB1935_304
.LBB1935_245:
	s_or_b64 exec, exec, s[36:37]
	s_and_saveexec_b64 s[36:37], s[20:21]
	s_cbranch_execnz .LBB1935_305
.LBB1935_246:
	s_or_b64 exec, exec, s[36:37]
	s_and_saveexec_b64 s[36:37], s[18:19]
	s_cbranch_execnz .LBB1935_306
.LBB1935_247:
	s_or_b64 exec, exec, s[36:37]
	s_and_saveexec_b64 s[36:37], s[16:17]
	s_cbranch_execnz .LBB1935_307
.LBB1935_248:
	s_or_b64 exec, exec, s[36:37]
	s_and_saveexec_b64 s[36:37], s[14:15]
	s_cbranch_execnz .LBB1935_308
.LBB1935_249:
	s_or_b64 exec, exec, s[36:37]
	s_and_saveexec_b64 s[36:37], s[12:13]
	s_cbranch_execnz .LBB1935_309
.LBB1935_250:
	s_or_b64 exec, exec, s[36:37]
	s_and_saveexec_b64 s[36:37], s[10:11]
	s_cbranch_execnz .LBB1935_310
.LBB1935_251:
	s_or_b64 exec, exec, s[36:37]
	s_and_saveexec_b64 s[36:37], s[8:9]
	s_cbranch_execnz .LBB1935_311
.LBB1935_252:
	s_or_b64 exec, exec, s[36:37]
	s_and_saveexec_b64 s[36:37], s[6:7]
	s_cbranch_execnz .LBB1935_312
.LBB1935_253:
	s_or_b64 exec, exec, s[36:37]
	s_and_saveexec_b64 s[36:37], s[4:5]
	s_cbranch_execnz .LBB1935_313
.LBB1935_254:
	s_or_b64 exec, exec, s[36:37]
	s_and_saveexec_b64 s[36:37], s[2:3]
	s_cbranch_execz .LBB1935_256
.LBB1935_255:
	v_sub_u32_e32 v10, v21, v8
	v_mov_b32_e32 v11, 0
	v_lshlrev_b64 v[10:11], 3, v[10:11]
	v_add_co_u32_e32 v10, vcc, v6, v10
	v_addc_co_u32_e32 v11, vcc, v7, v11, vcc
	global_store_dwordx2 v[10:11], v[78:79], off
.LBB1935_256:
	s_or_b64 exec, exec, s[36:37]
	s_and_b64 s[36:37], s[0:1], exec
	s_andn2_saveexec_b64 s[30:31], s[30:31]
	s_cbranch_execz .LBB1935_189
.LBB1935_257:
	v_sub_u32_e32 v10, v83, v8
	v_mov_b32_e32 v11, 0
	v_lshlrev_b64 v[12:13], 3, v[10:11]
	v_add_co_u32_e32 v12, vcc, v6, v12
	v_addc_co_u32_e32 v13, vcc, v7, v13, vcc
	v_sub_u32_e32 v10, v33, v8
	global_store_dwordx2 v[12:13], v[76:77], off
	v_lshlrev_b64 v[12:13], 3, v[10:11]
	v_add_co_u32_e32 v12, vcc, v6, v12
	v_addc_co_u32_e32 v13, vcc, v7, v13, vcc
	v_sub_u32_e32 v10, v32, v8
	global_store_dwordx2 v[12:13], v[52:53], off
	;; [unrolled: 5-line block ×12, first 2 shown]
	v_lshlrev_b64 v[12:13], 3, v[10:11]
	v_add_co_u32_e32 v12, vcc, v6, v12
	v_sub_u32_e32 v10, v21, v8
	v_addc_co_u32_e32 v13, vcc, v7, v13, vcc
	v_lshlrev_b64 v[10:11], 3, v[10:11]
	v_add_co_u32_e32 v10, vcc, v6, v10
	v_addc_co_u32_e32 v11, vcc, v7, v11, vcc
	s_or_b64 s[36:37], s[36:37], exec
	global_store_dwordx2 v[12:13], v[74:75], off
	global_store_dwordx2 v[10:11], v[78:79], off
	s_or_b64 exec, exec, s[30:31]
	s_and_b64 exec, exec, s[36:37]
	s_cbranch_execnz .LBB1935_190
	s_branch .LBB1935_191
.LBB1935_258:
	s_and_saveexec_b64 s[36:37], s[28:29]
	s_cbranch_execnz .LBB1935_314
; %bb.259:
	s_or_b64 exec, exec, s[36:37]
	s_and_saveexec_b64 s[28:29], s[26:27]
	s_cbranch_execnz .LBB1935_315
.LBB1935_260:
	s_or_b64 exec, exec, s[28:29]
	s_and_saveexec_b64 s[26:27], s[24:25]
	s_cbranch_execnz .LBB1935_316
.LBB1935_261:
	s_or_b64 exec, exec, s[26:27]
	s_and_saveexec_b64 s[24:25], s[22:23]
	s_cbranch_execnz .LBB1935_317
.LBB1935_262:
	s_or_b64 exec, exec, s[24:25]
	s_and_saveexec_b64 s[22:23], s[20:21]
	s_cbranch_execnz .LBB1935_318
.LBB1935_263:
	s_or_b64 exec, exec, s[22:23]
	s_and_saveexec_b64 s[20:21], s[18:19]
	s_cbranch_execnz .LBB1935_319
.LBB1935_264:
	s_or_b64 exec, exec, s[20:21]
	s_and_saveexec_b64 s[18:19], s[16:17]
	s_cbranch_execnz .LBB1935_320
.LBB1935_265:
	s_or_b64 exec, exec, s[18:19]
	s_and_saveexec_b64 s[16:17], s[14:15]
	s_cbranch_execnz .LBB1935_321
.LBB1935_266:
	s_or_b64 exec, exec, s[16:17]
	s_and_saveexec_b64 s[14:15], s[12:13]
	s_cbranch_execnz .LBB1935_322
.LBB1935_267:
	s_or_b64 exec, exec, s[14:15]
	s_and_saveexec_b64 s[12:13], s[10:11]
	s_cbranch_execnz .LBB1935_323
.LBB1935_268:
	s_or_b64 exec, exec, s[12:13]
	s_and_saveexec_b64 s[10:11], s[8:9]
	s_cbranch_execnz .LBB1935_324
.LBB1935_269:
	s_or_b64 exec, exec, s[10:11]
	s_and_saveexec_b64 s[8:9], s[6:7]
	s_cbranch_execnz .LBB1935_325
.LBB1935_270:
	s_or_b64 exec, exec, s[8:9]
	s_and_saveexec_b64 s[6:7], s[4:5]
	s_cbranch_execnz .LBB1935_326
.LBB1935_271:
	s_or_b64 exec, exec, s[6:7]
	s_and_saveexec_b64 s[4:5], s[2:3]
	s_cbranch_execz .LBB1935_273
.LBB1935_272:
	v_sub_u32_e32 v9, v21, v8
	v_lshlrev_b32_e32 v9, 3, v9
	ds_write_b64 v9, v[78:79]
.LBB1935_273:
	s_or_b64 exec, exec, s[4:5]
	s_and_b64 s[36:37], s[0:1], exec
                                        ; implicit-def: $vgpr76_vgpr77
                                        ; implicit-def: $vgpr52_vgpr53
                                        ; implicit-def: $vgpr54_vgpr55
                                        ; implicit-def: $vgpr56_vgpr57
                                        ; implicit-def: $vgpr58_vgpr59
                                        ; implicit-def: $vgpr60_vgpr61
                                        ; implicit-def: $vgpr62_vgpr63
                                        ; implicit-def: $vgpr64_vgpr65
                                        ; implicit-def: $vgpr66_vgpr67
                                        ; implicit-def: $vgpr68_vgpr69
                                        ; implicit-def: $vgpr70_vgpr71
                                        ; implicit-def: $vgpr72_vgpr73
                                        ; implicit-def: $vgpr74_vgpr75
                                        ; implicit-def: $vgpr78_vgpr79
                                        ; implicit-def: $vgpr83
                                        ; implicit-def: $vgpr33
                                        ; implicit-def: $vgpr32
                                        ; implicit-def: $vgpr31
                                        ; implicit-def: $vgpr30
                                        ; implicit-def: $vgpr29
                                        ; implicit-def: $vgpr28
                                        ; implicit-def: $vgpr27
                                        ; implicit-def: $vgpr26
                                        ; implicit-def: $vgpr25
                                        ; implicit-def: $vgpr24
                                        ; implicit-def: $vgpr23
                                        ; implicit-def: $vgpr22
                                        ; implicit-def: $vgpr21
	s_andn2_saveexec_b64 s[0:1], s[34:35]
	s_cbranch_execz .LBB1935_196
.LBB1935_274:
	v_sub_u32_e32 v9, v83, v8
	v_lshlrev_b32_e32 v9, 3, v9
	ds_write_b64 v9, v[76:77]
	v_sub_u32_e32 v9, v33, v8
	v_lshlrev_b32_e32 v9, 3, v9
	ds_write_b64 v9, v[52:53]
	;; [unrolled: 3-line block ×13, first 2 shown]
	v_sub_u32_e32 v9, v21, v8
	v_lshlrev_b32_e32 v9, 3, v9
	s_or_b64 s[36:37], s[36:37], exec
	ds_write_b64 v9, v[78:79]
	s_or_b64 exec, exec, s[0:1]
	s_and_b64 exec, exec, s[36:37]
	s_cbranch_execnz .LBB1935_197
	s_branch .LBB1935_198
.LBB1935_275:
	v_sub_u32_e32 v38, v83, v50
	v_mov_b32_e32 v39, 0
	v_lshlrev_b64 v[38:39], 2, v[38:39]
	v_add_co_u32_e32 v38, vcc, v34, v38
	v_addc_co_u32_e32 v39, vcc, v35, v39, vcc
	global_store_dword v[38:39], v16, off
	s_or_b64 exec, exec, s[38:39]
	s_and_saveexec_b64 s[38:39], s[28:29]
	s_cbranch_execz .LBB1935_209
.LBB1935_276:
	v_sub_u32_e32 v38, v33, v50
	v_mov_b32_e32 v39, 0
	v_lshlrev_b64 v[38:39], 2, v[38:39]
	v_add_co_u32_e32 v38, vcc, v34, v38
	v_addc_co_u32_e32 v39, vcc, v35, v39, vcc
	global_store_dword v[38:39], v17, off
	s_or_b64 exec, exec, s[38:39]
	s_and_saveexec_b64 s[38:39], s[26:27]
	s_cbranch_execz .LBB1935_210
.LBB1935_277:
	v_sub_u32_e32 v38, v32, v50
	v_mov_b32_e32 v39, 0
	v_lshlrev_b64 v[38:39], 2, v[38:39]
	v_add_co_u32_e32 v38, vcc, v34, v38
	v_addc_co_u32_e32 v39, vcc, v35, v39, vcc
	global_store_dword v[38:39], v14, off
	s_or_b64 exec, exec, s[38:39]
	s_and_saveexec_b64 s[38:39], s[24:25]
	s_cbranch_execz .LBB1935_211
.LBB1935_278:
	v_sub_u32_e32 v38, v31, v50
	v_mov_b32_e32 v39, 0
	v_lshlrev_b64 v[38:39], 2, v[38:39]
	v_add_co_u32_e32 v38, vcc, v34, v38
	v_addc_co_u32_e32 v39, vcc, v35, v39, vcc
	global_store_dword v[38:39], v15, off
	s_or_b64 exec, exec, s[38:39]
	s_and_saveexec_b64 s[38:39], s[22:23]
	s_cbranch_execz .LBB1935_212
.LBB1935_279:
	v_sub_u32_e32 v38, v30, v50
	v_mov_b32_e32 v39, 0
	v_lshlrev_b64 v[38:39], 2, v[38:39]
	v_add_co_u32_e32 v38, vcc, v34, v38
	v_addc_co_u32_e32 v39, vcc, v35, v39, vcc
	global_store_dword v[38:39], v12, off
	s_or_b64 exec, exec, s[38:39]
	s_and_saveexec_b64 s[38:39], s[20:21]
	s_cbranch_execz .LBB1935_213
.LBB1935_280:
	v_sub_u32_e32 v38, v29, v50
	v_mov_b32_e32 v39, 0
	v_lshlrev_b64 v[38:39], 2, v[38:39]
	v_add_co_u32_e32 v38, vcc, v34, v38
	v_addc_co_u32_e32 v39, vcc, v35, v39, vcc
	global_store_dword v[38:39], v13, off
	s_or_b64 exec, exec, s[38:39]
	s_and_saveexec_b64 s[38:39], s[18:19]
	s_cbranch_execz .LBB1935_214
.LBB1935_281:
	v_sub_u32_e32 v38, v28, v50
	v_mov_b32_e32 v39, 0
	v_lshlrev_b64 v[38:39], 2, v[38:39]
	v_add_co_u32_e32 v38, vcc, v34, v38
	v_addc_co_u32_e32 v39, vcc, v35, v39, vcc
	global_store_dword v[38:39], v10, off
	s_or_b64 exec, exec, s[38:39]
	s_and_saveexec_b64 s[38:39], s[16:17]
	s_cbranch_execz .LBB1935_215
.LBB1935_282:
	v_sub_u32_e32 v38, v27, v50
	v_mov_b32_e32 v39, 0
	v_lshlrev_b64 v[38:39], 2, v[38:39]
	v_add_co_u32_e32 v38, vcc, v34, v38
	v_addc_co_u32_e32 v39, vcc, v35, v39, vcc
	global_store_dword v[38:39], v11, off
	s_or_b64 exec, exec, s[38:39]
	s_and_saveexec_b64 s[38:39], s[14:15]
	s_cbranch_execz .LBB1935_216
.LBB1935_283:
	v_sub_u32_e32 v38, v26, v50
	v_mov_b32_e32 v39, 0
	v_lshlrev_b64 v[38:39], 2, v[38:39]
	v_add_co_u32_e32 v38, vcc, v34, v38
	v_addc_co_u32_e32 v39, vcc, v35, v39, vcc
	global_store_dword v[38:39], v8, off
	s_or_b64 exec, exec, s[38:39]
	s_and_saveexec_b64 s[38:39], s[12:13]
	s_cbranch_execz .LBB1935_217
.LBB1935_284:
	v_sub_u32_e32 v38, v25, v50
	v_mov_b32_e32 v39, 0
	v_lshlrev_b64 v[38:39], 2, v[38:39]
	v_add_co_u32_e32 v38, vcc, v34, v38
	v_addc_co_u32_e32 v39, vcc, v35, v39, vcc
	global_store_dword v[38:39], v9, off
	s_or_b64 exec, exec, s[38:39]
	s_and_saveexec_b64 s[38:39], s[10:11]
	s_cbranch_execz .LBB1935_218
.LBB1935_285:
	v_sub_u32_e32 v38, v24, v50
	v_mov_b32_e32 v39, 0
	v_lshlrev_b64 v[38:39], 2, v[38:39]
	v_add_co_u32_e32 v38, vcc, v34, v38
	v_addc_co_u32_e32 v39, vcc, v35, v39, vcc
	global_store_dword v[38:39], v6, off
	s_or_b64 exec, exec, s[38:39]
	s_and_saveexec_b64 s[38:39], s[8:9]
	s_cbranch_execz .LBB1935_219
.LBB1935_286:
	v_sub_u32_e32 v38, v23, v50
	v_mov_b32_e32 v39, 0
	v_lshlrev_b64 v[38:39], 2, v[38:39]
	v_add_co_u32_e32 v38, vcc, v34, v38
	v_addc_co_u32_e32 v39, vcc, v35, v39, vcc
	global_store_dword v[38:39], v7, off
	s_or_b64 exec, exec, s[38:39]
	s_and_saveexec_b64 s[38:39], s[6:7]
	s_cbranch_execz .LBB1935_220
.LBB1935_287:
	v_sub_u32_e32 v38, v22, v50
	v_mov_b32_e32 v39, 0
	v_lshlrev_b64 v[38:39], 2, v[38:39]
	v_add_co_u32_e32 v38, vcc, v34, v38
	v_addc_co_u32_e32 v39, vcc, v35, v39, vcc
	global_store_dword v[38:39], v4, off
	s_or_b64 exec, exec, s[38:39]
	s_and_saveexec_b64 s[38:39], s[4:5]
	s_cbranch_execnz .LBB1935_221
	s_branch .LBB1935_222
.LBB1935_288:
	v_sub_u32_e32 v36, v83, v50
	v_lshlrev_b32_e32 v36, 2, v36
	ds_write_b32 v36, v16
	s_or_b64 exec, exec, s[38:39]
	s_and_saveexec_b64 s[30:31], s[28:29]
	s_cbranch_execz .LBB1935_226
.LBB1935_289:
	v_sub_u32_e32 v16, v33, v50
	v_lshlrev_b32_e32 v16, 2, v16
	ds_write_b32 v16, v17
	s_or_b64 exec, exec, s[30:31]
	s_and_saveexec_b64 s[28:29], s[26:27]
	s_cbranch_execz .LBB1935_227
.LBB1935_290:
	v_sub_u32_e32 v16, v32, v50
	v_lshlrev_b32_e32 v16, 2, v16
	ds_write_b32 v16, v14
	s_or_b64 exec, exec, s[28:29]
	s_and_saveexec_b64 s[26:27], s[24:25]
	s_cbranch_execz .LBB1935_228
.LBB1935_291:
	v_sub_u32_e32 v14, v31, v50
	v_lshlrev_b32_e32 v14, 2, v14
	ds_write_b32 v14, v15
	s_or_b64 exec, exec, s[26:27]
	s_and_saveexec_b64 s[24:25], s[22:23]
	s_cbranch_execz .LBB1935_229
.LBB1935_292:
	v_sub_u32_e32 v14, v30, v50
	v_lshlrev_b32_e32 v14, 2, v14
	ds_write_b32 v14, v12
	s_or_b64 exec, exec, s[24:25]
	s_and_saveexec_b64 s[22:23], s[20:21]
	s_cbranch_execz .LBB1935_230
.LBB1935_293:
	v_sub_u32_e32 v12, v29, v50
	v_lshlrev_b32_e32 v12, 2, v12
	ds_write_b32 v12, v13
	s_or_b64 exec, exec, s[22:23]
	s_and_saveexec_b64 s[20:21], s[18:19]
	s_cbranch_execz .LBB1935_231
.LBB1935_294:
	v_sub_u32_e32 v12, v28, v50
	v_lshlrev_b32_e32 v12, 2, v12
	ds_write_b32 v12, v10
	s_or_b64 exec, exec, s[20:21]
	s_and_saveexec_b64 s[18:19], s[16:17]
	s_cbranch_execz .LBB1935_232
.LBB1935_295:
	v_sub_u32_e32 v10, v27, v50
	v_lshlrev_b32_e32 v10, 2, v10
	ds_write_b32 v10, v11
	s_or_b64 exec, exec, s[18:19]
	s_and_saveexec_b64 s[16:17], s[14:15]
	s_cbranch_execz .LBB1935_233
.LBB1935_296:
	v_sub_u32_e32 v10, v26, v50
	v_lshlrev_b32_e32 v10, 2, v10
	ds_write_b32 v10, v8
	s_or_b64 exec, exec, s[16:17]
	s_and_saveexec_b64 s[14:15], s[12:13]
	s_cbranch_execz .LBB1935_234
.LBB1935_297:
	v_sub_u32_e32 v8, v25, v50
	v_lshlrev_b32_e32 v8, 2, v8
	ds_write_b32 v8, v9
	s_or_b64 exec, exec, s[14:15]
	s_and_saveexec_b64 s[12:13], s[10:11]
	s_cbranch_execz .LBB1935_235
.LBB1935_298:
	v_sub_u32_e32 v8, v24, v50
	v_lshlrev_b32_e32 v8, 2, v8
	ds_write_b32 v8, v6
	s_or_b64 exec, exec, s[12:13]
	s_and_saveexec_b64 s[10:11], s[8:9]
	s_cbranch_execz .LBB1935_236
.LBB1935_299:
	v_sub_u32_e32 v6, v23, v50
	v_lshlrev_b32_e32 v6, 2, v6
	ds_write_b32 v6, v7
	s_or_b64 exec, exec, s[10:11]
	s_and_saveexec_b64 s[8:9], s[6:7]
	s_cbranch_execz .LBB1935_237
.LBB1935_300:
	v_sub_u32_e32 v6, v22, v50
	v_lshlrev_b32_e32 v6, 2, v6
	ds_write_b32 v6, v4
	s_or_b64 exec, exec, s[8:9]
	s_and_saveexec_b64 s[6:7], s[4:5]
	s_cbranch_execnz .LBB1935_238
	s_branch .LBB1935_239
.LBB1935_301:
	v_sub_u32_e32 v10, v83, v8
	v_mov_b32_e32 v11, 0
	v_lshlrev_b64 v[10:11], 3, v[10:11]
	v_add_co_u32_e32 v10, vcc, v6, v10
	v_addc_co_u32_e32 v11, vcc, v7, v11, vcc
	global_store_dwordx2 v[10:11], v[76:77], off
	s_or_b64 exec, exec, s[36:37]
	s_and_saveexec_b64 s[36:37], s[26:27]
	s_cbranch_execz .LBB1935_243
.LBB1935_302:
	v_sub_u32_e32 v10, v33, v8
	v_mov_b32_e32 v11, 0
	v_lshlrev_b64 v[10:11], 3, v[10:11]
	v_add_co_u32_e32 v10, vcc, v6, v10
	v_addc_co_u32_e32 v11, vcc, v7, v11, vcc
	global_store_dwordx2 v[10:11], v[52:53], off
	s_or_b64 exec, exec, s[36:37]
	s_and_saveexec_b64 s[36:37], s[24:25]
	s_cbranch_execz .LBB1935_244
.LBB1935_303:
	v_sub_u32_e32 v10, v32, v8
	v_mov_b32_e32 v11, 0
	v_lshlrev_b64 v[10:11], 3, v[10:11]
	v_add_co_u32_e32 v10, vcc, v6, v10
	v_addc_co_u32_e32 v11, vcc, v7, v11, vcc
	global_store_dwordx2 v[10:11], v[54:55], off
	s_or_b64 exec, exec, s[36:37]
	s_and_saveexec_b64 s[36:37], s[22:23]
	s_cbranch_execz .LBB1935_245
.LBB1935_304:
	v_sub_u32_e32 v10, v31, v8
	v_mov_b32_e32 v11, 0
	v_lshlrev_b64 v[10:11], 3, v[10:11]
	v_add_co_u32_e32 v10, vcc, v6, v10
	v_addc_co_u32_e32 v11, vcc, v7, v11, vcc
	global_store_dwordx2 v[10:11], v[56:57], off
	s_or_b64 exec, exec, s[36:37]
	s_and_saveexec_b64 s[36:37], s[20:21]
	s_cbranch_execz .LBB1935_246
.LBB1935_305:
	v_sub_u32_e32 v10, v30, v8
	v_mov_b32_e32 v11, 0
	v_lshlrev_b64 v[10:11], 3, v[10:11]
	v_add_co_u32_e32 v10, vcc, v6, v10
	v_addc_co_u32_e32 v11, vcc, v7, v11, vcc
	global_store_dwordx2 v[10:11], v[58:59], off
	s_or_b64 exec, exec, s[36:37]
	s_and_saveexec_b64 s[36:37], s[18:19]
	s_cbranch_execz .LBB1935_247
.LBB1935_306:
	v_sub_u32_e32 v10, v29, v8
	v_mov_b32_e32 v11, 0
	v_lshlrev_b64 v[10:11], 3, v[10:11]
	v_add_co_u32_e32 v10, vcc, v6, v10
	v_addc_co_u32_e32 v11, vcc, v7, v11, vcc
	global_store_dwordx2 v[10:11], v[60:61], off
	s_or_b64 exec, exec, s[36:37]
	s_and_saveexec_b64 s[36:37], s[16:17]
	s_cbranch_execz .LBB1935_248
.LBB1935_307:
	v_sub_u32_e32 v10, v28, v8
	v_mov_b32_e32 v11, 0
	v_lshlrev_b64 v[10:11], 3, v[10:11]
	v_add_co_u32_e32 v10, vcc, v6, v10
	v_addc_co_u32_e32 v11, vcc, v7, v11, vcc
	global_store_dwordx2 v[10:11], v[62:63], off
	s_or_b64 exec, exec, s[36:37]
	s_and_saveexec_b64 s[36:37], s[14:15]
	s_cbranch_execz .LBB1935_249
.LBB1935_308:
	v_sub_u32_e32 v10, v27, v8
	v_mov_b32_e32 v11, 0
	v_lshlrev_b64 v[10:11], 3, v[10:11]
	v_add_co_u32_e32 v10, vcc, v6, v10
	v_addc_co_u32_e32 v11, vcc, v7, v11, vcc
	global_store_dwordx2 v[10:11], v[64:65], off
	s_or_b64 exec, exec, s[36:37]
	s_and_saveexec_b64 s[36:37], s[12:13]
	s_cbranch_execz .LBB1935_250
.LBB1935_309:
	v_sub_u32_e32 v10, v26, v8
	v_mov_b32_e32 v11, 0
	v_lshlrev_b64 v[10:11], 3, v[10:11]
	v_add_co_u32_e32 v10, vcc, v6, v10
	v_addc_co_u32_e32 v11, vcc, v7, v11, vcc
	global_store_dwordx2 v[10:11], v[66:67], off
	s_or_b64 exec, exec, s[36:37]
	s_and_saveexec_b64 s[36:37], s[10:11]
	s_cbranch_execz .LBB1935_251
.LBB1935_310:
	v_sub_u32_e32 v10, v25, v8
	v_mov_b32_e32 v11, 0
	v_lshlrev_b64 v[10:11], 3, v[10:11]
	v_add_co_u32_e32 v10, vcc, v6, v10
	v_addc_co_u32_e32 v11, vcc, v7, v11, vcc
	global_store_dwordx2 v[10:11], v[68:69], off
	s_or_b64 exec, exec, s[36:37]
	s_and_saveexec_b64 s[36:37], s[8:9]
	s_cbranch_execz .LBB1935_252
.LBB1935_311:
	v_sub_u32_e32 v10, v24, v8
	v_mov_b32_e32 v11, 0
	v_lshlrev_b64 v[10:11], 3, v[10:11]
	v_add_co_u32_e32 v10, vcc, v6, v10
	v_addc_co_u32_e32 v11, vcc, v7, v11, vcc
	global_store_dwordx2 v[10:11], v[70:71], off
	s_or_b64 exec, exec, s[36:37]
	s_and_saveexec_b64 s[36:37], s[6:7]
	s_cbranch_execz .LBB1935_253
.LBB1935_312:
	v_sub_u32_e32 v10, v23, v8
	v_mov_b32_e32 v11, 0
	v_lshlrev_b64 v[10:11], 3, v[10:11]
	v_add_co_u32_e32 v10, vcc, v6, v10
	v_addc_co_u32_e32 v11, vcc, v7, v11, vcc
	global_store_dwordx2 v[10:11], v[72:73], off
	s_or_b64 exec, exec, s[36:37]
	s_and_saveexec_b64 s[36:37], s[4:5]
	s_cbranch_execz .LBB1935_254
.LBB1935_313:
	v_sub_u32_e32 v10, v22, v8
	v_mov_b32_e32 v11, 0
	v_lshlrev_b64 v[10:11], 3, v[10:11]
	v_add_co_u32_e32 v10, vcc, v6, v10
	v_addc_co_u32_e32 v11, vcc, v7, v11, vcc
	global_store_dwordx2 v[10:11], v[74:75], off
	s_or_b64 exec, exec, s[36:37]
	s_and_saveexec_b64 s[36:37], s[2:3]
	s_cbranch_execnz .LBB1935_255
	s_branch .LBB1935_256
.LBB1935_314:
	v_sub_u32_e32 v9, v83, v8
	v_lshlrev_b32_e32 v9, 3, v9
	ds_write_b64 v9, v[76:77]
	s_or_b64 exec, exec, s[36:37]
	s_and_saveexec_b64 s[28:29], s[26:27]
	s_cbranch_execz .LBB1935_260
.LBB1935_315:
	v_sub_u32_e32 v9, v33, v8
	v_lshlrev_b32_e32 v9, 3, v9
	ds_write_b64 v9, v[52:53]
	s_or_b64 exec, exec, s[28:29]
	s_and_saveexec_b64 s[26:27], s[24:25]
	s_cbranch_execz .LBB1935_261
.LBB1935_316:
	v_sub_u32_e32 v9, v32, v8
	v_lshlrev_b32_e32 v9, 3, v9
	ds_write_b64 v9, v[54:55]
	s_or_b64 exec, exec, s[26:27]
	s_and_saveexec_b64 s[24:25], s[22:23]
	s_cbranch_execz .LBB1935_262
.LBB1935_317:
	v_sub_u32_e32 v9, v31, v8
	v_lshlrev_b32_e32 v9, 3, v9
	ds_write_b64 v9, v[56:57]
	s_or_b64 exec, exec, s[24:25]
	s_and_saveexec_b64 s[22:23], s[20:21]
	s_cbranch_execz .LBB1935_263
.LBB1935_318:
	v_sub_u32_e32 v9, v30, v8
	v_lshlrev_b32_e32 v9, 3, v9
	ds_write_b64 v9, v[58:59]
	s_or_b64 exec, exec, s[22:23]
	s_and_saveexec_b64 s[20:21], s[18:19]
	s_cbranch_execz .LBB1935_264
.LBB1935_319:
	v_sub_u32_e32 v9, v29, v8
	v_lshlrev_b32_e32 v9, 3, v9
	ds_write_b64 v9, v[60:61]
	s_or_b64 exec, exec, s[20:21]
	s_and_saveexec_b64 s[18:19], s[16:17]
	s_cbranch_execz .LBB1935_265
.LBB1935_320:
	v_sub_u32_e32 v9, v28, v8
	v_lshlrev_b32_e32 v9, 3, v9
	ds_write_b64 v9, v[62:63]
	s_or_b64 exec, exec, s[18:19]
	s_and_saveexec_b64 s[16:17], s[14:15]
	s_cbranch_execz .LBB1935_266
.LBB1935_321:
	v_sub_u32_e32 v9, v27, v8
	v_lshlrev_b32_e32 v9, 3, v9
	ds_write_b64 v9, v[64:65]
	s_or_b64 exec, exec, s[16:17]
	s_and_saveexec_b64 s[14:15], s[12:13]
	s_cbranch_execz .LBB1935_267
.LBB1935_322:
	v_sub_u32_e32 v9, v26, v8
	v_lshlrev_b32_e32 v9, 3, v9
	ds_write_b64 v9, v[66:67]
	s_or_b64 exec, exec, s[14:15]
	s_and_saveexec_b64 s[12:13], s[10:11]
	s_cbranch_execz .LBB1935_268
.LBB1935_323:
	v_sub_u32_e32 v9, v25, v8
	v_lshlrev_b32_e32 v9, 3, v9
	ds_write_b64 v9, v[68:69]
	s_or_b64 exec, exec, s[12:13]
	s_and_saveexec_b64 s[10:11], s[8:9]
	s_cbranch_execz .LBB1935_269
.LBB1935_324:
	v_sub_u32_e32 v9, v24, v8
	v_lshlrev_b32_e32 v9, 3, v9
	ds_write_b64 v9, v[70:71]
	s_or_b64 exec, exec, s[10:11]
	s_and_saveexec_b64 s[8:9], s[6:7]
	s_cbranch_execz .LBB1935_270
.LBB1935_325:
	v_sub_u32_e32 v9, v23, v8
	v_lshlrev_b32_e32 v9, 3, v9
	ds_write_b64 v9, v[72:73]
	s_or_b64 exec, exec, s[8:9]
	s_and_saveexec_b64 s[6:7], s[4:5]
	s_cbranch_execz .LBB1935_271
.LBB1935_326:
	v_sub_u32_e32 v9, v22, v8
	v_lshlrev_b32_e32 v9, 3, v9
	ds_write_b64 v9, v[74:75]
	s_or_b64 exec, exec, s[6:7]
	s_and_saveexec_b64 s[4:5], s[2:3]
	s_cbranch_execnz .LBB1935_272
	s_branch .LBB1935_273
	.section	.rodata,"a",@progbits
	.p2align	6, 0x0
	.amdhsa_kernel _ZN7rocprim17ROCPRIM_400000_NS6detail17trampoline_kernelINS0_14default_configENS1_29reduce_by_key_config_selectorIflN6thrust23THRUST_200600_302600_NS4plusIlEEEEZZNS1_33reduce_by_key_impl_wrapped_configILNS1_25lookback_scan_determinismE0ES3_S9_PfNS6_17constant_iteratorIiNS6_11use_defaultESE_EENS6_10device_ptrIfEENSG_IlEEPmS8_NS6_8equal_toIfEEEE10hipError_tPvRmT2_T3_mT4_T5_T6_T7_T8_P12ihipStream_tbENKUlT_T0_E_clISt17integral_constantIbLb0EES12_IbLb1EEEEDaSY_SZ_EUlSY_E_NS1_11comp_targetILNS1_3genE4ELNS1_11target_archE910ELNS1_3gpuE8ELNS1_3repE0EEENS1_30default_config_static_selectorELNS0_4arch9wavefront6targetE1EEEvT1_
		.amdhsa_group_segment_fixed_size 30720
		.amdhsa_private_segment_fixed_size 0
		.amdhsa_kernarg_size 144
		.amdhsa_user_sgpr_count 6
		.amdhsa_user_sgpr_private_segment_buffer 1
		.amdhsa_user_sgpr_dispatch_ptr 0
		.amdhsa_user_sgpr_queue_ptr 0
		.amdhsa_user_sgpr_kernarg_segment_ptr 1
		.amdhsa_user_sgpr_dispatch_id 0
		.amdhsa_user_sgpr_flat_scratch_init 0
		.amdhsa_user_sgpr_kernarg_preload_length 0
		.amdhsa_user_sgpr_kernarg_preload_offset 0
		.amdhsa_user_sgpr_private_segment_size 0
		.amdhsa_uses_dynamic_stack 0
		.amdhsa_system_sgpr_private_segment_wavefront_offset 0
		.amdhsa_system_sgpr_workgroup_id_x 1
		.amdhsa_system_sgpr_workgroup_id_y 0
		.amdhsa_system_sgpr_workgroup_id_z 0
		.amdhsa_system_sgpr_workgroup_info 0
		.amdhsa_system_vgpr_workitem_id 0
		.amdhsa_next_free_vgpr 122
		.amdhsa_next_free_sgpr 64
		.amdhsa_accum_offset 124
		.amdhsa_reserve_vcc 1
		.amdhsa_reserve_flat_scratch 0
		.amdhsa_float_round_mode_32 0
		.amdhsa_float_round_mode_16_64 0
		.amdhsa_float_denorm_mode_32 3
		.amdhsa_float_denorm_mode_16_64 3
		.amdhsa_dx10_clamp 1
		.amdhsa_ieee_mode 1
		.amdhsa_fp16_overflow 0
		.amdhsa_tg_split 0
		.amdhsa_exception_fp_ieee_invalid_op 0
		.amdhsa_exception_fp_denorm_src 0
		.amdhsa_exception_fp_ieee_div_zero 0
		.amdhsa_exception_fp_ieee_overflow 0
		.amdhsa_exception_fp_ieee_underflow 0
		.amdhsa_exception_fp_ieee_inexact 0
		.amdhsa_exception_int_div_zero 0
	.end_amdhsa_kernel
	.section	.text._ZN7rocprim17ROCPRIM_400000_NS6detail17trampoline_kernelINS0_14default_configENS1_29reduce_by_key_config_selectorIflN6thrust23THRUST_200600_302600_NS4plusIlEEEEZZNS1_33reduce_by_key_impl_wrapped_configILNS1_25lookback_scan_determinismE0ES3_S9_PfNS6_17constant_iteratorIiNS6_11use_defaultESE_EENS6_10device_ptrIfEENSG_IlEEPmS8_NS6_8equal_toIfEEEE10hipError_tPvRmT2_T3_mT4_T5_T6_T7_T8_P12ihipStream_tbENKUlT_T0_E_clISt17integral_constantIbLb0EES12_IbLb1EEEEDaSY_SZ_EUlSY_E_NS1_11comp_targetILNS1_3genE4ELNS1_11target_archE910ELNS1_3gpuE8ELNS1_3repE0EEENS1_30default_config_static_selectorELNS0_4arch9wavefront6targetE1EEEvT1_,"axG",@progbits,_ZN7rocprim17ROCPRIM_400000_NS6detail17trampoline_kernelINS0_14default_configENS1_29reduce_by_key_config_selectorIflN6thrust23THRUST_200600_302600_NS4plusIlEEEEZZNS1_33reduce_by_key_impl_wrapped_configILNS1_25lookback_scan_determinismE0ES3_S9_PfNS6_17constant_iteratorIiNS6_11use_defaultESE_EENS6_10device_ptrIfEENSG_IlEEPmS8_NS6_8equal_toIfEEEE10hipError_tPvRmT2_T3_mT4_T5_T6_T7_T8_P12ihipStream_tbENKUlT_T0_E_clISt17integral_constantIbLb0EES12_IbLb1EEEEDaSY_SZ_EUlSY_E_NS1_11comp_targetILNS1_3genE4ELNS1_11target_archE910ELNS1_3gpuE8ELNS1_3repE0EEENS1_30default_config_static_selectorELNS0_4arch9wavefront6targetE1EEEvT1_,comdat
.Lfunc_end1935:
	.size	_ZN7rocprim17ROCPRIM_400000_NS6detail17trampoline_kernelINS0_14default_configENS1_29reduce_by_key_config_selectorIflN6thrust23THRUST_200600_302600_NS4plusIlEEEEZZNS1_33reduce_by_key_impl_wrapped_configILNS1_25lookback_scan_determinismE0ES3_S9_PfNS6_17constant_iteratorIiNS6_11use_defaultESE_EENS6_10device_ptrIfEENSG_IlEEPmS8_NS6_8equal_toIfEEEE10hipError_tPvRmT2_T3_mT4_T5_T6_T7_T8_P12ihipStream_tbENKUlT_T0_E_clISt17integral_constantIbLb0EES12_IbLb1EEEEDaSY_SZ_EUlSY_E_NS1_11comp_targetILNS1_3genE4ELNS1_11target_archE910ELNS1_3gpuE8ELNS1_3repE0EEENS1_30default_config_static_selectorELNS0_4arch9wavefront6targetE1EEEvT1_, .Lfunc_end1935-_ZN7rocprim17ROCPRIM_400000_NS6detail17trampoline_kernelINS0_14default_configENS1_29reduce_by_key_config_selectorIflN6thrust23THRUST_200600_302600_NS4plusIlEEEEZZNS1_33reduce_by_key_impl_wrapped_configILNS1_25lookback_scan_determinismE0ES3_S9_PfNS6_17constant_iteratorIiNS6_11use_defaultESE_EENS6_10device_ptrIfEENSG_IlEEPmS8_NS6_8equal_toIfEEEE10hipError_tPvRmT2_T3_mT4_T5_T6_T7_T8_P12ihipStream_tbENKUlT_T0_E_clISt17integral_constantIbLb0EES12_IbLb1EEEEDaSY_SZ_EUlSY_E_NS1_11comp_targetILNS1_3genE4ELNS1_11target_archE910ELNS1_3gpuE8ELNS1_3repE0EEENS1_30default_config_static_selectorELNS0_4arch9wavefront6targetE1EEEvT1_
                                        ; -- End function
	.section	.AMDGPU.csdata,"",@progbits
; Kernel info:
; codeLenInByte = 17168
; NumSgprs: 68
; NumVgprs: 122
; NumAgprs: 0
; TotalNumVgprs: 122
; ScratchSize: 0
; MemoryBound: 0
; FloatMode: 240
; IeeeMode: 1
; LDSByteSize: 30720 bytes/workgroup (compile time only)
; SGPRBlocks: 8
; VGPRBlocks: 15
; NumSGPRsForWavesPerEU: 68
; NumVGPRsForWavesPerEU: 122
; AccumOffset: 124
; Occupancy: 2
; WaveLimiterHint : 1
; COMPUTE_PGM_RSRC2:SCRATCH_EN: 0
; COMPUTE_PGM_RSRC2:USER_SGPR: 6
; COMPUTE_PGM_RSRC2:TRAP_HANDLER: 0
; COMPUTE_PGM_RSRC2:TGID_X_EN: 1
; COMPUTE_PGM_RSRC2:TGID_Y_EN: 0
; COMPUTE_PGM_RSRC2:TGID_Z_EN: 0
; COMPUTE_PGM_RSRC2:TIDIG_COMP_CNT: 0
; COMPUTE_PGM_RSRC3_GFX90A:ACCUM_OFFSET: 30
; COMPUTE_PGM_RSRC3_GFX90A:TG_SPLIT: 0
	.section	.text._ZN7rocprim17ROCPRIM_400000_NS6detail17trampoline_kernelINS0_14default_configENS1_29reduce_by_key_config_selectorIflN6thrust23THRUST_200600_302600_NS4plusIlEEEEZZNS1_33reduce_by_key_impl_wrapped_configILNS1_25lookback_scan_determinismE0ES3_S9_PfNS6_17constant_iteratorIiNS6_11use_defaultESE_EENS6_10device_ptrIfEENSG_IlEEPmS8_NS6_8equal_toIfEEEE10hipError_tPvRmT2_T3_mT4_T5_T6_T7_T8_P12ihipStream_tbENKUlT_T0_E_clISt17integral_constantIbLb0EES12_IbLb1EEEEDaSY_SZ_EUlSY_E_NS1_11comp_targetILNS1_3genE3ELNS1_11target_archE908ELNS1_3gpuE7ELNS1_3repE0EEENS1_30default_config_static_selectorELNS0_4arch9wavefront6targetE1EEEvT1_,"axG",@progbits,_ZN7rocprim17ROCPRIM_400000_NS6detail17trampoline_kernelINS0_14default_configENS1_29reduce_by_key_config_selectorIflN6thrust23THRUST_200600_302600_NS4plusIlEEEEZZNS1_33reduce_by_key_impl_wrapped_configILNS1_25lookback_scan_determinismE0ES3_S9_PfNS6_17constant_iteratorIiNS6_11use_defaultESE_EENS6_10device_ptrIfEENSG_IlEEPmS8_NS6_8equal_toIfEEEE10hipError_tPvRmT2_T3_mT4_T5_T6_T7_T8_P12ihipStream_tbENKUlT_T0_E_clISt17integral_constantIbLb0EES12_IbLb1EEEEDaSY_SZ_EUlSY_E_NS1_11comp_targetILNS1_3genE3ELNS1_11target_archE908ELNS1_3gpuE7ELNS1_3repE0EEENS1_30default_config_static_selectorELNS0_4arch9wavefront6targetE1EEEvT1_,comdat
	.protected	_ZN7rocprim17ROCPRIM_400000_NS6detail17trampoline_kernelINS0_14default_configENS1_29reduce_by_key_config_selectorIflN6thrust23THRUST_200600_302600_NS4plusIlEEEEZZNS1_33reduce_by_key_impl_wrapped_configILNS1_25lookback_scan_determinismE0ES3_S9_PfNS6_17constant_iteratorIiNS6_11use_defaultESE_EENS6_10device_ptrIfEENSG_IlEEPmS8_NS6_8equal_toIfEEEE10hipError_tPvRmT2_T3_mT4_T5_T6_T7_T8_P12ihipStream_tbENKUlT_T0_E_clISt17integral_constantIbLb0EES12_IbLb1EEEEDaSY_SZ_EUlSY_E_NS1_11comp_targetILNS1_3genE3ELNS1_11target_archE908ELNS1_3gpuE7ELNS1_3repE0EEENS1_30default_config_static_selectorELNS0_4arch9wavefront6targetE1EEEvT1_ ; -- Begin function _ZN7rocprim17ROCPRIM_400000_NS6detail17trampoline_kernelINS0_14default_configENS1_29reduce_by_key_config_selectorIflN6thrust23THRUST_200600_302600_NS4plusIlEEEEZZNS1_33reduce_by_key_impl_wrapped_configILNS1_25lookback_scan_determinismE0ES3_S9_PfNS6_17constant_iteratorIiNS6_11use_defaultESE_EENS6_10device_ptrIfEENSG_IlEEPmS8_NS6_8equal_toIfEEEE10hipError_tPvRmT2_T3_mT4_T5_T6_T7_T8_P12ihipStream_tbENKUlT_T0_E_clISt17integral_constantIbLb0EES12_IbLb1EEEEDaSY_SZ_EUlSY_E_NS1_11comp_targetILNS1_3genE3ELNS1_11target_archE908ELNS1_3gpuE7ELNS1_3repE0EEENS1_30default_config_static_selectorELNS0_4arch9wavefront6targetE1EEEvT1_
	.globl	_ZN7rocprim17ROCPRIM_400000_NS6detail17trampoline_kernelINS0_14default_configENS1_29reduce_by_key_config_selectorIflN6thrust23THRUST_200600_302600_NS4plusIlEEEEZZNS1_33reduce_by_key_impl_wrapped_configILNS1_25lookback_scan_determinismE0ES3_S9_PfNS6_17constant_iteratorIiNS6_11use_defaultESE_EENS6_10device_ptrIfEENSG_IlEEPmS8_NS6_8equal_toIfEEEE10hipError_tPvRmT2_T3_mT4_T5_T6_T7_T8_P12ihipStream_tbENKUlT_T0_E_clISt17integral_constantIbLb0EES12_IbLb1EEEEDaSY_SZ_EUlSY_E_NS1_11comp_targetILNS1_3genE3ELNS1_11target_archE908ELNS1_3gpuE7ELNS1_3repE0EEENS1_30default_config_static_selectorELNS0_4arch9wavefront6targetE1EEEvT1_
	.p2align	8
	.type	_ZN7rocprim17ROCPRIM_400000_NS6detail17trampoline_kernelINS0_14default_configENS1_29reduce_by_key_config_selectorIflN6thrust23THRUST_200600_302600_NS4plusIlEEEEZZNS1_33reduce_by_key_impl_wrapped_configILNS1_25lookback_scan_determinismE0ES3_S9_PfNS6_17constant_iteratorIiNS6_11use_defaultESE_EENS6_10device_ptrIfEENSG_IlEEPmS8_NS6_8equal_toIfEEEE10hipError_tPvRmT2_T3_mT4_T5_T6_T7_T8_P12ihipStream_tbENKUlT_T0_E_clISt17integral_constantIbLb0EES12_IbLb1EEEEDaSY_SZ_EUlSY_E_NS1_11comp_targetILNS1_3genE3ELNS1_11target_archE908ELNS1_3gpuE7ELNS1_3repE0EEENS1_30default_config_static_selectorELNS0_4arch9wavefront6targetE1EEEvT1_,@function
_ZN7rocprim17ROCPRIM_400000_NS6detail17trampoline_kernelINS0_14default_configENS1_29reduce_by_key_config_selectorIflN6thrust23THRUST_200600_302600_NS4plusIlEEEEZZNS1_33reduce_by_key_impl_wrapped_configILNS1_25lookback_scan_determinismE0ES3_S9_PfNS6_17constant_iteratorIiNS6_11use_defaultESE_EENS6_10device_ptrIfEENSG_IlEEPmS8_NS6_8equal_toIfEEEE10hipError_tPvRmT2_T3_mT4_T5_T6_T7_T8_P12ihipStream_tbENKUlT_T0_E_clISt17integral_constantIbLb0EES12_IbLb1EEEEDaSY_SZ_EUlSY_E_NS1_11comp_targetILNS1_3genE3ELNS1_11target_archE908ELNS1_3gpuE7ELNS1_3repE0EEENS1_30default_config_static_selectorELNS0_4arch9wavefront6targetE1EEEvT1_: ; @_ZN7rocprim17ROCPRIM_400000_NS6detail17trampoline_kernelINS0_14default_configENS1_29reduce_by_key_config_selectorIflN6thrust23THRUST_200600_302600_NS4plusIlEEEEZZNS1_33reduce_by_key_impl_wrapped_configILNS1_25lookback_scan_determinismE0ES3_S9_PfNS6_17constant_iteratorIiNS6_11use_defaultESE_EENS6_10device_ptrIfEENSG_IlEEPmS8_NS6_8equal_toIfEEEE10hipError_tPvRmT2_T3_mT4_T5_T6_T7_T8_P12ihipStream_tbENKUlT_T0_E_clISt17integral_constantIbLb0EES12_IbLb1EEEEDaSY_SZ_EUlSY_E_NS1_11comp_targetILNS1_3genE3ELNS1_11target_archE908ELNS1_3gpuE7ELNS1_3repE0EEENS1_30default_config_static_selectorELNS0_4arch9wavefront6targetE1EEEvT1_
; %bb.0:
	.section	.rodata,"a",@progbits
	.p2align	6, 0x0
	.amdhsa_kernel _ZN7rocprim17ROCPRIM_400000_NS6detail17trampoline_kernelINS0_14default_configENS1_29reduce_by_key_config_selectorIflN6thrust23THRUST_200600_302600_NS4plusIlEEEEZZNS1_33reduce_by_key_impl_wrapped_configILNS1_25lookback_scan_determinismE0ES3_S9_PfNS6_17constant_iteratorIiNS6_11use_defaultESE_EENS6_10device_ptrIfEENSG_IlEEPmS8_NS6_8equal_toIfEEEE10hipError_tPvRmT2_T3_mT4_T5_T6_T7_T8_P12ihipStream_tbENKUlT_T0_E_clISt17integral_constantIbLb0EES12_IbLb1EEEEDaSY_SZ_EUlSY_E_NS1_11comp_targetILNS1_3genE3ELNS1_11target_archE908ELNS1_3gpuE7ELNS1_3repE0EEENS1_30default_config_static_selectorELNS0_4arch9wavefront6targetE1EEEvT1_
		.amdhsa_group_segment_fixed_size 0
		.amdhsa_private_segment_fixed_size 0
		.amdhsa_kernarg_size 144
		.amdhsa_user_sgpr_count 6
		.amdhsa_user_sgpr_private_segment_buffer 1
		.amdhsa_user_sgpr_dispatch_ptr 0
		.amdhsa_user_sgpr_queue_ptr 0
		.amdhsa_user_sgpr_kernarg_segment_ptr 1
		.amdhsa_user_sgpr_dispatch_id 0
		.amdhsa_user_sgpr_flat_scratch_init 0
		.amdhsa_user_sgpr_kernarg_preload_length 0
		.amdhsa_user_sgpr_kernarg_preload_offset 0
		.amdhsa_user_sgpr_private_segment_size 0
		.amdhsa_uses_dynamic_stack 0
		.amdhsa_system_sgpr_private_segment_wavefront_offset 0
		.amdhsa_system_sgpr_workgroup_id_x 1
		.amdhsa_system_sgpr_workgroup_id_y 0
		.amdhsa_system_sgpr_workgroup_id_z 0
		.amdhsa_system_sgpr_workgroup_info 0
		.amdhsa_system_vgpr_workitem_id 0
		.amdhsa_next_free_vgpr 1
		.amdhsa_next_free_sgpr 0
		.amdhsa_accum_offset 4
		.amdhsa_reserve_vcc 0
		.amdhsa_reserve_flat_scratch 0
		.amdhsa_float_round_mode_32 0
		.amdhsa_float_round_mode_16_64 0
		.amdhsa_float_denorm_mode_32 3
		.amdhsa_float_denorm_mode_16_64 3
		.amdhsa_dx10_clamp 1
		.amdhsa_ieee_mode 1
		.amdhsa_fp16_overflow 0
		.amdhsa_tg_split 0
		.amdhsa_exception_fp_ieee_invalid_op 0
		.amdhsa_exception_fp_denorm_src 0
		.amdhsa_exception_fp_ieee_div_zero 0
		.amdhsa_exception_fp_ieee_overflow 0
		.amdhsa_exception_fp_ieee_underflow 0
		.amdhsa_exception_fp_ieee_inexact 0
		.amdhsa_exception_int_div_zero 0
	.end_amdhsa_kernel
	.section	.text._ZN7rocprim17ROCPRIM_400000_NS6detail17trampoline_kernelINS0_14default_configENS1_29reduce_by_key_config_selectorIflN6thrust23THRUST_200600_302600_NS4plusIlEEEEZZNS1_33reduce_by_key_impl_wrapped_configILNS1_25lookback_scan_determinismE0ES3_S9_PfNS6_17constant_iteratorIiNS6_11use_defaultESE_EENS6_10device_ptrIfEENSG_IlEEPmS8_NS6_8equal_toIfEEEE10hipError_tPvRmT2_T3_mT4_T5_T6_T7_T8_P12ihipStream_tbENKUlT_T0_E_clISt17integral_constantIbLb0EES12_IbLb1EEEEDaSY_SZ_EUlSY_E_NS1_11comp_targetILNS1_3genE3ELNS1_11target_archE908ELNS1_3gpuE7ELNS1_3repE0EEENS1_30default_config_static_selectorELNS0_4arch9wavefront6targetE1EEEvT1_,"axG",@progbits,_ZN7rocprim17ROCPRIM_400000_NS6detail17trampoline_kernelINS0_14default_configENS1_29reduce_by_key_config_selectorIflN6thrust23THRUST_200600_302600_NS4plusIlEEEEZZNS1_33reduce_by_key_impl_wrapped_configILNS1_25lookback_scan_determinismE0ES3_S9_PfNS6_17constant_iteratorIiNS6_11use_defaultESE_EENS6_10device_ptrIfEENSG_IlEEPmS8_NS6_8equal_toIfEEEE10hipError_tPvRmT2_T3_mT4_T5_T6_T7_T8_P12ihipStream_tbENKUlT_T0_E_clISt17integral_constantIbLb0EES12_IbLb1EEEEDaSY_SZ_EUlSY_E_NS1_11comp_targetILNS1_3genE3ELNS1_11target_archE908ELNS1_3gpuE7ELNS1_3repE0EEENS1_30default_config_static_selectorELNS0_4arch9wavefront6targetE1EEEvT1_,comdat
.Lfunc_end1936:
	.size	_ZN7rocprim17ROCPRIM_400000_NS6detail17trampoline_kernelINS0_14default_configENS1_29reduce_by_key_config_selectorIflN6thrust23THRUST_200600_302600_NS4plusIlEEEEZZNS1_33reduce_by_key_impl_wrapped_configILNS1_25lookback_scan_determinismE0ES3_S9_PfNS6_17constant_iteratorIiNS6_11use_defaultESE_EENS6_10device_ptrIfEENSG_IlEEPmS8_NS6_8equal_toIfEEEE10hipError_tPvRmT2_T3_mT4_T5_T6_T7_T8_P12ihipStream_tbENKUlT_T0_E_clISt17integral_constantIbLb0EES12_IbLb1EEEEDaSY_SZ_EUlSY_E_NS1_11comp_targetILNS1_3genE3ELNS1_11target_archE908ELNS1_3gpuE7ELNS1_3repE0EEENS1_30default_config_static_selectorELNS0_4arch9wavefront6targetE1EEEvT1_, .Lfunc_end1936-_ZN7rocprim17ROCPRIM_400000_NS6detail17trampoline_kernelINS0_14default_configENS1_29reduce_by_key_config_selectorIflN6thrust23THRUST_200600_302600_NS4plusIlEEEEZZNS1_33reduce_by_key_impl_wrapped_configILNS1_25lookback_scan_determinismE0ES3_S9_PfNS6_17constant_iteratorIiNS6_11use_defaultESE_EENS6_10device_ptrIfEENSG_IlEEPmS8_NS6_8equal_toIfEEEE10hipError_tPvRmT2_T3_mT4_T5_T6_T7_T8_P12ihipStream_tbENKUlT_T0_E_clISt17integral_constantIbLb0EES12_IbLb1EEEEDaSY_SZ_EUlSY_E_NS1_11comp_targetILNS1_3genE3ELNS1_11target_archE908ELNS1_3gpuE7ELNS1_3repE0EEENS1_30default_config_static_selectorELNS0_4arch9wavefront6targetE1EEEvT1_
                                        ; -- End function
	.section	.AMDGPU.csdata,"",@progbits
; Kernel info:
; codeLenInByte = 0
; NumSgprs: 4
; NumVgprs: 0
; NumAgprs: 0
; TotalNumVgprs: 0
; ScratchSize: 0
; MemoryBound: 0
; FloatMode: 240
; IeeeMode: 1
; LDSByteSize: 0 bytes/workgroup (compile time only)
; SGPRBlocks: 0
; VGPRBlocks: 0
; NumSGPRsForWavesPerEU: 4
; NumVGPRsForWavesPerEU: 1
; AccumOffset: 4
; Occupancy: 8
; WaveLimiterHint : 0
; COMPUTE_PGM_RSRC2:SCRATCH_EN: 0
; COMPUTE_PGM_RSRC2:USER_SGPR: 6
; COMPUTE_PGM_RSRC2:TRAP_HANDLER: 0
; COMPUTE_PGM_RSRC2:TGID_X_EN: 1
; COMPUTE_PGM_RSRC2:TGID_Y_EN: 0
; COMPUTE_PGM_RSRC2:TGID_Z_EN: 0
; COMPUTE_PGM_RSRC2:TIDIG_COMP_CNT: 0
; COMPUTE_PGM_RSRC3_GFX90A:ACCUM_OFFSET: 0
; COMPUTE_PGM_RSRC3_GFX90A:TG_SPLIT: 0
	.section	.text._ZN7rocprim17ROCPRIM_400000_NS6detail17trampoline_kernelINS0_14default_configENS1_29reduce_by_key_config_selectorIflN6thrust23THRUST_200600_302600_NS4plusIlEEEEZZNS1_33reduce_by_key_impl_wrapped_configILNS1_25lookback_scan_determinismE0ES3_S9_PfNS6_17constant_iteratorIiNS6_11use_defaultESE_EENS6_10device_ptrIfEENSG_IlEEPmS8_NS6_8equal_toIfEEEE10hipError_tPvRmT2_T3_mT4_T5_T6_T7_T8_P12ihipStream_tbENKUlT_T0_E_clISt17integral_constantIbLb0EES12_IbLb1EEEEDaSY_SZ_EUlSY_E_NS1_11comp_targetILNS1_3genE2ELNS1_11target_archE906ELNS1_3gpuE6ELNS1_3repE0EEENS1_30default_config_static_selectorELNS0_4arch9wavefront6targetE1EEEvT1_,"axG",@progbits,_ZN7rocprim17ROCPRIM_400000_NS6detail17trampoline_kernelINS0_14default_configENS1_29reduce_by_key_config_selectorIflN6thrust23THRUST_200600_302600_NS4plusIlEEEEZZNS1_33reduce_by_key_impl_wrapped_configILNS1_25lookback_scan_determinismE0ES3_S9_PfNS6_17constant_iteratorIiNS6_11use_defaultESE_EENS6_10device_ptrIfEENSG_IlEEPmS8_NS6_8equal_toIfEEEE10hipError_tPvRmT2_T3_mT4_T5_T6_T7_T8_P12ihipStream_tbENKUlT_T0_E_clISt17integral_constantIbLb0EES12_IbLb1EEEEDaSY_SZ_EUlSY_E_NS1_11comp_targetILNS1_3genE2ELNS1_11target_archE906ELNS1_3gpuE6ELNS1_3repE0EEENS1_30default_config_static_selectorELNS0_4arch9wavefront6targetE1EEEvT1_,comdat
	.protected	_ZN7rocprim17ROCPRIM_400000_NS6detail17trampoline_kernelINS0_14default_configENS1_29reduce_by_key_config_selectorIflN6thrust23THRUST_200600_302600_NS4plusIlEEEEZZNS1_33reduce_by_key_impl_wrapped_configILNS1_25lookback_scan_determinismE0ES3_S9_PfNS6_17constant_iteratorIiNS6_11use_defaultESE_EENS6_10device_ptrIfEENSG_IlEEPmS8_NS6_8equal_toIfEEEE10hipError_tPvRmT2_T3_mT4_T5_T6_T7_T8_P12ihipStream_tbENKUlT_T0_E_clISt17integral_constantIbLb0EES12_IbLb1EEEEDaSY_SZ_EUlSY_E_NS1_11comp_targetILNS1_3genE2ELNS1_11target_archE906ELNS1_3gpuE6ELNS1_3repE0EEENS1_30default_config_static_selectorELNS0_4arch9wavefront6targetE1EEEvT1_ ; -- Begin function _ZN7rocprim17ROCPRIM_400000_NS6detail17trampoline_kernelINS0_14default_configENS1_29reduce_by_key_config_selectorIflN6thrust23THRUST_200600_302600_NS4plusIlEEEEZZNS1_33reduce_by_key_impl_wrapped_configILNS1_25lookback_scan_determinismE0ES3_S9_PfNS6_17constant_iteratorIiNS6_11use_defaultESE_EENS6_10device_ptrIfEENSG_IlEEPmS8_NS6_8equal_toIfEEEE10hipError_tPvRmT2_T3_mT4_T5_T6_T7_T8_P12ihipStream_tbENKUlT_T0_E_clISt17integral_constantIbLb0EES12_IbLb1EEEEDaSY_SZ_EUlSY_E_NS1_11comp_targetILNS1_3genE2ELNS1_11target_archE906ELNS1_3gpuE6ELNS1_3repE0EEENS1_30default_config_static_selectorELNS0_4arch9wavefront6targetE1EEEvT1_
	.globl	_ZN7rocprim17ROCPRIM_400000_NS6detail17trampoline_kernelINS0_14default_configENS1_29reduce_by_key_config_selectorIflN6thrust23THRUST_200600_302600_NS4plusIlEEEEZZNS1_33reduce_by_key_impl_wrapped_configILNS1_25lookback_scan_determinismE0ES3_S9_PfNS6_17constant_iteratorIiNS6_11use_defaultESE_EENS6_10device_ptrIfEENSG_IlEEPmS8_NS6_8equal_toIfEEEE10hipError_tPvRmT2_T3_mT4_T5_T6_T7_T8_P12ihipStream_tbENKUlT_T0_E_clISt17integral_constantIbLb0EES12_IbLb1EEEEDaSY_SZ_EUlSY_E_NS1_11comp_targetILNS1_3genE2ELNS1_11target_archE906ELNS1_3gpuE6ELNS1_3repE0EEENS1_30default_config_static_selectorELNS0_4arch9wavefront6targetE1EEEvT1_
	.p2align	8
	.type	_ZN7rocprim17ROCPRIM_400000_NS6detail17trampoline_kernelINS0_14default_configENS1_29reduce_by_key_config_selectorIflN6thrust23THRUST_200600_302600_NS4plusIlEEEEZZNS1_33reduce_by_key_impl_wrapped_configILNS1_25lookback_scan_determinismE0ES3_S9_PfNS6_17constant_iteratorIiNS6_11use_defaultESE_EENS6_10device_ptrIfEENSG_IlEEPmS8_NS6_8equal_toIfEEEE10hipError_tPvRmT2_T3_mT4_T5_T6_T7_T8_P12ihipStream_tbENKUlT_T0_E_clISt17integral_constantIbLb0EES12_IbLb1EEEEDaSY_SZ_EUlSY_E_NS1_11comp_targetILNS1_3genE2ELNS1_11target_archE906ELNS1_3gpuE6ELNS1_3repE0EEENS1_30default_config_static_selectorELNS0_4arch9wavefront6targetE1EEEvT1_,@function
_ZN7rocprim17ROCPRIM_400000_NS6detail17trampoline_kernelINS0_14default_configENS1_29reduce_by_key_config_selectorIflN6thrust23THRUST_200600_302600_NS4plusIlEEEEZZNS1_33reduce_by_key_impl_wrapped_configILNS1_25lookback_scan_determinismE0ES3_S9_PfNS6_17constant_iteratorIiNS6_11use_defaultESE_EENS6_10device_ptrIfEENSG_IlEEPmS8_NS6_8equal_toIfEEEE10hipError_tPvRmT2_T3_mT4_T5_T6_T7_T8_P12ihipStream_tbENKUlT_T0_E_clISt17integral_constantIbLb0EES12_IbLb1EEEEDaSY_SZ_EUlSY_E_NS1_11comp_targetILNS1_3genE2ELNS1_11target_archE906ELNS1_3gpuE6ELNS1_3repE0EEENS1_30default_config_static_selectorELNS0_4arch9wavefront6targetE1EEEvT1_: ; @_ZN7rocprim17ROCPRIM_400000_NS6detail17trampoline_kernelINS0_14default_configENS1_29reduce_by_key_config_selectorIflN6thrust23THRUST_200600_302600_NS4plusIlEEEEZZNS1_33reduce_by_key_impl_wrapped_configILNS1_25lookback_scan_determinismE0ES3_S9_PfNS6_17constant_iteratorIiNS6_11use_defaultESE_EENS6_10device_ptrIfEENSG_IlEEPmS8_NS6_8equal_toIfEEEE10hipError_tPvRmT2_T3_mT4_T5_T6_T7_T8_P12ihipStream_tbENKUlT_T0_E_clISt17integral_constantIbLb0EES12_IbLb1EEEEDaSY_SZ_EUlSY_E_NS1_11comp_targetILNS1_3genE2ELNS1_11target_archE906ELNS1_3gpuE6ELNS1_3repE0EEENS1_30default_config_static_selectorELNS0_4arch9wavefront6targetE1EEEvT1_
; %bb.0:
	.section	.rodata,"a",@progbits
	.p2align	6, 0x0
	.amdhsa_kernel _ZN7rocprim17ROCPRIM_400000_NS6detail17trampoline_kernelINS0_14default_configENS1_29reduce_by_key_config_selectorIflN6thrust23THRUST_200600_302600_NS4plusIlEEEEZZNS1_33reduce_by_key_impl_wrapped_configILNS1_25lookback_scan_determinismE0ES3_S9_PfNS6_17constant_iteratorIiNS6_11use_defaultESE_EENS6_10device_ptrIfEENSG_IlEEPmS8_NS6_8equal_toIfEEEE10hipError_tPvRmT2_T3_mT4_T5_T6_T7_T8_P12ihipStream_tbENKUlT_T0_E_clISt17integral_constantIbLb0EES12_IbLb1EEEEDaSY_SZ_EUlSY_E_NS1_11comp_targetILNS1_3genE2ELNS1_11target_archE906ELNS1_3gpuE6ELNS1_3repE0EEENS1_30default_config_static_selectorELNS0_4arch9wavefront6targetE1EEEvT1_
		.amdhsa_group_segment_fixed_size 0
		.amdhsa_private_segment_fixed_size 0
		.amdhsa_kernarg_size 144
		.amdhsa_user_sgpr_count 6
		.amdhsa_user_sgpr_private_segment_buffer 1
		.amdhsa_user_sgpr_dispatch_ptr 0
		.amdhsa_user_sgpr_queue_ptr 0
		.amdhsa_user_sgpr_kernarg_segment_ptr 1
		.amdhsa_user_sgpr_dispatch_id 0
		.amdhsa_user_sgpr_flat_scratch_init 0
		.amdhsa_user_sgpr_kernarg_preload_length 0
		.amdhsa_user_sgpr_kernarg_preload_offset 0
		.amdhsa_user_sgpr_private_segment_size 0
		.amdhsa_uses_dynamic_stack 0
		.amdhsa_system_sgpr_private_segment_wavefront_offset 0
		.amdhsa_system_sgpr_workgroup_id_x 1
		.amdhsa_system_sgpr_workgroup_id_y 0
		.amdhsa_system_sgpr_workgroup_id_z 0
		.amdhsa_system_sgpr_workgroup_info 0
		.amdhsa_system_vgpr_workitem_id 0
		.amdhsa_next_free_vgpr 1
		.amdhsa_next_free_sgpr 0
		.amdhsa_accum_offset 4
		.amdhsa_reserve_vcc 0
		.amdhsa_reserve_flat_scratch 0
		.amdhsa_float_round_mode_32 0
		.amdhsa_float_round_mode_16_64 0
		.amdhsa_float_denorm_mode_32 3
		.amdhsa_float_denorm_mode_16_64 3
		.amdhsa_dx10_clamp 1
		.amdhsa_ieee_mode 1
		.amdhsa_fp16_overflow 0
		.amdhsa_tg_split 0
		.amdhsa_exception_fp_ieee_invalid_op 0
		.amdhsa_exception_fp_denorm_src 0
		.amdhsa_exception_fp_ieee_div_zero 0
		.amdhsa_exception_fp_ieee_overflow 0
		.amdhsa_exception_fp_ieee_underflow 0
		.amdhsa_exception_fp_ieee_inexact 0
		.amdhsa_exception_int_div_zero 0
	.end_amdhsa_kernel
	.section	.text._ZN7rocprim17ROCPRIM_400000_NS6detail17trampoline_kernelINS0_14default_configENS1_29reduce_by_key_config_selectorIflN6thrust23THRUST_200600_302600_NS4plusIlEEEEZZNS1_33reduce_by_key_impl_wrapped_configILNS1_25lookback_scan_determinismE0ES3_S9_PfNS6_17constant_iteratorIiNS6_11use_defaultESE_EENS6_10device_ptrIfEENSG_IlEEPmS8_NS6_8equal_toIfEEEE10hipError_tPvRmT2_T3_mT4_T5_T6_T7_T8_P12ihipStream_tbENKUlT_T0_E_clISt17integral_constantIbLb0EES12_IbLb1EEEEDaSY_SZ_EUlSY_E_NS1_11comp_targetILNS1_3genE2ELNS1_11target_archE906ELNS1_3gpuE6ELNS1_3repE0EEENS1_30default_config_static_selectorELNS0_4arch9wavefront6targetE1EEEvT1_,"axG",@progbits,_ZN7rocprim17ROCPRIM_400000_NS6detail17trampoline_kernelINS0_14default_configENS1_29reduce_by_key_config_selectorIflN6thrust23THRUST_200600_302600_NS4plusIlEEEEZZNS1_33reduce_by_key_impl_wrapped_configILNS1_25lookback_scan_determinismE0ES3_S9_PfNS6_17constant_iteratorIiNS6_11use_defaultESE_EENS6_10device_ptrIfEENSG_IlEEPmS8_NS6_8equal_toIfEEEE10hipError_tPvRmT2_T3_mT4_T5_T6_T7_T8_P12ihipStream_tbENKUlT_T0_E_clISt17integral_constantIbLb0EES12_IbLb1EEEEDaSY_SZ_EUlSY_E_NS1_11comp_targetILNS1_3genE2ELNS1_11target_archE906ELNS1_3gpuE6ELNS1_3repE0EEENS1_30default_config_static_selectorELNS0_4arch9wavefront6targetE1EEEvT1_,comdat
.Lfunc_end1937:
	.size	_ZN7rocprim17ROCPRIM_400000_NS6detail17trampoline_kernelINS0_14default_configENS1_29reduce_by_key_config_selectorIflN6thrust23THRUST_200600_302600_NS4plusIlEEEEZZNS1_33reduce_by_key_impl_wrapped_configILNS1_25lookback_scan_determinismE0ES3_S9_PfNS6_17constant_iteratorIiNS6_11use_defaultESE_EENS6_10device_ptrIfEENSG_IlEEPmS8_NS6_8equal_toIfEEEE10hipError_tPvRmT2_T3_mT4_T5_T6_T7_T8_P12ihipStream_tbENKUlT_T0_E_clISt17integral_constantIbLb0EES12_IbLb1EEEEDaSY_SZ_EUlSY_E_NS1_11comp_targetILNS1_3genE2ELNS1_11target_archE906ELNS1_3gpuE6ELNS1_3repE0EEENS1_30default_config_static_selectorELNS0_4arch9wavefront6targetE1EEEvT1_, .Lfunc_end1937-_ZN7rocprim17ROCPRIM_400000_NS6detail17trampoline_kernelINS0_14default_configENS1_29reduce_by_key_config_selectorIflN6thrust23THRUST_200600_302600_NS4plusIlEEEEZZNS1_33reduce_by_key_impl_wrapped_configILNS1_25lookback_scan_determinismE0ES3_S9_PfNS6_17constant_iteratorIiNS6_11use_defaultESE_EENS6_10device_ptrIfEENSG_IlEEPmS8_NS6_8equal_toIfEEEE10hipError_tPvRmT2_T3_mT4_T5_T6_T7_T8_P12ihipStream_tbENKUlT_T0_E_clISt17integral_constantIbLb0EES12_IbLb1EEEEDaSY_SZ_EUlSY_E_NS1_11comp_targetILNS1_3genE2ELNS1_11target_archE906ELNS1_3gpuE6ELNS1_3repE0EEENS1_30default_config_static_selectorELNS0_4arch9wavefront6targetE1EEEvT1_
                                        ; -- End function
	.section	.AMDGPU.csdata,"",@progbits
; Kernel info:
; codeLenInByte = 0
; NumSgprs: 4
; NumVgprs: 0
; NumAgprs: 0
; TotalNumVgprs: 0
; ScratchSize: 0
; MemoryBound: 0
; FloatMode: 240
; IeeeMode: 1
; LDSByteSize: 0 bytes/workgroup (compile time only)
; SGPRBlocks: 0
; VGPRBlocks: 0
; NumSGPRsForWavesPerEU: 4
; NumVGPRsForWavesPerEU: 1
; AccumOffset: 4
; Occupancy: 8
; WaveLimiterHint : 0
; COMPUTE_PGM_RSRC2:SCRATCH_EN: 0
; COMPUTE_PGM_RSRC2:USER_SGPR: 6
; COMPUTE_PGM_RSRC2:TRAP_HANDLER: 0
; COMPUTE_PGM_RSRC2:TGID_X_EN: 1
; COMPUTE_PGM_RSRC2:TGID_Y_EN: 0
; COMPUTE_PGM_RSRC2:TGID_Z_EN: 0
; COMPUTE_PGM_RSRC2:TIDIG_COMP_CNT: 0
; COMPUTE_PGM_RSRC3_GFX90A:ACCUM_OFFSET: 0
; COMPUTE_PGM_RSRC3_GFX90A:TG_SPLIT: 0
	.section	.text._ZN7rocprim17ROCPRIM_400000_NS6detail17trampoline_kernelINS0_14default_configENS1_29reduce_by_key_config_selectorIflN6thrust23THRUST_200600_302600_NS4plusIlEEEEZZNS1_33reduce_by_key_impl_wrapped_configILNS1_25lookback_scan_determinismE0ES3_S9_PfNS6_17constant_iteratorIiNS6_11use_defaultESE_EENS6_10device_ptrIfEENSG_IlEEPmS8_NS6_8equal_toIfEEEE10hipError_tPvRmT2_T3_mT4_T5_T6_T7_T8_P12ihipStream_tbENKUlT_T0_E_clISt17integral_constantIbLb0EES12_IbLb1EEEEDaSY_SZ_EUlSY_E_NS1_11comp_targetILNS1_3genE10ELNS1_11target_archE1201ELNS1_3gpuE5ELNS1_3repE0EEENS1_30default_config_static_selectorELNS0_4arch9wavefront6targetE1EEEvT1_,"axG",@progbits,_ZN7rocprim17ROCPRIM_400000_NS6detail17trampoline_kernelINS0_14default_configENS1_29reduce_by_key_config_selectorIflN6thrust23THRUST_200600_302600_NS4plusIlEEEEZZNS1_33reduce_by_key_impl_wrapped_configILNS1_25lookback_scan_determinismE0ES3_S9_PfNS6_17constant_iteratorIiNS6_11use_defaultESE_EENS6_10device_ptrIfEENSG_IlEEPmS8_NS6_8equal_toIfEEEE10hipError_tPvRmT2_T3_mT4_T5_T6_T7_T8_P12ihipStream_tbENKUlT_T0_E_clISt17integral_constantIbLb0EES12_IbLb1EEEEDaSY_SZ_EUlSY_E_NS1_11comp_targetILNS1_3genE10ELNS1_11target_archE1201ELNS1_3gpuE5ELNS1_3repE0EEENS1_30default_config_static_selectorELNS0_4arch9wavefront6targetE1EEEvT1_,comdat
	.protected	_ZN7rocprim17ROCPRIM_400000_NS6detail17trampoline_kernelINS0_14default_configENS1_29reduce_by_key_config_selectorIflN6thrust23THRUST_200600_302600_NS4plusIlEEEEZZNS1_33reduce_by_key_impl_wrapped_configILNS1_25lookback_scan_determinismE0ES3_S9_PfNS6_17constant_iteratorIiNS6_11use_defaultESE_EENS6_10device_ptrIfEENSG_IlEEPmS8_NS6_8equal_toIfEEEE10hipError_tPvRmT2_T3_mT4_T5_T6_T7_T8_P12ihipStream_tbENKUlT_T0_E_clISt17integral_constantIbLb0EES12_IbLb1EEEEDaSY_SZ_EUlSY_E_NS1_11comp_targetILNS1_3genE10ELNS1_11target_archE1201ELNS1_3gpuE5ELNS1_3repE0EEENS1_30default_config_static_selectorELNS0_4arch9wavefront6targetE1EEEvT1_ ; -- Begin function _ZN7rocprim17ROCPRIM_400000_NS6detail17trampoline_kernelINS0_14default_configENS1_29reduce_by_key_config_selectorIflN6thrust23THRUST_200600_302600_NS4plusIlEEEEZZNS1_33reduce_by_key_impl_wrapped_configILNS1_25lookback_scan_determinismE0ES3_S9_PfNS6_17constant_iteratorIiNS6_11use_defaultESE_EENS6_10device_ptrIfEENSG_IlEEPmS8_NS6_8equal_toIfEEEE10hipError_tPvRmT2_T3_mT4_T5_T6_T7_T8_P12ihipStream_tbENKUlT_T0_E_clISt17integral_constantIbLb0EES12_IbLb1EEEEDaSY_SZ_EUlSY_E_NS1_11comp_targetILNS1_3genE10ELNS1_11target_archE1201ELNS1_3gpuE5ELNS1_3repE0EEENS1_30default_config_static_selectorELNS0_4arch9wavefront6targetE1EEEvT1_
	.globl	_ZN7rocprim17ROCPRIM_400000_NS6detail17trampoline_kernelINS0_14default_configENS1_29reduce_by_key_config_selectorIflN6thrust23THRUST_200600_302600_NS4plusIlEEEEZZNS1_33reduce_by_key_impl_wrapped_configILNS1_25lookback_scan_determinismE0ES3_S9_PfNS6_17constant_iteratorIiNS6_11use_defaultESE_EENS6_10device_ptrIfEENSG_IlEEPmS8_NS6_8equal_toIfEEEE10hipError_tPvRmT2_T3_mT4_T5_T6_T7_T8_P12ihipStream_tbENKUlT_T0_E_clISt17integral_constantIbLb0EES12_IbLb1EEEEDaSY_SZ_EUlSY_E_NS1_11comp_targetILNS1_3genE10ELNS1_11target_archE1201ELNS1_3gpuE5ELNS1_3repE0EEENS1_30default_config_static_selectorELNS0_4arch9wavefront6targetE1EEEvT1_
	.p2align	8
	.type	_ZN7rocprim17ROCPRIM_400000_NS6detail17trampoline_kernelINS0_14default_configENS1_29reduce_by_key_config_selectorIflN6thrust23THRUST_200600_302600_NS4plusIlEEEEZZNS1_33reduce_by_key_impl_wrapped_configILNS1_25lookback_scan_determinismE0ES3_S9_PfNS6_17constant_iteratorIiNS6_11use_defaultESE_EENS6_10device_ptrIfEENSG_IlEEPmS8_NS6_8equal_toIfEEEE10hipError_tPvRmT2_T3_mT4_T5_T6_T7_T8_P12ihipStream_tbENKUlT_T0_E_clISt17integral_constantIbLb0EES12_IbLb1EEEEDaSY_SZ_EUlSY_E_NS1_11comp_targetILNS1_3genE10ELNS1_11target_archE1201ELNS1_3gpuE5ELNS1_3repE0EEENS1_30default_config_static_selectorELNS0_4arch9wavefront6targetE1EEEvT1_,@function
_ZN7rocprim17ROCPRIM_400000_NS6detail17trampoline_kernelINS0_14default_configENS1_29reduce_by_key_config_selectorIflN6thrust23THRUST_200600_302600_NS4plusIlEEEEZZNS1_33reduce_by_key_impl_wrapped_configILNS1_25lookback_scan_determinismE0ES3_S9_PfNS6_17constant_iteratorIiNS6_11use_defaultESE_EENS6_10device_ptrIfEENSG_IlEEPmS8_NS6_8equal_toIfEEEE10hipError_tPvRmT2_T3_mT4_T5_T6_T7_T8_P12ihipStream_tbENKUlT_T0_E_clISt17integral_constantIbLb0EES12_IbLb1EEEEDaSY_SZ_EUlSY_E_NS1_11comp_targetILNS1_3genE10ELNS1_11target_archE1201ELNS1_3gpuE5ELNS1_3repE0EEENS1_30default_config_static_selectorELNS0_4arch9wavefront6targetE1EEEvT1_: ; @_ZN7rocprim17ROCPRIM_400000_NS6detail17trampoline_kernelINS0_14default_configENS1_29reduce_by_key_config_selectorIflN6thrust23THRUST_200600_302600_NS4plusIlEEEEZZNS1_33reduce_by_key_impl_wrapped_configILNS1_25lookback_scan_determinismE0ES3_S9_PfNS6_17constant_iteratorIiNS6_11use_defaultESE_EENS6_10device_ptrIfEENSG_IlEEPmS8_NS6_8equal_toIfEEEE10hipError_tPvRmT2_T3_mT4_T5_T6_T7_T8_P12ihipStream_tbENKUlT_T0_E_clISt17integral_constantIbLb0EES12_IbLb1EEEEDaSY_SZ_EUlSY_E_NS1_11comp_targetILNS1_3genE10ELNS1_11target_archE1201ELNS1_3gpuE5ELNS1_3repE0EEENS1_30default_config_static_selectorELNS0_4arch9wavefront6targetE1EEEvT1_
; %bb.0:
	.section	.rodata,"a",@progbits
	.p2align	6, 0x0
	.amdhsa_kernel _ZN7rocprim17ROCPRIM_400000_NS6detail17trampoline_kernelINS0_14default_configENS1_29reduce_by_key_config_selectorIflN6thrust23THRUST_200600_302600_NS4plusIlEEEEZZNS1_33reduce_by_key_impl_wrapped_configILNS1_25lookback_scan_determinismE0ES3_S9_PfNS6_17constant_iteratorIiNS6_11use_defaultESE_EENS6_10device_ptrIfEENSG_IlEEPmS8_NS6_8equal_toIfEEEE10hipError_tPvRmT2_T3_mT4_T5_T6_T7_T8_P12ihipStream_tbENKUlT_T0_E_clISt17integral_constantIbLb0EES12_IbLb1EEEEDaSY_SZ_EUlSY_E_NS1_11comp_targetILNS1_3genE10ELNS1_11target_archE1201ELNS1_3gpuE5ELNS1_3repE0EEENS1_30default_config_static_selectorELNS0_4arch9wavefront6targetE1EEEvT1_
		.amdhsa_group_segment_fixed_size 0
		.amdhsa_private_segment_fixed_size 0
		.amdhsa_kernarg_size 144
		.amdhsa_user_sgpr_count 6
		.amdhsa_user_sgpr_private_segment_buffer 1
		.amdhsa_user_sgpr_dispatch_ptr 0
		.amdhsa_user_sgpr_queue_ptr 0
		.amdhsa_user_sgpr_kernarg_segment_ptr 1
		.amdhsa_user_sgpr_dispatch_id 0
		.amdhsa_user_sgpr_flat_scratch_init 0
		.amdhsa_user_sgpr_kernarg_preload_length 0
		.amdhsa_user_sgpr_kernarg_preload_offset 0
		.amdhsa_user_sgpr_private_segment_size 0
		.amdhsa_uses_dynamic_stack 0
		.amdhsa_system_sgpr_private_segment_wavefront_offset 0
		.amdhsa_system_sgpr_workgroup_id_x 1
		.amdhsa_system_sgpr_workgroup_id_y 0
		.amdhsa_system_sgpr_workgroup_id_z 0
		.amdhsa_system_sgpr_workgroup_info 0
		.amdhsa_system_vgpr_workitem_id 0
		.amdhsa_next_free_vgpr 1
		.amdhsa_next_free_sgpr 0
		.amdhsa_accum_offset 4
		.amdhsa_reserve_vcc 0
		.amdhsa_reserve_flat_scratch 0
		.amdhsa_float_round_mode_32 0
		.amdhsa_float_round_mode_16_64 0
		.amdhsa_float_denorm_mode_32 3
		.amdhsa_float_denorm_mode_16_64 3
		.amdhsa_dx10_clamp 1
		.amdhsa_ieee_mode 1
		.amdhsa_fp16_overflow 0
		.amdhsa_tg_split 0
		.amdhsa_exception_fp_ieee_invalid_op 0
		.amdhsa_exception_fp_denorm_src 0
		.amdhsa_exception_fp_ieee_div_zero 0
		.amdhsa_exception_fp_ieee_overflow 0
		.amdhsa_exception_fp_ieee_underflow 0
		.amdhsa_exception_fp_ieee_inexact 0
		.amdhsa_exception_int_div_zero 0
	.end_amdhsa_kernel
	.section	.text._ZN7rocprim17ROCPRIM_400000_NS6detail17trampoline_kernelINS0_14default_configENS1_29reduce_by_key_config_selectorIflN6thrust23THRUST_200600_302600_NS4plusIlEEEEZZNS1_33reduce_by_key_impl_wrapped_configILNS1_25lookback_scan_determinismE0ES3_S9_PfNS6_17constant_iteratorIiNS6_11use_defaultESE_EENS6_10device_ptrIfEENSG_IlEEPmS8_NS6_8equal_toIfEEEE10hipError_tPvRmT2_T3_mT4_T5_T6_T7_T8_P12ihipStream_tbENKUlT_T0_E_clISt17integral_constantIbLb0EES12_IbLb1EEEEDaSY_SZ_EUlSY_E_NS1_11comp_targetILNS1_3genE10ELNS1_11target_archE1201ELNS1_3gpuE5ELNS1_3repE0EEENS1_30default_config_static_selectorELNS0_4arch9wavefront6targetE1EEEvT1_,"axG",@progbits,_ZN7rocprim17ROCPRIM_400000_NS6detail17trampoline_kernelINS0_14default_configENS1_29reduce_by_key_config_selectorIflN6thrust23THRUST_200600_302600_NS4plusIlEEEEZZNS1_33reduce_by_key_impl_wrapped_configILNS1_25lookback_scan_determinismE0ES3_S9_PfNS6_17constant_iteratorIiNS6_11use_defaultESE_EENS6_10device_ptrIfEENSG_IlEEPmS8_NS6_8equal_toIfEEEE10hipError_tPvRmT2_T3_mT4_T5_T6_T7_T8_P12ihipStream_tbENKUlT_T0_E_clISt17integral_constantIbLb0EES12_IbLb1EEEEDaSY_SZ_EUlSY_E_NS1_11comp_targetILNS1_3genE10ELNS1_11target_archE1201ELNS1_3gpuE5ELNS1_3repE0EEENS1_30default_config_static_selectorELNS0_4arch9wavefront6targetE1EEEvT1_,comdat
.Lfunc_end1938:
	.size	_ZN7rocprim17ROCPRIM_400000_NS6detail17trampoline_kernelINS0_14default_configENS1_29reduce_by_key_config_selectorIflN6thrust23THRUST_200600_302600_NS4plusIlEEEEZZNS1_33reduce_by_key_impl_wrapped_configILNS1_25lookback_scan_determinismE0ES3_S9_PfNS6_17constant_iteratorIiNS6_11use_defaultESE_EENS6_10device_ptrIfEENSG_IlEEPmS8_NS6_8equal_toIfEEEE10hipError_tPvRmT2_T3_mT4_T5_T6_T7_T8_P12ihipStream_tbENKUlT_T0_E_clISt17integral_constantIbLb0EES12_IbLb1EEEEDaSY_SZ_EUlSY_E_NS1_11comp_targetILNS1_3genE10ELNS1_11target_archE1201ELNS1_3gpuE5ELNS1_3repE0EEENS1_30default_config_static_selectorELNS0_4arch9wavefront6targetE1EEEvT1_, .Lfunc_end1938-_ZN7rocprim17ROCPRIM_400000_NS6detail17trampoline_kernelINS0_14default_configENS1_29reduce_by_key_config_selectorIflN6thrust23THRUST_200600_302600_NS4plusIlEEEEZZNS1_33reduce_by_key_impl_wrapped_configILNS1_25lookback_scan_determinismE0ES3_S9_PfNS6_17constant_iteratorIiNS6_11use_defaultESE_EENS6_10device_ptrIfEENSG_IlEEPmS8_NS6_8equal_toIfEEEE10hipError_tPvRmT2_T3_mT4_T5_T6_T7_T8_P12ihipStream_tbENKUlT_T0_E_clISt17integral_constantIbLb0EES12_IbLb1EEEEDaSY_SZ_EUlSY_E_NS1_11comp_targetILNS1_3genE10ELNS1_11target_archE1201ELNS1_3gpuE5ELNS1_3repE0EEENS1_30default_config_static_selectorELNS0_4arch9wavefront6targetE1EEEvT1_
                                        ; -- End function
	.section	.AMDGPU.csdata,"",@progbits
; Kernel info:
; codeLenInByte = 0
; NumSgprs: 4
; NumVgprs: 0
; NumAgprs: 0
; TotalNumVgprs: 0
; ScratchSize: 0
; MemoryBound: 0
; FloatMode: 240
; IeeeMode: 1
; LDSByteSize: 0 bytes/workgroup (compile time only)
; SGPRBlocks: 0
; VGPRBlocks: 0
; NumSGPRsForWavesPerEU: 4
; NumVGPRsForWavesPerEU: 1
; AccumOffset: 4
; Occupancy: 8
; WaveLimiterHint : 0
; COMPUTE_PGM_RSRC2:SCRATCH_EN: 0
; COMPUTE_PGM_RSRC2:USER_SGPR: 6
; COMPUTE_PGM_RSRC2:TRAP_HANDLER: 0
; COMPUTE_PGM_RSRC2:TGID_X_EN: 1
; COMPUTE_PGM_RSRC2:TGID_Y_EN: 0
; COMPUTE_PGM_RSRC2:TGID_Z_EN: 0
; COMPUTE_PGM_RSRC2:TIDIG_COMP_CNT: 0
; COMPUTE_PGM_RSRC3_GFX90A:ACCUM_OFFSET: 0
; COMPUTE_PGM_RSRC3_GFX90A:TG_SPLIT: 0
	.section	.text._ZN7rocprim17ROCPRIM_400000_NS6detail17trampoline_kernelINS0_14default_configENS1_29reduce_by_key_config_selectorIflN6thrust23THRUST_200600_302600_NS4plusIlEEEEZZNS1_33reduce_by_key_impl_wrapped_configILNS1_25lookback_scan_determinismE0ES3_S9_PfNS6_17constant_iteratorIiNS6_11use_defaultESE_EENS6_10device_ptrIfEENSG_IlEEPmS8_NS6_8equal_toIfEEEE10hipError_tPvRmT2_T3_mT4_T5_T6_T7_T8_P12ihipStream_tbENKUlT_T0_E_clISt17integral_constantIbLb0EES12_IbLb1EEEEDaSY_SZ_EUlSY_E_NS1_11comp_targetILNS1_3genE10ELNS1_11target_archE1200ELNS1_3gpuE4ELNS1_3repE0EEENS1_30default_config_static_selectorELNS0_4arch9wavefront6targetE1EEEvT1_,"axG",@progbits,_ZN7rocprim17ROCPRIM_400000_NS6detail17trampoline_kernelINS0_14default_configENS1_29reduce_by_key_config_selectorIflN6thrust23THRUST_200600_302600_NS4plusIlEEEEZZNS1_33reduce_by_key_impl_wrapped_configILNS1_25lookback_scan_determinismE0ES3_S9_PfNS6_17constant_iteratorIiNS6_11use_defaultESE_EENS6_10device_ptrIfEENSG_IlEEPmS8_NS6_8equal_toIfEEEE10hipError_tPvRmT2_T3_mT4_T5_T6_T7_T8_P12ihipStream_tbENKUlT_T0_E_clISt17integral_constantIbLb0EES12_IbLb1EEEEDaSY_SZ_EUlSY_E_NS1_11comp_targetILNS1_3genE10ELNS1_11target_archE1200ELNS1_3gpuE4ELNS1_3repE0EEENS1_30default_config_static_selectorELNS0_4arch9wavefront6targetE1EEEvT1_,comdat
	.protected	_ZN7rocprim17ROCPRIM_400000_NS6detail17trampoline_kernelINS0_14default_configENS1_29reduce_by_key_config_selectorIflN6thrust23THRUST_200600_302600_NS4plusIlEEEEZZNS1_33reduce_by_key_impl_wrapped_configILNS1_25lookback_scan_determinismE0ES3_S9_PfNS6_17constant_iteratorIiNS6_11use_defaultESE_EENS6_10device_ptrIfEENSG_IlEEPmS8_NS6_8equal_toIfEEEE10hipError_tPvRmT2_T3_mT4_T5_T6_T7_T8_P12ihipStream_tbENKUlT_T0_E_clISt17integral_constantIbLb0EES12_IbLb1EEEEDaSY_SZ_EUlSY_E_NS1_11comp_targetILNS1_3genE10ELNS1_11target_archE1200ELNS1_3gpuE4ELNS1_3repE0EEENS1_30default_config_static_selectorELNS0_4arch9wavefront6targetE1EEEvT1_ ; -- Begin function _ZN7rocprim17ROCPRIM_400000_NS6detail17trampoline_kernelINS0_14default_configENS1_29reduce_by_key_config_selectorIflN6thrust23THRUST_200600_302600_NS4plusIlEEEEZZNS1_33reduce_by_key_impl_wrapped_configILNS1_25lookback_scan_determinismE0ES3_S9_PfNS6_17constant_iteratorIiNS6_11use_defaultESE_EENS6_10device_ptrIfEENSG_IlEEPmS8_NS6_8equal_toIfEEEE10hipError_tPvRmT2_T3_mT4_T5_T6_T7_T8_P12ihipStream_tbENKUlT_T0_E_clISt17integral_constantIbLb0EES12_IbLb1EEEEDaSY_SZ_EUlSY_E_NS1_11comp_targetILNS1_3genE10ELNS1_11target_archE1200ELNS1_3gpuE4ELNS1_3repE0EEENS1_30default_config_static_selectorELNS0_4arch9wavefront6targetE1EEEvT1_
	.globl	_ZN7rocprim17ROCPRIM_400000_NS6detail17trampoline_kernelINS0_14default_configENS1_29reduce_by_key_config_selectorIflN6thrust23THRUST_200600_302600_NS4plusIlEEEEZZNS1_33reduce_by_key_impl_wrapped_configILNS1_25lookback_scan_determinismE0ES3_S9_PfNS6_17constant_iteratorIiNS6_11use_defaultESE_EENS6_10device_ptrIfEENSG_IlEEPmS8_NS6_8equal_toIfEEEE10hipError_tPvRmT2_T3_mT4_T5_T6_T7_T8_P12ihipStream_tbENKUlT_T0_E_clISt17integral_constantIbLb0EES12_IbLb1EEEEDaSY_SZ_EUlSY_E_NS1_11comp_targetILNS1_3genE10ELNS1_11target_archE1200ELNS1_3gpuE4ELNS1_3repE0EEENS1_30default_config_static_selectorELNS0_4arch9wavefront6targetE1EEEvT1_
	.p2align	8
	.type	_ZN7rocprim17ROCPRIM_400000_NS6detail17trampoline_kernelINS0_14default_configENS1_29reduce_by_key_config_selectorIflN6thrust23THRUST_200600_302600_NS4plusIlEEEEZZNS1_33reduce_by_key_impl_wrapped_configILNS1_25lookback_scan_determinismE0ES3_S9_PfNS6_17constant_iteratorIiNS6_11use_defaultESE_EENS6_10device_ptrIfEENSG_IlEEPmS8_NS6_8equal_toIfEEEE10hipError_tPvRmT2_T3_mT4_T5_T6_T7_T8_P12ihipStream_tbENKUlT_T0_E_clISt17integral_constantIbLb0EES12_IbLb1EEEEDaSY_SZ_EUlSY_E_NS1_11comp_targetILNS1_3genE10ELNS1_11target_archE1200ELNS1_3gpuE4ELNS1_3repE0EEENS1_30default_config_static_selectorELNS0_4arch9wavefront6targetE1EEEvT1_,@function
_ZN7rocprim17ROCPRIM_400000_NS6detail17trampoline_kernelINS0_14default_configENS1_29reduce_by_key_config_selectorIflN6thrust23THRUST_200600_302600_NS4plusIlEEEEZZNS1_33reduce_by_key_impl_wrapped_configILNS1_25lookback_scan_determinismE0ES3_S9_PfNS6_17constant_iteratorIiNS6_11use_defaultESE_EENS6_10device_ptrIfEENSG_IlEEPmS8_NS6_8equal_toIfEEEE10hipError_tPvRmT2_T3_mT4_T5_T6_T7_T8_P12ihipStream_tbENKUlT_T0_E_clISt17integral_constantIbLb0EES12_IbLb1EEEEDaSY_SZ_EUlSY_E_NS1_11comp_targetILNS1_3genE10ELNS1_11target_archE1200ELNS1_3gpuE4ELNS1_3repE0EEENS1_30default_config_static_selectorELNS0_4arch9wavefront6targetE1EEEvT1_: ; @_ZN7rocprim17ROCPRIM_400000_NS6detail17trampoline_kernelINS0_14default_configENS1_29reduce_by_key_config_selectorIflN6thrust23THRUST_200600_302600_NS4plusIlEEEEZZNS1_33reduce_by_key_impl_wrapped_configILNS1_25lookback_scan_determinismE0ES3_S9_PfNS6_17constant_iteratorIiNS6_11use_defaultESE_EENS6_10device_ptrIfEENSG_IlEEPmS8_NS6_8equal_toIfEEEE10hipError_tPvRmT2_T3_mT4_T5_T6_T7_T8_P12ihipStream_tbENKUlT_T0_E_clISt17integral_constantIbLb0EES12_IbLb1EEEEDaSY_SZ_EUlSY_E_NS1_11comp_targetILNS1_3genE10ELNS1_11target_archE1200ELNS1_3gpuE4ELNS1_3repE0EEENS1_30default_config_static_selectorELNS0_4arch9wavefront6targetE1EEEvT1_
; %bb.0:
	.section	.rodata,"a",@progbits
	.p2align	6, 0x0
	.amdhsa_kernel _ZN7rocprim17ROCPRIM_400000_NS6detail17trampoline_kernelINS0_14default_configENS1_29reduce_by_key_config_selectorIflN6thrust23THRUST_200600_302600_NS4plusIlEEEEZZNS1_33reduce_by_key_impl_wrapped_configILNS1_25lookback_scan_determinismE0ES3_S9_PfNS6_17constant_iteratorIiNS6_11use_defaultESE_EENS6_10device_ptrIfEENSG_IlEEPmS8_NS6_8equal_toIfEEEE10hipError_tPvRmT2_T3_mT4_T5_T6_T7_T8_P12ihipStream_tbENKUlT_T0_E_clISt17integral_constantIbLb0EES12_IbLb1EEEEDaSY_SZ_EUlSY_E_NS1_11comp_targetILNS1_3genE10ELNS1_11target_archE1200ELNS1_3gpuE4ELNS1_3repE0EEENS1_30default_config_static_selectorELNS0_4arch9wavefront6targetE1EEEvT1_
		.amdhsa_group_segment_fixed_size 0
		.amdhsa_private_segment_fixed_size 0
		.amdhsa_kernarg_size 144
		.amdhsa_user_sgpr_count 6
		.amdhsa_user_sgpr_private_segment_buffer 1
		.amdhsa_user_sgpr_dispatch_ptr 0
		.amdhsa_user_sgpr_queue_ptr 0
		.amdhsa_user_sgpr_kernarg_segment_ptr 1
		.amdhsa_user_sgpr_dispatch_id 0
		.amdhsa_user_sgpr_flat_scratch_init 0
		.amdhsa_user_sgpr_kernarg_preload_length 0
		.amdhsa_user_sgpr_kernarg_preload_offset 0
		.amdhsa_user_sgpr_private_segment_size 0
		.amdhsa_uses_dynamic_stack 0
		.amdhsa_system_sgpr_private_segment_wavefront_offset 0
		.amdhsa_system_sgpr_workgroup_id_x 1
		.amdhsa_system_sgpr_workgroup_id_y 0
		.amdhsa_system_sgpr_workgroup_id_z 0
		.amdhsa_system_sgpr_workgroup_info 0
		.amdhsa_system_vgpr_workitem_id 0
		.amdhsa_next_free_vgpr 1
		.amdhsa_next_free_sgpr 0
		.amdhsa_accum_offset 4
		.amdhsa_reserve_vcc 0
		.amdhsa_reserve_flat_scratch 0
		.amdhsa_float_round_mode_32 0
		.amdhsa_float_round_mode_16_64 0
		.amdhsa_float_denorm_mode_32 3
		.amdhsa_float_denorm_mode_16_64 3
		.amdhsa_dx10_clamp 1
		.amdhsa_ieee_mode 1
		.amdhsa_fp16_overflow 0
		.amdhsa_tg_split 0
		.amdhsa_exception_fp_ieee_invalid_op 0
		.amdhsa_exception_fp_denorm_src 0
		.amdhsa_exception_fp_ieee_div_zero 0
		.amdhsa_exception_fp_ieee_overflow 0
		.amdhsa_exception_fp_ieee_underflow 0
		.amdhsa_exception_fp_ieee_inexact 0
		.amdhsa_exception_int_div_zero 0
	.end_amdhsa_kernel
	.section	.text._ZN7rocprim17ROCPRIM_400000_NS6detail17trampoline_kernelINS0_14default_configENS1_29reduce_by_key_config_selectorIflN6thrust23THRUST_200600_302600_NS4plusIlEEEEZZNS1_33reduce_by_key_impl_wrapped_configILNS1_25lookback_scan_determinismE0ES3_S9_PfNS6_17constant_iteratorIiNS6_11use_defaultESE_EENS6_10device_ptrIfEENSG_IlEEPmS8_NS6_8equal_toIfEEEE10hipError_tPvRmT2_T3_mT4_T5_T6_T7_T8_P12ihipStream_tbENKUlT_T0_E_clISt17integral_constantIbLb0EES12_IbLb1EEEEDaSY_SZ_EUlSY_E_NS1_11comp_targetILNS1_3genE10ELNS1_11target_archE1200ELNS1_3gpuE4ELNS1_3repE0EEENS1_30default_config_static_selectorELNS0_4arch9wavefront6targetE1EEEvT1_,"axG",@progbits,_ZN7rocprim17ROCPRIM_400000_NS6detail17trampoline_kernelINS0_14default_configENS1_29reduce_by_key_config_selectorIflN6thrust23THRUST_200600_302600_NS4plusIlEEEEZZNS1_33reduce_by_key_impl_wrapped_configILNS1_25lookback_scan_determinismE0ES3_S9_PfNS6_17constant_iteratorIiNS6_11use_defaultESE_EENS6_10device_ptrIfEENSG_IlEEPmS8_NS6_8equal_toIfEEEE10hipError_tPvRmT2_T3_mT4_T5_T6_T7_T8_P12ihipStream_tbENKUlT_T0_E_clISt17integral_constantIbLb0EES12_IbLb1EEEEDaSY_SZ_EUlSY_E_NS1_11comp_targetILNS1_3genE10ELNS1_11target_archE1200ELNS1_3gpuE4ELNS1_3repE0EEENS1_30default_config_static_selectorELNS0_4arch9wavefront6targetE1EEEvT1_,comdat
.Lfunc_end1939:
	.size	_ZN7rocprim17ROCPRIM_400000_NS6detail17trampoline_kernelINS0_14default_configENS1_29reduce_by_key_config_selectorIflN6thrust23THRUST_200600_302600_NS4plusIlEEEEZZNS1_33reduce_by_key_impl_wrapped_configILNS1_25lookback_scan_determinismE0ES3_S9_PfNS6_17constant_iteratorIiNS6_11use_defaultESE_EENS6_10device_ptrIfEENSG_IlEEPmS8_NS6_8equal_toIfEEEE10hipError_tPvRmT2_T3_mT4_T5_T6_T7_T8_P12ihipStream_tbENKUlT_T0_E_clISt17integral_constantIbLb0EES12_IbLb1EEEEDaSY_SZ_EUlSY_E_NS1_11comp_targetILNS1_3genE10ELNS1_11target_archE1200ELNS1_3gpuE4ELNS1_3repE0EEENS1_30default_config_static_selectorELNS0_4arch9wavefront6targetE1EEEvT1_, .Lfunc_end1939-_ZN7rocprim17ROCPRIM_400000_NS6detail17trampoline_kernelINS0_14default_configENS1_29reduce_by_key_config_selectorIflN6thrust23THRUST_200600_302600_NS4plusIlEEEEZZNS1_33reduce_by_key_impl_wrapped_configILNS1_25lookback_scan_determinismE0ES3_S9_PfNS6_17constant_iteratorIiNS6_11use_defaultESE_EENS6_10device_ptrIfEENSG_IlEEPmS8_NS6_8equal_toIfEEEE10hipError_tPvRmT2_T3_mT4_T5_T6_T7_T8_P12ihipStream_tbENKUlT_T0_E_clISt17integral_constantIbLb0EES12_IbLb1EEEEDaSY_SZ_EUlSY_E_NS1_11comp_targetILNS1_3genE10ELNS1_11target_archE1200ELNS1_3gpuE4ELNS1_3repE0EEENS1_30default_config_static_selectorELNS0_4arch9wavefront6targetE1EEEvT1_
                                        ; -- End function
	.section	.AMDGPU.csdata,"",@progbits
; Kernel info:
; codeLenInByte = 0
; NumSgprs: 4
; NumVgprs: 0
; NumAgprs: 0
; TotalNumVgprs: 0
; ScratchSize: 0
; MemoryBound: 0
; FloatMode: 240
; IeeeMode: 1
; LDSByteSize: 0 bytes/workgroup (compile time only)
; SGPRBlocks: 0
; VGPRBlocks: 0
; NumSGPRsForWavesPerEU: 4
; NumVGPRsForWavesPerEU: 1
; AccumOffset: 4
; Occupancy: 8
; WaveLimiterHint : 0
; COMPUTE_PGM_RSRC2:SCRATCH_EN: 0
; COMPUTE_PGM_RSRC2:USER_SGPR: 6
; COMPUTE_PGM_RSRC2:TRAP_HANDLER: 0
; COMPUTE_PGM_RSRC2:TGID_X_EN: 1
; COMPUTE_PGM_RSRC2:TGID_Y_EN: 0
; COMPUTE_PGM_RSRC2:TGID_Z_EN: 0
; COMPUTE_PGM_RSRC2:TIDIG_COMP_CNT: 0
; COMPUTE_PGM_RSRC3_GFX90A:ACCUM_OFFSET: 0
; COMPUTE_PGM_RSRC3_GFX90A:TG_SPLIT: 0
	.section	.text._ZN7rocprim17ROCPRIM_400000_NS6detail17trampoline_kernelINS0_14default_configENS1_29reduce_by_key_config_selectorIflN6thrust23THRUST_200600_302600_NS4plusIlEEEEZZNS1_33reduce_by_key_impl_wrapped_configILNS1_25lookback_scan_determinismE0ES3_S9_PfNS6_17constant_iteratorIiNS6_11use_defaultESE_EENS6_10device_ptrIfEENSG_IlEEPmS8_NS6_8equal_toIfEEEE10hipError_tPvRmT2_T3_mT4_T5_T6_T7_T8_P12ihipStream_tbENKUlT_T0_E_clISt17integral_constantIbLb0EES12_IbLb1EEEEDaSY_SZ_EUlSY_E_NS1_11comp_targetILNS1_3genE9ELNS1_11target_archE1100ELNS1_3gpuE3ELNS1_3repE0EEENS1_30default_config_static_selectorELNS0_4arch9wavefront6targetE1EEEvT1_,"axG",@progbits,_ZN7rocprim17ROCPRIM_400000_NS6detail17trampoline_kernelINS0_14default_configENS1_29reduce_by_key_config_selectorIflN6thrust23THRUST_200600_302600_NS4plusIlEEEEZZNS1_33reduce_by_key_impl_wrapped_configILNS1_25lookback_scan_determinismE0ES3_S9_PfNS6_17constant_iteratorIiNS6_11use_defaultESE_EENS6_10device_ptrIfEENSG_IlEEPmS8_NS6_8equal_toIfEEEE10hipError_tPvRmT2_T3_mT4_T5_T6_T7_T8_P12ihipStream_tbENKUlT_T0_E_clISt17integral_constantIbLb0EES12_IbLb1EEEEDaSY_SZ_EUlSY_E_NS1_11comp_targetILNS1_3genE9ELNS1_11target_archE1100ELNS1_3gpuE3ELNS1_3repE0EEENS1_30default_config_static_selectorELNS0_4arch9wavefront6targetE1EEEvT1_,comdat
	.protected	_ZN7rocprim17ROCPRIM_400000_NS6detail17trampoline_kernelINS0_14default_configENS1_29reduce_by_key_config_selectorIflN6thrust23THRUST_200600_302600_NS4plusIlEEEEZZNS1_33reduce_by_key_impl_wrapped_configILNS1_25lookback_scan_determinismE0ES3_S9_PfNS6_17constant_iteratorIiNS6_11use_defaultESE_EENS6_10device_ptrIfEENSG_IlEEPmS8_NS6_8equal_toIfEEEE10hipError_tPvRmT2_T3_mT4_T5_T6_T7_T8_P12ihipStream_tbENKUlT_T0_E_clISt17integral_constantIbLb0EES12_IbLb1EEEEDaSY_SZ_EUlSY_E_NS1_11comp_targetILNS1_3genE9ELNS1_11target_archE1100ELNS1_3gpuE3ELNS1_3repE0EEENS1_30default_config_static_selectorELNS0_4arch9wavefront6targetE1EEEvT1_ ; -- Begin function _ZN7rocprim17ROCPRIM_400000_NS6detail17trampoline_kernelINS0_14default_configENS1_29reduce_by_key_config_selectorIflN6thrust23THRUST_200600_302600_NS4plusIlEEEEZZNS1_33reduce_by_key_impl_wrapped_configILNS1_25lookback_scan_determinismE0ES3_S9_PfNS6_17constant_iteratorIiNS6_11use_defaultESE_EENS6_10device_ptrIfEENSG_IlEEPmS8_NS6_8equal_toIfEEEE10hipError_tPvRmT2_T3_mT4_T5_T6_T7_T8_P12ihipStream_tbENKUlT_T0_E_clISt17integral_constantIbLb0EES12_IbLb1EEEEDaSY_SZ_EUlSY_E_NS1_11comp_targetILNS1_3genE9ELNS1_11target_archE1100ELNS1_3gpuE3ELNS1_3repE0EEENS1_30default_config_static_selectorELNS0_4arch9wavefront6targetE1EEEvT1_
	.globl	_ZN7rocprim17ROCPRIM_400000_NS6detail17trampoline_kernelINS0_14default_configENS1_29reduce_by_key_config_selectorIflN6thrust23THRUST_200600_302600_NS4plusIlEEEEZZNS1_33reduce_by_key_impl_wrapped_configILNS1_25lookback_scan_determinismE0ES3_S9_PfNS6_17constant_iteratorIiNS6_11use_defaultESE_EENS6_10device_ptrIfEENSG_IlEEPmS8_NS6_8equal_toIfEEEE10hipError_tPvRmT2_T3_mT4_T5_T6_T7_T8_P12ihipStream_tbENKUlT_T0_E_clISt17integral_constantIbLb0EES12_IbLb1EEEEDaSY_SZ_EUlSY_E_NS1_11comp_targetILNS1_3genE9ELNS1_11target_archE1100ELNS1_3gpuE3ELNS1_3repE0EEENS1_30default_config_static_selectorELNS0_4arch9wavefront6targetE1EEEvT1_
	.p2align	8
	.type	_ZN7rocprim17ROCPRIM_400000_NS6detail17trampoline_kernelINS0_14default_configENS1_29reduce_by_key_config_selectorIflN6thrust23THRUST_200600_302600_NS4plusIlEEEEZZNS1_33reduce_by_key_impl_wrapped_configILNS1_25lookback_scan_determinismE0ES3_S9_PfNS6_17constant_iteratorIiNS6_11use_defaultESE_EENS6_10device_ptrIfEENSG_IlEEPmS8_NS6_8equal_toIfEEEE10hipError_tPvRmT2_T3_mT4_T5_T6_T7_T8_P12ihipStream_tbENKUlT_T0_E_clISt17integral_constantIbLb0EES12_IbLb1EEEEDaSY_SZ_EUlSY_E_NS1_11comp_targetILNS1_3genE9ELNS1_11target_archE1100ELNS1_3gpuE3ELNS1_3repE0EEENS1_30default_config_static_selectorELNS0_4arch9wavefront6targetE1EEEvT1_,@function
_ZN7rocprim17ROCPRIM_400000_NS6detail17trampoline_kernelINS0_14default_configENS1_29reduce_by_key_config_selectorIflN6thrust23THRUST_200600_302600_NS4plusIlEEEEZZNS1_33reduce_by_key_impl_wrapped_configILNS1_25lookback_scan_determinismE0ES3_S9_PfNS6_17constant_iteratorIiNS6_11use_defaultESE_EENS6_10device_ptrIfEENSG_IlEEPmS8_NS6_8equal_toIfEEEE10hipError_tPvRmT2_T3_mT4_T5_T6_T7_T8_P12ihipStream_tbENKUlT_T0_E_clISt17integral_constantIbLb0EES12_IbLb1EEEEDaSY_SZ_EUlSY_E_NS1_11comp_targetILNS1_3genE9ELNS1_11target_archE1100ELNS1_3gpuE3ELNS1_3repE0EEENS1_30default_config_static_selectorELNS0_4arch9wavefront6targetE1EEEvT1_: ; @_ZN7rocprim17ROCPRIM_400000_NS6detail17trampoline_kernelINS0_14default_configENS1_29reduce_by_key_config_selectorIflN6thrust23THRUST_200600_302600_NS4plusIlEEEEZZNS1_33reduce_by_key_impl_wrapped_configILNS1_25lookback_scan_determinismE0ES3_S9_PfNS6_17constant_iteratorIiNS6_11use_defaultESE_EENS6_10device_ptrIfEENSG_IlEEPmS8_NS6_8equal_toIfEEEE10hipError_tPvRmT2_T3_mT4_T5_T6_T7_T8_P12ihipStream_tbENKUlT_T0_E_clISt17integral_constantIbLb0EES12_IbLb1EEEEDaSY_SZ_EUlSY_E_NS1_11comp_targetILNS1_3genE9ELNS1_11target_archE1100ELNS1_3gpuE3ELNS1_3repE0EEENS1_30default_config_static_selectorELNS0_4arch9wavefront6targetE1EEEvT1_
; %bb.0:
	.section	.rodata,"a",@progbits
	.p2align	6, 0x0
	.amdhsa_kernel _ZN7rocprim17ROCPRIM_400000_NS6detail17trampoline_kernelINS0_14default_configENS1_29reduce_by_key_config_selectorIflN6thrust23THRUST_200600_302600_NS4plusIlEEEEZZNS1_33reduce_by_key_impl_wrapped_configILNS1_25lookback_scan_determinismE0ES3_S9_PfNS6_17constant_iteratorIiNS6_11use_defaultESE_EENS6_10device_ptrIfEENSG_IlEEPmS8_NS6_8equal_toIfEEEE10hipError_tPvRmT2_T3_mT4_T5_T6_T7_T8_P12ihipStream_tbENKUlT_T0_E_clISt17integral_constantIbLb0EES12_IbLb1EEEEDaSY_SZ_EUlSY_E_NS1_11comp_targetILNS1_3genE9ELNS1_11target_archE1100ELNS1_3gpuE3ELNS1_3repE0EEENS1_30default_config_static_selectorELNS0_4arch9wavefront6targetE1EEEvT1_
		.amdhsa_group_segment_fixed_size 0
		.amdhsa_private_segment_fixed_size 0
		.amdhsa_kernarg_size 144
		.amdhsa_user_sgpr_count 6
		.amdhsa_user_sgpr_private_segment_buffer 1
		.amdhsa_user_sgpr_dispatch_ptr 0
		.amdhsa_user_sgpr_queue_ptr 0
		.amdhsa_user_sgpr_kernarg_segment_ptr 1
		.amdhsa_user_sgpr_dispatch_id 0
		.amdhsa_user_sgpr_flat_scratch_init 0
		.amdhsa_user_sgpr_kernarg_preload_length 0
		.amdhsa_user_sgpr_kernarg_preload_offset 0
		.amdhsa_user_sgpr_private_segment_size 0
		.amdhsa_uses_dynamic_stack 0
		.amdhsa_system_sgpr_private_segment_wavefront_offset 0
		.amdhsa_system_sgpr_workgroup_id_x 1
		.amdhsa_system_sgpr_workgroup_id_y 0
		.amdhsa_system_sgpr_workgroup_id_z 0
		.amdhsa_system_sgpr_workgroup_info 0
		.amdhsa_system_vgpr_workitem_id 0
		.amdhsa_next_free_vgpr 1
		.amdhsa_next_free_sgpr 0
		.amdhsa_accum_offset 4
		.amdhsa_reserve_vcc 0
		.amdhsa_reserve_flat_scratch 0
		.amdhsa_float_round_mode_32 0
		.amdhsa_float_round_mode_16_64 0
		.amdhsa_float_denorm_mode_32 3
		.amdhsa_float_denorm_mode_16_64 3
		.amdhsa_dx10_clamp 1
		.amdhsa_ieee_mode 1
		.amdhsa_fp16_overflow 0
		.amdhsa_tg_split 0
		.amdhsa_exception_fp_ieee_invalid_op 0
		.amdhsa_exception_fp_denorm_src 0
		.amdhsa_exception_fp_ieee_div_zero 0
		.amdhsa_exception_fp_ieee_overflow 0
		.amdhsa_exception_fp_ieee_underflow 0
		.amdhsa_exception_fp_ieee_inexact 0
		.amdhsa_exception_int_div_zero 0
	.end_amdhsa_kernel
	.section	.text._ZN7rocprim17ROCPRIM_400000_NS6detail17trampoline_kernelINS0_14default_configENS1_29reduce_by_key_config_selectorIflN6thrust23THRUST_200600_302600_NS4plusIlEEEEZZNS1_33reduce_by_key_impl_wrapped_configILNS1_25lookback_scan_determinismE0ES3_S9_PfNS6_17constant_iteratorIiNS6_11use_defaultESE_EENS6_10device_ptrIfEENSG_IlEEPmS8_NS6_8equal_toIfEEEE10hipError_tPvRmT2_T3_mT4_T5_T6_T7_T8_P12ihipStream_tbENKUlT_T0_E_clISt17integral_constantIbLb0EES12_IbLb1EEEEDaSY_SZ_EUlSY_E_NS1_11comp_targetILNS1_3genE9ELNS1_11target_archE1100ELNS1_3gpuE3ELNS1_3repE0EEENS1_30default_config_static_selectorELNS0_4arch9wavefront6targetE1EEEvT1_,"axG",@progbits,_ZN7rocprim17ROCPRIM_400000_NS6detail17trampoline_kernelINS0_14default_configENS1_29reduce_by_key_config_selectorIflN6thrust23THRUST_200600_302600_NS4plusIlEEEEZZNS1_33reduce_by_key_impl_wrapped_configILNS1_25lookback_scan_determinismE0ES3_S9_PfNS6_17constant_iteratorIiNS6_11use_defaultESE_EENS6_10device_ptrIfEENSG_IlEEPmS8_NS6_8equal_toIfEEEE10hipError_tPvRmT2_T3_mT4_T5_T6_T7_T8_P12ihipStream_tbENKUlT_T0_E_clISt17integral_constantIbLb0EES12_IbLb1EEEEDaSY_SZ_EUlSY_E_NS1_11comp_targetILNS1_3genE9ELNS1_11target_archE1100ELNS1_3gpuE3ELNS1_3repE0EEENS1_30default_config_static_selectorELNS0_4arch9wavefront6targetE1EEEvT1_,comdat
.Lfunc_end1940:
	.size	_ZN7rocprim17ROCPRIM_400000_NS6detail17trampoline_kernelINS0_14default_configENS1_29reduce_by_key_config_selectorIflN6thrust23THRUST_200600_302600_NS4plusIlEEEEZZNS1_33reduce_by_key_impl_wrapped_configILNS1_25lookback_scan_determinismE0ES3_S9_PfNS6_17constant_iteratorIiNS6_11use_defaultESE_EENS6_10device_ptrIfEENSG_IlEEPmS8_NS6_8equal_toIfEEEE10hipError_tPvRmT2_T3_mT4_T5_T6_T7_T8_P12ihipStream_tbENKUlT_T0_E_clISt17integral_constantIbLb0EES12_IbLb1EEEEDaSY_SZ_EUlSY_E_NS1_11comp_targetILNS1_3genE9ELNS1_11target_archE1100ELNS1_3gpuE3ELNS1_3repE0EEENS1_30default_config_static_selectorELNS0_4arch9wavefront6targetE1EEEvT1_, .Lfunc_end1940-_ZN7rocprim17ROCPRIM_400000_NS6detail17trampoline_kernelINS0_14default_configENS1_29reduce_by_key_config_selectorIflN6thrust23THRUST_200600_302600_NS4plusIlEEEEZZNS1_33reduce_by_key_impl_wrapped_configILNS1_25lookback_scan_determinismE0ES3_S9_PfNS6_17constant_iteratorIiNS6_11use_defaultESE_EENS6_10device_ptrIfEENSG_IlEEPmS8_NS6_8equal_toIfEEEE10hipError_tPvRmT2_T3_mT4_T5_T6_T7_T8_P12ihipStream_tbENKUlT_T0_E_clISt17integral_constantIbLb0EES12_IbLb1EEEEDaSY_SZ_EUlSY_E_NS1_11comp_targetILNS1_3genE9ELNS1_11target_archE1100ELNS1_3gpuE3ELNS1_3repE0EEENS1_30default_config_static_selectorELNS0_4arch9wavefront6targetE1EEEvT1_
                                        ; -- End function
	.section	.AMDGPU.csdata,"",@progbits
; Kernel info:
; codeLenInByte = 0
; NumSgprs: 4
; NumVgprs: 0
; NumAgprs: 0
; TotalNumVgprs: 0
; ScratchSize: 0
; MemoryBound: 0
; FloatMode: 240
; IeeeMode: 1
; LDSByteSize: 0 bytes/workgroup (compile time only)
; SGPRBlocks: 0
; VGPRBlocks: 0
; NumSGPRsForWavesPerEU: 4
; NumVGPRsForWavesPerEU: 1
; AccumOffset: 4
; Occupancy: 8
; WaveLimiterHint : 0
; COMPUTE_PGM_RSRC2:SCRATCH_EN: 0
; COMPUTE_PGM_RSRC2:USER_SGPR: 6
; COMPUTE_PGM_RSRC2:TRAP_HANDLER: 0
; COMPUTE_PGM_RSRC2:TGID_X_EN: 1
; COMPUTE_PGM_RSRC2:TGID_Y_EN: 0
; COMPUTE_PGM_RSRC2:TGID_Z_EN: 0
; COMPUTE_PGM_RSRC2:TIDIG_COMP_CNT: 0
; COMPUTE_PGM_RSRC3_GFX90A:ACCUM_OFFSET: 0
; COMPUTE_PGM_RSRC3_GFX90A:TG_SPLIT: 0
	.section	.text._ZN7rocprim17ROCPRIM_400000_NS6detail17trampoline_kernelINS0_14default_configENS1_29reduce_by_key_config_selectorIflN6thrust23THRUST_200600_302600_NS4plusIlEEEEZZNS1_33reduce_by_key_impl_wrapped_configILNS1_25lookback_scan_determinismE0ES3_S9_PfNS6_17constant_iteratorIiNS6_11use_defaultESE_EENS6_10device_ptrIfEENSG_IlEEPmS8_NS6_8equal_toIfEEEE10hipError_tPvRmT2_T3_mT4_T5_T6_T7_T8_P12ihipStream_tbENKUlT_T0_E_clISt17integral_constantIbLb0EES12_IbLb1EEEEDaSY_SZ_EUlSY_E_NS1_11comp_targetILNS1_3genE8ELNS1_11target_archE1030ELNS1_3gpuE2ELNS1_3repE0EEENS1_30default_config_static_selectorELNS0_4arch9wavefront6targetE1EEEvT1_,"axG",@progbits,_ZN7rocprim17ROCPRIM_400000_NS6detail17trampoline_kernelINS0_14default_configENS1_29reduce_by_key_config_selectorIflN6thrust23THRUST_200600_302600_NS4plusIlEEEEZZNS1_33reduce_by_key_impl_wrapped_configILNS1_25lookback_scan_determinismE0ES3_S9_PfNS6_17constant_iteratorIiNS6_11use_defaultESE_EENS6_10device_ptrIfEENSG_IlEEPmS8_NS6_8equal_toIfEEEE10hipError_tPvRmT2_T3_mT4_T5_T6_T7_T8_P12ihipStream_tbENKUlT_T0_E_clISt17integral_constantIbLb0EES12_IbLb1EEEEDaSY_SZ_EUlSY_E_NS1_11comp_targetILNS1_3genE8ELNS1_11target_archE1030ELNS1_3gpuE2ELNS1_3repE0EEENS1_30default_config_static_selectorELNS0_4arch9wavefront6targetE1EEEvT1_,comdat
	.protected	_ZN7rocprim17ROCPRIM_400000_NS6detail17trampoline_kernelINS0_14default_configENS1_29reduce_by_key_config_selectorIflN6thrust23THRUST_200600_302600_NS4plusIlEEEEZZNS1_33reduce_by_key_impl_wrapped_configILNS1_25lookback_scan_determinismE0ES3_S9_PfNS6_17constant_iteratorIiNS6_11use_defaultESE_EENS6_10device_ptrIfEENSG_IlEEPmS8_NS6_8equal_toIfEEEE10hipError_tPvRmT2_T3_mT4_T5_T6_T7_T8_P12ihipStream_tbENKUlT_T0_E_clISt17integral_constantIbLb0EES12_IbLb1EEEEDaSY_SZ_EUlSY_E_NS1_11comp_targetILNS1_3genE8ELNS1_11target_archE1030ELNS1_3gpuE2ELNS1_3repE0EEENS1_30default_config_static_selectorELNS0_4arch9wavefront6targetE1EEEvT1_ ; -- Begin function _ZN7rocprim17ROCPRIM_400000_NS6detail17trampoline_kernelINS0_14default_configENS1_29reduce_by_key_config_selectorIflN6thrust23THRUST_200600_302600_NS4plusIlEEEEZZNS1_33reduce_by_key_impl_wrapped_configILNS1_25lookback_scan_determinismE0ES3_S9_PfNS6_17constant_iteratorIiNS6_11use_defaultESE_EENS6_10device_ptrIfEENSG_IlEEPmS8_NS6_8equal_toIfEEEE10hipError_tPvRmT2_T3_mT4_T5_T6_T7_T8_P12ihipStream_tbENKUlT_T0_E_clISt17integral_constantIbLb0EES12_IbLb1EEEEDaSY_SZ_EUlSY_E_NS1_11comp_targetILNS1_3genE8ELNS1_11target_archE1030ELNS1_3gpuE2ELNS1_3repE0EEENS1_30default_config_static_selectorELNS0_4arch9wavefront6targetE1EEEvT1_
	.globl	_ZN7rocprim17ROCPRIM_400000_NS6detail17trampoline_kernelINS0_14default_configENS1_29reduce_by_key_config_selectorIflN6thrust23THRUST_200600_302600_NS4plusIlEEEEZZNS1_33reduce_by_key_impl_wrapped_configILNS1_25lookback_scan_determinismE0ES3_S9_PfNS6_17constant_iteratorIiNS6_11use_defaultESE_EENS6_10device_ptrIfEENSG_IlEEPmS8_NS6_8equal_toIfEEEE10hipError_tPvRmT2_T3_mT4_T5_T6_T7_T8_P12ihipStream_tbENKUlT_T0_E_clISt17integral_constantIbLb0EES12_IbLb1EEEEDaSY_SZ_EUlSY_E_NS1_11comp_targetILNS1_3genE8ELNS1_11target_archE1030ELNS1_3gpuE2ELNS1_3repE0EEENS1_30default_config_static_selectorELNS0_4arch9wavefront6targetE1EEEvT1_
	.p2align	8
	.type	_ZN7rocprim17ROCPRIM_400000_NS6detail17trampoline_kernelINS0_14default_configENS1_29reduce_by_key_config_selectorIflN6thrust23THRUST_200600_302600_NS4plusIlEEEEZZNS1_33reduce_by_key_impl_wrapped_configILNS1_25lookback_scan_determinismE0ES3_S9_PfNS6_17constant_iteratorIiNS6_11use_defaultESE_EENS6_10device_ptrIfEENSG_IlEEPmS8_NS6_8equal_toIfEEEE10hipError_tPvRmT2_T3_mT4_T5_T6_T7_T8_P12ihipStream_tbENKUlT_T0_E_clISt17integral_constantIbLb0EES12_IbLb1EEEEDaSY_SZ_EUlSY_E_NS1_11comp_targetILNS1_3genE8ELNS1_11target_archE1030ELNS1_3gpuE2ELNS1_3repE0EEENS1_30default_config_static_selectorELNS0_4arch9wavefront6targetE1EEEvT1_,@function
_ZN7rocprim17ROCPRIM_400000_NS6detail17trampoline_kernelINS0_14default_configENS1_29reduce_by_key_config_selectorIflN6thrust23THRUST_200600_302600_NS4plusIlEEEEZZNS1_33reduce_by_key_impl_wrapped_configILNS1_25lookback_scan_determinismE0ES3_S9_PfNS6_17constant_iteratorIiNS6_11use_defaultESE_EENS6_10device_ptrIfEENSG_IlEEPmS8_NS6_8equal_toIfEEEE10hipError_tPvRmT2_T3_mT4_T5_T6_T7_T8_P12ihipStream_tbENKUlT_T0_E_clISt17integral_constantIbLb0EES12_IbLb1EEEEDaSY_SZ_EUlSY_E_NS1_11comp_targetILNS1_3genE8ELNS1_11target_archE1030ELNS1_3gpuE2ELNS1_3repE0EEENS1_30default_config_static_selectorELNS0_4arch9wavefront6targetE1EEEvT1_: ; @_ZN7rocprim17ROCPRIM_400000_NS6detail17trampoline_kernelINS0_14default_configENS1_29reduce_by_key_config_selectorIflN6thrust23THRUST_200600_302600_NS4plusIlEEEEZZNS1_33reduce_by_key_impl_wrapped_configILNS1_25lookback_scan_determinismE0ES3_S9_PfNS6_17constant_iteratorIiNS6_11use_defaultESE_EENS6_10device_ptrIfEENSG_IlEEPmS8_NS6_8equal_toIfEEEE10hipError_tPvRmT2_T3_mT4_T5_T6_T7_T8_P12ihipStream_tbENKUlT_T0_E_clISt17integral_constantIbLb0EES12_IbLb1EEEEDaSY_SZ_EUlSY_E_NS1_11comp_targetILNS1_3genE8ELNS1_11target_archE1030ELNS1_3gpuE2ELNS1_3repE0EEENS1_30default_config_static_selectorELNS0_4arch9wavefront6targetE1EEEvT1_
; %bb.0:
	.section	.rodata,"a",@progbits
	.p2align	6, 0x0
	.amdhsa_kernel _ZN7rocprim17ROCPRIM_400000_NS6detail17trampoline_kernelINS0_14default_configENS1_29reduce_by_key_config_selectorIflN6thrust23THRUST_200600_302600_NS4plusIlEEEEZZNS1_33reduce_by_key_impl_wrapped_configILNS1_25lookback_scan_determinismE0ES3_S9_PfNS6_17constant_iteratorIiNS6_11use_defaultESE_EENS6_10device_ptrIfEENSG_IlEEPmS8_NS6_8equal_toIfEEEE10hipError_tPvRmT2_T3_mT4_T5_T6_T7_T8_P12ihipStream_tbENKUlT_T0_E_clISt17integral_constantIbLb0EES12_IbLb1EEEEDaSY_SZ_EUlSY_E_NS1_11comp_targetILNS1_3genE8ELNS1_11target_archE1030ELNS1_3gpuE2ELNS1_3repE0EEENS1_30default_config_static_selectorELNS0_4arch9wavefront6targetE1EEEvT1_
		.amdhsa_group_segment_fixed_size 0
		.amdhsa_private_segment_fixed_size 0
		.amdhsa_kernarg_size 144
		.amdhsa_user_sgpr_count 6
		.amdhsa_user_sgpr_private_segment_buffer 1
		.amdhsa_user_sgpr_dispatch_ptr 0
		.amdhsa_user_sgpr_queue_ptr 0
		.amdhsa_user_sgpr_kernarg_segment_ptr 1
		.amdhsa_user_sgpr_dispatch_id 0
		.amdhsa_user_sgpr_flat_scratch_init 0
		.amdhsa_user_sgpr_kernarg_preload_length 0
		.amdhsa_user_sgpr_kernarg_preload_offset 0
		.amdhsa_user_sgpr_private_segment_size 0
		.amdhsa_uses_dynamic_stack 0
		.amdhsa_system_sgpr_private_segment_wavefront_offset 0
		.amdhsa_system_sgpr_workgroup_id_x 1
		.amdhsa_system_sgpr_workgroup_id_y 0
		.amdhsa_system_sgpr_workgroup_id_z 0
		.amdhsa_system_sgpr_workgroup_info 0
		.amdhsa_system_vgpr_workitem_id 0
		.amdhsa_next_free_vgpr 1
		.amdhsa_next_free_sgpr 0
		.amdhsa_accum_offset 4
		.amdhsa_reserve_vcc 0
		.amdhsa_reserve_flat_scratch 0
		.amdhsa_float_round_mode_32 0
		.amdhsa_float_round_mode_16_64 0
		.amdhsa_float_denorm_mode_32 3
		.amdhsa_float_denorm_mode_16_64 3
		.amdhsa_dx10_clamp 1
		.amdhsa_ieee_mode 1
		.amdhsa_fp16_overflow 0
		.amdhsa_tg_split 0
		.amdhsa_exception_fp_ieee_invalid_op 0
		.amdhsa_exception_fp_denorm_src 0
		.amdhsa_exception_fp_ieee_div_zero 0
		.amdhsa_exception_fp_ieee_overflow 0
		.amdhsa_exception_fp_ieee_underflow 0
		.amdhsa_exception_fp_ieee_inexact 0
		.amdhsa_exception_int_div_zero 0
	.end_amdhsa_kernel
	.section	.text._ZN7rocprim17ROCPRIM_400000_NS6detail17trampoline_kernelINS0_14default_configENS1_29reduce_by_key_config_selectorIflN6thrust23THRUST_200600_302600_NS4plusIlEEEEZZNS1_33reduce_by_key_impl_wrapped_configILNS1_25lookback_scan_determinismE0ES3_S9_PfNS6_17constant_iteratorIiNS6_11use_defaultESE_EENS6_10device_ptrIfEENSG_IlEEPmS8_NS6_8equal_toIfEEEE10hipError_tPvRmT2_T3_mT4_T5_T6_T7_T8_P12ihipStream_tbENKUlT_T0_E_clISt17integral_constantIbLb0EES12_IbLb1EEEEDaSY_SZ_EUlSY_E_NS1_11comp_targetILNS1_3genE8ELNS1_11target_archE1030ELNS1_3gpuE2ELNS1_3repE0EEENS1_30default_config_static_selectorELNS0_4arch9wavefront6targetE1EEEvT1_,"axG",@progbits,_ZN7rocprim17ROCPRIM_400000_NS6detail17trampoline_kernelINS0_14default_configENS1_29reduce_by_key_config_selectorIflN6thrust23THRUST_200600_302600_NS4plusIlEEEEZZNS1_33reduce_by_key_impl_wrapped_configILNS1_25lookback_scan_determinismE0ES3_S9_PfNS6_17constant_iteratorIiNS6_11use_defaultESE_EENS6_10device_ptrIfEENSG_IlEEPmS8_NS6_8equal_toIfEEEE10hipError_tPvRmT2_T3_mT4_T5_T6_T7_T8_P12ihipStream_tbENKUlT_T0_E_clISt17integral_constantIbLb0EES12_IbLb1EEEEDaSY_SZ_EUlSY_E_NS1_11comp_targetILNS1_3genE8ELNS1_11target_archE1030ELNS1_3gpuE2ELNS1_3repE0EEENS1_30default_config_static_selectorELNS0_4arch9wavefront6targetE1EEEvT1_,comdat
.Lfunc_end1941:
	.size	_ZN7rocprim17ROCPRIM_400000_NS6detail17trampoline_kernelINS0_14default_configENS1_29reduce_by_key_config_selectorIflN6thrust23THRUST_200600_302600_NS4plusIlEEEEZZNS1_33reduce_by_key_impl_wrapped_configILNS1_25lookback_scan_determinismE0ES3_S9_PfNS6_17constant_iteratorIiNS6_11use_defaultESE_EENS6_10device_ptrIfEENSG_IlEEPmS8_NS6_8equal_toIfEEEE10hipError_tPvRmT2_T3_mT4_T5_T6_T7_T8_P12ihipStream_tbENKUlT_T0_E_clISt17integral_constantIbLb0EES12_IbLb1EEEEDaSY_SZ_EUlSY_E_NS1_11comp_targetILNS1_3genE8ELNS1_11target_archE1030ELNS1_3gpuE2ELNS1_3repE0EEENS1_30default_config_static_selectorELNS0_4arch9wavefront6targetE1EEEvT1_, .Lfunc_end1941-_ZN7rocprim17ROCPRIM_400000_NS6detail17trampoline_kernelINS0_14default_configENS1_29reduce_by_key_config_selectorIflN6thrust23THRUST_200600_302600_NS4plusIlEEEEZZNS1_33reduce_by_key_impl_wrapped_configILNS1_25lookback_scan_determinismE0ES3_S9_PfNS6_17constant_iteratorIiNS6_11use_defaultESE_EENS6_10device_ptrIfEENSG_IlEEPmS8_NS6_8equal_toIfEEEE10hipError_tPvRmT2_T3_mT4_T5_T6_T7_T8_P12ihipStream_tbENKUlT_T0_E_clISt17integral_constantIbLb0EES12_IbLb1EEEEDaSY_SZ_EUlSY_E_NS1_11comp_targetILNS1_3genE8ELNS1_11target_archE1030ELNS1_3gpuE2ELNS1_3repE0EEENS1_30default_config_static_selectorELNS0_4arch9wavefront6targetE1EEEvT1_
                                        ; -- End function
	.section	.AMDGPU.csdata,"",@progbits
; Kernel info:
; codeLenInByte = 0
; NumSgprs: 4
; NumVgprs: 0
; NumAgprs: 0
; TotalNumVgprs: 0
; ScratchSize: 0
; MemoryBound: 0
; FloatMode: 240
; IeeeMode: 1
; LDSByteSize: 0 bytes/workgroup (compile time only)
; SGPRBlocks: 0
; VGPRBlocks: 0
; NumSGPRsForWavesPerEU: 4
; NumVGPRsForWavesPerEU: 1
; AccumOffset: 4
; Occupancy: 8
; WaveLimiterHint : 0
; COMPUTE_PGM_RSRC2:SCRATCH_EN: 0
; COMPUTE_PGM_RSRC2:USER_SGPR: 6
; COMPUTE_PGM_RSRC2:TRAP_HANDLER: 0
; COMPUTE_PGM_RSRC2:TGID_X_EN: 1
; COMPUTE_PGM_RSRC2:TGID_Y_EN: 0
; COMPUTE_PGM_RSRC2:TGID_Z_EN: 0
; COMPUTE_PGM_RSRC2:TIDIG_COMP_CNT: 0
; COMPUTE_PGM_RSRC3_GFX90A:ACCUM_OFFSET: 0
; COMPUTE_PGM_RSRC3_GFX90A:TG_SPLIT: 0
	.section	.text._ZN7rocprim17ROCPRIM_400000_NS6detail17trampoline_kernelINS0_14default_configENS1_22reduce_config_selectorIN6thrust23THRUST_200600_302600_NS5tupleIblNS6_9null_typeES8_S8_S8_S8_S8_S8_S8_EEEEZNS1_11reduce_implILb1ES3_NS6_12zip_iteratorINS7_INS6_11hip_rocprim26transform_input_iterator_tIbPfNS6_6detail10functional5actorINSH_9compositeIJNSH_27transparent_binary_operatorINS6_8equal_toIvEEEENSI_INSH_8argumentILj0EEEEENSH_5valueIfEEEEEEEEENSD_19counting_iterator_tIlEES8_S8_S8_S8_S8_S8_S8_S8_EEEEPS9_S9_NSD_9__find_if7functorIS9_EEEE10hipError_tPvRmT1_T2_T3_mT4_P12ihipStream_tbEUlT_E0_NS1_11comp_targetILNS1_3genE0ELNS1_11target_archE4294967295ELNS1_3gpuE0ELNS1_3repE0EEENS1_30default_config_static_selectorELNS0_4arch9wavefront6targetE1EEEvS17_,"axG",@progbits,_ZN7rocprim17ROCPRIM_400000_NS6detail17trampoline_kernelINS0_14default_configENS1_22reduce_config_selectorIN6thrust23THRUST_200600_302600_NS5tupleIblNS6_9null_typeES8_S8_S8_S8_S8_S8_S8_EEEEZNS1_11reduce_implILb1ES3_NS6_12zip_iteratorINS7_INS6_11hip_rocprim26transform_input_iterator_tIbPfNS6_6detail10functional5actorINSH_9compositeIJNSH_27transparent_binary_operatorINS6_8equal_toIvEEEENSI_INSH_8argumentILj0EEEEENSH_5valueIfEEEEEEEEENSD_19counting_iterator_tIlEES8_S8_S8_S8_S8_S8_S8_S8_EEEEPS9_S9_NSD_9__find_if7functorIS9_EEEE10hipError_tPvRmT1_T2_T3_mT4_P12ihipStream_tbEUlT_E0_NS1_11comp_targetILNS1_3genE0ELNS1_11target_archE4294967295ELNS1_3gpuE0ELNS1_3repE0EEENS1_30default_config_static_selectorELNS0_4arch9wavefront6targetE1EEEvS17_,comdat
	.protected	_ZN7rocprim17ROCPRIM_400000_NS6detail17trampoline_kernelINS0_14default_configENS1_22reduce_config_selectorIN6thrust23THRUST_200600_302600_NS5tupleIblNS6_9null_typeES8_S8_S8_S8_S8_S8_S8_EEEEZNS1_11reduce_implILb1ES3_NS6_12zip_iteratorINS7_INS6_11hip_rocprim26transform_input_iterator_tIbPfNS6_6detail10functional5actorINSH_9compositeIJNSH_27transparent_binary_operatorINS6_8equal_toIvEEEENSI_INSH_8argumentILj0EEEEENSH_5valueIfEEEEEEEEENSD_19counting_iterator_tIlEES8_S8_S8_S8_S8_S8_S8_S8_EEEEPS9_S9_NSD_9__find_if7functorIS9_EEEE10hipError_tPvRmT1_T2_T3_mT4_P12ihipStream_tbEUlT_E0_NS1_11comp_targetILNS1_3genE0ELNS1_11target_archE4294967295ELNS1_3gpuE0ELNS1_3repE0EEENS1_30default_config_static_selectorELNS0_4arch9wavefront6targetE1EEEvS17_ ; -- Begin function _ZN7rocprim17ROCPRIM_400000_NS6detail17trampoline_kernelINS0_14default_configENS1_22reduce_config_selectorIN6thrust23THRUST_200600_302600_NS5tupleIblNS6_9null_typeES8_S8_S8_S8_S8_S8_S8_EEEEZNS1_11reduce_implILb1ES3_NS6_12zip_iteratorINS7_INS6_11hip_rocprim26transform_input_iterator_tIbPfNS6_6detail10functional5actorINSH_9compositeIJNSH_27transparent_binary_operatorINS6_8equal_toIvEEEENSI_INSH_8argumentILj0EEEEENSH_5valueIfEEEEEEEEENSD_19counting_iterator_tIlEES8_S8_S8_S8_S8_S8_S8_S8_EEEEPS9_S9_NSD_9__find_if7functorIS9_EEEE10hipError_tPvRmT1_T2_T3_mT4_P12ihipStream_tbEUlT_E0_NS1_11comp_targetILNS1_3genE0ELNS1_11target_archE4294967295ELNS1_3gpuE0ELNS1_3repE0EEENS1_30default_config_static_selectorELNS0_4arch9wavefront6targetE1EEEvS17_
	.globl	_ZN7rocprim17ROCPRIM_400000_NS6detail17trampoline_kernelINS0_14default_configENS1_22reduce_config_selectorIN6thrust23THRUST_200600_302600_NS5tupleIblNS6_9null_typeES8_S8_S8_S8_S8_S8_S8_EEEEZNS1_11reduce_implILb1ES3_NS6_12zip_iteratorINS7_INS6_11hip_rocprim26transform_input_iterator_tIbPfNS6_6detail10functional5actorINSH_9compositeIJNSH_27transparent_binary_operatorINS6_8equal_toIvEEEENSI_INSH_8argumentILj0EEEEENSH_5valueIfEEEEEEEEENSD_19counting_iterator_tIlEES8_S8_S8_S8_S8_S8_S8_S8_EEEEPS9_S9_NSD_9__find_if7functorIS9_EEEE10hipError_tPvRmT1_T2_T3_mT4_P12ihipStream_tbEUlT_E0_NS1_11comp_targetILNS1_3genE0ELNS1_11target_archE4294967295ELNS1_3gpuE0ELNS1_3repE0EEENS1_30default_config_static_selectorELNS0_4arch9wavefront6targetE1EEEvS17_
	.p2align	8
	.type	_ZN7rocprim17ROCPRIM_400000_NS6detail17trampoline_kernelINS0_14default_configENS1_22reduce_config_selectorIN6thrust23THRUST_200600_302600_NS5tupleIblNS6_9null_typeES8_S8_S8_S8_S8_S8_S8_EEEEZNS1_11reduce_implILb1ES3_NS6_12zip_iteratorINS7_INS6_11hip_rocprim26transform_input_iterator_tIbPfNS6_6detail10functional5actorINSH_9compositeIJNSH_27transparent_binary_operatorINS6_8equal_toIvEEEENSI_INSH_8argumentILj0EEEEENSH_5valueIfEEEEEEEEENSD_19counting_iterator_tIlEES8_S8_S8_S8_S8_S8_S8_S8_EEEEPS9_S9_NSD_9__find_if7functorIS9_EEEE10hipError_tPvRmT1_T2_T3_mT4_P12ihipStream_tbEUlT_E0_NS1_11comp_targetILNS1_3genE0ELNS1_11target_archE4294967295ELNS1_3gpuE0ELNS1_3repE0EEENS1_30default_config_static_selectorELNS0_4arch9wavefront6targetE1EEEvS17_,@function
_ZN7rocprim17ROCPRIM_400000_NS6detail17trampoline_kernelINS0_14default_configENS1_22reduce_config_selectorIN6thrust23THRUST_200600_302600_NS5tupleIblNS6_9null_typeES8_S8_S8_S8_S8_S8_S8_EEEEZNS1_11reduce_implILb1ES3_NS6_12zip_iteratorINS7_INS6_11hip_rocprim26transform_input_iterator_tIbPfNS6_6detail10functional5actorINSH_9compositeIJNSH_27transparent_binary_operatorINS6_8equal_toIvEEEENSI_INSH_8argumentILj0EEEEENSH_5valueIfEEEEEEEEENSD_19counting_iterator_tIlEES8_S8_S8_S8_S8_S8_S8_S8_EEEEPS9_S9_NSD_9__find_if7functorIS9_EEEE10hipError_tPvRmT1_T2_T3_mT4_P12ihipStream_tbEUlT_E0_NS1_11comp_targetILNS1_3genE0ELNS1_11target_archE4294967295ELNS1_3gpuE0ELNS1_3repE0EEENS1_30default_config_static_selectorELNS0_4arch9wavefront6targetE1EEEvS17_: ; @_ZN7rocprim17ROCPRIM_400000_NS6detail17trampoline_kernelINS0_14default_configENS1_22reduce_config_selectorIN6thrust23THRUST_200600_302600_NS5tupleIblNS6_9null_typeES8_S8_S8_S8_S8_S8_S8_EEEEZNS1_11reduce_implILb1ES3_NS6_12zip_iteratorINS7_INS6_11hip_rocprim26transform_input_iterator_tIbPfNS6_6detail10functional5actorINSH_9compositeIJNSH_27transparent_binary_operatorINS6_8equal_toIvEEEENSI_INSH_8argumentILj0EEEEENSH_5valueIfEEEEEEEEENSD_19counting_iterator_tIlEES8_S8_S8_S8_S8_S8_S8_S8_EEEEPS9_S9_NSD_9__find_if7functorIS9_EEEE10hipError_tPvRmT1_T2_T3_mT4_P12ihipStream_tbEUlT_E0_NS1_11comp_targetILNS1_3genE0ELNS1_11target_archE4294967295ELNS1_3gpuE0ELNS1_3repE0EEENS1_30default_config_static_selectorELNS0_4arch9wavefront6targetE1EEEvS17_
; %bb.0:
	.section	.rodata,"a",@progbits
	.p2align	6, 0x0
	.amdhsa_kernel _ZN7rocprim17ROCPRIM_400000_NS6detail17trampoline_kernelINS0_14default_configENS1_22reduce_config_selectorIN6thrust23THRUST_200600_302600_NS5tupleIblNS6_9null_typeES8_S8_S8_S8_S8_S8_S8_EEEEZNS1_11reduce_implILb1ES3_NS6_12zip_iteratorINS7_INS6_11hip_rocprim26transform_input_iterator_tIbPfNS6_6detail10functional5actorINSH_9compositeIJNSH_27transparent_binary_operatorINS6_8equal_toIvEEEENSI_INSH_8argumentILj0EEEEENSH_5valueIfEEEEEEEEENSD_19counting_iterator_tIlEES8_S8_S8_S8_S8_S8_S8_S8_EEEEPS9_S9_NSD_9__find_if7functorIS9_EEEE10hipError_tPvRmT1_T2_T3_mT4_P12ihipStream_tbEUlT_E0_NS1_11comp_targetILNS1_3genE0ELNS1_11target_archE4294967295ELNS1_3gpuE0ELNS1_3repE0EEENS1_30default_config_static_selectorELNS0_4arch9wavefront6targetE1EEEvS17_
		.amdhsa_group_segment_fixed_size 0
		.amdhsa_private_segment_fixed_size 0
		.amdhsa_kernarg_size 88
		.amdhsa_user_sgpr_count 6
		.amdhsa_user_sgpr_private_segment_buffer 1
		.amdhsa_user_sgpr_dispatch_ptr 0
		.amdhsa_user_sgpr_queue_ptr 0
		.amdhsa_user_sgpr_kernarg_segment_ptr 1
		.amdhsa_user_sgpr_dispatch_id 0
		.amdhsa_user_sgpr_flat_scratch_init 0
		.amdhsa_user_sgpr_kernarg_preload_length 0
		.amdhsa_user_sgpr_kernarg_preload_offset 0
		.amdhsa_user_sgpr_private_segment_size 0
		.amdhsa_uses_dynamic_stack 0
		.amdhsa_system_sgpr_private_segment_wavefront_offset 0
		.amdhsa_system_sgpr_workgroup_id_x 1
		.amdhsa_system_sgpr_workgroup_id_y 0
		.amdhsa_system_sgpr_workgroup_id_z 0
		.amdhsa_system_sgpr_workgroup_info 0
		.amdhsa_system_vgpr_workitem_id 0
		.amdhsa_next_free_vgpr 1
		.amdhsa_next_free_sgpr 0
		.amdhsa_accum_offset 4
		.amdhsa_reserve_vcc 0
		.amdhsa_reserve_flat_scratch 0
		.amdhsa_float_round_mode_32 0
		.amdhsa_float_round_mode_16_64 0
		.amdhsa_float_denorm_mode_32 3
		.amdhsa_float_denorm_mode_16_64 3
		.amdhsa_dx10_clamp 1
		.amdhsa_ieee_mode 1
		.amdhsa_fp16_overflow 0
		.amdhsa_tg_split 0
		.amdhsa_exception_fp_ieee_invalid_op 0
		.amdhsa_exception_fp_denorm_src 0
		.amdhsa_exception_fp_ieee_div_zero 0
		.amdhsa_exception_fp_ieee_overflow 0
		.amdhsa_exception_fp_ieee_underflow 0
		.amdhsa_exception_fp_ieee_inexact 0
		.amdhsa_exception_int_div_zero 0
	.end_amdhsa_kernel
	.section	.text._ZN7rocprim17ROCPRIM_400000_NS6detail17trampoline_kernelINS0_14default_configENS1_22reduce_config_selectorIN6thrust23THRUST_200600_302600_NS5tupleIblNS6_9null_typeES8_S8_S8_S8_S8_S8_S8_EEEEZNS1_11reduce_implILb1ES3_NS6_12zip_iteratorINS7_INS6_11hip_rocprim26transform_input_iterator_tIbPfNS6_6detail10functional5actorINSH_9compositeIJNSH_27transparent_binary_operatorINS6_8equal_toIvEEEENSI_INSH_8argumentILj0EEEEENSH_5valueIfEEEEEEEEENSD_19counting_iterator_tIlEES8_S8_S8_S8_S8_S8_S8_S8_EEEEPS9_S9_NSD_9__find_if7functorIS9_EEEE10hipError_tPvRmT1_T2_T3_mT4_P12ihipStream_tbEUlT_E0_NS1_11comp_targetILNS1_3genE0ELNS1_11target_archE4294967295ELNS1_3gpuE0ELNS1_3repE0EEENS1_30default_config_static_selectorELNS0_4arch9wavefront6targetE1EEEvS17_,"axG",@progbits,_ZN7rocprim17ROCPRIM_400000_NS6detail17trampoline_kernelINS0_14default_configENS1_22reduce_config_selectorIN6thrust23THRUST_200600_302600_NS5tupleIblNS6_9null_typeES8_S8_S8_S8_S8_S8_S8_EEEEZNS1_11reduce_implILb1ES3_NS6_12zip_iteratorINS7_INS6_11hip_rocprim26transform_input_iterator_tIbPfNS6_6detail10functional5actorINSH_9compositeIJNSH_27transparent_binary_operatorINS6_8equal_toIvEEEENSI_INSH_8argumentILj0EEEEENSH_5valueIfEEEEEEEEENSD_19counting_iterator_tIlEES8_S8_S8_S8_S8_S8_S8_S8_EEEEPS9_S9_NSD_9__find_if7functorIS9_EEEE10hipError_tPvRmT1_T2_T3_mT4_P12ihipStream_tbEUlT_E0_NS1_11comp_targetILNS1_3genE0ELNS1_11target_archE4294967295ELNS1_3gpuE0ELNS1_3repE0EEENS1_30default_config_static_selectorELNS0_4arch9wavefront6targetE1EEEvS17_,comdat
.Lfunc_end1942:
	.size	_ZN7rocprim17ROCPRIM_400000_NS6detail17trampoline_kernelINS0_14default_configENS1_22reduce_config_selectorIN6thrust23THRUST_200600_302600_NS5tupleIblNS6_9null_typeES8_S8_S8_S8_S8_S8_S8_EEEEZNS1_11reduce_implILb1ES3_NS6_12zip_iteratorINS7_INS6_11hip_rocprim26transform_input_iterator_tIbPfNS6_6detail10functional5actorINSH_9compositeIJNSH_27transparent_binary_operatorINS6_8equal_toIvEEEENSI_INSH_8argumentILj0EEEEENSH_5valueIfEEEEEEEEENSD_19counting_iterator_tIlEES8_S8_S8_S8_S8_S8_S8_S8_EEEEPS9_S9_NSD_9__find_if7functorIS9_EEEE10hipError_tPvRmT1_T2_T3_mT4_P12ihipStream_tbEUlT_E0_NS1_11comp_targetILNS1_3genE0ELNS1_11target_archE4294967295ELNS1_3gpuE0ELNS1_3repE0EEENS1_30default_config_static_selectorELNS0_4arch9wavefront6targetE1EEEvS17_, .Lfunc_end1942-_ZN7rocprim17ROCPRIM_400000_NS6detail17trampoline_kernelINS0_14default_configENS1_22reduce_config_selectorIN6thrust23THRUST_200600_302600_NS5tupleIblNS6_9null_typeES8_S8_S8_S8_S8_S8_S8_EEEEZNS1_11reduce_implILb1ES3_NS6_12zip_iteratorINS7_INS6_11hip_rocprim26transform_input_iterator_tIbPfNS6_6detail10functional5actorINSH_9compositeIJNSH_27transparent_binary_operatorINS6_8equal_toIvEEEENSI_INSH_8argumentILj0EEEEENSH_5valueIfEEEEEEEEENSD_19counting_iterator_tIlEES8_S8_S8_S8_S8_S8_S8_S8_EEEEPS9_S9_NSD_9__find_if7functorIS9_EEEE10hipError_tPvRmT1_T2_T3_mT4_P12ihipStream_tbEUlT_E0_NS1_11comp_targetILNS1_3genE0ELNS1_11target_archE4294967295ELNS1_3gpuE0ELNS1_3repE0EEENS1_30default_config_static_selectorELNS0_4arch9wavefront6targetE1EEEvS17_
                                        ; -- End function
	.section	.AMDGPU.csdata,"",@progbits
; Kernel info:
; codeLenInByte = 0
; NumSgprs: 4
; NumVgprs: 0
; NumAgprs: 0
; TotalNumVgprs: 0
; ScratchSize: 0
; MemoryBound: 0
; FloatMode: 240
; IeeeMode: 1
; LDSByteSize: 0 bytes/workgroup (compile time only)
; SGPRBlocks: 0
; VGPRBlocks: 0
; NumSGPRsForWavesPerEU: 4
; NumVGPRsForWavesPerEU: 1
; AccumOffset: 4
; Occupancy: 8
; WaveLimiterHint : 0
; COMPUTE_PGM_RSRC2:SCRATCH_EN: 0
; COMPUTE_PGM_RSRC2:USER_SGPR: 6
; COMPUTE_PGM_RSRC2:TRAP_HANDLER: 0
; COMPUTE_PGM_RSRC2:TGID_X_EN: 1
; COMPUTE_PGM_RSRC2:TGID_Y_EN: 0
; COMPUTE_PGM_RSRC2:TGID_Z_EN: 0
; COMPUTE_PGM_RSRC2:TIDIG_COMP_CNT: 0
; COMPUTE_PGM_RSRC3_GFX90A:ACCUM_OFFSET: 0
; COMPUTE_PGM_RSRC3_GFX90A:TG_SPLIT: 0
	.section	.text._ZN7rocprim17ROCPRIM_400000_NS6detail17trampoline_kernelINS0_14default_configENS1_22reduce_config_selectorIN6thrust23THRUST_200600_302600_NS5tupleIblNS6_9null_typeES8_S8_S8_S8_S8_S8_S8_EEEEZNS1_11reduce_implILb1ES3_NS6_12zip_iteratorINS7_INS6_11hip_rocprim26transform_input_iterator_tIbPfNS6_6detail10functional5actorINSH_9compositeIJNSH_27transparent_binary_operatorINS6_8equal_toIvEEEENSI_INSH_8argumentILj0EEEEENSH_5valueIfEEEEEEEEENSD_19counting_iterator_tIlEES8_S8_S8_S8_S8_S8_S8_S8_EEEEPS9_S9_NSD_9__find_if7functorIS9_EEEE10hipError_tPvRmT1_T2_T3_mT4_P12ihipStream_tbEUlT_E0_NS1_11comp_targetILNS1_3genE5ELNS1_11target_archE942ELNS1_3gpuE9ELNS1_3repE0EEENS1_30default_config_static_selectorELNS0_4arch9wavefront6targetE1EEEvS17_,"axG",@progbits,_ZN7rocprim17ROCPRIM_400000_NS6detail17trampoline_kernelINS0_14default_configENS1_22reduce_config_selectorIN6thrust23THRUST_200600_302600_NS5tupleIblNS6_9null_typeES8_S8_S8_S8_S8_S8_S8_EEEEZNS1_11reduce_implILb1ES3_NS6_12zip_iteratorINS7_INS6_11hip_rocprim26transform_input_iterator_tIbPfNS6_6detail10functional5actorINSH_9compositeIJNSH_27transparent_binary_operatorINS6_8equal_toIvEEEENSI_INSH_8argumentILj0EEEEENSH_5valueIfEEEEEEEEENSD_19counting_iterator_tIlEES8_S8_S8_S8_S8_S8_S8_S8_EEEEPS9_S9_NSD_9__find_if7functorIS9_EEEE10hipError_tPvRmT1_T2_T3_mT4_P12ihipStream_tbEUlT_E0_NS1_11comp_targetILNS1_3genE5ELNS1_11target_archE942ELNS1_3gpuE9ELNS1_3repE0EEENS1_30default_config_static_selectorELNS0_4arch9wavefront6targetE1EEEvS17_,comdat
	.protected	_ZN7rocprim17ROCPRIM_400000_NS6detail17trampoline_kernelINS0_14default_configENS1_22reduce_config_selectorIN6thrust23THRUST_200600_302600_NS5tupleIblNS6_9null_typeES8_S8_S8_S8_S8_S8_S8_EEEEZNS1_11reduce_implILb1ES3_NS6_12zip_iteratorINS7_INS6_11hip_rocprim26transform_input_iterator_tIbPfNS6_6detail10functional5actorINSH_9compositeIJNSH_27transparent_binary_operatorINS6_8equal_toIvEEEENSI_INSH_8argumentILj0EEEEENSH_5valueIfEEEEEEEEENSD_19counting_iterator_tIlEES8_S8_S8_S8_S8_S8_S8_S8_EEEEPS9_S9_NSD_9__find_if7functorIS9_EEEE10hipError_tPvRmT1_T2_T3_mT4_P12ihipStream_tbEUlT_E0_NS1_11comp_targetILNS1_3genE5ELNS1_11target_archE942ELNS1_3gpuE9ELNS1_3repE0EEENS1_30default_config_static_selectorELNS0_4arch9wavefront6targetE1EEEvS17_ ; -- Begin function _ZN7rocprim17ROCPRIM_400000_NS6detail17trampoline_kernelINS0_14default_configENS1_22reduce_config_selectorIN6thrust23THRUST_200600_302600_NS5tupleIblNS6_9null_typeES8_S8_S8_S8_S8_S8_S8_EEEEZNS1_11reduce_implILb1ES3_NS6_12zip_iteratorINS7_INS6_11hip_rocprim26transform_input_iterator_tIbPfNS6_6detail10functional5actorINSH_9compositeIJNSH_27transparent_binary_operatorINS6_8equal_toIvEEEENSI_INSH_8argumentILj0EEEEENSH_5valueIfEEEEEEEEENSD_19counting_iterator_tIlEES8_S8_S8_S8_S8_S8_S8_S8_EEEEPS9_S9_NSD_9__find_if7functorIS9_EEEE10hipError_tPvRmT1_T2_T3_mT4_P12ihipStream_tbEUlT_E0_NS1_11comp_targetILNS1_3genE5ELNS1_11target_archE942ELNS1_3gpuE9ELNS1_3repE0EEENS1_30default_config_static_selectorELNS0_4arch9wavefront6targetE1EEEvS17_
	.globl	_ZN7rocprim17ROCPRIM_400000_NS6detail17trampoline_kernelINS0_14default_configENS1_22reduce_config_selectorIN6thrust23THRUST_200600_302600_NS5tupleIblNS6_9null_typeES8_S8_S8_S8_S8_S8_S8_EEEEZNS1_11reduce_implILb1ES3_NS6_12zip_iteratorINS7_INS6_11hip_rocprim26transform_input_iterator_tIbPfNS6_6detail10functional5actorINSH_9compositeIJNSH_27transparent_binary_operatorINS6_8equal_toIvEEEENSI_INSH_8argumentILj0EEEEENSH_5valueIfEEEEEEEEENSD_19counting_iterator_tIlEES8_S8_S8_S8_S8_S8_S8_S8_EEEEPS9_S9_NSD_9__find_if7functorIS9_EEEE10hipError_tPvRmT1_T2_T3_mT4_P12ihipStream_tbEUlT_E0_NS1_11comp_targetILNS1_3genE5ELNS1_11target_archE942ELNS1_3gpuE9ELNS1_3repE0EEENS1_30default_config_static_selectorELNS0_4arch9wavefront6targetE1EEEvS17_
	.p2align	8
	.type	_ZN7rocprim17ROCPRIM_400000_NS6detail17trampoline_kernelINS0_14default_configENS1_22reduce_config_selectorIN6thrust23THRUST_200600_302600_NS5tupleIblNS6_9null_typeES8_S8_S8_S8_S8_S8_S8_EEEEZNS1_11reduce_implILb1ES3_NS6_12zip_iteratorINS7_INS6_11hip_rocprim26transform_input_iterator_tIbPfNS6_6detail10functional5actorINSH_9compositeIJNSH_27transparent_binary_operatorINS6_8equal_toIvEEEENSI_INSH_8argumentILj0EEEEENSH_5valueIfEEEEEEEEENSD_19counting_iterator_tIlEES8_S8_S8_S8_S8_S8_S8_S8_EEEEPS9_S9_NSD_9__find_if7functorIS9_EEEE10hipError_tPvRmT1_T2_T3_mT4_P12ihipStream_tbEUlT_E0_NS1_11comp_targetILNS1_3genE5ELNS1_11target_archE942ELNS1_3gpuE9ELNS1_3repE0EEENS1_30default_config_static_selectorELNS0_4arch9wavefront6targetE1EEEvS17_,@function
_ZN7rocprim17ROCPRIM_400000_NS6detail17trampoline_kernelINS0_14default_configENS1_22reduce_config_selectorIN6thrust23THRUST_200600_302600_NS5tupleIblNS6_9null_typeES8_S8_S8_S8_S8_S8_S8_EEEEZNS1_11reduce_implILb1ES3_NS6_12zip_iteratorINS7_INS6_11hip_rocprim26transform_input_iterator_tIbPfNS6_6detail10functional5actorINSH_9compositeIJNSH_27transparent_binary_operatorINS6_8equal_toIvEEEENSI_INSH_8argumentILj0EEEEENSH_5valueIfEEEEEEEEENSD_19counting_iterator_tIlEES8_S8_S8_S8_S8_S8_S8_S8_EEEEPS9_S9_NSD_9__find_if7functorIS9_EEEE10hipError_tPvRmT1_T2_T3_mT4_P12ihipStream_tbEUlT_E0_NS1_11comp_targetILNS1_3genE5ELNS1_11target_archE942ELNS1_3gpuE9ELNS1_3repE0EEENS1_30default_config_static_selectorELNS0_4arch9wavefront6targetE1EEEvS17_: ; @_ZN7rocprim17ROCPRIM_400000_NS6detail17trampoline_kernelINS0_14default_configENS1_22reduce_config_selectorIN6thrust23THRUST_200600_302600_NS5tupleIblNS6_9null_typeES8_S8_S8_S8_S8_S8_S8_EEEEZNS1_11reduce_implILb1ES3_NS6_12zip_iteratorINS7_INS6_11hip_rocprim26transform_input_iterator_tIbPfNS6_6detail10functional5actorINSH_9compositeIJNSH_27transparent_binary_operatorINS6_8equal_toIvEEEENSI_INSH_8argumentILj0EEEEENSH_5valueIfEEEEEEEEENSD_19counting_iterator_tIlEES8_S8_S8_S8_S8_S8_S8_S8_EEEEPS9_S9_NSD_9__find_if7functorIS9_EEEE10hipError_tPvRmT1_T2_T3_mT4_P12ihipStream_tbEUlT_E0_NS1_11comp_targetILNS1_3genE5ELNS1_11target_archE942ELNS1_3gpuE9ELNS1_3repE0EEENS1_30default_config_static_selectorELNS0_4arch9wavefront6targetE1EEEvS17_
; %bb.0:
	.section	.rodata,"a",@progbits
	.p2align	6, 0x0
	.amdhsa_kernel _ZN7rocprim17ROCPRIM_400000_NS6detail17trampoline_kernelINS0_14default_configENS1_22reduce_config_selectorIN6thrust23THRUST_200600_302600_NS5tupleIblNS6_9null_typeES8_S8_S8_S8_S8_S8_S8_EEEEZNS1_11reduce_implILb1ES3_NS6_12zip_iteratorINS7_INS6_11hip_rocprim26transform_input_iterator_tIbPfNS6_6detail10functional5actorINSH_9compositeIJNSH_27transparent_binary_operatorINS6_8equal_toIvEEEENSI_INSH_8argumentILj0EEEEENSH_5valueIfEEEEEEEEENSD_19counting_iterator_tIlEES8_S8_S8_S8_S8_S8_S8_S8_EEEEPS9_S9_NSD_9__find_if7functorIS9_EEEE10hipError_tPvRmT1_T2_T3_mT4_P12ihipStream_tbEUlT_E0_NS1_11comp_targetILNS1_3genE5ELNS1_11target_archE942ELNS1_3gpuE9ELNS1_3repE0EEENS1_30default_config_static_selectorELNS0_4arch9wavefront6targetE1EEEvS17_
		.amdhsa_group_segment_fixed_size 0
		.amdhsa_private_segment_fixed_size 0
		.amdhsa_kernarg_size 88
		.amdhsa_user_sgpr_count 6
		.amdhsa_user_sgpr_private_segment_buffer 1
		.amdhsa_user_sgpr_dispatch_ptr 0
		.amdhsa_user_sgpr_queue_ptr 0
		.amdhsa_user_sgpr_kernarg_segment_ptr 1
		.amdhsa_user_sgpr_dispatch_id 0
		.amdhsa_user_sgpr_flat_scratch_init 0
		.amdhsa_user_sgpr_kernarg_preload_length 0
		.amdhsa_user_sgpr_kernarg_preload_offset 0
		.amdhsa_user_sgpr_private_segment_size 0
		.amdhsa_uses_dynamic_stack 0
		.amdhsa_system_sgpr_private_segment_wavefront_offset 0
		.amdhsa_system_sgpr_workgroup_id_x 1
		.amdhsa_system_sgpr_workgroup_id_y 0
		.amdhsa_system_sgpr_workgroup_id_z 0
		.amdhsa_system_sgpr_workgroup_info 0
		.amdhsa_system_vgpr_workitem_id 0
		.amdhsa_next_free_vgpr 1
		.amdhsa_next_free_sgpr 0
		.amdhsa_accum_offset 4
		.amdhsa_reserve_vcc 0
		.amdhsa_reserve_flat_scratch 0
		.amdhsa_float_round_mode_32 0
		.amdhsa_float_round_mode_16_64 0
		.amdhsa_float_denorm_mode_32 3
		.amdhsa_float_denorm_mode_16_64 3
		.amdhsa_dx10_clamp 1
		.amdhsa_ieee_mode 1
		.amdhsa_fp16_overflow 0
		.amdhsa_tg_split 0
		.amdhsa_exception_fp_ieee_invalid_op 0
		.amdhsa_exception_fp_denorm_src 0
		.amdhsa_exception_fp_ieee_div_zero 0
		.amdhsa_exception_fp_ieee_overflow 0
		.amdhsa_exception_fp_ieee_underflow 0
		.amdhsa_exception_fp_ieee_inexact 0
		.amdhsa_exception_int_div_zero 0
	.end_amdhsa_kernel
	.section	.text._ZN7rocprim17ROCPRIM_400000_NS6detail17trampoline_kernelINS0_14default_configENS1_22reduce_config_selectorIN6thrust23THRUST_200600_302600_NS5tupleIblNS6_9null_typeES8_S8_S8_S8_S8_S8_S8_EEEEZNS1_11reduce_implILb1ES3_NS6_12zip_iteratorINS7_INS6_11hip_rocprim26transform_input_iterator_tIbPfNS6_6detail10functional5actorINSH_9compositeIJNSH_27transparent_binary_operatorINS6_8equal_toIvEEEENSI_INSH_8argumentILj0EEEEENSH_5valueIfEEEEEEEEENSD_19counting_iterator_tIlEES8_S8_S8_S8_S8_S8_S8_S8_EEEEPS9_S9_NSD_9__find_if7functorIS9_EEEE10hipError_tPvRmT1_T2_T3_mT4_P12ihipStream_tbEUlT_E0_NS1_11comp_targetILNS1_3genE5ELNS1_11target_archE942ELNS1_3gpuE9ELNS1_3repE0EEENS1_30default_config_static_selectorELNS0_4arch9wavefront6targetE1EEEvS17_,"axG",@progbits,_ZN7rocprim17ROCPRIM_400000_NS6detail17trampoline_kernelINS0_14default_configENS1_22reduce_config_selectorIN6thrust23THRUST_200600_302600_NS5tupleIblNS6_9null_typeES8_S8_S8_S8_S8_S8_S8_EEEEZNS1_11reduce_implILb1ES3_NS6_12zip_iteratorINS7_INS6_11hip_rocprim26transform_input_iterator_tIbPfNS6_6detail10functional5actorINSH_9compositeIJNSH_27transparent_binary_operatorINS6_8equal_toIvEEEENSI_INSH_8argumentILj0EEEEENSH_5valueIfEEEEEEEEENSD_19counting_iterator_tIlEES8_S8_S8_S8_S8_S8_S8_S8_EEEEPS9_S9_NSD_9__find_if7functorIS9_EEEE10hipError_tPvRmT1_T2_T3_mT4_P12ihipStream_tbEUlT_E0_NS1_11comp_targetILNS1_3genE5ELNS1_11target_archE942ELNS1_3gpuE9ELNS1_3repE0EEENS1_30default_config_static_selectorELNS0_4arch9wavefront6targetE1EEEvS17_,comdat
.Lfunc_end1943:
	.size	_ZN7rocprim17ROCPRIM_400000_NS6detail17trampoline_kernelINS0_14default_configENS1_22reduce_config_selectorIN6thrust23THRUST_200600_302600_NS5tupleIblNS6_9null_typeES8_S8_S8_S8_S8_S8_S8_EEEEZNS1_11reduce_implILb1ES3_NS6_12zip_iteratorINS7_INS6_11hip_rocprim26transform_input_iterator_tIbPfNS6_6detail10functional5actorINSH_9compositeIJNSH_27transparent_binary_operatorINS6_8equal_toIvEEEENSI_INSH_8argumentILj0EEEEENSH_5valueIfEEEEEEEEENSD_19counting_iterator_tIlEES8_S8_S8_S8_S8_S8_S8_S8_EEEEPS9_S9_NSD_9__find_if7functorIS9_EEEE10hipError_tPvRmT1_T2_T3_mT4_P12ihipStream_tbEUlT_E0_NS1_11comp_targetILNS1_3genE5ELNS1_11target_archE942ELNS1_3gpuE9ELNS1_3repE0EEENS1_30default_config_static_selectorELNS0_4arch9wavefront6targetE1EEEvS17_, .Lfunc_end1943-_ZN7rocprim17ROCPRIM_400000_NS6detail17trampoline_kernelINS0_14default_configENS1_22reduce_config_selectorIN6thrust23THRUST_200600_302600_NS5tupleIblNS6_9null_typeES8_S8_S8_S8_S8_S8_S8_EEEEZNS1_11reduce_implILb1ES3_NS6_12zip_iteratorINS7_INS6_11hip_rocprim26transform_input_iterator_tIbPfNS6_6detail10functional5actorINSH_9compositeIJNSH_27transparent_binary_operatorINS6_8equal_toIvEEEENSI_INSH_8argumentILj0EEEEENSH_5valueIfEEEEEEEEENSD_19counting_iterator_tIlEES8_S8_S8_S8_S8_S8_S8_S8_EEEEPS9_S9_NSD_9__find_if7functorIS9_EEEE10hipError_tPvRmT1_T2_T3_mT4_P12ihipStream_tbEUlT_E0_NS1_11comp_targetILNS1_3genE5ELNS1_11target_archE942ELNS1_3gpuE9ELNS1_3repE0EEENS1_30default_config_static_selectorELNS0_4arch9wavefront6targetE1EEEvS17_
                                        ; -- End function
	.section	.AMDGPU.csdata,"",@progbits
; Kernel info:
; codeLenInByte = 0
; NumSgprs: 4
; NumVgprs: 0
; NumAgprs: 0
; TotalNumVgprs: 0
; ScratchSize: 0
; MemoryBound: 0
; FloatMode: 240
; IeeeMode: 1
; LDSByteSize: 0 bytes/workgroup (compile time only)
; SGPRBlocks: 0
; VGPRBlocks: 0
; NumSGPRsForWavesPerEU: 4
; NumVGPRsForWavesPerEU: 1
; AccumOffset: 4
; Occupancy: 8
; WaveLimiterHint : 0
; COMPUTE_PGM_RSRC2:SCRATCH_EN: 0
; COMPUTE_PGM_RSRC2:USER_SGPR: 6
; COMPUTE_PGM_RSRC2:TRAP_HANDLER: 0
; COMPUTE_PGM_RSRC2:TGID_X_EN: 1
; COMPUTE_PGM_RSRC2:TGID_Y_EN: 0
; COMPUTE_PGM_RSRC2:TGID_Z_EN: 0
; COMPUTE_PGM_RSRC2:TIDIG_COMP_CNT: 0
; COMPUTE_PGM_RSRC3_GFX90A:ACCUM_OFFSET: 0
; COMPUTE_PGM_RSRC3_GFX90A:TG_SPLIT: 0
	.section	.text._ZN7rocprim17ROCPRIM_400000_NS6detail17trampoline_kernelINS0_14default_configENS1_22reduce_config_selectorIN6thrust23THRUST_200600_302600_NS5tupleIblNS6_9null_typeES8_S8_S8_S8_S8_S8_S8_EEEEZNS1_11reduce_implILb1ES3_NS6_12zip_iteratorINS7_INS6_11hip_rocprim26transform_input_iterator_tIbPfNS6_6detail10functional5actorINSH_9compositeIJNSH_27transparent_binary_operatorINS6_8equal_toIvEEEENSI_INSH_8argumentILj0EEEEENSH_5valueIfEEEEEEEEENSD_19counting_iterator_tIlEES8_S8_S8_S8_S8_S8_S8_S8_EEEEPS9_S9_NSD_9__find_if7functorIS9_EEEE10hipError_tPvRmT1_T2_T3_mT4_P12ihipStream_tbEUlT_E0_NS1_11comp_targetILNS1_3genE4ELNS1_11target_archE910ELNS1_3gpuE8ELNS1_3repE0EEENS1_30default_config_static_selectorELNS0_4arch9wavefront6targetE1EEEvS17_,"axG",@progbits,_ZN7rocprim17ROCPRIM_400000_NS6detail17trampoline_kernelINS0_14default_configENS1_22reduce_config_selectorIN6thrust23THRUST_200600_302600_NS5tupleIblNS6_9null_typeES8_S8_S8_S8_S8_S8_S8_EEEEZNS1_11reduce_implILb1ES3_NS6_12zip_iteratorINS7_INS6_11hip_rocprim26transform_input_iterator_tIbPfNS6_6detail10functional5actorINSH_9compositeIJNSH_27transparent_binary_operatorINS6_8equal_toIvEEEENSI_INSH_8argumentILj0EEEEENSH_5valueIfEEEEEEEEENSD_19counting_iterator_tIlEES8_S8_S8_S8_S8_S8_S8_S8_EEEEPS9_S9_NSD_9__find_if7functorIS9_EEEE10hipError_tPvRmT1_T2_T3_mT4_P12ihipStream_tbEUlT_E0_NS1_11comp_targetILNS1_3genE4ELNS1_11target_archE910ELNS1_3gpuE8ELNS1_3repE0EEENS1_30default_config_static_selectorELNS0_4arch9wavefront6targetE1EEEvS17_,comdat
	.protected	_ZN7rocprim17ROCPRIM_400000_NS6detail17trampoline_kernelINS0_14default_configENS1_22reduce_config_selectorIN6thrust23THRUST_200600_302600_NS5tupleIblNS6_9null_typeES8_S8_S8_S8_S8_S8_S8_EEEEZNS1_11reduce_implILb1ES3_NS6_12zip_iteratorINS7_INS6_11hip_rocprim26transform_input_iterator_tIbPfNS6_6detail10functional5actorINSH_9compositeIJNSH_27transparent_binary_operatorINS6_8equal_toIvEEEENSI_INSH_8argumentILj0EEEEENSH_5valueIfEEEEEEEEENSD_19counting_iterator_tIlEES8_S8_S8_S8_S8_S8_S8_S8_EEEEPS9_S9_NSD_9__find_if7functorIS9_EEEE10hipError_tPvRmT1_T2_T3_mT4_P12ihipStream_tbEUlT_E0_NS1_11comp_targetILNS1_3genE4ELNS1_11target_archE910ELNS1_3gpuE8ELNS1_3repE0EEENS1_30default_config_static_selectorELNS0_4arch9wavefront6targetE1EEEvS17_ ; -- Begin function _ZN7rocprim17ROCPRIM_400000_NS6detail17trampoline_kernelINS0_14default_configENS1_22reduce_config_selectorIN6thrust23THRUST_200600_302600_NS5tupleIblNS6_9null_typeES8_S8_S8_S8_S8_S8_S8_EEEEZNS1_11reduce_implILb1ES3_NS6_12zip_iteratorINS7_INS6_11hip_rocprim26transform_input_iterator_tIbPfNS6_6detail10functional5actorINSH_9compositeIJNSH_27transparent_binary_operatorINS6_8equal_toIvEEEENSI_INSH_8argumentILj0EEEEENSH_5valueIfEEEEEEEEENSD_19counting_iterator_tIlEES8_S8_S8_S8_S8_S8_S8_S8_EEEEPS9_S9_NSD_9__find_if7functorIS9_EEEE10hipError_tPvRmT1_T2_T3_mT4_P12ihipStream_tbEUlT_E0_NS1_11comp_targetILNS1_3genE4ELNS1_11target_archE910ELNS1_3gpuE8ELNS1_3repE0EEENS1_30default_config_static_selectorELNS0_4arch9wavefront6targetE1EEEvS17_
	.globl	_ZN7rocprim17ROCPRIM_400000_NS6detail17trampoline_kernelINS0_14default_configENS1_22reduce_config_selectorIN6thrust23THRUST_200600_302600_NS5tupleIblNS6_9null_typeES8_S8_S8_S8_S8_S8_S8_EEEEZNS1_11reduce_implILb1ES3_NS6_12zip_iteratorINS7_INS6_11hip_rocprim26transform_input_iterator_tIbPfNS6_6detail10functional5actorINSH_9compositeIJNSH_27transparent_binary_operatorINS6_8equal_toIvEEEENSI_INSH_8argumentILj0EEEEENSH_5valueIfEEEEEEEEENSD_19counting_iterator_tIlEES8_S8_S8_S8_S8_S8_S8_S8_EEEEPS9_S9_NSD_9__find_if7functorIS9_EEEE10hipError_tPvRmT1_T2_T3_mT4_P12ihipStream_tbEUlT_E0_NS1_11comp_targetILNS1_3genE4ELNS1_11target_archE910ELNS1_3gpuE8ELNS1_3repE0EEENS1_30default_config_static_selectorELNS0_4arch9wavefront6targetE1EEEvS17_
	.p2align	8
	.type	_ZN7rocprim17ROCPRIM_400000_NS6detail17trampoline_kernelINS0_14default_configENS1_22reduce_config_selectorIN6thrust23THRUST_200600_302600_NS5tupleIblNS6_9null_typeES8_S8_S8_S8_S8_S8_S8_EEEEZNS1_11reduce_implILb1ES3_NS6_12zip_iteratorINS7_INS6_11hip_rocprim26transform_input_iterator_tIbPfNS6_6detail10functional5actorINSH_9compositeIJNSH_27transparent_binary_operatorINS6_8equal_toIvEEEENSI_INSH_8argumentILj0EEEEENSH_5valueIfEEEEEEEEENSD_19counting_iterator_tIlEES8_S8_S8_S8_S8_S8_S8_S8_EEEEPS9_S9_NSD_9__find_if7functorIS9_EEEE10hipError_tPvRmT1_T2_T3_mT4_P12ihipStream_tbEUlT_E0_NS1_11comp_targetILNS1_3genE4ELNS1_11target_archE910ELNS1_3gpuE8ELNS1_3repE0EEENS1_30default_config_static_selectorELNS0_4arch9wavefront6targetE1EEEvS17_,@function
_ZN7rocprim17ROCPRIM_400000_NS6detail17trampoline_kernelINS0_14default_configENS1_22reduce_config_selectorIN6thrust23THRUST_200600_302600_NS5tupleIblNS6_9null_typeES8_S8_S8_S8_S8_S8_S8_EEEEZNS1_11reduce_implILb1ES3_NS6_12zip_iteratorINS7_INS6_11hip_rocprim26transform_input_iterator_tIbPfNS6_6detail10functional5actorINSH_9compositeIJNSH_27transparent_binary_operatorINS6_8equal_toIvEEEENSI_INSH_8argumentILj0EEEEENSH_5valueIfEEEEEEEEENSD_19counting_iterator_tIlEES8_S8_S8_S8_S8_S8_S8_S8_EEEEPS9_S9_NSD_9__find_if7functorIS9_EEEE10hipError_tPvRmT1_T2_T3_mT4_P12ihipStream_tbEUlT_E0_NS1_11comp_targetILNS1_3genE4ELNS1_11target_archE910ELNS1_3gpuE8ELNS1_3repE0EEENS1_30default_config_static_selectorELNS0_4arch9wavefront6targetE1EEEvS17_: ; @_ZN7rocprim17ROCPRIM_400000_NS6detail17trampoline_kernelINS0_14default_configENS1_22reduce_config_selectorIN6thrust23THRUST_200600_302600_NS5tupleIblNS6_9null_typeES8_S8_S8_S8_S8_S8_S8_EEEEZNS1_11reduce_implILb1ES3_NS6_12zip_iteratorINS7_INS6_11hip_rocprim26transform_input_iterator_tIbPfNS6_6detail10functional5actorINSH_9compositeIJNSH_27transparent_binary_operatorINS6_8equal_toIvEEEENSI_INSH_8argumentILj0EEEEENSH_5valueIfEEEEEEEEENSD_19counting_iterator_tIlEES8_S8_S8_S8_S8_S8_S8_S8_EEEEPS9_S9_NSD_9__find_if7functorIS9_EEEE10hipError_tPvRmT1_T2_T3_mT4_P12ihipStream_tbEUlT_E0_NS1_11comp_targetILNS1_3genE4ELNS1_11target_archE910ELNS1_3gpuE8ELNS1_3repE0EEENS1_30default_config_static_selectorELNS0_4arch9wavefront6targetE1EEEvS17_
; %bb.0:
	s_load_dwordx8 s[8:15], s[4:5], 0x10
	s_load_dwordx2 s[0:1], s[4:5], 0x0
	s_load_dword s24, s[4:5], 0xc
	s_load_dwordx4 s[16:19], s[4:5], 0x30
	s_mov_b32 s23, 0
	s_waitcnt lgkmcnt(0)
	s_lshl_b64 s[2:3], s[10:11], 2
	s_add_u32 s20, s0, s2
	s_addc_u32 s21, s1, s3
	s_lshl_b32 s22, s6, 9
	s_lshr_b64 s[0:1], s[12:13], 9
	s_lshl_b64 s[2:3], s[22:23], 2
	s_add_u32 s20, s20, s2
	s_addc_u32 s21, s21, s3
	s_add_u32 s2, s8, s22
	s_addc_u32 s3, s9, 0
	s_add_u32 s8, s2, s10
	s_mov_b32 s7, s23
	s_addc_u32 s9, s3, s11
	s_cmp_lg_u64 s[0:1], s[6:7]
	v_lshlrev_b32_e32 v1, 2, v0
	s_cbranch_scc0 .LBB1944_18
; %bb.1:
	global_load_dword v2, v1, s[20:21] offset:1024
	global_load_dword v3, v1, s[20:21]
	v_mov_b32_e32 v4, s9
	v_add_co_u32_e32 v5, vcc, s8, v0
	v_addc_co_u32_e32 v4, vcc, 0, v4, vcc
	v_add_co_u32_e32 v6, vcc, 0x100, v5
	v_addc_co_u32_e32 v7, vcc, 0, v4, vcc
	s_waitcnt vmcnt(1)
	v_cmp_eq_f32_e32 vcc, s24, v2
	s_waitcnt vmcnt(0)
	v_cmp_eq_f32_e64 s[0:1], s24, v3
	v_cndmask_b32_e64 v3, v7, v4, s[0:1]
	v_cndmask_b32_e64 v2, v6, v5, s[0:1]
	s_or_b64 s[0:1], s[0:1], vcc
	v_cndmask_b32_e64 v6, 0, 1, s[0:1]
	v_mov_b32_dpp v4, v2 quad_perm:[1,0,3,2] row_mask:0xf bank_mask:0xf bound_ctrl:1
	v_mov_b32_dpp v5, v3 quad_perm:[1,0,3,2] row_mask:0xf bank_mask:0xf bound_ctrl:1
	;; [unrolled: 1-line block ×3, first 2 shown]
	v_and_b32_e32 v8, 1, v7
	v_cmp_eq_u32_e32 vcc, 1, v8
	s_and_saveexec_b64 s[2:3], vcc
; %bb.2:
	v_cmp_lt_i64_e32 vcc, v[2:3], v[4:5]
	v_cndmask_b32_e64 v7, v7, 1, s[0:1]
	s_and_b64 vcc, s[0:1], vcc
	v_cndmask_b32_e32 v2, v4, v2, vcc
	v_and_b32_e32 v4, 1, v7
	v_cndmask_b32_e32 v3, v5, v3, vcc
	v_cmp_eq_u32_e32 vcc, 1, v4
	s_andn2_b64 s[0:1], s[0:1], exec
	s_and_b64 s[10:11], vcc, exec
	v_and_b32_e32 v6, 0xff, v7
	s_or_b64 s[0:1], s[0:1], s[10:11]
; %bb.3:
	s_or_b64 exec, exec, s[2:3]
	v_mov_b32_dpp v7, v6 quad_perm:[2,3,0,1] row_mask:0xf bank_mask:0xf bound_ctrl:1
	v_and_b32_e32 v8, 1, v7
	v_mov_b32_dpp v4, v2 quad_perm:[2,3,0,1] row_mask:0xf bank_mask:0xf bound_ctrl:1
	v_mov_b32_dpp v5, v3 quad_perm:[2,3,0,1] row_mask:0xf bank_mask:0xf bound_ctrl:1
	v_cmp_eq_u32_e32 vcc, 1, v8
	s_and_saveexec_b64 s[2:3], vcc
; %bb.4:
	v_cmp_lt_i64_e32 vcc, v[2:3], v[4:5]
	v_cndmask_b32_e64 v7, v7, 1, s[0:1]
	s_and_b64 vcc, s[0:1], vcc
	v_cndmask_b32_e32 v2, v4, v2, vcc
	v_and_b32_e32 v4, 1, v7
	v_cndmask_b32_e32 v3, v5, v3, vcc
	v_cmp_eq_u32_e32 vcc, 1, v4
	s_andn2_b64 s[0:1], s[0:1], exec
	s_and_b64 s[10:11], vcc, exec
	v_and_b32_e32 v6, 0xff, v7
	s_or_b64 s[0:1], s[0:1], s[10:11]
; %bb.5:
	s_or_b64 exec, exec, s[2:3]
	v_mov_b32_dpp v7, v6 row_ror:4 row_mask:0xf bank_mask:0xf bound_ctrl:1
	v_and_b32_e32 v8, 1, v7
	v_mov_b32_dpp v4, v2 row_ror:4 row_mask:0xf bank_mask:0xf bound_ctrl:1
	v_mov_b32_dpp v5, v3 row_ror:4 row_mask:0xf bank_mask:0xf bound_ctrl:1
	v_cmp_eq_u32_e32 vcc, 1, v8
	s_and_saveexec_b64 s[2:3], vcc
; %bb.6:
	v_cmp_lt_i64_e32 vcc, v[2:3], v[4:5]
	v_cndmask_b32_e64 v7, v7, 1, s[0:1]
	s_and_b64 vcc, s[0:1], vcc
	v_cndmask_b32_e32 v2, v4, v2, vcc
	v_and_b32_e32 v4, 1, v7
	v_cndmask_b32_e32 v3, v5, v3, vcc
	v_cmp_eq_u32_e32 vcc, 1, v4
	s_andn2_b64 s[0:1], s[0:1], exec
	s_and_b64 s[10:11], vcc, exec
	v_and_b32_e32 v6, 0xff, v7
	s_or_b64 s[0:1], s[0:1], s[10:11]
; %bb.7:
	s_or_b64 exec, exec, s[2:3]
	v_mov_b32_dpp v7, v6 row_ror:8 row_mask:0xf bank_mask:0xf bound_ctrl:1
	v_and_b32_e32 v8, 1, v7
	v_mov_b32_dpp v4, v2 row_ror:8 row_mask:0xf bank_mask:0xf bound_ctrl:1
	v_mov_b32_dpp v5, v3 row_ror:8 row_mask:0xf bank_mask:0xf bound_ctrl:1
	v_cmp_eq_u32_e32 vcc, 1, v8
	s_and_saveexec_b64 s[2:3], vcc
; %bb.8:
	v_cmp_lt_i64_e32 vcc, v[2:3], v[4:5]
	v_cndmask_b32_e64 v7, v7, 1, s[0:1]
	s_and_b64 vcc, s[0:1], vcc
	v_cndmask_b32_e32 v2, v4, v2, vcc
	v_and_b32_e32 v4, 1, v7
	v_cndmask_b32_e32 v3, v5, v3, vcc
	v_cmp_eq_u32_e32 vcc, 1, v4
	s_andn2_b64 s[0:1], s[0:1], exec
	s_and_b64 s[10:11], vcc, exec
	v_and_b32_e32 v6, 0xff, v7
	s_or_b64 s[0:1], s[0:1], s[10:11]
; %bb.9:
	s_or_b64 exec, exec, s[2:3]
	v_mov_b32_dpp v7, v6 row_bcast:15 row_mask:0xf bank_mask:0xf bound_ctrl:1
	v_and_b32_e32 v8, 1, v7
	v_mov_b32_dpp v4, v2 row_bcast:15 row_mask:0xf bank_mask:0xf bound_ctrl:1
	v_mov_b32_dpp v5, v3 row_bcast:15 row_mask:0xf bank_mask:0xf bound_ctrl:1
	v_cmp_eq_u32_e32 vcc, 1, v8
	s_and_saveexec_b64 s[2:3], vcc
; %bb.10:
	v_cmp_lt_i64_e32 vcc, v[2:3], v[4:5]
	v_cndmask_b32_e64 v7, v7, 1, s[0:1]
	s_and_b64 vcc, s[0:1], vcc
	v_cndmask_b32_e32 v2, v4, v2, vcc
	v_and_b32_e32 v4, 1, v7
	v_cndmask_b32_e32 v3, v5, v3, vcc
	v_cmp_eq_u32_e32 vcc, 1, v4
	s_andn2_b64 s[0:1], s[0:1], exec
	s_and_b64 s[10:11], vcc, exec
	v_and_b32_e32 v6, 0xff, v7
	s_or_b64 s[0:1], s[0:1], s[10:11]
; %bb.11:
	s_or_b64 exec, exec, s[2:3]
	v_mov_b32_dpp v7, v6 row_bcast:31 row_mask:0xf bank_mask:0xf bound_ctrl:1
	v_and_b32_e32 v8, 1, v7
	v_mov_b32_dpp v4, v2 row_bcast:31 row_mask:0xf bank_mask:0xf bound_ctrl:1
	v_mov_b32_dpp v5, v3 row_bcast:31 row_mask:0xf bank_mask:0xf bound_ctrl:1
	v_cmp_eq_u32_e32 vcc, 1, v8
	s_and_saveexec_b64 s[2:3], vcc
; %bb.12:
	v_cmp_lt_i64_e32 vcc, v[2:3], v[4:5]
	v_and_b32_e32 v6, 0xff, v7
	s_and_b64 vcc, s[0:1], vcc
	v_cndmask_b32_e32 v2, v4, v2, vcc
	v_cndmask_b32_e32 v3, v5, v3, vcc
	v_cndmask_b32_e64 v6, v6, 1, s[0:1]
; %bb.13:
	s_or_b64 exec, exec, s[2:3]
	v_mbcnt_lo_u32_b32 v4, -1, 0
	v_mbcnt_hi_u32_b32 v4, -1, v4
	v_bfrev_b32_e32 v5, 0.5
	v_lshl_or_b32 v5, v4, 2, v5
	ds_bpermute_b32 v6, v5, v6
	ds_bpermute_b32 v2, v5, v2
	ds_bpermute_b32 v3, v5, v3
	v_cmp_eq_u32_e32 vcc, 0, v4
	s_and_saveexec_b64 s[0:1], vcc
	s_cbranch_execz .LBB1944_15
; %bb.14:
	v_lshrrev_b32_e32 v5, 2, v0
	v_and_b32_e32 v5, 48, v5
	s_waitcnt lgkmcnt(2)
	ds_write_b8 v5, v6
	s_waitcnt lgkmcnt(1)
	ds_write_b64 v5, v[2:3] offset:8
.LBB1944_15:
	s_or_b64 exec, exec, s[0:1]
	v_cmp_gt_u32_e32 vcc, 64, v0
	s_waitcnt lgkmcnt(0)
	s_barrier
	s_and_saveexec_b64 s[2:3], vcc
	s_cbranch_execz .LBB1944_17
; %bb.16:
	v_and_b32_e32 v5, 3, v4
	v_lshlrev_b32_e32 v2, 4, v5
	ds_read_u8 v8, v2
	ds_read_b64 v[2:3], v2 offset:8
	v_cmp_ne_u32_e32 vcc, 3, v5
	v_addc_co_u32_e32 v6, vcc, 0, v4, vcc
	s_waitcnt lgkmcnt(1)
	v_and_b32_e32 v7, 0xff, v8
	v_lshlrev_b32_e32 v9, 2, v6
	ds_bpermute_b32 v10, v9, v7
	s_waitcnt lgkmcnt(1)
	ds_bpermute_b32 v6, v9, v2
	ds_bpermute_b32 v7, v9, v3
	v_and_b32_e32 v9, 1, v8
	s_waitcnt lgkmcnt(2)
	v_and_b32_e32 v11, 1, v10
	v_cmp_eq_u32_e64 s[0:1], 1, v11
	s_waitcnt lgkmcnt(0)
	v_cmp_lt_i64_e32 vcc, v[6:7], v[2:3]
	s_and_b64 vcc, s[0:1], vcc
	v_cndmask_b32_e64 v8, v8, 1, s[0:1]
	v_cndmask_b32_e32 v2, v2, v6, vcc
	v_cndmask_b32_e32 v3, v3, v7, vcc
	v_cmp_eq_u32_e32 vcc, 1, v9
	v_cndmask_b32_e32 v8, v10, v8, vcc
	v_cndmask_b32_e32 v3, v7, v3, vcc
	;; [unrolled: 1-line block ×3, first 2 shown]
	v_cmp_gt_u32_e32 vcc, 2, v5
	v_cndmask_b32_e64 v5, 0, 1, vcc
	v_lshlrev_b32_e32 v5, 1, v5
	v_and_b32_e32 v6, 0xff, v8
	v_add_lshl_u32 v5, v5, v4, 2
	ds_bpermute_b32 v6, v5, v6
	ds_bpermute_b32 v4, v5, v2
	;; [unrolled: 1-line block ×3, first 2 shown]
	v_and_b32_e32 v7, 1, v8
	s_waitcnt lgkmcnt(2)
	v_and_b32_e32 v9, 1, v6
	v_cmp_eq_u32_e64 s[0:1], 1, v9
	s_waitcnt lgkmcnt(0)
	v_cmp_lt_i64_e32 vcc, v[4:5], v[2:3]
	s_and_b64 vcc, s[0:1], vcc
	v_cndmask_b32_e64 v8, v8, 1, s[0:1]
	v_cndmask_b32_e32 v2, v2, v4, vcc
	v_cndmask_b32_e32 v3, v3, v5, vcc
	v_cmp_eq_u32_e32 vcc, 1, v7
	v_cndmask_b32_e32 v6, v6, v8, vcc
	v_cndmask_b32_e32 v3, v5, v3, vcc
	;; [unrolled: 1-line block ×3, first 2 shown]
	v_and_b32_e32 v6, 0xff, v6
.LBB1944_17:
	s_or_b64 exec, exec, s[2:3]
	s_load_dword s10, s[4:5], 0x40
	s_load_dwordx2 s[2:3], s[4:5], 0x48
	s_branch .LBB1944_46
.LBB1944_18:
                                        ; implicit-def: $vgpr2_vgpr3
                                        ; implicit-def: $vgpr6
	s_load_dword s10, s[4:5], 0x40
	s_load_dwordx2 s[2:3], s[4:5], 0x48
	s_cbranch_execz .LBB1944_46
; %bb.19:
	s_sub_i32 s11, s12, s22
	v_pk_mov_b32 v[4:5], 0, 0
	v_cmp_gt_u32_e32 vcc, s11, v0
	v_mov_b32_e32 v6, 0
	v_pk_mov_b32 v[2:3], v[4:5], v[4:5] op_sel:[0,1]
	v_mov_b32_e32 v7, 0
	s_and_saveexec_b64 s[0:1], vcc
	s_cbranch_execz .LBB1944_21
; %bb.20:
	global_load_dword v7, v1, s[20:21]
	v_mov_b32_e32 v3, s9
	v_add_co_u32_e32 v2, vcc, s8, v0
	v_addc_co_u32_e32 v3, vcc, 0, v3, vcc
	s_waitcnt vmcnt(0)
	v_cmp_eq_f32_e32 vcc, s24, v7
	v_cndmask_b32_e64 v7, 0, 1, vcc
.LBB1944_21:
	s_or_b64 exec, exec, s[0:1]
	v_or_b32_e32 v8, 0x100, v0
	v_cmp_gt_u32_e32 vcc, s11, v8
	s_and_saveexec_b64 s[4:5], vcc
	s_cbranch_execz .LBB1944_23
; %bb.22:
	global_load_dword v1, v1, s[20:21] offset:1024
	v_mov_b32_e32 v5, s9
	v_add_co_u32_e64 v4, s[0:1], s8, v8
	v_addc_co_u32_e64 v5, s[0:1], 0, v5, s[0:1]
	s_waitcnt vmcnt(0)
	v_cmp_eq_f32_e64 s[0:1], s24, v1
	v_cndmask_b32_e64 v6, 0, 1, s[0:1]
.LBB1944_23:
	s_or_b64 exec, exec, s[4:5]
	s_and_saveexec_b64 s[4:5], vcc
	s_cbranch_execz .LBB1944_25
; %bb.24:
	v_and_b32_e32 v8, 1, v6
	v_cmp_lt_i64_e32 vcc, v[4:5], v[2:3]
	v_cmp_eq_u32_e64 s[0:1], 1, v8
	v_and_b32_e32 v1, 1, v7
	s_and_b64 vcc, s[0:1], vcc
	v_cndmask_b32_e64 v7, v7, 1, s[0:1]
	v_cndmask_b32_e32 v2, v2, v4, vcc
	v_cndmask_b32_e32 v3, v3, v5, vcc
	v_cmp_eq_u32_e32 vcc, 1, v1
	v_cndmask_b32_e32 v7, v6, v7, vcc
	v_cndmask_b32_e32 v3, v5, v3, vcc
	;; [unrolled: 1-line block ×3, first 2 shown]
.LBB1944_25:
	s_or_b64 exec, exec, s[4:5]
	v_mbcnt_lo_u32_b32 v1, -1, 0
	v_mbcnt_hi_u32_b32 v1, -1, v1
	v_and_b32_e32 v8, 63, v1
	v_cmp_ne_u32_e32 vcc, 63, v8
	v_addc_co_u32_e32 v4, vcc, 0, v1, vcc
	v_and_b32_e32 v6, 0xffff, v7
	v_lshlrev_b32_e32 v5, 2, v4
	ds_bpermute_b32 v10, v5, v6
	ds_bpermute_b32 v4, v5, v2
	ds_bpermute_b32 v5, v5, v3
	s_min_u32 s8, s11, 0x100
	v_and_b32_e32 v9, 0xc0, v0
	v_sub_u32_e64 v9, s8, v9 clamp
	v_add_u32_e32 v11, 1, v8
	v_cmp_lt_u32_e32 vcc, v11, v9
	s_and_saveexec_b64 s[4:5], vcc
	s_cbranch_execz .LBB1944_27
; %bb.26:
	s_waitcnt lgkmcnt(0)
	v_and_b32_e32 v11, 1, v10
	v_cmp_lt_i64_e32 vcc, v[4:5], v[2:3]
	v_cmp_eq_u32_e64 s[0:1], 1, v11
	v_and_b32_e32 v6, 1, v7
	s_and_b64 vcc, s[0:1], vcc
	v_cndmask_b32_e64 v7, v7, 1, s[0:1]
	v_cndmask_b32_e32 v2, v2, v4, vcc
	v_cndmask_b32_e32 v3, v3, v5, vcc
	v_cmp_eq_u32_e32 vcc, 1, v6
	v_cndmask_b32_e32 v7, v10, v7, vcc
	v_cndmask_b32_e32 v3, v5, v3, vcc
	;; [unrolled: 1-line block ×3, first 2 shown]
	v_and_b32_e32 v6, 0xff, v7
.LBB1944_27:
	s_or_b64 exec, exec, s[4:5]
	v_cmp_gt_u32_e32 vcc, 62, v8
	s_waitcnt lgkmcnt(0)
	v_cndmask_b32_e64 v4, 0, 1, vcc
	v_lshlrev_b32_e32 v4, 1, v4
	v_add_lshl_u32 v5, v4, v1, 2
	ds_bpermute_b32 v10, v5, v6
	ds_bpermute_b32 v4, v5, v2
	ds_bpermute_b32 v5, v5, v3
	v_add_u32_e32 v11, 2, v8
	v_cmp_lt_u32_e32 vcc, v11, v9
	s_and_saveexec_b64 s[4:5], vcc
	s_cbranch_execz .LBB1944_29
; %bb.28:
	s_waitcnt lgkmcnt(2)
	v_and_b32_e32 v11, 1, v10
	s_waitcnt lgkmcnt(0)
	v_cmp_lt_i64_e32 vcc, v[4:5], v[2:3]
	v_cmp_eq_u32_e64 s[0:1], 1, v11
	v_and_b32_e32 v6, 1, v7
	s_and_b64 vcc, s[0:1], vcc
	v_cndmask_b32_e64 v7, v7, 1, s[0:1]
	v_cndmask_b32_e32 v2, v2, v4, vcc
	v_cndmask_b32_e32 v3, v3, v5, vcc
	v_cmp_eq_u32_e32 vcc, 1, v6
	v_cndmask_b32_e32 v7, v10, v7, vcc
	v_cndmask_b32_e32 v3, v5, v3, vcc
	v_cndmask_b32_e32 v2, v4, v2, vcc
	v_and_b32_e32 v6, 0xff, v7
.LBB1944_29:
	s_or_b64 exec, exec, s[4:5]
	v_cmp_gt_u32_e32 vcc, 60, v8
	s_waitcnt lgkmcnt(1)
	v_cndmask_b32_e64 v4, 0, 1, vcc
	v_lshlrev_b32_e32 v4, 2, v4
	s_waitcnt lgkmcnt(0)
	v_add_lshl_u32 v5, v4, v1, 2
	ds_bpermute_b32 v10, v5, v6
	ds_bpermute_b32 v4, v5, v2
	ds_bpermute_b32 v5, v5, v3
	v_add_u32_e32 v11, 4, v8
	v_cmp_lt_u32_e32 vcc, v11, v9
	s_and_saveexec_b64 s[4:5], vcc
	s_cbranch_execz .LBB1944_31
; %bb.30:
	s_waitcnt lgkmcnt(2)
	v_and_b32_e32 v11, 1, v10
	s_waitcnt lgkmcnt(0)
	v_cmp_lt_i64_e32 vcc, v[4:5], v[2:3]
	v_cmp_eq_u32_e64 s[0:1], 1, v11
	v_and_b32_e32 v6, 1, v7
	s_and_b64 vcc, s[0:1], vcc
	v_cndmask_b32_e64 v7, v7, 1, s[0:1]
	v_cndmask_b32_e32 v2, v2, v4, vcc
	v_cndmask_b32_e32 v3, v3, v5, vcc
	v_cmp_eq_u32_e32 vcc, 1, v6
	v_cndmask_b32_e32 v7, v10, v7, vcc
	v_cndmask_b32_e32 v3, v5, v3, vcc
	v_cndmask_b32_e32 v2, v4, v2, vcc
	v_and_b32_e32 v6, 0xff, v7
.LBB1944_31:
	s_or_b64 exec, exec, s[4:5]
	v_cmp_gt_u32_e32 vcc, 56, v8
	s_waitcnt lgkmcnt(1)
	v_cndmask_b32_e64 v4, 0, 1, vcc
	v_lshlrev_b32_e32 v4, 3, v4
	s_waitcnt lgkmcnt(0)
	;; [unrolled: 31-line block ×4, first 2 shown]
	v_add_lshl_u32 v5, v4, v1, 2
	ds_bpermute_b32 v10, v5, v6
	ds_bpermute_b32 v4, v5, v2
	;; [unrolled: 1-line block ×3, first 2 shown]
	v_add_u32_e32 v8, 32, v8
	v_cmp_lt_u32_e32 vcc, v8, v9
	s_and_saveexec_b64 s[4:5], vcc
	s_cbranch_execz .LBB1944_37
; %bb.36:
	s_waitcnt lgkmcnt(2)
	v_and_b32_e32 v8, 1, v10
	s_waitcnt lgkmcnt(0)
	v_cmp_lt_i64_e32 vcc, v[4:5], v[2:3]
	v_cmp_eq_u32_e64 s[0:1], 1, v8
	v_and_b32_e32 v6, 1, v7
	s_and_b64 vcc, s[0:1], vcc
	v_cndmask_b32_e64 v7, v7, 1, s[0:1]
	v_cndmask_b32_e32 v2, v2, v4, vcc
	v_cndmask_b32_e32 v3, v3, v5, vcc
	v_cmp_eq_u32_e32 vcc, 1, v6
	v_cndmask_b32_e32 v7, v10, v7, vcc
	v_cndmask_b32_e32 v3, v5, v3, vcc
	;; [unrolled: 1-line block ×3, first 2 shown]
	v_and_b32_e32 v6, 0xff, v7
.LBB1944_37:
	s_or_b64 exec, exec, s[4:5]
	v_cmp_eq_u32_e32 vcc, 0, v1
	s_and_saveexec_b64 s[0:1], vcc
	s_cbranch_execz .LBB1944_39
; %bb.38:
	s_waitcnt lgkmcnt(1)
	v_lshrrev_b32_e32 v4, 2, v0
	v_and_b32_e32 v4, 48, v4
	ds_write_b8 v4, v7 offset:64
	ds_write_b64 v4, v[2:3] offset:72
.LBB1944_39:
	s_or_b64 exec, exec, s[0:1]
	v_cmp_gt_u32_e32 vcc, 4, v0
	s_waitcnt lgkmcnt(0)
	s_barrier
	s_and_saveexec_b64 s[4:5], vcc
	s_cbranch_execz .LBB1944_45
; %bb.40:
	v_lshlrev_b32_e32 v2, 4, v1
	ds_read_u8 v7, v2 offset:64
	ds_read_b64 v[2:3], v2 offset:72
	v_and_b32_e32 v8, 3, v1
	v_cmp_ne_u32_e32 vcc, 3, v8
	v_addc_co_u32_e32 v4, vcc, 0, v1, vcc
	s_waitcnt lgkmcnt(1)
	v_and_b32_e32 v6, 0xff, v7
	v_lshlrev_b32_e32 v5, 2, v4
	ds_bpermute_b32 v9, v5, v6
	s_waitcnt lgkmcnt(1)
	ds_bpermute_b32 v4, v5, v2
	ds_bpermute_b32 v5, v5, v3
	s_add_i32 s8, s8, 63
	s_lshr_b32 s11, s8, 6
	v_add_u32_e32 v10, 1, v8
	v_cmp_gt_u32_e32 vcc, s11, v10
	s_and_saveexec_b64 s[8:9], vcc
	s_cbranch_execz .LBB1944_42
; %bb.41:
	s_waitcnt lgkmcnt(2)
	v_and_b32_e32 v10, 1, v9
	s_waitcnt lgkmcnt(0)
	v_cmp_lt_i64_e32 vcc, v[4:5], v[2:3]
	v_cmp_eq_u32_e64 s[0:1], 1, v10
	v_and_b32_e32 v6, 1, v7
	s_and_b64 vcc, s[0:1], vcc
	v_cndmask_b32_e64 v7, v7, 1, s[0:1]
	v_cndmask_b32_e32 v2, v2, v4, vcc
	v_cndmask_b32_e32 v3, v3, v5, vcc
	v_cmp_eq_u32_e32 vcc, 1, v6
	v_cndmask_b32_e32 v7, v9, v7, vcc
	v_cndmask_b32_e32 v3, v5, v3, vcc
	;; [unrolled: 1-line block ×3, first 2 shown]
	v_and_b32_e32 v6, 0xff, v7
.LBB1944_42:
	s_or_b64 exec, exec, s[8:9]
	v_cmp_gt_u32_e32 vcc, 2, v8
	s_waitcnt lgkmcnt(1)
	v_cndmask_b32_e64 v4, 0, 1, vcc
	v_lshlrev_b32_e32 v4, 1, v4
	s_waitcnt lgkmcnt(0)
	v_add_lshl_u32 v5, v4, v1, 2
	ds_bpermute_b32 v1, v5, v6
	ds_bpermute_b32 v4, v5, v2
	;; [unrolled: 1-line block ×3, first 2 shown]
	v_add_u32_e32 v8, 2, v8
	v_cmp_gt_u32_e32 vcc, s11, v8
	s_and_saveexec_b64 s[8:9], vcc
	s_cbranch_execz .LBB1944_44
; %bb.43:
	s_waitcnt lgkmcnt(2)
	v_and_b32_e32 v8, 1, v1
	s_waitcnt lgkmcnt(0)
	v_cmp_lt_i64_e32 vcc, v[4:5], v[2:3]
	v_cmp_eq_u32_e64 s[0:1], 1, v8
	v_and_b32_e32 v6, 1, v7
	s_and_b64 vcc, s[0:1], vcc
	v_cndmask_b32_e64 v7, v7, 1, s[0:1]
	v_cndmask_b32_e32 v2, v2, v4, vcc
	v_cndmask_b32_e32 v3, v3, v5, vcc
	v_cmp_eq_u32_e32 vcc, 1, v6
	v_cndmask_b32_e32 v1, v1, v7, vcc
	v_cndmask_b32_e32 v3, v5, v3, vcc
	;; [unrolled: 1-line block ×3, first 2 shown]
	v_and_b32_e32 v6, 0xff, v1
.LBB1944_44:
	s_or_b64 exec, exec, s[8:9]
.LBB1944_45:
	s_or_b64 exec, exec, s[4:5]
.LBB1944_46:
	v_cmp_eq_u32_e32 vcc, 0, v0
	s_and_saveexec_b64 s[0:1], vcc
	s_cbranch_execnz .LBB1944_48
; %bb.47:
	s_endpgm
.LBB1944_48:
	s_mul_i32 s0, s18, s17
	s_mul_hi_u32 s1, s18, s16
	s_add_i32 s0, s1, s0
	s_mul_i32 s1, s19, s16
	s_add_i32 s1, s0, s1
	s_mul_i32 s0, s18, s16
	s_lshl_b64 s[0:1], s[0:1], 4
	s_add_u32 s4, s14, s0
	s_addc_u32 s5, s15, s1
	s_cmp_eq_u64 s[12:13], 0
	s_waitcnt lgkmcnt(0)
	v_mov_b32_e32 v0, s3
	s_cselect_b64 vcc, -1, 0
	v_cndmask_b32_e32 v1, v3, v0, vcc
	v_mov_b32_e32 v0, s2
	s_lshl_b64 s[0:1], s[6:7], 4
	v_cndmask_b32_e32 v0, v2, v0, vcc
	v_mov_b32_e32 v2, s10
	s_add_u32 s0, s4, s0
	v_cndmask_b32_e32 v2, v6, v2, vcc
	s_addc_u32 s1, s5, s1
	v_mov_b32_e32 v3, 0
	global_store_byte v3, v2, s[0:1]
	global_store_dwordx2 v3, v[0:1], s[0:1] offset:8
	s_endpgm
	.section	.rodata,"a",@progbits
	.p2align	6, 0x0
	.amdhsa_kernel _ZN7rocprim17ROCPRIM_400000_NS6detail17trampoline_kernelINS0_14default_configENS1_22reduce_config_selectorIN6thrust23THRUST_200600_302600_NS5tupleIblNS6_9null_typeES8_S8_S8_S8_S8_S8_S8_EEEEZNS1_11reduce_implILb1ES3_NS6_12zip_iteratorINS7_INS6_11hip_rocprim26transform_input_iterator_tIbPfNS6_6detail10functional5actorINSH_9compositeIJNSH_27transparent_binary_operatorINS6_8equal_toIvEEEENSI_INSH_8argumentILj0EEEEENSH_5valueIfEEEEEEEEENSD_19counting_iterator_tIlEES8_S8_S8_S8_S8_S8_S8_S8_EEEEPS9_S9_NSD_9__find_if7functorIS9_EEEE10hipError_tPvRmT1_T2_T3_mT4_P12ihipStream_tbEUlT_E0_NS1_11comp_targetILNS1_3genE4ELNS1_11target_archE910ELNS1_3gpuE8ELNS1_3repE0EEENS1_30default_config_static_selectorELNS0_4arch9wavefront6targetE1EEEvS17_
		.amdhsa_group_segment_fixed_size 128
		.amdhsa_private_segment_fixed_size 0
		.amdhsa_kernarg_size 88
		.amdhsa_user_sgpr_count 6
		.amdhsa_user_sgpr_private_segment_buffer 1
		.amdhsa_user_sgpr_dispatch_ptr 0
		.amdhsa_user_sgpr_queue_ptr 0
		.amdhsa_user_sgpr_kernarg_segment_ptr 1
		.amdhsa_user_sgpr_dispatch_id 0
		.amdhsa_user_sgpr_flat_scratch_init 0
		.amdhsa_user_sgpr_kernarg_preload_length 0
		.amdhsa_user_sgpr_kernarg_preload_offset 0
		.amdhsa_user_sgpr_private_segment_size 0
		.amdhsa_uses_dynamic_stack 0
		.amdhsa_system_sgpr_private_segment_wavefront_offset 0
		.amdhsa_system_sgpr_workgroup_id_x 1
		.amdhsa_system_sgpr_workgroup_id_y 0
		.amdhsa_system_sgpr_workgroup_id_z 0
		.amdhsa_system_sgpr_workgroup_info 0
		.amdhsa_system_vgpr_workitem_id 0
		.amdhsa_next_free_vgpr 12
		.amdhsa_next_free_sgpr 25
		.amdhsa_accum_offset 12
		.amdhsa_reserve_vcc 1
		.amdhsa_reserve_flat_scratch 0
		.amdhsa_float_round_mode_32 0
		.amdhsa_float_round_mode_16_64 0
		.amdhsa_float_denorm_mode_32 3
		.amdhsa_float_denorm_mode_16_64 3
		.amdhsa_dx10_clamp 1
		.amdhsa_ieee_mode 1
		.amdhsa_fp16_overflow 0
		.amdhsa_tg_split 0
		.amdhsa_exception_fp_ieee_invalid_op 0
		.amdhsa_exception_fp_denorm_src 0
		.amdhsa_exception_fp_ieee_div_zero 0
		.amdhsa_exception_fp_ieee_overflow 0
		.amdhsa_exception_fp_ieee_underflow 0
		.amdhsa_exception_fp_ieee_inexact 0
		.amdhsa_exception_int_div_zero 0
	.end_amdhsa_kernel
	.section	.text._ZN7rocprim17ROCPRIM_400000_NS6detail17trampoline_kernelINS0_14default_configENS1_22reduce_config_selectorIN6thrust23THRUST_200600_302600_NS5tupleIblNS6_9null_typeES8_S8_S8_S8_S8_S8_S8_EEEEZNS1_11reduce_implILb1ES3_NS6_12zip_iteratorINS7_INS6_11hip_rocprim26transform_input_iterator_tIbPfNS6_6detail10functional5actorINSH_9compositeIJNSH_27transparent_binary_operatorINS6_8equal_toIvEEEENSI_INSH_8argumentILj0EEEEENSH_5valueIfEEEEEEEEENSD_19counting_iterator_tIlEES8_S8_S8_S8_S8_S8_S8_S8_EEEEPS9_S9_NSD_9__find_if7functorIS9_EEEE10hipError_tPvRmT1_T2_T3_mT4_P12ihipStream_tbEUlT_E0_NS1_11comp_targetILNS1_3genE4ELNS1_11target_archE910ELNS1_3gpuE8ELNS1_3repE0EEENS1_30default_config_static_selectorELNS0_4arch9wavefront6targetE1EEEvS17_,"axG",@progbits,_ZN7rocprim17ROCPRIM_400000_NS6detail17trampoline_kernelINS0_14default_configENS1_22reduce_config_selectorIN6thrust23THRUST_200600_302600_NS5tupleIblNS6_9null_typeES8_S8_S8_S8_S8_S8_S8_EEEEZNS1_11reduce_implILb1ES3_NS6_12zip_iteratorINS7_INS6_11hip_rocprim26transform_input_iterator_tIbPfNS6_6detail10functional5actorINSH_9compositeIJNSH_27transparent_binary_operatorINS6_8equal_toIvEEEENSI_INSH_8argumentILj0EEEEENSH_5valueIfEEEEEEEEENSD_19counting_iterator_tIlEES8_S8_S8_S8_S8_S8_S8_S8_EEEEPS9_S9_NSD_9__find_if7functorIS9_EEEE10hipError_tPvRmT1_T2_T3_mT4_P12ihipStream_tbEUlT_E0_NS1_11comp_targetILNS1_3genE4ELNS1_11target_archE910ELNS1_3gpuE8ELNS1_3repE0EEENS1_30default_config_static_selectorELNS0_4arch9wavefront6targetE1EEEvS17_,comdat
.Lfunc_end1944:
	.size	_ZN7rocprim17ROCPRIM_400000_NS6detail17trampoline_kernelINS0_14default_configENS1_22reduce_config_selectorIN6thrust23THRUST_200600_302600_NS5tupleIblNS6_9null_typeES8_S8_S8_S8_S8_S8_S8_EEEEZNS1_11reduce_implILb1ES3_NS6_12zip_iteratorINS7_INS6_11hip_rocprim26transform_input_iterator_tIbPfNS6_6detail10functional5actorINSH_9compositeIJNSH_27transparent_binary_operatorINS6_8equal_toIvEEEENSI_INSH_8argumentILj0EEEEENSH_5valueIfEEEEEEEEENSD_19counting_iterator_tIlEES8_S8_S8_S8_S8_S8_S8_S8_EEEEPS9_S9_NSD_9__find_if7functorIS9_EEEE10hipError_tPvRmT1_T2_T3_mT4_P12ihipStream_tbEUlT_E0_NS1_11comp_targetILNS1_3genE4ELNS1_11target_archE910ELNS1_3gpuE8ELNS1_3repE0EEENS1_30default_config_static_selectorELNS0_4arch9wavefront6targetE1EEEvS17_, .Lfunc_end1944-_ZN7rocprim17ROCPRIM_400000_NS6detail17trampoline_kernelINS0_14default_configENS1_22reduce_config_selectorIN6thrust23THRUST_200600_302600_NS5tupleIblNS6_9null_typeES8_S8_S8_S8_S8_S8_S8_EEEEZNS1_11reduce_implILb1ES3_NS6_12zip_iteratorINS7_INS6_11hip_rocprim26transform_input_iterator_tIbPfNS6_6detail10functional5actorINSH_9compositeIJNSH_27transparent_binary_operatorINS6_8equal_toIvEEEENSI_INSH_8argumentILj0EEEEENSH_5valueIfEEEEEEEEENSD_19counting_iterator_tIlEES8_S8_S8_S8_S8_S8_S8_S8_EEEEPS9_S9_NSD_9__find_if7functorIS9_EEEE10hipError_tPvRmT1_T2_T3_mT4_P12ihipStream_tbEUlT_E0_NS1_11comp_targetILNS1_3genE4ELNS1_11target_archE910ELNS1_3gpuE8ELNS1_3repE0EEENS1_30default_config_static_selectorELNS0_4arch9wavefront6targetE1EEEvS17_
                                        ; -- End function
	.section	.AMDGPU.csdata,"",@progbits
; Kernel info:
; codeLenInByte = 2804
; NumSgprs: 29
; NumVgprs: 12
; NumAgprs: 0
; TotalNumVgprs: 12
; ScratchSize: 0
; MemoryBound: 0
; FloatMode: 240
; IeeeMode: 1
; LDSByteSize: 128 bytes/workgroup (compile time only)
; SGPRBlocks: 3
; VGPRBlocks: 1
; NumSGPRsForWavesPerEU: 29
; NumVGPRsForWavesPerEU: 12
; AccumOffset: 12
; Occupancy: 8
; WaveLimiterHint : 1
; COMPUTE_PGM_RSRC2:SCRATCH_EN: 0
; COMPUTE_PGM_RSRC2:USER_SGPR: 6
; COMPUTE_PGM_RSRC2:TRAP_HANDLER: 0
; COMPUTE_PGM_RSRC2:TGID_X_EN: 1
; COMPUTE_PGM_RSRC2:TGID_Y_EN: 0
; COMPUTE_PGM_RSRC2:TGID_Z_EN: 0
; COMPUTE_PGM_RSRC2:TIDIG_COMP_CNT: 0
; COMPUTE_PGM_RSRC3_GFX90A:ACCUM_OFFSET: 2
; COMPUTE_PGM_RSRC3_GFX90A:TG_SPLIT: 0
	.section	.text._ZN7rocprim17ROCPRIM_400000_NS6detail17trampoline_kernelINS0_14default_configENS1_22reduce_config_selectorIN6thrust23THRUST_200600_302600_NS5tupleIblNS6_9null_typeES8_S8_S8_S8_S8_S8_S8_EEEEZNS1_11reduce_implILb1ES3_NS6_12zip_iteratorINS7_INS6_11hip_rocprim26transform_input_iterator_tIbPfNS6_6detail10functional5actorINSH_9compositeIJNSH_27transparent_binary_operatorINS6_8equal_toIvEEEENSI_INSH_8argumentILj0EEEEENSH_5valueIfEEEEEEEEENSD_19counting_iterator_tIlEES8_S8_S8_S8_S8_S8_S8_S8_EEEEPS9_S9_NSD_9__find_if7functorIS9_EEEE10hipError_tPvRmT1_T2_T3_mT4_P12ihipStream_tbEUlT_E0_NS1_11comp_targetILNS1_3genE3ELNS1_11target_archE908ELNS1_3gpuE7ELNS1_3repE0EEENS1_30default_config_static_selectorELNS0_4arch9wavefront6targetE1EEEvS17_,"axG",@progbits,_ZN7rocprim17ROCPRIM_400000_NS6detail17trampoline_kernelINS0_14default_configENS1_22reduce_config_selectorIN6thrust23THRUST_200600_302600_NS5tupleIblNS6_9null_typeES8_S8_S8_S8_S8_S8_S8_EEEEZNS1_11reduce_implILb1ES3_NS6_12zip_iteratorINS7_INS6_11hip_rocprim26transform_input_iterator_tIbPfNS6_6detail10functional5actorINSH_9compositeIJNSH_27transparent_binary_operatorINS6_8equal_toIvEEEENSI_INSH_8argumentILj0EEEEENSH_5valueIfEEEEEEEEENSD_19counting_iterator_tIlEES8_S8_S8_S8_S8_S8_S8_S8_EEEEPS9_S9_NSD_9__find_if7functorIS9_EEEE10hipError_tPvRmT1_T2_T3_mT4_P12ihipStream_tbEUlT_E0_NS1_11comp_targetILNS1_3genE3ELNS1_11target_archE908ELNS1_3gpuE7ELNS1_3repE0EEENS1_30default_config_static_selectorELNS0_4arch9wavefront6targetE1EEEvS17_,comdat
	.protected	_ZN7rocprim17ROCPRIM_400000_NS6detail17trampoline_kernelINS0_14default_configENS1_22reduce_config_selectorIN6thrust23THRUST_200600_302600_NS5tupleIblNS6_9null_typeES8_S8_S8_S8_S8_S8_S8_EEEEZNS1_11reduce_implILb1ES3_NS6_12zip_iteratorINS7_INS6_11hip_rocprim26transform_input_iterator_tIbPfNS6_6detail10functional5actorINSH_9compositeIJNSH_27transparent_binary_operatorINS6_8equal_toIvEEEENSI_INSH_8argumentILj0EEEEENSH_5valueIfEEEEEEEEENSD_19counting_iterator_tIlEES8_S8_S8_S8_S8_S8_S8_S8_EEEEPS9_S9_NSD_9__find_if7functorIS9_EEEE10hipError_tPvRmT1_T2_T3_mT4_P12ihipStream_tbEUlT_E0_NS1_11comp_targetILNS1_3genE3ELNS1_11target_archE908ELNS1_3gpuE7ELNS1_3repE0EEENS1_30default_config_static_selectorELNS0_4arch9wavefront6targetE1EEEvS17_ ; -- Begin function _ZN7rocprim17ROCPRIM_400000_NS6detail17trampoline_kernelINS0_14default_configENS1_22reduce_config_selectorIN6thrust23THRUST_200600_302600_NS5tupleIblNS6_9null_typeES8_S8_S8_S8_S8_S8_S8_EEEEZNS1_11reduce_implILb1ES3_NS6_12zip_iteratorINS7_INS6_11hip_rocprim26transform_input_iterator_tIbPfNS6_6detail10functional5actorINSH_9compositeIJNSH_27transparent_binary_operatorINS6_8equal_toIvEEEENSI_INSH_8argumentILj0EEEEENSH_5valueIfEEEEEEEEENSD_19counting_iterator_tIlEES8_S8_S8_S8_S8_S8_S8_S8_EEEEPS9_S9_NSD_9__find_if7functorIS9_EEEE10hipError_tPvRmT1_T2_T3_mT4_P12ihipStream_tbEUlT_E0_NS1_11comp_targetILNS1_3genE3ELNS1_11target_archE908ELNS1_3gpuE7ELNS1_3repE0EEENS1_30default_config_static_selectorELNS0_4arch9wavefront6targetE1EEEvS17_
	.globl	_ZN7rocprim17ROCPRIM_400000_NS6detail17trampoline_kernelINS0_14default_configENS1_22reduce_config_selectorIN6thrust23THRUST_200600_302600_NS5tupleIblNS6_9null_typeES8_S8_S8_S8_S8_S8_S8_EEEEZNS1_11reduce_implILb1ES3_NS6_12zip_iteratorINS7_INS6_11hip_rocprim26transform_input_iterator_tIbPfNS6_6detail10functional5actorINSH_9compositeIJNSH_27transparent_binary_operatorINS6_8equal_toIvEEEENSI_INSH_8argumentILj0EEEEENSH_5valueIfEEEEEEEEENSD_19counting_iterator_tIlEES8_S8_S8_S8_S8_S8_S8_S8_EEEEPS9_S9_NSD_9__find_if7functorIS9_EEEE10hipError_tPvRmT1_T2_T3_mT4_P12ihipStream_tbEUlT_E0_NS1_11comp_targetILNS1_3genE3ELNS1_11target_archE908ELNS1_3gpuE7ELNS1_3repE0EEENS1_30default_config_static_selectorELNS0_4arch9wavefront6targetE1EEEvS17_
	.p2align	8
	.type	_ZN7rocprim17ROCPRIM_400000_NS6detail17trampoline_kernelINS0_14default_configENS1_22reduce_config_selectorIN6thrust23THRUST_200600_302600_NS5tupleIblNS6_9null_typeES8_S8_S8_S8_S8_S8_S8_EEEEZNS1_11reduce_implILb1ES3_NS6_12zip_iteratorINS7_INS6_11hip_rocprim26transform_input_iterator_tIbPfNS6_6detail10functional5actorINSH_9compositeIJNSH_27transparent_binary_operatorINS6_8equal_toIvEEEENSI_INSH_8argumentILj0EEEEENSH_5valueIfEEEEEEEEENSD_19counting_iterator_tIlEES8_S8_S8_S8_S8_S8_S8_S8_EEEEPS9_S9_NSD_9__find_if7functorIS9_EEEE10hipError_tPvRmT1_T2_T3_mT4_P12ihipStream_tbEUlT_E0_NS1_11comp_targetILNS1_3genE3ELNS1_11target_archE908ELNS1_3gpuE7ELNS1_3repE0EEENS1_30default_config_static_selectorELNS0_4arch9wavefront6targetE1EEEvS17_,@function
_ZN7rocprim17ROCPRIM_400000_NS6detail17trampoline_kernelINS0_14default_configENS1_22reduce_config_selectorIN6thrust23THRUST_200600_302600_NS5tupleIblNS6_9null_typeES8_S8_S8_S8_S8_S8_S8_EEEEZNS1_11reduce_implILb1ES3_NS6_12zip_iteratorINS7_INS6_11hip_rocprim26transform_input_iterator_tIbPfNS6_6detail10functional5actorINSH_9compositeIJNSH_27transparent_binary_operatorINS6_8equal_toIvEEEENSI_INSH_8argumentILj0EEEEENSH_5valueIfEEEEEEEEENSD_19counting_iterator_tIlEES8_S8_S8_S8_S8_S8_S8_S8_EEEEPS9_S9_NSD_9__find_if7functorIS9_EEEE10hipError_tPvRmT1_T2_T3_mT4_P12ihipStream_tbEUlT_E0_NS1_11comp_targetILNS1_3genE3ELNS1_11target_archE908ELNS1_3gpuE7ELNS1_3repE0EEENS1_30default_config_static_selectorELNS0_4arch9wavefront6targetE1EEEvS17_: ; @_ZN7rocprim17ROCPRIM_400000_NS6detail17trampoline_kernelINS0_14default_configENS1_22reduce_config_selectorIN6thrust23THRUST_200600_302600_NS5tupleIblNS6_9null_typeES8_S8_S8_S8_S8_S8_S8_EEEEZNS1_11reduce_implILb1ES3_NS6_12zip_iteratorINS7_INS6_11hip_rocprim26transform_input_iterator_tIbPfNS6_6detail10functional5actorINSH_9compositeIJNSH_27transparent_binary_operatorINS6_8equal_toIvEEEENSI_INSH_8argumentILj0EEEEENSH_5valueIfEEEEEEEEENSD_19counting_iterator_tIlEES8_S8_S8_S8_S8_S8_S8_S8_EEEEPS9_S9_NSD_9__find_if7functorIS9_EEEE10hipError_tPvRmT1_T2_T3_mT4_P12ihipStream_tbEUlT_E0_NS1_11comp_targetILNS1_3genE3ELNS1_11target_archE908ELNS1_3gpuE7ELNS1_3repE0EEENS1_30default_config_static_selectorELNS0_4arch9wavefront6targetE1EEEvS17_
; %bb.0:
	.section	.rodata,"a",@progbits
	.p2align	6, 0x0
	.amdhsa_kernel _ZN7rocprim17ROCPRIM_400000_NS6detail17trampoline_kernelINS0_14default_configENS1_22reduce_config_selectorIN6thrust23THRUST_200600_302600_NS5tupleIblNS6_9null_typeES8_S8_S8_S8_S8_S8_S8_EEEEZNS1_11reduce_implILb1ES3_NS6_12zip_iteratorINS7_INS6_11hip_rocprim26transform_input_iterator_tIbPfNS6_6detail10functional5actorINSH_9compositeIJNSH_27transparent_binary_operatorINS6_8equal_toIvEEEENSI_INSH_8argumentILj0EEEEENSH_5valueIfEEEEEEEEENSD_19counting_iterator_tIlEES8_S8_S8_S8_S8_S8_S8_S8_EEEEPS9_S9_NSD_9__find_if7functorIS9_EEEE10hipError_tPvRmT1_T2_T3_mT4_P12ihipStream_tbEUlT_E0_NS1_11comp_targetILNS1_3genE3ELNS1_11target_archE908ELNS1_3gpuE7ELNS1_3repE0EEENS1_30default_config_static_selectorELNS0_4arch9wavefront6targetE1EEEvS17_
		.amdhsa_group_segment_fixed_size 0
		.amdhsa_private_segment_fixed_size 0
		.amdhsa_kernarg_size 88
		.amdhsa_user_sgpr_count 6
		.amdhsa_user_sgpr_private_segment_buffer 1
		.amdhsa_user_sgpr_dispatch_ptr 0
		.amdhsa_user_sgpr_queue_ptr 0
		.amdhsa_user_sgpr_kernarg_segment_ptr 1
		.amdhsa_user_sgpr_dispatch_id 0
		.amdhsa_user_sgpr_flat_scratch_init 0
		.amdhsa_user_sgpr_kernarg_preload_length 0
		.amdhsa_user_sgpr_kernarg_preload_offset 0
		.amdhsa_user_sgpr_private_segment_size 0
		.amdhsa_uses_dynamic_stack 0
		.amdhsa_system_sgpr_private_segment_wavefront_offset 0
		.amdhsa_system_sgpr_workgroup_id_x 1
		.amdhsa_system_sgpr_workgroup_id_y 0
		.amdhsa_system_sgpr_workgroup_id_z 0
		.amdhsa_system_sgpr_workgroup_info 0
		.amdhsa_system_vgpr_workitem_id 0
		.amdhsa_next_free_vgpr 1
		.amdhsa_next_free_sgpr 0
		.amdhsa_accum_offset 4
		.amdhsa_reserve_vcc 0
		.amdhsa_reserve_flat_scratch 0
		.amdhsa_float_round_mode_32 0
		.amdhsa_float_round_mode_16_64 0
		.amdhsa_float_denorm_mode_32 3
		.amdhsa_float_denorm_mode_16_64 3
		.amdhsa_dx10_clamp 1
		.amdhsa_ieee_mode 1
		.amdhsa_fp16_overflow 0
		.amdhsa_tg_split 0
		.amdhsa_exception_fp_ieee_invalid_op 0
		.amdhsa_exception_fp_denorm_src 0
		.amdhsa_exception_fp_ieee_div_zero 0
		.amdhsa_exception_fp_ieee_overflow 0
		.amdhsa_exception_fp_ieee_underflow 0
		.amdhsa_exception_fp_ieee_inexact 0
		.amdhsa_exception_int_div_zero 0
	.end_amdhsa_kernel
	.section	.text._ZN7rocprim17ROCPRIM_400000_NS6detail17trampoline_kernelINS0_14default_configENS1_22reduce_config_selectorIN6thrust23THRUST_200600_302600_NS5tupleIblNS6_9null_typeES8_S8_S8_S8_S8_S8_S8_EEEEZNS1_11reduce_implILb1ES3_NS6_12zip_iteratorINS7_INS6_11hip_rocprim26transform_input_iterator_tIbPfNS6_6detail10functional5actorINSH_9compositeIJNSH_27transparent_binary_operatorINS6_8equal_toIvEEEENSI_INSH_8argumentILj0EEEEENSH_5valueIfEEEEEEEEENSD_19counting_iterator_tIlEES8_S8_S8_S8_S8_S8_S8_S8_EEEEPS9_S9_NSD_9__find_if7functorIS9_EEEE10hipError_tPvRmT1_T2_T3_mT4_P12ihipStream_tbEUlT_E0_NS1_11comp_targetILNS1_3genE3ELNS1_11target_archE908ELNS1_3gpuE7ELNS1_3repE0EEENS1_30default_config_static_selectorELNS0_4arch9wavefront6targetE1EEEvS17_,"axG",@progbits,_ZN7rocprim17ROCPRIM_400000_NS6detail17trampoline_kernelINS0_14default_configENS1_22reduce_config_selectorIN6thrust23THRUST_200600_302600_NS5tupleIblNS6_9null_typeES8_S8_S8_S8_S8_S8_S8_EEEEZNS1_11reduce_implILb1ES3_NS6_12zip_iteratorINS7_INS6_11hip_rocprim26transform_input_iterator_tIbPfNS6_6detail10functional5actorINSH_9compositeIJNSH_27transparent_binary_operatorINS6_8equal_toIvEEEENSI_INSH_8argumentILj0EEEEENSH_5valueIfEEEEEEEEENSD_19counting_iterator_tIlEES8_S8_S8_S8_S8_S8_S8_S8_EEEEPS9_S9_NSD_9__find_if7functorIS9_EEEE10hipError_tPvRmT1_T2_T3_mT4_P12ihipStream_tbEUlT_E0_NS1_11comp_targetILNS1_3genE3ELNS1_11target_archE908ELNS1_3gpuE7ELNS1_3repE0EEENS1_30default_config_static_selectorELNS0_4arch9wavefront6targetE1EEEvS17_,comdat
.Lfunc_end1945:
	.size	_ZN7rocprim17ROCPRIM_400000_NS6detail17trampoline_kernelINS0_14default_configENS1_22reduce_config_selectorIN6thrust23THRUST_200600_302600_NS5tupleIblNS6_9null_typeES8_S8_S8_S8_S8_S8_S8_EEEEZNS1_11reduce_implILb1ES3_NS6_12zip_iteratorINS7_INS6_11hip_rocprim26transform_input_iterator_tIbPfNS6_6detail10functional5actorINSH_9compositeIJNSH_27transparent_binary_operatorINS6_8equal_toIvEEEENSI_INSH_8argumentILj0EEEEENSH_5valueIfEEEEEEEEENSD_19counting_iterator_tIlEES8_S8_S8_S8_S8_S8_S8_S8_EEEEPS9_S9_NSD_9__find_if7functorIS9_EEEE10hipError_tPvRmT1_T2_T3_mT4_P12ihipStream_tbEUlT_E0_NS1_11comp_targetILNS1_3genE3ELNS1_11target_archE908ELNS1_3gpuE7ELNS1_3repE0EEENS1_30default_config_static_selectorELNS0_4arch9wavefront6targetE1EEEvS17_, .Lfunc_end1945-_ZN7rocprim17ROCPRIM_400000_NS6detail17trampoline_kernelINS0_14default_configENS1_22reduce_config_selectorIN6thrust23THRUST_200600_302600_NS5tupleIblNS6_9null_typeES8_S8_S8_S8_S8_S8_S8_EEEEZNS1_11reduce_implILb1ES3_NS6_12zip_iteratorINS7_INS6_11hip_rocprim26transform_input_iterator_tIbPfNS6_6detail10functional5actorINSH_9compositeIJNSH_27transparent_binary_operatorINS6_8equal_toIvEEEENSI_INSH_8argumentILj0EEEEENSH_5valueIfEEEEEEEEENSD_19counting_iterator_tIlEES8_S8_S8_S8_S8_S8_S8_S8_EEEEPS9_S9_NSD_9__find_if7functorIS9_EEEE10hipError_tPvRmT1_T2_T3_mT4_P12ihipStream_tbEUlT_E0_NS1_11comp_targetILNS1_3genE3ELNS1_11target_archE908ELNS1_3gpuE7ELNS1_3repE0EEENS1_30default_config_static_selectorELNS0_4arch9wavefront6targetE1EEEvS17_
                                        ; -- End function
	.section	.AMDGPU.csdata,"",@progbits
; Kernel info:
; codeLenInByte = 0
; NumSgprs: 4
; NumVgprs: 0
; NumAgprs: 0
; TotalNumVgprs: 0
; ScratchSize: 0
; MemoryBound: 0
; FloatMode: 240
; IeeeMode: 1
; LDSByteSize: 0 bytes/workgroup (compile time only)
; SGPRBlocks: 0
; VGPRBlocks: 0
; NumSGPRsForWavesPerEU: 4
; NumVGPRsForWavesPerEU: 1
; AccumOffset: 4
; Occupancy: 8
; WaveLimiterHint : 0
; COMPUTE_PGM_RSRC2:SCRATCH_EN: 0
; COMPUTE_PGM_RSRC2:USER_SGPR: 6
; COMPUTE_PGM_RSRC2:TRAP_HANDLER: 0
; COMPUTE_PGM_RSRC2:TGID_X_EN: 1
; COMPUTE_PGM_RSRC2:TGID_Y_EN: 0
; COMPUTE_PGM_RSRC2:TGID_Z_EN: 0
; COMPUTE_PGM_RSRC2:TIDIG_COMP_CNT: 0
; COMPUTE_PGM_RSRC3_GFX90A:ACCUM_OFFSET: 0
; COMPUTE_PGM_RSRC3_GFX90A:TG_SPLIT: 0
	.section	.text._ZN7rocprim17ROCPRIM_400000_NS6detail17trampoline_kernelINS0_14default_configENS1_22reduce_config_selectorIN6thrust23THRUST_200600_302600_NS5tupleIblNS6_9null_typeES8_S8_S8_S8_S8_S8_S8_EEEEZNS1_11reduce_implILb1ES3_NS6_12zip_iteratorINS7_INS6_11hip_rocprim26transform_input_iterator_tIbPfNS6_6detail10functional5actorINSH_9compositeIJNSH_27transparent_binary_operatorINS6_8equal_toIvEEEENSI_INSH_8argumentILj0EEEEENSH_5valueIfEEEEEEEEENSD_19counting_iterator_tIlEES8_S8_S8_S8_S8_S8_S8_S8_EEEEPS9_S9_NSD_9__find_if7functorIS9_EEEE10hipError_tPvRmT1_T2_T3_mT4_P12ihipStream_tbEUlT_E0_NS1_11comp_targetILNS1_3genE2ELNS1_11target_archE906ELNS1_3gpuE6ELNS1_3repE0EEENS1_30default_config_static_selectorELNS0_4arch9wavefront6targetE1EEEvS17_,"axG",@progbits,_ZN7rocprim17ROCPRIM_400000_NS6detail17trampoline_kernelINS0_14default_configENS1_22reduce_config_selectorIN6thrust23THRUST_200600_302600_NS5tupleIblNS6_9null_typeES8_S8_S8_S8_S8_S8_S8_EEEEZNS1_11reduce_implILb1ES3_NS6_12zip_iteratorINS7_INS6_11hip_rocprim26transform_input_iterator_tIbPfNS6_6detail10functional5actorINSH_9compositeIJNSH_27transparent_binary_operatorINS6_8equal_toIvEEEENSI_INSH_8argumentILj0EEEEENSH_5valueIfEEEEEEEEENSD_19counting_iterator_tIlEES8_S8_S8_S8_S8_S8_S8_S8_EEEEPS9_S9_NSD_9__find_if7functorIS9_EEEE10hipError_tPvRmT1_T2_T3_mT4_P12ihipStream_tbEUlT_E0_NS1_11comp_targetILNS1_3genE2ELNS1_11target_archE906ELNS1_3gpuE6ELNS1_3repE0EEENS1_30default_config_static_selectorELNS0_4arch9wavefront6targetE1EEEvS17_,comdat
	.protected	_ZN7rocprim17ROCPRIM_400000_NS6detail17trampoline_kernelINS0_14default_configENS1_22reduce_config_selectorIN6thrust23THRUST_200600_302600_NS5tupleIblNS6_9null_typeES8_S8_S8_S8_S8_S8_S8_EEEEZNS1_11reduce_implILb1ES3_NS6_12zip_iteratorINS7_INS6_11hip_rocprim26transform_input_iterator_tIbPfNS6_6detail10functional5actorINSH_9compositeIJNSH_27transparent_binary_operatorINS6_8equal_toIvEEEENSI_INSH_8argumentILj0EEEEENSH_5valueIfEEEEEEEEENSD_19counting_iterator_tIlEES8_S8_S8_S8_S8_S8_S8_S8_EEEEPS9_S9_NSD_9__find_if7functorIS9_EEEE10hipError_tPvRmT1_T2_T3_mT4_P12ihipStream_tbEUlT_E0_NS1_11comp_targetILNS1_3genE2ELNS1_11target_archE906ELNS1_3gpuE6ELNS1_3repE0EEENS1_30default_config_static_selectorELNS0_4arch9wavefront6targetE1EEEvS17_ ; -- Begin function _ZN7rocprim17ROCPRIM_400000_NS6detail17trampoline_kernelINS0_14default_configENS1_22reduce_config_selectorIN6thrust23THRUST_200600_302600_NS5tupleIblNS6_9null_typeES8_S8_S8_S8_S8_S8_S8_EEEEZNS1_11reduce_implILb1ES3_NS6_12zip_iteratorINS7_INS6_11hip_rocprim26transform_input_iterator_tIbPfNS6_6detail10functional5actorINSH_9compositeIJNSH_27transparent_binary_operatorINS6_8equal_toIvEEEENSI_INSH_8argumentILj0EEEEENSH_5valueIfEEEEEEEEENSD_19counting_iterator_tIlEES8_S8_S8_S8_S8_S8_S8_S8_EEEEPS9_S9_NSD_9__find_if7functorIS9_EEEE10hipError_tPvRmT1_T2_T3_mT4_P12ihipStream_tbEUlT_E0_NS1_11comp_targetILNS1_3genE2ELNS1_11target_archE906ELNS1_3gpuE6ELNS1_3repE0EEENS1_30default_config_static_selectorELNS0_4arch9wavefront6targetE1EEEvS17_
	.globl	_ZN7rocprim17ROCPRIM_400000_NS6detail17trampoline_kernelINS0_14default_configENS1_22reduce_config_selectorIN6thrust23THRUST_200600_302600_NS5tupleIblNS6_9null_typeES8_S8_S8_S8_S8_S8_S8_EEEEZNS1_11reduce_implILb1ES3_NS6_12zip_iteratorINS7_INS6_11hip_rocprim26transform_input_iterator_tIbPfNS6_6detail10functional5actorINSH_9compositeIJNSH_27transparent_binary_operatorINS6_8equal_toIvEEEENSI_INSH_8argumentILj0EEEEENSH_5valueIfEEEEEEEEENSD_19counting_iterator_tIlEES8_S8_S8_S8_S8_S8_S8_S8_EEEEPS9_S9_NSD_9__find_if7functorIS9_EEEE10hipError_tPvRmT1_T2_T3_mT4_P12ihipStream_tbEUlT_E0_NS1_11comp_targetILNS1_3genE2ELNS1_11target_archE906ELNS1_3gpuE6ELNS1_3repE0EEENS1_30default_config_static_selectorELNS0_4arch9wavefront6targetE1EEEvS17_
	.p2align	8
	.type	_ZN7rocprim17ROCPRIM_400000_NS6detail17trampoline_kernelINS0_14default_configENS1_22reduce_config_selectorIN6thrust23THRUST_200600_302600_NS5tupleIblNS6_9null_typeES8_S8_S8_S8_S8_S8_S8_EEEEZNS1_11reduce_implILb1ES3_NS6_12zip_iteratorINS7_INS6_11hip_rocprim26transform_input_iterator_tIbPfNS6_6detail10functional5actorINSH_9compositeIJNSH_27transparent_binary_operatorINS6_8equal_toIvEEEENSI_INSH_8argumentILj0EEEEENSH_5valueIfEEEEEEEEENSD_19counting_iterator_tIlEES8_S8_S8_S8_S8_S8_S8_S8_EEEEPS9_S9_NSD_9__find_if7functorIS9_EEEE10hipError_tPvRmT1_T2_T3_mT4_P12ihipStream_tbEUlT_E0_NS1_11comp_targetILNS1_3genE2ELNS1_11target_archE906ELNS1_3gpuE6ELNS1_3repE0EEENS1_30default_config_static_selectorELNS0_4arch9wavefront6targetE1EEEvS17_,@function
_ZN7rocprim17ROCPRIM_400000_NS6detail17trampoline_kernelINS0_14default_configENS1_22reduce_config_selectorIN6thrust23THRUST_200600_302600_NS5tupleIblNS6_9null_typeES8_S8_S8_S8_S8_S8_S8_EEEEZNS1_11reduce_implILb1ES3_NS6_12zip_iteratorINS7_INS6_11hip_rocprim26transform_input_iterator_tIbPfNS6_6detail10functional5actorINSH_9compositeIJNSH_27transparent_binary_operatorINS6_8equal_toIvEEEENSI_INSH_8argumentILj0EEEEENSH_5valueIfEEEEEEEEENSD_19counting_iterator_tIlEES8_S8_S8_S8_S8_S8_S8_S8_EEEEPS9_S9_NSD_9__find_if7functorIS9_EEEE10hipError_tPvRmT1_T2_T3_mT4_P12ihipStream_tbEUlT_E0_NS1_11comp_targetILNS1_3genE2ELNS1_11target_archE906ELNS1_3gpuE6ELNS1_3repE0EEENS1_30default_config_static_selectorELNS0_4arch9wavefront6targetE1EEEvS17_: ; @_ZN7rocprim17ROCPRIM_400000_NS6detail17trampoline_kernelINS0_14default_configENS1_22reduce_config_selectorIN6thrust23THRUST_200600_302600_NS5tupleIblNS6_9null_typeES8_S8_S8_S8_S8_S8_S8_EEEEZNS1_11reduce_implILb1ES3_NS6_12zip_iteratorINS7_INS6_11hip_rocprim26transform_input_iterator_tIbPfNS6_6detail10functional5actorINSH_9compositeIJNSH_27transparent_binary_operatorINS6_8equal_toIvEEEENSI_INSH_8argumentILj0EEEEENSH_5valueIfEEEEEEEEENSD_19counting_iterator_tIlEES8_S8_S8_S8_S8_S8_S8_S8_EEEEPS9_S9_NSD_9__find_if7functorIS9_EEEE10hipError_tPvRmT1_T2_T3_mT4_P12ihipStream_tbEUlT_E0_NS1_11comp_targetILNS1_3genE2ELNS1_11target_archE906ELNS1_3gpuE6ELNS1_3repE0EEENS1_30default_config_static_selectorELNS0_4arch9wavefront6targetE1EEEvS17_
; %bb.0:
	.section	.rodata,"a",@progbits
	.p2align	6, 0x0
	.amdhsa_kernel _ZN7rocprim17ROCPRIM_400000_NS6detail17trampoline_kernelINS0_14default_configENS1_22reduce_config_selectorIN6thrust23THRUST_200600_302600_NS5tupleIblNS6_9null_typeES8_S8_S8_S8_S8_S8_S8_EEEEZNS1_11reduce_implILb1ES3_NS6_12zip_iteratorINS7_INS6_11hip_rocprim26transform_input_iterator_tIbPfNS6_6detail10functional5actorINSH_9compositeIJNSH_27transparent_binary_operatorINS6_8equal_toIvEEEENSI_INSH_8argumentILj0EEEEENSH_5valueIfEEEEEEEEENSD_19counting_iterator_tIlEES8_S8_S8_S8_S8_S8_S8_S8_EEEEPS9_S9_NSD_9__find_if7functorIS9_EEEE10hipError_tPvRmT1_T2_T3_mT4_P12ihipStream_tbEUlT_E0_NS1_11comp_targetILNS1_3genE2ELNS1_11target_archE906ELNS1_3gpuE6ELNS1_3repE0EEENS1_30default_config_static_selectorELNS0_4arch9wavefront6targetE1EEEvS17_
		.amdhsa_group_segment_fixed_size 0
		.amdhsa_private_segment_fixed_size 0
		.amdhsa_kernarg_size 88
		.amdhsa_user_sgpr_count 6
		.amdhsa_user_sgpr_private_segment_buffer 1
		.amdhsa_user_sgpr_dispatch_ptr 0
		.amdhsa_user_sgpr_queue_ptr 0
		.amdhsa_user_sgpr_kernarg_segment_ptr 1
		.amdhsa_user_sgpr_dispatch_id 0
		.amdhsa_user_sgpr_flat_scratch_init 0
		.amdhsa_user_sgpr_kernarg_preload_length 0
		.amdhsa_user_sgpr_kernarg_preload_offset 0
		.amdhsa_user_sgpr_private_segment_size 0
		.amdhsa_uses_dynamic_stack 0
		.amdhsa_system_sgpr_private_segment_wavefront_offset 0
		.amdhsa_system_sgpr_workgroup_id_x 1
		.amdhsa_system_sgpr_workgroup_id_y 0
		.amdhsa_system_sgpr_workgroup_id_z 0
		.amdhsa_system_sgpr_workgroup_info 0
		.amdhsa_system_vgpr_workitem_id 0
		.amdhsa_next_free_vgpr 1
		.amdhsa_next_free_sgpr 0
		.amdhsa_accum_offset 4
		.amdhsa_reserve_vcc 0
		.amdhsa_reserve_flat_scratch 0
		.amdhsa_float_round_mode_32 0
		.amdhsa_float_round_mode_16_64 0
		.amdhsa_float_denorm_mode_32 3
		.amdhsa_float_denorm_mode_16_64 3
		.amdhsa_dx10_clamp 1
		.amdhsa_ieee_mode 1
		.amdhsa_fp16_overflow 0
		.amdhsa_tg_split 0
		.amdhsa_exception_fp_ieee_invalid_op 0
		.amdhsa_exception_fp_denorm_src 0
		.amdhsa_exception_fp_ieee_div_zero 0
		.amdhsa_exception_fp_ieee_overflow 0
		.amdhsa_exception_fp_ieee_underflow 0
		.amdhsa_exception_fp_ieee_inexact 0
		.amdhsa_exception_int_div_zero 0
	.end_amdhsa_kernel
	.section	.text._ZN7rocprim17ROCPRIM_400000_NS6detail17trampoline_kernelINS0_14default_configENS1_22reduce_config_selectorIN6thrust23THRUST_200600_302600_NS5tupleIblNS6_9null_typeES8_S8_S8_S8_S8_S8_S8_EEEEZNS1_11reduce_implILb1ES3_NS6_12zip_iteratorINS7_INS6_11hip_rocprim26transform_input_iterator_tIbPfNS6_6detail10functional5actorINSH_9compositeIJNSH_27transparent_binary_operatorINS6_8equal_toIvEEEENSI_INSH_8argumentILj0EEEEENSH_5valueIfEEEEEEEEENSD_19counting_iterator_tIlEES8_S8_S8_S8_S8_S8_S8_S8_EEEEPS9_S9_NSD_9__find_if7functorIS9_EEEE10hipError_tPvRmT1_T2_T3_mT4_P12ihipStream_tbEUlT_E0_NS1_11comp_targetILNS1_3genE2ELNS1_11target_archE906ELNS1_3gpuE6ELNS1_3repE0EEENS1_30default_config_static_selectorELNS0_4arch9wavefront6targetE1EEEvS17_,"axG",@progbits,_ZN7rocprim17ROCPRIM_400000_NS6detail17trampoline_kernelINS0_14default_configENS1_22reduce_config_selectorIN6thrust23THRUST_200600_302600_NS5tupleIblNS6_9null_typeES8_S8_S8_S8_S8_S8_S8_EEEEZNS1_11reduce_implILb1ES3_NS6_12zip_iteratorINS7_INS6_11hip_rocprim26transform_input_iterator_tIbPfNS6_6detail10functional5actorINSH_9compositeIJNSH_27transparent_binary_operatorINS6_8equal_toIvEEEENSI_INSH_8argumentILj0EEEEENSH_5valueIfEEEEEEEEENSD_19counting_iterator_tIlEES8_S8_S8_S8_S8_S8_S8_S8_EEEEPS9_S9_NSD_9__find_if7functorIS9_EEEE10hipError_tPvRmT1_T2_T3_mT4_P12ihipStream_tbEUlT_E0_NS1_11comp_targetILNS1_3genE2ELNS1_11target_archE906ELNS1_3gpuE6ELNS1_3repE0EEENS1_30default_config_static_selectorELNS0_4arch9wavefront6targetE1EEEvS17_,comdat
.Lfunc_end1946:
	.size	_ZN7rocprim17ROCPRIM_400000_NS6detail17trampoline_kernelINS0_14default_configENS1_22reduce_config_selectorIN6thrust23THRUST_200600_302600_NS5tupleIblNS6_9null_typeES8_S8_S8_S8_S8_S8_S8_EEEEZNS1_11reduce_implILb1ES3_NS6_12zip_iteratorINS7_INS6_11hip_rocprim26transform_input_iterator_tIbPfNS6_6detail10functional5actorINSH_9compositeIJNSH_27transparent_binary_operatorINS6_8equal_toIvEEEENSI_INSH_8argumentILj0EEEEENSH_5valueIfEEEEEEEEENSD_19counting_iterator_tIlEES8_S8_S8_S8_S8_S8_S8_S8_EEEEPS9_S9_NSD_9__find_if7functorIS9_EEEE10hipError_tPvRmT1_T2_T3_mT4_P12ihipStream_tbEUlT_E0_NS1_11comp_targetILNS1_3genE2ELNS1_11target_archE906ELNS1_3gpuE6ELNS1_3repE0EEENS1_30default_config_static_selectorELNS0_4arch9wavefront6targetE1EEEvS17_, .Lfunc_end1946-_ZN7rocprim17ROCPRIM_400000_NS6detail17trampoline_kernelINS0_14default_configENS1_22reduce_config_selectorIN6thrust23THRUST_200600_302600_NS5tupleIblNS6_9null_typeES8_S8_S8_S8_S8_S8_S8_EEEEZNS1_11reduce_implILb1ES3_NS6_12zip_iteratorINS7_INS6_11hip_rocprim26transform_input_iterator_tIbPfNS6_6detail10functional5actorINSH_9compositeIJNSH_27transparent_binary_operatorINS6_8equal_toIvEEEENSI_INSH_8argumentILj0EEEEENSH_5valueIfEEEEEEEEENSD_19counting_iterator_tIlEES8_S8_S8_S8_S8_S8_S8_S8_EEEEPS9_S9_NSD_9__find_if7functorIS9_EEEE10hipError_tPvRmT1_T2_T3_mT4_P12ihipStream_tbEUlT_E0_NS1_11comp_targetILNS1_3genE2ELNS1_11target_archE906ELNS1_3gpuE6ELNS1_3repE0EEENS1_30default_config_static_selectorELNS0_4arch9wavefront6targetE1EEEvS17_
                                        ; -- End function
	.section	.AMDGPU.csdata,"",@progbits
; Kernel info:
; codeLenInByte = 0
; NumSgprs: 4
; NumVgprs: 0
; NumAgprs: 0
; TotalNumVgprs: 0
; ScratchSize: 0
; MemoryBound: 0
; FloatMode: 240
; IeeeMode: 1
; LDSByteSize: 0 bytes/workgroup (compile time only)
; SGPRBlocks: 0
; VGPRBlocks: 0
; NumSGPRsForWavesPerEU: 4
; NumVGPRsForWavesPerEU: 1
; AccumOffset: 4
; Occupancy: 8
; WaveLimiterHint : 0
; COMPUTE_PGM_RSRC2:SCRATCH_EN: 0
; COMPUTE_PGM_RSRC2:USER_SGPR: 6
; COMPUTE_PGM_RSRC2:TRAP_HANDLER: 0
; COMPUTE_PGM_RSRC2:TGID_X_EN: 1
; COMPUTE_PGM_RSRC2:TGID_Y_EN: 0
; COMPUTE_PGM_RSRC2:TGID_Z_EN: 0
; COMPUTE_PGM_RSRC2:TIDIG_COMP_CNT: 0
; COMPUTE_PGM_RSRC3_GFX90A:ACCUM_OFFSET: 0
; COMPUTE_PGM_RSRC3_GFX90A:TG_SPLIT: 0
	.section	.text._ZN7rocprim17ROCPRIM_400000_NS6detail17trampoline_kernelINS0_14default_configENS1_22reduce_config_selectorIN6thrust23THRUST_200600_302600_NS5tupleIblNS6_9null_typeES8_S8_S8_S8_S8_S8_S8_EEEEZNS1_11reduce_implILb1ES3_NS6_12zip_iteratorINS7_INS6_11hip_rocprim26transform_input_iterator_tIbPfNS6_6detail10functional5actorINSH_9compositeIJNSH_27transparent_binary_operatorINS6_8equal_toIvEEEENSI_INSH_8argumentILj0EEEEENSH_5valueIfEEEEEEEEENSD_19counting_iterator_tIlEES8_S8_S8_S8_S8_S8_S8_S8_EEEEPS9_S9_NSD_9__find_if7functorIS9_EEEE10hipError_tPvRmT1_T2_T3_mT4_P12ihipStream_tbEUlT_E0_NS1_11comp_targetILNS1_3genE10ELNS1_11target_archE1201ELNS1_3gpuE5ELNS1_3repE0EEENS1_30default_config_static_selectorELNS0_4arch9wavefront6targetE1EEEvS17_,"axG",@progbits,_ZN7rocprim17ROCPRIM_400000_NS6detail17trampoline_kernelINS0_14default_configENS1_22reduce_config_selectorIN6thrust23THRUST_200600_302600_NS5tupleIblNS6_9null_typeES8_S8_S8_S8_S8_S8_S8_EEEEZNS1_11reduce_implILb1ES3_NS6_12zip_iteratorINS7_INS6_11hip_rocprim26transform_input_iterator_tIbPfNS6_6detail10functional5actorINSH_9compositeIJNSH_27transparent_binary_operatorINS6_8equal_toIvEEEENSI_INSH_8argumentILj0EEEEENSH_5valueIfEEEEEEEEENSD_19counting_iterator_tIlEES8_S8_S8_S8_S8_S8_S8_S8_EEEEPS9_S9_NSD_9__find_if7functorIS9_EEEE10hipError_tPvRmT1_T2_T3_mT4_P12ihipStream_tbEUlT_E0_NS1_11comp_targetILNS1_3genE10ELNS1_11target_archE1201ELNS1_3gpuE5ELNS1_3repE0EEENS1_30default_config_static_selectorELNS0_4arch9wavefront6targetE1EEEvS17_,comdat
	.protected	_ZN7rocprim17ROCPRIM_400000_NS6detail17trampoline_kernelINS0_14default_configENS1_22reduce_config_selectorIN6thrust23THRUST_200600_302600_NS5tupleIblNS6_9null_typeES8_S8_S8_S8_S8_S8_S8_EEEEZNS1_11reduce_implILb1ES3_NS6_12zip_iteratorINS7_INS6_11hip_rocprim26transform_input_iterator_tIbPfNS6_6detail10functional5actorINSH_9compositeIJNSH_27transparent_binary_operatorINS6_8equal_toIvEEEENSI_INSH_8argumentILj0EEEEENSH_5valueIfEEEEEEEEENSD_19counting_iterator_tIlEES8_S8_S8_S8_S8_S8_S8_S8_EEEEPS9_S9_NSD_9__find_if7functorIS9_EEEE10hipError_tPvRmT1_T2_T3_mT4_P12ihipStream_tbEUlT_E0_NS1_11comp_targetILNS1_3genE10ELNS1_11target_archE1201ELNS1_3gpuE5ELNS1_3repE0EEENS1_30default_config_static_selectorELNS0_4arch9wavefront6targetE1EEEvS17_ ; -- Begin function _ZN7rocprim17ROCPRIM_400000_NS6detail17trampoline_kernelINS0_14default_configENS1_22reduce_config_selectorIN6thrust23THRUST_200600_302600_NS5tupleIblNS6_9null_typeES8_S8_S8_S8_S8_S8_S8_EEEEZNS1_11reduce_implILb1ES3_NS6_12zip_iteratorINS7_INS6_11hip_rocprim26transform_input_iterator_tIbPfNS6_6detail10functional5actorINSH_9compositeIJNSH_27transparent_binary_operatorINS6_8equal_toIvEEEENSI_INSH_8argumentILj0EEEEENSH_5valueIfEEEEEEEEENSD_19counting_iterator_tIlEES8_S8_S8_S8_S8_S8_S8_S8_EEEEPS9_S9_NSD_9__find_if7functorIS9_EEEE10hipError_tPvRmT1_T2_T3_mT4_P12ihipStream_tbEUlT_E0_NS1_11comp_targetILNS1_3genE10ELNS1_11target_archE1201ELNS1_3gpuE5ELNS1_3repE0EEENS1_30default_config_static_selectorELNS0_4arch9wavefront6targetE1EEEvS17_
	.globl	_ZN7rocprim17ROCPRIM_400000_NS6detail17trampoline_kernelINS0_14default_configENS1_22reduce_config_selectorIN6thrust23THRUST_200600_302600_NS5tupleIblNS6_9null_typeES8_S8_S8_S8_S8_S8_S8_EEEEZNS1_11reduce_implILb1ES3_NS6_12zip_iteratorINS7_INS6_11hip_rocprim26transform_input_iterator_tIbPfNS6_6detail10functional5actorINSH_9compositeIJNSH_27transparent_binary_operatorINS6_8equal_toIvEEEENSI_INSH_8argumentILj0EEEEENSH_5valueIfEEEEEEEEENSD_19counting_iterator_tIlEES8_S8_S8_S8_S8_S8_S8_S8_EEEEPS9_S9_NSD_9__find_if7functorIS9_EEEE10hipError_tPvRmT1_T2_T3_mT4_P12ihipStream_tbEUlT_E0_NS1_11comp_targetILNS1_3genE10ELNS1_11target_archE1201ELNS1_3gpuE5ELNS1_3repE0EEENS1_30default_config_static_selectorELNS0_4arch9wavefront6targetE1EEEvS17_
	.p2align	8
	.type	_ZN7rocprim17ROCPRIM_400000_NS6detail17trampoline_kernelINS0_14default_configENS1_22reduce_config_selectorIN6thrust23THRUST_200600_302600_NS5tupleIblNS6_9null_typeES8_S8_S8_S8_S8_S8_S8_EEEEZNS1_11reduce_implILb1ES3_NS6_12zip_iteratorINS7_INS6_11hip_rocprim26transform_input_iterator_tIbPfNS6_6detail10functional5actorINSH_9compositeIJNSH_27transparent_binary_operatorINS6_8equal_toIvEEEENSI_INSH_8argumentILj0EEEEENSH_5valueIfEEEEEEEEENSD_19counting_iterator_tIlEES8_S8_S8_S8_S8_S8_S8_S8_EEEEPS9_S9_NSD_9__find_if7functorIS9_EEEE10hipError_tPvRmT1_T2_T3_mT4_P12ihipStream_tbEUlT_E0_NS1_11comp_targetILNS1_3genE10ELNS1_11target_archE1201ELNS1_3gpuE5ELNS1_3repE0EEENS1_30default_config_static_selectorELNS0_4arch9wavefront6targetE1EEEvS17_,@function
_ZN7rocprim17ROCPRIM_400000_NS6detail17trampoline_kernelINS0_14default_configENS1_22reduce_config_selectorIN6thrust23THRUST_200600_302600_NS5tupleIblNS6_9null_typeES8_S8_S8_S8_S8_S8_S8_EEEEZNS1_11reduce_implILb1ES3_NS6_12zip_iteratorINS7_INS6_11hip_rocprim26transform_input_iterator_tIbPfNS6_6detail10functional5actorINSH_9compositeIJNSH_27transparent_binary_operatorINS6_8equal_toIvEEEENSI_INSH_8argumentILj0EEEEENSH_5valueIfEEEEEEEEENSD_19counting_iterator_tIlEES8_S8_S8_S8_S8_S8_S8_S8_EEEEPS9_S9_NSD_9__find_if7functorIS9_EEEE10hipError_tPvRmT1_T2_T3_mT4_P12ihipStream_tbEUlT_E0_NS1_11comp_targetILNS1_3genE10ELNS1_11target_archE1201ELNS1_3gpuE5ELNS1_3repE0EEENS1_30default_config_static_selectorELNS0_4arch9wavefront6targetE1EEEvS17_: ; @_ZN7rocprim17ROCPRIM_400000_NS6detail17trampoline_kernelINS0_14default_configENS1_22reduce_config_selectorIN6thrust23THRUST_200600_302600_NS5tupleIblNS6_9null_typeES8_S8_S8_S8_S8_S8_S8_EEEEZNS1_11reduce_implILb1ES3_NS6_12zip_iteratorINS7_INS6_11hip_rocprim26transform_input_iterator_tIbPfNS6_6detail10functional5actorINSH_9compositeIJNSH_27transparent_binary_operatorINS6_8equal_toIvEEEENSI_INSH_8argumentILj0EEEEENSH_5valueIfEEEEEEEEENSD_19counting_iterator_tIlEES8_S8_S8_S8_S8_S8_S8_S8_EEEEPS9_S9_NSD_9__find_if7functorIS9_EEEE10hipError_tPvRmT1_T2_T3_mT4_P12ihipStream_tbEUlT_E0_NS1_11comp_targetILNS1_3genE10ELNS1_11target_archE1201ELNS1_3gpuE5ELNS1_3repE0EEENS1_30default_config_static_selectorELNS0_4arch9wavefront6targetE1EEEvS17_
; %bb.0:
	.section	.rodata,"a",@progbits
	.p2align	6, 0x0
	.amdhsa_kernel _ZN7rocprim17ROCPRIM_400000_NS6detail17trampoline_kernelINS0_14default_configENS1_22reduce_config_selectorIN6thrust23THRUST_200600_302600_NS5tupleIblNS6_9null_typeES8_S8_S8_S8_S8_S8_S8_EEEEZNS1_11reduce_implILb1ES3_NS6_12zip_iteratorINS7_INS6_11hip_rocprim26transform_input_iterator_tIbPfNS6_6detail10functional5actorINSH_9compositeIJNSH_27transparent_binary_operatorINS6_8equal_toIvEEEENSI_INSH_8argumentILj0EEEEENSH_5valueIfEEEEEEEEENSD_19counting_iterator_tIlEES8_S8_S8_S8_S8_S8_S8_S8_EEEEPS9_S9_NSD_9__find_if7functorIS9_EEEE10hipError_tPvRmT1_T2_T3_mT4_P12ihipStream_tbEUlT_E0_NS1_11comp_targetILNS1_3genE10ELNS1_11target_archE1201ELNS1_3gpuE5ELNS1_3repE0EEENS1_30default_config_static_selectorELNS0_4arch9wavefront6targetE1EEEvS17_
		.amdhsa_group_segment_fixed_size 0
		.amdhsa_private_segment_fixed_size 0
		.amdhsa_kernarg_size 88
		.amdhsa_user_sgpr_count 6
		.amdhsa_user_sgpr_private_segment_buffer 1
		.amdhsa_user_sgpr_dispatch_ptr 0
		.amdhsa_user_sgpr_queue_ptr 0
		.amdhsa_user_sgpr_kernarg_segment_ptr 1
		.amdhsa_user_sgpr_dispatch_id 0
		.amdhsa_user_sgpr_flat_scratch_init 0
		.amdhsa_user_sgpr_kernarg_preload_length 0
		.amdhsa_user_sgpr_kernarg_preload_offset 0
		.amdhsa_user_sgpr_private_segment_size 0
		.amdhsa_uses_dynamic_stack 0
		.amdhsa_system_sgpr_private_segment_wavefront_offset 0
		.amdhsa_system_sgpr_workgroup_id_x 1
		.amdhsa_system_sgpr_workgroup_id_y 0
		.amdhsa_system_sgpr_workgroup_id_z 0
		.amdhsa_system_sgpr_workgroup_info 0
		.amdhsa_system_vgpr_workitem_id 0
		.amdhsa_next_free_vgpr 1
		.amdhsa_next_free_sgpr 0
		.amdhsa_accum_offset 4
		.amdhsa_reserve_vcc 0
		.amdhsa_reserve_flat_scratch 0
		.amdhsa_float_round_mode_32 0
		.amdhsa_float_round_mode_16_64 0
		.amdhsa_float_denorm_mode_32 3
		.amdhsa_float_denorm_mode_16_64 3
		.amdhsa_dx10_clamp 1
		.amdhsa_ieee_mode 1
		.amdhsa_fp16_overflow 0
		.amdhsa_tg_split 0
		.amdhsa_exception_fp_ieee_invalid_op 0
		.amdhsa_exception_fp_denorm_src 0
		.amdhsa_exception_fp_ieee_div_zero 0
		.amdhsa_exception_fp_ieee_overflow 0
		.amdhsa_exception_fp_ieee_underflow 0
		.amdhsa_exception_fp_ieee_inexact 0
		.amdhsa_exception_int_div_zero 0
	.end_amdhsa_kernel
	.section	.text._ZN7rocprim17ROCPRIM_400000_NS6detail17trampoline_kernelINS0_14default_configENS1_22reduce_config_selectorIN6thrust23THRUST_200600_302600_NS5tupleIblNS6_9null_typeES8_S8_S8_S8_S8_S8_S8_EEEEZNS1_11reduce_implILb1ES3_NS6_12zip_iteratorINS7_INS6_11hip_rocprim26transform_input_iterator_tIbPfNS6_6detail10functional5actorINSH_9compositeIJNSH_27transparent_binary_operatorINS6_8equal_toIvEEEENSI_INSH_8argumentILj0EEEEENSH_5valueIfEEEEEEEEENSD_19counting_iterator_tIlEES8_S8_S8_S8_S8_S8_S8_S8_EEEEPS9_S9_NSD_9__find_if7functorIS9_EEEE10hipError_tPvRmT1_T2_T3_mT4_P12ihipStream_tbEUlT_E0_NS1_11comp_targetILNS1_3genE10ELNS1_11target_archE1201ELNS1_3gpuE5ELNS1_3repE0EEENS1_30default_config_static_selectorELNS0_4arch9wavefront6targetE1EEEvS17_,"axG",@progbits,_ZN7rocprim17ROCPRIM_400000_NS6detail17trampoline_kernelINS0_14default_configENS1_22reduce_config_selectorIN6thrust23THRUST_200600_302600_NS5tupleIblNS6_9null_typeES8_S8_S8_S8_S8_S8_S8_EEEEZNS1_11reduce_implILb1ES3_NS6_12zip_iteratorINS7_INS6_11hip_rocprim26transform_input_iterator_tIbPfNS6_6detail10functional5actorINSH_9compositeIJNSH_27transparent_binary_operatorINS6_8equal_toIvEEEENSI_INSH_8argumentILj0EEEEENSH_5valueIfEEEEEEEEENSD_19counting_iterator_tIlEES8_S8_S8_S8_S8_S8_S8_S8_EEEEPS9_S9_NSD_9__find_if7functorIS9_EEEE10hipError_tPvRmT1_T2_T3_mT4_P12ihipStream_tbEUlT_E0_NS1_11comp_targetILNS1_3genE10ELNS1_11target_archE1201ELNS1_3gpuE5ELNS1_3repE0EEENS1_30default_config_static_selectorELNS0_4arch9wavefront6targetE1EEEvS17_,comdat
.Lfunc_end1947:
	.size	_ZN7rocprim17ROCPRIM_400000_NS6detail17trampoline_kernelINS0_14default_configENS1_22reduce_config_selectorIN6thrust23THRUST_200600_302600_NS5tupleIblNS6_9null_typeES8_S8_S8_S8_S8_S8_S8_EEEEZNS1_11reduce_implILb1ES3_NS6_12zip_iteratorINS7_INS6_11hip_rocprim26transform_input_iterator_tIbPfNS6_6detail10functional5actorINSH_9compositeIJNSH_27transparent_binary_operatorINS6_8equal_toIvEEEENSI_INSH_8argumentILj0EEEEENSH_5valueIfEEEEEEEEENSD_19counting_iterator_tIlEES8_S8_S8_S8_S8_S8_S8_S8_EEEEPS9_S9_NSD_9__find_if7functorIS9_EEEE10hipError_tPvRmT1_T2_T3_mT4_P12ihipStream_tbEUlT_E0_NS1_11comp_targetILNS1_3genE10ELNS1_11target_archE1201ELNS1_3gpuE5ELNS1_3repE0EEENS1_30default_config_static_selectorELNS0_4arch9wavefront6targetE1EEEvS17_, .Lfunc_end1947-_ZN7rocprim17ROCPRIM_400000_NS6detail17trampoline_kernelINS0_14default_configENS1_22reduce_config_selectorIN6thrust23THRUST_200600_302600_NS5tupleIblNS6_9null_typeES8_S8_S8_S8_S8_S8_S8_EEEEZNS1_11reduce_implILb1ES3_NS6_12zip_iteratorINS7_INS6_11hip_rocprim26transform_input_iterator_tIbPfNS6_6detail10functional5actorINSH_9compositeIJNSH_27transparent_binary_operatorINS6_8equal_toIvEEEENSI_INSH_8argumentILj0EEEEENSH_5valueIfEEEEEEEEENSD_19counting_iterator_tIlEES8_S8_S8_S8_S8_S8_S8_S8_EEEEPS9_S9_NSD_9__find_if7functorIS9_EEEE10hipError_tPvRmT1_T2_T3_mT4_P12ihipStream_tbEUlT_E0_NS1_11comp_targetILNS1_3genE10ELNS1_11target_archE1201ELNS1_3gpuE5ELNS1_3repE0EEENS1_30default_config_static_selectorELNS0_4arch9wavefront6targetE1EEEvS17_
                                        ; -- End function
	.section	.AMDGPU.csdata,"",@progbits
; Kernel info:
; codeLenInByte = 0
; NumSgprs: 4
; NumVgprs: 0
; NumAgprs: 0
; TotalNumVgprs: 0
; ScratchSize: 0
; MemoryBound: 0
; FloatMode: 240
; IeeeMode: 1
; LDSByteSize: 0 bytes/workgroup (compile time only)
; SGPRBlocks: 0
; VGPRBlocks: 0
; NumSGPRsForWavesPerEU: 4
; NumVGPRsForWavesPerEU: 1
; AccumOffset: 4
; Occupancy: 8
; WaveLimiterHint : 0
; COMPUTE_PGM_RSRC2:SCRATCH_EN: 0
; COMPUTE_PGM_RSRC2:USER_SGPR: 6
; COMPUTE_PGM_RSRC2:TRAP_HANDLER: 0
; COMPUTE_PGM_RSRC2:TGID_X_EN: 1
; COMPUTE_PGM_RSRC2:TGID_Y_EN: 0
; COMPUTE_PGM_RSRC2:TGID_Z_EN: 0
; COMPUTE_PGM_RSRC2:TIDIG_COMP_CNT: 0
; COMPUTE_PGM_RSRC3_GFX90A:ACCUM_OFFSET: 0
; COMPUTE_PGM_RSRC3_GFX90A:TG_SPLIT: 0
	.section	.text._ZN7rocprim17ROCPRIM_400000_NS6detail17trampoline_kernelINS0_14default_configENS1_22reduce_config_selectorIN6thrust23THRUST_200600_302600_NS5tupleIblNS6_9null_typeES8_S8_S8_S8_S8_S8_S8_EEEEZNS1_11reduce_implILb1ES3_NS6_12zip_iteratorINS7_INS6_11hip_rocprim26transform_input_iterator_tIbPfNS6_6detail10functional5actorINSH_9compositeIJNSH_27transparent_binary_operatorINS6_8equal_toIvEEEENSI_INSH_8argumentILj0EEEEENSH_5valueIfEEEEEEEEENSD_19counting_iterator_tIlEES8_S8_S8_S8_S8_S8_S8_S8_EEEEPS9_S9_NSD_9__find_if7functorIS9_EEEE10hipError_tPvRmT1_T2_T3_mT4_P12ihipStream_tbEUlT_E0_NS1_11comp_targetILNS1_3genE10ELNS1_11target_archE1200ELNS1_3gpuE4ELNS1_3repE0EEENS1_30default_config_static_selectorELNS0_4arch9wavefront6targetE1EEEvS17_,"axG",@progbits,_ZN7rocprim17ROCPRIM_400000_NS6detail17trampoline_kernelINS0_14default_configENS1_22reduce_config_selectorIN6thrust23THRUST_200600_302600_NS5tupleIblNS6_9null_typeES8_S8_S8_S8_S8_S8_S8_EEEEZNS1_11reduce_implILb1ES3_NS6_12zip_iteratorINS7_INS6_11hip_rocprim26transform_input_iterator_tIbPfNS6_6detail10functional5actorINSH_9compositeIJNSH_27transparent_binary_operatorINS6_8equal_toIvEEEENSI_INSH_8argumentILj0EEEEENSH_5valueIfEEEEEEEEENSD_19counting_iterator_tIlEES8_S8_S8_S8_S8_S8_S8_S8_EEEEPS9_S9_NSD_9__find_if7functorIS9_EEEE10hipError_tPvRmT1_T2_T3_mT4_P12ihipStream_tbEUlT_E0_NS1_11comp_targetILNS1_3genE10ELNS1_11target_archE1200ELNS1_3gpuE4ELNS1_3repE0EEENS1_30default_config_static_selectorELNS0_4arch9wavefront6targetE1EEEvS17_,comdat
	.protected	_ZN7rocprim17ROCPRIM_400000_NS6detail17trampoline_kernelINS0_14default_configENS1_22reduce_config_selectorIN6thrust23THRUST_200600_302600_NS5tupleIblNS6_9null_typeES8_S8_S8_S8_S8_S8_S8_EEEEZNS1_11reduce_implILb1ES3_NS6_12zip_iteratorINS7_INS6_11hip_rocprim26transform_input_iterator_tIbPfNS6_6detail10functional5actorINSH_9compositeIJNSH_27transparent_binary_operatorINS6_8equal_toIvEEEENSI_INSH_8argumentILj0EEEEENSH_5valueIfEEEEEEEEENSD_19counting_iterator_tIlEES8_S8_S8_S8_S8_S8_S8_S8_EEEEPS9_S9_NSD_9__find_if7functorIS9_EEEE10hipError_tPvRmT1_T2_T3_mT4_P12ihipStream_tbEUlT_E0_NS1_11comp_targetILNS1_3genE10ELNS1_11target_archE1200ELNS1_3gpuE4ELNS1_3repE0EEENS1_30default_config_static_selectorELNS0_4arch9wavefront6targetE1EEEvS17_ ; -- Begin function _ZN7rocprim17ROCPRIM_400000_NS6detail17trampoline_kernelINS0_14default_configENS1_22reduce_config_selectorIN6thrust23THRUST_200600_302600_NS5tupleIblNS6_9null_typeES8_S8_S8_S8_S8_S8_S8_EEEEZNS1_11reduce_implILb1ES3_NS6_12zip_iteratorINS7_INS6_11hip_rocprim26transform_input_iterator_tIbPfNS6_6detail10functional5actorINSH_9compositeIJNSH_27transparent_binary_operatorINS6_8equal_toIvEEEENSI_INSH_8argumentILj0EEEEENSH_5valueIfEEEEEEEEENSD_19counting_iterator_tIlEES8_S8_S8_S8_S8_S8_S8_S8_EEEEPS9_S9_NSD_9__find_if7functorIS9_EEEE10hipError_tPvRmT1_T2_T3_mT4_P12ihipStream_tbEUlT_E0_NS1_11comp_targetILNS1_3genE10ELNS1_11target_archE1200ELNS1_3gpuE4ELNS1_3repE0EEENS1_30default_config_static_selectorELNS0_4arch9wavefront6targetE1EEEvS17_
	.globl	_ZN7rocprim17ROCPRIM_400000_NS6detail17trampoline_kernelINS0_14default_configENS1_22reduce_config_selectorIN6thrust23THRUST_200600_302600_NS5tupleIblNS6_9null_typeES8_S8_S8_S8_S8_S8_S8_EEEEZNS1_11reduce_implILb1ES3_NS6_12zip_iteratorINS7_INS6_11hip_rocprim26transform_input_iterator_tIbPfNS6_6detail10functional5actorINSH_9compositeIJNSH_27transparent_binary_operatorINS6_8equal_toIvEEEENSI_INSH_8argumentILj0EEEEENSH_5valueIfEEEEEEEEENSD_19counting_iterator_tIlEES8_S8_S8_S8_S8_S8_S8_S8_EEEEPS9_S9_NSD_9__find_if7functorIS9_EEEE10hipError_tPvRmT1_T2_T3_mT4_P12ihipStream_tbEUlT_E0_NS1_11comp_targetILNS1_3genE10ELNS1_11target_archE1200ELNS1_3gpuE4ELNS1_3repE0EEENS1_30default_config_static_selectorELNS0_4arch9wavefront6targetE1EEEvS17_
	.p2align	8
	.type	_ZN7rocprim17ROCPRIM_400000_NS6detail17trampoline_kernelINS0_14default_configENS1_22reduce_config_selectorIN6thrust23THRUST_200600_302600_NS5tupleIblNS6_9null_typeES8_S8_S8_S8_S8_S8_S8_EEEEZNS1_11reduce_implILb1ES3_NS6_12zip_iteratorINS7_INS6_11hip_rocprim26transform_input_iterator_tIbPfNS6_6detail10functional5actorINSH_9compositeIJNSH_27transparent_binary_operatorINS6_8equal_toIvEEEENSI_INSH_8argumentILj0EEEEENSH_5valueIfEEEEEEEEENSD_19counting_iterator_tIlEES8_S8_S8_S8_S8_S8_S8_S8_EEEEPS9_S9_NSD_9__find_if7functorIS9_EEEE10hipError_tPvRmT1_T2_T3_mT4_P12ihipStream_tbEUlT_E0_NS1_11comp_targetILNS1_3genE10ELNS1_11target_archE1200ELNS1_3gpuE4ELNS1_3repE0EEENS1_30default_config_static_selectorELNS0_4arch9wavefront6targetE1EEEvS17_,@function
_ZN7rocprim17ROCPRIM_400000_NS6detail17trampoline_kernelINS0_14default_configENS1_22reduce_config_selectorIN6thrust23THRUST_200600_302600_NS5tupleIblNS6_9null_typeES8_S8_S8_S8_S8_S8_S8_EEEEZNS1_11reduce_implILb1ES3_NS6_12zip_iteratorINS7_INS6_11hip_rocprim26transform_input_iterator_tIbPfNS6_6detail10functional5actorINSH_9compositeIJNSH_27transparent_binary_operatorINS6_8equal_toIvEEEENSI_INSH_8argumentILj0EEEEENSH_5valueIfEEEEEEEEENSD_19counting_iterator_tIlEES8_S8_S8_S8_S8_S8_S8_S8_EEEEPS9_S9_NSD_9__find_if7functorIS9_EEEE10hipError_tPvRmT1_T2_T3_mT4_P12ihipStream_tbEUlT_E0_NS1_11comp_targetILNS1_3genE10ELNS1_11target_archE1200ELNS1_3gpuE4ELNS1_3repE0EEENS1_30default_config_static_selectorELNS0_4arch9wavefront6targetE1EEEvS17_: ; @_ZN7rocprim17ROCPRIM_400000_NS6detail17trampoline_kernelINS0_14default_configENS1_22reduce_config_selectorIN6thrust23THRUST_200600_302600_NS5tupleIblNS6_9null_typeES8_S8_S8_S8_S8_S8_S8_EEEEZNS1_11reduce_implILb1ES3_NS6_12zip_iteratorINS7_INS6_11hip_rocprim26transform_input_iterator_tIbPfNS6_6detail10functional5actorINSH_9compositeIJNSH_27transparent_binary_operatorINS6_8equal_toIvEEEENSI_INSH_8argumentILj0EEEEENSH_5valueIfEEEEEEEEENSD_19counting_iterator_tIlEES8_S8_S8_S8_S8_S8_S8_S8_EEEEPS9_S9_NSD_9__find_if7functorIS9_EEEE10hipError_tPvRmT1_T2_T3_mT4_P12ihipStream_tbEUlT_E0_NS1_11comp_targetILNS1_3genE10ELNS1_11target_archE1200ELNS1_3gpuE4ELNS1_3repE0EEENS1_30default_config_static_selectorELNS0_4arch9wavefront6targetE1EEEvS17_
; %bb.0:
	.section	.rodata,"a",@progbits
	.p2align	6, 0x0
	.amdhsa_kernel _ZN7rocprim17ROCPRIM_400000_NS6detail17trampoline_kernelINS0_14default_configENS1_22reduce_config_selectorIN6thrust23THRUST_200600_302600_NS5tupleIblNS6_9null_typeES8_S8_S8_S8_S8_S8_S8_EEEEZNS1_11reduce_implILb1ES3_NS6_12zip_iteratorINS7_INS6_11hip_rocprim26transform_input_iterator_tIbPfNS6_6detail10functional5actorINSH_9compositeIJNSH_27transparent_binary_operatorINS6_8equal_toIvEEEENSI_INSH_8argumentILj0EEEEENSH_5valueIfEEEEEEEEENSD_19counting_iterator_tIlEES8_S8_S8_S8_S8_S8_S8_S8_EEEEPS9_S9_NSD_9__find_if7functorIS9_EEEE10hipError_tPvRmT1_T2_T3_mT4_P12ihipStream_tbEUlT_E0_NS1_11comp_targetILNS1_3genE10ELNS1_11target_archE1200ELNS1_3gpuE4ELNS1_3repE0EEENS1_30default_config_static_selectorELNS0_4arch9wavefront6targetE1EEEvS17_
		.amdhsa_group_segment_fixed_size 0
		.amdhsa_private_segment_fixed_size 0
		.amdhsa_kernarg_size 88
		.amdhsa_user_sgpr_count 6
		.amdhsa_user_sgpr_private_segment_buffer 1
		.amdhsa_user_sgpr_dispatch_ptr 0
		.amdhsa_user_sgpr_queue_ptr 0
		.amdhsa_user_sgpr_kernarg_segment_ptr 1
		.amdhsa_user_sgpr_dispatch_id 0
		.amdhsa_user_sgpr_flat_scratch_init 0
		.amdhsa_user_sgpr_kernarg_preload_length 0
		.amdhsa_user_sgpr_kernarg_preload_offset 0
		.amdhsa_user_sgpr_private_segment_size 0
		.amdhsa_uses_dynamic_stack 0
		.amdhsa_system_sgpr_private_segment_wavefront_offset 0
		.amdhsa_system_sgpr_workgroup_id_x 1
		.amdhsa_system_sgpr_workgroup_id_y 0
		.amdhsa_system_sgpr_workgroup_id_z 0
		.amdhsa_system_sgpr_workgroup_info 0
		.amdhsa_system_vgpr_workitem_id 0
		.amdhsa_next_free_vgpr 1
		.amdhsa_next_free_sgpr 0
		.amdhsa_accum_offset 4
		.amdhsa_reserve_vcc 0
		.amdhsa_reserve_flat_scratch 0
		.amdhsa_float_round_mode_32 0
		.amdhsa_float_round_mode_16_64 0
		.amdhsa_float_denorm_mode_32 3
		.amdhsa_float_denorm_mode_16_64 3
		.amdhsa_dx10_clamp 1
		.amdhsa_ieee_mode 1
		.amdhsa_fp16_overflow 0
		.amdhsa_tg_split 0
		.amdhsa_exception_fp_ieee_invalid_op 0
		.amdhsa_exception_fp_denorm_src 0
		.amdhsa_exception_fp_ieee_div_zero 0
		.amdhsa_exception_fp_ieee_overflow 0
		.amdhsa_exception_fp_ieee_underflow 0
		.amdhsa_exception_fp_ieee_inexact 0
		.amdhsa_exception_int_div_zero 0
	.end_amdhsa_kernel
	.section	.text._ZN7rocprim17ROCPRIM_400000_NS6detail17trampoline_kernelINS0_14default_configENS1_22reduce_config_selectorIN6thrust23THRUST_200600_302600_NS5tupleIblNS6_9null_typeES8_S8_S8_S8_S8_S8_S8_EEEEZNS1_11reduce_implILb1ES3_NS6_12zip_iteratorINS7_INS6_11hip_rocprim26transform_input_iterator_tIbPfNS6_6detail10functional5actorINSH_9compositeIJNSH_27transparent_binary_operatorINS6_8equal_toIvEEEENSI_INSH_8argumentILj0EEEEENSH_5valueIfEEEEEEEEENSD_19counting_iterator_tIlEES8_S8_S8_S8_S8_S8_S8_S8_EEEEPS9_S9_NSD_9__find_if7functorIS9_EEEE10hipError_tPvRmT1_T2_T3_mT4_P12ihipStream_tbEUlT_E0_NS1_11comp_targetILNS1_3genE10ELNS1_11target_archE1200ELNS1_3gpuE4ELNS1_3repE0EEENS1_30default_config_static_selectorELNS0_4arch9wavefront6targetE1EEEvS17_,"axG",@progbits,_ZN7rocprim17ROCPRIM_400000_NS6detail17trampoline_kernelINS0_14default_configENS1_22reduce_config_selectorIN6thrust23THRUST_200600_302600_NS5tupleIblNS6_9null_typeES8_S8_S8_S8_S8_S8_S8_EEEEZNS1_11reduce_implILb1ES3_NS6_12zip_iteratorINS7_INS6_11hip_rocprim26transform_input_iterator_tIbPfNS6_6detail10functional5actorINSH_9compositeIJNSH_27transparent_binary_operatorINS6_8equal_toIvEEEENSI_INSH_8argumentILj0EEEEENSH_5valueIfEEEEEEEEENSD_19counting_iterator_tIlEES8_S8_S8_S8_S8_S8_S8_S8_EEEEPS9_S9_NSD_9__find_if7functorIS9_EEEE10hipError_tPvRmT1_T2_T3_mT4_P12ihipStream_tbEUlT_E0_NS1_11comp_targetILNS1_3genE10ELNS1_11target_archE1200ELNS1_3gpuE4ELNS1_3repE0EEENS1_30default_config_static_selectorELNS0_4arch9wavefront6targetE1EEEvS17_,comdat
.Lfunc_end1948:
	.size	_ZN7rocprim17ROCPRIM_400000_NS6detail17trampoline_kernelINS0_14default_configENS1_22reduce_config_selectorIN6thrust23THRUST_200600_302600_NS5tupleIblNS6_9null_typeES8_S8_S8_S8_S8_S8_S8_EEEEZNS1_11reduce_implILb1ES3_NS6_12zip_iteratorINS7_INS6_11hip_rocprim26transform_input_iterator_tIbPfNS6_6detail10functional5actorINSH_9compositeIJNSH_27transparent_binary_operatorINS6_8equal_toIvEEEENSI_INSH_8argumentILj0EEEEENSH_5valueIfEEEEEEEEENSD_19counting_iterator_tIlEES8_S8_S8_S8_S8_S8_S8_S8_EEEEPS9_S9_NSD_9__find_if7functorIS9_EEEE10hipError_tPvRmT1_T2_T3_mT4_P12ihipStream_tbEUlT_E0_NS1_11comp_targetILNS1_3genE10ELNS1_11target_archE1200ELNS1_3gpuE4ELNS1_3repE0EEENS1_30default_config_static_selectorELNS0_4arch9wavefront6targetE1EEEvS17_, .Lfunc_end1948-_ZN7rocprim17ROCPRIM_400000_NS6detail17trampoline_kernelINS0_14default_configENS1_22reduce_config_selectorIN6thrust23THRUST_200600_302600_NS5tupleIblNS6_9null_typeES8_S8_S8_S8_S8_S8_S8_EEEEZNS1_11reduce_implILb1ES3_NS6_12zip_iteratorINS7_INS6_11hip_rocprim26transform_input_iterator_tIbPfNS6_6detail10functional5actorINSH_9compositeIJNSH_27transparent_binary_operatorINS6_8equal_toIvEEEENSI_INSH_8argumentILj0EEEEENSH_5valueIfEEEEEEEEENSD_19counting_iterator_tIlEES8_S8_S8_S8_S8_S8_S8_S8_EEEEPS9_S9_NSD_9__find_if7functorIS9_EEEE10hipError_tPvRmT1_T2_T3_mT4_P12ihipStream_tbEUlT_E0_NS1_11comp_targetILNS1_3genE10ELNS1_11target_archE1200ELNS1_3gpuE4ELNS1_3repE0EEENS1_30default_config_static_selectorELNS0_4arch9wavefront6targetE1EEEvS17_
                                        ; -- End function
	.section	.AMDGPU.csdata,"",@progbits
; Kernel info:
; codeLenInByte = 0
; NumSgprs: 4
; NumVgprs: 0
; NumAgprs: 0
; TotalNumVgprs: 0
; ScratchSize: 0
; MemoryBound: 0
; FloatMode: 240
; IeeeMode: 1
; LDSByteSize: 0 bytes/workgroup (compile time only)
; SGPRBlocks: 0
; VGPRBlocks: 0
; NumSGPRsForWavesPerEU: 4
; NumVGPRsForWavesPerEU: 1
; AccumOffset: 4
; Occupancy: 8
; WaveLimiterHint : 0
; COMPUTE_PGM_RSRC2:SCRATCH_EN: 0
; COMPUTE_PGM_RSRC2:USER_SGPR: 6
; COMPUTE_PGM_RSRC2:TRAP_HANDLER: 0
; COMPUTE_PGM_RSRC2:TGID_X_EN: 1
; COMPUTE_PGM_RSRC2:TGID_Y_EN: 0
; COMPUTE_PGM_RSRC2:TGID_Z_EN: 0
; COMPUTE_PGM_RSRC2:TIDIG_COMP_CNT: 0
; COMPUTE_PGM_RSRC3_GFX90A:ACCUM_OFFSET: 0
; COMPUTE_PGM_RSRC3_GFX90A:TG_SPLIT: 0
	.section	.text._ZN7rocprim17ROCPRIM_400000_NS6detail17trampoline_kernelINS0_14default_configENS1_22reduce_config_selectorIN6thrust23THRUST_200600_302600_NS5tupleIblNS6_9null_typeES8_S8_S8_S8_S8_S8_S8_EEEEZNS1_11reduce_implILb1ES3_NS6_12zip_iteratorINS7_INS6_11hip_rocprim26transform_input_iterator_tIbPfNS6_6detail10functional5actorINSH_9compositeIJNSH_27transparent_binary_operatorINS6_8equal_toIvEEEENSI_INSH_8argumentILj0EEEEENSH_5valueIfEEEEEEEEENSD_19counting_iterator_tIlEES8_S8_S8_S8_S8_S8_S8_S8_EEEEPS9_S9_NSD_9__find_if7functorIS9_EEEE10hipError_tPvRmT1_T2_T3_mT4_P12ihipStream_tbEUlT_E0_NS1_11comp_targetILNS1_3genE9ELNS1_11target_archE1100ELNS1_3gpuE3ELNS1_3repE0EEENS1_30default_config_static_selectorELNS0_4arch9wavefront6targetE1EEEvS17_,"axG",@progbits,_ZN7rocprim17ROCPRIM_400000_NS6detail17trampoline_kernelINS0_14default_configENS1_22reduce_config_selectorIN6thrust23THRUST_200600_302600_NS5tupleIblNS6_9null_typeES8_S8_S8_S8_S8_S8_S8_EEEEZNS1_11reduce_implILb1ES3_NS6_12zip_iteratorINS7_INS6_11hip_rocprim26transform_input_iterator_tIbPfNS6_6detail10functional5actorINSH_9compositeIJNSH_27transparent_binary_operatorINS6_8equal_toIvEEEENSI_INSH_8argumentILj0EEEEENSH_5valueIfEEEEEEEEENSD_19counting_iterator_tIlEES8_S8_S8_S8_S8_S8_S8_S8_EEEEPS9_S9_NSD_9__find_if7functorIS9_EEEE10hipError_tPvRmT1_T2_T3_mT4_P12ihipStream_tbEUlT_E0_NS1_11comp_targetILNS1_3genE9ELNS1_11target_archE1100ELNS1_3gpuE3ELNS1_3repE0EEENS1_30default_config_static_selectorELNS0_4arch9wavefront6targetE1EEEvS17_,comdat
	.protected	_ZN7rocprim17ROCPRIM_400000_NS6detail17trampoline_kernelINS0_14default_configENS1_22reduce_config_selectorIN6thrust23THRUST_200600_302600_NS5tupleIblNS6_9null_typeES8_S8_S8_S8_S8_S8_S8_EEEEZNS1_11reduce_implILb1ES3_NS6_12zip_iteratorINS7_INS6_11hip_rocprim26transform_input_iterator_tIbPfNS6_6detail10functional5actorINSH_9compositeIJNSH_27transparent_binary_operatorINS6_8equal_toIvEEEENSI_INSH_8argumentILj0EEEEENSH_5valueIfEEEEEEEEENSD_19counting_iterator_tIlEES8_S8_S8_S8_S8_S8_S8_S8_EEEEPS9_S9_NSD_9__find_if7functorIS9_EEEE10hipError_tPvRmT1_T2_T3_mT4_P12ihipStream_tbEUlT_E0_NS1_11comp_targetILNS1_3genE9ELNS1_11target_archE1100ELNS1_3gpuE3ELNS1_3repE0EEENS1_30default_config_static_selectorELNS0_4arch9wavefront6targetE1EEEvS17_ ; -- Begin function _ZN7rocprim17ROCPRIM_400000_NS6detail17trampoline_kernelINS0_14default_configENS1_22reduce_config_selectorIN6thrust23THRUST_200600_302600_NS5tupleIblNS6_9null_typeES8_S8_S8_S8_S8_S8_S8_EEEEZNS1_11reduce_implILb1ES3_NS6_12zip_iteratorINS7_INS6_11hip_rocprim26transform_input_iterator_tIbPfNS6_6detail10functional5actorINSH_9compositeIJNSH_27transparent_binary_operatorINS6_8equal_toIvEEEENSI_INSH_8argumentILj0EEEEENSH_5valueIfEEEEEEEEENSD_19counting_iterator_tIlEES8_S8_S8_S8_S8_S8_S8_S8_EEEEPS9_S9_NSD_9__find_if7functorIS9_EEEE10hipError_tPvRmT1_T2_T3_mT4_P12ihipStream_tbEUlT_E0_NS1_11comp_targetILNS1_3genE9ELNS1_11target_archE1100ELNS1_3gpuE3ELNS1_3repE0EEENS1_30default_config_static_selectorELNS0_4arch9wavefront6targetE1EEEvS17_
	.globl	_ZN7rocprim17ROCPRIM_400000_NS6detail17trampoline_kernelINS0_14default_configENS1_22reduce_config_selectorIN6thrust23THRUST_200600_302600_NS5tupleIblNS6_9null_typeES8_S8_S8_S8_S8_S8_S8_EEEEZNS1_11reduce_implILb1ES3_NS6_12zip_iteratorINS7_INS6_11hip_rocprim26transform_input_iterator_tIbPfNS6_6detail10functional5actorINSH_9compositeIJNSH_27transparent_binary_operatorINS6_8equal_toIvEEEENSI_INSH_8argumentILj0EEEEENSH_5valueIfEEEEEEEEENSD_19counting_iterator_tIlEES8_S8_S8_S8_S8_S8_S8_S8_EEEEPS9_S9_NSD_9__find_if7functorIS9_EEEE10hipError_tPvRmT1_T2_T3_mT4_P12ihipStream_tbEUlT_E0_NS1_11comp_targetILNS1_3genE9ELNS1_11target_archE1100ELNS1_3gpuE3ELNS1_3repE0EEENS1_30default_config_static_selectorELNS0_4arch9wavefront6targetE1EEEvS17_
	.p2align	8
	.type	_ZN7rocprim17ROCPRIM_400000_NS6detail17trampoline_kernelINS0_14default_configENS1_22reduce_config_selectorIN6thrust23THRUST_200600_302600_NS5tupleIblNS6_9null_typeES8_S8_S8_S8_S8_S8_S8_EEEEZNS1_11reduce_implILb1ES3_NS6_12zip_iteratorINS7_INS6_11hip_rocprim26transform_input_iterator_tIbPfNS6_6detail10functional5actorINSH_9compositeIJNSH_27transparent_binary_operatorINS6_8equal_toIvEEEENSI_INSH_8argumentILj0EEEEENSH_5valueIfEEEEEEEEENSD_19counting_iterator_tIlEES8_S8_S8_S8_S8_S8_S8_S8_EEEEPS9_S9_NSD_9__find_if7functorIS9_EEEE10hipError_tPvRmT1_T2_T3_mT4_P12ihipStream_tbEUlT_E0_NS1_11comp_targetILNS1_3genE9ELNS1_11target_archE1100ELNS1_3gpuE3ELNS1_3repE0EEENS1_30default_config_static_selectorELNS0_4arch9wavefront6targetE1EEEvS17_,@function
_ZN7rocprim17ROCPRIM_400000_NS6detail17trampoline_kernelINS0_14default_configENS1_22reduce_config_selectorIN6thrust23THRUST_200600_302600_NS5tupleIblNS6_9null_typeES8_S8_S8_S8_S8_S8_S8_EEEEZNS1_11reduce_implILb1ES3_NS6_12zip_iteratorINS7_INS6_11hip_rocprim26transform_input_iterator_tIbPfNS6_6detail10functional5actorINSH_9compositeIJNSH_27transparent_binary_operatorINS6_8equal_toIvEEEENSI_INSH_8argumentILj0EEEEENSH_5valueIfEEEEEEEEENSD_19counting_iterator_tIlEES8_S8_S8_S8_S8_S8_S8_S8_EEEEPS9_S9_NSD_9__find_if7functorIS9_EEEE10hipError_tPvRmT1_T2_T3_mT4_P12ihipStream_tbEUlT_E0_NS1_11comp_targetILNS1_3genE9ELNS1_11target_archE1100ELNS1_3gpuE3ELNS1_3repE0EEENS1_30default_config_static_selectorELNS0_4arch9wavefront6targetE1EEEvS17_: ; @_ZN7rocprim17ROCPRIM_400000_NS6detail17trampoline_kernelINS0_14default_configENS1_22reduce_config_selectorIN6thrust23THRUST_200600_302600_NS5tupleIblNS6_9null_typeES8_S8_S8_S8_S8_S8_S8_EEEEZNS1_11reduce_implILb1ES3_NS6_12zip_iteratorINS7_INS6_11hip_rocprim26transform_input_iterator_tIbPfNS6_6detail10functional5actorINSH_9compositeIJNSH_27transparent_binary_operatorINS6_8equal_toIvEEEENSI_INSH_8argumentILj0EEEEENSH_5valueIfEEEEEEEEENSD_19counting_iterator_tIlEES8_S8_S8_S8_S8_S8_S8_S8_EEEEPS9_S9_NSD_9__find_if7functorIS9_EEEE10hipError_tPvRmT1_T2_T3_mT4_P12ihipStream_tbEUlT_E0_NS1_11comp_targetILNS1_3genE9ELNS1_11target_archE1100ELNS1_3gpuE3ELNS1_3repE0EEENS1_30default_config_static_selectorELNS0_4arch9wavefront6targetE1EEEvS17_
; %bb.0:
	.section	.rodata,"a",@progbits
	.p2align	6, 0x0
	.amdhsa_kernel _ZN7rocprim17ROCPRIM_400000_NS6detail17trampoline_kernelINS0_14default_configENS1_22reduce_config_selectorIN6thrust23THRUST_200600_302600_NS5tupleIblNS6_9null_typeES8_S8_S8_S8_S8_S8_S8_EEEEZNS1_11reduce_implILb1ES3_NS6_12zip_iteratorINS7_INS6_11hip_rocprim26transform_input_iterator_tIbPfNS6_6detail10functional5actorINSH_9compositeIJNSH_27transparent_binary_operatorINS6_8equal_toIvEEEENSI_INSH_8argumentILj0EEEEENSH_5valueIfEEEEEEEEENSD_19counting_iterator_tIlEES8_S8_S8_S8_S8_S8_S8_S8_EEEEPS9_S9_NSD_9__find_if7functorIS9_EEEE10hipError_tPvRmT1_T2_T3_mT4_P12ihipStream_tbEUlT_E0_NS1_11comp_targetILNS1_3genE9ELNS1_11target_archE1100ELNS1_3gpuE3ELNS1_3repE0EEENS1_30default_config_static_selectorELNS0_4arch9wavefront6targetE1EEEvS17_
		.amdhsa_group_segment_fixed_size 0
		.amdhsa_private_segment_fixed_size 0
		.amdhsa_kernarg_size 88
		.amdhsa_user_sgpr_count 6
		.amdhsa_user_sgpr_private_segment_buffer 1
		.amdhsa_user_sgpr_dispatch_ptr 0
		.amdhsa_user_sgpr_queue_ptr 0
		.amdhsa_user_sgpr_kernarg_segment_ptr 1
		.amdhsa_user_sgpr_dispatch_id 0
		.amdhsa_user_sgpr_flat_scratch_init 0
		.amdhsa_user_sgpr_kernarg_preload_length 0
		.amdhsa_user_sgpr_kernarg_preload_offset 0
		.amdhsa_user_sgpr_private_segment_size 0
		.amdhsa_uses_dynamic_stack 0
		.amdhsa_system_sgpr_private_segment_wavefront_offset 0
		.amdhsa_system_sgpr_workgroup_id_x 1
		.amdhsa_system_sgpr_workgroup_id_y 0
		.amdhsa_system_sgpr_workgroup_id_z 0
		.amdhsa_system_sgpr_workgroup_info 0
		.amdhsa_system_vgpr_workitem_id 0
		.amdhsa_next_free_vgpr 1
		.amdhsa_next_free_sgpr 0
		.amdhsa_accum_offset 4
		.amdhsa_reserve_vcc 0
		.amdhsa_reserve_flat_scratch 0
		.amdhsa_float_round_mode_32 0
		.amdhsa_float_round_mode_16_64 0
		.amdhsa_float_denorm_mode_32 3
		.amdhsa_float_denorm_mode_16_64 3
		.amdhsa_dx10_clamp 1
		.amdhsa_ieee_mode 1
		.amdhsa_fp16_overflow 0
		.amdhsa_tg_split 0
		.amdhsa_exception_fp_ieee_invalid_op 0
		.amdhsa_exception_fp_denorm_src 0
		.amdhsa_exception_fp_ieee_div_zero 0
		.amdhsa_exception_fp_ieee_overflow 0
		.amdhsa_exception_fp_ieee_underflow 0
		.amdhsa_exception_fp_ieee_inexact 0
		.amdhsa_exception_int_div_zero 0
	.end_amdhsa_kernel
	.section	.text._ZN7rocprim17ROCPRIM_400000_NS6detail17trampoline_kernelINS0_14default_configENS1_22reduce_config_selectorIN6thrust23THRUST_200600_302600_NS5tupleIblNS6_9null_typeES8_S8_S8_S8_S8_S8_S8_EEEEZNS1_11reduce_implILb1ES3_NS6_12zip_iteratorINS7_INS6_11hip_rocprim26transform_input_iterator_tIbPfNS6_6detail10functional5actorINSH_9compositeIJNSH_27transparent_binary_operatorINS6_8equal_toIvEEEENSI_INSH_8argumentILj0EEEEENSH_5valueIfEEEEEEEEENSD_19counting_iterator_tIlEES8_S8_S8_S8_S8_S8_S8_S8_EEEEPS9_S9_NSD_9__find_if7functorIS9_EEEE10hipError_tPvRmT1_T2_T3_mT4_P12ihipStream_tbEUlT_E0_NS1_11comp_targetILNS1_3genE9ELNS1_11target_archE1100ELNS1_3gpuE3ELNS1_3repE0EEENS1_30default_config_static_selectorELNS0_4arch9wavefront6targetE1EEEvS17_,"axG",@progbits,_ZN7rocprim17ROCPRIM_400000_NS6detail17trampoline_kernelINS0_14default_configENS1_22reduce_config_selectorIN6thrust23THRUST_200600_302600_NS5tupleIblNS6_9null_typeES8_S8_S8_S8_S8_S8_S8_EEEEZNS1_11reduce_implILb1ES3_NS6_12zip_iteratorINS7_INS6_11hip_rocprim26transform_input_iterator_tIbPfNS6_6detail10functional5actorINSH_9compositeIJNSH_27transparent_binary_operatorINS6_8equal_toIvEEEENSI_INSH_8argumentILj0EEEEENSH_5valueIfEEEEEEEEENSD_19counting_iterator_tIlEES8_S8_S8_S8_S8_S8_S8_S8_EEEEPS9_S9_NSD_9__find_if7functorIS9_EEEE10hipError_tPvRmT1_T2_T3_mT4_P12ihipStream_tbEUlT_E0_NS1_11comp_targetILNS1_3genE9ELNS1_11target_archE1100ELNS1_3gpuE3ELNS1_3repE0EEENS1_30default_config_static_selectorELNS0_4arch9wavefront6targetE1EEEvS17_,comdat
.Lfunc_end1949:
	.size	_ZN7rocprim17ROCPRIM_400000_NS6detail17trampoline_kernelINS0_14default_configENS1_22reduce_config_selectorIN6thrust23THRUST_200600_302600_NS5tupleIblNS6_9null_typeES8_S8_S8_S8_S8_S8_S8_EEEEZNS1_11reduce_implILb1ES3_NS6_12zip_iteratorINS7_INS6_11hip_rocprim26transform_input_iterator_tIbPfNS6_6detail10functional5actorINSH_9compositeIJNSH_27transparent_binary_operatorINS6_8equal_toIvEEEENSI_INSH_8argumentILj0EEEEENSH_5valueIfEEEEEEEEENSD_19counting_iterator_tIlEES8_S8_S8_S8_S8_S8_S8_S8_EEEEPS9_S9_NSD_9__find_if7functorIS9_EEEE10hipError_tPvRmT1_T2_T3_mT4_P12ihipStream_tbEUlT_E0_NS1_11comp_targetILNS1_3genE9ELNS1_11target_archE1100ELNS1_3gpuE3ELNS1_3repE0EEENS1_30default_config_static_selectorELNS0_4arch9wavefront6targetE1EEEvS17_, .Lfunc_end1949-_ZN7rocprim17ROCPRIM_400000_NS6detail17trampoline_kernelINS0_14default_configENS1_22reduce_config_selectorIN6thrust23THRUST_200600_302600_NS5tupleIblNS6_9null_typeES8_S8_S8_S8_S8_S8_S8_EEEEZNS1_11reduce_implILb1ES3_NS6_12zip_iteratorINS7_INS6_11hip_rocprim26transform_input_iterator_tIbPfNS6_6detail10functional5actorINSH_9compositeIJNSH_27transparent_binary_operatorINS6_8equal_toIvEEEENSI_INSH_8argumentILj0EEEEENSH_5valueIfEEEEEEEEENSD_19counting_iterator_tIlEES8_S8_S8_S8_S8_S8_S8_S8_EEEEPS9_S9_NSD_9__find_if7functorIS9_EEEE10hipError_tPvRmT1_T2_T3_mT4_P12ihipStream_tbEUlT_E0_NS1_11comp_targetILNS1_3genE9ELNS1_11target_archE1100ELNS1_3gpuE3ELNS1_3repE0EEENS1_30default_config_static_selectorELNS0_4arch9wavefront6targetE1EEEvS17_
                                        ; -- End function
	.section	.AMDGPU.csdata,"",@progbits
; Kernel info:
; codeLenInByte = 0
; NumSgprs: 4
; NumVgprs: 0
; NumAgprs: 0
; TotalNumVgprs: 0
; ScratchSize: 0
; MemoryBound: 0
; FloatMode: 240
; IeeeMode: 1
; LDSByteSize: 0 bytes/workgroup (compile time only)
; SGPRBlocks: 0
; VGPRBlocks: 0
; NumSGPRsForWavesPerEU: 4
; NumVGPRsForWavesPerEU: 1
; AccumOffset: 4
; Occupancy: 8
; WaveLimiterHint : 0
; COMPUTE_PGM_RSRC2:SCRATCH_EN: 0
; COMPUTE_PGM_RSRC2:USER_SGPR: 6
; COMPUTE_PGM_RSRC2:TRAP_HANDLER: 0
; COMPUTE_PGM_RSRC2:TGID_X_EN: 1
; COMPUTE_PGM_RSRC2:TGID_Y_EN: 0
; COMPUTE_PGM_RSRC2:TGID_Z_EN: 0
; COMPUTE_PGM_RSRC2:TIDIG_COMP_CNT: 0
; COMPUTE_PGM_RSRC3_GFX90A:ACCUM_OFFSET: 0
; COMPUTE_PGM_RSRC3_GFX90A:TG_SPLIT: 0
	.section	.text._ZN7rocprim17ROCPRIM_400000_NS6detail17trampoline_kernelINS0_14default_configENS1_22reduce_config_selectorIN6thrust23THRUST_200600_302600_NS5tupleIblNS6_9null_typeES8_S8_S8_S8_S8_S8_S8_EEEEZNS1_11reduce_implILb1ES3_NS6_12zip_iteratorINS7_INS6_11hip_rocprim26transform_input_iterator_tIbPfNS6_6detail10functional5actorINSH_9compositeIJNSH_27transparent_binary_operatorINS6_8equal_toIvEEEENSI_INSH_8argumentILj0EEEEENSH_5valueIfEEEEEEEEENSD_19counting_iterator_tIlEES8_S8_S8_S8_S8_S8_S8_S8_EEEEPS9_S9_NSD_9__find_if7functorIS9_EEEE10hipError_tPvRmT1_T2_T3_mT4_P12ihipStream_tbEUlT_E0_NS1_11comp_targetILNS1_3genE8ELNS1_11target_archE1030ELNS1_3gpuE2ELNS1_3repE0EEENS1_30default_config_static_selectorELNS0_4arch9wavefront6targetE1EEEvS17_,"axG",@progbits,_ZN7rocprim17ROCPRIM_400000_NS6detail17trampoline_kernelINS0_14default_configENS1_22reduce_config_selectorIN6thrust23THRUST_200600_302600_NS5tupleIblNS6_9null_typeES8_S8_S8_S8_S8_S8_S8_EEEEZNS1_11reduce_implILb1ES3_NS6_12zip_iteratorINS7_INS6_11hip_rocprim26transform_input_iterator_tIbPfNS6_6detail10functional5actorINSH_9compositeIJNSH_27transparent_binary_operatorINS6_8equal_toIvEEEENSI_INSH_8argumentILj0EEEEENSH_5valueIfEEEEEEEEENSD_19counting_iterator_tIlEES8_S8_S8_S8_S8_S8_S8_S8_EEEEPS9_S9_NSD_9__find_if7functorIS9_EEEE10hipError_tPvRmT1_T2_T3_mT4_P12ihipStream_tbEUlT_E0_NS1_11comp_targetILNS1_3genE8ELNS1_11target_archE1030ELNS1_3gpuE2ELNS1_3repE0EEENS1_30default_config_static_selectorELNS0_4arch9wavefront6targetE1EEEvS17_,comdat
	.protected	_ZN7rocprim17ROCPRIM_400000_NS6detail17trampoline_kernelINS0_14default_configENS1_22reduce_config_selectorIN6thrust23THRUST_200600_302600_NS5tupleIblNS6_9null_typeES8_S8_S8_S8_S8_S8_S8_EEEEZNS1_11reduce_implILb1ES3_NS6_12zip_iteratorINS7_INS6_11hip_rocprim26transform_input_iterator_tIbPfNS6_6detail10functional5actorINSH_9compositeIJNSH_27transparent_binary_operatorINS6_8equal_toIvEEEENSI_INSH_8argumentILj0EEEEENSH_5valueIfEEEEEEEEENSD_19counting_iterator_tIlEES8_S8_S8_S8_S8_S8_S8_S8_EEEEPS9_S9_NSD_9__find_if7functorIS9_EEEE10hipError_tPvRmT1_T2_T3_mT4_P12ihipStream_tbEUlT_E0_NS1_11comp_targetILNS1_3genE8ELNS1_11target_archE1030ELNS1_3gpuE2ELNS1_3repE0EEENS1_30default_config_static_selectorELNS0_4arch9wavefront6targetE1EEEvS17_ ; -- Begin function _ZN7rocprim17ROCPRIM_400000_NS6detail17trampoline_kernelINS0_14default_configENS1_22reduce_config_selectorIN6thrust23THRUST_200600_302600_NS5tupleIblNS6_9null_typeES8_S8_S8_S8_S8_S8_S8_EEEEZNS1_11reduce_implILb1ES3_NS6_12zip_iteratorINS7_INS6_11hip_rocprim26transform_input_iterator_tIbPfNS6_6detail10functional5actorINSH_9compositeIJNSH_27transparent_binary_operatorINS6_8equal_toIvEEEENSI_INSH_8argumentILj0EEEEENSH_5valueIfEEEEEEEEENSD_19counting_iterator_tIlEES8_S8_S8_S8_S8_S8_S8_S8_EEEEPS9_S9_NSD_9__find_if7functorIS9_EEEE10hipError_tPvRmT1_T2_T3_mT4_P12ihipStream_tbEUlT_E0_NS1_11comp_targetILNS1_3genE8ELNS1_11target_archE1030ELNS1_3gpuE2ELNS1_3repE0EEENS1_30default_config_static_selectorELNS0_4arch9wavefront6targetE1EEEvS17_
	.globl	_ZN7rocprim17ROCPRIM_400000_NS6detail17trampoline_kernelINS0_14default_configENS1_22reduce_config_selectorIN6thrust23THRUST_200600_302600_NS5tupleIblNS6_9null_typeES8_S8_S8_S8_S8_S8_S8_EEEEZNS1_11reduce_implILb1ES3_NS6_12zip_iteratorINS7_INS6_11hip_rocprim26transform_input_iterator_tIbPfNS6_6detail10functional5actorINSH_9compositeIJNSH_27transparent_binary_operatorINS6_8equal_toIvEEEENSI_INSH_8argumentILj0EEEEENSH_5valueIfEEEEEEEEENSD_19counting_iterator_tIlEES8_S8_S8_S8_S8_S8_S8_S8_EEEEPS9_S9_NSD_9__find_if7functorIS9_EEEE10hipError_tPvRmT1_T2_T3_mT4_P12ihipStream_tbEUlT_E0_NS1_11comp_targetILNS1_3genE8ELNS1_11target_archE1030ELNS1_3gpuE2ELNS1_3repE0EEENS1_30default_config_static_selectorELNS0_4arch9wavefront6targetE1EEEvS17_
	.p2align	8
	.type	_ZN7rocprim17ROCPRIM_400000_NS6detail17trampoline_kernelINS0_14default_configENS1_22reduce_config_selectorIN6thrust23THRUST_200600_302600_NS5tupleIblNS6_9null_typeES8_S8_S8_S8_S8_S8_S8_EEEEZNS1_11reduce_implILb1ES3_NS6_12zip_iteratorINS7_INS6_11hip_rocprim26transform_input_iterator_tIbPfNS6_6detail10functional5actorINSH_9compositeIJNSH_27transparent_binary_operatorINS6_8equal_toIvEEEENSI_INSH_8argumentILj0EEEEENSH_5valueIfEEEEEEEEENSD_19counting_iterator_tIlEES8_S8_S8_S8_S8_S8_S8_S8_EEEEPS9_S9_NSD_9__find_if7functorIS9_EEEE10hipError_tPvRmT1_T2_T3_mT4_P12ihipStream_tbEUlT_E0_NS1_11comp_targetILNS1_3genE8ELNS1_11target_archE1030ELNS1_3gpuE2ELNS1_3repE0EEENS1_30default_config_static_selectorELNS0_4arch9wavefront6targetE1EEEvS17_,@function
_ZN7rocprim17ROCPRIM_400000_NS6detail17trampoline_kernelINS0_14default_configENS1_22reduce_config_selectorIN6thrust23THRUST_200600_302600_NS5tupleIblNS6_9null_typeES8_S8_S8_S8_S8_S8_S8_EEEEZNS1_11reduce_implILb1ES3_NS6_12zip_iteratorINS7_INS6_11hip_rocprim26transform_input_iterator_tIbPfNS6_6detail10functional5actorINSH_9compositeIJNSH_27transparent_binary_operatorINS6_8equal_toIvEEEENSI_INSH_8argumentILj0EEEEENSH_5valueIfEEEEEEEEENSD_19counting_iterator_tIlEES8_S8_S8_S8_S8_S8_S8_S8_EEEEPS9_S9_NSD_9__find_if7functorIS9_EEEE10hipError_tPvRmT1_T2_T3_mT4_P12ihipStream_tbEUlT_E0_NS1_11comp_targetILNS1_3genE8ELNS1_11target_archE1030ELNS1_3gpuE2ELNS1_3repE0EEENS1_30default_config_static_selectorELNS0_4arch9wavefront6targetE1EEEvS17_: ; @_ZN7rocprim17ROCPRIM_400000_NS6detail17trampoline_kernelINS0_14default_configENS1_22reduce_config_selectorIN6thrust23THRUST_200600_302600_NS5tupleIblNS6_9null_typeES8_S8_S8_S8_S8_S8_S8_EEEEZNS1_11reduce_implILb1ES3_NS6_12zip_iteratorINS7_INS6_11hip_rocprim26transform_input_iterator_tIbPfNS6_6detail10functional5actorINSH_9compositeIJNSH_27transparent_binary_operatorINS6_8equal_toIvEEEENSI_INSH_8argumentILj0EEEEENSH_5valueIfEEEEEEEEENSD_19counting_iterator_tIlEES8_S8_S8_S8_S8_S8_S8_S8_EEEEPS9_S9_NSD_9__find_if7functorIS9_EEEE10hipError_tPvRmT1_T2_T3_mT4_P12ihipStream_tbEUlT_E0_NS1_11comp_targetILNS1_3genE8ELNS1_11target_archE1030ELNS1_3gpuE2ELNS1_3repE0EEENS1_30default_config_static_selectorELNS0_4arch9wavefront6targetE1EEEvS17_
; %bb.0:
	.section	.rodata,"a",@progbits
	.p2align	6, 0x0
	.amdhsa_kernel _ZN7rocprim17ROCPRIM_400000_NS6detail17trampoline_kernelINS0_14default_configENS1_22reduce_config_selectorIN6thrust23THRUST_200600_302600_NS5tupleIblNS6_9null_typeES8_S8_S8_S8_S8_S8_S8_EEEEZNS1_11reduce_implILb1ES3_NS6_12zip_iteratorINS7_INS6_11hip_rocprim26transform_input_iterator_tIbPfNS6_6detail10functional5actorINSH_9compositeIJNSH_27transparent_binary_operatorINS6_8equal_toIvEEEENSI_INSH_8argumentILj0EEEEENSH_5valueIfEEEEEEEEENSD_19counting_iterator_tIlEES8_S8_S8_S8_S8_S8_S8_S8_EEEEPS9_S9_NSD_9__find_if7functorIS9_EEEE10hipError_tPvRmT1_T2_T3_mT4_P12ihipStream_tbEUlT_E0_NS1_11comp_targetILNS1_3genE8ELNS1_11target_archE1030ELNS1_3gpuE2ELNS1_3repE0EEENS1_30default_config_static_selectorELNS0_4arch9wavefront6targetE1EEEvS17_
		.amdhsa_group_segment_fixed_size 0
		.amdhsa_private_segment_fixed_size 0
		.amdhsa_kernarg_size 88
		.amdhsa_user_sgpr_count 6
		.amdhsa_user_sgpr_private_segment_buffer 1
		.amdhsa_user_sgpr_dispatch_ptr 0
		.amdhsa_user_sgpr_queue_ptr 0
		.amdhsa_user_sgpr_kernarg_segment_ptr 1
		.amdhsa_user_sgpr_dispatch_id 0
		.amdhsa_user_sgpr_flat_scratch_init 0
		.amdhsa_user_sgpr_kernarg_preload_length 0
		.amdhsa_user_sgpr_kernarg_preload_offset 0
		.amdhsa_user_sgpr_private_segment_size 0
		.amdhsa_uses_dynamic_stack 0
		.amdhsa_system_sgpr_private_segment_wavefront_offset 0
		.amdhsa_system_sgpr_workgroup_id_x 1
		.amdhsa_system_sgpr_workgroup_id_y 0
		.amdhsa_system_sgpr_workgroup_id_z 0
		.amdhsa_system_sgpr_workgroup_info 0
		.amdhsa_system_vgpr_workitem_id 0
		.amdhsa_next_free_vgpr 1
		.amdhsa_next_free_sgpr 0
		.amdhsa_accum_offset 4
		.amdhsa_reserve_vcc 0
		.amdhsa_reserve_flat_scratch 0
		.amdhsa_float_round_mode_32 0
		.amdhsa_float_round_mode_16_64 0
		.amdhsa_float_denorm_mode_32 3
		.amdhsa_float_denorm_mode_16_64 3
		.amdhsa_dx10_clamp 1
		.amdhsa_ieee_mode 1
		.amdhsa_fp16_overflow 0
		.amdhsa_tg_split 0
		.amdhsa_exception_fp_ieee_invalid_op 0
		.amdhsa_exception_fp_denorm_src 0
		.amdhsa_exception_fp_ieee_div_zero 0
		.amdhsa_exception_fp_ieee_overflow 0
		.amdhsa_exception_fp_ieee_underflow 0
		.amdhsa_exception_fp_ieee_inexact 0
		.amdhsa_exception_int_div_zero 0
	.end_amdhsa_kernel
	.section	.text._ZN7rocprim17ROCPRIM_400000_NS6detail17trampoline_kernelINS0_14default_configENS1_22reduce_config_selectorIN6thrust23THRUST_200600_302600_NS5tupleIblNS6_9null_typeES8_S8_S8_S8_S8_S8_S8_EEEEZNS1_11reduce_implILb1ES3_NS6_12zip_iteratorINS7_INS6_11hip_rocprim26transform_input_iterator_tIbPfNS6_6detail10functional5actorINSH_9compositeIJNSH_27transparent_binary_operatorINS6_8equal_toIvEEEENSI_INSH_8argumentILj0EEEEENSH_5valueIfEEEEEEEEENSD_19counting_iterator_tIlEES8_S8_S8_S8_S8_S8_S8_S8_EEEEPS9_S9_NSD_9__find_if7functorIS9_EEEE10hipError_tPvRmT1_T2_T3_mT4_P12ihipStream_tbEUlT_E0_NS1_11comp_targetILNS1_3genE8ELNS1_11target_archE1030ELNS1_3gpuE2ELNS1_3repE0EEENS1_30default_config_static_selectorELNS0_4arch9wavefront6targetE1EEEvS17_,"axG",@progbits,_ZN7rocprim17ROCPRIM_400000_NS6detail17trampoline_kernelINS0_14default_configENS1_22reduce_config_selectorIN6thrust23THRUST_200600_302600_NS5tupleIblNS6_9null_typeES8_S8_S8_S8_S8_S8_S8_EEEEZNS1_11reduce_implILb1ES3_NS6_12zip_iteratorINS7_INS6_11hip_rocprim26transform_input_iterator_tIbPfNS6_6detail10functional5actorINSH_9compositeIJNSH_27transparent_binary_operatorINS6_8equal_toIvEEEENSI_INSH_8argumentILj0EEEEENSH_5valueIfEEEEEEEEENSD_19counting_iterator_tIlEES8_S8_S8_S8_S8_S8_S8_S8_EEEEPS9_S9_NSD_9__find_if7functorIS9_EEEE10hipError_tPvRmT1_T2_T3_mT4_P12ihipStream_tbEUlT_E0_NS1_11comp_targetILNS1_3genE8ELNS1_11target_archE1030ELNS1_3gpuE2ELNS1_3repE0EEENS1_30default_config_static_selectorELNS0_4arch9wavefront6targetE1EEEvS17_,comdat
.Lfunc_end1950:
	.size	_ZN7rocprim17ROCPRIM_400000_NS6detail17trampoline_kernelINS0_14default_configENS1_22reduce_config_selectorIN6thrust23THRUST_200600_302600_NS5tupleIblNS6_9null_typeES8_S8_S8_S8_S8_S8_S8_EEEEZNS1_11reduce_implILb1ES3_NS6_12zip_iteratorINS7_INS6_11hip_rocprim26transform_input_iterator_tIbPfNS6_6detail10functional5actorINSH_9compositeIJNSH_27transparent_binary_operatorINS6_8equal_toIvEEEENSI_INSH_8argumentILj0EEEEENSH_5valueIfEEEEEEEEENSD_19counting_iterator_tIlEES8_S8_S8_S8_S8_S8_S8_S8_EEEEPS9_S9_NSD_9__find_if7functorIS9_EEEE10hipError_tPvRmT1_T2_T3_mT4_P12ihipStream_tbEUlT_E0_NS1_11comp_targetILNS1_3genE8ELNS1_11target_archE1030ELNS1_3gpuE2ELNS1_3repE0EEENS1_30default_config_static_selectorELNS0_4arch9wavefront6targetE1EEEvS17_, .Lfunc_end1950-_ZN7rocprim17ROCPRIM_400000_NS6detail17trampoline_kernelINS0_14default_configENS1_22reduce_config_selectorIN6thrust23THRUST_200600_302600_NS5tupleIblNS6_9null_typeES8_S8_S8_S8_S8_S8_S8_EEEEZNS1_11reduce_implILb1ES3_NS6_12zip_iteratorINS7_INS6_11hip_rocprim26transform_input_iterator_tIbPfNS6_6detail10functional5actorINSH_9compositeIJNSH_27transparent_binary_operatorINS6_8equal_toIvEEEENSI_INSH_8argumentILj0EEEEENSH_5valueIfEEEEEEEEENSD_19counting_iterator_tIlEES8_S8_S8_S8_S8_S8_S8_S8_EEEEPS9_S9_NSD_9__find_if7functorIS9_EEEE10hipError_tPvRmT1_T2_T3_mT4_P12ihipStream_tbEUlT_E0_NS1_11comp_targetILNS1_3genE8ELNS1_11target_archE1030ELNS1_3gpuE2ELNS1_3repE0EEENS1_30default_config_static_selectorELNS0_4arch9wavefront6targetE1EEEvS17_
                                        ; -- End function
	.section	.AMDGPU.csdata,"",@progbits
; Kernel info:
; codeLenInByte = 0
; NumSgprs: 4
; NumVgprs: 0
; NumAgprs: 0
; TotalNumVgprs: 0
; ScratchSize: 0
; MemoryBound: 0
; FloatMode: 240
; IeeeMode: 1
; LDSByteSize: 0 bytes/workgroup (compile time only)
; SGPRBlocks: 0
; VGPRBlocks: 0
; NumSGPRsForWavesPerEU: 4
; NumVGPRsForWavesPerEU: 1
; AccumOffset: 4
; Occupancy: 8
; WaveLimiterHint : 0
; COMPUTE_PGM_RSRC2:SCRATCH_EN: 0
; COMPUTE_PGM_RSRC2:USER_SGPR: 6
; COMPUTE_PGM_RSRC2:TRAP_HANDLER: 0
; COMPUTE_PGM_RSRC2:TGID_X_EN: 1
; COMPUTE_PGM_RSRC2:TGID_Y_EN: 0
; COMPUTE_PGM_RSRC2:TGID_Z_EN: 0
; COMPUTE_PGM_RSRC2:TIDIG_COMP_CNT: 0
; COMPUTE_PGM_RSRC3_GFX90A:ACCUM_OFFSET: 0
; COMPUTE_PGM_RSRC3_GFX90A:TG_SPLIT: 0
	.section	.text._ZN7rocprim17ROCPRIM_400000_NS6detail17trampoline_kernelINS0_14default_configENS1_22reduce_config_selectorIN6thrust23THRUST_200600_302600_NS5tupleIblNS6_9null_typeES8_S8_S8_S8_S8_S8_S8_EEEEZNS1_11reduce_implILb1ES3_NS6_12zip_iteratorINS7_INS6_11hip_rocprim26transform_input_iterator_tIbPfNS6_6detail10functional5actorINSH_9compositeIJNSH_27transparent_binary_operatorINS6_8equal_toIvEEEENSI_INSH_8argumentILj0EEEEENSH_5valueIfEEEEEEEEENSD_19counting_iterator_tIlEES8_S8_S8_S8_S8_S8_S8_S8_EEEEPS9_S9_NSD_9__find_if7functorIS9_EEEE10hipError_tPvRmT1_T2_T3_mT4_P12ihipStream_tbEUlT_E1_NS1_11comp_targetILNS1_3genE0ELNS1_11target_archE4294967295ELNS1_3gpuE0ELNS1_3repE0EEENS1_30default_config_static_selectorELNS0_4arch9wavefront6targetE1EEEvS17_,"axG",@progbits,_ZN7rocprim17ROCPRIM_400000_NS6detail17trampoline_kernelINS0_14default_configENS1_22reduce_config_selectorIN6thrust23THRUST_200600_302600_NS5tupleIblNS6_9null_typeES8_S8_S8_S8_S8_S8_S8_EEEEZNS1_11reduce_implILb1ES3_NS6_12zip_iteratorINS7_INS6_11hip_rocprim26transform_input_iterator_tIbPfNS6_6detail10functional5actorINSH_9compositeIJNSH_27transparent_binary_operatorINS6_8equal_toIvEEEENSI_INSH_8argumentILj0EEEEENSH_5valueIfEEEEEEEEENSD_19counting_iterator_tIlEES8_S8_S8_S8_S8_S8_S8_S8_EEEEPS9_S9_NSD_9__find_if7functorIS9_EEEE10hipError_tPvRmT1_T2_T3_mT4_P12ihipStream_tbEUlT_E1_NS1_11comp_targetILNS1_3genE0ELNS1_11target_archE4294967295ELNS1_3gpuE0ELNS1_3repE0EEENS1_30default_config_static_selectorELNS0_4arch9wavefront6targetE1EEEvS17_,comdat
	.protected	_ZN7rocprim17ROCPRIM_400000_NS6detail17trampoline_kernelINS0_14default_configENS1_22reduce_config_selectorIN6thrust23THRUST_200600_302600_NS5tupleIblNS6_9null_typeES8_S8_S8_S8_S8_S8_S8_EEEEZNS1_11reduce_implILb1ES3_NS6_12zip_iteratorINS7_INS6_11hip_rocprim26transform_input_iterator_tIbPfNS6_6detail10functional5actorINSH_9compositeIJNSH_27transparent_binary_operatorINS6_8equal_toIvEEEENSI_INSH_8argumentILj0EEEEENSH_5valueIfEEEEEEEEENSD_19counting_iterator_tIlEES8_S8_S8_S8_S8_S8_S8_S8_EEEEPS9_S9_NSD_9__find_if7functorIS9_EEEE10hipError_tPvRmT1_T2_T3_mT4_P12ihipStream_tbEUlT_E1_NS1_11comp_targetILNS1_3genE0ELNS1_11target_archE4294967295ELNS1_3gpuE0ELNS1_3repE0EEENS1_30default_config_static_selectorELNS0_4arch9wavefront6targetE1EEEvS17_ ; -- Begin function _ZN7rocprim17ROCPRIM_400000_NS6detail17trampoline_kernelINS0_14default_configENS1_22reduce_config_selectorIN6thrust23THRUST_200600_302600_NS5tupleIblNS6_9null_typeES8_S8_S8_S8_S8_S8_S8_EEEEZNS1_11reduce_implILb1ES3_NS6_12zip_iteratorINS7_INS6_11hip_rocprim26transform_input_iterator_tIbPfNS6_6detail10functional5actorINSH_9compositeIJNSH_27transparent_binary_operatorINS6_8equal_toIvEEEENSI_INSH_8argumentILj0EEEEENSH_5valueIfEEEEEEEEENSD_19counting_iterator_tIlEES8_S8_S8_S8_S8_S8_S8_S8_EEEEPS9_S9_NSD_9__find_if7functorIS9_EEEE10hipError_tPvRmT1_T2_T3_mT4_P12ihipStream_tbEUlT_E1_NS1_11comp_targetILNS1_3genE0ELNS1_11target_archE4294967295ELNS1_3gpuE0ELNS1_3repE0EEENS1_30default_config_static_selectorELNS0_4arch9wavefront6targetE1EEEvS17_
	.globl	_ZN7rocprim17ROCPRIM_400000_NS6detail17trampoline_kernelINS0_14default_configENS1_22reduce_config_selectorIN6thrust23THRUST_200600_302600_NS5tupleIblNS6_9null_typeES8_S8_S8_S8_S8_S8_S8_EEEEZNS1_11reduce_implILb1ES3_NS6_12zip_iteratorINS7_INS6_11hip_rocprim26transform_input_iterator_tIbPfNS6_6detail10functional5actorINSH_9compositeIJNSH_27transparent_binary_operatorINS6_8equal_toIvEEEENSI_INSH_8argumentILj0EEEEENSH_5valueIfEEEEEEEEENSD_19counting_iterator_tIlEES8_S8_S8_S8_S8_S8_S8_S8_EEEEPS9_S9_NSD_9__find_if7functorIS9_EEEE10hipError_tPvRmT1_T2_T3_mT4_P12ihipStream_tbEUlT_E1_NS1_11comp_targetILNS1_3genE0ELNS1_11target_archE4294967295ELNS1_3gpuE0ELNS1_3repE0EEENS1_30default_config_static_selectorELNS0_4arch9wavefront6targetE1EEEvS17_
	.p2align	8
	.type	_ZN7rocprim17ROCPRIM_400000_NS6detail17trampoline_kernelINS0_14default_configENS1_22reduce_config_selectorIN6thrust23THRUST_200600_302600_NS5tupleIblNS6_9null_typeES8_S8_S8_S8_S8_S8_S8_EEEEZNS1_11reduce_implILb1ES3_NS6_12zip_iteratorINS7_INS6_11hip_rocprim26transform_input_iterator_tIbPfNS6_6detail10functional5actorINSH_9compositeIJNSH_27transparent_binary_operatorINS6_8equal_toIvEEEENSI_INSH_8argumentILj0EEEEENSH_5valueIfEEEEEEEEENSD_19counting_iterator_tIlEES8_S8_S8_S8_S8_S8_S8_S8_EEEEPS9_S9_NSD_9__find_if7functorIS9_EEEE10hipError_tPvRmT1_T2_T3_mT4_P12ihipStream_tbEUlT_E1_NS1_11comp_targetILNS1_3genE0ELNS1_11target_archE4294967295ELNS1_3gpuE0ELNS1_3repE0EEENS1_30default_config_static_selectorELNS0_4arch9wavefront6targetE1EEEvS17_,@function
_ZN7rocprim17ROCPRIM_400000_NS6detail17trampoline_kernelINS0_14default_configENS1_22reduce_config_selectorIN6thrust23THRUST_200600_302600_NS5tupleIblNS6_9null_typeES8_S8_S8_S8_S8_S8_S8_EEEEZNS1_11reduce_implILb1ES3_NS6_12zip_iteratorINS7_INS6_11hip_rocprim26transform_input_iterator_tIbPfNS6_6detail10functional5actorINSH_9compositeIJNSH_27transparent_binary_operatorINS6_8equal_toIvEEEENSI_INSH_8argumentILj0EEEEENSH_5valueIfEEEEEEEEENSD_19counting_iterator_tIlEES8_S8_S8_S8_S8_S8_S8_S8_EEEEPS9_S9_NSD_9__find_if7functorIS9_EEEE10hipError_tPvRmT1_T2_T3_mT4_P12ihipStream_tbEUlT_E1_NS1_11comp_targetILNS1_3genE0ELNS1_11target_archE4294967295ELNS1_3gpuE0ELNS1_3repE0EEENS1_30default_config_static_selectorELNS0_4arch9wavefront6targetE1EEEvS17_: ; @_ZN7rocprim17ROCPRIM_400000_NS6detail17trampoline_kernelINS0_14default_configENS1_22reduce_config_selectorIN6thrust23THRUST_200600_302600_NS5tupleIblNS6_9null_typeES8_S8_S8_S8_S8_S8_S8_EEEEZNS1_11reduce_implILb1ES3_NS6_12zip_iteratorINS7_INS6_11hip_rocprim26transform_input_iterator_tIbPfNS6_6detail10functional5actorINSH_9compositeIJNSH_27transparent_binary_operatorINS6_8equal_toIvEEEENSI_INSH_8argumentILj0EEEEENSH_5valueIfEEEEEEEEENSD_19counting_iterator_tIlEES8_S8_S8_S8_S8_S8_S8_S8_EEEEPS9_S9_NSD_9__find_if7functorIS9_EEEE10hipError_tPvRmT1_T2_T3_mT4_P12ihipStream_tbEUlT_E1_NS1_11comp_targetILNS1_3genE0ELNS1_11target_archE4294967295ELNS1_3gpuE0ELNS1_3repE0EEENS1_30default_config_static_selectorELNS0_4arch9wavefront6targetE1EEEvS17_
; %bb.0:
	.section	.rodata,"a",@progbits
	.p2align	6, 0x0
	.amdhsa_kernel _ZN7rocprim17ROCPRIM_400000_NS6detail17trampoline_kernelINS0_14default_configENS1_22reduce_config_selectorIN6thrust23THRUST_200600_302600_NS5tupleIblNS6_9null_typeES8_S8_S8_S8_S8_S8_S8_EEEEZNS1_11reduce_implILb1ES3_NS6_12zip_iteratorINS7_INS6_11hip_rocprim26transform_input_iterator_tIbPfNS6_6detail10functional5actorINSH_9compositeIJNSH_27transparent_binary_operatorINS6_8equal_toIvEEEENSI_INSH_8argumentILj0EEEEENSH_5valueIfEEEEEEEEENSD_19counting_iterator_tIlEES8_S8_S8_S8_S8_S8_S8_S8_EEEEPS9_S9_NSD_9__find_if7functorIS9_EEEE10hipError_tPvRmT1_T2_T3_mT4_P12ihipStream_tbEUlT_E1_NS1_11comp_targetILNS1_3genE0ELNS1_11target_archE4294967295ELNS1_3gpuE0ELNS1_3repE0EEENS1_30default_config_static_selectorELNS0_4arch9wavefront6targetE1EEEvS17_
		.amdhsa_group_segment_fixed_size 0
		.amdhsa_private_segment_fixed_size 0
		.amdhsa_kernarg_size 72
		.amdhsa_user_sgpr_count 6
		.amdhsa_user_sgpr_private_segment_buffer 1
		.amdhsa_user_sgpr_dispatch_ptr 0
		.amdhsa_user_sgpr_queue_ptr 0
		.amdhsa_user_sgpr_kernarg_segment_ptr 1
		.amdhsa_user_sgpr_dispatch_id 0
		.amdhsa_user_sgpr_flat_scratch_init 0
		.amdhsa_user_sgpr_kernarg_preload_length 0
		.amdhsa_user_sgpr_kernarg_preload_offset 0
		.amdhsa_user_sgpr_private_segment_size 0
		.amdhsa_uses_dynamic_stack 0
		.amdhsa_system_sgpr_private_segment_wavefront_offset 0
		.amdhsa_system_sgpr_workgroup_id_x 1
		.amdhsa_system_sgpr_workgroup_id_y 0
		.amdhsa_system_sgpr_workgroup_id_z 0
		.amdhsa_system_sgpr_workgroup_info 0
		.amdhsa_system_vgpr_workitem_id 0
		.amdhsa_next_free_vgpr 1
		.amdhsa_next_free_sgpr 0
		.amdhsa_accum_offset 4
		.amdhsa_reserve_vcc 0
		.amdhsa_reserve_flat_scratch 0
		.amdhsa_float_round_mode_32 0
		.amdhsa_float_round_mode_16_64 0
		.amdhsa_float_denorm_mode_32 3
		.amdhsa_float_denorm_mode_16_64 3
		.amdhsa_dx10_clamp 1
		.amdhsa_ieee_mode 1
		.amdhsa_fp16_overflow 0
		.amdhsa_tg_split 0
		.amdhsa_exception_fp_ieee_invalid_op 0
		.amdhsa_exception_fp_denorm_src 0
		.amdhsa_exception_fp_ieee_div_zero 0
		.amdhsa_exception_fp_ieee_overflow 0
		.amdhsa_exception_fp_ieee_underflow 0
		.amdhsa_exception_fp_ieee_inexact 0
		.amdhsa_exception_int_div_zero 0
	.end_amdhsa_kernel
	.section	.text._ZN7rocprim17ROCPRIM_400000_NS6detail17trampoline_kernelINS0_14default_configENS1_22reduce_config_selectorIN6thrust23THRUST_200600_302600_NS5tupleIblNS6_9null_typeES8_S8_S8_S8_S8_S8_S8_EEEEZNS1_11reduce_implILb1ES3_NS6_12zip_iteratorINS7_INS6_11hip_rocprim26transform_input_iterator_tIbPfNS6_6detail10functional5actorINSH_9compositeIJNSH_27transparent_binary_operatorINS6_8equal_toIvEEEENSI_INSH_8argumentILj0EEEEENSH_5valueIfEEEEEEEEENSD_19counting_iterator_tIlEES8_S8_S8_S8_S8_S8_S8_S8_EEEEPS9_S9_NSD_9__find_if7functorIS9_EEEE10hipError_tPvRmT1_T2_T3_mT4_P12ihipStream_tbEUlT_E1_NS1_11comp_targetILNS1_3genE0ELNS1_11target_archE4294967295ELNS1_3gpuE0ELNS1_3repE0EEENS1_30default_config_static_selectorELNS0_4arch9wavefront6targetE1EEEvS17_,"axG",@progbits,_ZN7rocprim17ROCPRIM_400000_NS6detail17trampoline_kernelINS0_14default_configENS1_22reduce_config_selectorIN6thrust23THRUST_200600_302600_NS5tupleIblNS6_9null_typeES8_S8_S8_S8_S8_S8_S8_EEEEZNS1_11reduce_implILb1ES3_NS6_12zip_iteratorINS7_INS6_11hip_rocprim26transform_input_iterator_tIbPfNS6_6detail10functional5actorINSH_9compositeIJNSH_27transparent_binary_operatorINS6_8equal_toIvEEEENSI_INSH_8argumentILj0EEEEENSH_5valueIfEEEEEEEEENSD_19counting_iterator_tIlEES8_S8_S8_S8_S8_S8_S8_S8_EEEEPS9_S9_NSD_9__find_if7functorIS9_EEEE10hipError_tPvRmT1_T2_T3_mT4_P12ihipStream_tbEUlT_E1_NS1_11comp_targetILNS1_3genE0ELNS1_11target_archE4294967295ELNS1_3gpuE0ELNS1_3repE0EEENS1_30default_config_static_selectorELNS0_4arch9wavefront6targetE1EEEvS17_,comdat
.Lfunc_end1951:
	.size	_ZN7rocprim17ROCPRIM_400000_NS6detail17trampoline_kernelINS0_14default_configENS1_22reduce_config_selectorIN6thrust23THRUST_200600_302600_NS5tupleIblNS6_9null_typeES8_S8_S8_S8_S8_S8_S8_EEEEZNS1_11reduce_implILb1ES3_NS6_12zip_iteratorINS7_INS6_11hip_rocprim26transform_input_iterator_tIbPfNS6_6detail10functional5actorINSH_9compositeIJNSH_27transparent_binary_operatorINS6_8equal_toIvEEEENSI_INSH_8argumentILj0EEEEENSH_5valueIfEEEEEEEEENSD_19counting_iterator_tIlEES8_S8_S8_S8_S8_S8_S8_S8_EEEEPS9_S9_NSD_9__find_if7functorIS9_EEEE10hipError_tPvRmT1_T2_T3_mT4_P12ihipStream_tbEUlT_E1_NS1_11comp_targetILNS1_3genE0ELNS1_11target_archE4294967295ELNS1_3gpuE0ELNS1_3repE0EEENS1_30default_config_static_selectorELNS0_4arch9wavefront6targetE1EEEvS17_, .Lfunc_end1951-_ZN7rocprim17ROCPRIM_400000_NS6detail17trampoline_kernelINS0_14default_configENS1_22reduce_config_selectorIN6thrust23THRUST_200600_302600_NS5tupleIblNS6_9null_typeES8_S8_S8_S8_S8_S8_S8_EEEEZNS1_11reduce_implILb1ES3_NS6_12zip_iteratorINS7_INS6_11hip_rocprim26transform_input_iterator_tIbPfNS6_6detail10functional5actorINSH_9compositeIJNSH_27transparent_binary_operatorINS6_8equal_toIvEEEENSI_INSH_8argumentILj0EEEEENSH_5valueIfEEEEEEEEENSD_19counting_iterator_tIlEES8_S8_S8_S8_S8_S8_S8_S8_EEEEPS9_S9_NSD_9__find_if7functorIS9_EEEE10hipError_tPvRmT1_T2_T3_mT4_P12ihipStream_tbEUlT_E1_NS1_11comp_targetILNS1_3genE0ELNS1_11target_archE4294967295ELNS1_3gpuE0ELNS1_3repE0EEENS1_30default_config_static_selectorELNS0_4arch9wavefront6targetE1EEEvS17_
                                        ; -- End function
	.section	.AMDGPU.csdata,"",@progbits
; Kernel info:
; codeLenInByte = 0
; NumSgprs: 4
; NumVgprs: 0
; NumAgprs: 0
; TotalNumVgprs: 0
; ScratchSize: 0
; MemoryBound: 0
; FloatMode: 240
; IeeeMode: 1
; LDSByteSize: 0 bytes/workgroup (compile time only)
; SGPRBlocks: 0
; VGPRBlocks: 0
; NumSGPRsForWavesPerEU: 4
; NumVGPRsForWavesPerEU: 1
; AccumOffset: 4
; Occupancy: 8
; WaveLimiterHint : 0
; COMPUTE_PGM_RSRC2:SCRATCH_EN: 0
; COMPUTE_PGM_RSRC2:USER_SGPR: 6
; COMPUTE_PGM_RSRC2:TRAP_HANDLER: 0
; COMPUTE_PGM_RSRC2:TGID_X_EN: 1
; COMPUTE_PGM_RSRC2:TGID_Y_EN: 0
; COMPUTE_PGM_RSRC2:TGID_Z_EN: 0
; COMPUTE_PGM_RSRC2:TIDIG_COMP_CNT: 0
; COMPUTE_PGM_RSRC3_GFX90A:ACCUM_OFFSET: 0
; COMPUTE_PGM_RSRC3_GFX90A:TG_SPLIT: 0
	.section	.text._ZN7rocprim17ROCPRIM_400000_NS6detail17trampoline_kernelINS0_14default_configENS1_22reduce_config_selectorIN6thrust23THRUST_200600_302600_NS5tupleIblNS6_9null_typeES8_S8_S8_S8_S8_S8_S8_EEEEZNS1_11reduce_implILb1ES3_NS6_12zip_iteratorINS7_INS6_11hip_rocprim26transform_input_iterator_tIbPfNS6_6detail10functional5actorINSH_9compositeIJNSH_27transparent_binary_operatorINS6_8equal_toIvEEEENSI_INSH_8argumentILj0EEEEENSH_5valueIfEEEEEEEEENSD_19counting_iterator_tIlEES8_S8_S8_S8_S8_S8_S8_S8_EEEEPS9_S9_NSD_9__find_if7functorIS9_EEEE10hipError_tPvRmT1_T2_T3_mT4_P12ihipStream_tbEUlT_E1_NS1_11comp_targetILNS1_3genE5ELNS1_11target_archE942ELNS1_3gpuE9ELNS1_3repE0EEENS1_30default_config_static_selectorELNS0_4arch9wavefront6targetE1EEEvS17_,"axG",@progbits,_ZN7rocprim17ROCPRIM_400000_NS6detail17trampoline_kernelINS0_14default_configENS1_22reduce_config_selectorIN6thrust23THRUST_200600_302600_NS5tupleIblNS6_9null_typeES8_S8_S8_S8_S8_S8_S8_EEEEZNS1_11reduce_implILb1ES3_NS6_12zip_iteratorINS7_INS6_11hip_rocprim26transform_input_iterator_tIbPfNS6_6detail10functional5actorINSH_9compositeIJNSH_27transparent_binary_operatorINS6_8equal_toIvEEEENSI_INSH_8argumentILj0EEEEENSH_5valueIfEEEEEEEEENSD_19counting_iterator_tIlEES8_S8_S8_S8_S8_S8_S8_S8_EEEEPS9_S9_NSD_9__find_if7functorIS9_EEEE10hipError_tPvRmT1_T2_T3_mT4_P12ihipStream_tbEUlT_E1_NS1_11comp_targetILNS1_3genE5ELNS1_11target_archE942ELNS1_3gpuE9ELNS1_3repE0EEENS1_30default_config_static_selectorELNS0_4arch9wavefront6targetE1EEEvS17_,comdat
	.protected	_ZN7rocprim17ROCPRIM_400000_NS6detail17trampoline_kernelINS0_14default_configENS1_22reduce_config_selectorIN6thrust23THRUST_200600_302600_NS5tupleIblNS6_9null_typeES8_S8_S8_S8_S8_S8_S8_EEEEZNS1_11reduce_implILb1ES3_NS6_12zip_iteratorINS7_INS6_11hip_rocprim26transform_input_iterator_tIbPfNS6_6detail10functional5actorINSH_9compositeIJNSH_27transparent_binary_operatorINS6_8equal_toIvEEEENSI_INSH_8argumentILj0EEEEENSH_5valueIfEEEEEEEEENSD_19counting_iterator_tIlEES8_S8_S8_S8_S8_S8_S8_S8_EEEEPS9_S9_NSD_9__find_if7functorIS9_EEEE10hipError_tPvRmT1_T2_T3_mT4_P12ihipStream_tbEUlT_E1_NS1_11comp_targetILNS1_3genE5ELNS1_11target_archE942ELNS1_3gpuE9ELNS1_3repE0EEENS1_30default_config_static_selectorELNS0_4arch9wavefront6targetE1EEEvS17_ ; -- Begin function _ZN7rocprim17ROCPRIM_400000_NS6detail17trampoline_kernelINS0_14default_configENS1_22reduce_config_selectorIN6thrust23THRUST_200600_302600_NS5tupleIblNS6_9null_typeES8_S8_S8_S8_S8_S8_S8_EEEEZNS1_11reduce_implILb1ES3_NS6_12zip_iteratorINS7_INS6_11hip_rocprim26transform_input_iterator_tIbPfNS6_6detail10functional5actorINSH_9compositeIJNSH_27transparent_binary_operatorINS6_8equal_toIvEEEENSI_INSH_8argumentILj0EEEEENSH_5valueIfEEEEEEEEENSD_19counting_iterator_tIlEES8_S8_S8_S8_S8_S8_S8_S8_EEEEPS9_S9_NSD_9__find_if7functorIS9_EEEE10hipError_tPvRmT1_T2_T3_mT4_P12ihipStream_tbEUlT_E1_NS1_11comp_targetILNS1_3genE5ELNS1_11target_archE942ELNS1_3gpuE9ELNS1_3repE0EEENS1_30default_config_static_selectorELNS0_4arch9wavefront6targetE1EEEvS17_
	.globl	_ZN7rocprim17ROCPRIM_400000_NS6detail17trampoline_kernelINS0_14default_configENS1_22reduce_config_selectorIN6thrust23THRUST_200600_302600_NS5tupleIblNS6_9null_typeES8_S8_S8_S8_S8_S8_S8_EEEEZNS1_11reduce_implILb1ES3_NS6_12zip_iteratorINS7_INS6_11hip_rocprim26transform_input_iterator_tIbPfNS6_6detail10functional5actorINSH_9compositeIJNSH_27transparent_binary_operatorINS6_8equal_toIvEEEENSI_INSH_8argumentILj0EEEEENSH_5valueIfEEEEEEEEENSD_19counting_iterator_tIlEES8_S8_S8_S8_S8_S8_S8_S8_EEEEPS9_S9_NSD_9__find_if7functorIS9_EEEE10hipError_tPvRmT1_T2_T3_mT4_P12ihipStream_tbEUlT_E1_NS1_11comp_targetILNS1_3genE5ELNS1_11target_archE942ELNS1_3gpuE9ELNS1_3repE0EEENS1_30default_config_static_selectorELNS0_4arch9wavefront6targetE1EEEvS17_
	.p2align	8
	.type	_ZN7rocprim17ROCPRIM_400000_NS6detail17trampoline_kernelINS0_14default_configENS1_22reduce_config_selectorIN6thrust23THRUST_200600_302600_NS5tupleIblNS6_9null_typeES8_S8_S8_S8_S8_S8_S8_EEEEZNS1_11reduce_implILb1ES3_NS6_12zip_iteratorINS7_INS6_11hip_rocprim26transform_input_iterator_tIbPfNS6_6detail10functional5actorINSH_9compositeIJNSH_27transparent_binary_operatorINS6_8equal_toIvEEEENSI_INSH_8argumentILj0EEEEENSH_5valueIfEEEEEEEEENSD_19counting_iterator_tIlEES8_S8_S8_S8_S8_S8_S8_S8_EEEEPS9_S9_NSD_9__find_if7functorIS9_EEEE10hipError_tPvRmT1_T2_T3_mT4_P12ihipStream_tbEUlT_E1_NS1_11comp_targetILNS1_3genE5ELNS1_11target_archE942ELNS1_3gpuE9ELNS1_3repE0EEENS1_30default_config_static_selectorELNS0_4arch9wavefront6targetE1EEEvS17_,@function
_ZN7rocprim17ROCPRIM_400000_NS6detail17trampoline_kernelINS0_14default_configENS1_22reduce_config_selectorIN6thrust23THRUST_200600_302600_NS5tupleIblNS6_9null_typeES8_S8_S8_S8_S8_S8_S8_EEEEZNS1_11reduce_implILb1ES3_NS6_12zip_iteratorINS7_INS6_11hip_rocprim26transform_input_iterator_tIbPfNS6_6detail10functional5actorINSH_9compositeIJNSH_27transparent_binary_operatorINS6_8equal_toIvEEEENSI_INSH_8argumentILj0EEEEENSH_5valueIfEEEEEEEEENSD_19counting_iterator_tIlEES8_S8_S8_S8_S8_S8_S8_S8_EEEEPS9_S9_NSD_9__find_if7functorIS9_EEEE10hipError_tPvRmT1_T2_T3_mT4_P12ihipStream_tbEUlT_E1_NS1_11comp_targetILNS1_3genE5ELNS1_11target_archE942ELNS1_3gpuE9ELNS1_3repE0EEENS1_30default_config_static_selectorELNS0_4arch9wavefront6targetE1EEEvS17_: ; @_ZN7rocprim17ROCPRIM_400000_NS6detail17trampoline_kernelINS0_14default_configENS1_22reduce_config_selectorIN6thrust23THRUST_200600_302600_NS5tupleIblNS6_9null_typeES8_S8_S8_S8_S8_S8_S8_EEEEZNS1_11reduce_implILb1ES3_NS6_12zip_iteratorINS7_INS6_11hip_rocprim26transform_input_iterator_tIbPfNS6_6detail10functional5actorINSH_9compositeIJNSH_27transparent_binary_operatorINS6_8equal_toIvEEEENSI_INSH_8argumentILj0EEEEENSH_5valueIfEEEEEEEEENSD_19counting_iterator_tIlEES8_S8_S8_S8_S8_S8_S8_S8_EEEEPS9_S9_NSD_9__find_if7functorIS9_EEEE10hipError_tPvRmT1_T2_T3_mT4_P12ihipStream_tbEUlT_E1_NS1_11comp_targetILNS1_3genE5ELNS1_11target_archE942ELNS1_3gpuE9ELNS1_3repE0EEENS1_30default_config_static_selectorELNS0_4arch9wavefront6targetE1EEEvS17_
; %bb.0:
	.section	.rodata,"a",@progbits
	.p2align	6, 0x0
	.amdhsa_kernel _ZN7rocprim17ROCPRIM_400000_NS6detail17trampoline_kernelINS0_14default_configENS1_22reduce_config_selectorIN6thrust23THRUST_200600_302600_NS5tupleIblNS6_9null_typeES8_S8_S8_S8_S8_S8_S8_EEEEZNS1_11reduce_implILb1ES3_NS6_12zip_iteratorINS7_INS6_11hip_rocprim26transform_input_iterator_tIbPfNS6_6detail10functional5actorINSH_9compositeIJNSH_27transparent_binary_operatorINS6_8equal_toIvEEEENSI_INSH_8argumentILj0EEEEENSH_5valueIfEEEEEEEEENSD_19counting_iterator_tIlEES8_S8_S8_S8_S8_S8_S8_S8_EEEEPS9_S9_NSD_9__find_if7functorIS9_EEEE10hipError_tPvRmT1_T2_T3_mT4_P12ihipStream_tbEUlT_E1_NS1_11comp_targetILNS1_3genE5ELNS1_11target_archE942ELNS1_3gpuE9ELNS1_3repE0EEENS1_30default_config_static_selectorELNS0_4arch9wavefront6targetE1EEEvS17_
		.amdhsa_group_segment_fixed_size 0
		.amdhsa_private_segment_fixed_size 0
		.amdhsa_kernarg_size 72
		.amdhsa_user_sgpr_count 6
		.amdhsa_user_sgpr_private_segment_buffer 1
		.amdhsa_user_sgpr_dispatch_ptr 0
		.amdhsa_user_sgpr_queue_ptr 0
		.amdhsa_user_sgpr_kernarg_segment_ptr 1
		.amdhsa_user_sgpr_dispatch_id 0
		.amdhsa_user_sgpr_flat_scratch_init 0
		.amdhsa_user_sgpr_kernarg_preload_length 0
		.amdhsa_user_sgpr_kernarg_preload_offset 0
		.amdhsa_user_sgpr_private_segment_size 0
		.amdhsa_uses_dynamic_stack 0
		.amdhsa_system_sgpr_private_segment_wavefront_offset 0
		.amdhsa_system_sgpr_workgroup_id_x 1
		.amdhsa_system_sgpr_workgroup_id_y 0
		.amdhsa_system_sgpr_workgroup_id_z 0
		.amdhsa_system_sgpr_workgroup_info 0
		.amdhsa_system_vgpr_workitem_id 0
		.amdhsa_next_free_vgpr 1
		.amdhsa_next_free_sgpr 0
		.amdhsa_accum_offset 4
		.amdhsa_reserve_vcc 0
		.amdhsa_reserve_flat_scratch 0
		.amdhsa_float_round_mode_32 0
		.amdhsa_float_round_mode_16_64 0
		.amdhsa_float_denorm_mode_32 3
		.amdhsa_float_denorm_mode_16_64 3
		.amdhsa_dx10_clamp 1
		.amdhsa_ieee_mode 1
		.amdhsa_fp16_overflow 0
		.amdhsa_tg_split 0
		.amdhsa_exception_fp_ieee_invalid_op 0
		.amdhsa_exception_fp_denorm_src 0
		.amdhsa_exception_fp_ieee_div_zero 0
		.amdhsa_exception_fp_ieee_overflow 0
		.amdhsa_exception_fp_ieee_underflow 0
		.amdhsa_exception_fp_ieee_inexact 0
		.amdhsa_exception_int_div_zero 0
	.end_amdhsa_kernel
	.section	.text._ZN7rocprim17ROCPRIM_400000_NS6detail17trampoline_kernelINS0_14default_configENS1_22reduce_config_selectorIN6thrust23THRUST_200600_302600_NS5tupleIblNS6_9null_typeES8_S8_S8_S8_S8_S8_S8_EEEEZNS1_11reduce_implILb1ES3_NS6_12zip_iteratorINS7_INS6_11hip_rocprim26transform_input_iterator_tIbPfNS6_6detail10functional5actorINSH_9compositeIJNSH_27transparent_binary_operatorINS6_8equal_toIvEEEENSI_INSH_8argumentILj0EEEEENSH_5valueIfEEEEEEEEENSD_19counting_iterator_tIlEES8_S8_S8_S8_S8_S8_S8_S8_EEEEPS9_S9_NSD_9__find_if7functorIS9_EEEE10hipError_tPvRmT1_T2_T3_mT4_P12ihipStream_tbEUlT_E1_NS1_11comp_targetILNS1_3genE5ELNS1_11target_archE942ELNS1_3gpuE9ELNS1_3repE0EEENS1_30default_config_static_selectorELNS0_4arch9wavefront6targetE1EEEvS17_,"axG",@progbits,_ZN7rocprim17ROCPRIM_400000_NS6detail17trampoline_kernelINS0_14default_configENS1_22reduce_config_selectorIN6thrust23THRUST_200600_302600_NS5tupleIblNS6_9null_typeES8_S8_S8_S8_S8_S8_S8_EEEEZNS1_11reduce_implILb1ES3_NS6_12zip_iteratorINS7_INS6_11hip_rocprim26transform_input_iterator_tIbPfNS6_6detail10functional5actorINSH_9compositeIJNSH_27transparent_binary_operatorINS6_8equal_toIvEEEENSI_INSH_8argumentILj0EEEEENSH_5valueIfEEEEEEEEENSD_19counting_iterator_tIlEES8_S8_S8_S8_S8_S8_S8_S8_EEEEPS9_S9_NSD_9__find_if7functorIS9_EEEE10hipError_tPvRmT1_T2_T3_mT4_P12ihipStream_tbEUlT_E1_NS1_11comp_targetILNS1_3genE5ELNS1_11target_archE942ELNS1_3gpuE9ELNS1_3repE0EEENS1_30default_config_static_selectorELNS0_4arch9wavefront6targetE1EEEvS17_,comdat
.Lfunc_end1952:
	.size	_ZN7rocprim17ROCPRIM_400000_NS6detail17trampoline_kernelINS0_14default_configENS1_22reduce_config_selectorIN6thrust23THRUST_200600_302600_NS5tupleIblNS6_9null_typeES8_S8_S8_S8_S8_S8_S8_EEEEZNS1_11reduce_implILb1ES3_NS6_12zip_iteratorINS7_INS6_11hip_rocprim26transform_input_iterator_tIbPfNS6_6detail10functional5actorINSH_9compositeIJNSH_27transparent_binary_operatorINS6_8equal_toIvEEEENSI_INSH_8argumentILj0EEEEENSH_5valueIfEEEEEEEEENSD_19counting_iterator_tIlEES8_S8_S8_S8_S8_S8_S8_S8_EEEEPS9_S9_NSD_9__find_if7functorIS9_EEEE10hipError_tPvRmT1_T2_T3_mT4_P12ihipStream_tbEUlT_E1_NS1_11comp_targetILNS1_3genE5ELNS1_11target_archE942ELNS1_3gpuE9ELNS1_3repE0EEENS1_30default_config_static_selectorELNS0_4arch9wavefront6targetE1EEEvS17_, .Lfunc_end1952-_ZN7rocprim17ROCPRIM_400000_NS6detail17trampoline_kernelINS0_14default_configENS1_22reduce_config_selectorIN6thrust23THRUST_200600_302600_NS5tupleIblNS6_9null_typeES8_S8_S8_S8_S8_S8_S8_EEEEZNS1_11reduce_implILb1ES3_NS6_12zip_iteratorINS7_INS6_11hip_rocprim26transform_input_iterator_tIbPfNS6_6detail10functional5actorINSH_9compositeIJNSH_27transparent_binary_operatorINS6_8equal_toIvEEEENSI_INSH_8argumentILj0EEEEENSH_5valueIfEEEEEEEEENSD_19counting_iterator_tIlEES8_S8_S8_S8_S8_S8_S8_S8_EEEEPS9_S9_NSD_9__find_if7functorIS9_EEEE10hipError_tPvRmT1_T2_T3_mT4_P12ihipStream_tbEUlT_E1_NS1_11comp_targetILNS1_3genE5ELNS1_11target_archE942ELNS1_3gpuE9ELNS1_3repE0EEENS1_30default_config_static_selectorELNS0_4arch9wavefront6targetE1EEEvS17_
                                        ; -- End function
	.section	.AMDGPU.csdata,"",@progbits
; Kernel info:
; codeLenInByte = 0
; NumSgprs: 4
; NumVgprs: 0
; NumAgprs: 0
; TotalNumVgprs: 0
; ScratchSize: 0
; MemoryBound: 0
; FloatMode: 240
; IeeeMode: 1
; LDSByteSize: 0 bytes/workgroup (compile time only)
; SGPRBlocks: 0
; VGPRBlocks: 0
; NumSGPRsForWavesPerEU: 4
; NumVGPRsForWavesPerEU: 1
; AccumOffset: 4
; Occupancy: 8
; WaveLimiterHint : 0
; COMPUTE_PGM_RSRC2:SCRATCH_EN: 0
; COMPUTE_PGM_RSRC2:USER_SGPR: 6
; COMPUTE_PGM_RSRC2:TRAP_HANDLER: 0
; COMPUTE_PGM_RSRC2:TGID_X_EN: 1
; COMPUTE_PGM_RSRC2:TGID_Y_EN: 0
; COMPUTE_PGM_RSRC2:TGID_Z_EN: 0
; COMPUTE_PGM_RSRC2:TIDIG_COMP_CNT: 0
; COMPUTE_PGM_RSRC3_GFX90A:ACCUM_OFFSET: 0
; COMPUTE_PGM_RSRC3_GFX90A:TG_SPLIT: 0
	.section	.text._ZN7rocprim17ROCPRIM_400000_NS6detail17trampoline_kernelINS0_14default_configENS1_22reduce_config_selectorIN6thrust23THRUST_200600_302600_NS5tupleIblNS6_9null_typeES8_S8_S8_S8_S8_S8_S8_EEEEZNS1_11reduce_implILb1ES3_NS6_12zip_iteratorINS7_INS6_11hip_rocprim26transform_input_iterator_tIbPfNS6_6detail10functional5actorINSH_9compositeIJNSH_27transparent_binary_operatorINS6_8equal_toIvEEEENSI_INSH_8argumentILj0EEEEENSH_5valueIfEEEEEEEEENSD_19counting_iterator_tIlEES8_S8_S8_S8_S8_S8_S8_S8_EEEEPS9_S9_NSD_9__find_if7functorIS9_EEEE10hipError_tPvRmT1_T2_T3_mT4_P12ihipStream_tbEUlT_E1_NS1_11comp_targetILNS1_3genE4ELNS1_11target_archE910ELNS1_3gpuE8ELNS1_3repE0EEENS1_30default_config_static_selectorELNS0_4arch9wavefront6targetE1EEEvS17_,"axG",@progbits,_ZN7rocprim17ROCPRIM_400000_NS6detail17trampoline_kernelINS0_14default_configENS1_22reduce_config_selectorIN6thrust23THRUST_200600_302600_NS5tupleIblNS6_9null_typeES8_S8_S8_S8_S8_S8_S8_EEEEZNS1_11reduce_implILb1ES3_NS6_12zip_iteratorINS7_INS6_11hip_rocprim26transform_input_iterator_tIbPfNS6_6detail10functional5actorINSH_9compositeIJNSH_27transparent_binary_operatorINS6_8equal_toIvEEEENSI_INSH_8argumentILj0EEEEENSH_5valueIfEEEEEEEEENSD_19counting_iterator_tIlEES8_S8_S8_S8_S8_S8_S8_S8_EEEEPS9_S9_NSD_9__find_if7functorIS9_EEEE10hipError_tPvRmT1_T2_T3_mT4_P12ihipStream_tbEUlT_E1_NS1_11comp_targetILNS1_3genE4ELNS1_11target_archE910ELNS1_3gpuE8ELNS1_3repE0EEENS1_30default_config_static_selectorELNS0_4arch9wavefront6targetE1EEEvS17_,comdat
	.protected	_ZN7rocprim17ROCPRIM_400000_NS6detail17trampoline_kernelINS0_14default_configENS1_22reduce_config_selectorIN6thrust23THRUST_200600_302600_NS5tupleIblNS6_9null_typeES8_S8_S8_S8_S8_S8_S8_EEEEZNS1_11reduce_implILb1ES3_NS6_12zip_iteratorINS7_INS6_11hip_rocprim26transform_input_iterator_tIbPfNS6_6detail10functional5actorINSH_9compositeIJNSH_27transparent_binary_operatorINS6_8equal_toIvEEEENSI_INSH_8argumentILj0EEEEENSH_5valueIfEEEEEEEEENSD_19counting_iterator_tIlEES8_S8_S8_S8_S8_S8_S8_S8_EEEEPS9_S9_NSD_9__find_if7functorIS9_EEEE10hipError_tPvRmT1_T2_T3_mT4_P12ihipStream_tbEUlT_E1_NS1_11comp_targetILNS1_3genE4ELNS1_11target_archE910ELNS1_3gpuE8ELNS1_3repE0EEENS1_30default_config_static_selectorELNS0_4arch9wavefront6targetE1EEEvS17_ ; -- Begin function _ZN7rocprim17ROCPRIM_400000_NS6detail17trampoline_kernelINS0_14default_configENS1_22reduce_config_selectorIN6thrust23THRUST_200600_302600_NS5tupleIblNS6_9null_typeES8_S8_S8_S8_S8_S8_S8_EEEEZNS1_11reduce_implILb1ES3_NS6_12zip_iteratorINS7_INS6_11hip_rocprim26transform_input_iterator_tIbPfNS6_6detail10functional5actorINSH_9compositeIJNSH_27transparent_binary_operatorINS6_8equal_toIvEEEENSI_INSH_8argumentILj0EEEEENSH_5valueIfEEEEEEEEENSD_19counting_iterator_tIlEES8_S8_S8_S8_S8_S8_S8_S8_EEEEPS9_S9_NSD_9__find_if7functorIS9_EEEE10hipError_tPvRmT1_T2_T3_mT4_P12ihipStream_tbEUlT_E1_NS1_11comp_targetILNS1_3genE4ELNS1_11target_archE910ELNS1_3gpuE8ELNS1_3repE0EEENS1_30default_config_static_selectorELNS0_4arch9wavefront6targetE1EEEvS17_
	.globl	_ZN7rocprim17ROCPRIM_400000_NS6detail17trampoline_kernelINS0_14default_configENS1_22reduce_config_selectorIN6thrust23THRUST_200600_302600_NS5tupleIblNS6_9null_typeES8_S8_S8_S8_S8_S8_S8_EEEEZNS1_11reduce_implILb1ES3_NS6_12zip_iteratorINS7_INS6_11hip_rocprim26transform_input_iterator_tIbPfNS6_6detail10functional5actorINSH_9compositeIJNSH_27transparent_binary_operatorINS6_8equal_toIvEEEENSI_INSH_8argumentILj0EEEEENSH_5valueIfEEEEEEEEENSD_19counting_iterator_tIlEES8_S8_S8_S8_S8_S8_S8_S8_EEEEPS9_S9_NSD_9__find_if7functorIS9_EEEE10hipError_tPvRmT1_T2_T3_mT4_P12ihipStream_tbEUlT_E1_NS1_11comp_targetILNS1_3genE4ELNS1_11target_archE910ELNS1_3gpuE8ELNS1_3repE0EEENS1_30default_config_static_selectorELNS0_4arch9wavefront6targetE1EEEvS17_
	.p2align	8
	.type	_ZN7rocprim17ROCPRIM_400000_NS6detail17trampoline_kernelINS0_14default_configENS1_22reduce_config_selectorIN6thrust23THRUST_200600_302600_NS5tupleIblNS6_9null_typeES8_S8_S8_S8_S8_S8_S8_EEEEZNS1_11reduce_implILb1ES3_NS6_12zip_iteratorINS7_INS6_11hip_rocprim26transform_input_iterator_tIbPfNS6_6detail10functional5actorINSH_9compositeIJNSH_27transparent_binary_operatorINS6_8equal_toIvEEEENSI_INSH_8argumentILj0EEEEENSH_5valueIfEEEEEEEEENSD_19counting_iterator_tIlEES8_S8_S8_S8_S8_S8_S8_S8_EEEEPS9_S9_NSD_9__find_if7functorIS9_EEEE10hipError_tPvRmT1_T2_T3_mT4_P12ihipStream_tbEUlT_E1_NS1_11comp_targetILNS1_3genE4ELNS1_11target_archE910ELNS1_3gpuE8ELNS1_3repE0EEENS1_30default_config_static_selectorELNS0_4arch9wavefront6targetE1EEEvS17_,@function
_ZN7rocprim17ROCPRIM_400000_NS6detail17trampoline_kernelINS0_14default_configENS1_22reduce_config_selectorIN6thrust23THRUST_200600_302600_NS5tupleIblNS6_9null_typeES8_S8_S8_S8_S8_S8_S8_EEEEZNS1_11reduce_implILb1ES3_NS6_12zip_iteratorINS7_INS6_11hip_rocprim26transform_input_iterator_tIbPfNS6_6detail10functional5actorINSH_9compositeIJNSH_27transparent_binary_operatorINS6_8equal_toIvEEEENSI_INSH_8argumentILj0EEEEENSH_5valueIfEEEEEEEEENSD_19counting_iterator_tIlEES8_S8_S8_S8_S8_S8_S8_S8_EEEEPS9_S9_NSD_9__find_if7functorIS9_EEEE10hipError_tPvRmT1_T2_T3_mT4_P12ihipStream_tbEUlT_E1_NS1_11comp_targetILNS1_3genE4ELNS1_11target_archE910ELNS1_3gpuE8ELNS1_3repE0EEENS1_30default_config_static_selectorELNS0_4arch9wavefront6targetE1EEEvS17_: ; @_ZN7rocprim17ROCPRIM_400000_NS6detail17trampoline_kernelINS0_14default_configENS1_22reduce_config_selectorIN6thrust23THRUST_200600_302600_NS5tupleIblNS6_9null_typeES8_S8_S8_S8_S8_S8_S8_EEEEZNS1_11reduce_implILb1ES3_NS6_12zip_iteratorINS7_INS6_11hip_rocprim26transform_input_iterator_tIbPfNS6_6detail10functional5actorINSH_9compositeIJNSH_27transparent_binary_operatorINS6_8equal_toIvEEEENSI_INSH_8argumentILj0EEEEENSH_5valueIfEEEEEEEEENSD_19counting_iterator_tIlEES8_S8_S8_S8_S8_S8_S8_S8_EEEEPS9_S9_NSD_9__find_if7functorIS9_EEEE10hipError_tPvRmT1_T2_T3_mT4_P12ihipStream_tbEUlT_E1_NS1_11comp_targetILNS1_3genE4ELNS1_11target_archE910ELNS1_3gpuE8ELNS1_3repE0EEENS1_30default_config_static_selectorELNS0_4arch9wavefront6targetE1EEEvS17_
; %bb.0:
	s_load_dword s33, s[4:5], 0x4
	s_load_dwordx2 s[24:25], s[4:5], 0x8
	s_load_dword s31, s[4:5], 0x14
	s_load_dwordx4 s[20:23], s[4:5], 0x18
	s_load_dword s30, s[4:5], 0x30
	s_load_dwordx2 s[18:19], s[4:5], 0x38
	s_waitcnt lgkmcnt(0)
	s_cmp_lt_i32 s33, 4
	s_cbranch_scc1 .LBB1953_21
; %bb.1:
	s_cmp_gt_i32 s33, 7
	s_cbranch_scc0 .LBB1953_22
; %bb.2:
	s_cmp_eq_u32 s33, 8
	s_mov_b64 s[26:27], 0
	s_cbranch_scc0 .LBB1953_23
; %bb.3:
	s_mov_b32 s7, 0
	s_lshl_b32 s12, s6, 11
	s_mov_b32 s13, s7
	s_lshr_b64 s[0:1], s[22:23], 11
	s_lshl_b64 s[2:3], s[12:13], 2
	s_add_u32 s16, s24, s2
	s_addc_u32 s17, s25, s3
	s_add_u32 s34, s20, s12
	s_addc_u32 s35, s21, 0
	s_cmp_lg_u64 s[0:1], s[6:7]
	s_cbranch_scc0 .LBB1953_44
; %bb.4:
	v_lshlrev_b32_e32 v1, 2, v0
	v_mov_b32_e32 v2, s17
	global_load_dword v4, v1, s[16:17]
	global_load_dword v5, v1, s[16:17] offset:1024
	global_load_dword v6, v1, s[16:17] offset:2048
	;; [unrolled: 1-line block ×3, first 2 shown]
	v_add_co_u32_e32 v1, vcc, s16, v1
	v_addc_co_u32_e32 v3, vcc, 0, v2, vcc
	v_add_co_u32_e32 v2, vcc, 0x1000, v1
	v_addc_co_u32_e32 v3, vcc, 0, v3, vcc
	global_load_dword v1, v[2:3], off
	global_load_dword v8, v[2:3], off offset:2048
	global_load_dword v9, v[2:3], off offset:3072
	;; [unrolled: 1-line block ×3, first 2 shown]
	v_mov_b32_e32 v2, s35
	v_add_co_u32_e32 v17, vcc, s34, v0
	v_mov_b32_e32 v3, 0x200
	v_mov_b32_e32 v11, 0x100
	v_addc_co_u32_e32 v18, vcc, 0, v2, vcc
	v_mov_b32_e32 v12, 0x400
	v_mov_b32_e32 v13, 0x300
	;; [unrolled: 1-line block ×5, first 2 shown]
	s_waitcnt vmcnt(7)
	v_cmp_eq_f32_e64 s[8:9], s31, v4
	s_waitcnt vmcnt(6)
	v_cmp_eq_f32_e64 s[0:1], s31, v5
	s_waitcnt vmcnt(5)
	v_cmp_eq_f32_e32 vcc, s31, v6
	v_cndmask_b32_e64 v2, v3, v11, s[0:1]
	s_waitcnt vmcnt(4)
	v_cmp_eq_f32_e64 s[2:3], s31, v7
	s_or_b64 s[0:1], s[8:9], s[0:1]
	v_cndmask_b32_e64 v3, v12, v13, s[2:3]
	v_cndmask_b32_e64 v2, v2, 0, s[8:9]
	s_or_b64 vcc, s[0:1], vcc
	v_cndmask_b32_e32 v2, v3, v2, vcc
	s_waitcnt vmcnt(3)
	v_cmp_eq_f32_e64 s[0:1], s31, v1
	s_or_b64 s[2:3], vcc, s[2:3]
	s_waitcnt vmcnt(0)
	v_cmp_eq_f32_e32 vcc, s31, v10
	v_cndmask_b32_e32 v1, v14, v15, vcc
	s_or_b64 s[0:1], s[2:3], s[0:1]
	v_cmp_eq_f32_e64 s[8:9], s31, v8
	v_cndmask_b32_e64 v1, v1, v2, s[0:1]
	s_or_b64 s[0:1], s[0:1], vcc
	s_or_b64 vcc, s[0:1], s[8:9]
	v_cndmask_b32_e32 v1, v16, v1, vcc
	v_add_co_u32_e64 v2, s[0:1], v17, v1
	v_cmp_eq_f32_e64 s[10:11], s31, v9
	v_addc_co_u32_e64 v3, s[0:1], 0, v18, s[0:1]
	s_or_b64 s[0:1], vcc, s[10:11]
	v_cndmask_b32_e64 v1, 0, 1, s[0:1]
	v_mov_b32_dpp v4, v2 quad_perm:[1,0,3,2] row_mask:0xf bank_mask:0xf bound_ctrl:1
	v_mov_b32_dpp v5, v3 quad_perm:[1,0,3,2] row_mask:0xf bank_mask:0xf bound_ctrl:1
	;; [unrolled: 1-line block ×3, first 2 shown]
	v_and_b32_e32 v7, 1, v6
	v_cmp_eq_u32_e32 vcc, 1, v7
	s_and_saveexec_b64 s[2:3], vcc
; %bb.5:
	v_cmp_lt_i64_e32 vcc, v[2:3], v[4:5]
	v_cndmask_b32_e64 v6, v6, 1, s[0:1]
	s_and_b64 vcc, s[0:1], vcc
	v_cndmask_b32_e32 v2, v4, v2, vcc
	v_and_b32_e32 v4, 1, v6
	v_cndmask_b32_e32 v3, v5, v3, vcc
	v_cmp_eq_u32_e32 vcc, 1, v4
	s_andn2_b64 s[0:1], s[0:1], exec
	s_and_b64 s[8:9], vcc, exec
	v_and_b32_e32 v1, 0xff, v6
	s_or_b64 s[0:1], s[0:1], s[8:9]
; %bb.6:
	s_or_b64 exec, exec, s[2:3]
	v_mov_b32_dpp v6, v1 quad_perm:[2,3,0,1] row_mask:0xf bank_mask:0xf bound_ctrl:1
	v_and_b32_e32 v7, 1, v6
	v_mov_b32_dpp v4, v2 quad_perm:[2,3,0,1] row_mask:0xf bank_mask:0xf bound_ctrl:1
	v_mov_b32_dpp v5, v3 quad_perm:[2,3,0,1] row_mask:0xf bank_mask:0xf bound_ctrl:1
	v_cmp_eq_u32_e32 vcc, 1, v7
	s_and_saveexec_b64 s[2:3], vcc
; %bb.7:
	v_cmp_lt_i64_e32 vcc, v[2:3], v[4:5]
	v_cndmask_b32_e64 v6, v6, 1, s[0:1]
	s_and_b64 vcc, s[0:1], vcc
	v_cndmask_b32_e32 v2, v4, v2, vcc
	v_and_b32_e32 v4, 1, v6
	v_cndmask_b32_e32 v3, v5, v3, vcc
	v_cmp_eq_u32_e32 vcc, 1, v4
	s_andn2_b64 s[0:1], s[0:1], exec
	s_and_b64 s[8:9], vcc, exec
	v_and_b32_e32 v1, 0xff, v6
	s_or_b64 s[0:1], s[0:1], s[8:9]
; %bb.8:
	s_or_b64 exec, exec, s[2:3]
	v_mov_b32_dpp v6, v1 row_ror:4 row_mask:0xf bank_mask:0xf bound_ctrl:1
	v_and_b32_e32 v7, 1, v6
	v_mov_b32_dpp v4, v2 row_ror:4 row_mask:0xf bank_mask:0xf bound_ctrl:1
	v_mov_b32_dpp v5, v3 row_ror:4 row_mask:0xf bank_mask:0xf bound_ctrl:1
	v_cmp_eq_u32_e32 vcc, 1, v7
	s_and_saveexec_b64 s[2:3], vcc
; %bb.9:
	v_cmp_lt_i64_e32 vcc, v[2:3], v[4:5]
	v_cndmask_b32_e64 v6, v6, 1, s[0:1]
	s_and_b64 vcc, s[0:1], vcc
	v_cndmask_b32_e32 v2, v4, v2, vcc
	v_and_b32_e32 v4, 1, v6
	v_cndmask_b32_e32 v3, v5, v3, vcc
	v_cmp_eq_u32_e32 vcc, 1, v4
	s_andn2_b64 s[0:1], s[0:1], exec
	s_and_b64 s[8:9], vcc, exec
	v_and_b32_e32 v1, 0xff, v6
	s_or_b64 s[0:1], s[0:1], s[8:9]
; %bb.10:
	s_or_b64 exec, exec, s[2:3]
	v_mov_b32_dpp v6, v1 row_ror:8 row_mask:0xf bank_mask:0xf bound_ctrl:1
	v_and_b32_e32 v7, 1, v6
	v_mov_b32_dpp v4, v2 row_ror:8 row_mask:0xf bank_mask:0xf bound_ctrl:1
	v_mov_b32_dpp v5, v3 row_ror:8 row_mask:0xf bank_mask:0xf bound_ctrl:1
	v_cmp_eq_u32_e32 vcc, 1, v7
	s_and_saveexec_b64 s[2:3], vcc
; %bb.11:
	v_cmp_lt_i64_e32 vcc, v[2:3], v[4:5]
	v_cndmask_b32_e64 v6, v6, 1, s[0:1]
	s_and_b64 vcc, s[0:1], vcc
	v_cndmask_b32_e32 v2, v4, v2, vcc
	v_and_b32_e32 v4, 1, v6
	v_cndmask_b32_e32 v3, v5, v3, vcc
	v_cmp_eq_u32_e32 vcc, 1, v4
	s_andn2_b64 s[0:1], s[0:1], exec
	s_and_b64 s[8:9], vcc, exec
	v_and_b32_e32 v1, 0xff, v6
	s_or_b64 s[0:1], s[0:1], s[8:9]
; %bb.12:
	s_or_b64 exec, exec, s[2:3]
	v_mov_b32_dpp v6, v1 row_bcast:15 row_mask:0xf bank_mask:0xf bound_ctrl:1
	v_and_b32_e32 v7, 1, v6
	v_mov_b32_dpp v4, v2 row_bcast:15 row_mask:0xf bank_mask:0xf bound_ctrl:1
	v_mov_b32_dpp v5, v3 row_bcast:15 row_mask:0xf bank_mask:0xf bound_ctrl:1
	v_cmp_eq_u32_e32 vcc, 1, v7
	s_and_saveexec_b64 s[2:3], vcc
; %bb.13:
	v_cmp_lt_i64_e32 vcc, v[2:3], v[4:5]
	v_cndmask_b32_e64 v6, v6, 1, s[0:1]
	s_and_b64 vcc, s[0:1], vcc
	v_cndmask_b32_e32 v2, v4, v2, vcc
	v_and_b32_e32 v4, 1, v6
	v_cndmask_b32_e32 v3, v5, v3, vcc
	v_cmp_eq_u32_e32 vcc, 1, v4
	s_andn2_b64 s[0:1], s[0:1], exec
	s_and_b64 s[8:9], vcc, exec
	v_and_b32_e32 v1, 0xff, v6
	s_or_b64 s[0:1], s[0:1], s[8:9]
; %bb.14:
	s_or_b64 exec, exec, s[2:3]
	v_mov_b32_dpp v6, v1 row_bcast:31 row_mask:0xf bank_mask:0xf bound_ctrl:1
	v_and_b32_e32 v7, 1, v6
	v_mov_b32_dpp v4, v2 row_bcast:31 row_mask:0xf bank_mask:0xf bound_ctrl:1
	v_mov_b32_dpp v5, v3 row_bcast:31 row_mask:0xf bank_mask:0xf bound_ctrl:1
	v_cmp_eq_u32_e32 vcc, 1, v7
	s_and_saveexec_b64 s[2:3], vcc
; %bb.15:
	v_cmp_lt_i64_e32 vcc, v[2:3], v[4:5]
	v_and_b32_e32 v1, 0xff, v6
	s_and_b64 vcc, s[0:1], vcc
	v_cndmask_b32_e32 v2, v4, v2, vcc
	v_cndmask_b32_e32 v3, v5, v3, vcc
	v_cndmask_b32_e64 v1, v1, 1, s[0:1]
; %bb.16:
	s_or_b64 exec, exec, s[2:3]
	v_mbcnt_lo_u32_b32 v4, -1, 0
	v_mbcnt_hi_u32_b32 v4, -1, v4
	v_bfrev_b32_e32 v5, 0.5
	v_lshl_or_b32 v5, v4, 2, v5
	ds_bpermute_b32 v7, v5, v1
	ds_bpermute_b32 v2, v5, v2
	;; [unrolled: 1-line block ×3, first 2 shown]
	v_cmp_eq_u32_e32 vcc, 0, v4
	s_and_saveexec_b64 s[0:1], vcc
	s_cbranch_execz .LBB1953_18
; %bb.17:
	v_lshrrev_b32_e32 v1, 2, v0
	v_and_b32_e32 v1, 48, v1
	s_waitcnt lgkmcnt(2)
	ds_write_b8 v1, v7 offset:192
	s_waitcnt lgkmcnt(1)
	ds_write_b64 v1, v[2:3] offset:200
.LBB1953_18:
	s_or_b64 exec, exec, s[0:1]
	v_cmp_gt_u32_e32 vcc, 64, v0
	s_waitcnt lgkmcnt(0)
	s_barrier
	s_and_saveexec_b64 s[2:3], vcc
	s_cbranch_execz .LBB1953_20
; %bb.19:
	v_and_b32_e32 v1, 3, v4
	v_lshlrev_b32_e32 v2, 4, v1
	ds_read_u8 v5, v2 offset:192
	ds_read_b64 v[2:3], v2 offset:200
	v_cmp_ne_u32_e32 vcc, 3, v1
	v_addc_co_u32_e32 v6, vcc, 0, v4, vcc
	s_waitcnt lgkmcnt(1)
	v_and_b32_e32 v7, 0xff, v5
	v_lshlrev_b32_e32 v8, 2, v6
	ds_bpermute_b32 v9, v8, v7
	s_waitcnt lgkmcnt(1)
	ds_bpermute_b32 v6, v8, v2
	ds_bpermute_b32 v7, v8, v3
	v_and_b32_e32 v8, 1, v5
	s_waitcnt lgkmcnt(2)
	v_and_b32_e32 v10, 1, v9
	v_cmp_eq_u32_e64 s[0:1], 1, v10
	s_waitcnt lgkmcnt(0)
	v_cmp_lt_i64_e32 vcc, v[6:7], v[2:3]
	s_and_b64 vcc, s[0:1], vcc
	v_cndmask_b32_e64 v5, v5, 1, s[0:1]
	v_cndmask_b32_e32 v2, v2, v6, vcc
	v_cndmask_b32_e32 v3, v3, v7, vcc
	v_cmp_eq_u32_e32 vcc, 1, v8
	v_cndmask_b32_e32 v8, v9, v5, vcc
	v_cndmask_b32_e32 v3, v7, v3, vcc
	;; [unrolled: 1-line block ×3, first 2 shown]
	v_cmp_gt_u32_e32 vcc, 2, v1
	v_cndmask_b32_e64 v1, 0, 1, vcc
	v_lshlrev_b32_e32 v1, 1, v1
	v_and_b32_e32 v5, 0xff, v8
	v_add_lshl_u32 v1, v1, v4, 2
	ds_bpermute_b32 v6, v1, v5
	ds_bpermute_b32 v4, v1, v2
	;; [unrolled: 1-line block ×3, first 2 shown]
	v_and_b32_e32 v1, 1, v8
	s_waitcnt lgkmcnt(2)
	v_and_b32_e32 v7, 1, v6
	v_cmp_eq_u32_e64 s[0:1], 1, v7
	s_waitcnt lgkmcnt(0)
	v_cmp_lt_i64_e32 vcc, v[4:5], v[2:3]
	s_and_b64 vcc, s[0:1], vcc
	v_cndmask_b32_e64 v7, v8, 1, s[0:1]
	v_cndmask_b32_e32 v2, v2, v4, vcc
	v_cndmask_b32_e32 v3, v3, v5, vcc
	v_cmp_eq_u32_e32 vcc, 1, v1
	v_cndmask_b32_e32 v1, v6, v7, vcc
	v_cndmask_b32_e32 v3, v5, v3, vcc
	;; [unrolled: 1-line block ×3, first 2 shown]
	v_and_b32_e32 v7, 0xff, v1
.LBB1953_20:
	s_or_b64 exec, exec, s[2:3]
	s_branch .LBB1953_89
.LBB1953_21:
	s_mov_b64 s[10:11], 0
                                        ; implicit-def: $vgpr4_vgpr5
                                        ; implicit-def: $vgpr1
	s_cbranch_execnz .LBB1953_133
	s_branch .LBB1953_208
.LBB1953_22:
	s_mov_b64 s[26:27], -1
.LBB1953_23:
	s_mov_b64 s[10:11], 0
                                        ; implicit-def: $vgpr4_vgpr5
                                        ; implicit-def: $vgpr1
	s_and_b64 vcc, exec, s[26:27]
	s_cbranch_vccz .LBB1953_94
.LBB1953_24:
	s_cmp_eq_u32 s33, 4
	s_cbranch_scc0 .LBB1953_43
; %bb.25:
	s_mov_b32 s7, 0
	s_lshl_b32 s14, s6, 10
	s_mov_b32 s15, s7
	s_lshr_b64 s[0:1], s[22:23], 10
	s_lshl_b64 s[2:3], s[14:15], 2
	s_add_u32 s12, s24, s2
	s_addc_u32 s13, s25, s3
	s_add_u32 s16, s20, s14
	s_addc_u32 s17, s21, 0
	s_cmp_lg_u64 s[0:1], s[6:7]
	s_cbranch_scc0 .LBB1953_95
; %bb.26:
	v_lshlrev_b32_e32 v1, 2, v0
	global_load_dword v2, v1, s[12:13] offset:2048
	global_load_dword v3, v1, s[12:13] offset:3072
	s_waitcnt lgkmcnt(1)
	global_load_dword v4, v1, s[12:13] offset:1024
	s_waitcnt lgkmcnt(0)
	global_load_dword v5, v1, s[12:13]
	v_mov_b32_e32 v1, s17
	v_add_co_u32_e32 v9, vcc, s16, v0
	v_mov_b32_e32 v6, 0x200
	v_mov_b32_e32 v7, 0x100
	v_addc_co_u32_e32 v1, vcc, 0, v1, vcc
	v_mov_b32_e32 v8, 0x300
	s_waitcnt vmcnt(3)
	v_cmp_eq_f32_e32 vcc, s31, v2
	s_waitcnt vmcnt(2)
	v_cmp_eq_f32_e64 s[0:1], s31, v3
	s_waitcnt vmcnt(1)
	v_cmp_eq_f32_e64 s[2:3], s31, v4
	;; [unrolled: 2-line block ×3, first 2 shown]
	v_cndmask_b32_e64 v2, v6, v7, s[2:3]
	s_or_b64 s[2:3], s[8:9], s[2:3]
	v_cndmask_b32_e64 v2, v2, 0, s[8:9]
	s_or_b64 vcc, s[2:3], vcc
	v_cndmask_b32_e32 v2, v8, v2, vcc
	v_add_co_u32_e64 v2, s[2:3], v9, v2
	s_or_b64 s[0:1], vcc, s[0:1]
	v_addc_co_u32_e64 v3, s[2:3], 0, v1, s[2:3]
	v_cndmask_b32_e64 v1, 0, 1, s[0:1]
	v_mov_b32_dpp v4, v2 quad_perm:[1,0,3,2] row_mask:0xf bank_mask:0xf bound_ctrl:1
	v_mov_b32_dpp v5, v3 quad_perm:[1,0,3,2] row_mask:0xf bank_mask:0xf bound_ctrl:1
	;; [unrolled: 1-line block ×3, first 2 shown]
	v_and_b32_e32 v7, 1, v6
	v_cmp_eq_u32_e32 vcc, 1, v7
	s_and_saveexec_b64 s[2:3], vcc
; %bb.27:
	v_cmp_lt_i64_e32 vcc, v[2:3], v[4:5]
	v_cndmask_b32_e64 v6, v6, 1, s[0:1]
	s_and_b64 vcc, s[0:1], vcc
	v_cndmask_b32_e32 v2, v4, v2, vcc
	v_and_b32_e32 v4, 1, v6
	v_cndmask_b32_e32 v3, v5, v3, vcc
	v_cmp_eq_u32_e32 vcc, 1, v4
	s_andn2_b64 s[0:1], s[0:1], exec
	s_and_b64 s[8:9], vcc, exec
	v_and_b32_e32 v1, 0xff, v6
	s_or_b64 s[0:1], s[0:1], s[8:9]
; %bb.28:
	s_or_b64 exec, exec, s[2:3]
	v_mov_b32_dpp v6, v1 quad_perm:[2,3,0,1] row_mask:0xf bank_mask:0xf bound_ctrl:1
	v_and_b32_e32 v7, 1, v6
	v_mov_b32_dpp v4, v2 quad_perm:[2,3,0,1] row_mask:0xf bank_mask:0xf bound_ctrl:1
	v_mov_b32_dpp v5, v3 quad_perm:[2,3,0,1] row_mask:0xf bank_mask:0xf bound_ctrl:1
	v_cmp_eq_u32_e32 vcc, 1, v7
	s_and_saveexec_b64 s[2:3], vcc
; %bb.29:
	v_cmp_lt_i64_e32 vcc, v[2:3], v[4:5]
	v_cndmask_b32_e64 v6, v6, 1, s[0:1]
	s_and_b64 vcc, s[0:1], vcc
	v_cndmask_b32_e32 v2, v4, v2, vcc
	v_and_b32_e32 v4, 1, v6
	v_cndmask_b32_e32 v3, v5, v3, vcc
	v_cmp_eq_u32_e32 vcc, 1, v4
	s_andn2_b64 s[0:1], s[0:1], exec
	s_and_b64 s[8:9], vcc, exec
	v_and_b32_e32 v1, 0xff, v6
	s_or_b64 s[0:1], s[0:1], s[8:9]
; %bb.30:
	s_or_b64 exec, exec, s[2:3]
	v_mov_b32_dpp v6, v1 row_ror:4 row_mask:0xf bank_mask:0xf bound_ctrl:1
	v_and_b32_e32 v7, 1, v6
	v_mov_b32_dpp v4, v2 row_ror:4 row_mask:0xf bank_mask:0xf bound_ctrl:1
	v_mov_b32_dpp v5, v3 row_ror:4 row_mask:0xf bank_mask:0xf bound_ctrl:1
	v_cmp_eq_u32_e32 vcc, 1, v7
	s_and_saveexec_b64 s[2:3], vcc
; %bb.31:
	v_cmp_lt_i64_e32 vcc, v[2:3], v[4:5]
	v_cndmask_b32_e64 v6, v6, 1, s[0:1]
	s_and_b64 vcc, s[0:1], vcc
	v_cndmask_b32_e32 v2, v4, v2, vcc
	v_and_b32_e32 v4, 1, v6
	v_cndmask_b32_e32 v3, v5, v3, vcc
	v_cmp_eq_u32_e32 vcc, 1, v4
	s_andn2_b64 s[0:1], s[0:1], exec
	s_and_b64 s[8:9], vcc, exec
	v_and_b32_e32 v1, 0xff, v6
	s_or_b64 s[0:1], s[0:1], s[8:9]
; %bb.32:
	s_or_b64 exec, exec, s[2:3]
	v_mov_b32_dpp v6, v1 row_ror:8 row_mask:0xf bank_mask:0xf bound_ctrl:1
	v_and_b32_e32 v7, 1, v6
	v_mov_b32_dpp v4, v2 row_ror:8 row_mask:0xf bank_mask:0xf bound_ctrl:1
	v_mov_b32_dpp v5, v3 row_ror:8 row_mask:0xf bank_mask:0xf bound_ctrl:1
	v_cmp_eq_u32_e32 vcc, 1, v7
	s_and_saveexec_b64 s[2:3], vcc
; %bb.33:
	v_cmp_lt_i64_e32 vcc, v[2:3], v[4:5]
	v_cndmask_b32_e64 v6, v6, 1, s[0:1]
	s_and_b64 vcc, s[0:1], vcc
	v_cndmask_b32_e32 v2, v4, v2, vcc
	v_and_b32_e32 v4, 1, v6
	v_cndmask_b32_e32 v3, v5, v3, vcc
	v_cmp_eq_u32_e32 vcc, 1, v4
	s_andn2_b64 s[0:1], s[0:1], exec
	s_and_b64 s[8:9], vcc, exec
	v_and_b32_e32 v1, 0xff, v6
	s_or_b64 s[0:1], s[0:1], s[8:9]
; %bb.34:
	s_or_b64 exec, exec, s[2:3]
	v_mov_b32_dpp v6, v1 row_bcast:15 row_mask:0xf bank_mask:0xf bound_ctrl:1
	v_and_b32_e32 v7, 1, v6
	v_mov_b32_dpp v4, v2 row_bcast:15 row_mask:0xf bank_mask:0xf bound_ctrl:1
	v_mov_b32_dpp v5, v3 row_bcast:15 row_mask:0xf bank_mask:0xf bound_ctrl:1
	v_cmp_eq_u32_e32 vcc, 1, v7
	s_and_saveexec_b64 s[2:3], vcc
; %bb.35:
	v_cmp_lt_i64_e32 vcc, v[2:3], v[4:5]
	v_cndmask_b32_e64 v6, v6, 1, s[0:1]
	s_and_b64 vcc, s[0:1], vcc
	v_cndmask_b32_e32 v2, v4, v2, vcc
	v_and_b32_e32 v4, 1, v6
	v_cndmask_b32_e32 v3, v5, v3, vcc
	v_cmp_eq_u32_e32 vcc, 1, v4
	s_andn2_b64 s[0:1], s[0:1], exec
	s_and_b64 s[8:9], vcc, exec
	v_and_b32_e32 v1, 0xff, v6
	s_or_b64 s[0:1], s[0:1], s[8:9]
; %bb.36:
	s_or_b64 exec, exec, s[2:3]
	v_mov_b32_dpp v6, v1 row_bcast:31 row_mask:0xf bank_mask:0xf bound_ctrl:1
	v_and_b32_e32 v7, 1, v6
	v_mov_b32_dpp v4, v2 row_bcast:31 row_mask:0xf bank_mask:0xf bound_ctrl:1
	v_mov_b32_dpp v5, v3 row_bcast:31 row_mask:0xf bank_mask:0xf bound_ctrl:1
	v_cmp_eq_u32_e32 vcc, 1, v7
	s_and_saveexec_b64 s[2:3], vcc
; %bb.37:
	v_cmp_lt_i64_e32 vcc, v[2:3], v[4:5]
	v_and_b32_e32 v1, 0xff, v6
	s_and_b64 vcc, s[0:1], vcc
	v_cndmask_b32_e32 v2, v4, v2, vcc
	v_cndmask_b32_e32 v3, v5, v3, vcc
	v_cndmask_b32_e64 v1, v1, 1, s[0:1]
; %bb.38:
	s_or_b64 exec, exec, s[2:3]
	v_mbcnt_lo_u32_b32 v4, -1, 0
	v_mbcnt_hi_u32_b32 v4, -1, v4
	v_bfrev_b32_e32 v5, 0.5
	v_lshl_or_b32 v5, v4, 2, v5
	ds_bpermute_b32 v6, v5, v1
	ds_bpermute_b32 v2, v5, v2
	;; [unrolled: 1-line block ×3, first 2 shown]
	v_cmp_eq_u32_e32 vcc, 0, v4
	s_and_saveexec_b64 s[0:1], vcc
	s_cbranch_execz .LBB1953_40
; %bb.39:
	v_lshrrev_b32_e32 v1, 2, v0
	v_and_b32_e32 v1, 48, v1
	s_waitcnt lgkmcnt(2)
	ds_write_b8 v1, v6 offset:128
	s_waitcnt lgkmcnt(1)
	ds_write_b64 v1, v[2:3] offset:136
.LBB1953_40:
	s_or_b64 exec, exec, s[0:1]
	v_cmp_gt_u32_e32 vcc, 64, v0
	s_waitcnt lgkmcnt(0)
	s_barrier
	s_and_saveexec_b64 s[2:3], vcc
	s_cbranch_execz .LBB1953_42
; %bb.41:
	v_and_b32_e32 v1, 3, v4
	v_lshlrev_b32_e32 v2, 4, v1
	ds_read_u8 v5, v2 offset:128
	ds_read_b64 v[2:3], v2 offset:136
	v_cmp_ne_u32_e32 vcc, 3, v1
	v_addc_co_u32_e32 v6, vcc, 0, v4, vcc
	s_waitcnt lgkmcnt(1)
	v_and_b32_e32 v7, 0xff, v5
	v_lshlrev_b32_e32 v8, 2, v6
	ds_bpermute_b32 v9, v8, v7
	s_waitcnt lgkmcnt(1)
	ds_bpermute_b32 v6, v8, v2
	ds_bpermute_b32 v7, v8, v3
	v_and_b32_e32 v8, 1, v5
	s_waitcnt lgkmcnt(2)
	v_and_b32_e32 v10, 1, v9
	v_cmp_eq_u32_e64 s[0:1], 1, v10
	s_waitcnt lgkmcnt(0)
	v_cmp_lt_i64_e32 vcc, v[6:7], v[2:3]
	s_and_b64 vcc, s[0:1], vcc
	v_cndmask_b32_e64 v5, v5, 1, s[0:1]
	v_cndmask_b32_e32 v2, v2, v6, vcc
	v_cndmask_b32_e32 v3, v3, v7, vcc
	v_cmp_eq_u32_e32 vcc, 1, v8
	v_cndmask_b32_e32 v8, v9, v5, vcc
	v_cndmask_b32_e32 v3, v7, v3, vcc
	;; [unrolled: 1-line block ×3, first 2 shown]
	v_cmp_gt_u32_e32 vcc, 2, v1
	v_cndmask_b32_e64 v1, 0, 1, vcc
	v_lshlrev_b32_e32 v1, 1, v1
	v_and_b32_e32 v5, 0xff, v8
	v_add_lshl_u32 v1, v1, v4, 2
	ds_bpermute_b32 v6, v1, v5
	ds_bpermute_b32 v4, v1, v2
	;; [unrolled: 1-line block ×3, first 2 shown]
	v_and_b32_e32 v1, 1, v8
	s_waitcnt lgkmcnt(2)
	v_and_b32_e32 v7, 1, v6
	v_cmp_eq_u32_e64 s[0:1], 1, v7
	s_waitcnt lgkmcnt(0)
	v_cmp_lt_i64_e32 vcc, v[4:5], v[2:3]
	s_and_b64 vcc, s[0:1], vcc
	v_cndmask_b32_e64 v7, v8, 1, s[0:1]
	v_cndmask_b32_e32 v2, v2, v4, vcc
	v_cndmask_b32_e32 v3, v3, v5, vcc
	v_cmp_eq_u32_e32 vcc, 1, v1
	v_cndmask_b32_e32 v1, v6, v7, vcc
	v_cndmask_b32_e32 v3, v5, v3, vcc
	;; [unrolled: 1-line block ×3, first 2 shown]
	v_and_b32_e32 v6, 0xff, v1
.LBB1953_42:
	s_or_b64 exec, exec, s[2:3]
	s_branch .LBB1953_128
.LBB1953_43:
                                        ; implicit-def: $vgpr4_vgpr5
                                        ; implicit-def: $vgpr1
	s_branch .LBB1953_208
.LBB1953_44:
                                        ; implicit-def: $vgpr2_vgpr3
                                        ; implicit-def: $vgpr7
	s_cbranch_execz .LBB1953_89
; %bb.45:
	s_sub_i32 s36, s22, s12
	v_pk_mov_b32 v[10:11], 0, 0
	v_cmp_gt_u32_e32 vcc, s36, v0
	v_mov_b32_e32 v21, 0
	v_pk_mov_b32 v[2:3], v[10:11], v[10:11] op_sel:[0,1]
	v_mov_b32_e32 v1, 0
	s_and_saveexec_b64 s[0:1], vcc
	s_cbranch_execz .LBB1953_47
; %bb.46:
	v_lshlrev_b32_e32 v1, 2, v0
	global_load_dword v1, v1, s[16:17]
	v_mov_b32_e32 v3, s35
	v_add_co_u32_e32 v2, vcc, s34, v0
	v_addc_co_u32_e32 v3, vcc, 0, v3, vcc
	s_waitcnt vmcnt(0)
	v_cmp_eq_f32_e32 vcc, s31, v1
	v_cndmask_b32_e64 v1, 0, 1, vcc
.LBB1953_47:
	s_or_b64 exec, exec, s[0:1]
	v_or_b32_e32 v4, 0x100, v0
	v_cmp_gt_u32_e64 s[14:15], s36, v4
	s_and_saveexec_b64 s[0:1], s[14:15]
	s_cbranch_execz .LBB1953_49
; %bb.48:
	v_lshlrev_b32_e32 v5, 2, v0
	global_load_dword v5, v5, s[16:17] offset:1024
	v_mov_b32_e32 v6, s35
	v_add_co_u32_e32 v10, vcc, s34, v4
	v_addc_co_u32_e32 v11, vcc, 0, v6, vcc
	s_waitcnt vmcnt(0)
	v_cmp_eq_f32_e32 vcc, s31, v5
	v_cndmask_b32_e64 v21, 0, 1, vcc
.LBB1953_49:
	s_or_b64 exec, exec, s[0:1]
	v_or_b32_e32 v4, 0x200, v0
	v_pk_mov_b32 v[8:9], 0, 0
	v_cmp_gt_u32_e64 s[12:13], s36, v4
	v_mov_b32_e32 v20, 0
	v_pk_mov_b32 v[16:17], v[8:9], v[8:9] op_sel:[0,1]
	v_mov_b32_e32 v24, 0
	s_and_saveexec_b64 s[0:1], s[12:13]
	s_cbranch_execz .LBB1953_51
; %bb.50:
	v_lshlrev_b32_e32 v5, 2, v0
	global_load_dword v5, v5, s[16:17] offset:2048
	v_mov_b32_e32 v6, s35
	v_add_co_u32_e32 v16, vcc, s34, v4
	v_addc_co_u32_e32 v17, vcc, 0, v6, vcc
	s_waitcnt vmcnt(0)
	v_cmp_eq_f32_e32 vcc, s31, v5
	v_cndmask_b32_e64 v24, 0, 1, vcc
.LBB1953_51:
	s_or_b64 exec, exec, s[0:1]
	v_or_b32_e32 v4, 0x300, v0
	v_cmp_gt_u32_e64 s[10:11], s36, v4
	s_and_saveexec_b64 s[0:1], s[10:11]
	s_cbranch_execz .LBB1953_53
; %bb.52:
	v_lshlrev_b32_e32 v5, 2, v0
	global_load_dword v5, v5, s[16:17] offset:3072
	v_mov_b32_e32 v6, s35
	v_add_co_u32_e32 v8, vcc, s34, v4
	v_addc_co_u32_e32 v9, vcc, 0, v6, vcc
	s_waitcnt vmcnt(0)
	v_cmp_eq_f32_e32 vcc, s31, v5
	v_cndmask_b32_e64 v20, 0, 1, vcc
.LBB1953_53:
	s_or_b64 exec, exec, s[0:1]
	v_or_b32_e32 v4, 0x400, v0
	v_pk_mov_b32 v[6:7], 0, 0
	v_cmp_gt_u32_e64 s[8:9], s36, v4
	v_mov_b32_e32 v19, 0
	v_pk_mov_b32 v[14:15], v[6:7], v[6:7] op_sel:[0,1]
	v_mov_b32_e32 v23, 0
	s_and_saveexec_b64 s[0:1], s[8:9]
	s_cbranch_execz .LBB1953_55
; %bb.54:
	v_lshlrev_b32_e32 v5, 2, v4
	global_load_dword v5, v5, s[16:17]
	v_mov_b32_e32 v12, s35
	v_add_co_u32_e32 v14, vcc, s34, v4
	v_addc_co_u32_e32 v15, vcc, 0, v12, vcc
	s_waitcnt vmcnt(0)
	v_cmp_eq_f32_e32 vcc, s31, v5
	v_cndmask_b32_e64 v23, 0, 1, vcc
.LBB1953_55:
	s_or_b64 exec, exec, s[0:1]
	v_or_b32_e32 v4, 0x500, v0
	v_cmp_gt_u32_e64 s[2:3], s36, v4
	s_and_saveexec_b64 s[0:1], s[2:3]
	s_cbranch_execz .LBB1953_57
; %bb.56:
	v_lshlrev_b32_e32 v5, 2, v4
	global_load_dword v5, v5, s[16:17]
	v_mov_b32_e32 v7, s35
	v_add_co_u32_e32 v6, vcc, s34, v4
	v_addc_co_u32_e32 v7, vcc, 0, v7, vcc
	s_waitcnt vmcnt(0)
	v_cmp_eq_f32_e32 vcc, s31, v5
	v_cndmask_b32_e64 v19, 0, 1, vcc
.LBB1953_57:
	s_or_b64 exec, exec, s[0:1]
	v_or_b32_e32 v25, 0x600, v0
	v_pk_mov_b32 v[4:5], 0, 0
	v_cmp_gt_u32_e64 s[0:1], s36, v25
	v_mov_b32_e32 v18, 0
	v_mov_b32_e32 v22, 0
	v_pk_mov_b32 v[12:13], v[4:5], v[4:5] op_sel:[0,1]
	s_and_saveexec_b64 s[28:29], s[0:1]
	s_cbranch_execz .LBB1953_59
; %bb.58:
	v_lshlrev_b32_e32 v12, 2, v25
	global_load_dword v22, v12, s[16:17]
	v_mov_b32_e32 v13, s35
	v_add_co_u32_e32 v12, vcc, s34, v25
	v_addc_co_u32_e32 v13, vcc, 0, v13, vcc
	s_waitcnt vmcnt(0)
	v_cmp_eq_f32_e32 vcc, s31, v22
	v_cndmask_b32_e64 v22, 0, 1, vcc
.LBB1953_59:
	s_or_b64 exec, exec, s[28:29]
	v_or_b32_e32 v25, 0x700, v0
	v_cmp_gt_u32_e32 vcc, s36, v25
	s_and_saveexec_b64 s[28:29], vcc
	s_cbranch_execnz .LBB1953_240
; %bb.60:
	s_or_b64 exec, exec, s[28:29]
	s_and_saveexec_b64 s[28:29], s[14:15]
	s_cbranch_execnz .LBB1953_241
.LBB1953_61:
	s_or_b64 exec, exec, s[28:29]
	s_and_saveexec_b64 s[16:17], s[12:13]
	s_cbranch_execnz .LBB1953_242
.LBB1953_62:
	s_or_b64 exec, exec, s[16:17]
	s_and_saveexec_b64 s[14:15], s[10:11]
	s_cbranch_execnz .LBB1953_243
.LBB1953_63:
	s_or_b64 exec, exec, s[14:15]
	s_and_saveexec_b64 s[12:13], s[8:9]
	s_cbranch_execnz .LBB1953_244
.LBB1953_64:
	s_or_b64 exec, exec, s[12:13]
	s_and_saveexec_b64 s[10:11], s[2:3]
	s_cbranch_execnz .LBB1953_245
.LBB1953_65:
	s_or_b64 exec, exec, s[10:11]
	s_and_saveexec_b64 s[8:9], s[0:1]
	s_cbranch_execnz .LBB1953_246
.LBB1953_66:
	s_or_b64 exec, exec, s[8:9]
	s_and_saveexec_b64 s[2:3], vcc
	s_cbranch_execz .LBB1953_68
.LBB1953_67:
	v_and_b32_e32 v7, 1, v18
	v_cmp_lt_i64_e32 vcc, v[4:5], v[2:3]
	v_cmp_eq_u32_e64 s[0:1], 1, v7
	v_and_b32_e32 v6, 1, v1
	s_and_b64 vcc, s[0:1], vcc
	v_cndmask_b32_e64 v1, v1, 1, s[0:1]
	v_cndmask_b32_e32 v2, v2, v4, vcc
	v_cndmask_b32_e32 v3, v3, v5, vcc
	v_cmp_eq_u32_e32 vcc, 1, v6
	v_cndmask_b32_e32 v1, v18, v1, vcc
	v_cndmask_b32_e32 v3, v5, v3, vcc
	;; [unrolled: 1-line block ×3, first 2 shown]
.LBB1953_68:
	s_or_b64 exec, exec, s[2:3]
	v_mbcnt_lo_u32_b32 v4, -1, 0
	v_mbcnt_hi_u32_b32 v6, -1, v4
	v_and_b32_e32 v8, 63, v6
	v_cmp_ne_u32_e32 vcc, 63, v8
	v_addc_co_u32_e32 v4, vcc, 0, v6, vcc
	v_and_b32_e32 v7, 0xffff, v1
	v_lshlrev_b32_e32 v5, 2, v4
	ds_bpermute_b32 v11, v5, v7
	ds_bpermute_b32 v4, v5, v2
	;; [unrolled: 1-line block ×3, first 2 shown]
	s_min_u32 s8, s36, 0x100
	v_and_b32_e32 v9, 0xc0, v0
	v_sub_u32_e64 v10, s8, v9 clamp
	v_add_u32_e32 v9, 1, v8
	v_cmp_lt_u32_e32 vcc, v9, v10
	v_mov_b32_e32 v9, v7
	s_and_saveexec_b64 s[0:1], vcc
	s_xor_b64 s[2:3], exec, s[0:1]
	s_cbranch_execz .LBB1953_70
; %bb.69:
	s_waitcnt lgkmcnt(2)
	v_and_b32_e32 v9, 1, v11
	s_waitcnt lgkmcnt(0)
	v_cmp_lt_i64_e32 vcc, v[4:5], v[2:3]
	v_cmp_eq_u32_e64 s[0:1], 1, v9
	v_and_b32_e32 v1, 1, v1
	s_and_b64 vcc, s[0:1], vcc
	v_cndmask_b32_e64 v7, v7, 1, s[0:1]
	v_cndmask_b32_e32 v2, v2, v4, vcc
	v_cndmask_b32_e32 v3, v3, v5, vcc
	v_cmp_eq_u32_e32 vcc, 1, v1
	v_cndmask_b32_e32 v9, v11, v7, vcc
	v_cndmask_b32_e32 v3, v5, v3, vcc
	;; [unrolled: 1-line block ×3, first 2 shown]
	v_and_b32_e32 v7, 0xff, v9
.LBB1953_70:
	s_or_b64 exec, exec, s[2:3]
	v_cmp_gt_u32_e32 vcc, 62, v8
	v_cndmask_b32_e64 v1, 0, 1, vcc
	v_lshlrev_b32_e32 v1, 1, v1
	s_waitcnt lgkmcnt(0)
	v_add_lshl_u32 v5, v1, v6, 2
	ds_bpermute_b32 v1, v5, v7
	ds_bpermute_b32 v4, v5, v2
	ds_bpermute_b32 v5, v5, v3
	v_add_u32_e32 v11, 2, v8
	v_cmp_lt_u32_e32 vcc, v11, v10
	s_and_saveexec_b64 s[2:3], vcc
	s_cbranch_execz .LBB1953_72
; %bb.71:
	s_waitcnt lgkmcnt(2)
	v_and_b32_e32 v11, 1, v1
	s_waitcnt lgkmcnt(0)
	v_cmp_lt_i64_e32 vcc, v[4:5], v[2:3]
	v_cmp_eq_u32_e64 s[0:1], 1, v11
	v_and_b32_e32 v7, 1, v9
	s_and_b64 vcc, s[0:1], vcc
	v_cndmask_b32_e64 v9, v9, 1, s[0:1]
	v_cndmask_b32_e32 v2, v2, v4, vcc
	v_cndmask_b32_e32 v3, v3, v5, vcc
	v_cmp_eq_u32_e32 vcc, 1, v7
	v_cndmask_b32_e32 v9, v1, v9, vcc
	v_cndmask_b32_e32 v3, v5, v3, vcc
	v_cndmask_b32_e32 v2, v4, v2, vcc
	v_and_b32_e32 v7, 0xff, v9
.LBB1953_72:
	s_or_b64 exec, exec, s[2:3]
	v_cmp_gt_u32_e32 vcc, 60, v8
	s_waitcnt lgkmcnt(2)
	v_cndmask_b32_e64 v1, 0, 1, vcc
	v_lshlrev_b32_e32 v1, 2, v1
	s_waitcnt lgkmcnt(0)
	v_add_lshl_u32 v5, v1, v6, 2
	ds_bpermute_b32 v1, v5, v7
	ds_bpermute_b32 v4, v5, v2
	ds_bpermute_b32 v5, v5, v3
	v_add_u32_e32 v11, 4, v8
	v_cmp_lt_u32_e32 vcc, v11, v10
	s_and_saveexec_b64 s[2:3], vcc
	s_cbranch_execz .LBB1953_74
; %bb.73:
	s_waitcnt lgkmcnt(2)
	v_and_b32_e32 v11, 1, v1
	s_waitcnt lgkmcnt(0)
	v_cmp_lt_i64_e32 vcc, v[4:5], v[2:3]
	v_cmp_eq_u32_e64 s[0:1], 1, v11
	v_and_b32_e32 v7, 1, v9
	s_and_b64 vcc, s[0:1], vcc
	v_cndmask_b32_e64 v9, v9, 1, s[0:1]
	v_cndmask_b32_e32 v2, v2, v4, vcc
	v_cndmask_b32_e32 v3, v3, v5, vcc
	v_cmp_eq_u32_e32 vcc, 1, v7
	v_cndmask_b32_e32 v9, v1, v9, vcc
	v_cndmask_b32_e32 v3, v5, v3, vcc
	v_cndmask_b32_e32 v2, v4, v2, vcc
	v_and_b32_e32 v7, 0xff, v9
.LBB1953_74:
	s_or_b64 exec, exec, s[2:3]
	v_cmp_gt_u32_e32 vcc, 56, v8
	s_waitcnt lgkmcnt(2)
	;; [unrolled: 31-line block ×4, first 2 shown]
	v_cndmask_b32_e64 v1, 0, 1, vcc
	v_lshlrev_b32_e32 v1, 5, v1
	s_waitcnt lgkmcnt(0)
	v_add_lshl_u32 v5, v1, v6, 2
	ds_bpermute_b32 v1, v5, v7
	ds_bpermute_b32 v4, v5, v2
	;; [unrolled: 1-line block ×3, first 2 shown]
	v_add_u32_e32 v8, 32, v8
	v_cmp_lt_u32_e32 vcc, v8, v10
	s_and_saveexec_b64 s[2:3], vcc
	s_cbranch_execz .LBB1953_80
; %bb.79:
	s_waitcnt lgkmcnt(2)
	v_and_b32_e32 v8, 1, v1
	s_waitcnt lgkmcnt(0)
	v_cmp_lt_i64_e32 vcc, v[4:5], v[2:3]
	v_cmp_eq_u32_e64 s[0:1], 1, v8
	v_and_b32_e32 v7, 1, v9
	s_and_b64 vcc, s[0:1], vcc
	v_cndmask_b32_e64 v8, v9, 1, s[0:1]
	v_cndmask_b32_e32 v2, v2, v4, vcc
	v_cndmask_b32_e32 v3, v3, v5, vcc
	v_cmp_eq_u32_e32 vcc, 1, v7
	v_cndmask_b32_e32 v9, v1, v8, vcc
	v_cndmask_b32_e32 v3, v5, v3, vcc
	;; [unrolled: 1-line block ×3, first 2 shown]
	v_and_b32_e32 v7, 0xff, v9
.LBB1953_80:
	s_or_b64 exec, exec, s[2:3]
	v_cmp_eq_u32_e32 vcc, 0, v6
	s_and_saveexec_b64 s[0:1], vcc
	s_cbranch_execz .LBB1953_82
; %bb.81:
	s_waitcnt lgkmcnt(2)
	v_lshrrev_b32_e32 v1, 2, v0
	v_and_b32_e32 v1, 48, v1
	ds_write_b8 v1, v9 offset:256
	ds_write_b64 v1, v[2:3] offset:264
.LBB1953_82:
	s_or_b64 exec, exec, s[0:1]
	v_cmp_gt_u32_e32 vcc, 4, v0
	s_waitcnt lgkmcnt(0)
	s_barrier
	s_and_saveexec_b64 s[2:3], vcc
	s_cbranch_execz .LBB1953_88
; %bb.83:
	v_lshlrev_b32_e32 v2, 4, v6
	ds_read_u8 v1, v2 offset:256
	ds_read_b64 v[2:3], v2 offset:264
	v_and_b32_e32 v8, 3, v6
	v_cmp_ne_u32_e32 vcc, 3, v8
	v_addc_co_u32_e32 v4, vcc, 0, v6, vcc
	s_waitcnt lgkmcnt(1)
	v_and_b32_e32 v7, 0xff, v1
	v_lshlrev_b32_e32 v5, 2, v4
	ds_bpermute_b32 v9, v5, v7
	s_waitcnt lgkmcnt(1)
	ds_bpermute_b32 v4, v5, v2
	ds_bpermute_b32 v5, v5, v3
	s_add_i32 s8, s8, 63
	s_lshr_b32 s10, s8, 6
	v_add_u32_e32 v10, 1, v8
	v_cmp_gt_u32_e32 vcc, s10, v10
	s_and_saveexec_b64 s[8:9], vcc
	s_cbranch_execz .LBB1953_85
; %bb.84:
	s_waitcnt lgkmcnt(2)
	v_and_b32_e32 v10, 1, v9
	s_waitcnt lgkmcnt(0)
	v_cmp_lt_i64_e32 vcc, v[4:5], v[2:3]
	v_cmp_eq_u32_e64 s[0:1], 1, v10
	v_and_b32_e32 v7, 1, v1
	s_and_b64 vcc, s[0:1], vcc
	v_cndmask_b32_e64 v1, v1, 1, s[0:1]
	v_cndmask_b32_e32 v2, v2, v4, vcc
	v_cndmask_b32_e32 v3, v3, v5, vcc
	v_cmp_eq_u32_e32 vcc, 1, v7
	v_cndmask_b32_e32 v1, v9, v1, vcc
	v_cndmask_b32_e32 v3, v5, v3, vcc
	;; [unrolled: 1-line block ×3, first 2 shown]
	v_and_b32_e32 v7, 0xff, v1
.LBB1953_85:
	s_or_b64 exec, exec, s[8:9]
	v_cmp_gt_u32_e32 vcc, 2, v8
	s_waitcnt lgkmcnt(1)
	v_cndmask_b32_e64 v4, 0, 1, vcc
	v_lshlrev_b32_e32 v4, 1, v4
	s_waitcnt lgkmcnt(0)
	v_add_lshl_u32 v5, v4, v6, 2
	ds_bpermute_b32 v6, v5, v7
	ds_bpermute_b32 v4, v5, v2
	;; [unrolled: 1-line block ×3, first 2 shown]
	v_add_u32_e32 v8, 2, v8
	v_cmp_gt_u32_e32 vcc, s10, v8
	s_and_saveexec_b64 s[8:9], vcc
	s_cbranch_execz .LBB1953_87
; %bb.86:
	s_waitcnt lgkmcnt(2)
	v_and_b32_e32 v8, 1, v6
	s_waitcnt lgkmcnt(0)
	v_cmp_lt_i64_e32 vcc, v[4:5], v[2:3]
	v_cmp_eq_u32_e64 s[0:1], 1, v8
	v_and_b32_e32 v7, 1, v1
	s_and_b64 vcc, s[0:1], vcc
	v_cndmask_b32_e64 v1, v1, 1, s[0:1]
	v_cndmask_b32_e32 v2, v2, v4, vcc
	v_cndmask_b32_e32 v3, v3, v5, vcc
	v_cmp_eq_u32_e32 vcc, 1, v7
	v_cndmask_b32_e32 v1, v6, v1, vcc
	v_cndmask_b32_e32 v3, v5, v3, vcc
	;; [unrolled: 1-line block ×3, first 2 shown]
	v_and_b32_e32 v7, 0xff, v1
.LBB1953_87:
	s_or_b64 exec, exec, s[8:9]
.LBB1953_88:
	s_or_b64 exec, exec, s[2:3]
.LBB1953_89:
	v_cmp_eq_u32_e32 vcc, 0, v0
	s_mov_b64 s[10:11], 0
                                        ; implicit-def: $vgpr4_vgpr5
                                        ; implicit-def: $vgpr1
	s_and_saveexec_b64 s[0:1], vcc
	s_xor_b64 s[8:9], exec, s[0:1]
	s_cbranch_execz .LBB1953_93
; %bb.90:
	s_cmp_eq_u64 s[22:23], 0
	s_waitcnt lgkmcnt(0)
	v_pk_mov_b32 v[4:5], s[18:19], s[18:19] op_sel:[0,1]
	v_mov_b32_e32 v1, s30
	s_cbranch_scc1 .LBB1953_92
; %bb.91:
	v_and_b32_e32 v1, 1, v7
	s_bitcmp1_b32 s30, 0
	v_mov_b32_e32 v4, s30
	v_cmp_eq_u32_e32 vcc, 1, v1
	v_cmp_gt_i64_e64 s[2:3], s[18:19], v[2:3]
	v_cndmask_b32_e64 v1, v4, 1, vcc
	s_cselect_b64 s[0:1], -1, 0
	v_mov_b32_e32 v4, s18
	s_and_b64 vcc, vcc, s[2:3]
	v_mov_b32_e32 v5, s19
	v_cndmask_b32_e32 v4, v4, v2, vcc
	v_cndmask_b32_e32 v5, v5, v3, vcc
	v_cndmask_b32_e64 v1, v7, v1, s[0:1]
	v_cndmask_b32_e64 v5, v3, v5, s[0:1]
	;; [unrolled: 1-line block ×3, first 2 shown]
.LBB1953_92:
	s_mov_b64 s[10:11], exec
.LBB1953_93:
	s_or_b64 exec, exec, s[8:9]
	s_and_b64 vcc, exec, s[26:27]
	s_cbranch_vccnz .LBB1953_24
.LBB1953_94:
	s_branch .LBB1953_208
.LBB1953_95:
                                        ; implicit-def: $vgpr2_vgpr3
                                        ; implicit-def: $vgpr6
	s_cbranch_execz .LBB1953_128
; %bb.96:
	s_sub_i32 s26, s22, s14
	s_waitcnt lgkmcnt(2)
	v_pk_mov_b32 v[6:7], 0, 0
	v_cmp_gt_u32_e32 vcc, s26, v0
	v_mov_b32_e32 v11, 0
	v_pk_mov_b32 v[2:3], v[6:7], v[6:7] op_sel:[0,1]
	v_mov_b32_e32 v10, 0
	s_and_saveexec_b64 s[0:1], vcc
	s_cbranch_execz .LBB1953_98
; %bb.97:
	v_lshlrev_b32_e32 v1, 2, v0
	global_load_dword v1, v1, s[12:13]
	v_mov_b32_e32 v3, s17
	v_add_co_u32_e32 v2, vcc, s16, v0
	v_addc_co_u32_e32 v3, vcc, 0, v3, vcc
	s_waitcnt vmcnt(0)
	v_cmp_eq_f32_e32 vcc, s31, v1
	v_cndmask_b32_e64 v10, 0, 1, vcc
.LBB1953_98:
	s_or_b64 exec, exec, s[0:1]
	v_or_b32_e32 v1, 0x100, v0
	v_cmp_gt_u32_e64 s[2:3], s26, v1
	s_and_saveexec_b64 s[0:1], s[2:3]
	s_cbranch_execz .LBB1953_100
; %bb.99:
	s_waitcnt lgkmcnt(1)
	v_lshlrev_b32_e32 v4, 2, v0
	global_load_dword v4, v4, s[12:13] offset:1024
	s_waitcnt lgkmcnt(0)
	v_mov_b32_e32 v5, s17
	v_add_co_u32_e32 v6, vcc, s16, v1
	v_addc_co_u32_e32 v7, vcc, 0, v5, vcc
	s_waitcnt vmcnt(0)
	v_cmp_eq_f32_e32 vcc, s31, v4
	v_cndmask_b32_e64 v11, 0, 1, vcc
.LBB1953_100:
	s_or_b64 exec, exec, s[0:1]
	v_or_b32_e32 v13, 0x200, v0
	s_waitcnt lgkmcnt(0)
	v_pk_mov_b32 v[4:5], 0, 0
	v_cmp_gt_u32_e64 s[0:1], s26, v13
	v_mov_b32_e32 v1, 0
	v_pk_mov_b32 v[8:9], v[4:5], v[4:5] op_sel:[0,1]
	v_mov_b32_e32 v12, 0
	s_and_saveexec_b64 s[8:9], s[0:1]
	s_cbranch_execz .LBB1953_102
; %bb.101:
	v_lshlrev_b32_e32 v8, 2, v0
	global_load_dword v12, v8, s[12:13] offset:2048
	v_mov_b32_e32 v9, s17
	v_add_co_u32_e32 v8, vcc, s16, v13
	v_addc_co_u32_e32 v9, vcc, 0, v9, vcc
	s_waitcnt vmcnt(0)
	v_cmp_eq_f32_e32 vcc, s31, v12
	v_cndmask_b32_e64 v12, 0, 1, vcc
.LBB1953_102:
	s_or_b64 exec, exec, s[8:9]
	v_or_b32_e32 v13, 0x300, v0
	v_cmp_gt_u32_e32 vcc, s26, v13
	s_and_saveexec_b64 s[14:15], vcc
	s_cbranch_execnz .LBB1953_247
; %bb.103:
	s_or_b64 exec, exec, s[14:15]
	s_and_saveexec_b64 s[12:13], s[2:3]
	s_cbranch_execnz .LBB1953_248
.LBB1953_104:
	s_or_b64 exec, exec, s[12:13]
	s_and_saveexec_b64 s[8:9], s[0:1]
	s_cbranch_execnz .LBB1953_249
.LBB1953_105:
	s_or_b64 exec, exec, s[8:9]
	s_and_saveexec_b64 s[2:3], vcc
	s_cbranch_execz .LBB1953_107
.LBB1953_106:
	v_and_b32_e32 v7, 1, v1
	v_cmp_lt_i64_e32 vcc, v[4:5], v[2:3]
	v_cmp_eq_u32_e64 s[0:1], 1, v7
	v_and_b32_e32 v6, 1, v10
	s_and_b64 vcc, s[0:1], vcc
	v_cndmask_b32_e64 v7, v10, 1, s[0:1]
	v_cndmask_b32_e32 v2, v2, v4, vcc
	v_cndmask_b32_e32 v3, v3, v5, vcc
	v_cmp_eq_u32_e32 vcc, 1, v6
	v_cndmask_b32_e32 v10, v1, v7, vcc
	v_cndmask_b32_e32 v3, v5, v3, vcc
	;; [unrolled: 1-line block ×3, first 2 shown]
.LBB1953_107:
	s_or_b64 exec, exec, s[2:3]
	v_mbcnt_lo_u32_b32 v1, -1, 0
	v_mbcnt_hi_u32_b32 v1, -1, v1
	v_and_b32_e32 v7, 63, v1
	v_cmp_ne_u32_e32 vcc, 63, v7
	v_addc_co_u32_e32 v4, vcc, 0, v1, vcc
	v_and_b32_e32 v6, 0xffff, v10
	v_lshlrev_b32_e32 v5, 2, v4
	ds_bpermute_b32 v11, v5, v6
	ds_bpermute_b32 v4, v5, v2
	;; [unrolled: 1-line block ×3, first 2 shown]
	s_min_u32 s8, s26, 0x100
	v_and_b32_e32 v8, 0xc0, v0
	v_sub_u32_e64 v9, s8, v8 clamp
	v_add_u32_e32 v8, 1, v7
	v_cmp_lt_u32_e32 vcc, v8, v9
	v_mov_b32_e32 v8, v6
	s_and_saveexec_b64 s[0:1], vcc
	s_xor_b64 s[2:3], exec, s[0:1]
	s_cbranch_execz .LBB1953_109
; %bb.108:
	v_and_b32_e32 v8, 1, v10
	s_waitcnt lgkmcnt(2)
	v_and_b32_e32 v10, 1, v11
	s_waitcnt lgkmcnt(0)
	v_cmp_lt_i64_e32 vcc, v[4:5], v[2:3]
	v_cmp_eq_u32_e64 s[0:1], 1, v10
	s_and_b64 vcc, s[0:1], vcc
	v_cndmask_b32_e64 v6, v6, 1, s[0:1]
	v_cndmask_b32_e32 v2, v2, v4, vcc
	v_cndmask_b32_e32 v3, v3, v5, vcc
	v_cmp_eq_u32_e32 vcc, 1, v8
	v_cndmask_b32_e32 v8, v11, v6, vcc
	v_cndmask_b32_e32 v3, v5, v3, vcc
	;; [unrolled: 1-line block ×3, first 2 shown]
	v_and_b32_e32 v6, 0xff, v8
.LBB1953_109:
	s_or_b64 exec, exec, s[2:3]
	v_cmp_gt_u32_e32 vcc, 62, v7
	s_waitcnt lgkmcnt(1)
	v_cndmask_b32_e64 v4, 0, 1, vcc
	v_lshlrev_b32_e32 v4, 1, v4
	s_waitcnt lgkmcnt(0)
	v_add_lshl_u32 v5, v4, v1, 2
	ds_bpermute_b32 v10, v5, v6
	ds_bpermute_b32 v4, v5, v2
	ds_bpermute_b32 v5, v5, v3
	v_add_u32_e32 v11, 2, v7
	v_cmp_lt_u32_e32 vcc, v11, v9
	s_and_saveexec_b64 s[2:3], vcc
	s_cbranch_execz .LBB1953_111
; %bb.110:
	s_waitcnt lgkmcnt(2)
	v_and_b32_e32 v11, 1, v10
	s_waitcnt lgkmcnt(0)
	v_cmp_lt_i64_e32 vcc, v[4:5], v[2:3]
	v_cmp_eq_u32_e64 s[0:1], 1, v11
	v_and_b32_e32 v6, 1, v8
	s_and_b64 vcc, s[0:1], vcc
	v_cndmask_b32_e64 v8, v8, 1, s[0:1]
	v_cndmask_b32_e32 v2, v2, v4, vcc
	v_cndmask_b32_e32 v3, v3, v5, vcc
	v_cmp_eq_u32_e32 vcc, 1, v6
	v_cndmask_b32_e32 v8, v10, v8, vcc
	v_cndmask_b32_e32 v3, v5, v3, vcc
	v_cndmask_b32_e32 v2, v4, v2, vcc
	v_and_b32_e32 v6, 0xff, v8
.LBB1953_111:
	s_or_b64 exec, exec, s[2:3]
	v_cmp_gt_u32_e32 vcc, 60, v7
	s_waitcnt lgkmcnt(1)
	v_cndmask_b32_e64 v4, 0, 1, vcc
	v_lshlrev_b32_e32 v4, 2, v4
	s_waitcnt lgkmcnt(0)
	v_add_lshl_u32 v5, v4, v1, 2
	ds_bpermute_b32 v10, v5, v6
	ds_bpermute_b32 v4, v5, v2
	ds_bpermute_b32 v5, v5, v3
	v_add_u32_e32 v11, 4, v7
	v_cmp_lt_u32_e32 vcc, v11, v9
	s_and_saveexec_b64 s[2:3], vcc
	s_cbranch_execz .LBB1953_113
; %bb.112:
	s_waitcnt lgkmcnt(2)
	v_and_b32_e32 v11, 1, v10
	s_waitcnt lgkmcnt(0)
	v_cmp_lt_i64_e32 vcc, v[4:5], v[2:3]
	v_cmp_eq_u32_e64 s[0:1], 1, v11
	v_and_b32_e32 v6, 1, v8
	s_and_b64 vcc, s[0:1], vcc
	v_cndmask_b32_e64 v8, v8, 1, s[0:1]
	v_cndmask_b32_e32 v2, v2, v4, vcc
	v_cndmask_b32_e32 v3, v3, v5, vcc
	v_cmp_eq_u32_e32 vcc, 1, v6
	v_cndmask_b32_e32 v8, v10, v8, vcc
	v_cndmask_b32_e32 v3, v5, v3, vcc
	v_cndmask_b32_e32 v2, v4, v2, vcc
	v_and_b32_e32 v6, 0xff, v8
.LBB1953_113:
	;; [unrolled: 31-line block ×5, first 2 shown]
	s_or_b64 exec, exec, s[2:3]
	v_cmp_eq_u32_e32 vcc, 0, v1
	s_and_saveexec_b64 s[0:1], vcc
	s_cbranch_execz .LBB1953_121
; %bb.120:
	s_waitcnt lgkmcnt(1)
	v_lshrrev_b32_e32 v4, 2, v0
	v_and_b32_e32 v4, 48, v4
	ds_write_b8 v4, v8 offset:256
	ds_write_b64 v4, v[2:3] offset:264
.LBB1953_121:
	s_or_b64 exec, exec, s[0:1]
	v_cmp_gt_u32_e32 vcc, 4, v0
	s_waitcnt lgkmcnt(0)
	s_barrier
	s_and_saveexec_b64 s[2:3], vcc
	s_cbranch_execz .LBB1953_127
; %bb.122:
	v_lshlrev_b32_e32 v2, 4, v1
	ds_read_u8 v7, v2 offset:256
	ds_read_b64 v[2:3], v2 offset:264
	v_and_b32_e32 v8, 3, v1
	v_cmp_ne_u32_e32 vcc, 3, v8
	v_addc_co_u32_e32 v4, vcc, 0, v1, vcc
	s_waitcnt lgkmcnt(1)
	v_and_b32_e32 v6, 0xff, v7
	v_lshlrev_b32_e32 v5, 2, v4
	ds_bpermute_b32 v9, v5, v6
	s_waitcnt lgkmcnt(1)
	ds_bpermute_b32 v4, v5, v2
	ds_bpermute_b32 v5, v5, v3
	s_add_i32 s8, s8, 63
	s_lshr_b32 s12, s8, 6
	v_add_u32_e32 v10, 1, v8
	v_cmp_gt_u32_e32 vcc, s12, v10
	s_and_saveexec_b64 s[8:9], vcc
	s_cbranch_execz .LBB1953_124
; %bb.123:
	s_waitcnt lgkmcnt(2)
	v_and_b32_e32 v10, 1, v9
	s_waitcnt lgkmcnt(0)
	v_cmp_lt_i64_e32 vcc, v[4:5], v[2:3]
	v_cmp_eq_u32_e64 s[0:1], 1, v10
	v_and_b32_e32 v6, 1, v7
	s_and_b64 vcc, s[0:1], vcc
	v_cndmask_b32_e64 v7, v7, 1, s[0:1]
	v_cndmask_b32_e32 v2, v2, v4, vcc
	v_cndmask_b32_e32 v3, v3, v5, vcc
	v_cmp_eq_u32_e32 vcc, 1, v6
	v_cndmask_b32_e32 v7, v9, v7, vcc
	v_cndmask_b32_e32 v3, v5, v3, vcc
	;; [unrolled: 1-line block ×3, first 2 shown]
	v_and_b32_e32 v6, 0xff, v7
.LBB1953_124:
	s_or_b64 exec, exec, s[8:9]
	v_cmp_gt_u32_e32 vcc, 2, v8
	s_waitcnt lgkmcnt(1)
	v_cndmask_b32_e64 v4, 0, 1, vcc
	v_lshlrev_b32_e32 v4, 1, v4
	s_waitcnt lgkmcnt(0)
	v_add_lshl_u32 v5, v4, v1, 2
	ds_bpermute_b32 v1, v5, v6
	ds_bpermute_b32 v4, v5, v2
	;; [unrolled: 1-line block ×3, first 2 shown]
	v_add_u32_e32 v8, 2, v8
	v_cmp_gt_u32_e32 vcc, s12, v8
	s_and_saveexec_b64 s[8:9], vcc
	s_cbranch_execz .LBB1953_126
; %bb.125:
	s_waitcnt lgkmcnt(2)
	v_and_b32_e32 v8, 1, v1
	s_waitcnt lgkmcnt(0)
	v_cmp_lt_i64_e32 vcc, v[4:5], v[2:3]
	v_cmp_eq_u32_e64 s[0:1], 1, v8
	v_and_b32_e32 v6, 1, v7
	s_and_b64 vcc, s[0:1], vcc
	v_cndmask_b32_e64 v7, v7, 1, s[0:1]
	v_cndmask_b32_e32 v2, v2, v4, vcc
	v_cndmask_b32_e32 v3, v3, v5, vcc
	v_cmp_eq_u32_e32 vcc, 1, v6
	v_cndmask_b32_e32 v1, v1, v7, vcc
	v_cndmask_b32_e32 v3, v5, v3, vcc
	;; [unrolled: 1-line block ×3, first 2 shown]
	v_and_b32_e32 v6, 0xff, v1
.LBB1953_126:
	s_or_b64 exec, exec, s[8:9]
.LBB1953_127:
	s_or_b64 exec, exec, s[2:3]
.LBB1953_128:
	v_cmp_eq_u32_e32 vcc, 0, v0
                                        ; implicit-def: $vgpr4_vgpr5
                                        ; implicit-def: $vgpr1
	s_and_saveexec_b64 s[0:1], vcc
	s_xor_b64 s[8:9], exec, s[0:1]
	s_cbranch_execz .LBB1953_132
; %bb.129:
	s_cmp_eq_u64 s[22:23], 0
	s_waitcnt lgkmcnt(0)
	v_pk_mov_b32 v[4:5], s[18:19], s[18:19] op_sel:[0,1]
	v_mov_b32_e32 v1, s30
	s_cbranch_scc1 .LBB1953_131
; %bb.130:
	v_and_b32_e32 v1, 1, v6
	s_bitcmp1_b32 s30, 0
	v_mov_b32_e32 v4, s30
	v_cmp_eq_u32_e32 vcc, 1, v1
	v_cmp_gt_i64_e64 s[2:3], s[18:19], v[2:3]
	v_cndmask_b32_e64 v1, v4, 1, vcc
	s_cselect_b64 s[0:1], -1, 0
	v_mov_b32_e32 v4, s18
	s_and_b64 vcc, vcc, s[2:3]
	v_mov_b32_e32 v5, s19
	v_cndmask_b32_e32 v4, v4, v2, vcc
	v_cndmask_b32_e32 v5, v5, v3, vcc
	v_cndmask_b32_e64 v1, v6, v1, s[0:1]
	v_cndmask_b32_e64 v5, v3, v5, s[0:1]
	;; [unrolled: 1-line block ×3, first 2 shown]
.LBB1953_131:
	s_or_b64 s[10:11], s[10:11], exec
.LBB1953_132:
	s_or_b64 exec, exec, s[8:9]
	s_branch .LBB1953_208
.LBB1953_133:
	s_cmp_gt_i32 s33, 1
	s_cbranch_scc0 .LBB1953_153
; %bb.134:
	s_cmp_eq_u32 s33, 2
	s_cbranch_scc0 .LBB1953_154
; %bb.135:
	s_mov_b32 s7, 0
	s_lshl_b32 s8, s6, 9
	s_mov_b32 s9, s7
	s_lshr_b64 s[0:1], s[22:23], 9
	s_lshl_b64 s[2:3], s[8:9], 2
	s_add_u32 s2, s24, s2
	s_addc_u32 s3, s25, s3
	s_add_u32 s14, s20, s8
	s_addc_u32 s15, s21, 0
	s_cmp_lg_u64 s[0:1], s[6:7]
	s_cbranch_scc0 .LBB1953_155
; %bb.136:
	s_waitcnt lgkmcnt(2)
	v_lshlrev_b32_e32 v1, 2, v0
	global_load_dword v2, v1, s[2:3] offset:1024
	global_load_dword v3, v1, s[2:3]
	v_mov_b32_e32 v1, s15
	s_waitcnt lgkmcnt(1)
	v_add_co_u32_e32 v4, vcc, s14, v0
	v_addc_co_u32_e32 v1, vcc, 0, v1, vcc
	s_waitcnt lgkmcnt(0)
	v_add_co_u32_e32 v5, vcc, 0x100, v4
	v_addc_co_u32_e32 v6, vcc, 0, v1, vcc
	s_waitcnt vmcnt(1)
	v_cmp_eq_f32_e32 vcc, s31, v2
	s_waitcnt vmcnt(0)
	v_cmp_eq_f32_e64 s[0:1], s31, v3
	v_cndmask_b32_e64 v3, v6, v1, s[0:1]
	v_cndmask_b32_e64 v2, v5, v4, s[0:1]
	s_or_b64 s[0:1], s[0:1], vcc
	v_cndmask_b32_e64 v1, 0, 1, s[0:1]
	v_mov_b32_dpp v4, v2 quad_perm:[1,0,3,2] row_mask:0xf bank_mask:0xf bound_ctrl:1
	v_mov_b32_dpp v5, v3 quad_perm:[1,0,3,2] row_mask:0xf bank_mask:0xf bound_ctrl:1
	;; [unrolled: 1-line block ×3, first 2 shown]
	v_and_b32_e32 v7, 1, v6
	v_cmp_eq_u32_e32 vcc, 1, v7
	s_and_saveexec_b64 s[12:13], vcc
; %bb.137:
	v_cmp_lt_i64_e32 vcc, v[2:3], v[4:5]
	v_cndmask_b32_e64 v6, v6, 1, s[0:1]
	s_and_b64 vcc, s[0:1], vcc
	v_cndmask_b32_e32 v2, v4, v2, vcc
	v_and_b32_e32 v4, 1, v6
	v_cndmask_b32_e32 v3, v5, v3, vcc
	v_cmp_eq_u32_e32 vcc, 1, v4
	s_andn2_b64 s[0:1], s[0:1], exec
	s_and_b64 s[16:17], vcc, exec
	v_and_b32_e32 v1, 0xff, v6
	s_or_b64 s[0:1], s[0:1], s[16:17]
; %bb.138:
	s_or_b64 exec, exec, s[12:13]
	v_mov_b32_dpp v6, v1 quad_perm:[2,3,0,1] row_mask:0xf bank_mask:0xf bound_ctrl:1
	v_and_b32_e32 v7, 1, v6
	v_mov_b32_dpp v4, v2 quad_perm:[2,3,0,1] row_mask:0xf bank_mask:0xf bound_ctrl:1
	v_mov_b32_dpp v5, v3 quad_perm:[2,3,0,1] row_mask:0xf bank_mask:0xf bound_ctrl:1
	v_cmp_eq_u32_e32 vcc, 1, v7
	s_and_saveexec_b64 s[12:13], vcc
; %bb.139:
	v_cmp_lt_i64_e32 vcc, v[2:3], v[4:5]
	v_cndmask_b32_e64 v6, v6, 1, s[0:1]
	s_and_b64 vcc, s[0:1], vcc
	v_cndmask_b32_e32 v2, v4, v2, vcc
	v_and_b32_e32 v4, 1, v6
	v_cndmask_b32_e32 v3, v5, v3, vcc
	v_cmp_eq_u32_e32 vcc, 1, v4
	s_andn2_b64 s[0:1], s[0:1], exec
	s_and_b64 s[16:17], vcc, exec
	v_and_b32_e32 v1, 0xff, v6
	s_or_b64 s[0:1], s[0:1], s[16:17]
; %bb.140:
	s_or_b64 exec, exec, s[12:13]
	v_mov_b32_dpp v6, v1 row_ror:4 row_mask:0xf bank_mask:0xf bound_ctrl:1
	v_and_b32_e32 v7, 1, v6
	v_mov_b32_dpp v4, v2 row_ror:4 row_mask:0xf bank_mask:0xf bound_ctrl:1
	v_mov_b32_dpp v5, v3 row_ror:4 row_mask:0xf bank_mask:0xf bound_ctrl:1
	v_cmp_eq_u32_e32 vcc, 1, v7
	s_and_saveexec_b64 s[12:13], vcc
; %bb.141:
	v_cmp_lt_i64_e32 vcc, v[2:3], v[4:5]
	v_cndmask_b32_e64 v6, v6, 1, s[0:1]
	s_and_b64 vcc, s[0:1], vcc
	v_cndmask_b32_e32 v2, v4, v2, vcc
	v_and_b32_e32 v4, 1, v6
	v_cndmask_b32_e32 v3, v5, v3, vcc
	v_cmp_eq_u32_e32 vcc, 1, v4
	s_andn2_b64 s[0:1], s[0:1], exec
	s_and_b64 s[16:17], vcc, exec
	v_and_b32_e32 v1, 0xff, v6
	s_or_b64 s[0:1], s[0:1], s[16:17]
; %bb.142:
	s_or_b64 exec, exec, s[12:13]
	v_mov_b32_dpp v6, v1 row_ror:8 row_mask:0xf bank_mask:0xf bound_ctrl:1
	v_and_b32_e32 v7, 1, v6
	v_mov_b32_dpp v4, v2 row_ror:8 row_mask:0xf bank_mask:0xf bound_ctrl:1
	v_mov_b32_dpp v5, v3 row_ror:8 row_mask:0xf bank_mask:0xf bound_ctrl:1
	v_cmp_eq_u32_e32 vcc, 1, v7
	s_and_saveexec_b64 s[12:13], vcc
; %bb.143:
	v_cmp_lt_i64_e32 vcc, v[2:3], v[4:5]
	v_cndmask_b32_e64 v6, v6, 1, s[0:1]
	s_and_b64 vcc, s[0:1], vcc
	v_cndmask_b32_e32 v2, v4, v2, vcc
	v_and_b32_e32 v4, 1, v6
	v_cndmask_b32_e32 v3, v5, v3, vcc
	v_cmp_eq_u32_e32 vcc, 1, v4
	s_andn2_b64 s[0:1], s[0:1], exec
	s_and_b64 s[16:17], vcc, exec
	v_and_b32_e32 v1, 0xff, v6
	s_or_b64 s[0:1], s[0:1], s[16:17]
; %bb.144:
	s_or_b64 exec, exec, s[12:13]
	v_mov_b32_dpp v6, v1 row_bcast:15 row_mask:0xf bank_mask:0xf bound_ctrl:1
	v_and_b32_e32 v7, 1, v6
	v_mov_b32_dpp v4, v2 row_bcast:15 row_mask:0xf bank_mask:0xf bound_ctrl:1
	v_mov_b32_dpp v5, v3 row_bcast:15 row_mask:0xf bank_mask:0xf bound_ctrl:1
	v_cmp_eq_u32_e32 vcc, 1, v7
	s_and_saveexec_b64 s[12:13], vcc
; %bb.145:
	v_cmp_lt_i64_e32 vcc, v[2:3], v[4:5]
	v_cndmask_b32_e64 v6, v6, 1, s[0:1]
	s_and_b64 vcc, s[0:1], vcc
	v_cndmask_b32_e32 v2, v4, v2, vcc
	v_and_b32_e32 v4, 1, v6
	v_cndmask_b32_e32 v3, v5, v3, vcc
	v_cmp_eq_u32_e32 vcc, 1, v4
	s_andn2_b64 s[0:1], s[0:1], exec
	s_and_b64 s[16:17], vcc, exec
	v_and_b32_e32 v1, 0xff, v6
	s_or_b64 s[0:1], s[0:1], s[16:17]
; %bb.146:
	s_or_b64 exec, exec, s[12:13]
	v_mov_b32_dpp v6, v1 row_bcast:31 row_mask:0xf bank_mask:0xf bound_ctrl:1
	v_and_b32_e32 v7, 1, v6
	v_mov_b32_dpp v4, v2 row_bcast:31 row_mask:0xf bank_mask:0xf bound_ctrl:1
	v_mov_b32_dpp v5, v3 row_bcast:31 row_mask:0xf bank_mask:0xf bound_ctrl:1
	v_cmp_eq_u32_e32 vcc, 1, v7
	s_and_saveexec_b64 s[12:13], vcc
; %bb.147:
	v_cmp_lt_i64_e32 vcc, v[2:3], v[4:5]
	v_and_b32_e32 v1, 0xff, v6
	s_and_b64 vcc, s[0:1], vcc
	v_cndmask_b32_e32 v2, v4, v2, vcc
	v_cndmask_b32_e32 v3, v5, v3, vcc
	v_cndmask_b32_e64 v1, v1, 1, s[0:1]
; %bb.148:
	s_or_b64 exec, exec, s[12:13]
	v_mbcnt_lo_u32_b32 v4, -1, 0
	v_mbcnt_hi_u32_b32 v4, -1, v4
	v_bfrev_b32_e32 v5, 0.5
	v_lshl_or_b32 v5, v4, 2, v5
	ds_bpermute_b32 v6, v5, v1
	ds_bpermute_b32 v2, v5, v2
	;; [unrolled: 1-line block ×3, first 2 shown]
	v_cmp_eq_u32_e32 vcc, 0, v4
	s_and_saveexec_b64 s[0:1], vcc
	s_cbranch_execz .LBB1953_150
; %bb.149:
	v_lshrrev_b32_e32 v1, 2, v0
	v_and_b32_e32 v1, 48, v1
	s_waitcnt lgkmcnt(2)
	ds_write_b8 v1, v6 offset:64
	s_waitcnt lgkmcnt(1)
	ds_write_b64 v1, v[2:3] offset:72
.LBB1953_150:
	s_or_b64 exec, exec, s[0:1]
	v_cmp_gt_u32_e32 vcc, 64, v0
	s_waitcnt lgkmcnt(0)
	s_barrier
	s_and_saveexec_b64 s[12:13], vcc
	s_cbranch_execz .LBB1953_152
; %bb.151:
	v_and_b32_e32 v1, 3, v4
	v_lshlrev_b32_e32 v2, 4, v1
	ds_read_u8 v5, v2 offset:64
	ds_read_b64 v[2:3], v2 offset:72
	v_cmp_ne_u32_e32 vcc, 3, v1
	v_addc_co_u32_e32 v6, vcc, 0, v4, vcc
	s_waitcnt lgkmcnt(1)
	v_and_b32_e32 v7, 0xff, v5
	v_lshlrev_b32_e32 v8, 2, v6
	ds_bpermute_b32 v9, v8, v7
	s_waitcnt lgkmcnt(1)
	ds_bpermute_b32 v6, v8, v2
	ds_bpermute_b32 v7, v8, v3
	v_and_b32_e32 v8, 1, v5
	s_waitcnt lgkmcnt(2)
	v_and_b32_e32 v10, 1, v9
	v_cmp_eq_u32_e64 s[0:1], 1, v10
	s_waitcnt lgkmcnt(0)
	v_cmp_lt_i64_e32 vcc, v[6:7], v[2:3]
	s_and_b64 vcc, s[0:1], vcc
	v_cndmask_b32_e64 v5, v5, 1, s[0:1]
	v_cndmask_b32_e32 v2, v2, v6, vcc
	v_cndmask_b32_e32 v3, v3, v7, vcc
	v_cmp_eq_u32_e32 vcc, 1, v8
	v_cndmask_b32_e32 v8, v9, v5, vcc
	v_cndmask_b32_e32 v3, v7, v3, vcc
	;; [unrolled: 1-line block ×3, first 2 shown]
	v_cmp_gt_u32_e32 vcc, 2, v1
	v_cndmask_b32_e64 v1, 0, 1, vcc
	v_lshlrev_b32_e32 v1, 1, v1
	v_and_b32_e32 v5, 0xff, v8
	v_add_lshl_u32 v1, v1, v4, 2
	ds_bpermute_b32 v6, v1, v5
	ds_bpermute_b32 v4, v1, v2
	;; [unrolled: 1-line block ×3, first 2 shown]
	v_and_b32_e32 v1, 1, v8
	s_waitcnt lgkmcnt(2)
	v_and_b32_e32 v7, 1, v6
	v_cmp_eq_u32_e64 s[0:1], 1, v7
	s_waitcnt lgkmcnt(0)
	v_cmp_lt_i64_e32 vcc, v[4:5], v[2:3]
	s_and_b64 vcc, s[0:1], vcc
	v_cndmask_b32_e64 v7, v8, 1, s[0:1]
	v_cndmask_b32_e32 v2, v2, v4, vcc
	v_cndmask_b32_e32 v3, v3, v5, vcc
	v_cmp_eq_u32_e32 vcc, 1, v1
	v_cndmask_b32_e32 v1, v6, v7, vcc
	v_cndmask_b32_e32 v3, v5, v3, vcc
	;; [unrolled: 1-line block ×3, first 2 shown]
	v_and_b32_e32 v6, 0xff, v1
.LBB1953_152:
	s_or_b64 exec, exec, s[12:13]
	s_branch .LBB1953_183
.LBB1953_153:
                                        ; implicit-def: $vgpr4_vgpr5
                                        ; implicit-def: $vgpr1
	s_cbranch_execnz .LBB1953_188
	s_branch .LBB1953_208
.LBB1953_154:
                                        ; implicit-def: $vgpr4_vgpr5
                                        ; implicit-def: $vgpr1
	s_branch .LBB1953_208
.LBB1953_155:
                                        ; implicit-def: $vgpr2_vgpr3
                                        ; implicit-def: $vgpr6
	s_cbranch_execz .LBB1953_183
; %bb.156:
	s_sub_i32 s12, s22, s8
	s_waitcnt lgkmcnt(0)
	v_pk_mov_b32 v[4:5], 0, 0
	v_cmp_gt_u32_e32 vcc, s12, v0
	v_mov_b32_e32 v1, 0
	v_pk_mov_b32 v[2:3], v[4:5], v[4:5] op_sel:[0,1]
	v_mov_b32_e32 v7, 0
	s_and_saveexec_b64 s[0:1], vcc
	s_cbranch_execz .LBB1953_158
; %bb.157:
	v_lshlrev_b32_e32 v2, 2, v0
	global_load_dword v6, v2, s[2:3]
	v_mov_b32_e32 v3, s15
	v_add_co_u32_e32 v2, vcc, s14, v0
	v_addc_co_u32_e32 v3, vcc, 0, v3, vcc
	s_waitcnt vmcnt(0)
	v_cmp_eq_f32_e32 vcc, s31, v6
	v_cndmask_b32_e64 v7, 0, 1, vcc
.LBB1953_158:
	s_or_b64 exec, exec, s[0:1]
	v_or_b32_e32 v6, 0x100, v0
	v_cmp_gt_u32_e32 vcc, s12, v6
	s_and_saveexec_b64 s[8:9], vcc
	s_cbranch_execz .LBB1953_160
; %bb.159:
	v_lshlrev_b32_e32 v1, 2, v0
	global_load_dword v1, v1, s[2:3] offset:1024
	v_mov_b32_e32 v5, s15
	v_add_co_u32_e64 v4, s[0:1], s14, v6
	v_addc_co_u32_e64 v5, s[0:1], 0, v5, s[0:1]
	s_waitcnt vmcnt(0)
	v_cmp_eq_f32_e64 s[0:1], s31, v1
	v_cndmask_b32_e64 v1, 0, 1, s[0:1]
.LBB1953_160:
	s_or_b64 exec, exec, s[8:9]
	s_and_saveexec_b64 s[2:3], vcc
	s_cbranch_execz .LBB1953_162
; %bb.161:
	v_and_b32_e32 v8, 1, v1
	v_cmp_lt_i64_e32 vcc, v[4:5], v[2:3]
	v_cmp_eq_u32_e64 s[0:1], 1, v8
	v_and_b32_e32 v6, 1, v7
	s_and_b64 vcc, s[0:1], vcc
	v_cndmask_b32_e64 v7, v7, 1, s[0:1]
	v_cndmask_b32_e32 v2, v2, v4, vcc
	v_cndmask_b32_e32 v3, v3, v5, vcc
	v_cmp_eq_u32_e32 vcc, 1, v6
	v_cndmask_b32_e32 v7, v1, v7, vcc
	v_cndmask_b32_e32 v3, v5, v3, vcc
	;; [unrolled: 1-line block ×3, first 2 shown]
.LBB1953_162:
	s_or_b64 exec, exec, s[2:3]
	v_mbcnt_lo_u32_b32 v1, -1, 0
	v_mbcnt_hi_u32_b32 v1, -1, v1
	v_and_b32_e32 v8, 63, v1
	v_cmp_ne_u32_e32 vcc, 63, v8
	v_addc_co_u32_e32 v4, vcc, 0, v1, vcc
	v_and_b32_e32 v6, 0xffff, v7
	v_lshlrev_b32_e32 v5, 2, v4
	ds_bpermute_b32 v10, v5, v6
	ds_bpermute_b32 v4, v5, v2
	;; [unrolled: 1-line block ×3, first 2 shown]
	s_min_u32 s8, s12, 0x100
	v_and_b32_e32 v9, 0xc0, v0
	v_sub_u32_e64 v9, s8, v9 clamp
	v_add_u32_e32 v11, 1, v8
	v_cmp_lt_u32_e32 vcc, v11, v9
	s_and_saveexec_b64 s[2:3], vcc
	s_cbranch_execz .LBB1953_164
; %bb.163:
	s_waitcnt lgkmcnt(2)
	v_and_b32_e32 v11, 1, v10
	s_waitcnt lgkmcnt(0)
	v_cmp_lt_i64_e32 vcc, v[4:5], v[2:3]
	v_cmp_eq_u32_e64 s[0:1], 1, v11
	v_and_b32_e32 v6, 1, v7
	s_and_b64 vcc, s[0:1], vcc
	v_cndmask_b32_e64 v7, v7, 1, s[0:1]
	v_cndmask_b32_e32 v2, v2, v4, vcc
	v_cndmask_b32_e32 v3, v3, v5, vcc
	v_cmp_eq_u32_e32 vcc, 1, v6
	v_cndmask_b32_e32 v7, v10, v7, vcc
	v_cndmask_b32_e32 v3, v5, v3, vcc
	v_cndmask_b32_e32 v2, v4, v2, vcc
	v_and_b32_e32 v6, 0xff, v7
.LBB1953_164:
	s_or_b64 exec, exec, s[2:3]
	v_cmp_gt_u32_e32 vcc, 62, v8
	s_waitcnt lgkmcnt(1)
	v_cndmask_b32_e64 v4, 0, 1, vcc
	v_lshlrev_b32_e32 v4, 1, v4
	s_waitcnt lgkmcnt(0)
	v_add_lshl_u32 v5, v4, v1, 2
	ds_bpermute_b32 v10, v5, v6
	ds_bpermute_b32 v4, v5, v2
	ds_bpermute_b32 v5, v5, v3
	v_add_u32_e32 v11, 2, v8
	v_cmp_lt_u32_e32 vcc, v11, v9
	s_and_saveexec_b64 s[2:3], vcc
	s_cbranch_execz .LBB1953_166
; %bb.165:
	s_waitcnt lgkmcnt(2)
	v_and_b32_e32 v11, 1, v10
	s_waitcnt lgkmcnt(0)
	v_cmp_lt_i64_e32 vcc, v[4:5], v[2:3]
	v_cmp_eq_u32_e64 s[0:1], 1, v11
	v_and_b32_e32 v6, 1, v7
	s_and_b64 vcc, s[0:1], vcc
	v_cndmask_b32_e64 v7, v7, 1, s[0:1]
	v_cndmask_b32_e32 v2, v2, v4, vcc
	v_cndmask_b32_e32 v3, v3, v5, vcc
	v_cmp_eq_u32_e32 vcc, 1, v6
	v_cndmask_b32_e32 v7, v10, v7, vcc
	v_cndmask_b32_e32 v3, v5, v3, vcc
	v_cndmask_b32_e32 v2, v4, v2, vcc
	v_and_b32_e32 v6, 0xff, v7
.LBB1953_166:
	s_or_b64 exec, exec, s[2:3]
	v_cmp_gt_u32_e32 vcc, 60, v8
	s_waitcnt lgkmcnt(1)
	v_cndmask_b32_e64 v4, 0, 1, vcc
	v_lshlrev_b32_e32 v4, 2, v4
	s_waitcnt lgkmcnt(0)
	v_add_lshl_u32 v5, v4, v1, 2
	ds_bpermute_b32 v10, v5, v6
	ds_bpermute_b32 v4, v5, v2
	ds_bpermute_b32 v5, v5, v3
	v_add_u32_e32 v11, 4, v8
	v_cmp_lt_u32_e32 vcc, v11, v9
	s_and_saveexec_b64 s[2:3], vcc
	s_cbranch_execz .LBB1953_168
; %bb.167:
	s_waitcnt lgkmcnt(2)
	v_and_b32_e32 v11, 1, v10
	s_waitcnt lgkmcnt(0)
	v_cmp_lt_i64_e32 vcc, v[4:5], v[2:3]
	v_cmp_eq_u32_e64 s[0:1], 1, v11
	v_and_b32_e32 v6, 1, v7
	s_and_b64 vcc, s[0:1], vcc
	v_cndmask_b32_e64 v7, v7, 1, s[0:1]
	v_cndmask_b32_e32 v2, v2, v4, vcc
	v_cndmask_b32_e32 v3, v3, v5, vcc
	v_cmp_eq_u32_e32 vcc, 1, v6
	v_cndmask_b32_e32 v7, v10, v7, vcc
	v_cndmask_b32_e32 v3, v5, v3, vcc
	v_cndmask_b32_e32 v2, v4, v2, vcc
	v_and_b32_e32 v6, 0xff, v7
.LBB1953_168:
	s_or_b64 exec, exec, s[2:3]
	v_cmp_gt_u32_e32 vcc, 56, v8
	s_waitcnt lgkmcnt(1)
	v_cndmask_b32_e64 v4, 0, 1, vcc
	v_lshlrev_b32_e32 v4, 3, v4
	s_waitcnt lgkmcnt(0)
	v_add_lshl_u32 v5, v4, v1, 2
	ds_bpermute_b32 v10, v5, v6
	ds_bpermute_b32 v4, v5, v2
	ds_bpermute_b32 v5, v5, v3
	v_add_u32_e32 v11, 8, v8
	v_cmp_lt_u32_e32 vcc, v11, v9
	s_and_saveexec_b64 s[2:3], vcc
	s_cbranch_execz .LBB1953_170
; %bb.169:
	s_waitcnt lgkmcnt(2)
	v_and_b32_e32 v11, 1, v10
	s_waitcnt lgkmcnt(0)
	v_cmp_lt_i64_e32 vcc, v[4:5], v[2:3]
	v_cmp_eq_u32_e64 s[0:1], 1, v11
	v_and_b32_e32 v6, 1, v7
	s_and_b64 vcc, s[0:1], vcc
	v_cndmask_b32_e64 v7, v7, 1, s[0:1]
	v_cndmask_b32_e32 v2, v2, v4, vcc
	v_cndmask_b32_e32 v3, v3, v5, vcc
	v_cmp_eq_u32_e32 vcc, 1, v6
	v_cndmask_b32_e32 v7, v10, v7, vcc
	v_cndmask_b32_e32 v3, v5, v3, vcc
	v_cndmask_b32_e32 v2, v4, v2, vcc
	v_and_b32_e32 v6, 0xff, v7
.LBB1953_170:
	s_or_b64 exec, exec, s[2:3]
	v_cmp_gt_u32_e32 vcc, 48, v8
	s_waitcnt lgkmcnt(1)
	v_cndmask_b32_e64 v4, 0, 1, vcc
	v_lshlrev_b32_e32 v4, 4, v4
	s_waitcnt lgkmcnt(0)
	v_add_lshl_u32 v5, v4, v1, 2
	ds_bpermute_b32 v10, v5, v6
	ds_bpermute_b32 v4, v5, v2
	ds_bpermute_b32 v5, v5, v3
	v_add_u32_e32 v11, 16, v8
	v_cmp_lt_u32_e32 vcc, v11, v9
	s_and_saveexec_b64 s[2:3], vcc
	s_cbranch_execz .LBB1953_172
; %bb.171:
	s_waitcnt lgkmcnt(2)
	v_and_b32_e32 v11, 1, v10
	s_waitcnt lgkmcnt(0)
	v_cmp_lt_i64_e32 vcc, v[4:5], v[2:3]
	v_cmp_eq_u32_e64 s[0:1], 1, v11
	v_and_b32_e32 v6, 1, v7
	s_and_b64 vcc, s[0:1], vcc
	v_cndmask_b32_e64 v7, v7, 1, s[0:1]
	v_cndmask_b32_e32 v2, v2, v4, vcc
	v_cndmask_b32_e32 v3, v3, v5, vcc
	v_cmp_eq_u32_e32 vcc, 1, v6
	v_cndmask_b32_e32 v7, v10, v7, vcc
	v_cndmask_b32_e32 v3, v5, v3, vcc
	v_cndmask_b32_e32 v2, v4, v2, vcc
	v_and_b32_e32 v6, 0xff, v7
.LBB1953_172:
	s_or_b64 exec, exec, s[2:3]
	v_cmp_gt_u32_e32 vcc, 32, v8
	s_waitcnt lgkmcnt(1)
	v_cndmask_b32_e64 v4, 0, 1, vcc
	v_lshlrev_b32_e32 v4, 5, v4
	s_waitcnt lgkmcnt(0)
	v_add_lshl_u32 v5, v4, v1, 2
	ds_bpermute_b32 v10, v5, v6
	ds_bpermute_b32 v4, v5, v2
	ds_bpermute_b32 v5, v5, v3
	v_add_u32_e32 v8, 32, v8
	v_cmp_lt_u32_e32 vcc, v8, v9
	s_and_saveexec_b64 s[2:3], vcc
	s_cbranch_execz .LBB1953_174
; %bb.173:
	s_waitcnt lgkmcnt(2)
	v_and_b32_e32 v8, 1, v10
	s_waitcnt lgkmcnt(0)
	v_cmp_lt_i64_e32 vcc, v[4:5], v[2:3]
	v_cmp_eq_u32_e64 s[0:1], 1, v8
	v_and_b32_e32 v6, 1, v7
	s_and_b64 vcc, s[0:1], vcc
	v_cndmask_b32_e64 v7, v7, 1, s[0:1]
	v_cndmask_b32_e32 v2, v2, v4, vcc
	v_cndmask_b32_e32 v3, v3, v5, vcc
	v_cmp_eq_u32_e32 vcc, 1, v6
	v_cndmask_b32_e32 v7, v10, v7, vcc
	v_cndmask_b32_e32 v3, v5, v3, vcc
	;; [unrolled: 1-line block ×3, first 2 shown]
	v_and_b32_e32 v6, 0xff, v7
.LBB1953_174:
	s_or_b64 exec, exec, s[2:3]
	v_cmp_eq_u32_e32 vcc, 0, v1
	s_and_saveexec_b64 s[0:1], vcc
	s_cbranch_execz .LBB1953_176
; %bb.175:
	s_waitcnt lgkmcnt(1)
	v_lshrrev_b32_e32 v4, 2, v0
	v_and_b32_e32 v4, 48, v4
	ds_write_b8 v4, v7 offset:256
	ds_write_b64 v4, v[2:3] offset:264
.LBB1953_176:
	s_or_b64 exec, exec, s[0:1]
	v_cmp_gt_u32_e32 vcc, 4, v0
	s_waitcnt lgkmcnt(0)
	s_barrier
	s_and_saveexec_b64 s[2:3], vcc
	s_cbranch_execz .LBB1953_182
; %bb.177:
	v_lshlrev_b32_e32 v2, 4, v1
	ds_read_u8 v7, v2 offset:256
	ds_read_b64 v[2:3], v2 offset:264
	v_and_b32_e32 v8, 3, v1
	v_cmp_ne_u32_e32 vcc, 3, v8
	v_addc_co_u32_e32 v4, vcc, 0, v1, vcc
	s_waitcnt lgkmcnt(1)
	v_and_b32_e32 v6, 0xff, v7
	v_lshlrev_b32_e32 v5, 2, v4
	ds_bpermute_b32 v9, v5, v6
	s_waitcnt lgkmcnt(1)
	ds_bpermute_b32 v4, v5, v2
	ds_bpermute_b32 v5, v5, v3
	s_add_i32 s8, s8, 63
	s_lshr_b32 s12, s8, 6
	v_add_u32_e32 v10, 1, v8
	v_cmp_gt_u32_e32 vcc, s12, v10
	s_and_saveexec_b64 s[8:9], vcc
	s_cbranch_execz .LBB1953_179
; %bb.178:
	s_waitcnt lgkmcnt(2)
	v_and_b32_e32 v10, 1, v9
	s_waitcnt lgkmcnt(0)
	v_cmp_lt_i64_e32 vcc, v[4:5], v[2:3]
	v_cmp_eq_u32_e64 s[0:1], 1, v10
	v_and_b32_e32 v6, 1, v7
	s_and_b64 vcc, s[0:1], vcc
	v_cndmask_b32_e64 v7, v7, 1, s[0:1]
	v_cndmask_b32_e32 v2, v2, v4, vcc
	v_cndmask_b32_e32 v3, v3, v5, vcc
	v_cmp_eq_u32_e32 vcc, 1, v6
	v_cndmask_b32_e32 v7, v9, v7, vcc
	v_cndmask_b32_e32 v3, v5, v3, vcc
	;; [unrolled: 1-line block ×3, first 2 shown]
	v_and_b32_e32 v6, 0xff, v7
.LBB1953_179:
	s_or_b64 exec, exec, s[8:9]
	v_cmp_gt_u32_e32 vcc, 2, v8
	s_waitcnt lgkmcnt(1)
	v_cndmask_b32_e64 v4, 0, 1, vcc
	v_lshlrev_b32_e32 v4, 1, v4
	s_waitcnt lgkmcnt(0)
	v_add_lshl_u32 v5, v4, v1, 2
	ds_bpermute_b32 v1, v5, v6
	ds_bpermute_b32 v4, v5, v2
	;; [unrolled: 1-line block ×3, first 2 shown]
	v_add_u32_e32 v8, 2, v8
	v_cmp_gt_u32_e32 vcc, s12, v8
	s_and_saveexec_b64 s[8:9], vcc
	s_cbranch_execz .LBB1953_181
; %bb.180:
	s_waitcnt lgkmcnt(2)
	v_and_b32_e32 v8, 1, v1
	s_waitcnt lgkmcnt(0)
	v_cmp_lt_i64_e32 vcc, v[4:5], v[2:3]
	v_cmp_eq_u32_e64 s[0:1], 1, v8
	v_and_b32_e32 v6, 1, v7
	s_and_b64 vcc, s[0:1], vcc
	v_cndmask_b32_e64 v7, v7, 1, s[0:1]
	v_cndmask_b32_e32 v2, v2, v4, vcc
	v_cndmask_b32_e32 v3, v3, v5, vcc
	v_cmp_eq_u32_e32 vcc, 1, v6
	v_cndmask_b32_e32 v1, v1, v7, vcc
	v_cndmask_b32_e32 v3, v5, v3, vcc
	;; [unrolled: 1-line block ×3, first 2 shown]
	v_and_b32_e32 v6, 0xff, v1
.LBB1953_181:
	s_or_b64 exec, exec, s[8:9]
.LBB1953_182:
	s_or_b64 exec, exec, s[2:3]
.LBB1953_183:
	v_cmp_eq_u32_e32 vcc, 0, v0
                                        ; implicit-def: $vgpr4_vgpr5
                                        ; implicit-def: $vgpr1
	s_and_saveexec_b64 s[0:1], vcc
	s_xor_b64 s[8:9], exec, s[0:1]
	s_cbranch_execz .LBB1953_187
; %bb.184:
	s_cmp_eq_u64 s[22:23], 0
	s_waitcnt lgkmcnt(0)
	v_pk_mov_b32 v[4:5], s[18:19], s[18:19] op_sel:[0,1]
	v_mov_b32_e32 v1, s30
	s_cbranch_scc1 .LBB1953_186
; %bb.185:
	v_and_b32_e32 v1, 1, v6
	s_bitcmp1_b32 s30, 0
	v_mov_b32_e32 v4, s30
	v_cmp_eq_u32_e32 vcc, 1, v1
	v_cmp_gt_i64_e64 s[2:3], s[18:19], v[2:3]
	v_cndmask_b32_e64 v1, v4, 1, vcc
	s_cselect_b64 s[0:1], -1, 0
	v_mov_b32_e32 v4, s18
	s_and_b64 vcc, vcc, s[2:3]
	v_mov_b32_e32 v5, s19
	v_cndmask_b32_e32 v4, v4, v2, vcc
	v_cndmask_b32_e32 v5, v5, v3, vcc
	v_cndmask_b32_e64 v1, v6, v1, s[0:1]
	v_cndmask_b32_e64 v5, v3, v5, s[0:1]
	;; [unrolled: 1-line block ×3, first 2 shown]
.LBB1953_186:
	s_or_b64 s[10:11], s[10:11], exec
.LBB1953_187:
	s_or_b64 exec, exec, s[8:9]
	s_branch .LBB1953_208
.LBB1953_188:
	s_cmp_eq_u32 s33, 1
	s_cbranch_scc0 .LBB1953_207
; %bb.189:
	s_mov_b32 s3, 0
	s_lshl_b32 s2, s6, 8
	s_mov_b32 s7, s3
	s_lshr_b64 s[0:1], s[22:23], 8
	s_cmp_lg_u64 s[0:1], s[6:7]
	s_cbranch_scc0 .LBB1953_211
; %bb.190:
	s_lshl_b64 s[0:1], s[2:3], 2
	s_add_u32 s0, s24, s0
	s_addc_u32 s1, s25, s1
	s_waitcnt lgkmcnt(2)
	v_lshlrev_b32_e32 v1, 2, v0
	global_load_dword v1, v1, s[0:1]
	s_add_u32 s0, s20, s2
	s_addc_u32 s1, s21, 0
	v_mov_b32_e32 v3, s1
	v_add_co_u32_e32 v2, vcc, s0, v0
	v_addc_co_u32_e32 v3, vcc, 0, v3, vcc
	s_waitcnt lgkmcnt(1)
	v_mov_b32_dpp v4, v2 quad_perm:[1,0,3,2] row_mask:0xf bank_mask:0xf bound_ctrl:1
	s_waitcnt lgkmcnt(0)
	v_mov_b32_dpp v5, v3 quad_perm:[1,0,3,2] row_mask:0xf bank_mask:0xf bound_ctrl:1
	s_waitcnt vmcnt(0)
	v_cmp_eq_f32_e32 vcc, s31, v1
	v_cndmask_b32_e64 v1, 0, 1, vcc
	v_cndmask_b32_e64 v6, 0, 1, vcc
	s_nop 0
	v_mov_b32_dpp v1, v1 quad_perm:[1,0,3,2] row_mask:0xf bank_mask:0xf bound_ctrl:1
	v_and_b32_e32 v7, 1, v1
	v_cmp_eq_u32_e64 s[0:1], 1, v7
	s_and_saveexec_b64 s[8:9], s[0:1]
; %bb.191:
	v_cmp_lt_i64_e64 s[0:1], v[2:3], v[4:5]
	v_cndmask_b32_e64 v6, v1, 1, vcc
	s_and_b64 vcc, vcc, s[0:1]
	v_cndmask_b32_e32 v3, v5, v3, vcc
	v_cndmask_b32_e32 v2, v4, v2, vcc
; %bb.192:
	s_or_b64 exec, exec, s[8:9]
	v_and_b32_e32 v1, 0xff, v6
	v_and_b32_e32 v6, 1, v6
	v_mov_b32_dpp v4, v2 quad_perm:[2,3,0,1] row_mask:0xf bank_mask:0xf bound_ctrl:1
	v_mov_b32_dpp v7, v1 quad_perm:[2,3,0,1] row_mask:0xf bank_mask:0xf bound_ctrl:1
	v_and_b32_e32 v8, 1, v7
	v_mov_b32_dpp v5, v3 quad_perm:[2,3,0,1] row_mask:0xf bank_mask:0xf bound_ctrl:1
	v_cmp_eq_u32_e32 vcc, 1, v8
	v_cmp_eq_u32_e64 s[0:1], 1, v6
	s_and_saveexec_b64 s[8:9], vcc
; %bb.193:
	v_cmp_lt_i64_e32 vcc, v[2:3], v[4:5]
	v_cndmask_b32_e64 v6, v7, 1, s[0:1]
	s_and_b64 vcc, s[0:1], vcc
	v_cndmask_b32_e32 v2, v4, v2, vcc
	v_and_b32_e32 v4, 1, v6
	v_cndmask_b32_e32 v3, v5, v3, vcc
	v_cmp_eq_u32_e32 vcc, 1, v4
	s_andn2_b64 s[0:1], s[0:1], exec
	s_and_b64 s[12:13], vcc, exec
	v_and_b32_e32 v1, 0xff, v6
	s_or_b64 s[0:1], s[0:1], s[12:13]
; %bb.194:
	s_or_b64 exec, exec, s[8:9]
	v_mov_b32_dpp v6, v1 row_ror:4 row_mask:0xf bank_mask:0xf bound_ctrl:1
	v_and_b32_e32 v7, 1, v6
	v_mov_b32_dpp v4, v2 row_ror:4 row_mask:0xf bank_mask:0xf bound_ctrl:1
	v_mov_b32_dpp v5, v3 row_ror:4 row_mask:0xf bank_mask:0xf bound_ctrl:1
	v_cmp_eq_u32_e32 vcc, 1, v7
	s_and_saveexec_b64 s[8:9], vcc
; %bb.195:
	v_cmp_lt_i64_e32 vcc, v[2:3], v[4:5]
	v_cndmask_b32_e64 v6, v6, 1, s[0:1]
	s_and_b64 vcc, s[0:1], vcc
	v_cndmask_b32_e32 v2, v4, v2, vcc
	v_and_b32_e32 v4, 1, v6
	v_cndmask_b32_e32 v3, v5, v3, vcc
	v_cmp_eq_u32_e32 vcc, 1, v4
	s_andn2_b64 s[0:1], s[0:1], exec
	s_and_b64 s[12:13], vcc, exec
	v_and_b32_e32 v1, 0xff, v6
	s_or_b64 s[0:1], s[0:1], s[12:13]
; %bb.196:
	s_or_b64 exec, exec, s[8:9]
	v_mov_b32_dpp v6, v1 row_ror:8 row_mask:0xf bank_mask:0xf bound_ctrl:1
	v_and_b32_e32 v7, 1, v6
	v_mov_b32_dpp v4, v2 row_ror:8 row_mask:0xf bank_mask:0xf bound_ctrl:1
	v_mov_b32_dpp v5, v3 row_ror:8 row_mask:0xf bank_mask:0xf bound_ctrl:1
	v_cmp_eq_u32_e32 vcc, 1, v7
	s_and_saveexec_b64 s[8:9], vcc
; %bb.197:
	v_cmp_lt_i64_e32 vcc, v[2:3], v[4:5]
	v_cndmask_b32_e64 v6, v6, 1, s[0:1]
	s_and_b64 vcc, s[0:1], vcc
	v_cndmask_b32_e32 v2, v4, v2, vcc
	v_and_b32_e32 v4, 1, v6
	v_cndmask_b32_e32 v3, v5, v3, vcc
	v_cmp_eq_u32_e32 vcc, 1, v4
	s_andn2_b64 s[0:1], s[0:1], exec
	s_and_b64 s[12:13], vcc, exec
	v_and_b32_e32 v1, 0xff, v6
	s_or_b64 s[0:1], s[0:1], s[12:13]
; %bb.198:
	s_or_b64 exec, exec, s[8:9]
	v_mov_b32_dpp v6, v1 row_bcast:15 row_mask:0xf bank_mask:0xf bound_ctrl:1
	v_and_b32_e32 v7, 1, v6
	v_mov_b32_dpp v4, v2 row_bcast:15 row_mask:0xf bank_mask:0xf bound_ctrl:1
	v_mov_b32_dpp v5, v3 row_bcast:15 row_mask:0xf bank_mask:0xf bound_ctrl:1
	v_cmp_eq_u32_e32 vcc, 1, v7
	s_and_saveexec_b64 s[8:9], vcc
; %bb.199:
	v_cmp_lt_i64_e32 vcc, v[2:3], v[4:5]
	v_cndmask_b32_e64 v6, v6, 1, s[0:1]
	s_and_b64 vcc, s[0:1], vcc
	v_cndmask_b32_e32 v2, v4, v2, vcc
	v_and_b32_e32 v4, 1, v6
	v_cndmask_b32_e32 v3, v5, v3, vcc
	v_cmp_eq_u32_e32 vcc, 1, v4
	s_andn2_b64 s[0:1], s[0:1], exec
	s_and_b64 s[12:13], vcc, exec
	v_and_b32_e32 v1, 0xff, v6
	s_or_b64 s[0:1], s[0:1], s[12:13]
; %bb.200:
	s_or_b64 exec, exec, s[8:9]
	v_mov_b32_dpp v6, v1 row_bcast:31 row_mask:0xf bank_mask:0xf bound_ctrl:1
	v_and_b32_e32 v7, 1, v6
	v_mov_b32_dpp v4, v2 row_bcast:31 row_mask:0xf bank_mask:0xf bound_ctrl:1
	v_mov_b32_dpp v5, v3 row_bcast:31 row_mask:0xf bank_mask:0xf bound_ctrl:1
	v_cmp_eq_u32_e32 vcc, 1, v7
	s_and_saveexec_b64 s[8:9], vcc
; %bb.201:
	v_cmp_lt_i64_e32 vcc, v[2:3], v[4:5]
	v_and_b32_e32 v1, 0xff, v6
	s_and_b64 vcc, s[0:1], vcc
	v_cndmask_b32_e32 v2, v4, v2, vcc
	v_cndmask_b32_e32 v3, v5, v3, vcc
	v_cndmask_b32_e64 v1, v1, 1, s[0:1]
; %bb.202:
	s_or_b64 exec, exec, s[8:9]
	v_mbcnt_lo_u32_b32 v4, -1, 0
	v_mbcnt_hi_u32_b32 v4, -1, v4
	v_bfrev_b32_e32 v5, 0.5
	v_lshl_or_b32 v5, v4, 2, v5
	ds_bpermute_b32 v6, v5, v1
	ds_bpermute_b32 v2, v5, v2
	;; [unrolled: 1-line block ×3, first 2 shown]
	v_cmp_eq_u32_e32 vcc, 0, v4
	s_and_saveexec_b64 s[0:1], vcc
	s_cbranch_execz .LBB1953_204
; %bb.203:
	v_lshrrev_b32_e32 v1, 2, v0
	v_and_b32_e32 v1, 48, v1
	s_waitcnt lgkmcnt(2)
	ds_write_b8 v1, v6
	s_waitcnt lgkmcnt(1)
	ds_write_b64 v1, v[2:3] offset:8
.LBB1953_204:
	s_or_b64 exec, exec, s[0:1]
	v_cmp_gt_u32_e32 vcc, 64, v0
	s_waitcnt lgkmcnt(0)
	s_barrier
	s_and_saveexec_b64 s[8:9], vcc
	s_cbranch_execz .LBB1953_206
; %bb.205:
	v_and_b32_e32 v1, 3, v4
	v_lshlrev_b32_e32 v2, 4, v1
	ds_read_u8 v5, v2
	ds_read_b64 v[2:3], v2 offset:8
	v_cmp_ne_u32_e32 vcc, 3, v1
	v_addc_co_u32_e32 v6, vcc, 0, v4, vcc
	s_waitcnt lgkmcnt(1)
	v_and_b32_e32 v7, 0xff, v5
	v_lshlrev_b32_e32 v8, 2, v6
	ds_bpermute_b32 v9, v8, v7
	s_waitcnt lgkmcnt(1)
	ds_bpermute_b32 v6, v8, v2
	ds_bpermute_b32 v7, v8, v3
	v_and_b32_e32 v8, 1, v5
	s_waitcnt lgkmcnt(2)
	v_and_b32_e32 v10, 1, v9
	v_cmp_eq_u32_e64 s[0:1], 1, v10
	s_waitcnt lgkmcnt(0)
	v_cmp_lt_i64_e32 vcc, v[6:7], v[2:3]
	s_and_b64 vcc, s[0:1], vcc
	v_cndmask_b32_e64 v5, v5, 1, s[0:1]
	v_cndmask_b32_e32 v2, v2, v6, vcc
	v_cndmask_b32_e32 v3, v3, v7, vcc
	v_cmp_eq_u32_e32 vcc, 1, v8
	v_cndmask_b32_e32 v8, v9, v5, vcc
	v_cndmask_b32_e32 v3, v7, v3, vcc
	;; [unrolled: 1-line block ×3, first 2 shown]
	v_cmp_gt_u32_e32 vcc, 2, v1
	v_cndmask_b32_e64 v1, 0, 1, vcc
	v_lshlrev_b32_e32 v1, 1, v1
	v_and_b32_e32 v5, 0xff, v8
	v_add_lshl_u32 v1, v1, v4, 2
	ds_bpermute_b32 v6, v1, v5
	ds_bpermute_b32 v4, v1, v2
	;; [unrolled: 1-line block ×3, first 2 shown]
	v_and_b32_e32 v1, 1, v8
	s_waitcnt lgkmcnt(2)
	v_and_b32_e32 v7, 1, v6
	v_cmp_eq_u32_e64 s[0:1], 1, v7
	s_waitcnt lgkmcnt(0)
	v_cmp_lt_i64_e32 vcc, v[4:5], v[2:3]
	s_and_b64 vcc, s[0:1], vcc
	v_cndmask_b32_e64 v7, v8, 1, s[0:1]
	v_cndmask_b32_e32 v2, v2, v4, vcc
	v_cndmask_b32_e32 v3, v3, v5, vcc
	v_cmp_eq_u32_e32 vcc, 1, v1
	v_cndmask_b32_e32 v1, v6, v7, vcc
	v_cndmask_b32_e32 v3, v5, v3, vcc
	;; [unrolled: 1-line block ×3, first 2 shown]
	v_and_b32_e32 v6, 0xff, v1
.LBB1953_206:
	s_or_b64 exec, exec, s[8:9]
	s_branch .LBB1953_235
.LBB1953_207:
                                        ; implicit-def: $vgpr4_vgpr5
                                        ; implicit-def: $vgpr1
                                        ; implicit-def: $sgpr6_sgpr7
.LBB1953_208:
	s_and_saveexec_b64 s[0:1], s[10:11]
	s_cbranch_execz .LBB1953_210
.LBB1953_209:
	s_load_dwordx2 s[0:1], s[4:5], 0x28
	s_lshl_b64 s[2:3], s[6:7], 4
	v_mov_b32_e32 v0, 0
	s_waitcnt lgkmcnt(0)
	s_add_u32 s0, s0, s2
	s_addc_u32 s1, s1, s3
	global_store_byte v0, v1, s[0:1]
	global_store_dwordx2 v0, v[4:5], s[0:1] offset:8
.LBB1953_210:
	s_endpgm
.LBB1953_211:
                                        ; implicit-def: $vgpr2_vgpr3
                                        ; implicit-def: $vgpr6
	s_cbranch_execz .LBB1953_235
; %bb.212:
	s_sub_i32 s8, s22, s2
	v_cmp_gt_u32_e32 vcc, s8, v0
	v_pk_mov_b32 v[2:3], 0, 0
	v_mov_b32_e32 v7, 0
	s_and_saveexec_b64 s[0:1], vcc
	s_cbranch_execz .LBB1953_214
; %bb.213:
	s_add_u32 s9, s20, s2
	s_addc_u32 s12, s21, 0
	s_lshl_b64 s[2:3], s[2:3], 2
	s_add_u32 s2, s24, s2
	s_addc_u32 s3, s25, s3
	s_waitcnt lgkmcnt(2)
	v_lshlrev_b32_e32 v1, 2, v0
	global_load_dword v1, v1, s[2:3]
	v_mov_b32_e32 v3, s12
	v_add_co_u32_e32 v2, vcc, s9, v0
	v_addc_co_u32_e32 v3, vcc, 0, v3, vcc
	s_waitcnt vmcnt(0)
	v_cmp_eq_f32_e32 vcc, s31, v1
	v_cndmask_b32_e64 v7, 0, 1, vcc
.LBB1953_214:
	s_or_b64 exec, exec, s[0:1]
	s_waitcnt lgkmcnt(2)
	v_mbcnt_lo_u32_b32 v1, -1, 0
	v_mbcnt_hi_u32_b32 v1, -1, v1
	v_and_b32_e32 v8, 63, v1
	v_cmp_ne_u32_e32 vcc, 63, v8
	s_waitcnt lgkmcnt(1)
	v_addc_co_u32_e32 v4, vcc, 0, v1, vcc
	v_and_b32_e32 v6, 0xffff, v7
	s_waitcnt lgkmcnt(0)
	v_lshlrev_b32_e32 v5, 2, v4
	ds_bpermute_b32 v10, v5, v6
	ds_bpermute_b32 v4, v5, v2
	;; [unrolled: 1-line block ×3, first 2 shown]
	s_min_u32 s8, s8, 0x100
	v_and_b32_e32 v9, 0xc0, v0
	v_sub_u32_e64 v9, s8, v9 clamp
	v_add_u32_e32 v11, 1, v8
	v_cmp_lt_u32_e32 vcc, v11, v9
	s_and_saveexec_b64 s[2:3], vcc
	s_cbranch_execz .LBB1953_216
; %bb.215:
	s_waitcnt lgkmcnt(2)
	v_and_b32_e32 v11, 1, v10
	s_waitcnt lgkmcnt(0)
	v_cmp_lt_i64_e32 vcc, v[4:5], v[2:3]
	v_cmp_eq_u32_e64 s[0:1], 1, v11
	v_and_b32_e32 v6, 1, v7
	s_and_b64 vcc, s[0:1], vcc
	v_cndmask_b32_e64 v7, v7, 1, s[0:1]
	v_cndmask_b32_e32 v2, v2, v4, vcc
	v_cndmask_b32_e32 v3, v3, v5, vcc
	v_cmp_eq_u32_e32 vcc, 1, v6
	v_cndmask_b32_e32 v7, v10, v7, vcc
	v_cndmask_b32_e32 v3, v5, v3, vcc
	v_cndmask_b32_e32 v2, v4, v2, vcc
	v_and_b32_e32 v6, 0xff, v7
.LBB1953_216:
	s_or_b64 exec, exec, s[2:3]
	v_cmp_gt_u32_e32 vcc, 62, v8
	s_waitcnt lgkmcnt(1)
	v_cndmask_b32_e64 v4, 0, 1, vcc
	v_lshlrev_b32_e32 v4, 1, v4
	s_waitcnt lgkmcnt(0)
	v_add_lshl_u32 v5, v4, v1, 2
	ds_bpermute_b32 v10, v5, v6
	ds_bpermute_b32 v4, v5, v2
	ds_bpermute_b32 v5, v5, v3
	v_add_u32_e32 v11, 2, v8
	v_cmp_lt_u32_e32 vcc, v11, v9
	s_and_saveexec_b64 s[2:3], vcc
	s_cbranch_execz .LBB1953_218
; %bb.217:
	s_waitcnt lgkmcnt(2)
	v_and_b32_e32 v11, 1, v10
	s_waitcnt lgkmcnt(0)
	v_cmp_lt_i64_e32 vcc, v[4:5], v[2:3]
	v_cmp_eq_u32_e64 s[0:1], 1, v11
	v_and_b32_e32 v6, 1, v7
	s_and_b64 vcc, s[0:1], vcc
	v_cndmask_b32_e64 v7, v7, 1, s[0:1]
	v_cndmask_b32_e32 v2, v2, v4, vcc
	v_cndmask_b32_e32 v3, v3, v5, vcc
	v_cmp_eq_u32_e32 vcc, 1, v6
	v_cndmask_b32_e32 v7, v10, v7, vcc
	v_cndmask_b32_e32 v3, v5, v3, vcc
	v_cndmask_b32_e32 v2, v4, v2, vcc
	v_and_b32_e32 v6, 0xff, v7
.LBB1953_218:
	s_or_b64 exec, exec, s[2:3]
	v_cmp_gt_u32_e32 vcc, 60, v8
	s_waitcnt lgkmcnt(1)
	v_cndmask_b32_e64 v4, 0, 1, vcc
	v_lshlrev_b32_e32 v4, 2, v4
	s_waitcnt lgkmcnt(0)
	v_add_lshl_u32 v5, v4, v1, 2
	ds_bpermute_b32 v10, v5, v6
	ds_bpermute_b32 v4, v5, v2
	ds_bpermute_b32 v5, v5, v3
	;; [unrolled: 31-line block ×5, first 2 shown]
	v_add_u32_e32 v8, 32, v8
	v_cmp_lt_u32_e32 vcc, v8, v9
	s_and_saveexec_b64 s[2:3], vcc
	s_cbranch_execz .LBB1953_226
; %bb.225:
	s_waitcnt lgkmcnt(2)
	v_and_b32_e32 v8, 1, v10
	s_waitcnt lgkmcnt(0)
	v_cmp_lt_i64_e32 vcc, v[4:5], v[2:3]
	v_cmp_eq_u32_e64 s[0:1], 1, v8
	v_and_b32_e32 v6, 1, v7
	s_and_b64 vcc, s[0:1], vcc
	v_cndmask_b32_e64 v7, v7, 1, s[0:1]
	v_cndmask_b32_e32 v2, v2, v4, vcc
	v_cndmask_b32_e32 v3, v3, v5, vcc
	v_cmp_eq_u32_e32 vcc, 1, v6
	v_cndmask_b32_e32 v7, v10, v7, vcc
	v_cndmask_b32_e32 v3, v5, v3, vcc
	;; [unrolled: 1-line block ×3, first 2 shown]
	v_and_b32_e32 v6, 0xff, v7
.LBB1953_226:
	s_or_b64 exec, exec, s[2:3]
	v_cmp_eq_u32_e32 vcc, 0, v1
	s_and_saveexec_b64 s[0:1], vcc
	s_cbranch_execz .LBB1953_228
; %bb.227:
	s_waitcnt lgkmcnt(1)
	v_lshrrev_b32_e32 v4, 2, v0
	v_and_b32_e32 v4, 48, v4
	ds_write_b8 v4, v7 offset:256
	ds_write_b64 v4, v[2:3] offset:264
.LBB1953_228:
	s_or_b64 exec, exec, s[0:1]
	v_cmp_gt_u32_e32 vcc, 4, v0
	s_waitcnt lgkmcnt(0)
	s_barrier
	s_and_saveexec_b64 s[2:3], vcc
	s_cbranch_execz .LBB1953_234
; %bb.229:
	v_lshlrev_b32_e32 v2, 4, v1
	ds_read_u8 v7, v2 offset:256
	ds_read_b64 v[2:3], v2 offset:264
	v_and_b32_e32 v8, 3, v1
	v_cmp_ne_u32_e32 vcc, 3, v8
	v_addc_co_u32_e32 v4, vcc, 0, v1, vcc
	s_waitcnt lgkmcnt(1)
	v_and_b32_e32 v6, 0xff, v7
	v_lshlrev_b32_e32 v5, 2, v4
	ds_bpermute_b32 v9, v5, v6
	s_waitcnt lgkmcnt(1)
	ds_bpermute_b32 v4, v5, v2
	ds_bpermute_b32 v5, v5, v3
	s_add_i32 s8, s8, 63
	s_lshr_b32 s12, s8, 6
	v_add_u32_e32 v10, 1, v8
	v_cmp_gt_u32_e32 vcc, s12, v10
	s_and_saveexec_b64 s[8:9], vcc
	s_cbranch_execz .LBB1953_231
; %bb.230:
	s_waitcnt lgkmcnt(2)
	v_and_b32_e32 v10, 1, v9
	s_waitcnt lgkmcnt(0)
	v_cmp_lt_i64_e32 vcc, v[4:5], v[2:3]
	v_cmp_eq_u32_e64 s[0:1], 1, v10
	v_and_b32_e32 v6, 1, v7
	s_and_b64 vcc, s[0:1], vcc
	v_cndmask_b32_e64 v7, v7, 1, s[0:1]
	v_cndmask_b32_e32 v2, v2, v4, vcc
	v_cndmask_b32_e32 v3, v3, v5, vcc
	v_cmp_eq_u32_e32 vcc, 1, v6
	v_cndmask_b32_e32 v7, v9, v7, vcc
	v_cndmask_b32_e32 v3, v5, v3, vcc
	;; [unrolled: 1-line block ×3, first 2 shown]
	v_and_b32_e32 v6, 0xff, v7
.LBB1953_231:
	s_or_b64 exec, exec, s[8:9]
	v_cmp_gt_u32_e32 vcc, 2, v8
	s_waitcnt lgkmcnt(1)
	v_cndmask_b32_e64 v4, 0, 1, vcc
	v_lshlrev_b32_e32 v4, 1, v4
	s_waitcnt lgkmcnt(0)
	v_add_lshl_u32 v5, v4, v1, 2
	ds_bpermute_b32 v1, v5, v6
	ds_bpermute_b32 v4, v5, v2
	;; [unrolled: 1-line block ×3, first 2 shown]
	v_add_u32_e32 v8, 2, v8
	v_cmp_gt_u32_e32 vcc, s12, v8
	s_and_saveexec_b64 s[8:9], vcc
	s_cbranch_execz .LBB1953_233
; %bb.232:
	s_waitcnt lgkmcnt(2)
	v_and_b32_e32 v8, 1, v1
	s_waitcnt lgkmcnt(0)
	v_cmp_lt_i64_e32 vcc, v[4:5], v[2:3]
	v_cmp_eq_u32_e64 s[0:1], 1, v8
	v_and_b32_e32 v6, 1, v7
	s_and_b64 vcc, s[0:1], vcc
	v_cndmask_b32_e64 v7, v7, 1, s[0:1]
	v_cndmask_b32_e32 v2, v2, v4, vcc
	v_cndmask_b32_e32 v3, v3, v5, vcc
	v_cmp_eq_u32_e32 vcc, 1, v6
	v_cndmask_b32_e32 v1, v1, v7, vcc
	v_cndmask_b32_e32 v3, v5, v3, vcc
	;; [unrolled: 1-line block ×3, first 2 shown]
	v_and_b32_e32 v6, 0xff, v1
.LBB1953_233:
	s_or_b64 exec, exec, s[8:9]
.LBB1953_234:
	s_or_b64 exec, exec, s[2:3]
.LBB1953_235:
	v_cmp_eq_u32_e32 vcc, 0, v0
                                        ; implicit-def: $vgpr4_vgpr5
                                        ; implicit-def: $vgpr1
	s_and_saveexec_b64 s[8:9], vcc
	s_cbranch_execz .LBB1953_239
; %bb.236:
	s_cmp_eq_u64 s[22:23], 0
	s_waitcnt lgkmcnt(0)
	v_pk_mov_b32 v[4:5], s[18:19], s[18:19] op_sel:[0,1]
	v_mov_b32_e32 v1, s30
	s_cbranch_scc1 .LBB1953_238
; %bb.237:
	v_and_b32_e32 v0, 1, v6
	s_bitcmp1_b32 s30, 0
	v_mov_b32_e32 v1, s30
	v_cmp_eq_u32_e32 vcc, 1, v0
	v_cmp_gt_i64_e64 s[2:3], s[18:19], v[2:3]
	v_cndmask_b32_e64 v0, v1, 1, vcc
	s_cselect_b64 s[0:1], -1, 0
	v_mov_b32_e32 v1, s18
	s_and_b64 vcc, vcc, s[2:3]
	v_cndmask_b32_e32 v4, v1, v2, vcc
	v_mov_b32_e32 v1, s19
	v_cndmask_b32_e32 v5, v1, v3, vcc
	v_cndmask_b32_e64 v1, v6, v0, s[0:1]
	v_cndmask_b32_e64 v5, v3, v5, s[0:1]
	;; [unrolled: 1-line block ×3, first 2 shown]
.LBB1953_238:
	s_or_b64 s[10:11], s[10:11], exec
.LBB1953_239:
	s_or_b64 exec, exec, s[8:9]
	s_and_saveexec_b64 s[0:1], s[10:11]
	s_cbranch_execnz .LBB1953_209
	s_branch .LBB1953_210
.LBB1953_240:
	v_lshlrev_b32_e32 v4, 2, v25
	global_load_dword v18, v4, s[16:17]
	v_mov_b32_e32 v5, s35
	v_add_co_u32_e64 v4, s[16:17], s34, v25
	v_addc_co_u32_e64 v5, s[16:17], 0, v5, s[16:17]
	s_waitcnt vmcnt(0)
	v_cmp_eq_f32_e64 s[16:17], s31, v18
	v_cndmask_b32_e64 v18, 0, 1, s[16:17]
	s_or_b64 exec, exec, s[28:29]
	s_and_saveexec_b64 s[28:29], s[14:15]
	s_cbranch_execz .LBB1953_61
.LBB1953_241:
	v_and_b32_e32 v26, 1, v21
	v_cmp_lt_i64_e64 s[14:15], v[10:11], v[2:3]
	v_cmp_eq_u32_e64 s[16:17], 1, v26
	v_and_b32_e32 v25, 1, v1
	s_and_b64 s[14:15], s[16:17], s[14:15]
	v_cndmask_b32_e64 v1, v1, 1, s[16:17]
	v_cndmask_b32_e64 v2, v2, v10, s[14:15]
	;; [unrolled: 1-line block ×3, first 2 shown]
	v_cmp_eq_u32_e64 s[14:15], 1, v25
	v_cndmask_b32_e64 v1, v21, v1, s[14:15]
	v_cndmask_b32_e64 v3, v11, v3, s[14:15]
	;; [unrolled: 1-line block ×3, first 2 shown]
	s_or_b64 exec, exec, s[28:29]
	s_and_saveexec_b64 s[16:17], s[12:13]
	s_cbranch_execz .LBB1953_62
.LBB1953_242:
	v_and_b32_e32 v11, 1, v24
	v_cmp_lt_i64_e64 s[12:13], v[16:17], v[2:3]
	v_cmp_eq_u32_e64 s[14:15], 1, v11
	v_and_b32_e32 v10, 1, v1
	s_and_b64 s[12:13], s[14:15], s[12:13]
	v_cndmask_b32_e64 v1, v1, 1, s[14:15]
	v_cndmask_b32_e64 v2, v2, v16, s[12:13]
	;; [unrolled: 1-line block ×3, first 2 shown]
	v_cmp_eq_u32_e64 s[12:13], 1, v10
	v_cndmask_b32_e64 v1, v24, v1, s[12:13]
	v_cndmask_b32_e64 v3, v17, v3, s[12:13]
	v_cndmask_b32_e64 v2, v16, v2, s[12:13]
	s_or_b64 exec, exec, s[16:17]
	s_and_saveexec_b64 s[14:15], s[10:11]
	s_cbranch_execz .LBB1953_63
.LBB1953_243:
	v_and_b32_e32 v11, 1, v20
	v_cmp_lt_i64_e64 s[10:11], v[8:9], v[2:3]
	v_cmp_eq_u32_e64 s[12:13], 1, v11
	v_and_b32_e32 v10, 1, v1
	s_and_b64 s[10:11], s[12:13], s[10:11]
	v_cndmask_b32_e64 v1, v1, 1, s[12:13]
	v_cndmask_b32_e64 v2, v2, v8, s[10:11]
	;; [unrolled: 1-line block ×3, first 2 shown]
	v_cmp_eq_u32_e64 s[10:11], 1, v10
	v_cndmask_b32_e64 v1, v20, v1, s[10:11]
	v_cndmask_b32_e64 v3, v9, v3, s[10:11]
	;; [unrolled: 1-line block ×3, first 2 shown]
	s_or_b64 exec, exec, s[14:15]
	s_and_saveexec_b64 s[12:13], s[8:9]
	s_cbranch_execz .LBB1953_64
.LBB1953_244:
	v_and_b32_e32 v9, 1, v23
	v_cmp_lt_i64_e64 s[8:9], v[14:15], v[2:3]
	v_cmp_eq_u32_e64 s[10:11], 1, v9
	v_and_b32_e32 v8, 1, v1
	s_and_b64 s[8:9], s[10:11], s[8:9]
	v_cndmask_b32_e64 v1, v1, 1, s[10:11]
	v_cndmask_b32_e64 v2, v2, v14, s[8:9]
	;; [unrolled: 1-line block ×3, first 2 shown]
	v_cmp_eq_u32_e64 s[8:9], 1, v8
	v_cndmask_b32_e64 v1, v23, v1, s[8:9]
	v_cndmask_b32_e64 v3, v15, v3, s[8:9]
	;; [unrolled: 1-line block ×3, first 2 shown]
	s_or_b64 exec, exec, s[12:13]
	s_and_saveexec_b64 s[10:11], s[2:3]
	s_cbranch_execz .LBB1953_65
.LBB1953_245:
	v_and_b32_e32 v9, 1, v19
	v_cmp_lt_i64_e64 s[2:3], v[6:7], v[2:3]
	v_cmp_eq_u32_e64 s[8:9], 1, v9
	v_and_b32_e32 v8, 1, v1
	s_and_b64 s[2:3], s[8:9], s[2:3]
	v_cndmask_b32_e64 v1, v1, 1, s[8:9]
	v_cndmask_b32_e64 v2, v2, v6, s[2:3]
	;; [unrolled: 1-line block ×3, first 2 shown]
	v_cmp_eq_u32_e64 s[2:3], 1, v8
	v_cndmask_b32_e64 v1, v19, v1, s[2:3]
	v_cndmask_b32_e64 v3, v7, v3, s[2:3]
	;; [unrolled: 1-line block ×3, first 2 shown]
	s_or_b64 exec, exec, s[10:11]
	s_and_saveexec_b64 s[8:9], s[0:1]
	s_cbranch_execz .LBB1953_66
.LBB1953_246:
	v_and_b32_e32 v7, 1, v22
	v_cmp_lt_i64_e64 s[0:1], v[12:13], v[2:3]
	v_cmp_eq_u32_e64 s[2:3], 1, v7
	v_and_b32_e32 v6, 1, v1
	s_and_b64 s[0:1], s[2:3], s[0:1]
	v_cndmask_b32_e64 v1, v1, 1, s[2:3]
	v_cndmask_b32_e64 v2, v2, v12, s[0:1]
	v_cndmask_b32_e64 v3, v3, v13, s[0:1]
	v_cmp_eq_u32_e64 s[0:1], 1, v6
	v_cndmask_b32_e64 v1, v22, v1, s[0:1]
	v_cndmask_b32_e64 v3, v13, v3, s[0:1]
	;; [unrolled: 1-line block ×3, first 2 shown]
	s_or_b64 exec, exec, s[8:9]
	s_and_saveexec_b64 s[2:3], vcc
	s_cbranch_execnz .LBB1953_67
	s_branch .LBB1953_68
.LBB1953_247:
	v_lshlrev_b32_e32 v1, 2, v0
	global_load_dword v1, v1, s[12:13] offset:3072
	v_mov_b32_e32 v5, s17
	v_add_co_u32_e64 v4, s[8:9], s16, v13
	v_addc_co_u32_e64 v5, s[8:9], 0, v5, s[8:9]
	s_waitcnt vmcnt(0)
	v_cmp_eq_f32_e64 s[8:9], s31, v1
	v_cndmask_b32_e64 v1, 0, 1, s[8:9]
	s_or_b64 exec, exec, s[14:15]
	s_and_saveexec_b64 s[12:13], s[2:3]
	s_cbranch_execz .LBB1953_104
.LBB1953_248:
	v_and_b32_e32 v14, 1, v11
	v_cmp_lt_i64_e64 s[2:3], v[6:7], v[2:3]
	v_cmp_eq_u32_e64 s[8:9], 1, v14
	v_and_b32_e32 v13, 1, v10
	s_and_b64 s[2:3], s[8:9], s[2:3]
	v_cndmask_b32_e64 v10, v10, 1, s[8:9]
	v_cndmask_b32_e64 v2, v2, v6, s[2:3]
	;; [unrolled: 1-line block ×3, first 2 shown]
	v_cmp_eq_u32_e64 s[2:3], 1, v13
	v_cndmask_b32_e64 v10, v11, v10, s[2:3]
	v_cndmask_b32_e64 v3, v7, v3, s[2:3]
	;; [unrolled: 1-line block ×3, first 2 shown]
	s_or_b64 exec, exec, s[12:13]
	s_and_saveexec_b64 s[8:9], s[0:1]
	s_cbranch_execz .LBB1953_105
.LBB1953_249:
	v_and_b32_e32 v7, 1, v12
	v_cmp_lt_i64_e64 s[0:1], v[8:9], v[2:3]
	v_cmp_eq_u32_e64 s[2:3], 1, v7
	v_and_b32_e32 v6, 1, v10
	s_and_b64 s[0:1], s[2:3], s[0:1]
	v_cndmask_b32_e64 v7, v10, 1, s[2:3]
	v_cndmask_b32_e64 v2, v2, v8, s[0:1]
	;; [unrolled: 1-line block ×3, first 2 shown]
	v_cmp_eq_u32_e64 s[0:1], 1, v6
	v_cndmask_b32_e64 v10, v12, v7, s[0:1]
	v_cndmask_b32_e64 v3, v9, v3, s[0:1]
	v_cndmask_b32_e64 v2, v8, v2, s[0:1]
	s_or_b64 exec, exec, s[8:9]
	s_and_saveexec_b64 s[2:3], vcc
	s_cbranch_execnz .LBB1953_106
	s_branch .LBB1953_107
	.section	.rodata,"a",@progbits
	.p2align	6, 0x0
	.amdhsa_kernel _ZN7rocprim17ROCPRIM_400000_NS6detail17trampoline_kernelINS0_14default_configENS1_22reduce_config_selectorIN6thrust23THRUST_200600_302600_NS5tupleIblNS6_9null_typeES8_S8_S8_S8_S8_S8_S8_EEEEZNS1_11reduce_implILb1ES3_NS6_12zip_iteratorINS7_INS6_11hip_rocprim26transform_input_iterator_tIbPfNS6_6detail10functional5actorINSH_9compositeIJNSH_27transparent_binary_operatorINS6_8equal_toIvEEEENSI_INSH_8argumentILj0EEEEENSH_5valueIfEEEEEEEEENSD_19counting_iterator_tIlEES8_S8_S8_S8_S8_S8_S8_S8_EEEEPS9_S9_NSD_9__find_if7functorIS9_EEEE10hipError_tPvRmT1_T2_T3_mT4_P12ihipStream_tbEUlT_E1_NS1_11comp_targetILNS1_3genE4ELNS1_11target_archE910ELNS1_3gpuE8ELNS1_3repE0EEENS1_30default_config_static_selectorELNS0_4arch9wavefront6targetE1EEEvS17_
		.amdhsa_group_segment_fixed_size 320
		.amdhsa_private_segment_fixed_size 0
		.amdhsa_kernarg_size 72
		.amdhsa_user_sgpr_count 6
		.amdhsa_user_sgpr_private_segment_buffer 1
		.amdhsa_user_sgpr_dispatch_ptr 0
		.amdhsa_user_sgpr_queue_ptr 0
		.amdhsa_user_sgpr_kernarg_segment_ptr 1
		.amdhsa_user_sgpr_dispatch_id 0
		.amdhsa_user_sgpr_flat_scratch_init 0
		.amdhsa_user_sgpr_kernarg_preload_length 0
		.amdhsa_user_sgpr_kernarg_preload_offset 0
		.amdhsa_user_sgpr_private_segment_size 0
		.amdhsa_uses_dynamic_stack 0
		.amdhsa_system_sgpr_private_segment_wavefront_offset 0
		.amdhsa_system_sgpr_workgroup_id_x 1
		.amdhsa_system_sgpr_workgroup_id_y 0
		.amdhsa_system_sgpr_workgroup_id_z 0
		.amdhsa_system_sgpr_workgroup_info 0
		.amdhsa_system_vgpr_workitem_id 0
		.amdhsa_next_free_vgpr 27
		.amdhsa_next_free_sgpr 37
		.amdhsa_accum_offset 28
		.amdhsa_reserve_vcc 1
		.amdhsa_reserve_flat_scratch 0
		.amdhsa_float_round_mode_32 0
		.amdhsa_float_round_mode_16_64 0
		.amdhsa_float_denorm_mode_32 3
		.amdhsa_float_denorm_mode_16_64 3
		.amdhsa_dx10_clamp 1
		.amdhsa_ieee_mode 1
		.amdhsa_fp16_overflow 0
		.amdhsa_tg_split 0
		.amdhsa_exception_fp_ieee_invalid_op 0
		.amdhsa_exception_fp_denorm_src 0
		.amdhsa_exception_fp_ieee_div_zero 0
		.amdhsa_exception_fp_ieee_overflow 0
		.amdhsa_exception_fp_ieee_underflow 0
		.amdhsa_exception_fp_ieee_inexact 0
		.amdhsa_exception_int_div_zero 0
	.end_amdhsa_kernel
	.section	.text._ZN7rocprim17ROCPRIM_400000_NS6detail17trampoline_kernelINS0_14default_configENS1_22reduce_config_selectorIN6thrust23THRUST_200600_302600_NS5tupleIblNS6_9null_typeES8_S8_S8_S8_S8_S8_S8_EEEEZNS1_11reduce_implILb1ES3_NS6_12zip_iteratorINS7_INS6_11hip_rocprim26transform_input_iterator_tIbPfNS6_6detail10functional5actorINSH_9compositeIJNSH_27transparent_binary_operatorINS6_8equal_toIvEEEENSI_INSH_8argumentILj0EEEEENSH_5valueIfEEEEEEEEENSD_19counting_iterator_tIlEES8_S8_S8_S8_S8_S8_S8_S8_EEEEPS9_S9_NSD_9__find_if7functorIS9_EEEE10hipError_tPvRmT1_T2_T3_mT4_P12ihipStream_tbEUlT_E1_NS1_11comp_targetILNS1_3genE4ELNS1_11target_archE910ELNS1_3gpuE8ELNS1_3repE0EEENS1_30default_config_static_selectorELNS0_4arch9wavefront6targetE1EEEvS17_,"axG",@progbits,_ZN7rocprim17ROCPRIM_400000_NS6detail17trampoline_kernelINS0_14default_configENS1_22reduce_config_selectorIN6thrust23THRUST_200600_302600_NS5tupleIblNS6_9null_typeES8_S8_S8_S8_S8_S8_S8_EEEEZNS1_11reduce_implILb1ES3_NS6_12zip_iteratorINS7_INS6_11hip_rocprim26transform_input_iterator_tIbPfNS6_6detail10functional5actorINSH_9compositeIJNSH_27transparent_binary_operatorINS6_8equal_toIvEEEENSI_INSH_8argumentILj0EEEEENSH_5valueIfEEEEEEEEENSD_19counting_iterator_tIlEES8_S8_S8_S8_S8_S8_S8_S8_EEEEPS9_S9_NSD_9__find_if7functorIS9_EEEE10hipError_tPvRmT1_T2_T3_mT4_P12ihipStream_tbEUlT_E1_NS1_11comp_targetILNS1_3genE4ELNS1_11target_archE910ELNS1_3gpuE8ELNS1_3repE0EEENS1_30default_config_static_selectorELNS0_4arch9wavefront6targetE1EEEvS17_,comdat
.Lfunc_end1953:
	.size	_ZN7rocprim17ROCPRIM_400000_NS6detail17trampoline_kernelINS0_14default_configENS1_22reduce_config_selectorIN6thrust23THRUST_200600_302600_NS5tupleIblNS6_9null_typeES8_S8_S8_S8_S8_S8_S8_EEEEZNS1_11reduce_implILb1ES3_NS6_12zip_iteratorINS7_INS6_11hip_rocprim26transform_input_iterator_tIbPfNS6_6detail10functional5actorINSH_9compositeIJNSH_27transparent_binary_operatorINS6_8equal_toIvEEEENSI_INSH_8argumentILj0EEEEENSH_5valueIfEEEEEEEEENSD_19counting_iterator_tIlEES8_S8_S8_S8_S8_S8_S8_S8_EEEEPS9_S9_NSD_9__find_if7functorIS9_EEEE10hipError_tPvRmT1_T2_T3_mT4_P12ihipStream_tbEUlT_E1_NS1_11comp_targetILNS1_3genE4ELNS1_11target_archE910ELNS1_3gpuE8ELNS1_3repE0EEENS1_30default_config_static_selectorELNS0_4arch9wavefront6targetE1EEEvS17_, .Lfunc_end1953-_ZN7rocprim17ROCPRIM_400000_NS6detail17trampoline_kernelINS0_14default_configENS1_22reduce_config_selectorIN6thrust23THRUST_200600_302600_NS5tupleIblNS6_9null_typeES8_S8_S8_S8_S8_S8_S8_EEEEZNS1_11reduce_implILb1ES3_NS6_12zip_iteratorINS7_INS6_11hip_rocprim26transform_input_iterator_tIbPfNS6_6detail10functional5actorINSH_9compositeIJNSH_27transparent_binary_operatorINS6_8equal_toIvEEEENSI_INSH_8argumentILj0EEEEENSH_5valueIfEEEEEEEEENSD_19counting_iterator_tIlEES8_S8_S8_S8_S8_S8_S8_S8_EEEEPS9_S9_NSD_9__find_if7functorIS9_EEEE10hipError_tPvRmT1_T2_T3_mT4_P12ihipStream_tbEUlT_E1_NS1_11comp_targetILNS1_3genE4ELNS1_11target_archE910ELNS1_3gpuE8ELNS1_3repE0EEENS1_30default_config_static_selectorELNS0_4arch9wavefront6targetE1EEEvS17_
                                        ; -- End function
	.section	.AMDGPU.csdata,"",@progbits
; Kernel info:
; codeLenInByte = 12952
; NumSgprs: 41
; NumVgprs: 27
; NumAgprs: 0
; TotalNumVgprs: 27
; ScratchSize: 0
; MemoryBound: 0
; FloatMode: 240
; IeeeMode: 1
; LDSByteSize: 320 bytes/workgroup (compile time only)
; SGPRBlocks: 5
; VGPRBlocks: 3
; NumSGPRsForWavesPerEU: 41
; NumVGPRsForWavesPerEU: 27
; AccumOffset: 28
; Occupancy: 8
; WaveLimiterHint : 1
; COMPUTE_PGM_RSRC2:SCRATCH_EN: 0
; COMPUTE_PGM_RSRC2:USER_SGPR: 6
; COMPUTE_PGM_RSRC2:TRAP_HANDLER: 0
; COMPUTE_PGM_RSRC2:TGID_X_EN: 1
; COMPUTE_PGM_RSRC2:TGID_Y_EN: 0
; COMPUTE_PGM_RSRC2:TGID_Z_EN: 0
; COMPUTE_PGM_RSRC2:TIDIG_COMP_CNT: 0
; COMPUTE_PGM_RSRC3_GFX90A:ACCUM_OFFSET: 6
; COMPUTE_PGM_RSRC3_GFX90A:TG_SPLIT: 0
	.section	.text._ZN7rocprim17ROCPRIM_400000_NS6detail17trampoline_kernelINS0_14default_configENS1_22reduce_config_selectorIN6thrust23THRUST_200600_302600_NS5tupleIblNS6_9null_typeES8_S8_S8_S8_S8_S8_S8_EEEEZNS1_11reduce_implILb1ES3_NS6_12zip_iteratorINS7_INS6_11hip_rocprim26transform_input_iterator_tIbPfNS6_6detail10functional5actorINSH_9compositeIJNSH_27transparent_binary_operatorINS6_8equal_toIvEEEENSI_INSH_8argumentILj0EEEEENSH_5valueIfEEEEEEEEENSD_19counting_iterator_tIlEES8_S8_S8_S8_S8_S8_S8_S8_EEEEPS9_S9_NSD_9__find_if7functorIS9_EEEE10hipError_tPvRmT1_T2_T3_mT4_P12ihipStream_tbEUlT_E1_NS1_11comp_targetILNS1_3genE3ELNS1_11target_archE908ELNS1_3gpuE7ELNS1_3repE0EEENS1_30default_config_static_selectorELNS0_4arch9wavefront6targetE1EEEvS17_,"axG",@progbits,_ZN7rocprim17ROCPRIM_400000_NS6detail17trampoline_kernelINS0_14default_configENS1_22reduce_config_selectorIN6thrust23THRUST_200600_302600_NS5tupleIblNS6_9null_typeES8_S8_S8_S8_S8_S8_S8_EEEEZNS1_11reduce_implILb1ES3_NS6_12zip_iteratorINS7_INS6_11hip_rocprim26transform_input_iterator_tIbPfNS6_6detail10functional5actorINSH_9compositeIJNSH_27transparent_binary_operatorINS6_8equal_toIvEEEENSI_INSH_8argumentILj0EEEEENSH_5valueIfEEEEEEEEENSD_19counting_iterator_tIlEES8_S8_S8_S8_S8_S8_S8_S8_EEEEPS9_S9_NSD_9__find_if7functorIS9_EEEE10hipError_tPvRmT1_T2_T3_mT4_P12ihipStream_tbEUlT_E1_NS1_11comp_targetILNS1_3genE3ELNS1_11target_archE908ELNS1_3gpuE7ELNS1_3repE0EEENS1_30default_config_static_selectorELNS0_4arch9wavefront6targetE1EEEvS17_,comdat
	.protected	_ZN7rocprim17ROCPRIM_400000_NS6detail17trampoline_kernelINS0_14default_configENS1_22reduce_config_selectorIN6thrust23THRUST_200600_302600_NS5tupleIblNS6_9null_typeES8_S8_S8_S8_S8_S8_S8_EEEEZNS1_11reduce_implILb1ES3_NS6_12zip_iteratorINS7_INS6_11hip_rocprim26transform_input_iterator_tIbPfNS6_6detail10functional5actorINSH_9compositeIJNSH_27transparent_binary_operatorINS6_8equal_toIvEEEENSI_INSH_8argumentILj0EEEEENSH_5valueIfEEEEEEEEENSD_19counting_iterator_tIlEES8_S8_S8_S8_S8_S8_S8_S8_EEEEPS9_S9_NSD_9__find_if7functorIS9_EEEE10hipError_tPvRmT1_T2_T3_mT4_P12ihipStream_tbEUlT_E1_NS1_11comp_targetILNS1_3genE3ELNS1_11target_archE908ELNS1_3gpuE7ELNS1_3repE0EEENS1_30default_config_static_selectorELNS0_4arch9wavefront6targetE1EEEvS17_ ; -- Begin function _ZN7rocprim17ROCPRIM_400000_NS6detail17trampoline_kernelINS0_14default_configENS1_22reduce_config_selectorIN6thrust23THRUST_200600_302600_NS5tupleIblNS6_9null_typeES8_S8_S8_S8_S8_S8_S8_EEEEZNS1_11reduce_implILb1ES3_NS6_12zip_iteratorINS7_INS6_11hip_rocprim26transform_input_iterator_tIbPfNS6_6detail10functional5actorINSH_9compositeIJNSH_27transparent_binary_operatorINS6_8equal_toIvEEEENSI_INSH_8argumentILj0EEEEENSH_5valueIfEEEEEEEEENSD_19counting_iterator_tIlEES8_S8_S8_S8_S8_S8_S8_S8_EEEEPS9_S9_NSD_9__find_if7functorIS9_EEEE10hipError_tPvRmT1_T2_T3_mT4_P12ihipStream_tbEUlT_E1_NS1_11comp_targetILNS1_3genE3ELNS1_11target_archE908ELNS1_3gpuE7ELNS1_3repE0EEENS1_30default_config_static_selectorELNS0_4arch9wavefront6targetE1EEEvS17_
	.globl	_ZN7rocprim17ROCPRIM_400000_NS6detail17trampoline_kernelINS0_14default_configENS1_22reduce_config_selectorIN6thrust23THRUST_200600_302600_NS5tupleIblNS6_9null_typeES8_S8_S8_S8_S8_S8_S8_EEEEZNS1_11reduce_implILb1ES3_NS6_12zip_iteratorINS7_INS6_11hip_rocprim26transform_input_iterator_tIbPfNS6_6detail10functional5actorINSH_9compositeIJNSH_27transparent_binary_operatorINS6_8equal_toIvEEEENSI_INSH_8argumentILj0EEEEENSH_5valueIfEEEEEEEEENSD_19counting_iterator_tIlEES8_S8_S8_S8_S8_S8_S8_S8_EEEEPS9_S9_NSD_9__find_if7functorIS9_EEEE10hipError_tPvRmT1_T2_T3_mT4_P12ihipStream_tbEUlT_E1_NS1_11comp_targetILNS1_3genE3ELNS1_11target_archE908ELNS1_3gpuE7ELNS1_3repE0EEENS1_30default_config_static_selectorELNS0_4arch9wavefront6targetE1EEEvS17_
	.p2align	8
	.type	_ZN7rocprim17ROCPRIM_400000_NS6detail17trampoline_kernelINS0_14default_configENS1_22reduce_config_selectorIN6thrust23THRUST_200600_302600_NS5tupleIblNS6_9null_typeES8_S8_S8_S8_S8_S8_S8_EEEEZNS1_11reduce_implILb1ES3_NS6_12zip_iteratorINS7_INS6_11hip_rocprim26transform_input_iterator_tIbPfNS6_6detail10functional5actorINSH_9compositeIJNSH_27transparent_binary_operatorINS6_8equal_toIvEEEENSI_INSH_8argumentILj0EEEEENSH_5valueIfEEEEEEEEENSD_19counting_iterator_tIlEES8_S8_S8_S8_S8_S8_S8_S8_EEEEPS9_S9_NSD_9__find_if7functorIS9_EEEE10hipError_tPvRmT1_T2_T3_mT4_P12ihipStream_tbEUlT_E1_NS1_11comp_targetILNS1_3genE3ELNS1_11target_archE908ELNS1_3gpuE7ELNS1_3repE0EEENS1_30default_config_static_selectorELNS0_4arch9wavefront6targetE1EEEvS17_,@function
_ZN7rocprim17ROCPRIM_400000_NS6detail17trampoline_kernelINS0_14default_configENS1_22reduce_config_selectorIN6thrust23THRUST_200600_302600_NS5tupleIblNS6_9null_typeES8_S8_S8_S8_S8_S8_S8_EEEEZNS1_11reduce_implILb1ES3_NS6_12zip_iteratorINS7_INS6_11hip_rocprim26transform_input_iterator_tIbPfNS6_6detail10functional5actorINSH_9compositeIJNSH_27transparent_binary_operatorINS6_8equal_toIvEEEENSI_INSH_8argumentILj0EEEEENSH_5valueIfEEEEEEEEENSD_19counting_iterator_tIlEES8_S8_S8_S8_S8_S8_S8_S8_EEEEPS9_S9_NSD_9__find_if7functorIS9_EEEE10hipError_tPvRmT1_T2_T3_mT4_P12ihipStream_tbEUlT_E1_NS1_11comp_targetILNS1_3genE3ELNS1_11target_archE908ELNS1_3gpuE7ELNS1_3repE0EEENS1_30default_config_static_selectorELNS0_4arch9wavefront6targetE1EEEvS17_: ; @_ZN7rocprim17ROCPRIM_400000_NS6detail17trampoline_kernelINS0_14default_configENS1_22reduce_config_selectorIN6thrust23THRUST_200600_302600_NS5tupleIblNS6_9null_typeES8_S8_S8_S8_S8_S8_S8_EEEEZNS1_11reduce_implILb1ES3_NS6_12zip_iteratorINS7_INS6_11hip_rocprim26transform_input_iterator_tIbPfNS6_6detail10functional5actorINSH_9compositeIJNSH_27transparent_binary_operatorINS6_8equal_toIvEEEENSI_INSH_8argumentILj0EEEEENSH_5valueIfEEEEEEEEENSD_19counting_iterator_tIlEES8_S8_S8_S8_S8_S8_S8_S8_EEEEPS9_S9_NSD_9__find_if7functorIS9_EEEE10hipError_tPvRmT1_T2_T3_mT4_P12ihipStream_tbEUlT_E1_NS1_11comp_targetILNS1_3genE3ELNS1_11target_archE908ELNS1_3gpuE7ELNS1_3repE0EEENS1_30default_config_static_selectorELNS0_4arch9wavefront6targetE1EEEvS17_
; %bb.0:
	.section	.rodata,"a",@progbits
	.p2align	6, 0x0
	.amdhsa_kernel _ZN7rocprim17ROCPRIM_400000_NS6detail17trampoline_kernelINS0_14default_configENS1_22reduce_config_selectorIN6thrust23THRUST_200600_302600_NS5tupleIblNS6_9null_typeES8_S8_S8_S8_S8_S8_S8_EEEEZNS1_11reduce_implILb1ES3_NS6_12zip_iteratorINS7_INS6_11hip_rocprim26transform_input_iterator_tIbPfNS6_6detail10functional5actorINSH_9compositeIJNSH_27transparent_binary_operatorINS6_8equal_toIvEEEENSI_INSH_8argumentILj0EEEEENSH_5valueIfEEEEEEEEENSD_19counting_iterator_tIlEES8_S8_S8_S8_S8_S8_S8_S8_EEEEPS9_S9_NSD_9__find_if7functorIS9_EEEE10hipError_tPvRmT1_T2_T3_mT4_P12ihipStream_tbEUlT_E1_NS1_11comp_targetILNS1_3genE3ELNS1_11target_archE908ELNS1_3gpuE7ELNS1_3repE0EEENS1_30default_config_static_selectorELNS0_4arch9wavefront6targetE1EEEvS17_
		.amdhsa_group_segment_fixed_size 0
		.amdhsa_private_segment_fixed_size 0
		.amdhsa_kernarg_size 72
		.amdhsa_user_sgpr_count 6
		.amdhsa_user_sgpr_private_segment_buffer 1
		.amdhsa_user_sgpr_dispatch_ptr 0
		.amdhsa_user_sgpr_queue_ptr 0
		.amdhsa_user_sgpr_kernarg_segment_ptr 1
		.amdhsa_user_sgpr_dispatch_id 0
		.amdhsa_user_sgpr_flat_scratch_init 0
		.amdhsa_user_sgpr_kernarg_preload_length 0
		.amdhsa_user_sgpr_kernarg_preload_offset 0
		.amdhsa_user_sgpr_private_segment_size 0
		.amdhsa_uses_dynamic_stack 0
		.amdhsa_system_sgpr_private_segment_wavefront_offset 0
		.amdhsa_system_sgpr_workgroup_id_x 1
		.amdhsa_system_sgpr_workgroup_id_y 0
		.amdhsa_system_sgpr_workgroup_id_z 0
		.amdhsa_system_sgpr_workgroup_info 0
		.amdhsa_system_vgpr_workitem_id 0
		.amdhsa_next_free_vgpr 1
		.amdhsa_next_free_sgpr 0
		.amdhsa_accum_offset 4
		.amdhsa_reserve_vcc 0
		.amdhsa_reserve_flat_scratch 0
		.amdhsa_float_round_mode_32 0
		.amdhsa_float_round_mode_16_64 0
		.amdhsa_float_denorm_mode_32 3
		.amdhsa_float_denorm_mode_16_64 3
		.amdhsa_dx10_clamp 1
		.amdhsa_ieee_mode 1
		.amdhsa_fp16_overflow 0
		.amdhsa_tg_split 0
		.amdhsa_exception_fp_ieee_invalid_op 0
		.amdhsa_exception_fp_denorm_src 0
		.amdhsa_exception_fp_ieee_div_zero 0
		.amdhsa_exception_fp_ieee_overflow 0
		.amdhsa_exception_fp_ieee_underflow 0
		.amdhsa_exception_fp_ieee_inexact 0
		.amdhsa_exception_int_div_zero 0
	.end_amdhsa_kernel
	.section	.text._ZN7rocprim17ROCPRIM_400000_NS6detail17trampoline_kernelINS0_14default_configENS1_22reduce_config_selectorIN6thrust23THRUST_200600_302600_NS5tupleIblNS6_9null_typeES8_S8_S8_S8_S8_S8_S8_EEEEZNS1_11reduce_implILb1ES3_NS6_12zip_iteratorINS7_INS6_11hip_rocprim26transform_input_iterator_tIbPfNS6_6detail10functional5actorINSH_9compositeIJNSH_27transparent_binary_operatorINS6_8equal_toIvEEEENSI_INSH_8argumentILj0EEEEENSH_5valueIfEEEEEEEEENSD_19counting_iterator_tIlEES8_S8_S8_S8_S8_S8_S8_S8_EEEEPS9_S9_NSD_9__find_if7functorIS9_EEEE10hipError_tPvRmT1_T2_T3_mT4_P12ihipStream_tbEUlT_E1_NS1_11comp_targetILNS1_3genE3ELNS1_11target_archE908ELNS1_3gpuE7ELNS1_3repE0EEENS1_30default_config_static_selectorELNS0_4arch9wavefront6targetE1EEEvS17_,"axG",@progbits,_ZN7rocprim17ROCPRIM_400000_NS6detail17trampoline_kernelINS0_14default_configENS1_22reduce_config_selectorIN6thrust23THRUST_200600_302600_NS5tupleIblNS6_9null_typeES8_S8_S8_S8_S8_S8_S8_EEEEZNS1_11reduce_implILb1ES3_NS6_12zip_iteratorINS7_INS6_11hip_rocprim26transform_input_iterator_tIbPfNS6_6detail10functional5actorINSH_9compositeIJNSH_27transparent_binary_operatorINS6_8equal_toIvEEEENSI_INSH_8argumentILj0EEEEENSH_5valueIfEEEEEEEEENSD_19counting_iterator_tIlEES8_S8_S8_S8_S8_S8_S8_S8_EEEEPS9_S9_NSD_9__find_if7functorIS9_EEEE10hipError_tPvRmT1_T2_T3_mT4_P12ihipStream_tbEUlT_E1_NS1_11comp_targetILNS1_3genE3ELNS1_11target_archE908ELNS1_3gpuE7ELNS1_3repE0EEENS1_30default_config_static_selectorELNS0_4arch9wavefront6targetE1EEEvS17_,comdat
.Lfunc_end1954:
	.size	_ZN7rocprim17ROCPRIM_400000_NS6detail17trampoline_kernelINS0_14default_configENS1_22reduce_config_selectorIN6thrust23THRUST_200600_302600_NS5tupleIblNS6_9null_typeES8_S8_S8_S8_S8_S8_S8_EEEEZNS1_11reduce_implILb1ES3_NS6_12zip_iteratorINS7_INS6_11hip_rocprim26transform_input_iterator_tIbPfNS6_6detail10functional5actorINSH_9compositeIJNSH_27transparent_binary_operatorINS6_8equal_toIvEEEENSI_INSH_8argumentILj0EEEEENSH_5valueIfEEEEEEEEENSD_19counting_iterator_tIlEES8_S8_S8_S8_S8_S8_S8_S8_EEEEPS9_S9_NSD_9__find_if7functorIS9_EEEE10hipError_tPvRmT1_T2_T3_mT4_P12ihipStream_tbEUlT_E1_NS1_11comp_targetILNS1_3genE3ELNS1_11target_archE908ELNS1_3gpuE7ELNS1_3repE0EEENS1_30default_config_static_selectorELNS0_4arch9wavefront6targetE1EEEvS17_, .Lfunc_end1954-_ZN7rocprim17ROCPRIM_400000_NS6detail17trampoline_kernelINS0_14default_configENS1_22reduce_config_selectorIN6thrust23THRUST_200600_302600_NS5tupleIblNS6_9null_typeES8_S8_S8_S8_S8_S8_S8_EEEEZNS1_11reduce_implILb1ES3_NS6_12zip_iteratorINS7_INS6_11hip_rocprim26transform_input_iterator_tIbPfNS6_6detail10functional5actorINSH_9compositeIJNSH_27transparent_binary_operatorINS6_8equal_toIvEEEENSI_INSH_8argumentILj0EEEEENSH_5valueIfEEEEEEEEENSD_19counting_iterator_tIlEES8_S8_S8_S8_S8_S8_S8_S8_EEEEPS9_S9_NSD_9__find_if7functorIS9_EEEE10hipError_tPvRmT1_T2_T3_mT4_P12ihipStream_tbEUlT_E1_NS1_11comp_targetILNS1_3genE3ELNS1_11target_archE908ELNS1_3gpuE7ELNS1_3repE0EEENS1_30default_config_static_selectorELNS0_4arch9wavefront6targetE1EEEvS17_
                                        ; -- End function
	.section	.AMDGPU.csdata,"",@progbits
; Kernel info:
; codeLenInByte = 0
; NumSgprs: 4
; NumVgprs: 0
; NumAgprs: 0
; TotalNumVgprs: 0
; ScratchSize: 0
; MemoryBound: 0
; FloatMode: 240
; IeeeMode: 1
; LDSByteSize: 0 bytes/workgroup (compile time only)
; SGPRBlocks: 0
; VGPRBlocks: 0
; NumSGPRsForWavesPerEU: 4
; NumVGPRsForWavesPerEU: 1
; AccumOffset: 4
; Occupancy: 8
; WaveLimiterHint : 0
; COMPUTE_PGM_RSRC2:SCRATCH_EN: 0
; COMPUTE_PGM_RSRC2:USER_SGPR: 6
; COMPUTE_PGM_RSRC2:TRAP_HANDLER: 0
; COMPUTE_PGM_RSRC2:TGID_X_EN: 1
; COMPUTE_PGM_RSRC2:TGID_Y_EN: 0
; COMPUTE_PGM_RSRC2:TGID_Z_EN: 0
; COMPUTE_PGM_RSRC2:TIDIG_COMP_CNT: 0
; COMPUTE_PGM_RSRC3_GFX90A:ACCUM_OFFSET: 0
; COMPUTE_PGM_RSRC3_GFX90A:TG_SPLIT: 0
	.section	.text._ZN7rocprim17ROCPRIM_400000_NS6detail17trampoline_kernelINS0_14default_configENS1_22reduce_config_selectorIN6thrust23THRUST_200600_302600_NS5tupleIblNS6_9null_typeES8_S8_S8_S8_S8_S8_S8_EEEEZNS1_11reduce_implILb1ES3_NS6_12zip_iteratorINS7_INS6_11hip_rocprim26transform_input_iterator_tIbPfNS6_6detail10functional5actorINSH_9compositeIJNSH_27transparent_binary_operatorINS6_8equal_toIvEEEENSI_INSH_8argumentILj0EEEEENSH_5valueIfEEEEEEEEENSD_19counting_iterator_tIlEES8_S8_S8_S8_S8_S8_S8_S8_EEEEPS9_S9_NSD_9__find_if7functorIS9_EEEE10hipError_tPvRmT1_T2_T3_mT4_P12ihipStream_tbEUlT_E1_NS1_11comp_targetILNS1_3genE2ELNS1_11target_archE906ELNS1_3gpuE6ELNS1_3repE0EEENS1_30default_config_static_selectorELNS0_4arch9wavefront6targetE1EEEvS17_,"axG",@progbits,_ZN7rocprim17ROCPRIM_400000_NS6detail17trampoline_kernelINS0_14default_configENS1_22reduce_config_selectorIN6thrust23THRUST_200600_302600_NS5tupleIblNS6_9null_typeES8_S8_S8_S8_S8_S8_S8_EEEEZNS1_11reduce_implILb1ES3_NS6_12zip_iteratorINS7_INS6_11hip_rocprim26transform_input_iterator_tIbPfNS6_6detail10functional5actorINSH_9compositeIJNSH_27transparent_binary_operatorINS6_8equal_toIvEEEENSI_INSH_8argumentILj0EEEEENSH_5valueIfEEEEEEEEENSD_19counting_iterator_tIlEES8_S8_S8_S8_S8_S8_S8_S8_EEEEPS9_S9_NSD_9__find_if7functorIS9_EEEE10hipError_tPvRmT1_T2_T3_mT4_P12ihipStream_tbEUlT_E1_NS1_11comp_targetILNS1_3genE2ELNS1_11target_archE906ELNS1_3gpuE6ELNS1_3repE0EEENS1_30default_config_static_selectorELNS0_4arch9wavefront6targetE1EEEvS17_,comdat
	.protected	_ZN7rocprim17ROCPRIM_400000_NS6detail17trampoline_kernelINS0_14default_configENS1_22reduce_config_selectorIN6thrust23THRUST_200600_302600_NS5tupleIblNS6_9null_typeES8_S8_S8_S8_S8_S8_S8_EEEEZNS1_11reduce_implILb1ES3_NS6_12zip_iteratorINS7_INS6_11hip_rocprim26transform_input_iterator_tIbPfNS6_6detail10functional5actorINSH_9compositeIJNSH_27transparent_binary_operatorINS6_8equal_toIvEEEENSI_INSH_8argumentILj0EEEEENSH_5valueIfEEEEEEEEENSD_19counting_iterator_tIlEES8_S8_S8_S8_S8_S8_S8_S8_EEEEPS9_S9_NSD_9__find_if7functorIS9_EEEE10hipError_tPvRmT1_T2_T3_mT4_P12ihipStream_tbEUlT_E1_NS1_11comp_targetILNS1_3genE2ELNS1_11target_archE906ELNS1_3gpuE6ELNS1_3repE0EEENS1_30default_config_static_selectorELNS0_4arch9wavefront6targetE1EEEvS17_ ; -- Begin function _ZN7rocprim17ROCPRIM_400000_NS6detail17trampoline_kernelINS0_14default_configENS1_22reduce_config_selectorIN6thrust23THRUST_200600_302600_NS5tupleIblNS6_9null_typeES8_S8_S8_S8_S8_S8_S8_EEEEZNS1_11reduce_implILb1ES3_NS6_12zip_iteratorINS7_INS6_11hip_rocprim26transform_input_iterator_tIbPfNS6_6detail10functional5actorINSH_9compositeIJNSH_27transparent_binary_operatorINS6_8equal_toIvEEEENSI_INSH_8argumentILj0EEEEENSH_5valueIfEEEEEEEEENSD_19counting_iterator_tIlEES8_S8_S8_S8_S8_S8_S8_S8_EEEEPS9_S9_NSD_9__find_if7functorIS9_EEEE10hipError_tPvRmT1_T2_T3_mT4_P12ihipStream_tbEUlT_E1_NS1_11comp_targetILNS1_3genE2ELNS1_11target_archE906ELNS1_3gpuE6ELNS1_3repE0EEENS1_30default_config_static_selectorELNS0_4arch9wavefront6targetE1EEEvS17_
	.globl	_ZN7rocprim17ROCPRIM_400000_NS6detail17trampoline_kernelINS0_14default_configENS1_22reduce_config_selectorIN6thrust23THRUST_200600_302600_NS5tupleIblNS6_9null_typeES8_S8_S8_S8_S8_S8_S8_EEEEZNS1_11reduce_implILb1ES3_NS6_12zip_iteratorINS7_INS6_11hip_rocprim26transform_input_iterator_tIbPfNS6_6detail10functional5actorINSH_9compositeIJNSH_27transparent_binary_operatorINS6_8equal_toIvEEEENSI_INSH_8argumentILj0EEEEENSH_5valueIfEEEEEEEEENSD_19counting_iterator_tIlEES8_S8_S8_S8_S8_S8_S8_S8_EEEEPS9_S9_NSD_9__find_if7functorIS9_EEEE10hipError_tPvRmT1_T2_T3_mT4_P12ihipStream_tbEUlT_E1_NS1_11comp_targetILNS1_3genE2ELNS1_11target_archE906ELNS1_3gpuE6ELNS1_3repE0EEENS1_30default_config_static_selectorELNS0_4arch9wavefront6targetE1EEEvS17_
	.p2align	8
	.type	_ZN7rocprim17ROCPRIM_400000_NS6detail17trampoline_kernelINS0_14default_configENS1_22reduce_config_selectorIN6thrust23THRUST_200600_302600_NS5tupleIblNS6_9null_typeES8_S8_S8_S8_S8_S8_S8_EEEEZNS1_11reduce_implILb1ES3_NS6_12zip_iteratorINS7_INS6_11hip_rocprim26transform_input_iterator_tIbPfNS6_6detail10functional5actorINSH_9compositeIJNSH_27transparent_binary_operatorINS6_8equal_toIvEEEENSI_INSH_8argumentILj0EEEEENSH_5valueIfEEEEEEEEENSD_19counting_iterator_tIlEES8_S8_S8_S8_S8_S8_S8_S8_EEEEPS9_S9_NSD_9__find_if7functorIS9_EEEE10hipError_tPvRmT1_T2_T3_mT4_P12ihipStream_tbEUlT_E1_NS1_11comp_targetILNS1_3genE2ELNS1_11target_archE906ELNS1_3gpuE6ELNS1_3repE0EEENS1_30default_config_static_selectorELNS0_4arch9wavefront6targetE1EEEvS17_,@function
_ZN7rocprim17ROCPRIM_400000_NS6detail17trampoline_kernelINS0_14default_configENS1_22reduce_config_selectorIN6thrust23THRUST_200600_302600_NS5tupleIblNS6_9null_typeES8_S8_S8_S8_S8_S8_S8_EEEEZNS1_11reduce_implILb1ES3_NS6_12zip_iteratorINS7_INS6_11hip_rocprim26transform_input_iterator_tIbPfNS6_6detail10functional5actorINSH_9compositeIJNSH_27transparent_binary_operatorINS6_8equal_toIvEEEENSI_INSH_8argumentILj0EEEEENSH_5valueIfEEEEEEEEENSD_19counting_iterator_tIlEES8_S8_S8_S8_S8_S8_S8_S8_EEEEPS9_S9_NSD_9__find_if7functorIS9_EEEE10hipError_tPvRmT1_T2_T3_mT4_P12ihipStream_tbEUlT_E1_NS1_11comp_targetILNS1_3genE2ELNS1_11target_archE906ELNS1_3gpuE6ELNS1_3repE0EEENS1_30default_config_static_selectorELNS0_4arch9wavefront6targetE1EEEvS17_: ; @_ZN7rocprim17ROCPRIM_400000_NS6detail17trampoline_kernelINS0_14default_configENS1_22reduce_config_selectorIN6thrust23THRUST_200600_302600_NS5tupleIblNS6_9null_typeES8_S8_S8_S8_S8_S8_S8_EEEEZNS1_11reduce_implILb1ES3_NS6_12zip_iteratorINS7_INS6_11hip_rocprim26transform_input_iterator_tIbPfNS6_6detail10functional5actorINSH_9compositeIJNSH_27transparent_binary_operatorINS6_8equal_toIvEEEENSI_INSH_8argumentILj0EEEEENSH_5valueIfEEEEEEEEENSD_19counting_iterator_tIlEES8_S8_S8_S8_S8_S8_S8_S8_EEEEPS9_S9_NSD_9__find_if7functorIS9_EEEE10hipError_tPvRmT1_T2_T3_mT4_P12ihipStream_tbEUlT_E1_NS1_11comp_targetILNS1_3genE2ELNS1_11target_archE906ELNS1_3gpuE6ELNS1_3repE0EEENS1_30default_config_static_selectorELNS0_4arch9wavefront6targetE1EEEvS17_
; %bb.0:
	.section	.rodata,"a",@progbits
	.p2align	6, 0x0
	.amdhsa_kernel _ZN7rocprim17ROCPRIM_400000_NS6detail17trampoline_kernelINS0_14default_configENS1_22reduce_config_selectorIN6thrust23THRUST_200600_302600_NS5tupleIblNS6_9null_typeES8_S8_S8_S8_S8_S8_S8_EEEEZNS1_11reduce_implILb1ES3_NS6_12zip_iteratorINS7_INS6_11hip_rocprim26transform_input_iterator_tIbPfNS6_6detail10functional5actorINSH_9compositeIJNSH_27transparent_binary_operatorINS6_8equal_toIvEEEENSI_INSH_8argumentILj0EEEEENSH_5valueIfEEEEEEEEENSD_19counting_iterator_tIlEES8_S8_S8_S8_S8_S8_S8_S8_EEEEPS9_S9_NSD_9__find_if7functorIS9_EEEE10hipError_tPvRmT1_T2_T3_mT4_P12ihipStream_tbEUlT_E1_NS1_11comp_targetILNS1_3genE2ELNS1_11target_archE906ELNS1_3gpuE6ELNS1_3repE0EEENS1_30default_config_static_selectorELNS0_4arch9wavefront6targetE1EEEvS17_
		.amdhsa_group_segment_fixed_size 0
		.amdhsa_private_segment_fixed_size 0
		.amdhsa_kernarg_size 72
		.amdhsa_user_sgpr_count 6
		.amdhsa_user_sgpr_private_segment_buffer 1
		.amdhsa_user_sgpr_dispatch_ptr 0
		.amdhsa_user_sgpr_queue_ptr 0
		.amdhsa_user_sgpr_kernarg_segment_ptr 1
		.amdhsa_user_sgpr_dispatch_id 0
		.amdhsa_user_sgpr_flat_scratch_init 0
		.amdhsa_user_sgpr_kernarg_preload_length 0
		.amdhsa_user_sgpr_kernarg_preload_offset 0
		.amdhsa_user_sgpr_private_segment_size 0
		.amdhsa_uses_dynamic_stack 0
		.amdhsa_system_sgpr_private_segment_wavefront_offset 0
		.amdhsa_system_sgpr_workgroup_id_x 1
		.amdhsa_system_sgpr_workgroup_id_y 0
		.amdhsa_system_sgpr_workgroup_id_z 0
		.amdhsa_system_sgpr_workgroup_info 0
		.amdhsa_system_vgpr_workitem_id 0
		.amdhsa_next_free_vgpr 1
		.amdhsa_next_free_sgpr 0
		.amdhsa_accum_offset 4
		.amdhsa_reserve_vcc 0
		.amdhsa_reserve_flat_scratch 0
		.amdhsa_float_round_mode_32 0
		.amdhsa_float_round_mode_16_64 0
		.amdhsa_float_denorm_mode_32 3
		.amdhsa_float_denorm_mode_16_64 3
		.amdhsa_dx10_clamp 1
		.amdhsa_ieee_mode 1
		.amdhsa_fp16_overflow 0
		.amdhsa_tg_split 0
		.amdhsa_exception_fp_ieee_invalid_op 0
		.amdhsa_exception_fp_denorm_src 0
		.amdhsa_exception_fp_ieee_div_zero 0
		.amdhsa_exception_fp_ieee_overflow 0
		.amdhsa_exception_fp_ieee_underflow 0
		.amdhsa_exception_fp_ieee_inexact 0
		.amdhsa_exception_int_div_zero 0
	.end_amdhsa_kernel
	.section	.text._ZN7rocprim17ROCPRIM_400000_NS6detail17trampoline_kernelINS0_14default_configENS1_22reduce_config_selectorIN6thrust23THRUST_200600_302600_NS5tupleIblNS6_9null_typeES8_S8_S8_S8_S8_S8_S8_EEEEZNS1_11reduce_implILb1ES3_NS6_12zip_iteratorINS7_INS6_11hip_rocprim26transform_input_iterator_tIbPfNS6_6detail10functional5actorINSH_9compositeIJNSH_27transparent_binary_operatorINS6_8equal_toIvEEEENSI_INSH_8argumentILj0EEEEENSH_5valueIfEEEEEEEEENSD_19counting_iterator_tIlEES8_S8_S8_S8_S8_S8_S8_S8_EEEEPS9_S9_NSD_9__find_if7functorIS9_EEEE10hipError_tPvRmT1_T2_T3_mT4_P12ihipStream_tbEUlT_E1_NS1_11comp_targetILNS1_3genE2ELNS1_11target_archE906ELNS1_3gpuE6ELNS1_3repE0EEENS1_30default_config_static_selectorELNS0_4arch9wavefront6targetE1EEEvS17_,"axG",@progbits,_ZN7rocprim17ROCPRIM_400000_NS6detail17trampoline_kernelINS0_14default_configENS1_22reduce_config_selectorIN6thrust23THRUST_200600_302600_NS5tupleIblNS6_9null_typeES8_S8_S8_S8_S8_S8_S8_EEEEZNS1_11reduce_implILb1ES3_NS6_12zip_iteratorINS7_INS6_11hip_rocprim26transform_input_iterator_tIbPfNS6_6detail10functional5actorINSH_9compositeIJNSH_27transparent_binary_operatorINS6_8equal_toIvEEEENSI_INSH_8argumentILj0EEEEENSH_5valueIfEEEEEEEEENSD_19counting_iterator_tIlEES8_S8_S8_S8_S8_S8_S8_S8_EEEEPS9_S9_NSD_9__find_if7functorIS9_EEEE10hipError_tPvRmT1_T2_T3_mT4_P12ihipStream_tbEUlT_E1_NS1_11comp_targetILNS1_3genE2ELNS1_11target_archE906ELNS1_3gpuE6ELNS1_3repE0EEENS1_30default_config_static_selectorELNS0_4arch9wavefront6targetE1EEEvS17_,comdat
.Lfunc_end1955:
	.size	_ZN7rocprim17ROCPRIM_400000_NS6detail17trampoline_kernelINS0_14default_configENS1_22reduce_config_selectorIN6thrust23THRUST_200600_302600_NS5tupleIblNS6_9null_typeES8_S8_S8_S8_S8_S8_S8_EEEEZNS1_11reduce_implILb1ES3_NS6_12zip_iteratorINS7_INS6_11hip_rocprim26transform_input_iterator_tIbPfNS6_6detail10functional5actorINSH_9compositeIJNSH_27transparent_binary_operatorINS6_8equal_toIvEEEENSI_INSH_8argumentILj0EEEEENSH_5valueIfEEEEEEEEENSD_19counting_iterator_tIlEES8_S8_S8_S8_S8_S8_S8_S8_EEEEPS9_S9_NSD_9__find_if7functorIS9_EEEE10hipError_tPvRmT1_T2_T3_mT4_P12ihipStream_tbEUlT_E1_NS1_11comp_targetILNS1_3genE2ELNS1_11target_archE906ELNS1_3gpuE6ELNS1_3repE0EEENS1_30default_config_static_selectorELNS0_4arch9wavefront6targetE1EEEvS17_, .Lfunc_end1955-_ZN7rocprim17ROCPRIM_400000_NS6detail17trampoline_kernelINS0_14default_configENS1_22reduce_config_selectorIN6thrust23THRUST_200600_302600_NS5tupleIblNS6_9null_typeES8_S8_S8_S8_S8_S8_S8_EEEEZNS1_11reduce_implILb1ES3_NS6_12zip_iteratorINS7_INS6_11hip_rocprim26transform_input_iterator_tIbPfNS6_6detail10functional5actorINSH_9compositeIJNSH_27transparent_binary_operatorINS6_8equal_toIvEEEENSI_INSH_8argumentILj0EEEEENSH_5valueIfEEEEEEEEENSD_19counting_iterator_tIlEES8_S8_S8_S8_S8_S8_S8_S8_EEEEPS9_S9_NSD_9__find_if7functorIS9_EEEE10hipError_tPvRmT1_T2_T3_mT4_P12ihipStream_tbEUlT_E1_NS1_11comp_targetILNS1_3genE2ELNS1_11target_archE906ELNS1_3gpuE6ELNS1_3repE0EEENS1_30default_config_static_selectorELNS0_4arch9wavefront6targetE1EEEvS17_
                                        ; -- End function
	.section	.AMDGPU.csdata,"",@progbits
; Kernel info:
; codeLenInByte = 0
; NumSgprs: 4
; NumVgprs: 0
; NumAgprs: 0
; TotalNumVgprs: 0
; ScratchSize: 0
; MemoryBound: 0
; FloatMode: 240
; IeeeMode: 1
; LDSByteSize: 0 bytes/workgroup (compile time only)
; SGPRBlocks: 0
; VGPRBlocks: 0
; NumSGPRsForWavesPerEU: 4
; NumVGPRsForWavesPerEU: 1
; AccumOffset: 4
; Occupancy: 8
; WaveLimiterHint : 0
; COMPUTE_PGM_RSRC2:SCRATCH_EN: 0
; COMPUTE_PGM_RSRC2:USER_SGPR: 6
; COMPUTE_PGM_RSRC2:TRAP_HANDLER: 0
; COMPUTE_PGM_RSRC2:TGID_X_EN: 1
; COMPUTE_PGM_RSRC2:TGID_Y_EN: 0
; COMPUTE_PGM_RSRC2:TGID_Z_EN: 0
; COMPUTE_PGM_RSRC2:TIDIG_COMP_CNT: 0
; COMPUTE_PGM_RSRC3_GFX90A:ACCUM_OFFSET: 0
; COMPUTE_PGM_RSRC3_GFX90A:TG_SPLIT: 0
	.section	.text._ZN7rocprim17ROCPRIM_400000_NS6detail17trampoline_kernelINS0_14default_configENS1_22reduce_config_selectorIN6thrust23THRUST_200600_302600_NS5tupleIblNS6_9null_typeES8_S8_S8_S8_S8_S8_S8_EEEEZNS1_11reduce_implILb1ES3_NS6_12zip_iteratorINS7_INS6_11hip_rocprim26transform_input_iterator_tIbPfNS6_6detail10functional5actorINSH_9compositeIJNSH_27transparent_binary_operatorINS6_8equal_toIvEEEENSI_INSH_8argumentILj0EEEEENSH_5valueIfEEEEEEEEENSD_19counting_iterator_tIlEES8_S8_S8_S8_S8_S8_S8_S8_EEEEPS9_S9_NSD_9__find_if7functorIS9_EEEE10hipError_tPvRmT1_T2_T3_mT4_P12ihipStream_tbEUlT_E1_NS1_11comp_targetILNS1_3genE10ELNS1_11target_archE1201ELNS1_3gpuE5ELNS1_3repE0EEENS1_30default_config_static_selectorELNS0_4arch9wavefront6targetE1EEEvS17_,"axG",@progbits,_ZN7rocprim17ROCPRIM_400000_NS6detail17trampoline_kernelINS0_14default_configENS1_22reduce_config_selectorIN6thrust23THRUST_200600_302600_NS5tupleIblNS6_9null_typeES8_S8_S8_S8_S8_S8_S8_EEEEZNS1_11reduce_implILb1ES3_NS6_12zip_iteratorINS7_INS6_11hip_rocprim26transform_input_iterator_tIbPfNS6_6detail10functional5actorINSH_9compositeIJNSH_27transparent_binary_operatorINS6_8equal_toIvEEEENSI_INSH_8argumentILj0EEEEENSH_5valueIfEEEEEEEEENSD_19counting_iterator_tIlEES8_S8_S8_S8_S8_S8_S8_S8_EEEEPS9_S9_NSD_9__find_if7functorIS9_EEEE10hipError_tPvRmT1_T2_T3_mT4_P12ihipStream_tbEUlT_E1_NS1_11comp_targetILNS1_3genE10ELNS1_11target_archE1201ELNS1_3gpuE5ELNS1_3repE0EEENS1_30default_config_static_selectorELNS0_4arch9wavefront6targetE1EEEvS17_,comdat
	.protected	_ZN7rocprim17ROCPRIM_400000_NS6detail17trampoline_kernelINS0_14default_configENS1_22reduce_config_selectorIN6thrust23THRUST_200600_302600_NS5tupleIblNS6_9null_typeES8_S8_S8_S8_S8_S8_S8_EEEEZNS1_11reduce_implILb1ES3_NS6_12zip_iteratorINS7_INS6_11hip_rocprim26transform_input_iterator_tIbPfNS6_6detail10functional5actorINSH_9compositeIJNSH_27transparent_binary_operatorINS6_8equal_toIvEEEENSI_INSH_8argumentILj0EEEEENSH_5valueIfEEEEEEEEENSD_19counting_iterator_tIlEES8_S8_S8_S8_S8_S8_S8_S8_EEEEPS9_S9_NSD_9__find_if7functorIS9_EEEE10hipError_tPvRmT1_T2_T3_mT4_P12ihipStream_tbEUlT_E1_NS1_11comp_targetILNS1_3genE10ELNS1_11target_archE1201ELNS1_3gpuE5ELNS1_3repE0EEENS1_30default_config_static_selectorELNS0_4arch9wavefront6targetE1EEEvS17_ ; -- Begin function _ZN7rocprim17ROCPRIM_400000_NS6detail17trampoline_kernelINS0_14default_configENS1_22reduce_config_selectorIN6thrust23THRUST_200600_302600_NS5tupleIblNS6_9null_typeES8_S8_S8_S8_S8_S8_S8_EEEEZNS1_11reduce_implILb1ES3_NS6_12zip_iteratorINS7_INS6_11hip_rocprim26transform_input_iterator_tIbPfNS6_6detail10functional5actorINSH_9compositeIJNSH_27transparent_binary_operatorINS6_8equal_toIvEEEENSI_INSH_8argumentILj0EEEEENSH_5valueIfEEEEEEEEENSD_19counting_iterator_tIlEES8_S8_S8_S8_S8_S8_S8_S8_EEEEPS9_S9_NSD_9__find_if7functorIS9_EEEE10hipError_tPvRmT1_T2_T3_mT4_P12ihipStream_tbEUlT_E1_NS1_11comp_targetILNS1_3genE10ELNS1_11target_archE1201ELNS1_3gpuE5ELNS1_3repE0EEENS1_30default_config_static_selectorELNS0_4arch9wavefront6targetE1EEEvS17_
	.globl	_ZN7rocprim17ROCPRIM_400000_NS6detail17trampoline_kernelINS0_14default_configENS1_22reduce_config_selectorIN6thrust23THRUST_200600_302600_NS5tupleIblNS6_9null_typeES8_S8_S8_S8_S8_S8_S8_EEEEZNS1_11reduce_implILb1ES3_NS6_12zip_iteratorINS7_INS6_11hip_rocprim26transform_input_iterator_tIbPfNS6_6detail10functional5actorINSH_9compositeIJNSH_27transparent_binary_operatorINS6_8equal_toIvEEEENSI_INSH_8argumentILj0EEEEENSH_5valueIfEEEEEEEEENSD_19counting_iterator_tIlEES8_S8_S8_S8_S8_S8_S8_S8_EEEEPS9_S9_NSD_9__find_if7functorIS9_EEEE10hipError_tPvRmT1_T2_T3_mT4_P12ihipStream_tbEUlT_E1_NS1_11comp_targetILNS1_3genE10ELNS1_11target_archE1201ELNS1_3gpuE5ELNS1_3repE0EEENS1_30default_config_static_selectorELNS0_4arch9wavefront6targetE1EEEvS17_
	.p2align	8
	.type	_ZN7rocprim17ROCPRIM_400000_NS6detail17trampoline_kernelINS0_14default_configENS1_22reduce_config_selectorIN6thrust23THRUST_200600_302600_NS5tupleIblNS6_9null_typeES8_S8_S8_S8_S8_S8_S8_EEEEZNS1_11reduce_implILb1ES3_NS6_12zip_iteratorINS7_INS6_11hip_rocprim26transform_input_iterator_tIbPfNS6_6detail10functional5actorINSH_9compositeIJNSH_27transparent_binary_operatorINS6_8equal_toIvEEEENSI_INSH_8argumentILj0EEEEENSH_5valueIfEEEEEEEEENSD_19counting_iterator_tIlEES8_S8_S8_S8_S8_S8_S8_S8_EEEEPS9_S9_NSD_9__find_if7functorIS9_EEEE10hipError_tPvRmT1_T2_T3_mT4_P12ihipStream_tbEUlT_E1_NS1_11comp_targetILNS1_3genE10ELNS1_11target_archE1201ELNS1_3gpuE5ELNS1_3repE0EEENS1_30default_config_static_selectorELNS0_4arch9wavefront6targetE1EEEvS17_,@function
_ZN7rocprim17ROCPRIM_400000_NS6detail17trampoline_kernelINS0_14default_configENS1_22reduce_config_selectorIN6thrust23THRUST_200600_302600_NS5tupleIblNS6_9null_typeES8_S8_S8_S8_S8_S8_S8_EEEEZNS1_11reduce_implILb1ES3_NS6_12zip_iteratorINS7_INS6_11hip_rocprim26transform_input_iterator_tIbPfNS6_6detail10functional5actorINSH_9compositeIJNSH_27transparent_binary_operatorINS6_8equal_toIvEEEENSI_INSH_8argumentILj0EEEEENSH_5valueIfEEEEEEEEENSD_19counting_iterator_tIlEES8_S8_S8_S8_S8_S8_S8_S8_EEEEPS9_S9_NSD_9__find_if7functorIS9_EEEE10hipError_tPvRmT1_T2_T3_mT4_P12ihipStream_tbEUlT_E1_NS1_11comp_targetILNS1_3genE10ELNS1_11target_archE1201ELNS1_3gpuE5ELNS1_3repE0EEENS1_30default_config_static_selectorELNS0_4arch9wavefront6targetE1EEEvS17_: ; @_ZN7rocprim17ROCPRIM_400000_NS6detail17trampoline_kernelINS0_14default_configENS1_22reduce_config_selectorIN6thrust23THRUST_200600_302600_NS5tupleIblNS6_9null_typeES8_S8_S8_S8_S8_S8_S8_EEEEZNS1_11reduce_implILb1ES3_NS6_12zip_iteratorINS7_INS6_11hip_rocprim26transform_input_iterator_tIbPfNS6_6detail10functional5actorINSH_9compositeIJNSH_27transparent_binary_operatorINS6_8equal_toIvEEEENSI_INSH_8argumentILj0EEEEENSH_5valueIfEEEEEEEEENSD_19counting_iterator_tIlEES8_S8_S8_S8_S8_S8_S8_S8_EEEEPS9_S9_NSD_9__find_if7functorIS9_EEEE10hipError_tPvRmT1_T2_T3_mT4_P12ihipStream_tbEUlT_E1_NS1_11comp_targetILNS1_3genE10ELNS1_11target_archE1201ELNS1_3gpuE5ELNS1_3repE0EEENS1_30default_config_static_selectorELNS0_4arch9wavefront6targetE1EEEvS17_
; %bb.0:
	.section	.rodata,"a",@progbits
	.p2align	6, 0x0
	.amdhsa_kernel _ZN7rocprim17ROCPRIM_400000_NS6detail17trampoline_kernelINS0_14default_configENS1_22reduce_config_selectorIN6thrust23THRUST_200600_302600_NS5tupleIblNS6_9null_typeES8_S8_S8_S8_S8_S8_S8_EEEEZNS1_11reduce_implILb1ES3_NS6_12zip_iteratorINS7_INS6_11hip_rocprim26transform_input_iterator_tIbPfNS6_6detail10functional5actorINSH_9compositeIJNSH_27transparent_binary_operatorINS6_8equal_toIvEEEENSI_INSH_8argumentILj0EEEEENSH_5valueIfEEEEEEEEENSD_19counting_iterator_tIlEES8_S8_S8_S8_S8_S8_S8_S8_EEEEPS9_S9_NSD_9__find_if7functorIS9_EEEE10hipError_tPvRmT1_T2_T3_mT4_P12ihipStream_tbEUlT_E1_NS1_11comp_targetILNS1_3genE10ELNS1_11target_archE1201ELNS1_3gpuE5ELNS1_3repE0EEENS1_30default_config_static_selectorELNS0_4arch9wavefront6targetE1EEEvS17_
		.amdhsa_group_segment_fixed_size 0
		.amdhsa_private_segment_fixed_size 0
		.amdhsa_kernarg_size 72
		.amdhsa_user_sgpr_count 6
		.amdhsa_user_sgpr_private_segment_buffer 1
		.amdhsa_user_sgpr_dispatch_ptr 0
		.amdhsa_user_sgpr_queue_ptr 0
		.amdhsa_user_sgpr_kernarg_segment_ptr 1
		.amdhsa_user_sgpr_dispatch_id 0
		.amdhsa_user_sgpr_flat_scratch_init 0
		.amdhsa_user_sgpr_kernarg_preload_length 0
		.amdhsa_user_sgpr_kernarg_preload_offset 0
		.amdhsa_user_sgpr_private_segment_size 0
		.amdhsa_uses_dynamic_stack 0
		.amdhsa_system_sgpr_private_segment_wavefront_offset 0
		.amdhsa_system_sgpr_workgroup_id_x 1
		.amdhsa_system_sgpr_workgroup_id_y 0
		.amdhsa_system_sgpr_workgroup_id_z 0
		.amdhsa_system_sgpr_workgroup_info 0
		.amdhsa_system_vgpr_workitem_id 0
		.amdhsa_next_free_vgpr 1
		.amdhsa_next_free_sgpr 0
		.amdhsa_accum_offset 4
		.amdhsa_reserve_vcc 0
		.amdhsa_reserve_flat_scratch 0
		.amdhsa_float_round_mode_32 0
		.amdhsa_float_round_mode_16_64 0
		.amdhsa_float_denorm_mode_32 3
		.amdhsa_float_denorm_mode_16_64 3
		.amdhsa_dx10_clamp 1
		.amdhsa_ieee_mode 1
		.amdhsa_fp16_overflow 0
		.amdhsa_tg_split 0
		.amdhsa_exception_fp_ieee_invalid_op 0
		.amdhsa_exception_fp_denorm_src 0
		.amdhsa_exception_fp_ieee_div_zero 0
		.amdhsa_exception_fp_ieee_overflow 0
		.amdhsa_exception_fp_ieee_underflow 0
		.amdhsa_exception_fp_ieee_inexact 0
		.amdhsa_exception_int_div_zero 0
	.end_amdhsa_kernel
	.section	.text._ZN7rocprim17ROCPRIM_400000_NS6detail17trampoline_kernelINS0_14default_configENS1_22reduce_config_selectorIN6thrust23THRUST_200600_302600_NS5tupleIblNS6_9null_typeES8_S8_S8_S8_S8_S8_S8_EEEEZNS1_11reduce_implILb1ES3_NS6_12zip_iteratorINS7_INS6_11hip_rocprim26transform_input_iterator_tIbPfNS6_6detail10functional5actorINSH_9compositeIJNSH_27transparent_binary_operatorINS6_8equal_toIvEEEENSI_INSH_8argumentILj0EEEEENSH_5valueIfEEEEEEEEENSD_19counting_iterator_tIlEES8_S8_S8_S8_S8_S8_S8_S8_EEEEPS9_S9_NSD_9__find_if7functorIS9_EEEE10hipError_tPvRmT1_T2_T3_mT4_P12ihipStream_tbEUlT_E1_NS1_11comp_targetILNS1_3genE10ELNS1_11target_archE1201ELNS1_3gpuE5ELNS1_3repE0EEENS1_30default_config_static_selectorELNS0_4arch9wavefront6targetE1EEEvS17_,"axG",@progbits,_ZN7rocprim17ROCPRIM_400000_NS6detail17trampoline_kernelINS0_14default_configENS1_22reduce_config_selectorIN6thrust23THRUST_200600_302600_NS5tupleIblNS6_9null_typeES8_S8_S8_S8_S8_S8_S8_EEEEZNS1_11reduce_implILb1ES3_NS6_12zip_iteratorINS7_INS6_11hip_rocprim26transform_input_iterator_tIbPfNS6_6detail10functional5actorINSH_9compositeIJNSH_27transparent_binary_operatorINS6_8equal_toIvEEEENSI_INSH_8argumentILj0EEEEENSH_5valueIfEEEEEEEEENSD_19counting_iterator_tIlEES8_S8_S8_S8_S8_S8_S8_S8_EEEEPS9_S9_NSD_9__find_if7functorIS9_EEEE10hipError_tPvRmT1_T2_T3_mT4_P12ihipStream_tbEUlT_E1_NS1_11comp_targetILNS1_3genE10ELNS1_11target_archE1201ELNS1_3gpuE5ELNS1_3repE0EEENS1_30default_config_static_selectorELNS0_4arch9wavefront6targetE1EEEvS17_,comdat
.Lfunc_end1956:
	.size	_ZN7rocprim17ROCPRIM_400000_NS6detail17trampoline_kernelINS0_14default_configENS1_22reduce_config_selectorIN6thrust23THRUST_200600_302600_NS5tupleIblNS6_9null_typeES8_S8_S8_S8_S8_S8_S8_EEEEZNS1_11reduce_implILb1ES3_NS6_12zip_iteratorINS7_INS6_11hip_rocprim26transform_input_iterator_tIbPfNS6_6detail10functional5actorINSH_9compositeIJNSH_27transparent_binary_operatorINS6_8equal_toIvEEEENSI_INSH_8argumentILj0EEEEENSH_5valueIfEEEEEEEEENSD_19counting_iterator_tIlEES8_S8_S8_S8_S8_S8_S8_S8_EEEEPS9_S9_NSD_9__find_if7functorIS9_EEEE10hipError_tPvRmT1_T2_T3_mT4_P12ihipStream_tbEUlT_E1_NS1_11comp_targetILNS1_3genE10ELNS1_11target_archE1201ELNS1_3gpuE5ELNS1_3repE0EEENS1_30default_config_static_selectorELNS0_4arch9wavefront6targetE1EEEvS17_, .Lfunc_end1956-_ZN7rocprim17ROCPRIM_400000_NS6detail17trampoline_kernelINS0_14default_configENS1_22reduce_config_selectorIN6thrust23THRUST_200600_302600_NS5tupleIblNS6_9null_typeES8_S8_S8_S8_S8_S8_S8_EEEEZNS1_11reduce_implILb1ES3_NS6_12zip_iteratorINS7_INS6_11hip_rocprim26transform_input_iterator_tIbPfNS6_6detail10functional5actorINSH_9compositeIJNSH_27transparent_binary_operatorINS6_8equal_toIvEEEENSI_INSH_8argumentILj0EEEEENSH_5valueIfEEEEEEEEENSD_19counting_iterator_tIlEES8_S8_S8_S8_S8_S8_S8_S8_EEEEPS9_S9_NSD_9__find_if7functorIS9_EEEE10hipError_tPvRmT1_T2_T3_mT4_P12ihipStream_tbEUlT_E1_NS1_11comp_targetILNS1_3genE10ELNS1_11target_archE1201ELNS1_3gpuE5ELNS1_3repE0EEENS1_30default_config_static_selectorELNS0_4arch9wavefront6targetE1EEEvS17_
                                        ; -- End function
	.section	.AMDGPU.csdata,"",@progbits
; Kernel info:
; codeLenInByte = 0
; NumSgprs: 4
; NumVgprs: 0
; NumAgprs: 0
; TotalNumVgprs: 0
; ScratchSize: 0
; MemoryBound: 0
; FloatMode: 240
; IeeeMode: 1
; LDSByteSize: 0 bytes/workgroup (compile time only)
; SGPRBlocks: 0
; VGPRBlocks: 0
; NumSGPRsForWavesPerEU: 4
; NumVGPRsForWavesPerEU: 1
; AccumOffset: 4
; Occupancy: 8
; WaveLimiterHint : 0
; COMPUTE_PGM_RSRC2:SCRATCH_EN: 0
; COMPUTE_PGM_RSRC2:USER_SGPR: 6
; COMPUTE_PGM_RSRC2:TRAP_HANDLER: 0
; COMPUTE_PGM_RSRC2:TGID_X_EN: 1
; COMPUTE_PGM_RSRC2:TGID_Y_EN: 0
; COMPUTE_PGM_RSRC2:TGID_Z_EN: 0
; COMPUTE_PGM_RSRC2:TIDIG_COMP_CNT: 0
; COMPUTE_PGM_RSRC3_GFX90A:ACCUM_OFFSET: 0
; COMPUTE_PGM_RSRC3_GFX90A:TG_SPLIT: 0
	.section	.text._ZN7rocprim17ROCPRIM_400000_NS6detail17trampoline_kernelINS0_14default_configENS1_22reduce_config_selectorIN6thrust23THRUST_200600_302600_NS5tupleIblNS6_9null_typeES8_S8_S8_S8_S8_S8_S8_EEEEZNS1_11reduce_implILb1ES3_NS6_12zip_iteratorINS7_INS6_11hip_rocprim26transform_input_iterator_tIbPfNS6_6detail10functional5actorINSH_9compositeIJNSH_27transparent_binary_operatorINS6_8equal_toIvEEEENSI_INSH_8argumentILj0EEEEENSH_5valueIfEEEEEEEEENSD_19counting_iterator_tIlEES8_S8_S8_S8_S8_S8_S8_S8_EEEEPS9_S9_NSD_9__find_if7functorIS9_EEEE10hipError_tPvRmT1_T2_T3_mT4_P12ihipStream_tbEUlT_E1_NS1_11comp_targetILNS1_3genE10ELNS1_11target_archE1200ELNS1_3gpuE4ELNS1_3repE0EEENS1_30default_config_static_selectorELNS0_4arch9wavefront6targetE1EEEvS17_,"axG",@progbits,_ZN7rocprim17ROCPRIM_400000_NS6detail17trampoline_kernelINS0_14default_configENS1_22reduce_config_selectorIN6thrust23THRUST_200600_302600_NS5tupleIblNS6_9null_typeES8_S8_S8_S8_S8_S8_S8_EEEEZNS1_11reduce_implILb1ES3_NS6_12zip_iteratorINS7_INS6_11hip_rocprim26transform_input_iterator_tIbPfNS6_6detail10functional5actorINSH_9compositeIJNSH_27transparent_binary_operatorINS6_8equal_toIvEEEENSI_INSH_8argumentILj0EEEEENSH_5valueIfEEEEEEEEENSD_19counting_iterator_tIlEES8_S8_S8_S8_S8_S8_S8_S8_EEEEPS9_S9_NSD_9__find_if7functorIS9_EEEE10hipError_tPvRmT1_T2_T3_mT4_P12ihipStream_tbEUlT_E1_NS1_11comp_targetILNS1_3genE10ELNS1_11target_archE1200ELNS1_3gpuE4ELNS1_3repE0EEENS1_30default_config_static_selectorELNS0_4arch9wavefront6targetE1EEEvS17_,comdat
	.protected	_ZN7rocprim17ROCPRIM_400000_NS6detail17trampoline_kernelINS0_14default_configENS1_22reduce_config_selectorIN6thrust23THRUST_200600_302600_NS5tupleIblNS6_9null_typeES8_S8_S8_S8_S8_S8_S8_EEEEZNS1_11reduce_implILb1ES3_NS6_12zip_iteratorINS7_INS6_11hip_rocprim26transform_input_iterator_tIbPfNS6_6detail10functional5actorINSH_9compositeIJNSH_27transparent_binary_operatorINS6_8equal_toIvEEEENSI_INSH_8argumentILj0EEEEENSH_5valueIfEEEEEEEEENSD_19counting_iterator_tIlEES8_S8_S8_S8_S8_S8_S8_S8_EEEEPS9_S9_NSD_9__find_if7functorIS9_EEEE10hipError_tPvRmT1_T2_T3_mT4_P12ihipStream_tbEUlT_E1_NS1_11comp_targetILNS1_3genE10ELNS1_11target_archE1200ELNS1_3gpuE4ELNS1_3repE0EEENS1_30default_config_static_selectorELNS0_4arch9wavefront6targetE1EEEvS17_ ; -- Begin function _ZN7rocprim17ROCPRIM_400000_NS6detail17trampoline_kernelINS0_14default_configENS1_22reduce_config_selectorIN6thrust23THRUST_200600_302600_NS5tupleIblNS6_9null_typeES8_S8_S8_S8_S8_S8_S8_EEEEZNS1_11reduce_implILb1ES3_NS6_12zip_iteratorINS7_INS6_11hip_rocprim26transform_input_iterator_tIbPfNS6_6detail10functional5actorINSH_9compositeIJNSH_27transparent_binary_operatorINS6_8equal_toIvEEEENSI_INSH_8argumentILj0EEEEENSH_5valueIfEEEEEEEEENSD_19counting_iterator_tIlEES8_S8_S8_S8_S8_S8_S8_S8_EEEEPS9_S9_NSD_9__find_if7functorIS9_EEEE10hipError_tPvRmT1_T2_T3_mT4_P12ihipStream_tbEUlT_E1_NS1_11comp_targetILNS1_3genE10ELNS1_11target_archE1200ELNS1_3gpuE4ELNS1_3repE0EEENS1_30default_config_static_selectorELNS0_4arch9wavefront6targetE1EEEvS17_
	.globl	_ZN7rocprim17ROCPRIM_400000_NS6detail17trampoline_kernelINS0_14default_configENS1_22reduce_config_selectorIN6thrust23THRUST_200600_302600_NS5tupleIblNS6_9null_typeES8_S8_S8_S8_S8_S8_S8_EEEEZNS1_11reduce_implILb1ES3_NS6_12zip_iteratorINS7_INS6_11hip_rocprim26transform_input_iterator_tIbPfNS6_6detail10functional5actorINSH_9compositeIJNSH_27transparent_binary_operatorINS6_8equal_toIvEEEENSI_INSH_8argumentILj0EEEEENSH_5valueIfEEEEEEEEENSD_19counting_iterator_tIlEES8_S8_S8_S8_S8_S8_S8_S8_EEEEPS9_S9_NSD_9__find_if7functorIS9_EEEE10hipError_tPvRmT1_T2_T3_mT4_P12ihipStream_tbEUlT_E1_NS1_11comp_targetILNS1_3genE10ELNS1_11target_archE1200ELNS1_3gpuE4ELNS1_3repE0EEENS1_30default_config_static_selectorELNS0_4arch9wavefront6targetE1EEEvS17_
	.p2align	8
	.type	_ZN7rocprim17ROCPRIM_400000_NS6detail17trampoline_kernelINS0_14default_configENS1_22reduce_config_selectorIN6thrust23THRUST_200600_302600_NS5tupleIblNS6_9null_typeES8_S8_S8_S8_S8_S8_S8_EEEEZNS1_11reduce_implILb1ES3_NS6_12zip_iteratorINS7_INS6_11hip_rocprim26transform_input_iterator_tIbPfNS6_6detail10functional5actorINSH_9compositeIJNSH_27transparent_binary_operatorINS6_8equal_toIvEEEENSI_INSH_8argumentILj0EEEEENSH_5valueIfEEEEEEEEENSD_19counting_iterator_tIlEES8_S8_S8_S8_S8_S8_S8_S8_EEEEPS9_S9_NSD_9__find_if7functorIS9_EEEE10hipError_tPvRmT1_T2_T3_mT4_P12ihipStream_tbEUlT_E1_NS1_11comp_targetILNS1_3genE10ELNS1_11target_archE1200ELNS1_3gpuE4ELNS1_3repE0EEENS1_30default_config_static_selectorELNS0_4arch9wavefront6targetE1EEEvS17_,@function
_ZN7rocprim17ROCPRIM_400000_NS6detail17trampoline_kernelINS0_14default_configENS1_22reduce_config_selectorIN6thrust23THRUST_200600_302600_NS5tupleIblNS6_9null_typeES8_S8_S8_S8_S8_S8_S8_EEEEZNS1_11reduce_implILb1ES3_NS6_12zip_iteratorINS7_INS6_11hip_rocprim26transform_input_iterator_tIbPfNS6_6detail10functional5actorINSH_9compositeIJNSH_27transparent_binary_operatorINS6_8equal_toIvEEEENSI_INSH_8argumentILj0EEEEENSH_5valueIfEEEEEEEEENSD_19counting_iterator_tIlEES8_S8_S8_S8_S8_S8_S8_S8_EEEEPS9_S9_NSD_9__find_if7functorIS9_EEEE10hipError_tPvRmT1_T2_T3_mT4_P12ihipStream_tbEUlT_E1_NS1_11comp_targetILNS1_3genE10ELNS1_11target_archE1200ELNS1_3gpuE4ELNS1_3repE0EEENS1_30default_config_static_selectorELNS0_4arch9wavefront6targetE1EEEvS17_: ; @_ZN7rocprim17ROCPRIM_400000_NS6detail17trampoline_kernelINS0_14default_configENS1_22reduce_config_selectorIN6thrust23THRUST_200600_302600_NS5tupleIblNS6_9null_typeES8_S8_S8_S8_S8_S8_S8_EEEEZNS1_11reduce_implILb1ES3_NS6_12zip_iteratorINS7_INS6_11hip_rocprim26transform_input_iterator_tIbPfNS6_6detail10functional5actorINSH_9compositeIJNSH_27transparent_binary_operatorINS6_8equal_toIvEEEENSI_INSH_8argumentILj0EEEEENSH_5valueIfEEEEEEEEENSD_19counting_iterator_tIlEES8_S8_S8_S8_S8_S8_S8_S8_EEEEPS9_S9_NSD_9__find_if7functorIS9_EEEE10hipError_tPvRmT1_T2_T3_mT4_P12ihipStream_tbEUlT_E1_NS1_11comp_targetILNS1_3genE10ELNS1_11target_archE1200ELNS1_3gpuE4ELNS1_3repE0EEENS1_30default_config_static_selectorELNS0_4arch9wavefront6targetE1EEEvS17_
; %bb.0:
	.section	.rodata,"a",@progbits
	.p2align	6, 0x0
	.amdhsa_kernel _ZN7rocprim17ROCPRIM_400000_NS6detail17trampoline_kernelINS0_14default_configENS1_22reduce_config_selectorIN6thrust23THRUST_200600_302600_NS5tupleIblNS6_9null_typeES8_S8_S8_S8_S8_S8_S8_EEEEZNS1_11reduce_implILb1ES3_NS6_12zip_iteratorINS7_INS6_11hip_rocprim26transform_input_iterator_tIbPfNS6_6detail10functional5actorINSH_9compositeIJNSH_27transparent_binary_operatorINS6_8equal_toIvEEEENSI_INSH_8argumentILj0EEEEENSH_5valueIfEEEEEEEEENSD_19counting_iterator_tIlEES8_S8_S8_S8_S8_S8_S8_S8_EEEEPS9_S9_NSD_9__find_if7functorIS9_EEEE10hipError_tPvRmT1_T2_T3_mT4_P12ihipStream_tbEUlT_E1_NS1_11comp_targetILNS1_3genE10ELNS1_11target_archE1200ELNS1_3gpuE4ELNS1_3repE0EEENS1_30default_config_static_selectorELNS0_4arch9wavefront6targetE1EEEvS17_
		.amdhsa_group_segment_fixed_size 0
		.amdhsa_private_segment_fixed_size 0
		.amdhsa_kernarg_size 72
		.amdhsa_user_sgpr_count 6
		.amdhsa_user_sgpr_private_segment_buffer 1
		.amdhsa_user_sgpr_dispatch_ptr 0
		.amdhsa_user_sgpr_queue_ptr 0
		.amdhsa_user_sgpr_kernarg_segment_ptr 1
		.amdhsa_user_sgpr_dispatch_id 0
		.amdhsa_user_sgpr_flat_scratch_init 0
		.amdhsa_user_sgpr_kernarg_preload_length 0
		.amdhsa_user_sgpr_kernarg_preload_offset 0
		.amdhsa_user_sgpr_private_segment_size 0
		.amdhsa_uses_dynamic_stack 0
		.amdhsa_system_sgpr_private_segment_wavefront_offset 0
		.amdhsa_system_sgpr_workgroup_id_x 1
		.amdhsa_system_sgpr_workgroup_id_y 0
		.amdhsa_system_sgpr_workgroup_id_z 0
		.amdhsa_system_sgpr_workgroup_info 0
		.amdhsa_system_vgpr_workitem_id 0
		.amdhsa_next_free_vgpr 1
		.amdhsa_next_free_sgpr 0
		.amdhsa_accum_offset 4
		.amdhsa_reserve_vcc 0
		.amdhsa_reserve_flat_scratch 0
		.amdhsa_float_round_mode_32 0
		.amdhsa_float_round_mode_16_64 0
		.amdhsa_float_denorm_mode_32 3
		.amdhsa_float_denorm_mode_16_64 3
		.amdhsa_dx10_clamp 1
		.amdhsa_ieee_mode 1
		.amdhsa_fp16_overflow 0
		.amdhsa_tg_split 0
		.amdhsa_exception_fp_ieee_invalid_op 0
		.amdhsa_exception_fp_denorm_src 0
		.amdhsa_exception_fp_ieee_div_zero 0
		.amdhsa_exception_fp_ieee_overflow 0
		.amdhsa_exception_fp_ieee_underflow 0
		.amdhsa_exception_fp_ieee_inexact 0
		.amdhsa_exception_int_div_zero 0
	.end_amdhsa_kernel
	.section	.text._ZN7rocprim17ROCPRIM_400000_NS6detail17trampoline_kernelINS0_14default_configENS1_22reduce_config_selectorIN6thrust23THRUST_200600_302600_NS5tupleIblNS6_9null_typeES8_S8_S8_S8_S8_S8_S8_EEEEZNS1_11reduce_implILb1ES3_NS6_12zip_iteratorINS7_INS6_11hip_rocprim26transform_input_iterator_tIbPfNS6_6detail10functional5actorINSH_9compositeIJNSH_27transparent_binary_operatorINS6_8equal_toIvEEEENSI_INSH_8argumentILj0EEEEENSH_5valueIfEEEEEEEEENSD_19counting_iterator_tIlEES8_S8_S8_S8_S8_S8_S8_S8_EEEEPS9_S9_NSD_9__find_if7functorIS9_EEEE10hipError_tPvRmT1_T2_T3_mT4_P12ihipStream_tbEUlT_E1_NS1_11comp_targetILNS1_3genE10ELNS1_11target_archE1200ELNS1_3gpuE4ELNS1_3repE0EEENS1_30default_config_static_selectorELNS0_4arch9wavefront6targetE1EEEvS17_,"axG",@progbits,_ZN7rocprim17ROCPRIM_400000_NS6detail17trampoline_kernelINS0_14default_configENS1_22reduce_config_selectorIN6thrust23THRUST_200600_302600_NS5tupleIblNS6_9null_typeES8_S8_S8_S8_S8_S8_S8_EEEEZNS1_11reduce_implILb1ES3_NS6_12zip_iteratorINS7_INS6_11hip_rocprim26transform_input_iterator_tIbPfNS6_6detail10functional5actorINSH_9compositeIJNSH_27transparent_binary_operatorINS6_8equal_toIvEEEENSI_INSH_8argumentILj0EEEEENSH_5valueIfEEEEEEEEENSD_19counting_iterator_tIlEES8_S8_S8_S8_S8_S8_S8_S8_EEEEPS9_S9_NSD_9__find_if7functorIS9_EEEE10hipError_tPvRmT1_T2_T3_mT4_P12ihipStream_tbEUlT_E1_NS1_11comp_targetILNS1_3genE10ELNS1_11target_archE1200ELNS1_3gpuE4ELNS1_3repE0EEENS1_30default_config_static_selectorELNS0_4arch9wavefront6targetE1EEEvS17_,comdat
.Lfunc_end1957:
	.size	_ZN7rocprim17ROCPRIM_400000_NS6detail17trampoline_kernelINS0_14default_configENS1_22reduce_config_selectorIN6thrust23THRUST_200600_302600_NS5tupleIblNS6_9null_typeES8_S8_S8_S8_S8_S8_S8_EEEEZNS1_11reduce_implILb1ES3_NS6_12zip_iteratorINS7_INS6_11hip_rocprim26transform_input_iterator_tIbPfNS6_6detail10functional5actorINSH_9compositeIJNSH_27transparent_binary_operatorINS6_8equal_toIvEEEENSI_INSH_8argumentILj0EEEEENSH_5valueIfEEEEEEEEENSD_19counting_iterator_tIlEES8_S8_S8_S8_S8_S8_S8_S8_EEEEPS9_S9_NSD_9__find_if7functorIS9_EEEE10hipError_tPvRmT1_T2_T3_mT4_P12ihipStream_tbEUlT_E1_NS1_11comp_targetILNS1_3genE10ELNS1_11target_archE1200ELNS1_3gpuE4ELNS1_3repE0EEENS1_30default_config_static_selectorELNS0_4arch9wavefront6targetE1EEEvS17_, .Lfunc_end1957-_ZN7rocprim17ROCPRIM_400000_NS6detail17trampoline_kernelINS0_14default_configENS1_22reduce_config_selectorIN6thrust23THRUST_200600_302600_NS5tupleIblNS6_9null_typeES8_S8_S8_S8_S8_S8_S8_EEEEZNS1_11reduce_implILb1ES3_NS6_12zip_iteratorINS7_INS6_11hip_rocprim26transform_input_iterator_tIbPfNS6_6detail10functional5actorINSH_9compositeIJNSH_27transparent_binary_operatorINS6_8equal_toIvEEEENSI_INSH_8argumentILj0EEEEENSH_5valueIfEEEEEEEEENSD_19counting_iterator_tIlEES8_S8_S8_S8_S8_S8_S8_S8_EEEEPS9_S9_NSD_9__find_if7functorIS9_EEEE10hipError_tPvRmT1_T2_T3_mT4_P12ihipStream_tbEUlT_E1_NS1_11comp_targetILNS1_3genE10ELNS1_11target_archE1200ELNS1_3gpuE4ELNS1_3repE0EEENS1_30default_config_static_selectorELNS0_4arch9wavefront6targetE1EEEvS17_
                                        ; -- End function
	.section	.AMDGPU.csdata,"",@progbits
; Kernel info:
; codeLenInByte = 0
; NumSgprs: 4
; NumVgprs: 0
; NumAgprs: 0
; TotalNumVgprs: 0
; ScratchSize: 0
; MemoryBound: 0
; FloatMode: 240
; IeeeMode: 1
; LDSByteSize: 0 bytes/workgroup (compile time only)
; SGPRBlocks: 0
; VGPRBlocks: 0
; NumSGPRsForWavesPerEU: 4
; NumVGPRsForWavesPerEU: 1
; AccumOffset: 4
; Occupancy: 8
; WaveLimiterHint : 0
; COMPUTE_PGM_RSRC2:SCRATCH_EN: 0
; COMPUTE_PGM_RSRC2:USER_SGPR: 6
; COMPUTE_PGM_RSRC2:TRAP_HANDLER: 0
; COMPUTE_PGM_RSRC2:TGID_X_EN: 1
; COMPUTE_PGM_RSRC2:TGID_Y_EN: 0
; COMPUTE_PGM_RSRC2:TGID_Z_EN: 0
; COMPUTE_PGM_RSRC2:TIDIG_COMP_CNT: 0
; COMPUTE_PGM_RSRC3_GFX90A:ACCUM_OFFSET: 0
; COMPUTE_PGM_RSRC3_GFX90A:TG_SPLIT: 0
	.section	.text._ZN7rocprim17ROCPRIM_400000_NS6detail17trampoline_kernelINS0_14default_configENS1_22reduce_config_selectorIN6thrust23THRUST_200600_302600_NS5tupleIblNS6_9null_typeES8_S8_S8_S8_S8_S8_S8_EEEEZNS1_11reduce_implILb1ES3_NS6_12zip_iteratorINS7_INS6_11hip_rocprim26transform_input_iterator_tIbPfNS6_6detail10functional5actorINSH_9compositeIJNSH_27transparent_binary_operatorINS6_8equal_toIvEEEENSI_INSH_8argumentILj0EEEEENSH_5valueIfEEEEEEEEENSD_19counting_iterator_tIlEES8_S8_S8_S8_S8_S8_S8_S8_EEEEPS9_S9_NSD_9__find_if7functorIS9_EEEE10hipError_tPvRmT1_T2_T3_mT4_P12ihipStream_tbEUlT_E1_NS1_11comp_targetILNS1_3genE9ELNS1_11target_archE1100ELNS1_3gpuE3ELNS1_3repE0EEENS1_30default_config_static_selectorELNS0_4arch9wavefront6targetE1EEEvS17_,"axG",@progbits,_ZN7rocprim17ROCPRIM_400000_NS6detail17trampoline_kernelINS0_14default_configENS1_22reduce_config_selectorIN6thrust23THRUST_200600_302600_NS5tupleIblNS6_9null_typeES8_S8_S8_S8_S8_S8_S8_EEEEZNS1_11reduce_implILb1ES3_NS6_12zip_iteratorINS7_INS6_11hip_rocprim26transform_input_iterator_tIbPfNS6_6detail10functional5actorINSH_9compositeIJNSH_27transparent_binary_operatorINS6_8equal_toIvEEEENSI_INSH_8argumentILj0EEEEENSH_5valueIfEEEEEEEEENSD_19counting_iterator_tIlEES8_S8_S8_S8_S8_S8_S8_S8_EEEEPS9_S9_NSD_9__find_if7functorIS9_EEEE10hipError_tPvRmT1_T2_T3_mT4_P12ihipStream_tbEUlT_E1_NS1_11comp_targetILNS1_3genE9ELNS1_11target_archE1100ELNS1_3gpuE3ELNS1_3repE0EEENS1_30default_config_static_selectorELNS0_4arch9wavefront6targetE1EEEvS17_,comdat
	.protected	_ZN7rocprim17ROCPRIM_400000_NS6detail17trampoline_kernelINS0_14default_configENS1_22reduce_config_selectorIN6thrust23THRUST_200600_302600_NS5tupleIblNS6_9null_typeES8_S8_S8_S8_S8_S8_S8_EEEEZNS1_11reduce_implILb1ES3_NS6_12zip_iteratorINS7_INS6_11hip_rocprim26transform_input_iterator_tIbPfNS6_6detail10functional5actorINSH_9compositeIJNSH_27transparent_binary_operatorINS6_8equal_toIvEEEENSI_INSH_8argumentILj0EEEEENSH_5valueIfEEEEEEEEENSD_19counting_iterator_tIlEES8_S8_S8_S8_S8_S8_S8_S8_EEEEPS9_S9_NSD_9__find_if7functorIS9_EEEE10hipError_tPvRmT1_T2_T3_mT4_P12ihipStream_tbEUlT_E1_NS1_11comp_targetILNS1_3genE9ELNS1_11target_archE1100ELNS1_3gpuE3ELNS1_3repE0EEENS1_30default_config_static_selectorELNS0_4arch9wavefront6targetE1EEEvS17_ ; -- Begin function _ZN7rocprim17ROCPRIM_400000_NS6detail17trampoline_kernelINS0_14default_configENS1_22reduce_config_selectorIN6thrust23THRUST_200600_302600_NS5tupleIblNS6_9null_typeES8_S8_S8_S8_S8_S8_S8_EEEEZNS1_11reduce_implILb1ES3_NS6_12zip_iteratorINS7_INS6_11hip_rocprim26transform_input_iterator_tIbPfNS6_6detail10functional5actorINSH_9compositeIJNSH_27transparent_binary_operatorINS6_8equal_toIvEEEENSI_INSH_8argumentILj0EEEEENSH_5valueIfEEEEEEEEENSD_19counting_iterator_tIlEES8_S8_S8_S8_S8_S8_S8_S8_EEEEPS9_S9_NSD_9__find_if7functorIS9_EEEE10hipError_tPvRmT1_T2_T3_mT4_P12ihipStream_tbEUlT_E1_NS1_11comp_targetILNS1_3genE9ELNS1_11target_archE1100ELNS1_3gpuE3ELNS1_3repE0EEENS1_30default_config_static_selectorELNS0_4arch9wavefront6targetE1EEEvS17_
	.globl	_ZN7rocprim17ROCPRIM_400000_NS6detail17trampoline_kernelINS0_14default_configENS1_22reduce_config_selectorIN6thrust23THRUST_200600_302600_NS5tupleIblNS6_9null_typeES8_S8_S8_S8_S8_S8_S8_EEEEZNS1_11reduce_implILb1ES3_NS6_12zip_iteratorINS7_INS6_11hip_rocprim26transform_input_iterator_tIbPfNS6_6detail10functional5actorINSH_9compositeIJNSH_27transparent_binary_operatorINS6_8equal_toIvEEEENSI_INSH_8argumentILj0EEEEENSH_5valueIfEEEEEEEEENSD_19counting_iterator_tIlEES8_S8_S8_S8_S8_S8_S8_S8_EEEEPS9_S9_NSD_9__find_if7functorIS9_EEEE10hipError_tPvRmT1_T2_T3_mT4_P12ihipStream_tbEUlT_E1_NS1_11comp_targetILNS1_3genE9ELNS1_11target_archE1100ELNS1_3gpuE3ELNS1_3repE0EEENS1_30default_config_static_selectorELNS0_4arch9wavefront6targetE1EEEvS17_
	.p2align	8
	.type	_ZN7rocprim17ROCPRIM_400000_NS6detail17trampoline_kernelINS0_14default_configENS1_22reduce_config_selectorIN6thrust23THRUST_200600_302600_NS5tupleIblNS6_9null_typeES8_S8_S8_S8_S8_S8_S8_EEEEZNS1_11reduce_implILb1ES3_NS6_12zip_iteratorINS7_INS6_11hip_rocprim26transform_input_iterator_tIbPfNS6_6detail10functional5actorINSH_9compositeIJNSH_27transparent_binary_operatorINS6_8equal_toIvEEEENSI_INSH_8argumentILj0EEEEENSH_5valueIfEEEEEEEEENSD_19counting_iterator_tIlEES8_S8_S8_S8_S8_S8_S8_S8_EEEEPS9_S9_NSD_9__find_if7functorIS9_EEEE10hipError_tPvRmT1_T2_T3_mT4_P12ihipStream_tbEUlT_E1_NS1_11comp_targetILNS1_3genE9ELNS1_11target_archE1100ELNS1_3gpuE3ELNS1_3repE0EEENS1_30default_config_static_selectorELNS0_4arch9wavefront6targetE1EEEvS17_,@function
_ZN7rocprim17ROCPRIM_400000_NS6detail17trampoline_kernelINS0_14default_configENS1_22reduce_config_selectorIN6thrust23THRUST_200600_302600_NS5tupleIblNS6_9null_typeES8_S8_S8_S8_S8_S8_S8_EEEEZNS1_11reduce_implILb1ES3_NS6_12zip_iteratorINS7_INS6_11hip_rocprim26transform_input_iterator_tIbPfNS6_6detail10functional5actorINSH_9compositeIJNSH_27transparent_binary_operatorINS6_8equal_toIvEEEENSI_INSH_8argumentILj0EEEEENSH_5valueIfEEEEEEEEENSD_19counting_iterator_tIlEES8_S8_S8_S8_S8_S8_S8_S8_EEEEPS9_S9_NSD_9__find_if7functorIS9_EEEE10hipError_tPvRmT1_T2_T3_mT4_P12ihipStream_tbEUlT_E1_NS1_11comp_targetILNS1_3genE9ELNS1_11target_archE1100ELNS1_3gpuE3ELNS1_3repE0EEENS1_30default_config_static_selectorELNS0_4arch9wavefront6targetE1EEEvS17_: ; @_ZN7rocprim17ROCPRIM_400000_NS6detail17trampoline_kernelINS0_14default_configENS1_22reduce_config_selectorIN6thrust23THRUST_200600_302600_NS5tupleIblNS6_9null_typeES8_S8_S8_S8_S8_S8_S8_EEEEZNS1_11reduce_implILb1ES3_NS6_12zip_iteratorINS7_INS6_11hip_rocprim26transform_input_iterator_tIbPfNS6_6detail10functional5actorINSH_9compositeIJNSH_27transparent_binary_operatorINS6_8equal_toIvEEEENSI_INSH_8argumentILj0EEEEENSH_5valueIfEEEEEEEEENSD_19counting_iterator_tIlEES8_S8_S8_S8_S8_S8_S8_S8_EEEEPS9_S9_NSD_9__find_if7functorIS9_EEEE10hipError_tPvRmT1_T2_T3_mT4_P12ihipStream_tbEUlT_E1_NS1_11comp_targetILNS1_3genE9ELNS1_11target_archE1100ELNS1_3gpuE3ELNS1_3repE0EEENS1_30default_config_static_selectorELNS0_4arch9wavefront6targetE1EEEvS17_
; %bb.0:
	.section	.rodata,"a",@progbits
	.p2align	6, 0x0
	.amdhsa_kernel _ZN7rocprim17ROCPRIM_400000_NS6detail17trampoline_kernelINS0_14default_configENS1_22reduce_config_selectorIN6thrust23THRUST_200600_302600_NS5tupleIblNS6_9null_typeES8_S8_S8_S8_S8_S8_S8_EEEEZNS1_11reduce_implILb1ES3_NS6_12zip_iteratorINS7_INS6_11hip_rocprim26transform_input_iterator_tIbPfNS6_6detail10functional5actorINSH_9compositeIJNSH_27transparent_binary_operatorINS6_8equal_toIvEEEENSI_INSH_8argumentILj0EEEEENSH_5valueIfEEEEEEEEENSD_19counting_iterator_tIlEES8_S8_S8_S8_S8_S8_S8_S8_EEEEPS9_S9_NSD_9__find_if7functorIS9_EEEE10hipError_tPvRmT1_T2_T3_mT4_P12ihipStream_tbEUlT_E1_NS1_11comp_targetILNS1_3genE9ELNS1_11target_archE1100ELNS1_3gpuE3ELNS1_3repE0EEENS1_30default_config_static_selectorELNS0_4arch9wavefront6targetE1EEEvS17_
		.amdhsa_group_segment_fixed_size 0
		.amdhsa_private_segment_fixed_size 0
		.amdhsa_kernarg_size 72
		.amdhsa_user_sgpr_count 6
		.amdhsa_user_sgpr_private_segment_buffer 1
		.amdhsa_user_sgpr_dispatch_ptr 0
		.amdhsa_user_sgpr_queue_ptr 0
		.amdhsa_user_sgpr_kernarg_segment_ptr 1
		.amdhsa_user_sgpr_dispatch_id 0
		.amdhsa_user_sgpr_flat_scratch_init 0
		.amdhsa_user_sgpr_kernarg_preload_length 0
		.amdhsa_user_sgpr_kernarg_preload_offset 0
		.amdhsa_user_sgpr_private_segment_size 0
		.amdhsa_uses_dynamic_stack 0
		.amdhsa_system_sgpr_private_segment_wavefront_offset 0
		.amdhsa_system_sgpr_workgroup_id_x 1
		.amdhsa_system_sgpr_workgroup_id_y 0
		.amdhsa_system_sgpr_workgroup_id_z 0
		.amdhsa_system_sgpr_workgroup_info 0
		.amdhsa_system_vgpr_workitem_id 0
		.amdhsa_next_free_vgpr 1
		.amdhsa_next_free_sgpr 0
		.amdhsa_accum_offset 4
		.amdhsa_reserve_vcc 0
		.amdhsa_reserve_flat_scratch 0
		.amdhsa_float_round_mode_32 0
		.amdhsa_float_round_mode_16_64 0
		.amdhsa_float_denorm_mode_32 3
		.amdhsa_float_denorm_mode_16_64 3
		.amdhsa_dx10_clamp 1
		.amdhsa_ieee_mode 1
		.amdhsa_fp16_overflow 0
		.amdhsa_tg_split 0
		.amdhsa_exception_fp_ieee_invalid_op 0
		.amdhsa_exception_fp_denorm_src 0
		.amdhsa_exception_fp_ieee_div_zero 0
		.amdhsa_exception_fp_ieee_overflow 0
		.amdhsa_exception_fp_ieee_underflow 0
		.amdhsa_exception_fp_ieee_inexact 0
		.amdhsa_exception_int_div_zero 0
	.end_amdhsa_kernel
	.section	.text._ZN7rocprim17ROCPRIM_400000_NS6detail17trampoline_kernelINS0_14default_configENS1_22reduce_config_selectorIN6thrust23THRUST_200600_302600_NS5tupleIblNS6_9null_typeES8_S8_S8_S8_S8_S8_S8_EEEEZNS1_11reduce_implILb1ES3_NS6_12zip_iteratorINS7_INS6_11hip_rocprim26transform_input_iterator_tIbPfNS6_6detail10functional5actorINSH_9compositeIJNSH_27transparent_binary_operatorINS6_8equal_toIvEEEENSI_INSH_8argumentILj0EEEEENSH_5valueIfEEEEEEEEENSD_19counting_iterator_tIlEES8_S8_S8_S8_S8_S8_S8_S8_EEEEPS9_S9_NSD_9__find_if7functorIS9_EEEE10hipError_tPvRmT1_T2_T3_mT4_P12ihipStream_tbEUlT_E1_NS1_11comp_targetILNS1_3genE9ELNS1_11target_archE1100ELNS1_3gpuE3ELNS1_3repE0EEENS1_30default_config_static_selectorELNS0_4arch9wavefront6targetE1EEEvS17_,"axG",@progbits,_ZN7rocprim17ROCPRIM_400000_NS6detail17trampoline_kernelINS0_14default_configENS1_22reduce_config_selectorIN6thrust23THRUST_200600_302600_NS5tupleIblNS6_9null_typeES8_S8_S8_S8_S8_S8_S8_EEEEZNS1_11reduce_implILb1ES3_NS6_12zip_iteratorINS7_INS6_11hip_rocprim26transform_input_iterator_tIbPfNS6_6detail10functional5actorINSH_9compositeIJNSH_27transparent_binary_operatorINS6_8equal_toIvEEEENSI_INSH_8argumentILj0EEEEENSH_5valueIfEEEEEEEEENSD_19counting_iterator_tIlEES8_S8_S8_S8_S8_S8_S8_S8_EEEEPS9_S9_NSD_9__find_if7functorIS9_EEEE10hipError_tPvRmT1_T2_T3_mT4_P12ihipStream_tbEUlT_E1_NS1_11comp_targetILNS1_3genE9ELNS1_11target_archE1100ELNS1_3gpuE3ELNS1_3repE0EEENS1_30default_config_static_selectorELNS0_4arch9wavefront6targetE1EEEvS17_,comdat
.Lfunc_end1958:
	.size	_ZN7rocprim17ROCPRIM_400000_NS6detail17trampoline_kernelINS0_14default_configENS1_22reduce_config_selectorIN6thrust23THRUST_200600_302600_NS5tupleIblNS6_9null_typeES8_S8_S8_S8_S8_S8_S8_EEEEZNS1_11reduce_implILb1ES3_NS6_12zip_iteratorINS7_INS6_11hip_rocprim26transform_input_iterator_tIbPfNS6_6detail10functional5actorINSH_9compositeIJNSH_27transparent_binary_operatorINS6_8equal_toIvEEEENSI_INSH_8argumentILj0EEEEENSH_5valueIfEEEEEEEEENSD_19counting_iterator_tIlEES8_S8_S8_S8_S8_S8_S8_S8_EEEEPS9_S9_NSD_9__find_if7functorIS9_EEEE10hipError_tPvRmT1_T2_T3_mT4_P12ihipStream_tbEUlT_E1_NS1_11comp_targetILNS1_3genE9ELNS1_11target_archE1100ELNS1_3gpuE3ELNS1_3repE0EEENS1_30default_config_static_selectorELNS0_4arch9wavefront6targetE1EEEvS17_, .Lfunc_end1958-_ZN7rocprim17ROCPRIM_400000_NS6detail17trampoline_kernelINS0_14default_configENS1_22reduce_config_selectorIN6thrust23THRUST_200600_302600_NS5tupleIblNS6_9null_typeES8_S8_S8_S8_S8_S8_S8_EEEEZNS1_11reduce_implILb1ES3_NS6_12zip_iteratorINS7_INS6_11hip_rocprim26transform_input_iterator_tIbPfNS6_6detail10functional5actorINSH_9compositeIJNSH_27transparent_binary_operatorINS6_8equal_toIvEEEENSI_INSH_8argumentILj0EEEEENSH_5valueIfEEEEEEEEENSD_19counting_iterator_tIlEES8_S8_S8_S8_S8_S8_S8_S8_EEEEPS9_S9_NSD_9__find_if7functorIS9_EEEE10hipError_tPvRmT1_T2_T3_mT4_P12ihipStream_tbEUlT_E1_NS1_11comp_targetILNS1_3genE9ELNS1_11target_archE1100ELNS1_3gpuE3ELNS1_3repE0EEENS1_30default_config_static_selectorELNS0_4arch9wavefront6targetE1EEEvS17_
                                        ; -- End function
	.section	.AMDGPU.csdata,"",@progbits
; Kernel info:
; codeLenInByte = 0
; NumSgprs: 4
; NumVgprs: 0
; NumAgprs: 0
; TotalNumVgprs: 0
; ScratchSize: 0
; MemoryBound: 0
; FloatMode: 240
; IeeeMode: 1
; LDSByteSize: 0 bytes/workgroup (compile time only)
; SGPRBlocks: 0
; VGPRBlocks: 0
; NumSGPRsForWavesPerEU: 4
; NumVGPRsForWavesPerEU: 1
; AccumOffset: 4
; Occupancy: 8
; WaveLimiterHint : 0
; COMPUTE_PGM_RSRC2:SCRATCH_EN: 0
; COMPUTE_PGM_RSRC2:USER_SGPR: 6
; COMPUTE_PGM_RSRC2:TRAP_HANDLER: 0
; COMPUTE_PGM_RSRC2:TGID_X_EN: 1
; COMPUTE_PGM_RSRC2:TGID_Y_EN: 0
; COMPUTE_PGM_RSRC2:TGID_Z_EN: 0
; COMPUTE_PGM_RSRC2:TIDIG_COMP_CNT: 0
; COMPUTE_PGM_RSRC3_GFX90A:ACCUM_OFFSET: 0
; COMPUTE_PGM_RSRC3_GFX90A:TG_SPLIT: 0
	.section	.text._ZN7rocprim17ROCPRIM_400000_NS6detail17trampoline_kernelINS0_14default_configENS1_22reduce_config_selectorIN6thrust23THRUST_200600_302600_NS5tupleIblNS6_9null_typeES8_S8_S8_S8_S8_S8_S8_EEEEZNS1_11reduce_implILb1ES3_NS6_12zip_iteratorINS7_INS6_11hip_rocprim26transform_input_iterator_tIbPfNS6_6detail10functional5actorINSH_9compositeIJNSH_27transparent_binary_operatorINS6_8equal_toIvEEEENSI_INSH_8argumentILj0EEEEENSH_5valueIfEEEEEEEEENSD_19counting_iterator_tIlEES8_S8_S8_S8_S8_S8_S8_S8_EEEEPS9_S9_NSD_9__find_if7functorIS9_EEEE10hipError_tPvRmT1_T2_T3_mT4_P12ihipStream_tbEUlT_E1_NS1_11comp_targetILNS1_3genE8ELNS1_11target_archE1030ELNS1_3gpuE2ELNS1_3repE0EEENS1_30default_config_static_selectorELNS0_4arch9wavefront6targetE1EEEvS17_,"axG",@progbits,_ZN7rocprim17ROCPRIM_400000_NS6detail17trampoline_kernelINS0_14default_configENS1_22reduce_config_selectorIN6thrust23THRUST_200600_302600_NS5tupleIblNS6_9null_typeES8_S8_S8_S8_S8_S8_S8_EEEEZNS1_11reduce_implILb1ES3_NS6_12zip_iteratorINS7_INS6_11hip_rocprim26transform_input_iterator_tIbPfNS6_6detail10functional5actorINSH_9compositeIJNSH_27transparent_binary_operatorINS6_8equal_toIvEEEENSI_INSH_8argumentILj0EEEEENSH_5valueIfEEEEEEEEENSD_19counting_iterator_tIlEES8_S8_S8_S8_S8_S8_S8_S8_EEEEPS9_S9_NSD_9__find_if7functorIS9_EEEE10hipError_tPvRmT1_T2_T3_mT4_P12ihipStream_tbEUlT_E1_NS1_11comp_targetILNS1_3genE8ELNS1_11target_archE1030ELNS1_3gpuE2ELNS1_3repE0EEENS1_30default_config_static_selectorELNS0_4arch9wavefront6targetE1EEEvS17_,comdat
	.protected	_ZN7rocprim17ROCPRIM_400000_NS6detail17trampoline_kernelINS0_14default_configENS1_22reduce_config_selectorIN6thrust23THRUST_200600_302600_NS5tupleIblNS6_9null_typeES8_S8_S8_S8_S8_S8_S8_EEEEZNS1_11reduce_implILb1ES3_NS6_12zip_iteratorINS7_INS6_11hip_rocprim26transform_input_iterator_tIbPfNS6_6detail10functional5actorINSH_9compositeIJNSH_27transparent_binary_operatorINS6_8equal_toIvEEEENSI_INSH_8argumentILj0EEEEENSH_5valueIfEEEEEEEEENSD_19counting_iterator_tIlEES8_S8_S8_S8_S8_S8_S8_S8_EEEEPS9_S9_NSD_9__find_if7functorIS9_EEEE10hipError_tPvRmT1_T2_T3_mT4_P12ihipStream_tbEUlT_E1_NS1_11comp_targetILNS1_3genE8ELNS1_11target_archE1030ELNS1_3gpuE2ELNS1_3repE0EEENS1_30default_config_static_selectorELNS0_4arch9wavefront6targetE1EEEvS17_ ; -- Begin function _ZN7rocprim17ROCPRIM_400000_NS6detail17trampoline_kernelINS0_14default_configENS1_22reduce_config_selectorIN6thrust23THRUST_200600_302600_NS5tupleIblNS6_9null_typeES8_S8_S8_S8_S8_S8_S8_EEEEZNS1_11reduce_implILb1ES3_NS6_12zip_iteratorINS7_INS6_11hip_rocprim26transform_input_iterator_tIbPfNS6_6detail10functional5actorINSH_9compositeIJNSH_27transparent_binary_operatorINS6_8equal_toIvEEEENSI_INSH_8argumentILj0EEEEENSH_5valueIfEEEEEEEEENSD_19counting_iterator_tIlEES8_S8_S8_S8_S8_S8_S8_S8_EEEEPS9_S9_NSD_9__find_if7functorIS9_EEEE10hipError_tPvRmT1_T2_T3_mT4_P12ihipStream_tbEUlT_E1_NS1_11comp_targetILNS1_3genE8ELNS1_11target_archE1030ELNS1_3gpuE2ELNS1_3repE0EEENS1_30default_config_static_selectorELNS0_4arch9wavefront6targetE1EEEvS17_
	.globl	_ZN7rocprim17ROCPRIM_400000_NS6detail17trampoline_kernelINS0_14default_configENS1_22reduce_config_selectorIN6thrust23THRUST_200600_302600_NS5tupleIblNS6_9null_typeES8_S8_S8_S8_S8_S8_S8_EEEEZNS1_11reduce_implILb1ES3_NS6_12zip_iteratorINS7_INS6_11hip_rocprim26transform_input_iterator_tIbPfNS6_6detail10functional5actorINSH_9compositeIJNSH_27transparent_binary_operatorINS6_8equal_toIvEEEENSI_INSH_8argumentILj0EEEEENSH_5valueIfEEEEEEEEENSD_19counting_iterator_tIlEES8_S8_S8_S8_S8_S8_S8_S8_EEEEPS9_S9_NSD_9__find_if7functorIS9_EEEE10hipError_tPvRmT1_T2_T3_mT4_P12ihipStream_tbEUlT_E1_NS1_11comp_targetILNS1_3genE8ELNS1_11target_archE1030ELNS1_3gpuE2ELNS1_3repE0EEENS1_30default_config_static_selectorELNS0_4arch9wavefront6targetE1EEEvS17_
	.p2align	8
	.type	_ZN7rocprim17ROCPRIM_400000_NS6detail17trampoline_kernelINS0_14default_configENS1_22reduce_config_selectorIN6thrust23THRUST_200600_302600_NS5tupleIblNS6_9null_typeES8_S8_S8_S8_S8_S8_S8_EEEEZNS1_11reduce_implILb1ES3_NS6_12zip_iteratorINS7_INS6_11hip_rocprim26transform_input_iterator_tIbPfNS6_6detail10functional5actorINSH_9compositeIJNSH_27transparent_binary_operatorINS6_8equal_toIvEEEENSI_INSH_8argumentILj0EEEEENSH_5valueIfEEEEEEEEENSD_19counting_iterator_tIlEES8_S8_S8_S8_S8_S8_S8_S8_EEEEPS9_S9_NSD_9__find_if7functorIS9_EEEE10hipError_tPvRmT1_T2_T3_mT4_P12ihipStream_tbEUlT_E1_NS1_11comp_targetILNS1_3genE8ELNS1_11target_archE1030ELNS1_3gpuE2ELNS1_3repE0EEENS1_30default_config_static_selectorELNS0_4arch9wavefront6targetE1EEEvS17_,@function
_ZN7rocprim17ROCPRIM_400000_NS6detail17trampoline_kernelINS0_14default_configENS1_22reduce_config_selectorIN6thrust23THRUST_200600_302600_NS5tupleIblNS6_9null_typeES8_S8_S8_S8_S8_S8_S8_EEEEZNS1_11reduce_implILb1ES3_NS6_12zip_iteratorINS7_INS6_11hip_rocprim26transform_input_iterator_tIbPfNS6_6detail10functional5actorINSH_9compositeIJNSH_27transparent_binary_operatorINS6_8equal_toIvEEEENSI_INSH_8argumentILj0EEEEENSH_5valueIfEEEEEEEEENSD_19counting_iterator_tIlEES8_S8_S8_S8_S8_S8_S8_S8_EEEEPS9_S9_NSD_9__find_if7functorIS9_EEEE10hipError_tPvRmT1_T2_T3_mT4_P12ihipStream_tbEUlT_E1_NS1_11comp_targetILNS1_3genE8ELNS1_11target_archE1030ELNS1_3gpuE2ELNS1_3repE0EEENS1_30default_config_static_selectorELNS0_4arch9wavefront6targetE1EEEvS17_: ; @_ZN7rocprim17ROCPRIM_400000_NS6detail17trampoline_kernelINS0_14default_configENS1_22reduce_config_selectorIN6thrust23THRUST_200600_302600_NS5tupleIblNS6_9null_typeES8_S8_S8_S8_S8_S8_S8_EEEEZNS1_11reduce_implILb1ES3_NS6_12zip_iteratorINS7_INS6_11hip_rocprim26transform_input_iterator_tIbPfNS6_6detail10functional5actorINSH_9compositeIJNSH_27transparent_binary_operatorINS6_8equal_toIvEEEENSI_INSH_8argumentILj0EEEEENSH_5valueIfEEEEEEEEENSD_19counting_iterator_tIlEES8_S8_S8_S8_S8_S8_S8_S8_EEEEPS9_S9_NSD_9__find_if7functorIS9_EEEE10hipError_tPvRmT1_T2_T3_mT4_P12ihipStream_tbEUlT_E1_NS1_11comp_targetILNS1_3genE8ELNS1_11target_archE1030ELNS1_3gpuE2ELNS1_3repE0EEENS1_30default_config_static_selectorELNS0_4arch9wavefront6targetE1EEEvS17_
; %bb.0:
	.section	.rodata,"a",@progbits
	.p2align	6, 0x0
	.amdhsa_kernel _ZN7rocprim17ROCPRIM_400000_NS6detail17trampoline_kernelINS0_14default_configENS1_22reduce_config_selectorIN6thrust23THRUST_200600_302600_NS5tupleIblNS6_9null_typeES8_S8_S8_S8_S8_S8_S8_EEEEZNS1_11reduce_implILb1ES3_NS6_12zip_iteratorINS7_INS6_11hip_rocprim26transform_input_iterator_tIbPfNS6_6detail10functional5actorINSH_9compositeIJNSH_27transparent_binary_operatorINS6_8equal_toIvEEEENSI_INSH_8argumentILj0EEEEENSH_5valueIfEEEEEEEEENSD_19counting_iterator_tIlEES8_S8_S8_S8_S8_S8_S8_S8_EEEEPS9_S9_NSD_9__find_if7functorIS9_EEEE10hipError_tPvRmT1_T2_T3_mT4_P12ihipStream_tbEUlT_E1_NS1_11comp_targetILNS1_3genE8ELNS1_11target_archE1030ELNS1_3gpuE2ELNS1_3repE0EEENS1_30default_config_static_selectorELNS0_4arch9wavefront6targetE1EEEvS17_
		.amdhsa_group_segment_fixed_size 0
		.amdhsa_private_segment_fixed_size 0
		.amdhsa_kernarg_size 72
		.amdhsa_user_sgpr_count 6
		.amdhsa_user_sgpr_private_segment_buffer 1
		.amdhsa_user_sgpr_dispatch_ptr 0
		.amdhsa_user_sgpr_queue_ptr 0
		.amdhsa_user_sgpr_kernarg_segment_ptr 1
		.amdhsa_user_sgpr_dispatch_id 0
		.amdhsa_user_sgpr_flat_scratch_init 0
		.amdhsa_user_sgpr_kernarg_preload_length 0
		.amdhsa_user_sgpr_kernarg_preload_offset 0
		.amdhsa_user_sgpr_private_segment_size 0
		.amdhsa_uses_dynamic_stack 0
		.amdhsa_system_sgpr_private_segment_wavefront_offset 0
		.amdhsa_system_sgpr_workgroup_id_x 1
		.amdhsa_system_sgpr_workgroup_id_y 0
		.amdhsa_system_sgpr_workgroup_id_z 0
		.amdhsa_system_sgpr_workgroup_info 0
		.amdhsa_system_vgpr_workitem_id 0
		.amdhsa_next_free_vgpr 1
		.amdhsa_next_free_sgpr 0
		.amdhsa_accum_offset 4
		.amdhsa_reserve_vcc 0
		.amdhsa_reserve_flat_scratch 0
		.amdhsa_float_round_mode_32 0
		.amdhsa_float_round_mode_16_64 0
		.amdhsa_float_denorm_mode_32 3
		.amdhsa_float_denorm_mode_16_64 3
		.amdhsa_dx10_clamp 1
		.amdhsa_ieee_mode 1
		.amdhsa_fp16_overflow 0
		.amdhsa_tg_split 0
		.amdhsa_exception_fp_ieee_invalid_op 0
		.amdhsa_exception_fp_denorm_src 0
		.amdhsa_exception_fp_ieee_div_zero 0
		.amdhsa_exception_fp_ieee_overflow 0
		.amdhsa_exception_fp_ieee_underflow 0
		.amdhsa_exception_fp_ieee_inexact 0
		.amdhsa_exception_int_div_zero 0
	.end_amdhsa_kernel
	.section	.text._ZN7rocprim17ROCPRIM_400000_NS6detail17trampoline_kernelINS0_14default_configENS1_22reduce_config_selectorIN6thrust23THRUST_200600_302600_NS5tupleIblNS6_9null_typeES8_S8_S8_S8_S8_S8_S8_EEEEZNS1_11reduce_implILb1ES3_NS6_12zip_iteratorINS7_INS6_11hip_rocprim26transform_input_iterator_tIbPfNS6_6detail10functional5actorINSH_9compositeIJNSH_27transparent_binary_operatorINS6_8equal_toIvEEEENSI_INSH_8argumentILj0EEEEENSH_5valueIfEEEEEEEEENSD_19counting_iterator_tIlEES8_S8_S8_S8_S8_S8_S8_S8_EEEEPS9_S9_NSD_9__find_if7functorIS9_EEEE10hipError_tPvRmT1_T2_T3_mT4_P12ihipStream_tbEUlT_E1_NS1_11comp_targetILNS1_3genE8ELNS1_11target_archE1030ELNS1_3gpuE2ELNS1_3repE0EEENS1_30default_config_static_selectorELNS0_4arch9wavefront6targetE1EEEvS17_,"axG",@progbits,_ZN7rocprim17ROCPRIM_400000_NS6detail17trampoline_kernelINS0_14default_configENS1_22reduce_config_selectorIN6thrust23THRUST_200600_302600_NS5tupleIblNS6_9null_typeES8_S8_S8_S8_S8_S8_S8_EEEEZNS1_11reduce_implILb1ES3_NS6_12zip_iteratorINS7_INS6_11hip_rocprim26transform_input_iterator_tIbPfNS6_6detail10functional5actorINSH_9compositeIJNSH_27transparent_binary_operatorINS6_8equal_toIvEEEENSI_INSH_8argumentILj0EEEEENSH_5valueIfEEEEEEEEENSD_19counting_iterator_tIlEES8_S8_S8_S8_S8_S8_S8_S8_EEEEPS9_S9_NSD_9__find_if7functorIS9_EEEE10hipError_tPvRmT1_T2_T3_mT4_P12ihipStream_tbEUlT_E1_NS1_11comp_targetILNS1_3genE8ELNS1_11target_archE1030ELNS1_3gpuE2ELNS1_3repE0EEENS1_30default_config_static_selectorELNS0_4arch9wavefront6targetE1EEEvS17_,comdat
.Lfunc_end1959:
	.size	_ZN7rocprim17ROCPRIM_400000_NS6detail17trampoline_kernelINS0_14default_configENS1_22reduce_config_selectorIN6thrust23THRUST_200600_302600_NS5tupleIblNS6_9null_typeES8_S8_S8_S8_S8_S8_S8_EEEEZNS1_11reduce_implILb1ES3_NS6_12zip_iteratorINS7_INS6_11hip_rocprim26transform_input_iterator_tIbPfNS6_6detail10functional5actorINSH_9compositeIJNSH_27transparent_binary_operatorINS6_8equal_toIvEEEENSI_INSH_8argumentILj0EEEEENSH_5valueIfEEEEEEEEENSD_19counting_iterator_tIlEES8_S8_S8_S8_S8_S8_S8_S8_EEEEPS9_S9_NSD_9__find_if7functorIS9_EEEE10hipError_tPvRmT1_T2_T3_mT4_P12ihipStream_tbEUlT_E1_NS1_11comp_targetILNS1_3genE8ELNS1_11target_archE1030ELNS1_3gpuE2ELNS1_3repE0EEENS1_30default_config_static_selectorELNS0_4arch9wavefront6targetE1EEEvS17_, .Lfunc_end1959-_ZN7rocprim17ROCPRIM_400000_NS6detail17trampoline_kernelINS0_14default_configENS1_22reduce_config_selectorIN6thrust23THRUST_200600_302600_NS5tupleIblNS6_9null_typeES8_S8_S8_S8_S8_S8_S8_EEEEZNS1_11reduce_implILb1ES3_NS6_12zip_iteratorINS7_INS6_11hip_rocprim26transform_input_iterator_tIbPfNS6_6detail10functional5actorINSH_9compositeIJNSH_27transparent_binary_operatorINS6_8equal_toIvEEEENSI_INSH_8argumentILj0EEEEENSH_5valueIfEEEEEEEEENSD_19counting_iterator_tIlEES8_S8_S8_S8_S8_S8_S8_S8_EEEEPS9_S9_NSD_9__find_if7functorIS9_EEEE10hipError_tPvRmT1_T2_T3_mT4_P12ihipStream_tbEUlT_E1_NS1_11comp_targetILNS1_3genE8ELNS1_11target_archE1030ELNS1_3gpuE2ELNS1_3repE0EEENS1_30default_config_static_selectorELNS0_4arch9wavefront6targetE1EEEvS17_
                                        ; -- End function
	.section	.AMDGPU.csdata,"",@progbits
; Kernel info:
; codeLenInByte = 0
; NumSgprs: 4
; NumVgprs: 0
; NumAgprs: 0
; TotalNumVgprs: 0
; ScratchSize: 0
; MemoryBound: 0
; FloatMode: 240
; IeeeMode: 1
; LDSByteSize: 0 bytes/workgroup (compile time only)
; SGPRBlocks: 0
; VGPRBlocks: 0
; NumSGPRsForWavesPerEU: 4
; NumVGPRsForWavesPerEU: 1
; AccumOffset: 4
; Occupancy: 8
; WaveLimiterHint : 0
; COMPUTE_PGM_RSRC2:SCRATCH_EN: 0
; COMPUTE_PGM_RSRC2:USER_SGPR: 6
; COMPUTE_PGM_RSRC2:TRAP_HANDLER: 0
; COMPUTE_PGM_RSRC2:TGID_X_EN: 1
; COMPUTE_PGM_RSRC2:TGID_Y_EN: 0
; COMPUTE_PGM_RSRC2:TGID_Z_EN: 0
; COMPUTE_PGM_RSRC2:TIDIG_COMP_CNT: 0
; COMPUTE_PGM_RSRC3_GFX90A:ACCUM_OFFSET: 0
; COMPUTE_PGM_RSRC3_GFX90A:TG_SPLIT: 0
	.section	.text._ZN7rocprim17ROCPRIM_400000_NS6detail44device_merge_sort_compile_time_verifier_archINS1_11comp_targetILNS1_3genE0ELNS1_11target_archE4294967295ELNS1_3gpuE0ELNS1_3repE0EEES8_NS0_14default_configES9_NS1_37merge_sort_block_sort_config_selectorIN3c108BFloat16ElEENS1_38merge_sort_block_merge_config_selectorISC_lEEEEvv,"axG",@progbits,_ZN7rocprim17ROCPRIM_400000_NS6detail44device_merge_sort_compile_time_verifier_archINS1_11comp_targetILNS1_3genE0ELNS1_11target_archE4294967295ELNS1_3gpuE0ELNS1_3repE0EEES8_NS0_14default_configES9_NS1_37merge_sort_block_sort_config_selectorIN3c108BFloat16ElEENS1_38merge_sort_block_merge_config_selectorISC_lEEEEvv,comdat
	.protected	_ZN7rocprim17ROCPRIM_400000_NS6detail44device_merge_sort_compile_time_verifier_archINS1_11comp_targetILNS1_3genE0ELNS1_11target_archE4294967295ELNS1_3gpuE0ELNS1_3repE0EEES8_NS0_14default_configES9_NS1_37merge_sort_block_sort_config_selectorIN3c108BFloat16ElEENS1_38merge_sort_block_merge_config_selectorISC_lEEEEvv ; -- Begin function _ZN7rocprim17ROCPRIM_400000_NS6detail44device_merge_sort_compile_time_verifier_archINS1_11comp_targetILNS1_3genE0ELNS1_11target_archE4294967295ELNS1_3gpuE0ELNS1_3repE0EEES8_NS0_14default_configES9_NS1_37merge_sort_block_sort_config_selectorIN3c108BFloat16ElEENS1_38merge_sort_block_merge_config_selectorISC_lEEEEvv
	.globl	_ZN7rocprim17ROCPRIM_400000_NS6detail44device_merge_sort_compile_time_verifier_archINS1_11comp_targetILNS1_3genE0ELNS1_11target_archE4294967295ELNS1_3gpuE0ELNS1_3repE0EEES8_NS0_14default_configES9_NS1_37merge_sort_block_sort_config_selectorIN3c108BFloat16ElEENS1_38merge_sort_block_merge_config_selectorISC_lEEEEvv
	.p2align	8
	.type	_ZN7rocprim17ROCPRIM_400000_NS6detail44device_merge_sort_compile_time_verifier_archINS1_11comp_targetILNS1_3genE0ELNS1_11target_archE4294967295ELNS1_3gpuE0ELNS1_3repE0EEES8_NS0_14default_configES9_NS1_37merge_sort_block_sort_config_selectorIN3c108BFloat16ElEENS1_38merge_sort_block_merge_config_selectorISC_lEEEEvv,@function
_ZN7rocprim17ROCPRIM_400000_NS6detail44device_merge_sort_compile_time_verifier_archINS1_11comp_targetILNS1_3genE0ELNS1_11target_archE4294967295ELNS1_3gpuE0ELNS1_3repE0EEES8_NS0_14default_configES9_NS1_37merge_sort_block_sort_config_selectorIN3c108BFloat16ElEENS1_38merge_sort_block_merge_config_selectorISC_lEEEEvv: ; @_ZN7rocprim17ROCPRIM_400000_NS6detail44device_merge_sort_compile_time_verifier_archINS1_11comp_targetILNS1_3genE0ELNS1_11target_archE4294967295ELNS1_3gpuE0ELNS1_3repE0EEES8_NS0_14default_configES9_NS1_37merge_sort_block_sort_config_selectorIN3c108BFloat16ElEENS1_38merge_sort_block_merge_config_selectorISC_lEEEEvv
; %bb.0:
	s_endpgm
	.section	.rodata,"a",@progbits
	.p2align	6, 0x0
	.amdhsa_kernel _ZN7rocprim17ROCPRIM_400000_NS6detail44device_merge_sort_compile_time_verifier_archINS1_11comp_targetILNS1_3genE0ELNS1_11target_archE4294967295ELNS1_3gpuE0ELNS1_3repE0EEES8_NS0_14default_configES9_NS1_37merge_sort_block_sort_config_selectorIN3c108BFloat16ElEENS1_38merge_sort_block_merge_config_selectorISC_lEEEEvv
		.amdhsa_group_segment_fixed_size 0
		.amdhsa_private_segment_fixed_size 0
		.amdhsa_kernarg_size 0
		.amdhsa_user_sgpr_count 4
		.amdhsa_user_sgpr_private_segment_buffer 1
		.amdhsa_user_sgpr_dispatch_ptr 0
		.amdhsa_user_sgpr_queue_ptr 0
		.amdhsa_user_sgpr_kernarg_segment_ptr 0
		.amdhsa_user_sgpr_dispatch_id 0
		.amdhsa_user_sgpr_flat_scratch_init 0
		.amdhsa_user_sgpr_kernarg_preload_length 0
		.amdhsa_user_sgpr_kernarg_preload_offset 0
		.amdhsa_user_sgpr_private_segment_size 0
		.amdhsa_uses_dynamic_stack 0
		.amdhsa_system_sgpr_private_segment_wavefront_offset 0
		.amdhsa_system_sgpr_workgroup_id_x 1
		.amdhsa_system_sgpr_workgroup_id_y 0
		.amdhsa_system_sgpr_workgroup_id_z 0
		.amdhsa_system_sgpr_workgroup_info 0
		.amdhsa_system_vgpr_workitem_id 0
		.amdhsa_next_free_vgpr 1
		.amdhsa_next_free_sgpr 0
		.amdhsa_accum_offset 4
		.amdhsa_reserve_vcc 0
		.amdhsa_reserve_flat_scratch 0
		.amdhsa_float_round_mode_32 0
		.amdhsa_float_round_mode_16_64 0
		.amdhsa_float_denorm_mode_32 3
		.amdhsa_float_denorm_mode_16_64 3
		.amdhsa_dx10_clamp 1
		.amdhsa_ieee_mode 1
		.amdhsa_fp16_overflow 0
		.amdhsa_tg_split 0
		.amdhsa_exception_fp_ieee_invalid_op 0
		.amdhsa_exception_fp_denorm_src 0
		.amdhsa_exception_fp_ieee_div_zero 0
		.amdhsa_exception_fp_ieee_overflow 0
		.amdhsa_exception_fp_ieee_underflow 0
		.amdhsa_exception_fp_ieee_inexact 0
		.amdhsa_exception_int_div_zero 0
	.end_amdhsa_kernel
	.section	.text._ZN7rocprim17ROCPRIM_400000_NS6detail44device_merge_sort_compile_time_verifier_archINS1_11comp_targetILNS1_3genE0ELNS1_11target_archE4294967295ELNS1_3gpuE0ELNS1_3repE0EEES8_NS0_14default_configES9_NS1_37merge_sort_block_sort_config_selectorIN3c108BFloat16ElEENS1_38merge_sort_block_merge_config_selectorISC_lEEEEvv,"axG",@progbits,_ZN7rocprim17ROCPRIM_400000_NS6detail44device_merge_sort_compile_time_verifier_archINS1_11comp_targetILNS1_3genE0ELNS1_11target_archE4294967295ELNS1_3gpuE0ELNS1_3repE0EEES8_NS0_14default_configES9_NS1_37merge_sort_block_sort_config_selectorIN3c108BFloat16ElEENS1_38merge_sort_block_merge_config_selectorISC_lEEEEvv,comdat
.Lfunc_end1960:
	.size	_ZN7rocprim17ROCPRIM_400000_NS6detail44device_merge_sort_compile_time_verifier_archINS1_11comp_targetILNS1_3genE0ELNS1_11target_archE4294967295ELNS1_3gpuE0ELNS1_3repE0EEES8_NS0_14default_configES9_NS1_37merge_sort_block_sort_config_selectorIN3c108BFloat16ElEENS1_38merge_sort_block_merge_config_selectorISC_lEEEEvv, .Lfunc_end1960-_ZN7rocprim17ROCPRIM_400000_NS6detail44device_merge_sort_compile_time_verifier_archINS1_11comp_targetILNS1_3genE0ELNS1_11target_archE4294967295ELNS1_3gpuE0ELNS1_3repE0EEES8_NS0_14default_configES9_NS1_37merge_sort_block_sort_config_selectorIN3c108BFloat16ElEENS1_38merge_sort_block_merge_config_selectorISC_lEEEEvv
                                        ; -- End function
	.section	.AMDGPU.csdata,"",@progbits
; Kernel info:
; codeLenInByte = 4
; NumSgprs: 4
; NumVgprs: 0
; NumAgprs: 0
; TotalNumVgprs: 0
; ScratchSize: 0
; MemoryBound: 0
; FloatMode: 240
; IeeeMode: 1
; LDSByteSize: 0 bytes/workgroup (compile time only)
; SGPRBlocks: 0
; VGPRBlocks: 0
; NumSGPRsForWavesPerEU: 4
; NumVGPRsForWavesPerEU: 1
; AccumOffset: 4
; Occupancy: 8
; WaveLimiterHint : 0
; COMPUTE_PGM_RSRC2:SCRATCH_EN: 0
; COMPUTE_PGM_RSRC2:USER_SGPR: 4
; COMPUTE_PGM_RSRC2:TRAP_HANDLER: 0
; COMPUTE_PGM_RSRC2:TGID_X_EN: 1
; COMPUTE_PGM_RSRC2:TGID_Y_EN: 0
; COMPUTE_PGM_RSRC2:TGID_Z_EN: 0
; COMPUTE_PGM_RSRC2:TIDIG_COMP_CNT: 0
; COMPUTE_PGM_RSRC3_GFX90A:ACCUM_OFFSET: 0
; COMPUTE_PGM_RSRC3_GFX90A:TG_SPLIT: 0
	.section	.text._ZN7rocprim17ROCPRIM_400000_NS6detail44device_merge_sort_compile_time_verifier_archINS1_11comp_targetILNS1_3genE5ELNS1_11target_archE942ELNS1_3gpuE9ELNS1_3repE0EEES8_NS0_14default_configES9_NS1_37merge_sort_block_sort_config_selectorIN3c108BFloat16ElEENS1_38merge_sort_block_merge_config_selectorISC_lEEEEvv,"axG",@progbits,_ZN7rocprim17ROCPRIM_400000_NS6detail44device_merge_sort_compile_time_verifier_archINS1_11comp_targetILNS1_3genE5ELNS1_11target_archE942ELNS1_3gpuE9ELNS1_3repE0EEES8_NS0_14default_configES9_NS1_37merge_sort_block_sort_config_selectorIN3c108BFloat16ElEENS1_38merge_sort_block_merge_config_selectorISC_lEEEEvv,comdat
	.protected	_ZN7rocprim17ROCPRIM_400000_NS6detail44device_merge_sort_compile_time_verifier_archINS1_11comp_targetILNS1_3genE5ELNS1_11target_archE942ELNS1_3gpuE9ELNS1_3repE0EEES8_NS0_14default_configES9_NS1_37merge_sort_block_sort_config_selectorIN3c108BFloat16ElEENS1_38merge_sort_block_merge_config_selectorISC_lEEEEvv ; -- Begin function _ZN7rocprim17ROCPRIM_400000_NS6detail44device_merge_sort_compile_time_verifier_archINS1_11comp_targetILNS1_3genE5ELNS1_11target_archE942ELNS1_3gpuE9ELNS1_3repE0EEES8_NS0_14default_configES9_NS1_37merge_sort_block_sort_config_selectorIN3c108BFloat16ElEENS1_38merge_sort_block_merge_config_selectorISC_lEEEEvv
	.globl	_ZN7rocprim17ROCPRIM_400000_NS6detail44device_merge_sort_compile_time_verifier_archINS1_11comp_targetILNS1_3genE5ELNS1_11target_archE942ELNS1_3gpuE9ELNS1_3repE0EEES8_NS0_14default_configES9_NS1_37merge_sort_block_sort_config_selectorIN3c108BFloat16ElEENS1_38merge_sort_block_merge_config_selectorISC_lEEEEvv
	.p2align	8
	.type	_ZN7rocprim17ROCPRIM_400000_NS6detail44device_merge_sort_compile_time_verifier_archINS1_11comp_targetILNS1_3genE5ELNS1_11target_archE942ELNS1_3gpuE9ELNS1_3repE0EEES8_NS0_14default_configES9_NS1_37merge_sort_block_sort_config_selectorIN3c108BFloat16ElEENS1_38merge_sort_block_merge_config_selectorISC_lEEEEvv,@function
_ZN7rocprim17ROCPRIM_400000_NS6detail44device_merge_sort_compile_time_verifier_archINS1_11comp_targetILNS1_3genE5ELNS1_11target_archE942ELNS1_3gpuE9ELNS1_3repE0EEES8_NS0_14default_configES9_NS1_37merge_sort_block_sort_config_selectorIN3c108BFloat16ElEENS1_38merge_sort_block_merge_config_selectorISC_lEEEEvv: ; @_ZN7rocprim17ROCPRIM_400000_NS6detail44device_merge_sort_compile_time_verifier_archINS1_11comp_targetILNS1_3genE5ELNS1_11target_archE942ELNS1_3gpuE9ELNS1_3repE0EEES8_NS0_14default_configES9_NS1_37merge_sort_block_sort_config_selectorIN3c108BFloat16ElEENS1_38merge_sort_block_merge_config_selectorISC_lEEEEvv
; %bb.0:
	s_endpgm
	.section	.rodata,"a",@progbits
	.p2align	6, 0x0
	.amdhsa_kernel _ZN7rocprim17ROCPRIM_400000_NS6detail44device_merge_sort_compile_time_verifier_archINS1_11comp_targetILNS1_3genE5ELNS1_11target_archE942ELNS1_3gpuE9ELNS1_3repE0EEES8_NS0_14default_configES9_NS1_37merge_sort_block_sort_config_selectorIN3c108BFloat16ElEENS1_38merge_sort_block_merge_config_selectorISC_lEEEEvv
		.amdhsa_group_segment_fixed_size 0
		.amdhsa_private_segment_fixed_size 0
		.amdhsa_kernarg_size 0
		.amdhsa_user_sgpr_count 4
		.amdhsa_user_sgpr_private_segment_buffer 1
		.amdhsa_user_sgpr_dispatch_ptr 0
		.amdhsa_user_sgpr_queue_ptr 0
		.amdhsa_user_sgpr_kernarg_segment_ptr 0
		.amdhsa_user_sgpr_dispatch_id 0
		.amdhsa_user_sgpr_flat_scratch_init 0
		.amdhsa_user_sgpr_kernarg_preload_length 0
		.amdhsa_user_sgpr_kernarg_preload_offset 0
		.amdhsa_user_sgpr_private_segment_size 0
		.amdhsa_uses_dynamic_stack 0
		.amdhsa_system_sgpr_private_segment_wavefront_offset 0
		.amdhsa_system_sgpr_workgroup_id_x 1
		.amdhsa_system_sgpr_workgroup_id_y 0
		.amdhsa_system_sgpr_workgroup_id_z 0
		.amdhsa_system_sgpr_workgroup_info 0
		.amdhsa_system_vgpr_workitem_id 0
		.amdhsa_next_free_vgpr 1
		.amdhsa_next_free_sgpr 0
		.amdhsa_accum_offset 4
		.amdhsa_reserve_vcc 0
		.amdhsa_reserve_flat_scratch 0
		.amdhsa_float_round_mode_32 0
		.amdhsa_float_round_mode_16_64 0
		.amdhsa_float_denorm_mode_32 3
		.amdhsa_float_denorm_mode_16_64 3
		.amdhsa_dx10_clamp 1
		.amdhsa_ieee_mode 1
		.amdhsa_fp16_overflow 0
		.amdhsa_tg_split 0
		.amdhsa_exception_fp_ieee_invalid_op 0
		.amdhsa_exception_fp_denorm_src 0
		.amdhsa_exception_fp_ieee_div_zero 0
		.amdhsa_exception_fp_ieee_overflow 0
		.amdhsa_exception_fp_ieee_underflow 0
		.amdhsa_exception_fp_ieee_inexact 0
		.amdhsa_exception_int_div_zero 0
	.end_amdhsa_kernel
	.section	.text._ZN7rocprim17ROCPRIM_400000_NS6detail44device_merge_sort_compile_time_verifier_archINS1_11comp_targetILNS1_3genE5ELNS1_11target_archE942ELNS1_3gpuE9ELNS1_3repE0EEES8_NS0_14default_configES9_NS1_37merge_sort_block_sort_config_selectorIN3c108BFloat16ElEENS1_38merge_sort_block_merge_config_selectorISC_lEEEEvv,"axG",@progbits,_ZN7rocprim17ROCPRIM_400000_NS6detail44device_merge_sort_compile_time_verifier_archINS1_11comp_targetILNS1_3genE5ELNS1_11target_archE942ELNS1_3gpuE9ELNS1_3repE0EEES8_NS0_14default_configES9_NS1_37merge_sort_block_sort_config_selectorIN3c108BFloat16ElEENS1_38merge_sort_block_merge_config_selectorISC_lEEEEvv,comdat
.Lfunc_end1961:
	.size	_ZN7rocprim17ROCPRIM_400000_NS6detail44device_merge_sort_compile_time_verifier_archINS1_11comp_targetILNS1_3genE5ELNS1_11target_archE942ELNS1_3gpuE9ELNS1_3repE0EEES8_NS0_14default_configES9_NS1_37merge_sort_block_sort_config_selectorIN3c108BFloat16ElEENS1_38merge_sort_block_merge_config_selectorISC_lEEEEvv, .Lfunc_end1961-_ZN7rocprim17ROCPRIM_400000_NS6detail44device_merge_sort_compile_time_verifier_archINS1_11comp_targetILNS1_3genE5ELNS1_11target_archE942ELNS1_3gpuE9ELNS1_3repE0EEES8_NS0_14default_configES9_NS1_37merge_sort_block_sort_config_selectorIN3c108BFloat16ElEENS1_38merge_sort_block_merge_config_selectorISC_lEEEEvv
                                        ; -- End function
	.section	.AMDGPU.csdata,"",@progbits
; Kernel info:
; codeLenInByte = 4
; NumSgprs: 4
; NumVgprs: 0
; NumAgprs: 0
; TotalNumVgprs: 0
; ScratchSize: 0
; MemoryBound: 0
; FloatMode: 240
; IeeeMode: 1
; LDSByteSize: 0 bytes/workgroup (compile time only)
; SGPRBlocks: 0
; VGPRBlocks: 0
; NumSGPRsForWavesPerEU: 4
; NumVGPRsForWavesPerEU: 1
; AccumOffset: 4
; Occupancy: 8
; WaveLimiterHint : 0
; COMPUTE_PGM_RSRC2:SCRATCH_EN: 0
; COMPUTE_PGM_RSRC2:USER_SGPR: 4
; COMPUTE_PGM_RSRC2:TRAP_HANDLER: 0
; COMPUTE_PGM_RSRC2:TGID_X_EN: 1
; COMPUTE_PGM_RSRC2:TGID_Y_EN: 0
; COMPUTE_PGM_RSRC2:TGID_Z_EN: 0
; COMPUTE_PGM_RSRC2:TIDIG_COMP_CNT: 0
; COMPUTE_PGM_RSRC3_GFX90A:ACCUM_OFFSET: 0
; COMPUTE_PGM_RSRC3_GFX90A:TG_SPLIT: 0
	.section	.text._ZN7rocprim17ROCPRIM_400000_NS6detail44device_merge_sort_compile_time_verifier_archINS1_11comp_targetILNS1_3genE4ELNS1_11target_archE910ELNS1_3gpuE8ELNS1_3repE0EEES8_NS0_14default_configES9_NS1_37merge_sort_block_sort_config_selectorIN3c108BFloat16ElEENS1_38merge_sort_block_merge_config_selectorISC_lEEEEvv,"axG",@progbits,_ZN7rocprim17ROCPRIM_400000_NS6detail44device_merge_sort_compile_time_verifier_archINS1_11comp_targetILNS1_3genE4ELNS1_11target_archE910ELNS1_3gpuE8ELNS1_3repE0EEES8_NS0_14default_configES9_NS1_37merge_sort_block_sort_config_selectorIN3c108BFloat16ElEENS1_38merge_sort_block_merge_config_selectorISC_lEEEEvv,comdat
	.protected	_ZN7rocprim17ROCPRIM_400000_NS6detail44device_merge_sort_compile_time_verifier_archINS1_11comp_targetILNS1_3genE4ELNS1_11target_archE910ELNS1_3gpuE8ELNS1_3repE0EEES8_NS0_14default_configES9_NS1_37merge_sort_block_sort_config_selectorIN3c108BFloat16ElEENS1_38merge_sort_block_merge_config_selectorISC_lEEEEvv ; -- Begin function _ZN7rocprim17ROCPRIM_400000_NS6detail44device_merge_sort_compile_time_verifier_archINS1_11comp_targetILNS1_3genE4ELNS1_11target_archE910ELNS1_3gpuE8ELNS1_3repE0EEES8_NS0_14default_configES9_NS1_37merge_sort_block_sort_config_selectorIN3c108BFloat16ElEENS1_38merge_sort_block_merge_config_selectorISC_lEEEEvv
	.globl	_ZN7rocprim17ROCPRIM_400000_NS6detail44device_merge_sort_compile_time_verifier_archINS1_11comp_targetILNS1_3genE4ELNS1_11target_archE910ELNS1_3gpuE8ELNS1_3repE0EEES8_NS0_14default_configES9_NS1_37merge_sort_block_sort_config_selectorIN3c108BFloat16ElEENS1_38merge_sort_block_merge_config_selectorISC_lEEEEvv
	.p2align	8
	.type	_ZN7rocprim17ROCPRIM_400000_NS6detail44device_merge_sort_compile_time_verifier_archINS1_11comp_targetILNS1_3genE4ELNS1_11target_archE910ELNS1_3gpuE8ELNS1_3repE0EEES8_NS0_14default_configES9_NS1_37merge_sort_block_sort_config_selectorIN3c108BFloat16ElEENS1_38merge_sort_block_merge_config_selectorISC_lEEEEvv,@function
_ZN7rocprim17ROCPRIM_400000_NS6detail44device_merge_sort_compile_time_verifier_archINS1_11comp_targetILNS1_3genE4ELNS1_11target_archE910ELNS1_3gpuE8ELNS1_3repE0EEES8_NS0_14default_configES9_NS1_37merge_sort_block_sort_config_selectorIN3c108BFloat16ElEENS1_38merge_sort_block_merge_config_selectorISC_lEEEEvv: ; @_ZN7rocprim17ROCPRIM_400000_NS6detail44device_merge_sort_compile_time_verifier_archINS1_11comp_targetILNS1_3genE4ELNS1_11target_archE910ELNS1_3gpuE8ELNS1_3repE0EEES8_NS0_14default_configES9_NS1_37merge_sort_block_sort_config_selectorIN3c108BFloat16ElEENS1_38merge_sort_block_merge_config_selectorISC_lEEEEvv
; %bb.0:
	s_endpgm
	.section	.rodata,"a",@progbits
	.p2align	6, 0x0
	.amdhsa_kernel _ZN7rocprim17ROCPRIM_400000_NS6detail44device_merge_sort_compile_time_verifier_archINS1_11comp_targetILNS1_3genE4ELNS1_11target_archE910ELNS1_3gpuE8ELNS1_3repE0EEES8_NS0_14default_configES9_NS1_37merge_sort_block_sort_config_selectorIN3c108BFloat16ElEENS1_38merge_sort_block_merge_config_selectorISC_lEEEEvv
		.amdhsa_group_segment_fixed_size 0
		.amdhsa_private_segment_fixed_size 0
		.amdhsa_kernarg_size 0
		.amdhsa_user_sgpr_count 4
		.amdhsa_user_sgpr_private_segment_buffer 1
		.amdhsa_user_sgpr_dispatch_ptr 0
		.amdhsa_user_sgpr_queue_ptr 0
		.amdhsa_user_sgpr_kernarg_segment_ptr 0
		.amdhsa_user_sgpr_dispatch_id 0
		.amdhsa_user_sgpr_flat_scratch_init 0
		.amdhsa_user_sgpr_kernarg_preload_length 0
		.amdhsa_user_sgpr_kernarg_preload_offset 0
		.amdhsa_user_sgpr_private_segment_size 0
		.amdhsa_uses_dynamic_stack 0
		.amdhsa_system_sgpr_private_segment_wavefront_offset 0
		.amdhsa_system_sgpr_workgroup_id_x 1
		.amdhsa_system_sgpr_workgroup_id_y 0
		.amdhsa_system_sgpr_workgroup_id_z 0
		.amdhsa_system_sgpr_workgroup_info 0
		.amdhsa_system_vgpr_workitem_id 0
		.amdhsa_next_free_vgpr 1
		.amdhsa_next_free_sgpr 0
		.amdhsa_accum_offset 4
		.amdhsa_reserve_vcc 0
		.amdhsa_reserve_flat_scratch 0
		.amdhsa_float_round_mode_32 0
		.amdhsa_float_round_mode_16_64 0
		.amdhsa_float_denorm_mode_32 3
		.amdhsa_float_denorm_mode_16_64 3
		.amdhsa_dx10_clamp 1
		.amdhsa_ieee_mode 1
		.amdhsa_fp16_overflow 0
		.amdhsa_tg_split 0
		.amdhsa_exception_fp_ieee_invalid_op 0
		.amdhsa_exception_fp_denorm_src 0
		.amdhsa_exception_fp_ieee_div_zero 0
		.amdhsa_exception_fp_ieee_overflow 0
		.amdhsa_exception_fp_ieee_underflow 0
		.amdhsa_exception_fp_ieee_inexact 0
		.amdhsa_exception_int_div_zero 0
	.end_amdhsa_kernel
	.section	.text._ZN7rocprim17ROCPRIM_400000_NS6detail44device_merge_sort_compile_time_verifier_archINS1_11comp_targetILNS1_3genE4ELNS1_11target_archE910ELNS1_3gpuE8ELNS1_3repE0EEES8_NS0_14default_configES9_NS1_37merge_sort_block_sort_config_selectorIN3c108BFloat16ElEENS1_38merge_sort_block_merge_config_selectorISC_lEEEEvv,"axG",@progbits,_ZN7rocprim17ROCPRIM_400000_NS6detail44device_merge_sort_compile_time_verifier_archINS1_11comp_targetILNS1_3genE4ELNS1_11target_archE910ELNS1_3gpuE8ELNS1_3repE0EEES8_NS0_14default_configES9_NS1_37merge_sort_block_sort_config_selectorIN3c108BFloat16ElEENS1_38merge_sort_block_merge_config_selectorISC_lEEEEvv,comdat
.Lfunc_end1962:
	.size	_ZN7rocprim17ROCPRIM_400000_NS6detail44device_merge_sort_compile_time_verifier_archINS1_11comp_targetILNS1_3genE4ELNS1_11target_archE910ELNS1_3gpuE8ELNS1_3repE0EEES8_NS0_14default_configES9_NS1_37merge_sort_block_sort_config_selectorIN3c108BFloat16ElEENS1_38merge_sort_block_merge_config_selectorISC_lEEEEvv, .Lfunc_end1962-_ZN7rocprim17ROCPRIM_400000_NS6detail44device_merge_sort_compile_time_verifier_archINS1_11comp_targetILNS1_3genE4ELNS1_11target_archE910ELNS1_3gpuE8ELNS1_3repE0EEES8_NS0_14default_configES9_NS1_37merge_sort_block_sort_config_selectorIN3c108BFloat16ElEENS1_38merge_sort_block_merge_config_selectorISC_lEEEEvv
                                        ; -- End function
	.section	.AMDGPU.csdata,"",@progbits
; Kernel info:
; codeLenInByte = 4
; NumSgprs: 4
; NumVgprs: 0
; NumAgprs: 0
; TotalNumVgprs: 0
; ScratchSize: 0
; MemoryBound: 0
; FloatMode: 240
; IeeeMode: 1
; LDSByteSize: 0 bytes/workgroup (compile time only)
; SGPRBlocks: 0
; VGPRBlocks: 0
; NumSGPRsForWavesPerEU: 4
; NumVGPRsForWavesPerEU: 1
; AccumOffset: 4
; Occupancy: 8
; WaveLimiterHint : 0
; COMPUTE_PGM_RSRC2:SCRATCH_EN: 0
; COMPUTE_PGM_RSRC2:USER_SGPR: 4
; COMPUTE_PGM_RSRC2:TRAP_HANDLER: 0
; COMPUTE_PGM_RSRC2:TGID_X_EN: 1
; COMPUTE_PGM_RSRC2:TGID_Y_EN: 0
; COMPUTE_PGM_RSRC2:TGID_Z_EN: 0
; COMPUTE_PGM_RSRC2:TIDIG_COMP_CNT: 0
; COMPUTE_PGM_RSRC3_GFX90A:ACCUM_OFFSET: 0
; COMPUTE_PGM_RSRC3_GFX90A:TG_SPLIT: 0
	.section	.text._ZN7rocprim17ROCPRIM_400000_NS6detail44device_merge_sort_compile_time_verifier_archINS1_11comp_targetILNS1_3genE3ELNS1_11target_archE908ELNS1_3gpuE7ELNS1_3repE0EEES8_NS0_14default_configES9_NS1_37merge_sort_block_sort_config_selectorIN3c108BFloat16ElEENS1_38merge_sort_block_merge_config_selectorISC_lEEEEvv,"axG",@progbits,_ZN7rocprim17ROCPRIM_400000_NS6detail44device_merge_sort_compile_time_verifier_archINS1_11comp_targetILNS1_3genE3ELNS1_11target_archE908ELNS1_3gpuE7ELNS1_3repE0EEES8_NS0_14default_configES9_NS1_37merge_sort_block_sort_config_selectorIN3c108BFloat16ElEENS1_38merge_sort_block_merge_config_selectorISC_lEEEEvv,comdat
	.protected	_ZN7rocprim17ROCPRIM_400000_NS6detail44device_merge_sort_compile_time_verifier_archINS1_11comp_targetILNS1_3genE3ELNS1_11target_archE908ELNS1_3gpuE7ELNS1_3repE0EEES8_NS0_14default_configES9_NS1_37merge_sort_block_sort_config_selectorIN3c108BFloat16ElEENS1_38merge_sort_block_merge_config_selectorISC_lEEEEvv ; -- Begin function _ZN7rocprim17ROCPRIM_400000_NS6detail44device_merge_sort_compile_time_verifier_archINS1_11comp_targetILNS1_3genE3ELNS1_11target_archE908ELNS1_3gpuE7ELNS1_3repE0EEES8_NS0_14default_configES9_NS1_37merge_sort_block_sort_config_selectorIN3c108BFloat16ElEENS1_38merge_sort_block_merge_config_selectorISC_lEEEEvv
	.globl	_ZN7rocprim17ROCPRIM_400000_NS6detail44device_merge_sort_compile_time_verifier_archINS1_11comp_targetILNS1_3genE3ELNS1_11target_archE908ELNS1_3gpuE7ELNS1_3repE0EEES8_NS0_14default_configES9_NS1_37merge_sort_block_sort_config_selectorIN3c108BFloat16ElEENS1_38merge_sort_block_merge_config_selectorISC_lEEEEvv
	.p2align	8
	.type	_ZN7rocprim17ROCPRIM_400000_NS6detail44device_merge_sort_compile_time_verifier_archINS1_11comp_targetILNS1_3genE3ELNS1_11target_archE908ELNS1_3gpuE7ELNS1_3repE0EEES8_NS0_14default_configES9_NS1_37merge_sort_block_sort_config_selectorIN3c108BFloat16ElEENS1_38merge_sort_block_merge_config_selectorISC_lEEEEvv,@function
_ZN7rocprim17ROCPRIM_400000_NS6detail44device_merge_sort_compile_time_verifier_archINS1_11comp_targetILNS1_3genE3ELNS1_11target_archE908ELNS1_3gpuE7ELNS1_3repE0EEES8_NS0_14default_configES9_NS1_37merge_sort_block_sort_config_selectorIN3c108BFloat16ElEENS1_38merge_sort_block_merge_config_selectorISC_lEEEEvv: ; @_ZN7rocprim17ROCPRIM_400000_NS6detail44device_merge_sort_compile_time_verifier_archINS1_11comp_targetILNS1_3genE3ELNS1_11target_archE908ELNS1_3gpuE7ELNS1_3repE0EEES8_NS0_14default_configES9_NS1_37merge_sort_block_sort_config_selectorIN3c108BFloat16ElEENS1_38merge_sort_block_merge_config_selectorISC_lEEEEvv
; %bb.0:
	s_endpgm
	.section	.rodata,"a",@progbits
	.p2align	6, 0x0
	.amdhsa_kernel _ZN7rocprim17ROCPRIM_400000_NS6detail44device_merge_sort_compile_time_verifier_archINS1_11comp_targetILNS1_3genE3ELNS1_11target_archE908ELNS1_3gpuE7ELNS1_3repE0EEES8_NS0_14default_configES9_NS1_37merge_sort_block_sort_config_selectorIN3c108BFloat16ElEENS1_38merge_sort_block_merge_config_selectorISC_lEEEEvv
		.amdhsa_group_segment_fixed_size 0
		.amdhsa_private_segment_fixed_size 0
		.amdhsa_kernarg_size 0
		.amdhsa_user_sgpr_count 4
		.amdhsa_user_sgpr_private_segment_buffer 1
		.amdhsa_user_sgpr_dispatch_ptr 0
		.amdhsa_user_sgpr_queue_ptr 0
		.amdhsa_user_sgpr_kernarg_segment_ptr 0
		.amdhsa_user_sgpr_dispatch_id 0
		.amdhsa_user_sgpr_flat_scratch_init 0
		.amdhsa_user_sgpr_kernarg_preload_length 0
		.amdhsa_user_sgpr_kernarg_preload_offset 0
		.amdhsa_user_sgpr_private_segment_size 0
		.amdhsa_uses_dynamic_stack 0
		.amdhsa_system_sgpr_private_segment_wavefront_offset 0
		.amdhsa_system_sgpr_workgroup_id_x 1
		.amdhsa_system_sgpr_workgroup_id_y 0
		.amdhsa_system_sgpr_workgroup_id_z 0
		.amdhsa_system_sgpr_workgroup_info 0
		.amdhsa_system_vgpr_workitem_id 0
		.amdhsa_next_free_vgpr 1
		.amdhsa_next_free_sgpr 0
		.amdhsa_accum_offset 4
		.amdhsa_reserve_vcc 0
		.amdhsa_reserve_flat_scratch 0
		.amdhsa_float_round_mode_32 0
		.amdhsa_float_round_mode_16_64 0
		.amdhsa_float_denorm_mode_32 3
		.amdhsa_float_denorm_mode_16_64 3
		.amdhsa_dx10_clamp 1
		.amdhsa_ieee_mode 1
		.amdhsa_fp16_overflow 0
		.amdhsa_tg_split 0
		.amdhsa_exception_fp_ieee_invalid_op 0
		.amdhsa_exception_fp_denorm_src 0
		.amdhsa_exception_fp_ieee_div_zero 0
		.amdhsa_exception_fp_ieee_overflow 0
		.amdhsa_exception_fp_ieee_underflow 0
		.amdhsa_exception_fp_ieee_inexact 0
		.amdhsa_exception_int_div_zero 0
	.end_amdhsa_kernel
	.section	.text._ZN7rocprim17ROCPRIM_400000_NS6detail44device_merge_sort_compile_time_verifier_archINS1_11comp_targetILNS1_3genE3ELNS1_11target_archE908ELNS1_3gpuE7ELNS1_3repE0EEES8_NS0_14default_configES9_NS1_37merge_sort_block_sort_config_selectorIN3c108BFloat16ElEENS1_38merge_sort_block_merge_config_selectorISC_lEEEEvv,"axG",@progbits,_ZN7rocprim17ROCPRIM_400000_NS6detail44device_merge_sort_compile_time_verifier_archINS1_11comp_targetILNS1_3genE3ELNS1_11target_archE908ELNS1_3gpuE7ELNS1_3repE0EEES8_NS0_14default_configES9_NS1_37merge_sort_block_sort_config_selectorIN3c108BFloat16ElEENS1_38merge_sort_block_merge_config_selectorISC_lEEEEvv,comdat
.Lfunc_end1963:
	.size	_ZN7rocprim17ROCPRIM_400000_NS6detail44device_merge_sort_compile_time_verifier_archINS1_11comp_targetILNS1_3genE3ELNS1_11target_archE908ELNS1_3gpuE7ELNS1_3repE0EEES8_NS0_14default_configES9_NS1_37merge_sort_block_sort_config_selectorIN3c108BFloat16ElEENS1_38merge_sort_block_merge_config_selectorISC_lEEEEvv, .Lfunc_end1963-_ZN7rocprim17ROCPRIM_400000_NS6detail44device_merge_sort_compile_time_verifier_archINS1_11comp_targetILNS1_3genE3ELNS1_11target_archE908ELNS1_3gpuE7ELNS1_3repE0EEES8_NS0_14default_configES9_NS1_37merge_sort_block_sort_config_selectorIN3c108BFloat16ElEENS1_38merge_sort_block_merge_config_selectorISC_lEEEEvv
                                        ; -- End function
	.section	.AMDGPU.csdata,"",@progbits
; Kernel info:
; codeLenInByte = 4
; NumSgprs: 4
; NumVgprs: 0
; NumAgprs: 0
; TotalNumVgprs: 0
; ScratchSize: 0
; MemoryBound: 0
; FloatMode: 240
; IeeeMode: 1
; LDSByteSize: 0 bytes/workgroup (compile time only)
; SGPRBlocks: 0
; VGPRBlocks: 0
; NumSGPRsForWavesPerEU: 4
; NumVGPRsForWavesPerEU: 1
; AccumOffset: 4
; Occupancy: 8
; WaveLimiterHint : 0
; COMPUTE_PGM_RSRC2:SCRATCH_EN: 0
; COMPUTE_PGM_RSRC2:USER_SGPR: 4
; COMPUTE_PGM_RSRC2:TRAP_HANDLER: 0
; COMPUTE_PGM_RSRC2:TGID_X_EN: 1
; COMPUTE_PGM_RSRC2:TGID_Y_EN: 0
; COMPUTE_PGM_RSRC2:TGID_Z_EN: 0
; COMPUTE_PGM_RSRC2:TIDIG_COMP_CNT: 0
; COMPUTE_PGM_RSRC3_GFX90A:ACCUM_OFFSET: 0
; COMPUTE_PGM_RSRC3_GFX90A:TG_SPLIT: 0
	.section	.text._ZN7rocprim17ROCPRIM_400000_NS6detail44device_merge_sort_compile_time_verifier_archINS1_11comp_targetILNS1_3genE2ELNS1_11target_archE906ELNS1_3gpuE6ELNS1_3repE0EEES8_NS0_14default_configES9_NS1_37merge_sort_block_sort_config_selectorIN3c108BFloat16ElEENS1_38merge_sort_block_merge_config_selectorISC_lEEEEvv,"axG",@progbits,_ZN7rocprim17ROCPRIM_400000_NS6detail44device_merge_sort_compile_time_verifier_archINS1_11comp_targetILNS1_3genE2ELNS1_11target_archE906ELNS1_3gpuE6ELNS1_3repE0EEES8_NS0_14default_configES9_NS1_37merge_sort_block_sort_config_selectorIN3c108BFloat16ElEENS1_38merge_sort_block_merge_config_selectorISC_lEEEEvv,comdat
	.protected	_ZN7rocprim17ROCPRIM_400000_NS6detail44device_merge_sort_compile_time_verifier_archINS1_11comp_targetILNS1_3genE2ELNS1_11target_archE906ELNS1_3gpuE6ELNS1_3repE0EEES8_NS0_14default_configES9_NS1_37merge_sort_block_sort_config_selectorIN3c108BFloat16ElEENS1_38merge_sort_block_merge_config_selectorISC_lEEEEvv ; -- Begin function _ZN7rocprim17ROCPRIM_400000_NS6detail44device_merge_sort_compile_time_verifier_archINS1_11comp_targetILNS1_3genE2ELNS1_11target_archE906ELNS1_3gpuE6ELNS1_3repE0EEES8_NS0_14default_configES9_NS1_37merge_sort_block_sort_config_selectorIN3c108BFloat16ElEENS1_38merge_sort_block_merge_config_selectorISC_lEEEEvv
	.globl	_ZN7rocprim17ROCPRIM_400000_NS6detail44device_merge_sort_compile_time_verifier_archINS1_11comp_targetILNS1_3genE2ELNS1_11target_archE906ELNS1_3gpuE6ELNS1_3repE0EEES8_NS0_14default_configES9_NS1_37merge_sort_block_sort_config_selectorIN3c108BFloat16ElEENS1_38merge_sort_block_merge_config_selectorISC_lEEEEvv
	.p2align	8
	.type	_ZN7rocprim17ROCPRIM_400000_NS6detail44device_merge_sort_compile_time_verifier_archINS1_11comp_targetILNS1_3genE2ELNS1_11target_archE906ELNS1_3gpuE6ELNS1_3repE0EEES8_NS0_14default_configES9_NS1_37merge_sort_block_sort_config_selectorIN3c108BFloat16ElEENS1_38merge_sort_block_merge_config_selectorISC_lEEEEvv,@function
_ZN7rocprim17ROCPRIM_400000_NS6detail44device_merge_sort_compile_time_verifier_archINS1_11comp_targetILNS1_3genE2ELNS1_11target_archE906ELNS1_3gpuE6ELNS1_3repE0EEES8_NS0_14default_configES9_NS1_37merge_sort_block_sort_config_selectorIN3c108BFloat16ElEENS1_38merge_sort_block_merge_config_selectorISC_lEEEEvv: ; @_ZN7rocprim17ROCPRIM_400000_NS6detail44device_merge_sort_compile_time_verifier_archINS1_11comp_targetILNS1_3genE2ELNS1_11target_archE906ELNS1_3gpuE6ELNS1_3repE0EEES8_NS0_14default_configES9_NS1_37merge_sort_block_sort_config_selectorIN3c108BFloat16ElEENS1_38merge_sort_block_merge_config_selectorISC_lEEEEvv
; %bb.0:
	s_endpgm
	.section	.rodata,"a",@progbits
	.p2align	6, 0x0
	.amdhsa_kernel _ZN7rocprim17ROCPRIM_400000_NS6detail44device_merge_sort_compile_time_verifier_archINS1_11comp_targetILNS1_3genE2ELNS1_11target_archE906ELNS1_3gpuE6ELNS1_3repE0EEES8_NS0_14default_configES9_NS1_37merge_sort_block_sort_config_selectorIN3c108BFloat16ElEENS1_38merge_sort_block_merge_config_selectorISC_lEEEEvv
		.amdhsa_group_segment_fixed_size 0
		.amdhsa_private_segment_fixed_size 0
		.amdhsa_kernarg_size 0
		.amdhsa_user_sgpr_count 4
		.amdhsa_user_sgpr_private_segment_buffer 1
		.amdhsa_user_sgpr_dispatch_ptr 0
		.amdhsa_user_sgpr_queue_ptr 0
		.amdhsa_user_sgpr_kernarg_segment_ptr 0
		.amdhsa_user_sgpr_dispatch_id 0
		.amdhsa_user_sgpr_flat_scratch_init 0
		.amdhsa_user_sgpr_kernarg_preload_length 0
		.amdhsa_user_sgpr_kernarg_preload_offset 0
		.amdhsa_user_sgpr_private_segment_size 0
		.amdhsa_uses_dynamic_stack 0
		.amdhsa_system_sgpr_private_segment_wavefront_offset 0
		.amdhsa_system_sgpr_workgroup_id_x 1
		.amdhsa_system_sgpr_workgroup_id_y 0
		.amdhsa_system_sgpr_workgroup_id_z 0
		.amdhsa_system_sgpr_workgroup_info 0
		.amdhsa_system_vgpr_workitem_id 0
		.amdhsa_next_free_vgpr 1
		.amdhsa_next_free_sgpr 0
		.amdhsa_accum_offset 4
		.amdhsa_reserve_vcc 0
		.amdhsa_reserve_flat_scratch 0
		.amdhsa_float_round_mode_32 0
		.amdhsa_float_round_mode_16_64 0
		.amdhsa_float_denorm_mode_32 3
		.amdhsa_float_denorm_mode_16_64 3
		.amdhsa_dx10_clamp 1
		.amdhsa_ieee_mode 1
		.amdhsa_fp16_overflow 0
		.amdhsa_tg_split 0
		.amdhsa_exception_fp_ieee_invalid_op 0
		.amdhsa_exception_fp_denorm_src 0
		.amdhsa_exception_fp_ieee_div_zero 0
		.amdhsa_exception_fp_ieee_overflow 0
		.amdhsa_exception_fp_ieee_underflow 0
		.amdhsa_exception_fp_ieee_inexact 0
		.amdhsa_exception_int_div_zero 0
	.end_amdhsa_kernel
	.section	.text._ZN7rocprim17ROCPRIM_400000_NS6detail44device_merge_sort_compile_time_verifier_archINS1_11comp_targetILNS1_3genE2ELNS1_11target_archE906ELNS1_3gpuE6ELNS1_3repE0EEES8_NS0_14default_configES9_NS1_37merge_sort_block_sort_config_selectorIN3c108BFloat16ElEENS1_38merge_sort_block_merge_config_selectorISC_lEEEEvv,"axG",@progbits,_ZN7rocprim17ROCPRIM_400000_NS6detail44device_merge_sort_compile_time_verifier_archINS1_11comp_targetILNS1_3genE2ELNS1_11target_archE906ELNS1_3gpuE6ELNS1_3repE0EEES8_NS0_14default_configES9_NS1_37merge_sort_block_sort_config_selectorIN3c108BFloat16ElEENS1_38merge_sort_block_merge_config_selectorISC_lEEEEvv,comdat
.Lfunc_end1964:
	.size	_ZN7rocprim17ROCPRIM_400000_NS6detail44device_merge_sort_compile_time_verifier_archINS1_11comp_targetILNS1_3genE2ELNS1_11target_archE906ELNS1_3gpuE6ELNS1_3repE0EEES8_NS0_14default_configES9_NS1_37merge_sort_block_sort_config_selectorIN3c108BFloat16ElEENS1_38merge_sort_block_merge_config_selectorISC_lEEEEvv, .Lfunc_end1964-_ZN7rocprim17ROCPRIM_400000_NS6detail44device_merge_sort_compile_time_verifier_archINS1_11comp_targetILNS1_3genE2ELNS1_11target_archE906ELNS1_3gpuE6ELNS1_3repE0EEES8_NS0_14default_configES9_NS1_37merge_sort_block_sort_config_selectorIN3c108BFloat16ElEENS1_38merge_sort_block_merge_config_selectorISC_lEEEEvv
                                        ; -- End function
	.section	.AMDGPU.csdata,"",@progbits
; Kernel info:
; codeLenInByte = 4
; NumSgprs: 4
; NumVgprs: 0
; NumAgprs: 0
; TotalNumVgprs: 0
; ScratchSize: 0
; MemoryBound: 0
; FloatMode: 240
; IeeeMode: 1
; LDSByteSize: 0 bytes/workgroup (compile time only)
; SGPRBlocks: 0
; VGPRBlocks: 0
; NumSGPRsForWavesPerEU: 4
; NumVGPRsForWavesPerEU: 1
; AccumOffset: 4
; Occupancy: 8
; WaveLimiterHint : 0
; COMPUTE_PGM_RSRC2:SCRATCH_EN: 0
; COMPUTE_PGM_RSRC2:USER_SGPR: 4
; COMPUTE_PGM_RSRC2:TRAP_HANDLER: 0
; COMPUTE_PGM_RSRC2:TGID_X_EN: 1
; COMPUTE_PGM_RSRC2:TGID_Y_EN: 0
; COMPUTE_PGM_RSRC2:TGID_Z_EN: 0
; COMPUTE_PGM_RSRC2:TIDIG_COMP_CNT: 0
; COMPUTE_PGM_RSRC3_GFX90A:ACCUM_OFFSET: 0
; COMPUTE_PGM_RSRC3_GFX90A:TG_SPLIT: 0
	.section	.text._ZN7rocprim17ROCPRIM_400000_NS6detail44device_merge_sort_compile_time_verifier_archINS1_11comp_targetILNS1_3genE10ELNS1_11target_archE1201ELNS1_3gpuE5ELNS1_3repE0EEES8_NS0_14default_configES9_NS1_37merge_sort_block_sort_config_selectorIN3c108BFloat16ElEENS1_38merge_sort_block_merge_config_selectorISC_lEEEEvv,"axG",@progbits,_ZN7rocprim17ROCPRIM_400000_NS6detail44device_merge_sort_compile_time_verifier_archINS1_11comp_targetILNS1_3genE10ELNS1_11target_archE1201ELNS1_3gpuE5ELNS1_3repE0EEES8_NS0_14default_configES9_NS1_37merge_sort_block_sort_config_selectorIN3c108BFloat16ElEENS1_38merge_sort_block_merge_config_selectorISC_lEEEEvv,comdat
	.protected	_ZN7rocprim17ROCPRIM_400000_NS6detail44device_merge_sort_compile_time_verifier_archINS1_11comp_targetILNS1_3genE10ELNS1_11target_archE1201ELNS1_3gpuE5ELNS1_3repE0EEES8_NS0_14default_configES9_NS1_37merge_sort_block_sort_config_selectorIN3c108BFloat16ElEENS1_38merge_sort_block_merge_config_selectorISC_lEEEEvv ; -- Begin function _ZN7rocprim17ROCPRIM_400000_NS6detail44device_merge_sort_compile_time_verifier_archINS1_11comp_targetILNS1_3genE10ELNS1_11target_archE1201ELNS1_3gpuE5ELNS1_3repE0EEES8_NS0_14default_configES9_NS1_37merge_sort_block_sort_config_selectorIN3c108BFloat16ElEENS1_38merge_sort_block_merge_config_selectorISC_lEEEEvv
	.globl	_ZN7rocprim17ROCPRIM_400000_NS6detail44device_merge_sort_compile_time_verifier_archINS1_11comp_targetILNS1_3genE10ELNS1_11target_archE1201ELNS1_3gpuE5ELNS1_3repE0EEES8_NS0_14default_configES9_NS1_37merge_sort_block_sort_config_selectorIN3c108BFloat16ElEENS1_38merge_sort_block_merge_config_selectorISC_lEEEEvv
	.p2align	8
	.type	_ZN7rocprim17ROCPRIM_400000_NS6detail44device_merge_sort_compile_time_verifier_archINS1_11comp_targetILNS1_3genE10ELNS1_11target_archE1201ELNS1_3gpuE5ELNS1_3repE0EEES8_NS0_14default_configES9_NS1_37merge_sort_block_sort_config_selectorIN3c108BFloat16ElEENS1_38merge_sort_block_merge_config_selectorISC_lEEEEvv,@function
_ZN7rocprim17ROCPRIM_400000_NS6detail44device_merge_sort_compile_time_verifier_archINS1_11comp_targetILNS1_3genE10ELNS1_11target_archE1201ELNS1_3gpuE5ELNS1_3repE0EEES8_NS0_14default_configES9_NS1_37merge_sort_block_sort_config_selectorIN3c108BFloat16ElEENS1_38merge_sort_block_merge_config_selectorISC_lEEEEvv: ; @_ZN7rocprim17ROCPRIM_400000_NS6detail44device_merge_sort_compile_time_verifier_archINS1_11comp_targetILNS1_3genE10ELNS1_11target_archE1201ELNS1_3gpuE5ELNS1_3repE0EEES8_NS0_14default_configES9_NS1_37merge_sort_block_sort_config_selectorIN3c108BFloat16ElEENS1_38merge_sort_block_merge_config_selectorISC_lEEEEvv
; %bb.0:
	s_endpgm
	.section	.rodata,"a",@progbits
	.p2align	6, 0x0
	.amdhsa_kernel _ZN7rocprim17ROCPRIM_400000_NS6detail44device_merge_sort_compile_time_verifier_archINS1_11comp_targetILNS1_3genE10ELNS1_11target_archE1201ELNS1_3gpuE5ELNS1_3repE0EEES8_NS0_14default_configES9_NS1_37merge_sort_block_sort_config_selectorIN3c108BFloat16ElEENS1_38merge_sort_block_merge_config_selectorISC_lEEEEvv
		.amdhsa_group_segment_fixed_size 0
		.amdhsa_private_segment_fixed_size 0
		.amdhsa_kernarg_size 0
		.amdhsa_user_sgpr_count 4
		.amdhsa_user_sgpr_private_segment_buffer 1
		.amdhsa_user_sgpr_dispatch_ptr 0
		.amdhsa_user_sgpr_queue_ptr 0
		.amdhsa_user_sgpr_kernarg_segment_ptr 0
		.amdhsa_user_sgpr_dispatch_id 0
		.amdhsa_user_sgpr_flat_scratch_init 0
		.amdhsa_user_sgpr_kernarg_preload_length 0
		.amdhsa_user_sgpr_kernarg_preload_offset 0
		.amdhsa_user_sgpr_private_segment_size 0
		.amdhsa_uses_dynamic_stack 0
		.amdhsa_system_sgpr_private_segment_wavefront_offset 0
		.amdhsa_system_sgpr_workgroup_id_x 1
		.amdhsa_system_sgpr_workgroup_id_y 0
		.amdhsa_system_sgpr_workgroup_id_z 0
		.amdhsa_system_sgpr_workgroup_info 0
		.amdhsa_system_vgpr_workitem_id 0
		.amdhsa_next_free_vgpr 1
		.amdhsa_next_free_sgpr 0
		.amdhsa_accum_offset 4
		.amdhsa_reserve_vcc 0
		.amdhsa_reserve_flat_scratch 0
		.amdhsa_float_round_mode_32 0
		.amdhsa_float_round_mode_16_64 0
		.amdhsa_float_denorm_mode_32 3
		.amdhsa_float_denorm_mode_16_64 3
		.amdhsa_dx10_clamp 1
		.amdhsa_ieee_mode 1
		.amdhsa_fp16_overflow 0
		.amdhsa_tg_split 0
		.amdhsa_exception_fp_ieee_invalid_op 0
		.amdhsa_exception_fp_denorm_src 0
		.amdhsa_exception_fp_ieee_div_zero 0
		.amdhsa_exception_fp_ieee_overflow 0
		.amdhsa_exception_fp_ieee_underflow 0
		.amdhsa_exception_fp_ieee_inexact 0
		.amdhsa_exception_int_div_zero 0
	.end_amdhsa_kernel
	.section	.text._ZN7rocprim17ROCPRIM_400000_NS6detail44device_merge_sort_compile_time_verifier_archINS1_11comp_targetILNS1_3genE10ELNS1_11target_archE1201ELNS1_3gpuE5ELNS1_3repE0EEES8_NS0_14default_configES9_NS1_37merge_sort_block_sort_config_selectorIN3c108BFloat16ElEENS1_38merge_sort_block_merge_config_selectorISC_lEEEEvv,"axG",@progbits,_ZN7rocprim17ROCPRIM_400000_NS6detail44device_merge_sort_compile_time_verifier_archINS1_11comp_targetILNS1_3genE10ELNS1_11target_archE1201ELNS1_3gpuE5ELNS1_3repE0EEES8_NS0_14default_configES9_NS1_37merge_sort_block_sort_config_selectorIN3c108BFloat16ElEENS1_38merge_sort_block_merge_config_selectorISC_lEEEEvv,comdat
.Lfunc_end1965:
	.size	_ZN7rocprim17ROCPRIM_400000_NS6detail44device_merge_sort_compile_time_verifier_archINS1_11comp_targetILNS1_3genE10ELNS1_11target_archE1201ELNS1_3gpuE5ELNS1_3repE0EEES8_NS0_14default_configES9_NS1_37merge_sort_block_sort_config_selectorIN3c108BFloat16ElEENS1_38merge_sort_block_merge_config_selectorISC_lEEEEvv, .Lfunc_end1965-_ZN7rocprim17ROCPRIM_400000_NS6detail44device_merge_sort_compile_time_verifier_archINS1_11comp_targetILNS1_3genE10ELNS1_11target_archE1201ELNS1_3gpuE5ELNS1_3repE0EEES8_NS0_14default_configES9_NS1_37merge_sort_block_sort_config_selectorIN3c108BFloat16ElEENS1_38merge_sort_block_merge_config_selectorISC_lEEEEvv
                                        ; -- End function
	.section	.AMDGPU.csdata,"",@progbits
; Kernel info:
; codeLenInByte = 4
; NumSgprs: 4
; NumVgprs: 0
; NumAgprs: 0
; TotalNumVgprs: 0
; ScratchSize: 0
; MemoryBound: 0
; FloatMode: 240
; IeeeMode: 1
; LDSByteSize: 0 bytes/workgroup (compile time only)
; SGPRBlocks: 0
; VGPRBlocks: 0
; NumSGPRsForWavesPerEU: 4
; NumVGPRsForWavesPerEU: 1
; AccumOffset: 4
; Occupancy: 8
; WaveLimiterHint : 0
; COMPUTE_PGM_RSRC2:SCRATCH_EN: 0
; COMPUTE_PGM_RSRC2:USER_SGPR: 4
; COMPUTE_PGM_RSRC2:TRAP_HANDLER: 0
; COMPUTE_PGM_RSRC2:TGID_X_EN: 1
; COMPUTE_PGM_RSRC2:TGID_Y_EN: 0
; COMPUTE_PGM_RSRC2:TGID_Z_EN: 0
; COMPUTE_PGM_RSRC2:TIDIG_COMP_CNT: 0
; COMPUTE_PGM_RSRC3_GFX90A:ACCUM_OFFSET: 0
; COMPUTE_PGM_RSRC3_GFX90A:TG_SPLIT: 0
	.section	.text._ZN7rocprim17ROCPRIM_400000_NS6detail44device_merge_sort_compile_time_verifier_archINS1_11comp_targetILNS1_3genE10ELNS1_11target_archE1200ELNS1_3gpuE4ELNS1_3repE0EEENS3_ILS4_10ELS5_1201ELS6_5ELS7_0EEENS0_14default_configESA_NS1_37merge_sort_block_sort_config_selectorIN3c108BFloat16ElEENS1_38merge_sort_block_merge_config_selectorISD_lEEEEvv,"axG",@progbits,_ZN7rocprim17ROCPRIM_400000_NS6detail44device_merge_sort_compile_time_verifier_archINS1_11comp_targetILNS1_3genE10ELNS1_11target_archE1200ELNS1_3gpuE4ELNS1_3repE0EEENS3_ILS4_10ELS5_1201ELS6_5ELS7_0EEENS0_14default_configESA_NS1_37merge_sort_block_sort_config_selectorIN3c108BFloat16ElEENS1_38merge_sort_block_merge_config_selectorISD_lEEEEvv,comdat
	.protected	_ZN7rocprim17ROCPRIM_400000_NS6detail44device_merge_sort_compile_time_verifier_archINS1_11comp_targetILNS1_3genE10ELNS1_11target_archE1200ELNS1_3gpuE4ELNS1_3repE0EEENS3_ILS4_10ELS5_1201ELS6_5ELS7_0EEENS0_14default_configESA_NS1_37merge_sort_block_sort_config_selectorIN3c108BFloat16ElEENS1_38merge_sort_block_merge_config_selectorISD_lEEEEvv ; -- Begin function _ZN7rocprim17ROCPRIM_400000_NS6detail44device_merge_sort_compile_time_verifier_archINS1_11comp_targetILNS1_3genE10ELNS1_11target_archE1200ELNS1_3gpuE4ELNS1_3repE0EEENS3_ILS4_10ELS5_1201ELS6_5ELS7_0EEENS0_14default_configESA_NS1_37merge_sort_block_sort_config_selectorIN3c108BFloat16ElEENS1_38merge_sort_block_merge_config_selectorISD_lEEEEvv
	.globl	_ZN7rocprim17ROCPRIM_400000_NS6detail44device_merge_sort_compile_time_verifier_archINS1_11comp_targetILNS1_3genE10ELNS1_11target_archE1200ELNS1_3gpuE4ELNS1_3repE0EEENS3_ILS4_10ELS5_1201ELS6_5ELS7_0EEENS0_14default_configESA_NS1_37merge_sort_block_sort_config_selectorIN3c108BFloat16ElEENS1_38merge_sort_block_merge_config_selectorISD_lEEEEvv
	.p2align	8
	.type	_ZN7rocprim17ROCPRIM_400000_NS6detail44device_merge_sort_compile_time_verifier_archINS1_11comp_targetILNS1_3genE10ELNS1_11target_archE1200ELNS1_3gpuE4ELNS1_3repE0EEENS3_ILS4_10ELS5_1201ELS6_5ELS7_0EEENS0_14default_configESA_NS1_37merge_sort_block_sort_config_selectorIN3c108BFloat16ElEENS1_38merge_sort_block_merge_config_selectorISD_lEEEEvv,@function
_ZN7rocprim17ROCPRIM_400000_NS6detail44device_merge_sort_compile_time_verifier_archINS1_11comp_targetILNS1_3genE10ELNS1_11target_archE1200ELNS1_3gpuE4ELNS1_3repE0EEENS3_ILS4_10ELS5_1201ELS6_5ELS7_0EEENS0_14default_configESA_NS1_37merge_sort_block_sort_config_selectorIN3c108BFloat16ElEENS1_38merge_sort_block_merge_config_selectorISD_lEEEEvv: ; @_ZN7rocprim17ROCPRIM_400000_NS6detail44device_merge_sort_compile_time_verifier_archINS1_11comp_targetILNS1_3genE10ELNS1_11target_archE1200ELNS1_3gpuE4ELNS1_3repE0EEENS3_ILS4_10ELS5_1201ELS6_5ELS7_0EEENS0_14default_configESA_NS1_37merge_sort_block_sort_config_selectorIN3c108BFloat16ElEENS1_38merge_sort_block_merge_config_selectorISD_lEEEEvv
; %bb.0:
	s_endpgm
	.section	.rodata,"a",@progbits
	.p2align	6, 0x0
	.amdhsa_kernel _ZN7rocprim17ROCPRIM_400000_NS6detail44device_merge_sort_compile_time_verifier_archINS1_11comp_targetILNS1_3genE10ELNS1_11target_archE1200ELNS1_3gpuE4ELNS1_3repE0EEENS3_ILS4_10ELS5_1201ELS6_5ELS7_0EEENS0_14default_configESA_NS1_37merge_sort_block_sort_config_selectorIN3c108BFloat16ElEENS1_38merge_sort_block_merge_config_selectorISD_lEEEEvv
		.amdhsa_group_segment_fixed_size 0
		.amdhsa_private_segment_fixed_size 0
		.amdhsa_kernarg_size 0
		.amdhsa_user_sgpr_count 4
		.amdhsa_user_sgpr_private_segment_buffer 1
		.amdhsa_user_sgpr_dispatch_ptr 0
		.amdhsa_user_sgpr_queue_ptr 0
		.amdhsa_user_sgpr_kernarg_segment_ptr 0
		.amdhsa_user_sgpr_dispatch_id 0
		.amdhsa_user_sgpr_flat_scratch_init 0
		.amdhsa_user_sgpr_kernarg_preload_length 0
		.amdhsa_user_sgpr_kernarg_preload_offset 0
		.amdhsa_user_sgpr_private_segment_size 0
		.amdhsa_uses_dynamic_stack 0
		.amdhsa_system_sgpr_private_segment_wavefront_offset 0
		.amdhsa_system_sgpr_workgroup_id_x 1
		.amdhsa_system_sgpr_workgroup_id_y 0
		.amdhsa_system_sgpr_workgroup_id_z 0
		.amdhsa_system_sgpr_workgroup_info 0
		.amdhsa_system_vgpr_workitem_id 0
		.amdhsa_next_free_vgpr 1
		.amdhsa_next_free_sgpr 0
		.amdhsa_accum_offset 4
		.amdhsa_reserve_vcc 0
		.amdhsa_reserve_flat_scratch 0
		.amdhsa_float_round_mode_32 0
		.amdhsa_float_round_mode_16_64 0
		.amdhsa_float_denorm_mode_32 3
		.amdhsa_float_denorm_mode_16_64 3
		.amdhsa_dx10_clamp 1
		.amdhsa_ieee_mode 1
		.amdhsa_fp16_overflow 0
		.amdhsa_tg_split 0
		.amdhsa_exception_fp_ieee_invalid_op 0
		.amdhsa_exception_fp_denorm_src 0
		.amdhsa_exception_fp_ieee_div_zero 0
		.amdhsa_exception_fp_ieee_overflow 0
		.amdhsa_exception_fp_ieee_underflow 0
		.amdhsa_exception_fp_ieee_inexact 0
		.amdhsa_exception_int_div_zero 0
	.end_amdhsa_kernel
	.section	.text._ZN7rocprim17ROCPRIM_400000_NS6detail44device_merge_sort_compile_time_verifier_archINS1_11comp_targetILNS1_3genE10ELNS1_11target_archE1200ELNS1_3gpuE4ELNS1_3repE0EEENS3_ILS4_10ELS5_1201ELS6_5ELS7_0EEENS0_14default_configESA_NS1_37merge_sort_block_sort_config_selectorIN3c108BFloat16ElEENS1_38merge_sort_block_merge_config_selectorISD_lEEEEvv,"axG",@progbits,_ZN7rocprim17ROCPRIM_400000_NS6detail44device_merge_sort_compile_time_verifier_archINS1_11comp_targetILNS1_3genE10ELNS1_11target_archE1200ELNS1_3gpuE4ELNS1_3repE0EEENS3_ILS4_10ELS5_1201ELS6_5ELS7_0EEENS0_14default_configESA_NS1_37merge_sort_block_sort_config_selectorIN3c108BFloat16ElEENS1_38merge_sort_block_merge_config_selectorISD_lEEEEvv,comdat
.Lfunc_end1966:
	.size	_ZN7rocprim17ROCPRIM_400000_NS6detail44device_merge_sort_compile_time_verifier_archINS1_11comp_targetILNS1_3genE10ELNS1_11target_archE1200ELNS1_3gpuE4ELNS1_3repE0EEENS3_ILS4_10ELS5_1201ELS6_5ELS7_0EEENS0_14default_configESA_NS1_37merge_sort_block_sort_config_selectorIN3c108BFloat16ElEENS1_38merge_sort_block_merge_config_selectorISD_lEEEEvv, .Lfunc_end1966-_ZN7rocprim17ROCPRIM_400000_NS6detail44device_merge_sort_compile_time_verifier_archINS1_11comp_targetILNS1_3genE10ELNS1_11target_archE1200ELNS1_3gpuE4ELNS1_3repE0EEENS3_ILS4_10ELS5_1201ELS6_5ELS7_0EEENS0_14default_configESA_NS1_37merge_sort_block_sort_config_selectorIN3c108BFloat16ElEENS1_38merge_sort_block_merge_config_selectorISD_lEEEEvv
                                        ; -- End function
	.section	.AMDGPU.csdata,"",@progbits
; Kernel info:
; codeLenInByte = 4
; NumSgprs: 4
; NumVgprs: 0
; NumAgprs: 0
; TotalNumVgprs: 0
; ScratchSize: 0
; MemoryBound: 0
; FloatMode: 240
; IeeeMode: 1
; LDSByteSize: 0 bytes/workgroup (compile time only)
; SGPRBlocks: 0
; VGPRBlocks: 0
; NumSGPRsForWavesPerEU: 4
; NumVGPRsForWavesPerEU: 1
; AccumOffset: 4
; Occupancy: 8
; WaveLimiterHint : 0
; COMPUTE_PGM_RSRC2:SCRATCH_EN: 0
; COMPUTE_PGM_RSRC2:USER_SGPR: 4
; COMPUTE_PGM_RSRC2:TRAP_HANDLER: 0
; COMPUTE_PGM_RSRC2:TGID_X_EN: 1
; COMPUTE_PGM_RSRC2:TGID_Y_EN: 0
; COMPUTE_PGM_RSRC2:TGID_Z_EN: 0
; COMPUTE_PGM_RSRC2:TIDIG_COMP_CNT: 0
; COMPUTE_PGM_RSRC3_GFX90A:ACCUM_OFFSET: 0
; COMPUTE_PGM_RSRC3_GFX90A:TG_SPLIT: 0
	.section	.text._ZN7rocprim17ROCPRIM_400000_NS6detail44device_merge_sort_compile_time_verifier_archINS1_11comp_targetILNS1_3genE9ELNS1_11target_archE1100ELNS1_3gpuE3ELNS1_3repE0EEES8_NS0_14default_configES9_NS1_37merge_sort_block_sort_config_selectorIN3c108BFloat16ElEENS1_38merge_sort_block_merge_config_selectorISC_lEEEEvv,"axG",@progbits,_ZN7rocprim17ROCPRIM_400000_NS6detail44device_merge_sort_compile_time_verifier_archINS1_11comp_targetILNS1_3genE9ELNS1_11target_archE1100ELNS1_3gpuE3ELNS1_3repE0EEES8_NS0_14default_configES9_NS1_37merge_sort_block_sort_config_selectorIN3c108BFloat16ElEENS1_38merge_sort_block_merge_config_selectorISC_lEEEEvv,comdat
	.protected	_ZN7rocprim17ROCPRIM_400000_NS6detail44device_merge_sort_compile_time_verifier_archINS1_11comp_targetILNS1_3genE9ELNS1_11target_archE1100ELNS1_3gpuE3ELNS1_3repE0EEES8_NS0_14default_configES9_NS1_37merge_sort_block_sort_config_selectorIN3c108BFloat16ElEENS1_38merge_sort_block_merge_config_selectorISC_lEEEEvv ; -- Begin function _ZN7rocprim17ROCPRIM_400000_NS6detail44device_merge_sort_compile_time_verifier_archINS1_11comp_targetILNS1_3genE9ELNS1_11target_archE1100ELNS1_3gpuE3ELNS1_3repE0EEES8_NS0_14default_configES9_NS1_37merge_sort_block_sort_config_selectorIN3c108BFloat16ElEENS1_38merge_sort_block_merge_config_selectorISC_lEEEEvv
	.globl	_ZN7rocprim17ROCPRIM_400000_NS6detail44device_merge_sort_compile_time_verifier_archINS1_11comp_targetILNS1_3genE9ELNS1_11target_archE1100ELNS1_3gpuE3ELNS1_3repE0EEES8_NS0_14default_configES9_NS1_37merge_sort_block_sort_config_selectorIN3c108BFloat16ElEENS1_38merge_sort_block_merge_config_selectorISC_lEEEEvv
	.p2align	8
	.type	_ZN7rocprim17ROCPRIM_400000_NS6detail44device_merge_sort_compile_time_verifier_archINS1_11comp_targetILNS1_3genE9ELNS1_11target_archE1100ELNS1_3gpuE3ELNS1_3repE0EEES8_NS0_14default_configES9_NS1_37merge_sort_block_sort_config_selectorIN3c108BFloat16ElEENS1_38merge_sort_block_merge_config_selectorISC_lEEEEvv,@function
_ZN7rocprim17ROCPRIM_400000_NS6detail44device_merge_sort_compile_time_verifier_archINS1_11comp_targetILNS1_3genE9ELNS1_11target_archE1100ELNS1_3gpuE3ELNS1_3repE0EEES8_NS0_14default_configES9_NS1_37merge_sort_block_sort_config_selectorIN3c108BFloat16ElEENS1_38merge_sort_block_merge_config_selectorISC_lEEEEvv: ; @_ZN7rocprim17ROCPRIM_400000_NS6detail44device_merge_sort_compile_time_verifier_archINS1_11comp_targetILNS1_3genE9ELNS1_11target_archE1100ELNS1_3gpuE3ELNS1_3repE0EEES8_NS0_14default_configES9_NS1_37merge_sort_block_sort_config_selectorIN3c108BFloat16ElEENS1_38merge_sort_block_merge_config_selectorISC_lEEEEvv
; %bb.0:
	s_endpgm
	.section	.rodata,"a",@progbits
	.p2align	6, 0x0
	.amdhsa_kernel _ZN7rocprim17ROCPRIM_400000_NS6detail44device_merge_sort_compile_time_verifier_archINS1_11comp_targetILNS1_3genE9ELNS1_11target_archE1100ELNS1_3gpuE3ELNS1_3repE0EEES8_NS0_14default_configES9_NS1_37merge_sort_block_sort_config_selectorIN3c108BFloat16ElEENS1_38merge_sort_block_merge_config_selectorISC_lEEEEvv
		.amdhsa_group_segment_fixed_size 0
		.amdhsa_private_segment_fixed_size 0
		.amdhsa_kernarg_size 0
		.amdhsa_user_sgpr_count 4
		.amdhsa_user_sgpr_private_segment_buffer 1
		.amdhsa_user_sgpr_dispatch_ptr 0
		.amdhsa_user_sgpr_queue_ptr 0
		.amdhsa_user_sgpr_kernarg_segment_ptr 0
		.amdhsa_user_sgpr_dispatch_id 0
		.amdhsa_user_sgpr_flat_scratch_init 0
		.amdhsa_user_sgpr_kernarg_preload_length 0
		.amdhsa_user_sgpr_kernarg_preload_offset 0
		.amdhsa_user_sgpr_private_segment_size 0
		.amdhsa_uses_dynamic_stack 0
		.amdhsa_system_sgpr_private_segment_wavefront_offset 0
		.amdhsa_system_sgpr_workgroup_id_x 1
		.amdhsa_system_sgpr_workgroup_id_y 0
		.amdhsa_system_sgpr_workgroup_id_z 0
		.amdhsa_system_sgpr_workgroup_info 0
		.amdhsa_system_vgpr_workitem_id 0
		.amdhsa_next_free_vgpr 1
		.amdhsa_next_free_sgpr 0
		.amdhsa_accum_offset 4
		.amdhsa_reserve_vcc 0
		.amdhsa_reserve_flat_scratch 0
		.amdhsa_float_round_mode_32 0
		.amdhsa_float_round_mode_16_64 0
		.amdhsa_float_denorm_mode_32 3
		.amdhsa_float_denorm_mode_16_64 3
		.amdhsa_dx10_clamp 1
		.amdhsa_ieee_mode 1
		.amdhsa_fp16_overflow 0
		.amdhsa_tg_split 0
		.amdhsa_exception_fp_ieee_invalid_op 0
		.amdhsa_exception_fp_denorm_src 0
		.amdhsa_exception_fp_ieee_div_zero 0
		.amdhsa_exception_fp_ieee_overflow 0
		.amdhsa_exception_fp_ieee_underflow 0
		.amdhsa_exception_fp_ieee_inexact 0
		.amdhsa_exception_int_div_zero 0
	.end_amdhsa_kernel
	.section	.text._ZN7rocprim17ROCPRIM_400000_NS6detail44device_merge_sort_compile_time_verifier_archINS1_11comp_targetILNS1_3genE9ELNS1_11target_archE1100ELNS1_3gpuE3ELNS1_3repE0EEES8_NS0_14default_configES9_NS1_37merge_sort_block_sort_config_selectorIN3c108BFloat16ElEENS1_38merge_sort_block_merge_config_selectorISC_lEEEEvv,"axG",@progbits,_ZN7rocprim17ROCPRIM_400000_NS6detail44device_merge_sort_compile_time_verifier_archINS1_11comp_targetILNS1_3genE9ELNS1_11target_archE1100ELNS1_3gpuE3ELNS1_3repE0EEES8_NS0_14default_configES9_NS1_37merge_sort_block_sort_config_selectorIN3c108BFloat16ElEENS1_38merge_sort_block_merge_config_selectorISC_lEEEEvv,comdat
.Lfunc_end1967:
	.size	_ZN7rocprim17ROCPRIM_400000_NS6detail44device_merge_sort_compile_time_verifier_archINS1_11comp_targetILNS1_3genE9ELNS1_11target_archE1100ELNS1_3gpuE3ELNS1_3repE0EEES8_NS0_14default_configES9_NS1_37merge_sort_block_sort_config_selectorIN3c108BFloat16ElEENS1_38merge_sort_block_merge_config_selectorISC_lEEEEvv, .Lfunc_end1967-_ZN7rocprim17ROCPRIM_400000_NS6detail44device_merge_sort_compile_time_verifier_archINS1_11comp_targetILNS1_3genE9ELNS1_11target_archE1100ELNS1_3gpuE3ELNS1_3repE0EEES8_NS0_14default_configES9_NS1_37merge_sort_block_sort_config_selectorIN3c108BFloat16ElEENS1_38merge_sort_block_merge_config_selectorISC_lEEEEvv
                                        ; -- End function
	.section	.AMDGPU.csdata,"",@progbits
; Kernel info:
; codeLenInByte = 4
; NumSgprs: 4
; NumVgprs: 0
; NumAgprs: 0
; TotalNumVgprs: 0
; ScratchSize: 0
; MemoryBound: 0
; FloatMode: 240
; IeeeMode: 1
; LDSByteSize: 0 bytes/workgroup (compile time only)
; SGPRBlocks: 0
; VGPRBlocks: 0
; NumSGPRsForWavesPerEU: 4
; NumVGPRsForWavesPerEU: 1
; AccumOffset: 4
; Occupancy: 8
; WaveLimiterHint : 0
; COMPUTE_PGM_RSRC2:SCRATCH_EN: 0
; COMPUTE_PGM_RSRC2:USER_SGPR: 4
; COMPUTE_PGM_RSRC2:TRAP_HANDLER: 0
; COMPUTE_PGM_RSRC2:TGID_X_EN: 1
; COMPUTE_PGM_RSRC2:TGID_Y_EN: 0
; COMPUTE_PGM_RSRC2:TGID_Z_EN: 0
; COMPUTE_PGM_RSRC2:TIDIG_COMP_CNT: 0
; COMPUTE_PGM_RSRC3_GFX90A:ACCUM_OFFSET: 0
; COMPUTE_PGM_RSRC3_GFX90A:TG_SPLIT: 0
	.section	.text._ZN7rocprim17ROCPRIM_400000_NS6detail44device_merge_sort_compile_time_verifier_archINS1_11comp_targetILNS1_3genE8ELNS1_11target_archE1030ELNS1_3gpuE2ELNS1_3repE0EEES8_NS0_14default_configES9_NS1_37merge_sort_block_sort_config_selectorIN3c108BFloat16ElEENS1_38merge_sort_block_merge_config_selectorISC_lEEEEvv,"axG",@progbits,_ZN7rocprim17ROCPRIM_400000_NS6detail44device_merge_sort_compile_time_verifier_archINS1_11comp_targetILNS1_3genE8ELNS1_11target_archE1030ELNS1_3gpuE2ELNS1_3repE0EEES8_NS0_14default_configES9_NS1_37merge_sort_block_sort_config_selectorIN3c108BFloat16ElEENS1_38merge_sort_block_merge_config_selectorISC_lEEEEvv,comdat
	.protected	_ZN7rocprim17ROCPRIM_400000_NS6detail44device_merge_sort_compile_time_verifier_archINS1_11comp_targetILNS1_3genE8ELNS1_11target_archE1030ELNS1_3gpuE2ELNS1_3repE0EEES8_NS0_14default_configES9_NS1_37merge_sort_block_sort_config_selectorIN3c108BFloat16ElEENS1_38merge_sort_block_merge_config_selectorISC_lEEEEvv ; -- Begin function _ZN7rocprim17ROCPRIM_400000_NS6detail44device_merge_sort_compile_time_verifier_archINS1_11comp_targetILNS1_3genE8ELNS1_11target_archE1030ELNS1_3gpuE2ELNS1_3repE0EEES8_NS0_14default_configES9_NS1_37merge_sort_block_sort_config_selectorIN3c108BFloat16ElEENS1_38merge_sort_block_merge_config_selectorISC_lEEEEvv
	.globl	_ZN7rocprim17ROCPRIM_400000_NS6detail44device_merge_sort_compile_time_verifier_archINS1_11comp_targetILNS1_3genE8ELNS1_11target_archE1030ELNS1_3gpuE2ELNS1_3repE0EEES8_NS0_14default_configES9_NS1_37merge_sort_block_sort_config_selectorIN3c108BFloat16ElEENS1_38merge_sort_block_merge_config_selectorISC_lEEEEvv
	.p2align	8
	.type	_ZN7rocprim17ROCPRIM_400000_NS6detail44device_merge_sort_compile_time_verifier_archINS1_11comp_targetILNS1_3genE8ELNS1_11target_archE1030ELNS1_3gpuE2ELNS1_3repE0EEES8_NS0_14default_configES9_NS1_37merge_sort_block_sort_config_selectorIN3c108BFloat16ElEENS1_38merge_sort_block_merge_config_selectorISC_lEEEEvv,@function
_ZN7rocprim17ROCPRIM_400000_NS6detail44device_merge_sort_compile_time_verifier_archINS1_11comp_targetILNS1_3genE8ELNS1_11target_archE1030ELNS1_3gpuE2ELNS1_3repE0EEES8_NS0_14default_configES9_NS1_37merge_sort_block_sort_config_selectorIN3c108BFloat16ElEENS1_38merge_sort_block_merge_config_selectorISC_lEEEEvv: ; @_ZN7rocprim17ROCPRIM_400000_NS6detail44device_merge_sort_compile_time_verifier_archINS1_11comp_targetILNS1_3genE8ELNS1_11target_archE1030ELNS1_3gpuE2ELNS1_3repE0EEES8_NS0_14default_configES9_NS1_37merge_sort_block_sort_config_selectorIN3c108BFloat16ElEENS1_38merge_sort_block_merge_config_selectorISC_lEEEEvv
; %bb.0:
	s_endpgm
	.section	.rodata,"a",@progbits
	.p2align	6, 0x0
	.amdhsa_kernel _ZN7rocprim17ROCPRIM_400000_NS6detail44device_merge_sort_compile_time_verifier_archINS1_11comp_targetILNS1_3genE8ELNS1_11target_archE1030ELNS1_3gpuE2ELNS1_3repE0EEES8_NS0_14default_configES9_NS1_37merge_sort_block_sort_config_selectorIN3c108BFloat16ElEENS1_38merge_sort_block_merge_config_selectorISC_lEEEEvv
		.amdhsa_group_segment_fixed_size 0
		.amdhsa_private_segment_fixed_size 0
		.amdhsa_kernarg_size 0
		.amdhsa_user_sgpr_count 4
		.amdhsa_user_sgpr_private_segment_buffer 1
		.amdhsa_user_sgpr_dispatch_ptr 0
		.amdhsa_user_sgpr_queue_ptr 0
		.amdhsa_user_sgpr_kernarg_segment_ptr 0
		.amdhsa_user_sgpr_dispatch_id 0
		.amdhsa_user_sgpr_flat_scratch_init 0
		.amdhsa_user_sgpr_kernarg_preload_length 0
		.amdhsa_user_sgpr_kernarg_preload_offset 0
		.amdhsa_user_sgpr_private_segment_size 0
		.amdhsa_uses_dynamic_stack 0
		.amdhsa_system_sgpr_private_segment_wavefront_offset 0
		.amdhsa_system_sgpr_workgroup_id_x 1
		.amdhsa_system_sgpr_workgroup_id_y 0
		.amdhsa_system_sgpr_workgroup_id_z 0
		.amdhsa_system_sgpr_workgroup_info 0
		.amdhsa_system_vgpr_workitem_id 0
		.amdhsa_next_free_vgpr 1
		.amdhsa_next_free_sgpr 0
		.amdhsa_accum_offset 4
		.amdhsa_reserve_vcc 0
		.amdhsa_reserve_flat_scratch 0
		.amdhsa_float_round_mode_32 0
		.amdhsa_float_round_mode_16_64 0
		.amdhsa_float_denorm_mode_32 3
		.amdhsa_float_denorm_mode_16_64 3
		.amdhsa_dx10_clamp 1
		.amdhsa_ieee_mode 1
		.amdhsa_fp16_overflow 0
		.amdhsa_tg_split 0
		.amdhsa_exception_fp_ieee_invalid_op 0
		.amdhsa_exception_fp_denorm_src 0
		.amdhsa_exception_fp_ieee_div_zero 0
		.amdhsa_exception_fp_ieee_overflow 0
		.amdhsa_exception_fp_ieee_underflow 0
		.amdhsa_exception_fp_ieee_inexact 0
		.amdhsa_exception_int_div_zero 0
	.end_amdhsa_kernel
	.section	.text._ZN7rocprim17ROCPRIM_400000_NS6detail44device_merge_sort_compile_time_verifier_archINS1_11comp_targetILNS1_3genE8ELNS1_11target_archE1030ELNS1_3gpuE2ELNS1_3repE0EEES8_NS0_14default_configES9_NS1_37merge_sort_block_sort_config_selectorIN3c108BFloat16ElEENS1_38merge_sort_block_merge_config_selectorISC_lEEEEvv,"axG",@progbits,_ZN7rocprim17ROCPRIM_400000_NS6detail44device_merge_sort_compile_time_verifier_archINS1_11comp_targetILNS1_3genE8ELNS1_11target_archE1030ELNS1_3gpuE2ELNS1_3repE0EEES8_NS0_14default_configES9_NS1_37merge_sort_block_sort_config_selectorIN3c108BFloat16ElEENS1_38merge_sort_block_merge_config_selectorISC_lEEEEvv,comdat
.Lfunc_end1968:
	.size	_ZN7rocprim17ROCPRIM_400000_NS6detail44device_merge_sort_compile_time_verifier_archINS1_11comp_targetILNS1_3genE8ELNS1_11target_archE1030ELNS1_3gpuE2ELNS1_3repE0EEES8_NS0_14default_configES9_NS1_37merge_sort_block_sort_config_selectorIN3c108BFloat16ElEENS1_38merge_sort_block_merge_config_selectorISC_lEEEEvv, .Lfunc_end1968-_ZN7rocprim17ROCPRIM_400000_NS6detail44device_merge_sort_compile_time_verifier_archINS1_11comp_targetILNS1_3genE8ELNS1_11target_archE1030ELNS1_3gpuE2ELNS1_3repE0EEES8_NS0_14default_configES9_NS1_37merge_sort_block_sort_config_selectorIN3c108BFloat16ElEENS1_38merge_sort_block_merge_config_selectorISC_lEEEEvv
                                        ; -- End function
	.section	.AMDGPU.csdata,"",@progbits
; Kernel info:
; codeLenInByte = 4
; NumSgprs: 4
; NumVgprs: 0
; NumAgprs: 0
; TotalNumVgprs: 0
; ScratchSize: 0
; MemoryBound: 0
; FloatMode: 240
; IeeeMode: 1
; LDSByteSize: 0 bytes/workgroup (compile time only)
; SGPRBlocks: 0
; VGPRBlocks: 0
; NumSGPRsForWavesPerEU: 4
; NumVGPRsForWavesPerEU: 1
; AccumOffset: 4
; Occupancy: 8
; WaveLimiterHint : 0
; COMPUTE_PGM_RSRC2:SCRATCH_EN: 0
; COMPUTE_PGM_RSRC2:USER_SGPR: 4
; COMPUTE_PGM_RSRC2:TRAP_HANDLER: 0
; COMPUTE_PGM_RSRC2:TGID_X_EN: 1
; COMPUTE_PGM_RSRC2:TGID_Y_EN: 0
; COMPUTE_PGM_RSRC2:TGID_Z_EN: 0
; COMPUTE_PGM_RSRC2:TIDIG_COMP_CNT: 0
; COMPUTE_PGM_RSRC3_GFX90A:ACCUM_OFFSET: 0
; COMPUTE_PGM_RSRC3_GFX90A:TG_SPLIT: 0
	.section	.text._ZN7rocprim17ROCPRIM_400000_NS6detail17trampoline_kernelINS0_14default_configENS1_37merge_sort_block_sort_config_selectorIN3c108BFloat16ElEEZNS1_21merge_sort_block_sortIS3_PS6_S9_N6thrust23THRUST_200600_302600_NS10device_ptrIlEESD_NSB_4lessIS6_EEEE10hipError_tT0_T1_T2_T3_mRjT4_P12ihipStream_tbNS1_7vsmem_tEEUlT_E_NS1_11comp_targetILNS1_3genE0ELNS1_11target_archE4294967295ELNS1_3gpuE0ELNS1_3repE0EEENS1_30default_config_static_selectorELNS0_4arch9wavefront6targetE1EEEvSI_,"axG",@progbits,_ZN7rocprim17ROCPRIM_400000_NS6detail17trampoline_kernelINS0_14default_configENS1_37merge_sort_block_sort_config_selectorIN3c108BFloat16ElEEZNS1_21merge_sort_block_sortIS3_PS6_S9_N6thrust23THRUST_200600_302600_NS10device_ptrIlEESD_NSB_4lessIS6_EEEE10hipError_tT0_T1_T2_T3_mRjT4_P12ihipStream_tbNS1_7vsmem_tEEUlT_E_NS1_11comp_targetILNS1_3genE0ELNS1_11target_archE4294967295ELNS1_3gpuE0ELNS1_3repE0EEENS1_30default_config_static_selectorELNS0_4arch9wavefront6targetE1EEEvSI_,comdat
	.protected	_ZN7rocprim17ROCPRIM_400000_NS6detail17trampoline_kernelINS0_14default_configENS1_37merge_sort_block_sort_config_selectorIN3c108BFloat16ElEEZNS1_21merge_sort_block_sortIS3_PS6_S9_N6thrust23THRUST_200600_302600_NS10device_ptrIlEESD_NSB_4lessIS6_EEEE10hipError_tT0_T1_T2_T3_mRjT4_P12ihipStream_tbNS1_7vsmem_tEEUlT_E_NS1_11comp_targetILNS1_3genE0ELNS1_11target_archE4294967295ELNS1_3gpuE0ELNS1_3repE0EEENS1_30default_config_static_selectorELNS0_4arch9wavefront6targetE1EEEvSI_ ; -- Begin function _ZN7rocprim17ROCPRIM_400000_NS6detail17trampoline_kernelINS0_14default_configENS1_37merge_sort_block_sort_config_selectorIN3c108BFloat16ElEEZNS1_21merge_sort_block_sortIS3_PS6_S9_N6thrust23THRUST_200600_302600_NS10device_ptrIlEESD_NSB_4lessIS6_EEEE10hipError_tT0_T1_T2_T3_mRjT4_P12ihipStream_tbNS1_7vsmem_tEEUlT_E_NS1_11comp_targetILNS1_3genE0ELNS1_11target_archE4294967295ELNS1_3gpuE0ELNS1_3repE0EEENS1_30default_config_static_selectorELNS0_4arch9wavefront6targetE1EEEvSI_
	.globl	_ZN7rocprim17ROCPRIM_400000_NS6detail17trampoline_kernelINS0_14default_configENS1_37merge_sort_block_sort_config_selectorIN3c108BFloat16ElEEZNS1_21merge_sort_block_sortIS3_PS6_S9_N6thrust23THRUST_200600_302600_NS10device_ptrIlEESD_NSB_4lessIS6_EEEE10hipError_tT0_T1_T2_T3_mRjT4_P12ihipStream_tbNS1_7vsmem_tEEUlT_E_NS1_11comp_targetILNS1_3genE0ELNS1_11target_archE4294967295ELNS1_3gpuE0ELNS1_3repE0EEENS1_30default_config_static_selectorELNS0_4arch9wavefront6targetE1EEEvSI_
	.p2align	8
	.type	_ZN7rocprim17ROCPRIM_400000_NS6detail17trampoline_kernelINS0_14default_configENS1_37merge_sort_block_sort_config_selectorIN3c108BFloat16ElEEZNS1_21merge_sort_block_sortIS3_PS6_S9_N6thrust23THRUST_200600_302600_NS10device_ptrIlEESD_NSB_4lessIS6_EEEE10hipError_tT0_T1_T2_T3_mRjT4_P12ihipStream_tbNS1_7vsmem_tEEUlT_E_NS1_11comp_targetILNS1_3genE0ELNS1_11target_archE4294967295ELNS1_3gpuE0ELNS1_3repE0EEENS1_30default_config_static_selectorELNS0_4arch9wavefront6targetE1EEEvSI_,@function
_ZN7rocprim17ROCPRIM_400000_NS6detail17trampoline_kernelINS0_14default_configENS1_37merge_sort_block_sort_config_selectorIN3c108BFloat16ElEEZNS1_21merge_sort_block_sortIS3_PS6_S9_N6thrust23THRUST_200600_302600_NS10device_ptrIlEESD_NSB_4lessIS6_EEEE10hipError_tT0_T1_T2_T3_mRjT4_P12ihipStream_tbNS1_7vsmem_tEEUlT_E_NS1_11comp_targetILNS1_3genE0ELNS1_11target_archE4294967295ELNS1_3gpuE0ELNS1_3repE0EEENS1_30default_config_static_selectorELNS0_4arch9wavefront6targetE1EEEvSI_: ; @_ZN7rocprim17ROCPRIM_400000_NS6detail17trampoline_kernelINS0_14default_configENS1_37merge_sort_block_sort_config_selectorIN3c108BFloat16ElEEZNS1_21merge_sort_block_sortIS3_PS6_S9_N6thrust23THRUST_200600_302600_NS10device_ptrIlEESD_NSB_4lessIS6_EEEE10hipError_tT0_T1_T2_T3_mRjT4_P12ihipStream_tbNS1_7vsmem_tEEUlT_E_NS1_11comp_targetILNS1_3genE0ELNS1_11target_archE4294967295ELNS1_3gpuE0ELNS1_3repE0EEENS1_30default_config_static_selectorELNS0_4arch9wavefront6targetE1EEEvSI_
; %bb.0:
	.section	.rodata,"a",@progbits
	.p2align	6, 0x0
	.amdhsa_kernel _ZN7rocprim17ROCPRIM_400000_NS6detail17trampoline_kernelINS0_14default_configENS1_37merge_sort_block_sort_config_selectorIN3c108BFloat16ElEEZNS1_21merge_sort_block_sortIS3_PS6_S9_N6thrust23THRUST_200600_302600_NS10device_ptrIlEESD_NSB_4lessIS6_EEEE10hipError_tT0_T1_T2_T3_mRjT4_P12ihipStream_tbNS1_7vsmem_tEEUlT_E_NS1_11comp_targetILNS1_3genE0ELNS1_11target_archE4294967295ELNS1_3gpuE0ELNS1_3repE0EEENS1_30default_config_static_selectorELNS0_4arch9wavefront6targetE1EEEvSI_
		.amdhsa_group_segment_fixed_size 0
		.amdhsa_private_segment_fixed_size 0
		.amdhsa_kernarg_size 64
		.amdhsa_user_sgpr_count 6
		.amdhsa_user_sgpr_private_segment_buffer 1
		.amdhsa_user_sgpr_dispatch_ptr 0
		.amdhsa_user_sgpr_queue_ptr 0
		.amdhsa_user_sgpr_kernarg_segment_ptr 1
		.amdhsa_user_sgpr_dispatch_id 0
		.amdhsa_user_sgpr_flat_scratch_init 0
		.amdhsa_user_sgpr_kernarg_preload_length 0
		.amdhsa_user_sgpr_kernarg_preload_offset 0
		.amdhsa_user_sgpr_private_segment_size 0
		.amdhsa_uses_dynamic_stack 0
		.amdhsa_system_sgpr_private_segment_wavefront_offset 0
		.amdhsa_system_sgpr_workgroup_id_x 1
		.amdhsa_system_sgpr_workgroup_id_y 0
		.amdhsa_system_sgpr_workgroup_id_z 0
		.amdhsa_system_sgpr_workgroup_info 0
		.amdhsa_system_vgpr_workitem_id 0
		.amdhsa_next_free_vgpr 1
		.amdhsa_next_free_sgpr 0
		.amdhsa_accum_offset 4
		.amdhsa_reserve_vcc 0
		.amdhsa_reserve_flat_scratch 0
		.amdhsa_float_round_mode_32 0
		.amdhsa_float_round_mode_16_64 0
		.amdhsa_float_denorm_mode_32 3
		.amdhsa_float_denorm_mode_16_64 3
		.amdhsa_dx10_clamp 1
		.amdhsa_ieee_mode 1
		.amdhsa_fp16_overflow 0
		.amdhsa_tg_split 0
		.amdhsa_exception_fp_ieee_invalid_op 0
		.amdhsa_exception_fp_denorm_src 0
		.amdhsa_exception_fp_ieee_div_zero 0
		.amdhsa_exception_fp_ieee_overflow 0
		.amdhsa_exception_fp_ieee_underflow 0
		.amdhsa_exception_fp_ieee_inexact 0
		.amdhsa_exception_int_div_zero 0
	.end_amdhsa_kernel
	.section	.text._ZN7rocprim17ROCPRIM_400000_NS6detail17trampoline_kernelINS0_14default_configENS1_37merge_sort_block_sort_config_selectorIN3c108BFloat16ElEEZNS1_21merge_sort_block_sortIS3_PS6_S9_N6thrust23THRUST_200600_302600_NS10device_ptrIlEESD_NSB_4lessIS6_EEEE10hipError_tT0_T1_T2_T3_mRjT4_P12ihipStream_tbNS1_7vsmem_tEEUlT_E_NS1_11comp_targetILNS1_3genE0ELNS1_11target_archE4294967295ELNS1_3gpuE0ELNS1_3repE0EEENS1_30default_config_static_selectorELNS0_4arch9wavefront6targetE1EEEvSI_,"axG",@progbits,_ZN7rocprim17ROCPRIM_400000_NS6detail17trampoline_kernelINS0_14default_configENS1_37merge_sort_block_sort_config_selectorIN3c108BFloat16ElEEZNS1_21merge_sort_block_sortIS3_PS6_S9_N6thrust23THRUST_200600_302600_NS10device_ptrIlEESD_NSB_4lessIS6_EEEE10hipError_tT0_T1_T2_T3_mRjT4_P12ihipStream_tbNS1_7vsmem_tEEUlT_E_NS1_11comp_targetILNS1_3genE0ELNS1_11target_archE4294967295ELNS1_3gpuE0ELNS1_3repE0EEENS1_30default_config_static_selectorELNS0_4arch9wavefront6targetE1EEEvSI_,comdat
.Lfunc_end1969:
	.size	_ZN7rocprim17ROCPRIM_400000_NS6detail17trampoline_kernelINS0_14default_configENS1_37merge_sort_block_sort_config_selectorIN3c108BFloat16ElEEZNS1_21merge_sort_block_sortIS3_PS6_S9_N6thrust23THRUST_200600_302600_NS10device_ptrIlEESD_NSB_4lessIS6_EEEE10hipError_tT0_T1_T2_T3_mRjT4_P12ihipStream_tbNS1_7vsmem_tEEUlT_E_NS1_11comp_targetILNS1_3genE0ELNS1_11target_archE4294967295ELNS1_3gpuE0ELNS1_3repE0EEENS1_30default_config_static_selectorELNS0_4arch9wavefront6targetE1EEEvSI_, .Lfunc_end1969-_ZN7rocprim17ROCPRIM_400000_NS6detail17trampoline_kernelINS0_14default_configENS1_37merge_sort_block_sort_config_selectorIN3c108BFloat16ElEEZNS1_21merge_sort_block_sortIS3_PS6_S9_N6thrust23THRUST_200600_302600_NS10device_ptrIlEESD_NSB_4lessIS6_EEEE10hipError_tT0_T1_T2_T3_mRjT4_P12ihipStream_tbNS1_7vsmem_tEEUlT_E_NS1_11comp_targetILNS1_3genE0ELNS1_11target_archE4294967295ELNS1_3gpuE0ELNS1_3repE0EEENS1_30default_config_static_selectorELNS0_4arch9wavefront6targetE1EEEvSI_
                                        ; -- End function
	.section	.AMDGPU.csdata,"",@progbits
; Kernel info:
; codeLenInByte = 0
; NumSgprs: 4
; NumVgprs: 0
; NumAgprs: 0
; TotalNumVgprs: 0
; ScratchSize: 0
; MemoryBound: 0
; FloatMode: 240
; IeeeMode: 1
; LDSByteSize: 0 bytes/workgroup (compile time only)
; SGPRBlocks: 0
; VGPRBlocks: 0
; NumSGPRsForWavesPerEU: 4
; NumVGPRsForWavesPerEU: 1
; AccumOffset: 4
; Occupancy: 8
; WaveLimiterHint : 0
; COMPUTE_PGM_RSRC2:SCRATCH_EN: 0
; COMPUTE_PGM_RSRC2:USER_SGPR: 6
; COMPUTE_PGM_RSRC2:TRAP_HANDLER: 0
; COMPUTE_PGM_RSRC2:TGID_X_EN: 1
; COMPUTE_PGM_RSRC2:TGID_Y_EN: 0
; COMPUTE_PGM_RSRC2:TGID_Z_EN: 0
; COMPUTE_PGM_RSRC2:TIDIG_COMP_CNT: 0
; COMPUTE_PGM_RSRC3_GFX90A:ACCUM_OFFSET: 0
; COMPUTE_PGM_RSRC3_GFX90A:TG_SPLIT: 0
	.section	.text._ZN7rocprim17ROCPRIM_400000_NS6detail17trampoline_kernelINS0_14default_configENS1_37merge_sort_block_sort_config_selectorIN3c108BFloat16ElEEZNS1_21merge_sort_block_sortIS3_PS6_S9_N6thrust23THRUST_200600_302600_NS10device_ptrIlEESD_NSB_4lessIS6_EEEE10hipError_tT0_T1_T2_T3_mRjT4_P12ihipStream_tbNS1_7vsmem_tEEUlT_E_NS1_11comp_targetILNS1_3genE5ELNS1_11target_archE942ELNS1_3gpuE9ELNS1_3repE0EEENS1_30default_config_static_selectorELNS0_4arch9wavefront6targetE1EEEvSI_,"axG",@progbits,_ZN7rocprim17ROCPRIM_400000_NS6detail17trampoline_kernelINS0_14default_configENS1_37merge_sort_block_sort_config_selectorIN3c108BFloat16ElEEZNS1_21merge_sort_block_sortIS3_PS6_S9_N6thrust23THRUST_200600_302600_NS10device_ptrIlEESD_NSB_4lessIS6_EEEE10hipError_tT0_T1_T2_T3_mRjT4_P12ihipStream_tbNS1_7vsmem_tEEUlT_E_NS1_11comp_targetILNS1_3genE5ELNS1_11target_archE942ELNS1_3gpuE9ELNS1_3repE0EEENS1_30default_config_static_selectorELNS0_4arch9wavefront6targetE1EEEvSI_,comdat
	.protected	_ZN7rocprim17ROCPRIM_400000_NS6detail17trampoline_kernelINS0_14default_configENS1_37merge_sort_block_sort_config_selectorIN3c108BFloat16ElEEZNS1_21merge_sort_block_sortIS3_PS6_S9_N6thrust23THRUST_200600_302600_NS10device_ptrIlEESD_NSB_4lessIS6_EEEE10hipError_tT0_T1_T2_T3_mRjT4_P12ihipStream_tbNS1_7vsmem_tEEUlT_E_NS1_11comp_targetILNS1_3genE5ELNS1_11target_archE942ELNS1_3gpuE9ELNS1_3repE0EEENS1_30default_config_static_selectorELNS0_4arch9wavefront6targetE1EEEvSI_ ; -- Begin function _ZN7rocprim17ROCPRIM_400000_NS6detail17trampoline_kernelINS0_14default_configENS1_37merge_sort_block_sort_config_selectorIN3c108BFloat16ElEEZNS1_21merge_sort_block_sortIS3_PS6_S9_N6thrust23THRUST_200600_302600_NS10device_ptrIlEESD_NSB_4lessIS6_EEEE10hipError_tT0_T1_T2_T3_mRjT4_P12ihipStream_tbNS1_7vsmem_tEEUlT_E_NS1_11comp_targetILNS1_3genE5ELNS1_11target_archE942ELNS1_3gpuE9ELNS1_3repE0EEENS1_30default_config_static_selectorELNS0_4arch9wavefront6targetE1EEEvSI_
	.globl	_ZN7rocprim17ROCPRIM_400000_NS6detail17trampoline_kernelINS0_14default_configENS1_37merge_sort_block_sort_config_selectorIN3c108BFloat16ElEEZNS1_21merge_sort_block_sortIS3_PS6_S9_N6thrust23THRUST_200600_302600_NS10device_ptrIlEESD_NSB_4lessIS6_EEEE10hipError_tT0_T1_T2_T3_mRjT4_P12ihipStream_tbNS1_7vsmem_tEEUlT_E_NS1_11comp_targetILNS1_3genE5ELNS1_11target_archE942ELNS1_3gpuE9ELNS1_3repE0EEENS1_30default_config_static_selectorELNS0_4arch9wavefront6targetE1EEEvSI_
	.p2align	8
	.type	_ZN7rocprim17ROCPRIM_400000_NS6detail17trampoline_kernelINS0_14default_configENS1_37merge_sort_block_sort_config_selectorIN3c108BFloat16ElEEZNS1_21merge_sort_block_sortIS3_PS6_S9_N6thrust23THRUST_200600_302600_NS10device_ptrIlEESD_NSB_4lessIS6_EEEE10hipError_tT0_T1_T2_T3_mRjT4_P12ihipStream_tbNS1_7vsmem_tEEUlT_E_NS1_11comp_targetILNS1_3genE5ELNS1_11target_archE942ELNS1_3gpuE9ELNS1_3repE0EEENS1_30default_config_static_selectorELNS0_4arch9wavefront6targetE1EEEvSI_,@function
_ZN7rocprim17ROCPRIM_400000_NS6detail17trampoline_kernelINS0_14default_configENS1_37merge_sort_block_sort_config_selectorIN3c108BFloat16ElEEZNS1_21merge_sort_block_sortIS3_PS6_S9_N6thrust23THRUST_200600_302600_NS10device_ptrIlEESD_NSB_4lessIS6_EEEE10hipError_tT0_T1_T2_T3_mRjT4_P12ihipStream_tbNS1_7vsmem_tEEUlT_E_NS1_11comp_targetILNS1_3genE5ELNS1_11target_archE942ELNS1_3gpuE9ELNS1_3repE0EEENS1_30default_config_static_selectorELNS0_4arch9wavefront6targetE1EEEvSI_: ; @_ZN7rocprim17ROCPRIM_400000_NS6detail17trampoline_kernelINS0_14default_configENS1_37merge_sort_block_sort_config_selectorIN3c108BFloat16ElEEZNS1_21merge_sort_block_sortIS3_PS6_S9_N6thrust23THRUST_200600_302600_NS10device_ptrIlEESD_NSB_4lessIS6_EEEE10hipError_tT0_T1_T2_T3_mRjT4_P12ihipStream_tbNS1_7vsmem_tEEUlT_E_NS1_11comp_targetILNS1_3genE5ELNS1_11target_archE942ELNS1_3gpuE9ELNS1_3repE0EEENS1_30default_config_static_selectorELNS0_4arch9wavefront6targetE1EEEvSI_
; %bb.0:
	.section	.rodata,"a",@progbits
	.p2align	6, 0x0
	.amdhsa_kernel _ZN7rocprim17ROCPRIM_400000_NS6detail17trampoline_kernelINS0_14default_configENS1_37merge_sort_block_sort_config_selectorIN3c108BFloat16ElEEZNS1_21merge_sort_block_sortIS3_PS6_S9_N6thrust23THRUST_200600_302600_NS10device_ptrIlEESD_NSB_4lessIS6_EEEE10hipError_tT0_T1_T2_T3_mRjT4_P12ihipStream_tbNS1_7vsmem_tEEUlT_E_NS1_11comp_targetILNS1_3genE5ELNS1_11target_archE942ELNS1_3gpuE9ELNS1_3repE0EEENS1_30default_config_static_selectorELNS0_4arch9wavefront6targetE1EEEvSI_
		.amdhsa_group_segment_fixed_size 0
		.amdhsa_private_segment_fixed_size 0
		.amdhsa_kernarg_size 64
		.amdhsa_user_sgpr_count 6
		.amdhsa_user_sgpr_private_segment_buffer 1
		.amdhsa_user_sgpr_dispatch_ptr 0
		.amdhsa_user_sgpr_queue_ptr 0
		.amdhsa_user_sgpr_kernarg_segment_ptr 1
		.amdhsa_user_sgpr_dispatch_id 0
		.amdhsa_user_sgpr_flat_scratch_init 0
		.amdhsa_user_sgpr_kernarg_preload_length 0
		.amdhsa_user_sgpr_kernarg_preload_offset 0
		.amdhsa_user_sgpr_private_segment_size 0
		.amdhsa_uses_dynamic_stack 0
		.amdhsa_system_sgpr_private_segment_wavefront_offset 0
		.amdhsa_system_sgpr_workgroup_id_x 1
		.amdhsa_system_sgpr_workgroup_id_y 0
		.amdhsa_system_sgpr_workgroup_id_z 0
		.amdhsa_system_sgpr_workgroup_info 0
		.amdhsa_system_vgpr_workitem_id 0
		.amdhsa_next_free_vgpr 1
		.amdhsa_next_free_sgpr 0
		.amdhsa_accum_offset 4
		.amdhsa_reserve_vcc 0
		.amdhsa_reserve_flat_scratch 0
		.amdhsa_float_round_mode_32 0
		.amdhsa_float_round_mode_16_64 0
		.amdhsa_float_denorm_mode_32 3
		.amdhsa_float_denorm_mode_16_64 3
		.amdhsa_dx10_clamp 1
		.amdhsa_ieee_mode 1
		.amdhsa_fp16_overflow 0
		.amdhsa_tg_split 0
		.amdhsa_exception_fp_ieee_invalid_op 0
		.amdhsa_exception_fp_denorm_src 0
		.amdhsa_exception_fp_ieee_div_zero 0
		.amdhsa_exception_fp_ieee_overflow 0
		.amdhsa_exception_fp_ieee_underflow 0
		.amdhsa_exception_fp_ieee_inexact 0
		.amdhsa_exception_int_div_zero 0
	.end_amdhsa_kernel
	.section	.text._ZN7rocprim17ROCPRIM_400000_NS6detail17trampoline_kernelINS0_14default_configENS1_37merge_sort_block_sort_config_selectorIN3c108BFloat16ElEEZNS1_21merge_sort_block_sortIS3_PS6_S9_N6thrust23THRUST_200600_302600_NS10device_ptrIlEESD_NSB_4lessIS6_EEEE10hipError_tT0_T1_T2_T3_mRjT4_P12ihipStream_tbNS1_7vsmem_tEEUlT_E_NS1_11comp_targetILNS1_3genE5ELNS1_11target_archE942ELNS1_3gpuE9ELNS1_3repE0EEENS1_30default_config_static_selectorELNS0_4arch9wavefront6targetE1EEEvSI_,"axG",@progbits,_ZN7rocprim17ROCPRIM_400000_NS6detail17trampoline_kernelINS0_14default_configENS1_37merge_sort_block_sort_config_selectorIN3c108BFloat16ElEEZNS1_21merge_sort_block_sortIS3_PS6_S9_N6thrust23THRUST_200600_302600_NS10device_ptrIlEESD_NSB_4lessIS6_EEEE10hipError_tT0_T1_T2_T3_mRjT4_P12ihipStream_tbNS1_7vsmem_tEEUlT_E_NS1_11comp_targetILNS1_3genE5ELNS1_11target_archE942ELNS1_3gpuE9ELNS1_3repE0EEENS1_30default_config_static_selectorELNS0_4arch9wavefront6targetE1EEEvSI_,comdat
.Lfunc_end1970:
	.size	_ZN7rocprim17ROCPRIM_400000_NS6detail17trampoline_kernelINS0_14default_configENS1_37merge_sort_block_sort_config_selectorIN3c108BFloat16ElEEZNS1_21merge_sort_block_sortIS3_PS6_S9_N6thrust23THRUST_200600_302600_NS10device_ptrIlEESD_NSB_4lessIS6_EEEE10hipError_tT0_T1_T2_T3_mRjT4_P12ihipStream_tbNS1_7vsmem_tEEUlT_E_NS1_11comp_targetILNS1_3genE5ELNS1_11target_archE942ELNS1_3gpuE9ELNS1_3repE0EEENS1_30default_config_static_selectorELNS0_4arch9wavefront6targetE1EEEvSI_, .Lfunc_end1970-_ZN7rocprim17ROCPRIM_400000_NS6detail17trampoline_kernelINS0_14default_configENS1_37merge_sort_block_sort_config_selectorIN3c108BFloat16ElEEZNS1_21merge_sort_block_sortIS3_PS6_S9_N6thrust23THRUST_200600_302600_NS10device_ptrIlEESD_NSB_4lessIS6_EEEE10hipError_tT0_T1_T2_T3_mRjT4_P12ihipStream_tbNS1_7vsmem_tEEUlT_E_NS1_11comp_targetILNS1_3genE5ELNS1_11target_archE942ELNS1_3gpuE9ELNS1_3repE0EEENS1_30default_config_static_selectorELNS0_4arch9wavefront6targetE1EEEvSI_
                                        ; -- End function
	.section	.AMDGPU.csdata,"",@progbits
; Kernel info:
; codeLenInByte = 0
; NumSgprs: 4
; NumVgprs: 0
; NumAgprs: 0
; TotalNumVgprs: 0
; ScratchSize: 0
; MemoryBound: 0
; FloatMode: 240
; IeeeMode: 1
; LDSByteSize: 0 bytes/workgroup (compile time only)
; SGPRBlocks: 0
; VGPRBlocks: 0
; NumSGPRsForWavesPerEU: 4
; NumVGPRsForWavesPerEU: 1
; AccumOffset: 4
; Occupancy: 8
; WaveLimiterHint : 0
; COMPUTE_PGM_RSRC2:SCRATCH_EN: 0
; COMPUTE_PGM_RSRC2:USER_SGPR: 6
; COMPUTE_PGM_RSRC2:TRAP_HANDLER: 0
; COMPUTE_PGM_RSRC2:TGID_X_EN: 1
; COMPUTE_PGM_RSRC2:TGID_Y_EN: 0
; COMPUTE_PGM_RSRC2:TGID_Z_EN: 0
; COMPUTE_PGM_RSRC2:TIDIG_COMP_CNT: 0
; COMPUTE_PGM_RSRC3_GFX90A:ACCUM_OFFSET: 0
; COMPUTE_PGM_RSRC3_GFX90A:TG_SPLIT: 0
	.text
	.p2align	2                               ; -- Begin function _ZN7rocprim17ROCPRIM_400000_NS6detail15block_sort_implIN3c108BFloat16ElLj256ELj8ELNS0_4arch9wavefront6targetE1EvE4sortIPS4_SA_N6thrust23THRUST_200600_302600_NS10device_ptrIlEESE_NSC_4lessIS4_EEEEvjbT_T0_T1_T2_T3_RNS8_12storage_typeE
	.type	_ZN7rocprim17ROCPRIM_400000_NS6detail15block_sort_implIN3c108BFloat16ElLj256ELj8ELNS0_4arch9wavefront6targetE1EvE4sortIPS4_SA_N6thrust23THRUST_200600_302600_NS10device_ptrIlEESE_NSC_4lessIS4_EEEEvjbT_T0_T1_T2_T3_RNS8_12storage_typeE,@function
_ZN7rocprim17ROCPRIM_400000_NS6detail15block_sort_implIN3c108BFloat16ElLj256ELj8ELNS0_4arch9wavefront6targetE1EvE4sortIPS4_SA_N6thrust23THRUST_200600_302600_NS10device_ptrIlEESE_NSC_4lessIS4_EEEEvjbT_T0_T1_T2_T3_RNS8_12storage_typeE: ; @_ZN7rocprim17ROCPRIM_400000_NS6detail15block_sort_implIN3c108BFloat16ElLj256ELj8ELNS0_4arch9wavefront6targetE1EvE4sortIPS4_SA_N6thrust23THRUST_200600_302600_NS10device_ptrIlEESE_NSC_4lessIS4_EEEEvjbT_T0_T1_T2_T3_RNS8_12storage_typeE
; %bb.0:
	s_waitcnt vmcnt(0) expcnt(0) lgkmcnt(0)
	s_or_saveexec_b64 s[4:5], -1
	buffer_store_dword v40, off, s[0:3], s32 ; 4-byte Folded Spill
	s_mov_b64 exec, s[4:5]
	v_writelane_b32 v40, s34, 0
	v_writelane_b32 v40, s35, 1
	;; [unrolled: 1-line block ×18, first 2 shown]
	v_and_b32_e32 v1, 1, v1
	v_and_b32_e32 v18, 0x3ff, v31
	v_cmp_eq_u32_e32 vcc, 1, v1
	v_lshlrev_b32_e32 v30, 3, v18
	s_xor_b64 s[4:5], vcc, -1
	v_or_b32_e32 v11, 1, v30
	v_or_b32_e32 v12, 2, v30
	;; [unrolled: 1-line block ×7, first 2 shown]
	s_mov_b64 s[38:39], 0
	v_bfe_u32 v10, v31, 10, 10
	v_bfe_u32 v36, v31, 20, 10
	v_lshlrev_b32_e32 v22, 1, v18
	v_lshrrev_b32_e32 v1, 4, v18
	v_lshrrev_b32_e32 v31, 2, v18
                                        ; implicit-def: $vgpr20_vgpr21
	s_and_saveexec_b64 s[6:7], s[4:5]
	s_xor_b64 s[24:25], exec, s[6:7]
	s_cbranch_execnz .LBB1971_5
; %bb.1:
	s_andn2_saveexec_b64 s[40:41], s[24:25]
	s_cbranch_execnz .LBB1971_90
.LBB1971_2:
	s_or_b64 exec, exec, s[40:41]
	s_and_saveexec_b64 s[4:5], s[38:39]
	s_cbranch_execz .LBB1971_4
.LBB1971_3:
	s_waitcnt lgkmcnt(0)
	v_lshlrev_b64 v[0:1], 3, v[18:19]
	v_add_co_u32_e32 v0, vcc, v8, v0
	v_addc_co_u32_e32 v1, vcc, v9, v1, vcc
	v_add_co_u32_e32 v0, vcc, 0x3000, v0
	v_addc_co_u32_e32 v1, vcc, 0, v1, vcc
	flat_store_dwordx2 v[0:1], v[20:21] offset:2048
.LBB1971_4:
	s_or_b64 exec, exec, s[4:5]
	v_readlane_b32 s30, v40, 16
	v_readlane_b32 s31, v40, 17
	;; [unrolled: 1-line block ×18, first 2 shown]
	s_or_saveexec_b64 s[4:5], -1
	buffer_load_dword v40, off, s[0:3], s32 ; 4-byte Folded Reload
	s_mov_b64 exec, s[4:5]
	s_waitcnt vmcnt(0) lgkmcnt(0)
	s_setpc_b64 s[30:31]
.LBB1971_5:
	v_add_co_u32_e32 v2, vcc, v2, v22
	v_addc_co_u32_e32 v3, vcc, 0, v3, vcc
	flat_load_ushort v0, v[2:3]
	flat_load_ushort v19, v[2:3] offset:512
	flat_load_ushort v37, v[2:3] offset:1024
	;; [unrolled: 1-line block ×7, first 2 shown]
	v_and_b32_e32 v1, 60, v1
	v_add_u32_e32 v32, 0x100, v18
	v_add_u32_e32 v33, 0x200, v18
	;; [unrolled: 1-line block ×3, first 2 shown]
	v_or_b32_e32 v35, 0x400, v18
	v_add_u32_e32 v66, 0x500, v18
	v_add_u32_e32 v67, 0x600, v18
	;; [unrolled: 1-line block ×3, first 2 shown]
	v_and_b32_e32 v21, 0xfe, v31
	v_add_u32_e32 v20, v1, v22
	v_lshrrev_b32_e32 v1, 4, v32
	v_lshrrev_b32_e32 v2, 4, v33
	;; [unrolled: 1-line block ×7, first 2 shown]
	v_add_lshl_u32 v51, v21, v30, 1
	v_and_b32_e32 v1, 0x7c, v1
	v_and_b32_e32 v2, 0x7c, v2
	;; [unrolled: 1-line block ×7, first 2 shown]
	v_add_u32_e32 v23, v1, v22
	v_add_u32_e32 v24, v2, v22
	;; [unrolled: 1-line block ×7, first 2 shown]
	s_movk_i32 s20, 0x800
	s_waitcnt vmcnt(0) lgkmcnt(0)
	ds_write_b16 v20, v0
	ds_write_b16 v23, v19 offset:512
	ds_write_b16 v24, v37 offset:1024
	;; [unrolled: 1-line block ×7, first 2 shown]
	s_waitcnt lgkmcnt(0)
	s_barrier
	ds_read2_b32 v[0:1], v51 offset1:1
	ds_read2_b32 v[2:3], v51 offset0:2 offset1:3
	s_waitcnt lgkmcnt(0)
	s_barrier
	s_load_dwordx2 s[4:5], s[8:9], 0x0
	v_mov_b32_e32 v19, 0
	v_lshrrev_b32_e32 v53, 16, v3
	v_lshrrev_b32_e32 v50, 16, v2
	;; [unrolled: 1-line block ×3, first 2 shown]
	s_waitcnt lgkmcnt(0)
	s_cmp_lt_u32 s12, s4
	s_cselect_b32 s6, 12, 18
	s_cmp_lt_u32 s13, s5
	s_cselect_b32 s4, 14, 20
	s_add_u32 s4, s8, s4
	s_addc_u32 s5, s9, 0
	s_add_u32 s6, s8, s6
	s_addc_u32 s7, s9, 0
	global_load_ushort v37, v19, s[4:5]
	global_load_ushort v38, v19, s[6:7]
	v_lshrrev_b32_e32 v48, 16, v0
	s_waitcnt vmcnt(1)
	v_mad_u32_u24 v10, v36, v37, v10
	s_waitcnt vmcnt(0)
	v_mul_lo_u32 v10, v10, v38
	v_add_lshl_u32 v36, v10, v18, 3
	v_cmp_gt_u32_e32 vcc, s20, v36
	v_mov_b32_e32 v10, v30
	s_and_saveexec_b64 s[16:17], vcc
	s_cbranch_execz .LBB1971_9
; %bb.6:
	v_and_b32_e32 v10, 0xffff0000, v0
	v_lshlrev_b32_e32 v37, 16, v0
	v_cmp_lt_f32_e32 vcc, v10, v37
	v_and_b32_e32 v38, 0xffff0000, v1
	v_lshlrev_b32_e32 v39, 16, v1
	v_cndmask_b32_e32 v10, v0, v48, vcc
	v_cndmask_b32_e32 v0, v48, v0, vcc
	;; [unrolled: 1-line block ×4, first 2 shown]
	v_cmp_lt_f32_e32 vcc, v38, v39
	v_cndmask_b32_e32 v39, v13, v12, vcc
	v_cndmask_b32_e32 v12, v12, v13, vcc
	v_and_b32_e32 v13, 0xffff0000, v2
	v_lshlrev_b32_e32 v48, 16, v2
	v_cndmask_b32_e32 v38, v1, v49, vcc
	v_cndmask_b32_e32 v1, v49, v1, vcc
	v_cmp_lt_f32_e32 vcc, v13, v48
	v_cndmask_b32_e32 v48, v15, v14, vcc
	v_cndmask_b32_e32 v14, v14, v15, vcc
	v_and_b32_e32 v15, 0xffff0000, v3
	v_lshlrev_b32_e32 v49, 16, v3
	v_cndmask_b32_e32 v13, v2, v50, vcc
	v_cndmask_b32_e32 v2, v50, v2, vcc
	v_cmp_lt_f32_e32 vcc, v15, v49
	v_cndmask_b32_e32 v49, v17, v16, vcc
	v_cndmask_b32_e32 v16, v16, v17, vcc
	v_lshlrev_b32_e32 v17, 16, v38
	v_lshlrev_b32_e32 v50, 16, v0
	v_cndmask_b32_e32 v15, v3, v53, vcc
	v_cndmask_b32_e32 v3, v53, v3, vcc
	v_cmp_lt_f32_e32 vcc, v17, v50
	v_cndmask_b32_e32 v17, v0, v38, vcc
	v_cndmask_b32_e32 v0, v38, v0, vcc
	v_cndmask_b32_e32 v38, v12, v11, vcc
	v_cndmask_b32_e32 v11, v11, v12, vcc
	v_lshlrev_b32_e32 v12, 16, v13
	v_lshlrev_b32_e32 v50, 16, v1
	v_cmp_lt_f32_e32 vcc, v12, v50
	v_cndmask_b32_e32 v12, v1, v13, vcc
	v_cndmask_b32_e32 v1, v13, v1, vcc
	v_cndmask_b32_e32 v13, v14, v39, vcc
	v_cndmask_b32_e32 v14, v39, v14, vcc
	v_lshlrev_b32_e32 v39, 16, v15
	v_lshlrev_b32_e32 v50, 16, v2
	;; [unrolled: 7-line block ×17, first 2 shown]
	v_cmp_lt_f32_e32 vcc, v10, v38
	v_cndmask_b32_e32 v10, v48, v11, vcc
	v_cndmask_b32_e32 v11, v11, v48, vcc
	v_lshlrev_b32_e32 v39, 16, v12
	v_lshlrev_b32_e32 v48, 16, v16
	v_cmp_lt_f32_e64 s[4:5], v39, v48
	v_cndmask_b32_e64 v49, v16, v12, s[4:5]
	v_cndmask_b32_e64 v39, v12, v16, s[4:5]
	v_lshlrev_b32_e32 v12, 16, v15
	v_lshlrev_b32_e32 v16, 16, v50
	v_cndmask_b32_e64 v54, v14, v17, s[4:5]
	v_cndmask_b32_e64 v14, v17, v14, s[4:5]
	v_cmp_lt_f32_e64 s[4:5], v12, v16
	v_lshlrev_b32_e32 v12, 16, v1
	v_lshlrev_b32_e32 v16, 16, v37
	v_cndmask_b32_e32 v38, v2, v0, vcc
	v_cndmask_b32_e64 v51, v50, v15, s[4:5]
	v_cndmask_b32_e64 v50, v15, v50, s[4:5]
	;; [unrolled: 1-line block ×4, first 2 shown]
	v_cmp_lt_f32_e64 s[4:5], v12, v16
	v_cndmask_b32_e64 v17, v52, v13, s[4:5]
	v_cndmask_b32_e64 v16, v13, v52, s[4:5]
	v_lshlrev_b32_e32 v12, 16, v49
	v_lshlrev_b32_e32 v13, 16, v38
	v_cmp_lt_f32_e64 s[6:7], v12, v13
	v_cndmask_b32_e64 v12, v14, v11, s[6:7]
	v_cndmask_b32_e64 v11, v11, v14, s[6:7]
	v_lshlrev_b32_e32 v13, 16, v51
	v_lshlrev_b32_e32 v14, 16, v39
	v_cndmask_b32_e64 v48, v37, v1, s[4:5]
	v_cmp_lt_f32_e64 s[10:11], v13, v14
	v_cndmask_b32_e64 v14, v3, v54, s[10:11]
	v_cndmask_b32_e64 v13, v54, v3, s[10:11]
	v_lshlrev_b32_e32 v3, 16, v48
	v_lshlrev_b32_e32 v52, 16, v50
	v_cmp_lt_f32_e64 s[14:15], v3, v52
	v_mov_b32_e32 v3, v48
	s_and_saveexec_b64 s[18:19], s[14:15]
; %bb.7:
	v_mov_b32_e32 v3, v16
	v_swap_b32 v16, v15
	v_mov_b32_e32 v3, v50
	v_mov_b32_e32 v50, v48
; %bb.8:
	s_or_b64 exec, exec, s[18:19]
	v_cndmask_b32_e32 v0, v0, v2, vcc
	v_cndmask_b32_e64 v53, v1, v37, s[4:5]
	v_cndmask_b32_e64 v48, v38, v49, s[6:7]
	;; [unrolled: 1-line block ×5, first 2 shown]
.LBB1971_9:
	s_or_b64 exec, exec, s[16:17]
	v_and_b32_e32 v36, 0xfffffe00, v36
	v_mbcnt_lo_u32_b32 v37, -1, 0
	v_lshlrev_b32_e32 v52, 1, v36
	v_mbcnt_hi_u32_b32 v37, -1, v37
	v_add_u32_e32 v51, v52, v52
	s_mov_b32 s4, 0x5040100
	v_sub_u32_e64 v54, s20, v36 clamp
	v_lshlrev_b32_e32 v55, 3, v37
	v_lshl_add_u32 v64, v37, 4, v52
	v_lshl_add_u32 v65, v37, 5, v51
	v_perm_b32 v39, v53, v3, s4
	v_perm_b32 v38, v50, v2, s4
	v_perm_b32 v37, v49, v1, s4
	v_perm_b32 v36, v48, v0, s4
	ds_write_b128 v65, v[10:13] offset:4096
	ds_write_b128 v64, v[36:39]
	ds_write_b128 v65, v[14:17] offset:4112
	v_or_b32_e32 v36, 8, v55
	v_min_u32_e32 v69, v54, v36
	v_add_u32_e32 v36, 8, v69
	v_and_b32_e32 v81, 0x3f0, v55
	v_min_u32_e32 v70, v54, v36
	v_and_b32_e32 v36, 8, v55
	v_min_u32_e32 v82, v54, v36
	v_sub_u32_e32 v36, v69, v81
	v_sub_u32_e32 v37, v70, v69
	v_sub_u32_e64 v80, v82, v37 clamp
	v_min_u32_e32 v36, v82, v36
	v_lshl_add_u32 v71, v81, 1, v52
	v_cmp_lt_u32_e32 vcc, v80, v36
	; wave barrier
	s_and_saveexec_b64 s[4:5], vcc
	s_cbranch_execz .LBB1971_13
; %bb.10:
	v_lshlrev_b32_e32 v37, 1, v69
	v_lshlrev_b32_e32 v38, 1, v82
	v_add3_u32 v37, v52, v37, v38
	s_mov_b64 s[6:7], 0
.LBB1971_11:                            ; =>This Inner Loop Header: Depth=1
	v_add_u32_e32 v38, v36, v80
	v_lshrrev_b32_e32 v39, 1, v38
	v_and_b32_e32 v38, -2, v38
	v_not_b32_e32 v83, v39
	v_add_u32_e32 v38, v71, v38
	v_lshl_add_u32 v83, v83, 1, v37
	ds_read_u16 v38, v38
	ds_read_u16 v83, v83
	v_add_u32_e32 v84, 1, v39
	s_waitcnt lgkmcnt(1)
	v_lshlrev_b32_e32 v38, 16, v38
	s_waitcnt lgkmcnt(0)
	v_lshlrev_b32_e32 v83, 16, v83
	v_cmp_lt_f32_e32 vcc, v83, v38
	v_cndmask_b32_e32 v36, v36, v39, vcc
	v_cndmask_b32_e32 v80, v84, v80, vcc
	v_cmp_ge_u32_e32 vcc, v80, v36
	s_or_b64 s[6:7], vcc, s[6:7]
	s_andn2_b64 exec, exec, s[6:7]
	s_cbranch_execnz .LBB1971_11
; %bb.12:
	s_or_b64 exec, exec, s[6:7]
.LBB1971_13:
	s_or_b64 exec, exec, s[4:5]
	v_lshrrev_b32_e32 v38, 5, v32
	v_lshrrev_b32_e32 v32, 5, v68
	v_add_u32_e32 v68, v69, v82
	v_lshrrev_b32_e32 v37, 5, v33
	v_lshrrev_b32_e32 v33, 5, v67
	v_add_u32_e32 v67, v80, v81
	v_sub_u32_e32 v68, v68, v80
	v_cmp_le_u32_e32 vcc, v67, v69
	v_cmp_le_u32_e64 s[4:5], v68, v70
	v_lshrrev_b32_e32 v39, 5, v18
	v_lshrrev_b32_e32 v36, 5, v34
	;; [unrolled: 1-line block ×4, first 2 shown]
	v_add_u32_e32 v66, 0x1000, v65
	s_or_b64 s[4:5], vcc, s[4:5]
	s_and_saveexec_b64 s[26:27], s[4:5]
	s_cbranch_execz .LBB1971_19
; %bb.14:
	v_cmp_lt_u32_e32 vcc, v67, v69
                                        ; implicit-def: $vgpr0
	s_and_saveexec_b64 s[4:5], vcc
	s_cbranch_execz .LBB1971_16
; %bb.15:
	v_lshl_add_u32 v0, v80, 1, v71
	ds_read_u16 v0, v0
.LBB1971_16:
	s_or_b64 exec, exec, s[4:5]
	v_cmp_ge_u32_e64 s[4:5], v68, v70
	v_cmp_lt_u32_e64 s[6:7], v68, v70
                                        ; implicit-def: $vgpr1
	s_and_saveexec_b64 s[10:11], s[6:7]
	s_cbranch_execz .LBB1971_18
; %bb.17:
	v_lshl_add_u32 v1, v68, 1, v52
	ds_read_u16 v1, v1
.LBB1971_18:
	s_or_b64 exec, exec, s[10:11]
	s_waitcnt lgkmcnt(0)
	v_lshlrev_b32_e32 v2, 16, v0
	v_lshlrev_b32_e32 v3, 16, v1
	v_cmp_nlt_f32_e64 s[6:7], v3, v2
	s_and_b64 s[6:7], vcc, s[6:7]
	s_or_b64 vcc, s[4:5], s[6:7]
	v_cndmask_b32_e32 v2, v68, v67, vcc
	v_cndmask_b32_e32 v3, v70, v69, vcc
	v_add_u32_e32 v10, 1, v2
	v_add_u32_e32 v3, -1, v3
	v_min_u32_e32 v3, v10, v3
	v_lshl_add_u32 v3, v3, 1, v52
	ds_read_u16 v3, v3
	v_cndmask_b32_e32 v11, v10, v68, vcc
	v_cndmask_b32_e32 v10, v67, v10, vcc
	v_cmp_lt_u32_e64 s[6:7], v10, v69
	v_cmp_ge_u32_e64 s[4:5], v11, v70
	s_waitcnt lgkmcnt(0)
	v_cndmask_b32_e32 v17, v3, v1, vcc
	v_cndmask_b32_e32 v3, v0, v3, vcc
	v_lshlrev_b32_e32 v12, 16, v17
	v_lshlrev_b32_e32 v13, 16, v3
	v_cmp_nlt_f32_e64 s[10:11], v12, v13
	s_and_b64 s[6:7], s[6:7], s[10:11]
	s_or_b64 s[4:5], s[4:5], s[6:7]
	v_cndmask_b32_e64 v12, v11, v10, s[4:5]
	v_cndmask_b32_e64 v13, v70, v69, s[4:5]
	v_add_u32_e32 v14, 1, v12
	v_add_u32_e32 v13, -1, v13
	v_min_u32_e32 v13, v14, v13
	v_lshl_add_u32 v13, v13, 1, v52
	ds_read_u16 v13, v13
	v_cndmask_b32_e64 v11, v14, v11, s[4:5]
	v_cndmask_b32_e64 v10, v10, v14, s[4:5]
	v_cmp_lt_u32_e64 s[10:11], v10, v69
	v_cmp_ge_u32_e64 s[6:7], v11, v70
	s_waitcnt lgkmcnt(0)
	v_cndmask_b32_e64 v49, v13, v17, s[4:5]
	v_cndmask_b32_e64 v50, v3, v13, s[4:5]
	v_lshlrev_b32_e32 v13, 16, v49
	v_lshlrev_b32_e32 v14, 16, v50
	v_cmp_nlt_f32_e64 s[14:15], v13, v14
	s_and_b64 s[10:11], s[10:11], s[14:15]
	s_or_b64 s[6:7], s[6:7], s[10:11]
	v_cndmask_b32_e64 v13, v11, v10, s[6:7]
	v_cndmask_b32_e64 v14, v70, v69, s[6:7]
	v_add_u32_e32 v15, 1, v13
	v_add_u32_e32 v14, -1, v14
	v_min_u32_e32 v14, v15, v14
	v_lshl_add_u32 v14, v14, 1, v52
	ds_read_u16 v14, v14
	v_lshl_add_u32 v2, v2, 2, v51
	v_cndmask_b32_e32 v0, v1, v0, vcc
	v_cndmask_b32_e64 v1, v49, v50, s[6:7]
	s_waitcnt lgkmcnt(0)
	v_cndmask_b32_e64 v53, v14, v49, s[6:7]
	v_cndmask_b32_e64 v67, v50, v14, s[6:7]
	;; [unrolled: 1-line block ×4, first 2 shown]
	v_lshlrev_b32_e32 v10, 16, v53
	v_lshlrev_b32_e32 v11, 16, v67
	v_cmp_lt_u32_e64 s[14:15], v15, v69
	v_cmp_nlt_f32_e64 s[16:17], v10, v11
	v_cmp_ge_u32_e64 s[10:11], v14, v70
	s_and_b64 s[14:15], s[14:15], s[16:17]
	s_or_b64 s[10:11], s[10:11], s[14:15]
	v_cndmask_b32_e64 v16, v14, v15, s[10:11]
	v_cndmask_b32_e64 v10, v70, v69, s[10:11]
	v_add_u32_e32 v48, 1, v16
	v_add_u32_e32 v10, -1, v10
	v_min_u32_e32 v10, v48, v10
	v_lshl_add_u32 v10, v10, 1, v52
	ds_read_u16 v68, v10
	ds_read_b32 v10, v2 offset:4096
	v_lshl_add_u32 v2, v12, 2, v51
	ds_read_b32 v11, v2 offset:4096
	v_cndmask_b32_e64 v14, v48, v14, s[10:11]
	s_waitcnt lgkmcnt(2)
	v_cndmask_b32_e64 v2, v68, v53, s[10:11]
	v_cndmask_b32_e64 v68, v67, v68, s[10:11]
	;; [unrolled: 1-line block ×3, first 2 shown]
	v_lshlrev_b32_e32 v12, 16, v2
	v_lshlrev_b32_e32 v48, 16, v68
	v_cmp_lt_u32_e64 s[16:17], v15, v69
	v_cmp_nlt_f32_e64 s[18:19], v12, v48
	v_cmp_ge_u32_e64 s[14:15], v14, v70
	s_and_b64 s[16:17], s[16:17], s[18:19]
	s_or_b64 s[14:15], s[14:15], s[16:17]
	v_cndmask_b32_e64 v48, v14, v15, s[14:15]
	v_cndmask_b32_e64 v12, v70, v69, s[14:15]
	v_add_u32_e32 v71, 1, v48
	v_add_u32_e32 v12, -1, v12
	v_min_u32_e32 v12, v71, v12
	v_lshl_add_u32 v12, v12, 1, v52
	ds_read_u16 v80, v12
	v_lshl_add_u32 v12, v13, 2, v51
	v_lshl_add_u32 v13, v16, 2, v51
	v_cndmask_b32_e64 v16, v71, v14, s[14:15]
	v_cndmask_b32_e64 v71, v15, v71, s[14:15]
	s_waitcnt lgkmcnt(0)
	v_cndmask_b32_e64 v81, v80, v2, s[14:15]
	v_cndmask_b32_e64 v80, v68, v80, s[14:15]
	v_lshlrev_b32_e32 v14, 16, v81
	v_lshlrev_b32_e32 v15, 16, v80
	v_cmp_lt_u32_e64 s[18:19], v71, v69
	v_cmp_nlt_f32_e64 s[20:21], v14, v15
	v_cmp_ge_u32_e64 s[16:17], v16, v70
	s_and_b64 s[18:19], s[18:19], s[20:21]
	s_or_b64 s[16:17], s[16:17], s[18:19]
	v_cndmask_b32_e64 v15, v16, v71, s[16:17]
	v_cndmask_b32_e64 v14, v70, v69, s[16:17]
	v_add_u32_e32 v82, 1, v15
	v_add_u32_e32 v14, -1, v14
	v_min_u32_e32 v14, v82, v14
	v_lshl_add_u32 v14, v14, 1, v52
	ds_read_b32 v12, v12 offset:4096
	ds_read_b32 v13, v13 offset:4096
	ds_read_u16 v83, v14
	v_lshl_add_u32 v15, v15, 2, v51
	ds_read_b32 v15, v15 offset:4096
	v_lshl_add_u32 v14, v48, 2, v51
	v_cndmask_b32_e64 v85, v82, v16, s[16:17]
	s_waitcnt lgkmcnt(1)
	v_cndmask_b32_e64 v84, v83, v81, s[16:17]
	v_cndmask_b32_e64 v83, v80, v83, s[16:17]
	;; [unrolled: 1-line block ×3, first 2 shown]
	v_lshlrev_b32_e32 v16, 16, v84
	v_lshlrev_b32_e32 v48, 16, v83
	v_cmp_lt_u32_e64 s[20:21], v71, v69
	v_cmp_nlt_f32_e64 s[22:23], v16, v48
	v_cmp_ge_u32_e64 s[18:19], v85, v70
	s_and_b64 s[20:21], s[20:21], s[22:23]
	s_or_b64 s[18:19], s[18:19], s[20:21]
	v_cndmask_b32_e64 v16, v85, v71, s[18:19]
	v_cndmask_b32_e64 v48, v70, v69, s[18:19]
	v_lshl_add_u32 v82, v16, 2, v51
	v_add_u32_e32 v86, 1, v16
	v_add_u32_e32 v16, -1, v48
	v_min_u32_e32 v16, v86, v16
	ds_read_b32 v14, v14 offset:4096
	v_lshl_add_u32 v48, v16, 1, v52
	ds_read_b32 v16, v82 offset:4096
	ds_read_u16 v82, v48
	v_cndmask_b32_e64 v48, v17, v3, s[4:5]
	v_cndmask_b32_e64 v49, v53, v67, s[10:11]
	;; [unrolled: 1-line block ×3, first 2 shown]
	v_cmp_lt_u32_e64 s[4:5], v17, v69
	s_waitcnt lgkmcnt(0)
	v_cndmask_b32_e64 v53, v82, v84, s[18:19]
	v_cndmask_b32_e64 v67, v83, v82, s[18:19]
	v_lshlrev_b32_e32 v50, 16, v53
	v_lshlrev_b32_e32 v69, 16, v67
	v_cndmask_b32_e64 v3, v86, v85, s[18:19]
	v_cmp_nlt_f32_e64 s[6:7], v50, v69
	v_cmp_ge_u32_e32 vcc, v3, v70
	s_and_b64 s[4:5], s[4:5], s[6:7]
	s_or_b64 vcc, vcc, s[4:5]
	v_cndmask_b32_e32 v3, v3, v17, vcc
	v_lshl_add_u32 v3, v3, 2, v51
	ds_read_b32 v17, v3 offset:4096
	v_cndmask_b32_e64 v2, v2, v68, s[14:15]
	v_cndmask_b32_e64 v50, v81, v80, s[16:17]
	;; [unrolled: 1-line block ×3, first 2 shown]
	v_cndmask_b32_e32 v53, v53, v67, vcc
.LBB1971_19:
	s_or_b64 exec, exec, s[26:27]
	s_mov_b32 s4, 0x5040100
	v_perm_b32 v71, v53, v3, s4
	v_perm_b32 v70, v50, v2, s4
	;; [unrolled: 1-line block ×4, first 2 shown]
	; wave barrier
	ds_write_b128 v65, v[10:13] offset:4096
	ds_write_b128 v64, v[68:71]
	s_waitcnt lgkmcnt(2)
	ds_write_b128 v66, v[14:17] offset:16
	v_and_b32_e32 v71, 0x3e0, v55
	v_or_b32_e32 v67, 16, v71
	v_min_u32_e32 v67, v54, v67
	v_add_u32_e32 v68, 16, v67
	v_min_u32_e32 v68, v54, v68
	v_and_b32_e32 v69, 24, v55
	v_min_u32_e32 v80, v54, v69
	v_sub_u32_e32 v81, v67, v71
	v_sub_u32_e32 v70, v68, v67
	v_sub_u32_e64 v70, v80, v70 clamp
	v_min_u32_e32 v81, v80, v81
	v_lshl_add_u32 v69, v71, 1, v52
	v_cmp_lt_u32_e32 vcc, v70, v81
	; wave barrier
	s_and_saveexec_b64 s[4:5], vcc
	s_cbranch_execz .LBB1971_23
; %bb.20:
	v_lshlrev_b32_e32 v82, 1, v67
	v_lshlrev_b32_e32 v83, 1, v80
	v_add3_u32 v82, v52, v82, v83
	s_mov_b64 s[6:7], 0
.LBB1971_21:                            ; =>This Inner Loop Header: Depth=1
	v_add_u32_e32 v83, v81, v70
	v_lshrrev_b32_e32 v84, 1, v83
	v_and_b32_e32 v83, -2, v83
	v_not_b32_e32 v85, v84
	v_add_u32_e32 v83, v69, v83
	v_lshl_add_u32 v85, v85, 1, v82
	ds_read_u16 v83, v83
	ds_read_u16 v85, v85
	v_add_u32_e32 v86, 1, v84
	s_waitcnt lgkmcnt(1)
	v_lshlrev_b32_e32 v83, 16, v83
	s_waitcnt lgkmcnt(0)
	v_lshlrev_b32_e32 v85, 16, v85
	v_cmp_lt_f32_e32 vcc, v85, v83
	v_cndmask_b32_e32 v81, v81, v84, vcc
	v_cndmask_b32_e32 v70, v86, v70, vcc
	v_cmp_ge_u32_e32 vcc, v70, v81
	s_or_b64 s[6:7], vcc, s[6:7]
	s_andn2_b64 exec, exec, s[6:7]
	s_cbranch_execnz .LBB1971_21
; %bb.22:
	s_or_b64 exec, exec, s[6:7]
.LBB1971_23:
	s_or_b64 exec, exec, s[4:5]
	v_add_u32_e32 v80, v67, v80
	v_add_u32_e32 v71, v70, v71
	v_sub_u32_e32 v80, v80, v70
	v_cmp_le_u32_e32 vcc, v71, v67
	v_cmp_le_u32_e64 s[4:5], v80, v68
	s_or_b64 s[4:5], vcc, s[4:5]
	s_and_saveexec_b64 s[26:27], s[4:5]
	s_cbranch_execz .LBB1971_29
; %bb.24:
	v_cmp_lt_u32_e32 vcc, v71, v67
                                        ; implicit-def: $vgpr0
	s_and_saveexec_b64 s[4:5], vcc
	s_cbranch_execz .LBB1971_26
; %bb.25:
	v_lshl_add_u32 v0, v70, 1, v69
	ds_read_u16 v0, v0
.LBB1971_26:
	s_or_b64 exec, exec, s[4:5]
	v_cmp_ge_u32_e64 s[4:5], v80, v68
	v_cmp_lt_u32_e64 s[6:7], v80, v68
                                        ; implicit-def: $vgpr1
	s_and_saveexec_b64 s[10:11], s[6:7]
	s_cbranch_execz .LBB1971_28
; %bb.27:
	v_lshl_add_u32 v1, v80, 1, v52
	ds_read_u16 v1, v1
.LBB1971_28:
	s_or_b64 exec, exec, s[10:11]
	s_waitcnt lgkmcnt(0)
	v_lshlrev_b32_e32 v2, 16, v0
	v_lshlrev_b32_e32 v3, 16, v1
	v_cmp_nlt_f32_e64 s[6:7], v3, v2
	s_and_b64 s[6:7], vcc, s[6:7]
	s_or_b64 vcc, s[4:5], s[6:7]
	v_cndmask_b32_e32 v2, v80, v71, vcc
	v_cndmask_b32_e32 v3, v68, v67, vcc
	v_add_u32_e32 v10, 1, v2
	v_add_u32_e32 v3, -1, v3
	v_min_u32_e32 v3, v10, v3
	v_lshl_add_u32 v3, v3, 1, v52
	ds_read_u16 v3, v3
	v_cndmask_b32_e32 v11, v10, v80, vcc
	v_cndmask_b32_e32 v10, v71, v10, vcc
	v_cmp_lt_u32_e64 s[6:7], v10, v67
	v_cmp_ge_u32_e64 s[4:5], v11, v68
	s_waitcnt lgkmcnt(0)
	v_cndmask_b32_e32 v17, v3, v1, vcc
	v_cndmask_b32_e32 v3, v0, v3, vcc
	v_lshlrev_b32_e32 v12, 16, v17
	v_lshlrev_b32_e32 v13, 16, v3
	v_cmp_nlt_f32_e64 s[10:11], v12, v13
	s_and_b64 s[6:7], s[6:7], s[10:11]
	s_or_b64 s[4:5], s[4:5], s[6:7]
	v_cndmask_b32_e64 v12, v11, v10, s[4:5]
	v_cndmask_b32_e64 v13, v68, v67, s[4:5]
	v_add_u32_e32 v14, 1, v12
	v_add_u32_e32 v13, -1, v13
	v_min_u32_e32 v13, v14, v13
	v_lshl_add_u32 v13, v13, 1, v52
	ds_read_u16 v13, v13
	v_cndmask_b32_e64 v11, v14, v11, s[4:5]
	v_cndmask_b32_e64 v10, v10, v14, s[4:5]
	v_cmp_lt_u32_e64 s[10:11], v10, v67
	v_cmp_ge_u32_e64 s[6:7], v11, v68
	s_waitcnt lgkmcnt(0)
	v_cndmask_b32_e64 v49, v13, v17, s[4:5]
	v_cndmask_b32_e64 v50, v3, v13, s[4:5]
	v_lshlrev_b32_e32 v13, 16, v49
	v_lshlrev_b32_e32 v14, 16, v50
	v_cmp_nlt_f32_e64 s[14:15], v13, v14
	s_and_b64 s[10:11], s[10:11], s[14:15]
	s_or_b64 s[6:7], s[6:7], s[10:11]
	v_cndmask_b32_e64 v13, v11, v10, s[6:7]
	v_cndmask_b32_e64 v14, v68, v67, s[6:7]
	v_add_u32_e32 v15, 1, v13
	v_add_u32_e32 v14, -1, v14
	v_min_u32_e32 v14, v15, v14
	v_lshl_add_u32 v14, v14, 1, v52
	ds_read_u16 v14, v14
	v_lshl_add_u32 v2, v2, 2, v51
	v_cndmask_b32_e32 v0, v1, v0, vcc
	v_cndmask_b32_e64 v1, v49, v50, s[6:7]
	s_waitcnt lgkmcnt(0)
	v_cndmask_b32_e64 v53, v14, v49, s[6:7]
	v_cndmask_b32_e64 v69, v50, v14, s[6:7]
	;; [unrolled: 1-line block ×4, first 2 shown]
	v_lshlrev_b32_e32 v10, 16, v53
	v_lshlrev_b32_e32 v11, 16, v69
	v_cmp_lt_u32_e64 s[14:15], v15, v67
	v_cmp_nlt_f32_e64 s[16:17], v10, v11
	v_cmp_ge_u32_e64 s[10:11], v14, v68
	s_and_b64 s[14:15], s[14:15], s[16:17]
	s_or_b64 s[10:11], s[10:11], s[14:15]
	v_cndmask_b32_e64 v16, v14, v15, s[10:11]
	v_cndmask_b32_e64 v10, v68, v67, s[10:11]
	v_add_u32_e32 v48, 1, v16
	v_add_u32_e32 v10, -1, v10
	v_min_u32_e32 v10, v48, v10
	v_lshl_add_u32 v10, v10, 1, v52
	ds_read_u16 v70, v10
	ds_read_b32 v10, v2 offset:4096
	v_lshl_add_u32 v2, v12, 2, v51
	ds_read_b32 v11, v2 offset:4096
	v_cndmask_b32_e64 v14, v48, v14, s[10:11]
	s_waitcnt lgkmcnt(2)
	v_cndmask_b32_e64 v2, v70, v53, s[10:11]
	v_cndmask_b32_e64 v70, v69, v70, s[10:11]
	;; [unrolled: 1-line block ×3, first 2 shown]
	v_lshlrev_b32_e32 v12, 16, v2
	v_lshlrev_b32_e32 v48, 16, v70
	v_cmp_lt_u32_e64 s[16:17], v15, v67
	v_cmp_nlt_f32_e64 s[18:19], v12, v48
	v_cmp_ge_u32_e64 s[14:15], v14, v68
	s_and_b64 s[16:17], s[16:17], s[18:19]
	s_or_b64 s[14:15], s[14:15], s[16:17]
	v_cndmask_b32_e64 v48, v14, v15, s[14:15]
	v_cndmask_b32_e64 v12, v68, v67, s[14:15]
	v_add_u32_e32 v71, 1, v48
	v_add_u32_e32 v12, -1, v12
	v_min_u32_e32 v12, v71, v12
	v_lshl_add_u32 v12, v12, 1, v52
	ds_read_u16 v80, v12
	v_lshl_add_u32 v12, v13, 2, v51
	v_lshl_add_u32 v13, v16, 2, v51
	v_cndmask_b32_e64 v16, v71, v14, s[14:15]
	v_cndmask_b32_e64 v71, v15, v71, s[14:15]
	s_waitcnt lgkmcnt(0)
	v_cndmask_b32_e64 v81, v80, v2, s[14:15]
	v_cndmask_b32_e64 v80, v70, v80, s[14:15]
	v_lshlrev_b32_e32 v14, 16, v81
	v_lshlrev_b32_e32 v15, 16, v80
	v_cmp_lt_u32_e64 s[18:19], v71, v67
	v_cmp_nlt_f32_e64 s[20:21], v14, v15
	v_cmp_ge_u32_e64 s[16:17], v16, v68
	s_and_b64 s[18:19], s[18:19], s[20:21]
	s_or_b64 s[16:17], s[16:17], s[18:19]
	v_cndmask_b32_e64 v15, v16, v71, s[16:17]
	v_cndmask_b32_e64 v14, v68, v67, s[16:17]
	v_add_u32_e32 v82, 1, v15
	v_add_u32_e32 v14, -1, v14
	v_min_u32_e32 v14, v82, v14
	v_lshl_add_u32 v14, v14, 1, v52
	ds_read_b32 v12, v12 offset:4096
	ds_read_b32 v13, v13 offset:4096
	ds_read_u16 v83, v14
	v_lshl_add_u32 v15, v15, 2, v51
	ds_read_b32 v15, v15 offset:4096
	v_lshl_add_u32 v14, v48, 2, v51
	v_cndmask_b32_e64 v85, v82, v16, s[16:17]
	s_waitcnt lgkmcnt(1)
	v_cndmask_b32_e64 v84, v83, v81, s[16:17]
	v_cndmask_b32_e64 v83, v80, v83, s[16:17]
	;; [unrolled: 1-line block ×3, first 2 shown]
	v_lshlrev_b32_e32 v16, 16, v84
	v_lshlrev_b32_e32 v48, 16, v83
	v_cmp_lt_u32_e64 s[20:21], v71, v67
	v_cmp_nlt_f32_e64 s[22:23], v16, v48
	v_cmp_ge_u32_e64 s[18:19], v85, v68
	s_and_b64 s[20:21], s[20:21], s[22:23]
	s_or_b64 s[18:19], s[18:19], s[20:21]
	v_cndmask_b32_e64 v16, v85, v71, s[18:19]
	v_cndmask_b32_e64 v48, v68, v67, s[18:19]
	v_lshl_add_u32 v82, v16, 2, v51
	v_add_u32_e32 v86, 1, v16
	v_add_u32_e32 v16, -1, v48
	v_min_u32_e32 v16, v86, v16
	ds_read_b32 v14, v14 offset:4096
	v_lshl_add_u32 v48, v16, 1, v52
	ds_read_b32 v16, v82 offset:4096
	ds_read_u16 v82, v48
	v_cndmask_b32_e64 v48, v17, v3, s[4:5]
	v_cndmask_b32_e64 v49, v53, v69, s[10:11]
	;; [unrolled: 1-line block ×3, first 2 shown]
	v_cmp_lt_u32_e64 s[4:5], v17, v67
	s_waitcnt lgkmcnt(0)
	v_cndmask_b32_e64 v53, v82, v84, s[18:19]
	v_cndmask_b32_e64 v69, v83, v82, s[18:19]
	v_lshlrev_b32_e32 v50, 16, v53
	v_lshlrev_b32_e32 v67, 16, v69
	v_cndmask_b32_e64 v3, v86, v85, s[18:19]
	v_cmp_nlt_f32_e64 s[6:7], v50, v67
	v_cmp_ge_u32_e32 vcc, v3, v68
	s_and_b64 s[4:5], s[4:5], s[6:7]
	s_or_b64 vcc, vcc, s[4:5]
	v_cndmask_b32_e32 v3, v3, v17, vcc
	v_lshl_add_u32 v3, v3, 2, v51
	ds_read_b32 v17, v3 offset:4096
	v_cndmask_b32_e64 v2, v2, v70, s[14:15]
	v_cndmask_b32_e64 v50, v81, v80, s[16:17]
	;; [unrolled: 1-line block ×3, first 2 shown]
	v_cndmask_b32_e32 v53, v53, v69, vcc
.LBB1971_29:
	s_or_b64 exec, exec, s[26:27]
	s_mov_b32 s4, 0x5040100
	v_perm_b32 v71, v53, v3, s4
	v_perm_b32 v70, v50, v2, s4
	;; [unrolled: 1-line block ×4, first 2 shown]
	; wave barrier
	ds_write_b128 v65, v[10:13] offset:4096
	ds_write_b128 v64, v[68:71]
	s_waitcnt lgkmcnt(2)
	ds_write_b128 v66, v[14:17] offset:16
	v_and_b32_e32 v71, 0x3c0, v55
	v_or_b32_e32 v67, 32, v71
	v_min_u32_e32 v67, v54, v67
	v_add_u32_e32 v68, 32, v67
	v_min_u32_e32 v68, v54, v68
	v_and_b32_e32 v69, 56, v55
	v_min_u32_e32 v80, v54, v69
	v_sub_u32_e32 v81, v67, v71
	v_sub_u32_e32 v70, v68, v67
	v_sub_u32_e64 v70, v80, v70 clamp
	v_min_u32_e32 v81, v80, v81
	v_lshl_add_u32 v69, v71, 1, v52
	v_cmp_lt_u32_e32 vcc, v70, v81
	; wave barrier
	s_and_saveexec_b64 s[4:5], vcc
	s_cbranch_execz .LBB1971_33
; %bb.30:
	v_lshlrev_b32_e32 v82, 1, v67
	v_lshlrev_b32_e32 v83, 1, v80
	v_add3_u32 v82, v52, v82, v83
	s_mov_b64 s[6:7], 0
.LBB1971_31:                            ; =>This Inner Loop Header: Depth=1
	v_add_u32_e32 v83, v81, v70
	v_lshrrev_b32_e32 v84, 1, v83
	v_and_b32_e32 v83, -2, v83
	v_not_b32_e32 v85, v84
	v_add_u32_e32 v83, v69, v83
	v_lshl_add_u32 v85, v85, 1, v82
	ds_read_u16 v83, v83
	ds_read_u16 v85, v85
	v_add_u32_e32 v86, 1, v84
	s_waitcnt lgkmcnt(1)
	v_lshlrev_b32_e32 v83, 16, v83
	s_waitcnt lgkmcnt(0)
	v_lshlrev_b32_e32 v85, 16, v85
	v_cmp_lt_f32_e32 vcc, v85, v83
	v_cndmask_b32_e32 v81, v81, v84, vcc
	v_cndmask_b32_e32 v70, v86, v70, vcc
	v_cmp_ge_u32_e32 vcc, v70, v81
	s_or_b64 s[6:7], vcc, s[6:7]
	s_andn2_b64 exec, exec, s[6:7]
	s_cbranch_execnz .LBB1971_31
; %bb.32:
	s_or_b64 exec, exec, s[6:7]
.LBB1971_33:
	s_or_b64 exec, exec, s[4:5]
	v_add_u32_e32 v80, v67, v80
	v_add_u32_e32 v71, v70, v71
	v_sub_u32_e32 v80, v80, v70
	v_cmp_le_u32_e32 vcc, v71, v67
	v_cmp_le_u32_e64 s[4:5], v80, v68
	s_or_b64 s[4:5], vcc, s[4:5]
	s_and_saveexec_b64 s[26:27], s[4:5]
	s_cbranch_execz .LBB1971_39
; %bb.34:
	v_cmp_lt_u32_e32 vcc, v71, v67
                                        ; implicit-def: $vgpr0
	s_and_saveexec_b64 s[4:5], vcc
	s_cbranch_execz .LBB1971_36
; %bb.35:
	v_lshl_add_u32 v0, v70, 1, v69
	ds_read_u16 v0, v0
.LBB1971_36:
	s_or_b64 exec, exec, s[4:5]
	v_cmp_ge_u32_e64 s[4:5], v80, v68
	v_cmp_lt_u32_e64 s[6:7], v80, v68
                                        ; implicit-def: $vgpr1
	s_and_saveexec_b64 s[10:11], s[6:7]
	s_cbranch_execz .LBB1971_38
; %bb.37:
	v_lshl_add_u32 v1, v80, 1, v52
	ds_read_u16 v1, v1
.LBB1971_38:
	s_or_b64 exec, exec, s[10:11]
	s_waitcnt lgkmcnt(0)
	v_lshlrev_b32_e32 v2, 16, v0
	v_lshlrev_b32_e32 v3, 16, v1
	v_cmp_nlt_f32_e64 s[6:7], v3, v2
	s_and_b64 s[6:7], vcc, s[6:7]
	s_or_b64 vcc, s[4:5], s[6:7]
	v_cndmask_b32_e32 v2, v80, v71, vcc
	v_cndmask_b32_e32 v3, v68, v67, vcc
	v_add_u32_e32 v10, 1, v2
	v_add_u32_e32 v3, -1, v3
	v_min_u32_e32 v3, v10, v3
	v_lshl_add_u32 v3, v3, 1, v52
	ds_read_u16 v3, v3
	v_cndmask_b32_e32 v11, v10, v80, vcc
	v_cndmask_b32_e32 v10, v71, v10, vcc
	v_cmp_lt_u32_e64 s[6:7], v10, v67
	v_cmp_ge_u32_e64 s[4:5], v11, v68
	s_waitcnt lgkmcnt(0)
	v_cndmask_b32_e32 v17, v3, v1, vcc
	v_cndmask_b32_e32 v3, v0, v3, vcc
	v_lshlrev_b32_e32 v12, 16, v17
	v_lshlrev_b32_e32 v13, 16, v3
	v_cmp_nlt_f32_e64 s[10:11], v12, v13
	s_and_b64 s[6:7], s[6:7], s[10:11]
	s_or_b64 s[4:5], s[4:5], s[6:7]
	v_cndmask_b32_e64 v12, v11, v10, s[4:5]
	v_cndmask_b32_e64 v13, v68, v67, s[4:5]
	v_add_u32_e32 v14, 1, v12
	v_add_u32_e32 v13, -1, v13
	v_min_u32_e32 v13, v14, v13
	v_lshl_add_u32 v13, v13, 1, v52
	ds_read_u16 v13, v13
	v_cndmask_b32_e64 v11, v14, v11, s[4:5]
	v_cndmask_b32_e64 v10, v10, v14, s[4:5]
	v_cmp_lt_u32_e64 s[10:11], v10, v67
	v_cmp_ge_u32_e64 s[6:7], v11, v68
	s_waitcnt lgkmcnt(0)
	v_cndmask_b32_e64 v49, v13, v17, s[4:5]
	v_cndmask_b32_e64 v50, v3, v13, s[4:5]
	v_lshlrev_b32_e32 v13, 16, v49
	v_lshlrev_b32_e32 v14, 16, v50
	v_cmp_nlt_f32_e64 s[14:15], v13, v14
	s_and_b64 s[10:11], s[10:11], s[14:15]
	s_or_b64 s[6:7], s[6:7], s[10:11]
	v_cndmask_b32_e64 v13, v11, v10, s[6:7]
	v_cndmask_b32_e64 v14, v68, v67, s[6:7]
	v_add_u32_e32 v15, 1, v13
	v_add_u32_e32 v14, -1, v14
	v_min_u32_e32 v14, v15, v14
	v_lshl_add_u32 v14, v14, 1, v52
	ds_read_u16 v14, v14
	v_lshl_add_u32 v2, v2, 2, v51
	v_cndmask_b32_e32 v0, v1, v0, vcc
	v_cndmask_b32_e64 v1, v49, v50, s[6:7]
	s_waitcnt lgkmcnt(0)
	v_cndmask_b32_e64 v53, v14, v49, s[6:7]
	v_cndmask_b32_e64 v69, v50, v14, s[6:7]
	;; [unrolled: 1-line block ×4, first 2 shown]
	v_lshlrev_b32_e32 v10, 16, v53
	v_lshlrev_b32_e32 v11, 16, v69
	v_cmp_lt_u32_e64 s[14:15], v15, v67
	v_cmp_nlt_f32_e64 s[16:17], v10, v11
	v_cmp_ge_u32_e64 s[10:11], v14, v68
	s_and_b64 s[14:15], s[14:15], s[16:17]
	s_or_b64 s[10:11], s[10:11], s[14:15]
	v_cndmask_b32_e64 v16, v14, v15, s[10:11]
	v_cndmask_b32_e64 v10, v68, v67, s[10:11]
	v_add_u32_e32 v48, 1, v16
	v_add_u32_e32 v10, -1, v10
	v_min_u32_e32 v10, v48, v10
	v_lshl_add_u32 v10, v10, 1, v52
	ds_read_u16 v70, v10
	ds_read_b32 v10, v2 offset:4096
	v_lshl_add_u32 v2, v12, 2, v51
	ds_read_b32 v11, v2 offset:4096
	v_cndmask_b32_e64 v14, v48, v14, s[10:11]
	s_waitcnt lgkmcnt(2)
	v_cndmask_b32_e64 v2, v70, v53, s[10:11]
	v_cndmask_b32_e64 v70, v69, v70, s[10:11]
	;; [unrolled: 1-line block ×3, first 2 shown]
	v_lshlrev_b32_e32 v12, 16, v2
	v_lshlrev_b32_e32 v48, 16, v70
	v_cmp_lt_u32_e64 s[16:17], v15, v67
	v_cmp_nlt_f32_e64 s[18:19], v12, v48
	v_cmp_ge_u32_e64 s[14:15], v14, v68
	s_and_b64 s[16:17], s[16:17], s[18:19]
	s_or_b64 s[14:15], s[14:15], s[16:17]
	v_cndmask_b32_e64 v48, v14, v15, s[14:15]
	v_cndmask_b32_e64 v12, v68, v67, s[14:15]
	v_add_u32_e32 v71, 1, v48
	v_add_u32_e32 v12, -1, v12
	v_min_u32_e32 v12, v71, v12
	v_lshl_add_u32 v12, v12, 1, v52
	ds_read_u16 v80, v12
	v_lshl_add_u32 v12, v13, 2, v51
	v_lshl_add_u32 v13, v16, 2, v51
	v_cndmask_b32_e64 v16, v71, v14, s[14:15]
	v_cndmask_b32_e64 v71, v15, v71, s[14:15]
	s_waitcnt lgkmcnt(0)
	v_cndmask_b32_e64 v81, v80, v2, s[14:15]
	v_cndmask_b32_e64 v80, v70, v80, s[14:15]
	v_lshlrev_b32_e32 v14, 16, v81
	v_lshlrev_b32_e32 v15, 16, v80
	v_cmp_lt_u32_e64 s[18:19], v71, v67
	v_cmp_nlt_f32_e64 s[20:21], v14, v15
	v_cmp_ge_u32_e64 s[16:17], v16, v68
	s_and_b64 s[18:19], s[18:19], s[20:21]
	s_or_b64 s[16:17], s[16:17], s[18:19]
	v_cndmask_b32_e64 v15, v16, v71, s[16:17]
	v_cndmask_b32_e64 v14, v68, v67, s[16:17]
	v_add_u32_e32 v82, 1, v15
	v_add_u32_e32 v14, -1, v14
	v_min_u32_e32 v14, v82, v14
	v_lshl_add_u32 v14, v14, 1, v52
	ds_read_b32 v12, v12 offset:4096
	ds_read_b32 v13, v13 offset:4096
	ds_read_u16 v83, v14
	v_lshl_add_u32 v15, v15, 2, v51
	ds_read_b32 v15, v15 offset:4096
	v_lshl_add_u32 v14, v48, 2, v51
	v_cndmask_b32_e64 v85, v82, v16, s[16:17]
	s_waitcnt lgkmcnt(1)
	v_cndmask_b32_e64 v84, v83, v81, s[16:17]
	v_cndmask_b32_e64 v83, v80, v83, s[16:17]
	;; [unrolled: 1-line block ×3, first 2 shown]
	v_lshlrev_b32_e32 v16, 16, v84
	v_lshlrev_b32_e32 v48, 16, v83
	v_cmp_lt_u32_e64 s[20:21], v71, v67
	v_cmp_nlt_f32_e64 s[22:23], v16, v48
	v_cmp_ge_u32_e64 s[18:19], v85, v68
	s_and_b64 s[20:21], s[20:21], s[22:23]
	s_or_b64 s[18:19], s[18:19], s[20:21]
	v_cndmask_b32_e64 v16, v85, v71, s[18:19]
	v_cndmask_b32_e64 v48, v68, v67, s[18:19]
	v_lshl_add_u32 v82, v16, 2, v51
	v_add_u32_e32 v86, 1, v16
	v_add_u32_e32 v16, -1, v48
	v_min_u32_e32 v16, v86, v16
	ds_read_b32 v14, v14 offset:4096
	v_lshl_add_u32 v48, v16, 1, v52
	ds_read_b32 v16, v82 offset:4096
	ds_read_u16 v82, v48
	v_cndmask_b32_e64 v48, v17, v3, s[4:5]
	v_cndmask_b32_e64 v49, v53, v69, s[10:11]
	v_cndmask_b32_e64 v17, v71, v86, s[18:19]
	v_cmp_lt_u32_e64 s[4:5], v17, v67
	s_waitcnt lgkmcnt(0)
	v_cndmask_b32_e64 v53, v82, v84, s[18:19]
	v_cndmask_b32_e64 v69, v83, v82, s[18:19]
	v_lshlrev_b32_e32 v50, 16, v53
	v_lshlrev_b32_e32 v67, 16, v69
	v_cndmask_b32_e64 v3, v86, v85, s[18:19]
	v_cmp_nlt_f32_e64 s[6:7], v50, v67
	v_cmp_ge_u32_e32 vcc, v3, v68
	s_and_b64 s[4:5], s[4:5], s[6:7]
	s_or_b64 vcc, vcc, s[4:5]
	v_cndmask_b32_e32 v3, v3, v17, vcc
	v_lshl_add_u32 v3, v3, 2, v51
	ds_read_b32 v17, v3 offset:4096
	v_cndmask_b32_e64 v2, v2, v70, s[14:15]
	v_cndmask_b32_e64 v50, v81, v80, s[16:17]
	;; [unrolled: 1-line block ×3, first 2 shown]
	v_cndmask_b32_e32 v53, v53, v69, vcc
.LBB1971_39:
	s_or_b64 exec, exec, s[26:27]
	s_mov_b32 s4, 0x5040100
	v_perm_b32 v71, v53, v3, s4
	v_perm_b32 v70, v50, v2, s4
	;; [unrolled: 1-line block ×4, first 2 shown]
	; wave barrier
	ds_write_b128 v65, v[10:13] offset:4096
	ds_write_b128 v64, v[68:71]
	s_waitcnt lgkmcnt(2)
	ds_write_b128 v66, v[14:17] offset:16
	v_and_b32_e32 v66, 0x380, v55
	v_or_b32_e32 v64, 64, v66
	v_min_u32_e32 v64, v54, v64
	v_add_u32_e32 v65, 64, v64
	v_min_u32_e32 v65, v54, v65
	v_and_b32_e32 v55, 0x78, v55
	v_min_u32_e32 v67, v54, v55
	v_sub_u32_e32 v68, v64, v66
	v_sub_u32_e32 v55, v65, v64
	v_sub_u32_e64 v55, v67, v55 clamp
	v_min_u32_e32 v68, v67, v68
	v_lshl_add_u32 v54, v66, 1, v52
	v_cmp_lt_u32_e32 vcc, v55, v68
	; wave barrier
	s_and_saveexec_b64 s[4:5], vcc
	s_cbranch_execz .LBB1971_43
; %bb.40:
	v_lshlrev_b32_e32 v69, 1, v64
	v_lshlrev_b32_e32 v70, 1, v67
	v_add3_u32 v69, v52, v69, v70
	s_mov_b64 s[6:7], 0
.LBB1971_41:                            ; =>This Inner Loop Header: Depth=1
	v_add_u32_e32 v70, v68, v55
	v_lshrrev_b32_e32 v71, 1, v70
	v_and_b32_e32 v70, -2, v70
	v_not_b32_e32 v80, v71
	v_add_u32_e32 v70, v54, v70
	v_lshl_add_u32 v80, v80, 1, v69
	ds_read_u16 v70, v70
	ds_read_u16 v80, v80
	v_add_u32_e32 v81, 1, v71
	s_waitcnt lgkmcnt(1)
	v_lshlrev_b32_e32 v70, 16, v70
	s_waitcnt lgkmcnt(0)
	v_lshlrev_b32_e32 v80, 16, v80
	v_cmp_lt_f32_e32 vcc, v80, v70
	v_cndmask_b32_e32 v68, v68, v71, vcc
	v_cndmask_b32_e32 v55, v81, v55, vcc
	v_cmp_ge_u32_e32 vcc, v55, v68
	s_or_b64 s[6:7], vcc, s[6:7]
	s_andn2_b64 exec, exec, s[6:7]
	s_cbranch_execnz .LBB1971_41
; %bb.42:
	s_or_b64 exec, exec, s[6:7]
.LBB1971_43:
	s_or_b64 exec, exec, s[4:5]
	v_add_u32_e32 v67, v64, v67
	v_add_u32_e32 v66, v55, v66
	v_sub_u32_e32 v67, v67, v55
	v_cmp_le_u32_e32 vcc, v66, v64
	v_cmp_le_u32_e64 s[4:5], v67, v65
	s_or_b64 s[4:5], vcc, s[4:5]
	s_and_saveexec_b64 s[26:27], s[4:5]
	s_cbranch_execz .LBB1971_49
; %bb.44:
	v_cmp_lt_u32_e32 vcc, v66, v64
                                        ; implicit-def: $vgpr0
	s_and_saveexec_b64 s[4:5], vcc
	s_cbranch_execz .LBB1971_46
; %bb.45:
	v_lshl_add_u32 v0, v55, 1, v54
	ds_read_u16 v0, v0
.LBB1971_46:
	s_or_b64 exec, exec, s[4:5]
	v_cmp_ge_u32_e64 s[4:5], v67, v65
	v_cmp_lt_u32_e64 s[6:7], v67, v65
                                        ; implicit-def: $vgpr1
	s_and_saveexec_b64 s[10:11], s[6:7]
	s_cbranch_execz .LBB1971_48
; %bb.47:
	v_lshl_add_u32 v1, v67, 1, v52
	ds_read_u16 v1, v1
.LBB1971_48:
	s_or_b64 exec, exec, s[10:11]
	s_waitcnt lgkmcnt(0)
	v_lshlrev_b32_e32 v2, 16, v0
	v_lshlrev_b32_e32 v3, 16, v1
	v_cmp_nlt_f32_e64 s[6:7], v3, v2
	s_and_b64 s[6:7], vcc, s[6:7]
	s_or_b64 vcc, s[4:5], s[6:7]
	v_cndmask_b32_e32 v2, v67, v66, vcc
	v_cndmask_b32_e32 v3, v65, v64, vcc
	v_add_u32_e32 v10, 1, v2
	v_add_u32_e32 v3, -1, v3
	v_min_u32_e32 v3, v10, v3
	v_lshl_add_u32 v3, v3, 1, v52
	ds_read_u16 v3, v3
	v_cndmask_b32_e32 v11, v10, v67, vcc
	v_cndmask_b32_e32 v10, v66, v10, vcc
	v_cmp_lt_u32_e64 s[6:7], v10, v64
	v_cmp_ge_u32_e64 s[4:5], v11, v65
	s_waitcnt lgkmcnt(0)
	v_cndmask_b32_e32 v17, v3, v1, vcc
	v_cndmask_b32_e32 v3, v0, v3, vcc
	v_lshlrev_b32_e32 v12, 16, v17
	v_lshlrev_b32_e32 v13, 16, v3
	v_cmp_nlt_f32_e64 s[10:11], v12, v13
	s_and_b64 s[6:7], s[6:7], s[10:11]
	s_or_b64 s[4:5], s[4:5], s[6:7]
	v_cndmask_b32_e64 v12, v11, v10, s[4:5]
	v_cndmask_b32_e64 v13, v65, v64, s[4:5]
	v_add_u32_e32 v14, 1, v12
	v_add_u32_e32 v13, -1, v13
	v_min_u32_e32 v13, v14, v13
	v_lshl_add_u32 v13, v13, 1, v52
	ds_read_u16 v13, v13
	v_cndmask_b32_e64 v11, v14, v11, s[4:5]
	v_cndmask_b32_e64 v10, v10, v14, s[4:5]
	v_cmp_lt_u32_e64 s[10:11], v10, v64
	v_cmp_ge_u32_e64 s[6:7], v11, v65
	s_waitcnt lgkmcnt(0)
	v_cndmask_b32_e64 v49, v13, v17, s[4:5]
	v_cndmask_b32_e64 v50, v3, v13, s[4:5]
	v_lshlrev_b32_e32 v13, 16, v49
	v_lshlrev_b32_e32 v14, 16, v50
	v_cmp_nlt_f32_e64 s[14:15], v13, v14
	s_and_b64 s[10:11], s[10:11], s[14:15]
	s_or_b64 s[6:7], s[6:7], s[10:11]
	v_cndmask_b32_e64 v13, v11, v10, s[6:7]
	v_cndmask_b32_e64 v14, v65, v64, s[6:7]
	v_add_u32_e32 v15, 1, v13
	v_add_u32_e32 v14, -1, v14
	v_min_u32_e32 v14, v15, v14
	v_lshl_add_u32 v14, v14, 1, v52
	ds_read_u16 v14, v14
	v_lshl_add_u32 v2, v2, 2, v51
	v_cndmask_b32_e32 v0, v1, v0, vcc
	v_cndmask_b32_e64 v1, v49, v50, s[6:7]
	s_waitcnt lgkmcnt(0)
	v_cndmask_b32_e64 v53, v14, v49, s[6:7]
	v_cndmask_b32_e64 v54, v50, v14, s[6:7]
	;; [unrolled: 1-line block ×4, first 2 shown]
	v_lshlrev_b32_e32 v10, 16, v53
	v_lshlrev_b32_e32 v11, 16, v54
	v_cmp_lt_u32_e64 s[14:15], v15, v64
	v_cmp_nlt_f32_e64 s[16:17], v10, v11
	v_cmp_ge_u32_e64 s[10:11], v14, v65
	s_and_b64 s[14:15], s[14:15], s[16:17]
	s_or_b64 s[10:11], s[10:11], s[14:15]
	v_cndmask_b32_e64 v16, v14, v15, s[10:11]
	v_cndmask_b32_e64 v10, v65, v64, s[10:11]
	v_add_u32_e32 v48, 1, v16
	v_add_u32_e32 v10, -1, v10
	v_min_u32_e32 v10, v48, v10
	v_lshl_add_u32 v10, v10, 1, v52
	ds_read_u16 v55, v10
	ds_read_b32 v10, v2 offset:4096
	v_lshl_add_u32 v2, v12, 2, v51
	ds_read_b32 v11, v2 offset:4096
	v_cndmask_b32_e64 v14, v48, v14, s[10:11]
	s_waitcnt lgkmcnt(2)
	v_cndmask_b32_e64 v2, v55, v53, s[10:11]
	v_cndmask_b32_e64 v55, v54, v55, s[10:11]
	;; [unrolled: 1-line block ×3, first 2 shown]
	v_lshlrev_b32_e32 v12, 16, v2
	v_lshlrev_b32_e32 v48, 16, v55
	v_cmp_lt_u32_e64 s[16:17], v15, v64
	v_cmp_nlt_f32_e64 s[18:19], v12, v48
	v_cmp_ge_u32_e64 s[14:15], v14, v65
	s_and_b64 s[16:17], s[16:17], s[18:19]
	s_or_b64 s[14:15], s[14:15], s[16:17]
	v_cndmask_b32_e64 v48, v14, v15, s[14:15]
	v_cndmask_b32_e64 v12, v65, v64, s[14:15]
	v_add_u32_e32 v66, 1, v48
	v_add_u32_e32 v12, -1, v12
	v_min_u32_e32 v12, v66, v12
	v_lshl_add_u32 v12, v12, 1, v52
	ds_read_u16 v67, v12
	v_lshl_add_u32 v12, v13, 2, v51
	v_lshl_add_u32 v13, v16, 2, v51
	v_cndmask_b32_e64 v16, v66, v14, s[14:15]
	v_cndmask_b32_e64 v66, v15, v66, s[14:15]
	s_waitcnt lgkmcnt(0)
	v_cndmask_b32_e64 v68, v67, v2, s[14:15]
	v_cndmask_b32_e64 v67, v55, v67, s[14:15]
	v_lshlrev_b32_e32 v14, 16, v68
	v_lshlrev_b32_e32 v15, 16, v67
	v_cmp_lt_u32_e64 s[18:19], v66, v64
	v_cmp_nlt_f32_e64 s[20:21], v14, v15
	v_cmp_ge_u32_e64 s[16:17], v16, v65
	s_and_b64 s[18:19], s[18:19], s[20:21]
	s_or_b64 s[16:17], s[16:17], s[18:19]
	v_cndmask_b32_e64 v15, v16, v66, s[16:17]
	v_cndmask_b32_e64 v14, v65, v64, s[16:17]
	v_add_u32_e32 v69, 1, v15
	v_add_u32_e32 v14, -1, v14
	v_min_u32_e32 v14, v69, v14
	v_lshl_add_u32 v14, v14, 1, v52
	ds_read_b32 v12, v12 offset:4096
	ds_read_b32 v13, v13 offset:4096
	ds_read_u16 v70, v14
	v_lshl_add_u32 v15, v15, 2, v51
	ds_read_b32 v15, v15 offset:4096
	v_lshl_add_u32 v14, v48, 2, v51
	v_cndmask_b32_e64 v80, v69, v16, s[16:17]
	s_waitcnt lgkmcnt(1)
	v_cndmask_b32_e64 v71, v70, v68, s[16:17]
	v_cndmask_b32_e64 v70, v67, v70, s[16:17]
	;; [unrolled: 1-line block ×3, first 2 shown]
	v_lshlrev_b32_e32 v16, 16, v71
	v_lshlrev_b32_e32 v48, 16, v70
	v_cmp_lt_u32_e64 s[20:21], v66, v64
	v_cmp_nlt_f32_e64 s[22:23], v16, v48
	v_cmp_ge_u32_e64 s[18:19], v80, v65
	s_and_b64 s[20:21], s[20:21], s[22:23]
	s_or_b64 s[18:19], s[18:19], s[20:21]
	v_cndmask_b32_e64 v16, v80, v66, s[18:19]
	v_cndmask_b32_e64 v48, v65, v64, s[18:19]
	v_lshl_add_u32 v69, v16, 2, v51
	v_add_u32_e32 v81, 1, v16
	v_add_u32_e32 v16, -1, v48
	v_min_u32_e32 v16, v81, v16
	ds_read_b32 v14, v14 offset:4096
	v_lshl_add_u32 v48, v16, 1, v52
	ds_read_b32 v16, v69 offset:4096
	ds_read_u16 v52, v48
	v_cndmask_b32_e64 v49, v53, v54, s[10:11]
	v_cndmask_b32_e64 v48, v17, v3, s[4:5]
	;; [unrolled: 1-line block ×4, first 2 shown]
	s_waitcnt lgkmcnt(0)
	v_cndmask_b32_e64 v53, v52, v71, s[18:19]
	v_cndmask_b32_e64 v52, v70, v52, s[18:19]
	v_lshlrev_b32_e32 v50, 16, v53
	v_lshlrev_b32_e32 v54, 16, v52
	v_cmp_lt_u32_e64 s[4:5], v17, v64
	v_cmp_nlt_f32_e64 s[6:7], v50, v54
	v_cmp_ge_u32_e32 vcc, v3, v65
	s_and_b64 s[4:5], s[4:5], s[6:7]
	s_or_b64 vcc, vcc, s[4:5]
	v_cndmask_b32_e32 v3, v3, v17, vcc
	v_lshl_add_u32 v3, v3, 2, v51
	ds_read_b32 v17, v3 offset:4096
	v_cndmask_b32_e64 v2, v2, v55, s[14:15]
	v_cndmask_b32_e64 v50, v68, v67, s[16:17]
	;; [unrolled: 1-line block ×3, first 2 shown]
	v_cndmask_b32_e32 v53, v53, v52, vcc
.LBB1971_49:
	s_or_b64 exec, exec, s[26:27]
	v_lshlrev_b32_e32 v52, 1, v30
	v_lshlrev_b32_e32 v51, 4, v18
	s_mov_b32 s4, 0x5040100
	v_add_u32_e32 v54, v52, v51
	v_perm_b32 v67, v53, v3, s4
	v_perm_b32 v66, v50, v2, s4
	;; [unrolled: 1-line block ×4, first 2 shown]
	v_and_b32_e32 v68, 0x1f00, v30
	; wave barrier
	s_waitcnt lgkmcnt(0)
	s_barrier
	v_lshlrev_b32_e32 v55, 2, v30
	ds_write_b128 v54, v[10:13] offset:4096
	ds_write_b128 v52, v[64:67]
	ds_write_b128 v55, v[14:17] offset:4112
	v_or_b32_e32 v65, 0x80, v68
	v_min_u32_e32 v64, 0x800, v65
	v_min_u32_e32 v65, 0x780, v65
	v_add_u32_e32 v65, 0x80, v65
	v_and_b32_e32 v69, 0xf8, v30
	v_sub_u32_e32 v70, v64, v68
	v_sub_u32_e32 v67, v65, v64
	v_sub_u32_e64 v67, v69, v67 clamp
	v_min_u32_e32 v70, v69, v70
	v_lshlrev_b32_e32 v66, 1, v68
	v_cmp_lt_u32_e32 vcc, v67, v70
	s_waitcnt lgkmcnt(0)
	s_barrier
	s_and_saveexec_b64 s[4:5], vcc
	s_cbranch_execz .LBB1971_53
; %bb.50:
	v_lshlrev_b32_e32 v71, 1, v69
	v_lshl_add_u32 v71, v64, 1, v71
	s_mov_b64 s[6:7], 0
.LBB1971_51:                            ; =>This Inner Loop Header: Depth=1
	v_add_u32_e32 v80, v70, v67
	v_lshrrev_b32_e32 v81, 1, v80
	v_and_b32_e32 v80, -2, v80
	v_not_b32_e32 v82, v81
	v_add_u32_e32 v80, v66, v80
	v_lshl_add_u32 v82, v82, 1, v71
	ds_read_u16 v80, v80
	ds_read_u16 v82, v82
	v_add_u32_e32 v83, 1, v81
	s_waitcnt lgkmcnt(1)
	v_lshlrev_b32_e32 v80, 16, v80
	s_waitcnt lgkmcnt(0)
	v_lshlrev_b32_e32 v82, 16, v82
	v_cmp_lt_f32_e32 vcc, v82, v80
	v_cndmask_b32_e32 v70, v70, v81, vcc
	v_cndmask_b32_e32 v67, v83, v67, vcc
	v_cmp_ge_u32_e32 vcc, v67, v70
	s_or_b64 s[6:7], vcc, s[6:7]
	s_andn2_b64 exec, exec, s[6:7]
	s_cbranch_execnz .LBB1971_51
; %bb.52:
	s_or_b64 exec, exec, s[6:7]
.LBB1971_53:
	s_or_b64 exec, exec, s[4:5]
	v_sub_u32_e32 v69, v69, v67
	v_add_u32_e32 v68, v67, v68
	v_add_u32_e32 v69, v69, v64
	v_cmp_le_u32_e32 vcc, v68, v64
	v_cmp_le_u32_e64 s[4:5], v69, v65
	v_add_u32_e32 v55, 0x1000, v55
	s_or_b64 s[4:5], vcc, s[4:5]
	s_and_saveexec_b64 s[26:27], s[4:5]
	s_cbranch_execz .LBB1971_59
; %bb.54:
	v_cmp_lt_u32_e32 vcc, v68, v64
                                        ; implicit-def: $vgpr0
	s_and_saveexec_b64 s[4:5], vcc
	s_cbranch_execz .LBB1971_56
; %bb.55:
	v_lshl_add_u32 v0, v67, 1, v66
	ds_read_u16 v0, v0
.LBB1971_56:
	s_or_b64 exec, exec, s[4:5]
	v_cmp_ge_u32_e64 s[4:5], v69, v65
	v_cmp_lt_u32_e64 s[6:7], v69, v65
                                        ; implicit-def: $vgpr1
	s_and_saveexec_b64 s[10:11], s[6:7]
	s_cbranch_execz .LBB1971_58
; %bb.57:
	v_lshlrev_b32_e32 v1, 1, v69
	ds_read_u16 v1, v1
.LBB1971_58:
	s_or_b64 exec, exec, s[10:11]
	s_waitcnt lgkmcnt(0)
	v_lshlrev_b32_e32 v2, 16, v0
	v_lshlrev_b32_e32 v3, 16, v1
	v_cmp_nlt_f32_e64 s[6:7], v3, v2
	s_and_b64 s[6:7], vcc, s[6:7]
	s_or_b64 vcc, s[4:5], s[6:7]
	v_cndmask_b32_e32 v2, v69, v68, vcc
	v_cndmask_b32_e32 v3, v65, v64, vcc
	v_add_u32_e32 v10, 1, v2
	v_add_u32_e32 v3, -1, v3
	v_min_u32_e32 v3, v10, v3
	v_lshlrev_b32_e32 v3, 1, v3
	ds_read_u16 v3, v3
	v_cndmask_b32_e32 v11, v10, v69, vcc
	v_cndmask_b32_e32 v10, v68, v10, vcc
	v_cmp_lt_u32_e64 s[6:7], v10, v64
	v_cmp_ge_u32_e64 s[4:5], v11, v65
	s_waitcnt lgkmcnt(0)
	v_cndmask_b32_e32 v17, v3, v1, vcc
	v_cndmask_b32_e32 v3, v0, v3, vcc
	v_lshlrev_b32_e32 v12, 16, v17
	v_lshlrev_b32_e32 v13, 16, v3
	v_cmp_nlt_f32_e64 s[10:11], v12, v13
	s_and_b64 s[6:7], s[6:7], s[10:11]
	s_or_b64 s[4:5], s[4:5], s[6:7]
	v_cndmask_b32_e64 v12, v11, v10, s[4:5]
	v_cndmask_b32_e64 v13, v65, v64, s[4:5]
	v_add_u32_e32 v14, 1, v12
	v_add_u32_e32 v13, -1, v13
	v_min_u32_e32 v13, v14, v13
	v_lshlrev_b32_e32 v13, 1, v13
	ds_read_u16 v13, v13
	v_cndmask_b32_e64 v11, v14, v11, s[4:5]
	v_cndmask_b32_e64 v10, v10, v14, s[4:5]
	v_cmp_lt_u32_e64 s[10:11], v10, v64
	v_cmp_ge_u32_e64 s[6:7], v11, v65
	s_waitcnt lgkmcnt(0)
	v_cndmask_b32_e64 v49, v13, v17, s[4:5]
	v_cndmask_b32_e64 v50, v3, v13, s[4:5]
	v_lshlrev_b32_e32 v13, 16, v49
	v_lshlrev_b32_e32 v14, 16, v50
	v_cmp_nlt_f32_e64 s[14:15], v13, v14
	s_and_b64 s[10:11], s[10:11], s[14:15]
	s_or_b64 s[6:7], s[6:7], s[10:11]
	v_cndmask_b32_e64 v13, v11, v10, s[6:7]
	v_cndmask_b32_e64 v14, v65, v64, s[6:7]
	v_add_u32_e32 v15, 1, v13
	v_add_u32_e32 v14, -1, v14
	v_min_u32_e32 v14, v15, v14
	v_lshlrev_b32_e32 v14, 1, v14
	ds_read_u16 v14, v14
	v_lshlrev_b32_e32 v2, 2, v2
	v_cndmask_b32_e32 v0, v1, v0, vcc
	v_cndmask_b32_e64 v1, v49, v50, s[6:7]
	s_waitcnt lgkmcnt(0)
	v_cndmask_b32_e64 v53, v14, v49, s[6:7]
	v_cndmask_b32_e64 v66, v50, v14, s[6:7]
	;; [unrolled: 1-line block ×4, first 2 shown]
	v_lshlrev_b32_e32 v10, 16, v53
	v_lshlrev_b32_e32 v11, 16, v66
	v_cmp_lt_u32_e64 s[14:15], v15, v64
	v_cmp_nlt_f32_e64 s[16:17], v10, v11
	v_cmp_ge_u32_e64 s[10:11], v14, v65
	s_and_b64 s[14:15], s[14:15], s[16:17]
	s_or_b64 s[10:11], s[10:11], s[14:15]
	v_cndmask_b32_e64 v16, v14, v15, s[10:11]
	v_cndmask_b32_e64 v10, v65, v64, s[10:11]
	v_add_u32_e32 v48, 1, v16
	v_add_u32_e32 v10, -1, v10
	v_min_u32_e32 v10, v48, v10
	v_lshlrev_b32_e32 v10, 1, v10
	ds_read_u16 v67, v10
	ds_read_b32 v10, v2 offset:4096
	v_lshlrev_b32_e32 v2, 2, v12
	ds_read_b32 v11, v2 offset:4096
	v_cndmask_b32_e64 v14, v48, v14, s[10:11]
	s_waitcnt lgkmcnt(2)
	v_cndmask_b32_e64 v2, v67, v53, s[10:11]
	v_cndmask_b32_e64 v67, v66, v67, s[10:11]
	v_cndmask_b32_e64 v15, v15, v48, s[10:11]
	v_lshlrev_b32_e32 v12, 16, v2
	v_lshlrev_b32_e32 v48, 16, v67
	v_cmp_lt_u32_e64 s[16:17], v15, v64
	v_cmp_nlt_f32_e64 s[18:19], v12, v48
	v_cmp_ge_u32_e64 s[14:15], v14, v65
	s_and_b64 s[16:17], s[16:17], s[18:19]
	s_or_b64 s[14:15], s[14:15], s[16:17]
	v_cndmask_b32_e64 v48, v14, v15, s[14:15]
	v_cndmask_b32_e64 v12, v65, v64, s[14:15]
	v_add_u32_e32 v68, 1, v48
	v_add_u32_e32 v12, -1, v12
	v_min_u32_e32 v12, v68, v12
	v_lshlrev_b32_e32 v12, 1, v12
	ds_read_u16 v69, v12
	v_lshlrev_b32_e32 v12, 2, v13
	v_lshlrev_b32_e32 v13, 2, v16
	v_cndmask_b32_e64 v16, v68, v14, s[14:15]
	v_cndmask_b32_e64 v68, v15, v68, s[14:15]
	s_waitcnt lgkmcnt(0)
	v_cndmask_b32_e64 v70, v69, v2, s[14:15]
	v_cndmask_b32_e64 v69, v67, v69, s[14:15]
	v_lshlrev_b32_e32 v14, 16, v70
	v_lshlrev_b32_e32 v15, 16, v69
	v_cmp_lt_u32_e64 s[18:19], v68, v64
	v_cmp_nlt_f32_e64 s[20:21], v14, v15
	v_cmp_ge_u32_e64 s[16:17], v16, v65
	s_and_b64 s[18:19], s[18:19], s[20:21]
	s_or_b64 s[16:17], s[16:17], s[18:19]
	v_cndmask_b32_e64 v15, v16, v68, s[16:17]
	v_cndmask_b32_e64 v14, v65, v64, s[16:17]
	v_add_u32_e32 v71, 1, v15
	v_add_u32_e32 v14, -1, v14
	v_min_u32_e32 v14, v71, v14
	v_lshlrev_b32_e32 v14, 1, v14
	ds_read_b32 v12, v12 offset:4096
	ds_read_b32 v13, v13 offset:4096
	ds_read_u16 v80, v14
	v_lshlrev_b32_e32 v15, 2, v15
	ds_read_b32 v15, v15 offset:4096
	v_lshlrev_b32_e32 v14, 2, v48
	v_cndmask_b32_e64 v82, v71, v16, s[16:17]
	s_waitcnt lgkmcnt(1)
	v_cndmask_b32_e64 v81, v80, v70, s[16:17]
	v_cndmask_b32_e64 v80, v69, v80, s[16:17]
	;; [unrolled: 1-line block ×3, first 2 shown]
	v_lshlrev_b32_e32 v16, 16, v81
	v_lshlrev_b32_e32 v48, 16, v80
	v_cmp_lt_u32_e64 s[20:21], v68, v64
	v_cmp_nlt_f32_e64 s[22:23], v16, v48
	v_cmp_ge_u32_e64 s[18:19], v82, v65
	s_and_b64 s[20:21], s[20:21], s[22:23]
	s_or_b64 s[18:19], s[18:19], s[20:21]
	v_cndmask_b32_e64 v16, v82, v68, s[18:19]
	v_cndmask_b32_e64 v48, v65, v64, s[18:19]
	v_lshlrev_b32_e32 v71, 2, v16
	v_add_u32_e32 v83, 1, v16
	v_add_u32_e32 v16, -1, v48
	v_min_u32_e32 v16, v83, v16
	ds_read_b32 v14, v14 offset:4096
	v_lshlrev_b32_e32 v48, 1, v16
	ds_read_b32 v16, v71 offset:4096
	ds_read_u16 v71, v48
	v_cndmask_b32_e64 v48, v17, v3, s[4:5]
	v_cndmask_b32_e64 v49, v53, v66, s[10:11]
	;; [unrolled: 1-line block ×3, first 2 shown]
	v_cmp_lt_u32_e64 s[4:5], v17, v64
	s_waitcnt lgkmcnt(0)
	v_cndmask_b32_e64 v53, v71, v81, s[18:19]
	v_cndmask_b32_e64 v66, v80, v71, s[18:19]
	v_lshlrev_b32_e32 v50, 16, v53
	v_lshlrev_b32_e32 v64, 16, v66
	v_cndmask_b32_e64 v3, v83, v82, s[18:19]
	v_cmp_nlt_f32_e64 s[6:7], v50, v64
	v_cmp_ge_u32_e32 vcc, v3, v65
	s_and_b64 s[4:5], s[4:5], s[6:7]
	s_or_b64 vcc, vcc, s[4:5]
	v_cndmask_b32_e32 v3, v3, v17, vcc
	v_lshlrev_b32_e32 v3, 2, v3
	ds_read_b32 v17, v3 offset:4096
	v_cndmask_b32_e64 v2, v2, v67, s[14:15]
	v_cndmask_b32_e64 v50, v70, v69, s[16:17]
	;; [unrolled: 1-line block ×3, first 2 shown]
	v_cndmask_b32_e32 v53, v53, v66, vcc
.LBB1971_59:
	s_or_b64 exec, exec, s[26:27]
	s_mov_b32 s4, 0x5040100
	v_perm_b32 v67, v53, v3, s4
	v_perm_b32 v66, v50, v2, s4
	;; [unrolled: 1-line block ×4, first 2 shown]
	v_and_b32_e32 v68, 0x1e00, v30
	s_waitcnt lgkmcnt(0)
	s_barrier
	ds_write_b128 v54, v[10:13] offset:4096
	ds_write_b128 v52, v[64:67]
	ds_write_b128 v55, v[14:17] offset:16
	v_or_b32_e32 v65, 0x100, v68
	v_min_u32_e32 v64, 0x800, v65
	v_min_u32_e32 v65, 0x700, v65
	v_add_u32_e32 v65, 0x100, v65
	v_and_b32_e32 v69, 0x1f8, v30
	v_sub_u32_e32 v70, v64, v68
	v_sub_u32_e32 v67, v65, v64
	v_sub_u32_e64 v67, v69, v67 clamp
	v_min_u32_e32 v70, v69, v70
	v_lshlrev_b32_e32 v66, 1, v68
	v_cmp_lt_u32_e32 vcc, v67, v70
	s_waitcnt lgkmcnt(0)
	s_barrier
	s_and_saveexec_b64 s[4:5], vcc
	s_cbranch_execz .LBB1971_63
; %bb.60:
	v_lshlrev_b32_e32 v71, 1, v69
	v_lshl_add_u32 v71, v64, 1, v71
	s_mov_b64 s[6:7], 0
.LBB1971_61:                            ; =>This Inner Loop Header: Depth=1
	v_add_u32_e32 v80, v70, v67
	v_lshrrev_b32_e32 v81, 1, v80
	v_and_b32_e32 v80, -2, v80
	v_not_b32_e32 v82, v81
	v_add_u32_e32 v80, v66, v80
	v_lshl_add_u32 v82, v82, 1, v71
	ds_read_u16 v80, v80
	ds_read_u16 v82, v82
	v_add_u32_e32 v83, 1, v81
	s_waitcnt lgkmcnt(1)
	v_lshlrev_b32_e32 v80, 16, v80
	s_waitcnt lgkmcnt(0)
	v_lshlrev_b32_e32 v82, 16, v82
	v_cmp_lt_f32_e32 vcc, v82, v80
	v_cndmask_b32_e32 v70, v70, v81, vcc
	v_cndmask_b32_e32 v67, v83, v67, vcc
	v_cmp_ge_u32_e32 vcc, v67, v70
	s_or_b64 s[6:7], vcc, s[6:7]
	s_andn2_b64 exec, exec, s[6:7]
	s_cbranch_execnz .LBB1971_61
; %bb.62:
	s_or_b64 exec, exec, s[6:7]
.LBB1971_63:
	s_or_b64 exec, exec, s[4:5]
	v_sub_u32_e32 v69, v69, v67
	v_add_u32_e32 v68, v67, v68
	v_add_u32_e32 v69, v69, v64
	v_cmp_le_u32_e32 vcc, v68, v64
	v_cmp_le_u32_e64 s[4:5], v69, v65
	s_or_b64 s[4:5], vcc, s[4:5]
	s_and_saveexec_b64 s[26:27], s[4:5]
	s_cbranch_execz .LBB1971_69
; %bb.64:
	v_cmp_lt_u32_e32 vcc, v68, v64
                                        ; implicit-def: $vgpr0
	s_and_saveexec_b64 s[4:5], vcc
	s_cbranch_execz .LBB1971_66
; %bb.65:
	v_lshl_add_u32 v0, v67, 1, v66
	ds_read_u16 v0, v0
.LBB1971_66:
	s_or_b64 exec, exec, s[4:5]
	v_cmp_ge_u32_e64 s[4:5], v69, v65
	v_cmp_lt_u32_e64 s[6:7], v69, v65
                                        ; implicit-def: $vgpr1
	s_and_saveexec_b64 s[10:11], s[6:7]
	s_cbranch_execz .LBB1971_68
; %bb.67:
	v_lshlrev_b32_e32 v1, 1, v69
	ds_read_u16 v1, v1
.LBB1971_68:
	s_or_b64 exec, exec, s[10:11]
	s_waitcnt lgkmcnt(0)
	v_lshlrev_b32_e32 v2, 16, v0
	v_lshlrev_b32_e32 v3, 16, v1
	v_cmp_nlt_f32_e64 s[6:7], v3, v2
	s_and_b64 s[6:7], vcc, s[6:7]
	s_or_b64 vcc, s[4:5], s[6:7]
	v_cndmask_b32_e32 v2, v69, v68, vcc
	v_cndmask_b32_e32 v3, v65, v64, vcc
	v_add_u32_e32 v10, 1, v2
	v_add_u32_e32 v3, -1, v3
	v_min_u32_e32 v3, v10, v3
	v_lshlrev_b32_e32 v3, 1, v3
	ds_read_u16 v3, v3
	v_cndmask_b32_e32 v11, v10, v69, vcc
	v_cndmask_b32_e32 v10, v68, v10, vcc
	v_cmp_lt_u32_e64 s[6:7], v10, v64
	v_cmp_ge_u32_e64 s[4:5], v11, v65
	s_waitcnt lgkmcnt(0)
	v_cndmask_b32_e32 v17, v3, v1, vcc
	v_cndmask_b32_e32 v3, v0, v3, vcc
	v_lshlrev_b32_e32 v12, 16, v17
	v_lshlrev_b32_e32 v13, 16, v3
	v_cmp_nlt_f32_e64 s[10:11], v12, v13
	s_and_b64 s[6:7], s[6:7], s[10:11]
	s_or_b64 s[4:5], s[4:5], s[6:7]
	v_cndmask_b32_e64 v12, v11, v10, s[4:5]
	v_cndmask_b32_e64 v13, v65, v64, s[4:5]
	v_add_u32_e32 v14, 1, v12
	v_add_u32_e32 v13, -1, v13
	v_min_u32_e32 v13, v14, v13
	v_lshlrev_b32_e32 v13, 1, v13
	ds_read_u16 v13, v13
	v_cndmask_b32_e64 v11, v14, v11, s[4:5]
	v_cndmask_b32_e64 v10, v10, v14, s[4:5]
	v_cmp_lt_u32_e64 s[10:11], v10, v64
	v_cmp_ge_u32_e64 s[6:7], v11, v65
	s_waitcnt lgkmcnt(0)
	v_cndmask_b32_e64 v49, v13, v17, s[4:5]
	v_cndmask_b32_e64 v50, v3, v13, s[4:5]
	v_lshlrev_b32_e32 v13, 16, v49
	v_lshlrev_b32_e32 v14, 16, v50
	v_cmp_nlt_f32_e64 s[14:15], v13, v14
	s_and_b64 s[10:11], s[10:11], s[14:15]
	s_or_b64 s[6:7], s[6:7], s[10:11]
	v_cndmask_b32_e64 v13, v11, v10, s[6:7]
	v_cndmask_b32_e64 v14, v65, v64, s[6:7]
	v_add_u32_e32 v15, 1, v13
	v_add_u32_e32 v14, -1, v14
	v_min_u32_e32 v14, v15, v14
	v_lshlrev_b32_e32 v14, 1, v14
	ds_read_u16 v14, v14
	v_lshlrev_b32_e32 v2, 2, v2
	v_cndmask_b32_e32 v0, v1, v0, vcc
	v_cndmask_b32_e64 v1, v49, v50, s[6:7]
	s_waitcnt lgkmcnt(0)
	v_cndmask_b32_e64 v53, v14, v49, s[6:7]
	v_cndmask_b32_e64 v66, v50, v14, s[6:7]
	;; [unrolled: 1-line block ×4, first 2 shown]
	v_lshlrev_b32_e32 v10, 16, v53
	v_lshlrev_b32_e32 v11, 16, v66
	v_cmp_lt_u32_e64 s[14:15], v15, v64
	v_cmp_nlt_f32_e64 s[16:17], v10, v11
	v_cmp_ge_u32_e64 s[10:11], v14, v65
	s_and_b64 s[14:15], s[14:15], s[16:17]
	s_or_b64 s[10:11], s[10:11], s[14:15]
	v_cndmask_b32_e64 v16, v14, v15, s[10:11]
	v_cndmask_b32_e64 v10, v65, v64, s[10:11]
	v_add_u32_e32 v48, 1, v16
	v_add_u32_e32 v10, -1, v10
	v_min_u32_e32 v10, v48, v10
	v_lshlrev_b32_e32 v10, 1, v10
	ds_read_u16 v67, v10
	ds_read_b32 v10, v2 offset:4096
	v_lshlrev_b32_e32 v2, 2, v12
	ds_read_b32 v11, v2 offset:4096
	v_cndmask_b32_e64 v14, v48, v14, s[10:11]
	s_waitcnt lgkmcnt(2)
	v_cndmask_b32_e64 v2, v67, v53, s[10:11]
	v_cndmask_b32_e64 v67, v66, v67, s[10:11]
	;; [unrolled: 1-line block ×3, first 2 shown]
	v_lshlrev_b32_e32 v12, 16, v2
	v_lshlrev_b32_e32 v48, 16, v67
	v_cmp_lt_u32_e64 s[16:17], v15, v64
	v_cmp_nlt_f32_e64 s[18:19], v12, v48
	v_cmp_ge_u32_e64 s[14:15], v14, v65
	s_and_b64 s[16:17], s[16:17], s[18:19]
	s_or_b64 s[14:15], s[14:15], s[16:17]
	v_cndmask_b32_e64 v48, v14, v15, s[14:15]
	v_cndmask_b32_e64 v12, v65, v64, s[14:15]
	v_add_u32_e32 v68, 1, v48
	v_add_u32_e32 v12, -1, v12
	v_min_u32_e32 v12, v68, v12
	v_lshlrev_b32_e32 v12, 1, v12
	ds_read_u16 v69, v12
	v_lshlrev_b32_e32 v12, 2, v13
	v_lshlrev_b32_e32 v13, 2, v16
	v_cndmask_b32_e64 v16, v68, v14, s[14:15]
	v_cndmask_b32_e64 v68, v15, v68, s[14:15]
	s_waitcnt lgkmcnt(0)
	v_cndmask_b32_e64 v70, v69, v2, s[14:15]
	v_cndmask_b32_e64 v69, v67, v69, s[14:15]
	v_lshlrev_b32_e32 v14, 16, v70
	v_lshlrev_b32_e32 v15, 16, v69
	v_cmp_lt_u32_e64 s[18:19], v68, v64
	v_cmp_nlt_f32_e64 s[20:21], v14, v15
	v_cmp_ge_u32_e64 s[16:17], v16, v65
	s_and_b64 s[18:19], s[18:19], s[20:21]
	s_or_b64 s[16:17], s[16:17], s[18:19]
	v_cndmask_b32_e64 v15, v16, v68, s[16:17]
	v_cndmask_b32_e64 v14, v65, v64, s[16:17]
	v_add_u32_e32 v71, 1, v15
	v_add_u32_e32 v14, -1, v14
	v_min_u32_e32 v14, v71, v14
	v_lshlrev_b32_e32 v14, 1, v14
	ds_read_b32 v12, v12 offset:4096
	ds_read_b32 v13, v13 offset:4096
	ds_read_u16 v80, v14
	v_lshlrev_b32_e32 v15, 2, v15
	ds_read_b32 v15, v15 offset:4096
	v_lshlrev_b32_e32 v14, 2, v48
	v_cndmask_b32_e64 v82, v71, v16, s[16:17]
	s_waitcnt lgkmcnt(1)
	v_cndmask_b32_e64 v81, v80, v70, s[16:17]
	v_cndmask_b32_e64 v80, v69, v80, s[16:17]
	;; [unrolled: 1-line block ×3, first 2 shown]
	v_lshlrev_b32_e32 v16, 16, v81
	v_lshlrev_b32_e32 v48, 16, v80
	v_cmp_lt_u32_e64 s[20:21], v68, v64
	v_cmp_nlt_f32_e64 s[22:23], v16, v48
	v_cmp_ge_u32_e64 s[18:19], v82, v65
	s_and_b64 s[20:21], s[20:21], s[22:23]
	s_or_b64 s[18:19], s[18:19], s[20:21]
	v_cndmask_b32_e64 v16, v82, v68, s[18:19]
	v_cndmask_b32_e64 v48, v65, v64, s[18:19]
	v_lshlrev_b32_e32 v71, 2, v16
	v_add_u32_e32 v83, 1, v16
	v_add_u32_e32 v16, -1, v48
	v_min_u32_e32 v16, v83, v16
	ds_read_b32 v14, v14 offset:4096
	v_lshlrev_b32_e32 v48, 1, v16
	ds_read_b32 v16, v71 offset:4096
	ds_read_u16 v71, v48
	v_cndmask_b32_e64 v48, v17, v3, s[4:5]
	v_cndmask_b32_e64 v49, v53, v66, s[10:11]
	;; [unrolled: 1-line block ×3, first 2 shown]
	v_cmp_lt_u32_e64 s[4:5], v17, v64
	s_waitcnt lgkmcnt(0)
	v_cndmask_b32_e64 v53, v71, v81, s[18:19]
	v_cndmask_b32_e64 v66, v80, v71, s[18:19]
	v_lshlrev_b32_e32 v50, 16, v53
	v_lshlrev_b32_e32 v64, 16, v66
	v_cndmask_b32_e64 v3, v83, v82, s[18:19]
	v_cmp_nlt_f32_e64 s[6:7], v50, v64
	v_cmp_ge_u32_e32 vcc, v3, v65
	s_and_b64 s[4:5], s[4:5], s[6:7]
	s_or_b64 vcc, vcc, s[4:5]
	v_cndmask_b32_e32 v3, v3, v17, vcc
	v_lshlrev_b32_e32 v3, 2, v3
	ds_read_b32 v17, v3 offset:4096
	v_cndmask_b32_e64 v2, v2, v67, s[14:15]
	v_cndmask_b32_e64 v50, v70, v69, s[16:17]
	;; [unrolled: 1-line block ×3, first 2 shown]
	v_cndmask_b32_e32 v53, v53, v66, vcc
.LBB1971_69:
	s_or_b64 exec, exec, s[26:27]
	s_mov_b32 s4, 0x5040100
	v_perm_b32 v67, v53, v3, s4
	v_perm_b32 v66, v50, v2, s4
	;; [unrolled: 1-line block ×4, first 2 shown]
	v_and_b32_e32 v68, 0x1c00, v30
	s_waitcnt lgkmcnt(0)
	s_barrier
	ds_write_b128 v54, v[10:13] offset:4096
	ds_write_b128 v52, v[64:67]
	ds_write_b128 v55, v[14:17] offset:16
	v_or_b32_e32 v65, 0x200, v68
	v_min_u32_e32 v64, 0x800, v65
	v_min_u32_e32 v65, 0x600, v65
	v_add_u32_e32 v65, 0x200, v65
	v_and_b32_e32 v69, 0x3f8, v30
	v_sub_u32_e32 v70, v64, v68
	v_sub_u32_e32 v67, v65, v64
	v_sub_u32_e64 v67, v69, v67 clamp
	v_min_u32_e32 v70, v69, v70
	v_lshlrev_b32_e32 v66, 1, v68
	v_cmp_lt_u32_e32 vcc, v67, v70
	s_waitcnt lgkmcnt(0)
	s_barrier
	s_and_saveexec_b64 s[4:5], vcc
	s_cbranch_execz .LBB1971_73
; %bb.70:
	v_lshlrev_b32_e32 v71, 1, v69
	v_lshl_add_u32 v71, v64, 1, v71
	s_mov_b64 s[6:7], 0
.LBB1971_71:                            ; =>This Inner Loop Header: Depth=1
	v_add_u32_e32 v80, v70, v67
	v_lshrrev_b32_e32 v81, 1, v80
	v_and_b32_e32 v80, -2, v80
	v_not_b32_e32 v82, v81
	v_add_u32_e32 v80, v66, v80
	v_lshl_add_u32 v82, v82, 1, v71
	ds_read_u16 v80, v80
	ds_read_u16 v82, v82
	v_add_u32_e32 v83, 1, v81
	s_waitcnt lgkmcnt(1)
	v_lshlrev_b32_e32 v80, 16, v80
	s_waitcnt lgkmcnt(0)
	v_lshlrev_b32_e32 v82, 16, v82
	v_cmp_lt_f32_e32 vcc, v82, v80
	v_cndmask_b32_e32 v70, v70, v81, vcc
	v_cndmask_b32_e32 v67, v83, v67, vcc
	v_cmp_ge_u32_e32 vcc, v67, v70
	s_or_b64 s[6:7], vcc, s[6:7]
	s_andn2_b64 exec, exec, s[6:7]
	s_cbranch_execnz .LBB1971_71
; %bb.72:
	s_or_b64 exec, exec, s[6:7]
.LBB1971_73:
	s_or_b64 exec, exec, s[4:5]
	v_sub_u32_e32 v69, v69, v67
	v_add_u32_e32 v68, v67, v68
	v_add_u32_e32 v69, v69, v64
	v_cmp_le_u32_e32 vcc, v68, v64
	v_cmp_le_u32_e64 s[4:5], v69, v65
	s_or_b64 s[4:5], vcc, s[4:5]
	s_and_saveexec_b64 s[26:27], s[4:5]
	s_cbranch_execz .LBB1971_79
; %bb.74:
	v_cmp_lt_u32_e32 vcc, v68, v64
                                        ; implicit-def: $vgpr0
	s_and_saveexec_b64 s[4:5], vcc
	s_cbranch_execz .LBB1971_76
; %bb.75:
	v_lshl_add_u32 v0, v67, 1, v66
	ds_read_u16 v0, v0
.LBB1971_76:
	s_or_b64 exec, exec, s[4:5]
	v_cmp_ge_u32_e64 s[4:5], v69, v65
	v_cmp_lt_u32_e64 s[6:7], v69, v65
                                        ; implicit-def: $vgpr1
	s_and_saveexec_b64 s[10:11], s[6:7]
	s_cbranch_execz .LBB1971_78
; %bb.77:
	v_lshlrev_b32_e32 v1, 1, v69
	ds_read_u16 v1, v1
.LBB1971_78:
	s_or_b64 exec, exec, s[10:11]
	s_waitcnt lgkmcnt(0)
	v_lshlrev_b32_e32 v2, 16, v0
	v_lshlrev_b32_e32 v3, 16, v1
	v_cmp_nlt_f32_e64 s[6:7], v3, v2
	s_and_b64 s[6:7], vcc, s[6:7]
	s_or_b64 vcc, s[4:5], s[6:7]
	v_cndmask_b32_e32 v2, v69, v68, vcc
	v_cndmask_b32_e32 v3, v65, v64, vcc
	v_add_u32_e32 v10, 1, v2
	v_add_u32_e32 v3, -1, v3
	v_min_u32_e32 v3, v10, v3
	v_lshlrev_b32_e32 v3, 1, v3
	ds_read_u16 v3, v3
	v_cndmask_b32_e32 v11, v10, v69, vcc
	v_cndmask_b32_e32 v10, v68, v10, vcc
	v_cmp_lt_u32_e64 s[6:7], v10, v64
	v_cmp_ge_u32_e64 s[4:5], v11, v65
	s_waitcnt lgkmcnt(0)
	v_cndmask_b32_e32 v17, v3, v1, vcc
	v_cndmask_b32_e32 v3, v0, v3, vcc
	v_lshlrev_b32_e32 v12, 16, v17
	v_lshlrev_b32_e32 v13, 16, v3
	v_cmp_nlt_f32_e64 s[10:11], v12, v13
	s_and_b64 s[6:7], s[6:7], s[10:11]
	s_or_b64 s[4:5], s[4:5], s[6:7]
	v_cndmask_b32_e64 v12, v11, v10, s[4:5]
	v_cndmask_b32_e64 v13, v65, v64, s[4:5]
	v_add_u32_e32 v14, 1, v12
	v_add_u32_e32 v13, -1, v13
	v_min_u32_e32 v13, v14, v13
	v_lshlrev_b32_e32 v13, 1, v13
	ds_read_u16 v13, v13
	v_cndmask_b32_e64 v11, v14, v11, s[4:5]
	v_cndmask_b32_e64 v10, v10, v14, s[4:5]
	v_cmp_lt_u32_e64 s[10:11], v10, v64
	v_cmp_ge_u32_e64 s[6:7], v11, v65
	s_waitcnt lgkmcnt(0)
	v_cndmask_b32_e64 v49, v13, v17, s[4:5]
	v_cndmask_b32_e64 v50, v3, v13, s[4:5]
	v_lshlrev_b32_e32 v13, 16, v49
	v_lshlrev_b32_e32 v14, 16, v50
	v_cmp_nlt_f32_e64 s[14:15], v13, v14
	s_and_b64 s[10:11], s[10:11], s[14:15]
	s_or_b64 s[6:7], s[6:7], s[10:11]
	v_cndmask_b32_e64 v13, v11, v10, s[6:7]
	v_cndmask_b32_e64 v14, v65, v64, s[6:7]
	v_add_u32_e32 v15, 1, v13
	v_add_u32_e32 v14, -1, v14
	v_min_u32_e32 v14, v15, v14
	v_lshlrev_b32_e32 v14, 1, v14
	ds_read_u16 v14, v14
	v_lshlrev_b32_e32 v2, 2, v2
	v_cndmask_b32_e32 v0, v1, v0, vcc
	v_cndmask_b32_e64 v1, v49, v50, s[6:7]
	s_waitcnt lgkmcnt(0)
	v_cndmask_b32_e64 v53, v14, v49, s[6:7]
	v_cndmask_b32_e64 v66, v50, v14, s[6:7]
	;; [unrolled: 1-line block ×4, first 2 shown]
	v_lshlrev_b32_e32 v10, 16, v53
	v_lshlrev_b32_e32 v11, 16, v66
	v_cmp_lt_u32_e64 s[14:15], v15, v64
	v_cmp_nlt_f32_e64 s[16:17], v10, v11
	v_cmp_ge_u32_e64 s[10:11], v14, v65
	s_and_b64 s[14:15], s[14:15], s[16:17]
	s_or_b64 s[10:11], s[10:11], s[14:15]
	v_cndmask_b32_e64 v16, v14, v15, s[10:11]
	v_cndmask_b32_e64 v10, v65, v64, s[10:11]
	v_add_u32_e32 v48, 1, v16
	v_add_u32_e32 v10, -1, v10
	v_min_u32_e32 v10, v48, v10
	v_lshlrev_b32_e32 v10, 1, v10
	ds_read_u16 v67, v10
	ds_read_b32 v10, v2 offset:4096
	v_lshlrev_b32_e32 v2, 2, v12
	ds_read_b32 v11, v2 offset:4096
	v_cndmask_b32_e64 v14, v48, v14, s[10:11]
	s_waitcnt lgkmcnt(2)
	v_cndmask_b32_e64 v2, v67, v53, s[10:11]
	v_cndmask_b32_e64 v67, v66, v67, s[10:11]
	;; [unrolled: 1-line block ×3, first 2 shown]
	v_lshlrev_b32_e32 v12, 16, v2
	v_lshlrev_b32_e32 v48, 16, v67
	v_cmp_lt_u32_e64 s[16:17], v15, v64
	v_cmp_nlt_f32_e64 s[18:19], v12, v48
	v_cmp_ge_u32_e64 s[14:15], v14, v65
	s_and_b64 s[16:17], s[16:17], s[18:19]
	s_or_b64 s[14:15], s[14:15], s[16:17]
	v_cndmask_b32_e64 v48, v14, v15, s[14:15]
	v_cndmask_b32_e64 v12, v65, v64, s[14:15]
	v_add_u32_e32 v68, 1, v48
	v_add_u32_e32 v12, -1, v12
	v_min_u32_e32 v12, v68, v12
	v_lshlrev_b32_e32 v12, 1, v12
	ds_read_u16 v69, v12
	v_lshlrev_b32_e32 v12, 2, v13
	v_lshlrev_b32_e32 v13, 2, v16
	v_cndmask_b32_e64 v16, v68, v14, s[14:15]
	v_cndmask_b32_e64 v68, v15, v68, s[14:15]
	s_waitcnt lgkmcnt(0)
	v_cndmask_b32_e64 v70, v69, v2, s[14:15]
	v_cndmask_b32_e64 v69, v67, v69, s[14:15]
	v_lshlrev_b32_e32 v14, 16, v70
	v_lshlrev_b32_e32 v15, 16, v69
	v_cmp_lt_u32_e64 s[18:19], v68, v64
	v_cmp_nlt_f32_e64 s[20:21], v14, v15
	v_cmp_ge_u32_e64 s[16:17], v16, v65
	s_and_b64 s[18:19], s[18:19], s[20:21]
	s_or_b64 s[16:17], s[16:17], s[18:19]
	v_cndmask_b32_e64 v15, v16, v68, s[16:17]
	v_cndmask_b32_e64 v14, v65, v64, s[16:17]
	v_add_u32_e32 v71, 1, v15
	v_add_u32_e32 v14, -1, v14
	v_min_u32_e32 v14, v71, v14
	v_lshlrev_b32_e32 v14, 1, v14
	ds_read_b32 v12, v12 offset:4096
	ds_read_b32 v13, v13 offset:4096
	ds_read_u16 v80, v14
	v_lshlrev_b32_e32 v15, 2, v15
	ds_read_b32 v15, v15 offset:4096
	v_lshlrev_b32_e32 v14, 2, v48
	v_cndmask_b32_e64 v82, v71, v16, s[16:17]
	s_waitcnt lgkmcnt(1)
	v_cndmask_b32_e64 v81, v80, v70, s[16:17]
	v_cndmask_b32_e64 v80, v69, v80, s[16:17]
	;; [unrolled: 1-line block ×3, first 2 shown]
	v_lshlrev_b32_e32 v16, 16, v81
	v_lshlrev_b32_e32 v48, 16, v80
	v_cmp_lt_u32_e64 s[20:21], v68, v64
	v_cmp_nlt_f32_e64 s[22:23], v16, v48
	v_cmp_ge_u32_e64 s[18:19], v82, v65
	s_and_b64 s[20:21], s[20:21], s[22:23]
	s_or_b64 s[18:19], s[18:19], s[20:21]
	v_cndmask_b32_e64 v16, v82, v68, s[18:19]
	v_cndmask_b32_e64 v48, v65, v64, s[18:19]
	v_lshlrev_b32_e32 v71, 2, v16
	v_add_u32_e32 v83, 1, v16
	v_add_u32_e32 v16, -1, v48
	v_min_u32_e32 v16, v83, v16
	ds_read_b32 v14, v14 offset:4096
	v_lshlrev_b32_e32 v48, 1, v16
	ds_read_b32 v16, v71 offset:4096
	ds_read_u16 v71, v48
	v_cndmask_b32_e64 v48, v17, v3, s[4:5]
	v_cndmask_b32_e64 v49, v53, v66, s[10:11]
	;; [unrolled: 1-line block ×3, first 2 shown]
	v_cmp_lt_u32_e64 s[4:5], v17, v64
	s_waitcnt lgkmcnt(0)
	v_cndmask_b32_e64 v53, v71, v81, s[18:19]
	v_cndmask_b32_e64 v66, v80, v71, s[18:19]
	v_lshlrev_b32_e32 v50, 16, v53
	v_lshlrev_b32_e32 v64, 16, v66
	v_cndmask_b32_e64 v3, v83, v82, s[18:19]
	v_cmp_nlt_f32_e64 s[6:7], v50, v64
	v_cmp_ge_u32_e32 vcc, v3, v65
	s_and_b64 s[4:5], s[4:5], s[6:7]
	s_or_b64 vcc, vcc, s[4:5]
	v_cndmask_b32_e32 v3, v3, v17, vcc
	v_lshlrev_b32_e32 v3, 2, v3
	ds_read_b32 v17, v3 offset:4096
	v_cndmask_b32_e64 v2, v2, v67, s[14:15]
	v_cndmask_b32_e64 v50, v70, v69, s[16:17]
	;; [unrolled: 1-line block ×3, first 2 shown]
	v_cndmask_b32_e32 v53, v53, v66, vcc
.LBB1971_79:
	s_or_b64 exec, exec, s[26:27]
	s_mov_b32 s4, 0x5040100
	v_perm_b32 v67, v53, v3, s4
	v_perm_b32 v66, v50, v2, s4
	;; [unrolled: 1-line block ×4, first 2 shown]
	s_waitcnt lgkmcnt(0)
	s_barrier
	ds_write_b128 v54, v[10:13] offset:4096
	ds_write_b128 v52, v[64:67]
	ds_write_b128 v55, v[14:17] offset:16
	v_and_b32_e32 v64, 0x1800, v30
	v_or_b32_e32 v52, 0x400, v64
	v_min_u32_e32 v52, 0x800, v52
	v_and_b32_e32 v65, 0x7f8, v30
	v_sub_u32_e32 v66, v52, v64
	v_sub_u32_e32 v55, 0x800, v52
	v_sub_u32_e64 v55, v65, v55 clamp
	v_min_u32_e32 v66, v65, v66
	v_lshlrev_b32_e32 v54, 1, v64
	v_cmp_lt_u32_e32 vcc, v55, v66
	s_waitcnt lgkmcnt(0)
	s_barrier
	s_and_saveexec_b64 s[4:5], vcc
	s_cbranch_execz .LBB1971_83
; %bb.80:
	v_lshlrev_b32_e32 v67, 1, v65
	v_lshl_add_u32 v67, v52, 1, v67
	s_mov_b64 s[6:7], 0
.LBB1971_81:                            ; =>This Inner Loop Header: Depth=1
	v_add_u32_e32 v68, v66, v55
	v_lshrrev_b32_e32 v69, 1, v68
	v_and_b32_e32 v68, -2, v68
	v_not_b32_e32 v70, v69
	v_add_u32_e32 v68, v54, v68
	v_lshl_add_u32 v70, v70, 1, v67
	ds_read_u16 v68, v68
	ds_read_u16 v70, v70
	v_add_u32_e32 v71, 1, v69
	s_waitcnt lgkmcnt(1)
	v_lshlrev_b32_e32 v68, 16, v68
	s_waitcnt lgkmcnt(0)
	v_lshlrev_b32_e32 v70, 16, v70
	v_cmp_lt_f32_e32 vcc, v70, v68
	v_cndmask_b32_e32 v66, v66, v69, vcc
	v_cndmask_b32_e32 v55, v71, v55, vcc
	v_cmp_ge_u32_e32 vcc, v55, v66
	s_or_b64 s[6:7], vcc, s[6:7]
	s_andn2_b64 exec, exec, s[6:7]
	s_cbranch_execnz .LBB1971_81
; %bb.82:
	s_or_b64 exec, exec, s[6:7]
.LBB1971_83:
	s_or_b64 exec, exec, s[4:5]
	v_sub_u32_e32 v65, v65, v55
	v_add_u32_e32 v64, v55, v64
	v_add_u32_e32 v65, v65, v52
	s_movk_i32 s4, 0x801
	v_cmp_le_u32_e32 vcc, v64, v52
	v_cmp_gt_u32_e64 s[4:5], s4, v65
	s_or_b64 s[4:5], vcc, s[4:5]
	s_and_saveexec_b64 s[26:27], s[4:5]
	s_cbranch_execz .LBB1971_89
; %bb.84:
	v_cmp_lt_u32_e32 vcc, v64, v52
                                        ; implicit-def: $vgpr0
	s_and_saveexec_b64 s[4:5], vcc
	s_cbranch_execz .LBB1971_86
; %bb.85:
	v_lshl_add_u32 v0, v55, 1, v54
	ds_read_u16 v0, v0
.LBB1971_86:
	s_or_b64 exec, exec, s[4:5]
	s_movk_i32 s28, 0x7ff
	s_movk_i32 s6, 0x800
	v_cmp_lt_u32_e64 s[4:5], s28, v65
	v_cmp_gt_u32_e64 s[6:7], s6, v65
                                        ; implicit-def: $vgpr1
	s_and_saveexec_b64 s[10:11], s[6:7]
	s_cbranch_execz .LBB1971_88
; %bb.87:
	v_lshlrev_b32_e32 v1, 1, v65
	ds_read_u16 v1, v1
.LBB1971_88:
	s_or_b64 exec, exec, s[10:11]
	s_waitcnt lgkmcnt(0)
	v_lshlrev_b32_e32 v2, 16, v0
	v_lshlrev_b32_e32 v3, 16, v1
	v_cmp_nlt_f32_e64 s[6:7], v3, v2
	s_and_b64 s[6:7], vcc, s[6:7]
	s_or_b64 vcc, s[4:5], s[6:7]
	v_cndmask_b32_e32 v2, v65, v64, vcc
	v_add_u32_e32 v3, -1, v52
	v_mov_b32_e32 v16, 0x7ff
	v_add_u32_e32 v10, 1, v2
	v_cndmask_b32_e32 v11, v16, v3, vcc
	v_min_u32_e32 v11, v10, v11
	v_lshlrev_b32_e32 v11, 1, v11
	ds_read_u16 v11, v11
	v_lshlrev_b32_e32 v2, 2, v2
	s_waitcnt lgkmcnt(0)
	v_cndmask_b32_e32 v17, v11, v1, vcc
	v_cndmask_b32_e32 v48, v0, v11, vcc
	v_cndmask_b32_e32 v11, v10, v65, vcc
	v_cndmask_b32_e32 v10, v64, v10, vcc
	v_lshlrev_b32_e32 v12, 16, v17
	v_lshlrev_b32_e32 v13, 16, v48
	v_cmp_lt_u32_e64 s[6:7], v10, v52
	v_cmp_nlt_f32_e64 s[10:11], v12, v13
	v_cmp_lt_u32_e64 s[4:5], s28, v11
	s_and_b64 s[6:7], s[6:7], s[10:11]
	s_or_b64 s[4:5], s[4:5], s[6:7]
	v_cndmask_b32_e64 v12, v11, v10, s[4:5]
	v_add_u32_e32 v13, 1, v12
	v_cndmask_b32_e64 v14, v16, v3, s[4:5]
	v_min_u32_e32 v14, v13, v14
	v_lshlrev_b32_e32 v14, 1, v14
	ds_read_u16 v14, v14
	v_cndmask_b32_e64 v11, v13, v11, s[4:5]
	v_cndmask_b32_e64 v10, v10, v13, s[4:5]
	v_cmp_lt_u32_e64 s[10:11], v10, v52
	v_cmp_lt_u32_e64 s[6:7], s28, v11
	s_waitcnt lgkmcnt(0)
	v_cndmask_b32_e64 v49, v14, v17, s[4:5]
	v_cndmask_b32_e64 v50, v48, v14, s[4:5]
	v_lshlrev_b32_e32 v13, 16, v49
	v_lshlrev_b32_e32 v14, 16, v50
	v_cmp_nlt_f32_e64 s[14:15], v13, v14
	s_and_b64 s[10:11], s[10:11], s[14:15]
	s_or_b64 s[6:7], s[6:7], s[10:11]
	v_cndmask_b32_e64 v13, v11, v10, s[6:7]
	v_add_u32_e32 v14, 1, v13
	v_cndmask_b32_e64 v15, v16, v3, s[6:7]
	v_min_u32_e32 v15, v14, v15
	v_lshlrev_b32_e32 v15, 1, v15
	ds_read_u16 v15, v15
	v_cndmask_b32_e32 v0, v1, v0, vcc
	v_cndmask_b32_e64 v48, v17, v48, s[4:5]
	v_cndmask_b32_e64 v1, v49, v50, s[6:7]
	s_waitcnt lgkmcnt(0)
	v_cndmask_b32_e64 v53, v15, v49, s[6:7]
	v_cndmask_b32_e64 v54, v50, v15, s[6:7]
	;; [unrolled: 1-line block ×4, first 2 shown]
	v_lshlrev_b32_e32 v10, 16, v53
	v_lshlrev_b32_e32 v11, 16, v54
	v_cmp_lt_u32_e64 s[14:15], v14, v52
	v_cmp_nlt_f32_e64 s[16:17], v10, v11
	v_cmp_lt_u32_e64 s[10:11], s28, v15
	s_and_b64 s[14:15], s[14:15], s[16:17]
	s_or_b64 s[10:11], s[10:11], s[14:15]
	v_cndmask_b32_e64 v55, v15, v14, s[10:11]
	v_add_u32_e32 v64, 1, v55
	v_cndmask_b32_e64 v10, v16, v3, s[10:11]
	v_min_u32_e32 v10, v64, v10
	v_lshlrev_b32_e32 v10, 1, v10
	ds_read_u16 v65, v10
	ds_read_b32 v10, v2 offset:4096
	v_lshlrev_b32_e32 v2, 2, v12
	ds_read_b32 v11, v2 offset:4096
	v_cndmask_b32_e64 v15, v64, v15, s[10:11]
	s_waitcnt lgkmcnt(2)
	v_cndmask_b32_e64 v2, v65, v53, s[10:11]
	v_cndmask_b32_e64 v65, v54, v65, s[10:11]
	;; [unrolled: 1-line block ×3, first 2 shown]
	v_lshlrev_b32_e32 v12, 16, v2
	v_lshlrev_b32_e32 v64, 16, v65
	v_cmp_lt_u32_e64 s[16:17], v14, v52
	v_cmp_nlt_f32_e64 s[18:19], v12, v64
	v_cmp_lt_u32_e64 s[14:15], s28, v15
	s_and_b64 s[16:17], s[16:17], s[18:19]
	s_or_b64 s[14:15], s[14:15], s[16:17]
	v_cndmask_b32_e64 v64, v15, v14, s[14:15]
	v_add_u32_e32 v66, 1, v64
	v_cndmask_b32_e64 v12, v16, v3, s[14:15]
	v_min_u32_e32 v12, v66, v12
	v_lshlrev_b32_e32 v12, 1, v12
	ds_read_u16 v67, v12
	v_lshlrev_b32_e32 v12, 2, v13
	v_lshlrev_b32_e32 v13, 2, v55
	v_cndmask_b32_e64 v68, v66, v15, s[14:15]
	v_cndmask_b32_e64 v66, v14, v66, s[14:15]
	s_waitcnt lgkmcnt(0)
	v_cndmask_b32_e64 v55, v67, v2, s[14:15]
	v_cndmask_b32_e64 v67, v65, v67, s[14:15]
	v_lshlrev_b32_e32 v14, 16, v55
	v_lshlrev_b32_e32 v15, 16, v67
	v_cmp_lt_u32_e64 s[18:19], v66, v52
	v_cmp_nlt_f32_e64 s[20:21], v14, v15
	v_cmp_lt_u32_e64 s[16:17], s28, v68
	s_and_b64 s[18:19], s[18:19], s[20:21]
	s_or_b64 s[16:17], s[16:17], s[18:19]
	v_cndmask_b32_e64 v15, v68, v66, s[16:17]
	v_add_u32_e32 v69, 1, v15
	v_cndmask_b32_e64 v14, v16, v3, s[16:17]
	v_min_u32_e32 v14, v69, v14
	v_lshlrev_b32_e32 v14, 1, v14
	ds_read_b32 v12, v12 offset:4096
	ds_read_b32 v13, v13 offset:4096
	ds_read_u16 v70, v14
	v_lshlrev_b32_e32 v15, 2, v15
	ds_read_b32 v15, v15 offset:4096
	v_lshlrev_b32_e32 v14, 2, v64
	v_cndmask_b32_e64 v68, v69, v68, s[16:17]
	s_waitcnt lgkmcnt(1)
	v_cndmask_b32_e64 v64, v70, v55, s[16:17]
	v_cndmask_b32_e64 v70, v67, v70, s[16:17]
	;; [unrolled: 1-line block ×3, first 2 shown]
	v_lshlrev_b32_e32 v69, 16, v64
	v_lshlrev_b32_e32 v71, 16, v70
	v_cmp_lt_u32_e64 s[20:21], v66, v52
	v_cmp_nlt_f32_e64 s[22:23], v69, v71
	v_cmp_lt_u32_e64 s[18:19], s28, v68
	s_and_b64 s[20:21], s[20:21], s[22:23]
	s_or_b64 s[18:19], s[18:19], s[20:21]
	v_cndmask_b32_e64 v69, v68, v66, s[18:19]
	v_lshlrev_b32_e32 v71, 2, v69
	v_add_u32_e32 v69, 1, v69
	v_cndmask_b32_e64 v3, v16, v3, s[18:19]
	v_min_u32_e32 v3, v69, v3
	v_lshlrev_b32_e32 v3, 1, v3
	ds_read_b32 v14, v14 offset:4096
	ds_read_b32 v16, v71 offset:4096
	ds_read_u16 v3, v3
	v_cndmask_b32_e64 v49, v53, v54, s[10:11]
	v_cndmask_b32_e64 v17, v66, v69, s[18:19]
	v_cmp_lt_u32_e64 s[4:5], v17, v52
	v_cndmask_b32_e64 v2, v2, v65, s[14:15]
	s_waitcnt lgkmcnt(0)
	v_cndmask_b32_e64 v53, v3, v64, s[18:19]
	v_cndmask_b32_e64 v54, v70, v3, s[18:19]
	v_lshlrev_b32_e32 v50, 16, v53
	v_lshlrev_b32_e32 v52, 16, v54
	v_cndmask_b32_e64 v3, v69, v68, s[18:19]
	v_cmp_nlt_f32_e64 s[6:7], v50, v52
	v_cmp_lt_u32_e32 vcc, s28, v3
	s_and_b64 s[4:5], s[4:5], s[6:7]
	s_or_b64 vcc, vcc, s[4:5]
	v_cndmask_b32_e32 v3, v3, v17, vcc
	v_lshlrev_b32_e32 v3, 2, v3
	ds_read_b32 v17, v3 offset:4096
	v_cndmask_b32_e64 v50, v55, v67, s[16:17]
	v_cndmask_b32_e64 v3, v64, v70, s[18:19]
	v_cndmask_b32_e32 v53, v53, v54, vcc
.LBB1971_89:
	s_or_b64 exec, exec, s[26:27]
	s_mov_b32 s4, 0x5040100
	v_lshl_add_u32 v21, v21, 1, v51
	v_perm_b32 v1, v49, v1, s4
	v_perm_b32 v0, v48, v0, s4
	s_waitcnt lgkmcnt(0)
	s_barrier
	s_barrier
	ds_write2_b32 v21, v0, v1 offset1:1
	v_perm_b32 v0, v53, v3, s4
	v_perm_b32 v1, v50, v2, s4
	ds_write2_b32 v21, v1, v0 offset0:2 offset1:3
	s_waitcnt lgkmcnt(0)
	s_barrier
	ds_read_u16 v2, v20
	ds_read_u16 v3, v23 offset:512
	ds_read_u16 v20, v24 offset:1024
	;; [unrolled: 1-line block ×7, first 2 shown]
	v_add_co_u32_e32 v0, vcc, v4, v22
	v_addc_co_u32_e32 v1, vcc, 0, v5, vcc
	s_waitcnt lgkmcnt(7)
	flat_store_short v[0:1], v2
	s_waitcnt lgkmcnt(0)
	flat_store_short v[0:1], v3 offset:512
	flat_store_short v[0:1], v20 offset:1024
	flat_store_short v[0:1], v21 offset:1536
	flat_store_short v[0:1], v23 offset:2048
	flat_store_short v[0:1], v24 offset:2560
	flat_store_short v[0:1], v25 offset:3072
	flat_store_short v[0:1], v26 offset:3584
	v_add_co_u32_e32 v0, vcc, v6, v30
	v_addc_co_u32_e32 v1, vcc, 0, v7, vcc
	s_movk_i32 s4, 0x1000
	v_add_co_u32_e32 v2, vcc, s4, v0
	v_addc_co_u32_e32 v3, vcc, 0, v1, vcc
	s_movk_i32 s5, 0x2000
	s_waitcnt lgkmcnt(0)
	s_barrier
	flat_load_dwordx2 v[4:5], v[0:1]
	flat_load_dwordx2 v[6:7], v[0:1] offset:2048
	flat_load_dwordx2 v[20:21], v[2:3]
	flat_load_dwordx2 v[22:23], v[2:3] offset:2048
	v_add_co_u32_e32 v2, vcc, s5, v0
	v_addc_co_u32_e32 v3, vcc, 0, v1, vcc
	s_movk_i32 s5, 0x3000
	v_add_co_u32_e32 v0, vcc, s5, v0
	v_addc_co_u32_e32 v1, vcc, 0, v1, vcc
	flat_load_dwordx2 v[24:25], v[2:3]
	flat_load_dwordx2 v[26:27], v[2:3] offset:2048
	flat_load_dwordx2 v[28:29], v[0:1]
	flat_load_dwordx2 v[48:49], v[0:1] offset:2048
	v_lshrrev_b32_e32 v1, 5, v11
	v_lshl_add_u32 v39, v39, 3, v30
	v_lshrrev_b32_e32 v0, 5, v10
	v_add_lshl_u32 v2, v1, v11, 3
	v_lshrrev_b32_e32 v1, 5, v12
	v_lshrrev_b32_e32 v11, 5, v15
	v_lshl_add_u32 v38, v38, 3, v30
	v_lshl_add_u32 v37, v37, 3, v30
	;; [unrolled: 1-line block ×7, first 2 shown]
	v_add_lshl_u32 v0, v0, v10, 3
	v_lshrrev_b32_e32 v10, 5, v14
	v_add_lshl_u32 v10, v10, v14, 3
	s_mov_b64 s[38:39], exec
	s_waitcnt vmcnt(0) lgkmcnt(0)
	ds_write_b64 v39, v[4:5]
	ds_write_b64 v38, v[6:7] offset:2048
	ds_write_b64 v37, v[20:21] offset:4096
	;; [unrolled: 1-line block ×7, first 2 shown]
	v_add_lshl_u32 v4, v1, v12, 3
	v_add_lshl_u32 v12, v11, v15, 3
	v_lshrrev_b32_e32 v11, 5, v16
	v_lshrrev_b32_e32 v1, 5, v13
	v_add_lshl_u32 v14, v11, v16, 3
	v_lshrrev_b32_e32 v11, 5, v17
	v_add_lshl_u32 v6, v1, v13, 3
	v_add_lshl_u32 v16, v11, v17, 3
	s_waitcnt lgkmcnt(0)
	s_barrier
	ds_read_b64 v[0:1], v0
	ds_read_b64 v[2:3], v2
	;; [unrolled: 1-line block ×8, first 2 shown]
	v_lshlrev_b32_e32 v20, 3, v30
	v_lshl_add_u32 v20, v31, 3, v20
	s_waitcnt lgkmcnt(0)
	s_barrier
	ds_write2_b64 v20, v[0:1], v[2:3] offset1:1
	ds_write2_b64 v20, v[4:5], v[6:7] offset0:2 offset1:3
	ds_write2_b64 v20, v[10:11], v[12:13] offset0:4 offset1:5
	;; [unrolled: 1-line block ×3, first 2 shown]
	v_add_co_u32_e32 v16, vcc, v8, v30
	s_waitcnt lgkmcnt(0)
	s_barrier
	ds_read_b64 v[0:1], v39
	ds_read_b64 v[2:3], v38 offset:2048
	ds_read_b64 v[4:5], v37 offset:4096
	;; [unrolled: 1-line block ×7, first 2 shown]
	v_addc_co_u32_e32 v17, vcc, 0, v9, vcc
	s_waitcnt lgkmcnt(7)
	flat_store_dwordx2 v[16:17], v[0:1]
	s_waitcnt lgkmcnt(0)
	flat_store_dwordx2 v[16:17], v[2:3] offset:2048
	v_add_co_u32_e32 v0, vcc, s4, v16
	v_addc_co_u32_e32 v1, vcc, 0, v17, vcc
	flat_store_dwordx2 v[0:1], v[4:5]
	flat_store_dwordx2 v[0:1], v[6:7] offset:2048
	v_add_co_u32_e32 v0, vcc, 0x2000, v16
	v_addc_co_u32_e32 v1, vcc, 0, v17, vcc
	flat_store_dwordx2 v[0:1], v[10:11]
	;; [unrolled: 4-line block ×3, first 2 shown]
                                        ; implicit-def: $vgpr30
                                        ; implicit-def: $vgpr11
                                        ; implicit-def: $vgpr14
                                        ; implicit-def: $vgpr0
                                        ; implicit-def: $vgpr2
                                        ; implicit-def: $vgpr3
                                        ; implicit-def: $vgpr4
                                        ; implicit-def: $vgpr5
                                        ; implicit-def: $vgpr6
                                        ; implicit-def: $vgpr7
                                        ; implicit-def: $vgpr10
                                        ; implicit-def: $vgpr36
                                        ; implicit-def: $vgpr22
                                        ; implicit-def: $vgpr1
                                        ; implicit-def: $vgpr31
	s_andn2_saveexec_b64 s[40:41], s[24:25]
	s_cbranch_execz .LBB1971_2
.LBB1971_90:
	v_cmp_lt_u32_e32 vcc, v18, v0
                                        ; implicit-def: $vgpr19
	s_and_saveexec_b64 s[6:7], vcc
	s_cbranch_execz .LBB1971_92
; %bb.91:
	v_add_co_u32_e64 v20, s[4:5], v2, v22
	v_addc_co_u32_e64 v21, s[4:5], 0, v3, s[4:5]
	flat_load_ushort v19, v[20:21]
.LBB1971_92:
	s_or_b64 exec, exec, s[6:7]
	v_add_u32_e32 v34, 0x100, v18
	v_cmp_lt_u32_e64 s[4:5], v34, v0
                                        ; implicit-def: $vgpr21
	s_and_saveexec_b64 s[10:11], s[4:5]
	s_cbranch_execz .LBB1971_94
; %bb.93:
	v_add_co_u32_e64 v20, s[6:7], v2, v22
	v_addc_co_u32_e64 v21, s[6:7], 0, v3, s[6:7]
	flat_load_ushort v21, v[20:21] offset:512
.LBB1971_94:
	s_or_b64 exec, exec, s[10:11]
	v_add_u32_e32 v20, 0x200, v18
	v_cmp_lt_u32_e64 s[6:7], v20, v0
                                        ; implicit-def: $vgpr25
	s_and_saveexec_b64 s[14:15], s[6:7]
	s_cbranch_execz .LBB1971_96
; %bb.95:
	v_add_co_u32_e64 v24, s[10:11], v2, v22
	v_addc_co_u32_e64 v25, s[10:11], 0, v3, s[10:11]
	flat_load_ushort v25, v[24:25] offset:1024
.LBB1971_96:
	s_or_b64 exec, exec, s[14:15]
	v_add_u32_e32 v23, 0x300, v18
	v_cmp_lt_u32_e64 s[10:11], v23, v0
                                        ; implicit-def: $vgpr27
	s_and_saveexec_b64 s[16:17], s[10:11]
	s_cbranch_execz .LBB1971_98
; %bb.97:
	v_add_co_u32_e64 v26, s[14:15], v2, v22
	v_addc_co_u32_e64 v27, s[14:15], 0, v3, s[14:15]
	flat_load_ushort v27, v[26:27] offset:1536
.LBB1971_98:
	s_or_b64 exec, exec, s[16:17]
	v_or_b32_e32 v24, 0x400, v18
	v_cmp_lt_u32_e64 s[34:35], v24, v0
                                        ; implicit-def: $vgpr29
	s_and_saveexec_b64 s[16:17], s[34:35]
	s_cbranch_execz .LBB1971_100
; %bb.99:
	v_add_co_u32_e64 v28, s[14:15], v2, v22
	v_addc_co_u32_e64 v29, s[14:15], 0, v3, s[14:15]
	flat_load_ushort v29, v[28:29] offset:2048
.LBB1971_100:
	s_or_b64 exec, exec, s[16:17]
	v_add_u32_e32 v26, 0x500, v18
	v_cmp_lt_u32_e64 s[14:15], v26, v0
                                        ; implicit-def: $vgpr33
	s_and_saveexec_b64 s[18:19], s[14:15]
	s_cbranch_execz .LBB1971_102
; %bb.101:
	v_add_co_u32_e64 v32, s[16:17], v2, v22
	v_addc_co_u32_e64 v33, s[16:17], 0, v3, s[16:17]
	flat_load_ushort v33, v[32:33] offset:2560
.LBB1971_102:
	s_or_b64 exec, exec, s[18:19]
	v_add_u32_e32 v28, 0x600, v18
	v_cmp_lt_u32_e64 s[16:17], v28, v0
                                        ; implicit-def: $vgpr35
	s_and_saveexec_b64 s[20:21], s[16:17]
	s_cbranch_execz .LBB1971_104
; %bb.103:
	v_add_co_u32_e64 v38, s[18:19], v2, v22
	v_addc_co_u32_e64 v39, s[18:19], 0, v3, s[18:19]
	flat_load_ushort v35, v[38:39] offset:3072
.LBB1971_104:
	s_or_b64 exec, exec, s[20:21]
	v_add_u32_e32 v32, 0x700, v18
	v_cmp_lt_u32_e64 s[18:19], v32, v0
                                        ; implicit-def: $vgpr37
	s_and_saveexec_b64 s[22:23], s[18:19]
	s_cbranch_execz .LBB1971_106
; %bb.105:
	v_add_co_u32_e64 v2, s[20:21], v2, v22
	v_addc_co_u32_e64 v3, s[20:21], 0, v3, s[20:21]
	flat_load_ushort v37, v[2:3] offset:3584
.LBB1971_106:
	s_or_b64 exec, exec, s[22:23]
	v_and_b32_e32 v1, 60, v1
	v_add_u32_e32 v2, v1, v22
	v_lshrrev_b32_e32 v1, 4, v34
	v_and_b32_e32 v1, 0x7c, v1
	v_lshrrev_b32_e32 v3, 4, v20
	s_waitcnt vmcnt(0) lgkmcnt(0)
	ds_write_b16 v2, v19
	v_add_u32_e32 v1, v1, v22
	v_and_b32_e32 v3, 0x7c, v3
	v_lshrrev_b32_e32 v19, 4, v23
	ds_write_b16 v1, v21 offset:512
	v_add_u32_e32 v3, v3, v22
	v_and_b32_e32 v19, 0x7c, v19
	v_lshrrev_b32_e32 v21, 4, v24
	ds_write_b16 v3, v25 offset:1024
	;; [unrolled: 4-line block ×5, first 2 shown]
	v_add_u32_e32 v27, v27, v22
	v_and_b32_e32 v29, 0xfc, v29
	v_and_b32_e32 v33, 0xfe, v31
	ds_write_b16 v27, v35 offset:3072
	v_add_u32_e32 v29, v29, v22
	v_add_lshl_u32 v35, v33, v30, 1
	ds_write_b16 v29, v37 offset:3584
	s_waitcnt lgkmcnt(0)
	s_barrier
	ds_read2_b32 v[38:39], v35 offset1:1
	ds_read2_b32 v[48:49], v35 offset0:2 offset1:3
	s_waitcnt lgkmcnt(0)
	s_barrier
	s_load_dwordx2 s[20:21], s[8:9], 0x0
	v_mov_b32_e32 v35, 0
	v_and_b32_e32 v51, 0xffff0000, v38
	v_lshlrev_b32_e32 v52, 16, v38
	v_and_b32_e32 v54, 0xffff0000, v39
	s_waitcnt lgkmcnt(0)
	s_cmp_lt_u32 s12, s20
	s_cselect_b32 s20, 12, 18
	s_cmp_lt_u32 s13, s21
	s_cselect_b32 s12, 14, 20
	s_add_u32 s12, s8, s12
	s_addc_u32 s13, s9, 0
	s_add_u32 s8, s8, s20
	s_addc_u32 s9, s9, 0
	global_load_ushort v37, v35, s[12:13]
	global_load_ushort v50, v35, s[8:9]
	v_lshlrev_b32_e32 v55, 16, v39
	v_and_b32_e32 v65, 0xffff0000, v48
	v_lshlrev_b32_e32 v66, 16, v48
	v_and_b32_e32 v68, 0xffff0000, v49
	v_lshlrev_b32_e32 v69, 16, v49
	v_cmp_lt_f32_e64 s[12:13], v51, v52
	v_cmp_lt_f32_e64 s[26:27], v54, v55
	v_lshrrev_b32_e32 v35, 16, v38
	v_lshrrev_b32_e32 v53, 16, v39
	v_cmp_lt_f32_e64 s[30:31], v65, v66
	v_cmp_lt_f32_e64 s[36:37], v68, v69
	v_lshrrev_b32_e32 v64, 16, v48
	v_lshrrev_b32_e32 v67, 16, v49
	s_waitcnt vmcnt(1)
	v_mad_u32_u24 v10, v36, v37, v10
	s_waitcnt vmcnt(0)
	v_mul_lo_u32 v10, v10, v50
	v_add_lshl_u32 v36, v10, v18, 3
	v_sub_u32_e64 v10, v0, v36 clamp
	v_cmp_lt_u32_e64 s[28:29], 1, v10
	v_cmp_lt_u32_e64 s[24:25], 3, v10
	;; [unrolled: 1-line block ×4, first 2 shown]
	s_and_b64 s[12:13], s[28:29], s[12:13]
	s_and_b64 s[26:27], s[24:25], s[26:27]
	v_cndmask_b32_e64 v37, v38, v35, s[12:13]
	v_cndmask_b32_e64 v50, v39, v53, s[26:27]
	s_and_b64 s[30:31], s[22:23], s[30:31]
	s_and_b64 s[36:37], s[20:21], s[36:37]
	v_cndmask_b32_e64 v35, v35, v38, s[12:13]
	v_cndmask_b32_e64 v51, v48, v64, s[30:31]
	;; [unrolled: 1-line block ×12, first 2 shown]
	v_lshlrev_b32_e32 v17, 16, v50
	v_lshlrev_b32_e32 v54, 16, v35
	v_cmp_lt_u32_e64 s[8:9], 2, v10
	v_cndmask_b32_e64 v38, v30, v11, s[12:13]
	v_cndmask_b32_e64 v11, v11, v30, s[12:13]
	v_cmp_lt_f32_e64 s[12:13], v17, v54
	s_and_b64 s[12:13], s[8:9], s[12:13]
	v_cndmask_b32_e64 v17, v35, v50, s[12:13]
	v_cndmask_b32_e64 v35, v50, v35, s[12:13]
	;; [unrolled: 1-line block ×4, first 2 shown]
	v_lshlrev_b32_e32 v12, 16, v39
	v_lshlrev_b32_e32 v54, 16, v51
	v_cmp_lt_u32_e64 s[26:27], 4, v10
	v_cmp_lt_f32_e64 s[12:13], v54, v12
	s_and_b64 s[12:13], s[26:27], s[12:13]
	v_cndmask_b32_e64 v12, v39, v51, s[12:13]
	v_cndmask_b32_e64 v39, v51, v39, s[12:13]
	;; [unrolled: 1-line block ×4, first 2 shown]
	v_cmp_lt_u32_e64 s[30:31], 6, v10
	v_lshlrev_b32_e32 v10, 16, v13
	v_lshlrev_b32_e32 v53, 16, v52
	v_cmp_lt_f32_e64 s[12:13], v53, v10
	s_and_b64 s[12:13], s[30:31], s[12:13]
	v_cndmask_b32_e64 v10, v13, v52, s[12:13]
	v_cndmask_b32_e64 v13, v52, v13, s[12:13]
	v_cndmask_b32_e64 v52, v16, v48, s[12:13]
	v_cndmask_b32_e64 v16, v48, v16, s[12:13]
	v_lshlrev_b32_e32 v48, 16, v17
	v_lshlrev_b32_e32 v53, 16, v37
	v_cmp_lt_f32_e64 s[12:13], v48, v53
	s_and_b64 s[12:13], s[28:29], s[12:13]
	v_cndmask_b32_e64 v48, v37, v17, s[12:13]
	v_cndmask_b32_e64 v17, v17, v37, s[12:13]
	v_cndmask_b32_e64 v37, v38, v11, s[12:13]
	v_cndmask_b32_e64 v11, v11, v38, s[12:13]
	;; [unrolled: 8-line block ×15, first 2 shown]
	v_lshlrev_b32_e32 v10, 16, v15
	v_lshlrev_b32_e32 v51, 16, v49
	v_cmp_lt_f32_e64 s[12:13], v10, v51
	s_and_b64 s[12:13], s[28:29], s[12:13]
	v_cndmask_b32_e64 v52, v49, v15, s[12:13]
	v_cndmask_b32_e64 v15, v15, v49, s[12:13]
	v_lshlrev_b32_e32 v49, 16, v37
	v_lshlrev_b32_e32 v51, 16, v16
	v_cndmask_b32_e64 v10, v53, v11, s[12:13]
	v_cndmask_b32_e64 v11, v11, v53, s[12:13]
	v_cmp_lt_f32_e64 s[12:13], v51, v49
	s_and_b64 s[12:13], s[24:25], s[12:13]
	v_cndmask_b32_e64 v49, v37, v16, s[12:13]
	v_cndmask_b32_e64 v16, v16, v37, s[12:13]
	;; [unrolled: 1-line block ×4, first 2 shown]
	v_lshlrev_b32_e32 v17, 16, v14
	v_lshlrev_b32_e32 v51, 16, v39
	v_cmp_lt_f32_e64 s[12:13], v51, v17
	s_and_b64 s[12:13], s[22:23], s[12:13]
	v_cndmask_b32_e64 v51, v14, v39, s[12:13]
	v_cndmask_b32_e64 v39, v39, v14, s[12:13]
	v_lshlrev_b32_e32 v14, 16, v12
	v_lshlrev_b32_e32 v17, 16, v13
	v_cndmask_b32_e64 v64, v35, v38, s[12:13]
	v_cndmask_b32_e64 v35, v38, v35, s[12:13]
	v_cmp_lt_f32_e64 s[12:13], v17, v14
	s_and_b64 s[12:13], s[20:21], s[12:13]
	v_cndmask_b32_e64 v38, v12, v13, s[12:13]
	v_cndmask_b32_e64 v71, v13, v12, s[12:13]
	v_lshlrev_b32_e32 v12, 16, v15
	v_lshlrev_b32_e32 v13, 16, v49
	v_cndmask_b32_e64 v17, v54, v50, s[12:13]
	v_cndmask_b32_e64 v50, v50, v54, s[12:13]
	v_cmp_lt_f32_e64 s[12:13], v13, v12
	s_and_b64 s[8:9], s[8:9], s[12:13]
	v_lshlrev_b32_e32 v13, 16, v16
	v_lshlrev_b32_e32 v14, 16, v51
	v_cndmask_b32_e64 v53, v15, v49, s[8:9]
	v_cndmask_b32_e64 v54, v49, v15, s[8:9]
	;; [unrolled: 1-line block ×4, first 2 shown]
	v_cmp_lt_f32_e64 s[8:9], v14, v13
	s_and_b64 s[8:9], s[26:27], s[8:9]
	v_cndmask_b32_e64 v55, v16, v51, s[8:9]
	v_cndmask_b32_e64 v67, v51, v16, s[8:9]
	v_lshlrev_b32_e32 v15, 16, v39
	v_lshlrev_b32_e32 v16, 16, v38
	v_cndmask_b32_e64 v14, v35, v37, s[8:9]
	v_cndmask_b32_e64 v13, v37, v35, s[8:9]
	v_cmp_lt_f32_e64 s[8:9], v16, v15
	v_mbcnt_lo_u32_b32 v35, -1, 0
	v_and_b32_e32 v36, 0xfffffe00, v36
	s_and_b64 s[8:9], s[30:31], s[8:9]
	v_mbcnt_hi_u32_b32 v35, -1, v35
	v_lshlrev_b32_e32 v51, 1, v36
	v_cndmask_b32_e64 v16, v50, v64, s[8:9]
	v_cndmask_b32_e64 v15, v64, v50, s[8:9]
	v_add_u32_e32 v50, v51, v51
	v_lshlrev_b32_e32 v65, 3, v35
	v_sub_u32_e64 v64, v0, v36 clamp
	v_lshl_add_u32 v66, v35, 4, v51
	v_lshl_add_u32 v68, v35, 5, v50
	v_or_b32_e32 v35, 8, v65
	v_min_u32_e32 v81, v64, v35
	v_cndmask_b32_e64 v69, v39, v38, s[8:9]
	v_cndmask_b32_e64 v70, v38, v39, s[8:9]
	s_mov_b32 s8, 0x5040100
	v_add_u32_e32 v35, 8, v81
	v_perm_b32 v38, v69, v67, s8
	v_perm_b32 v37, v55, v54, s8
	;; [unrolled: 1-line block ×4, first 2 shown]
	v_and_b32_e32 v85, 0x3f0, v65
	v_min_u32_e32 v82, v64, v35
	v_and_b32_e32 v35, 8, v65
	ds_write_b128 v68, v[10:13] offset:4096
	ds_write_b128 v66, v[36:39]
	ds_write_b128 v68, v[14:17] offset:4112
	v_min_u32_e32 v86, v64, v35
	v_sub_u32_e32 v35, v81, v85
	v_sub_u32_e32 v36, v82, v81
	v_sub_u32_e64 v84, v86, v36 clamp
	v_min_u32_e32 v35, v86, v35
	v_lshl_add_u32 v83, v85, 1, v51
	v_cmp_lt_u32_e64 s[8:9], v84, v35
	; wave barrier
	s_and_saveexec_b64 s[12:13], s[8:9]
	s_cbranch_execz .LBB1971_110
; %bb.107:
	v_lshlrev_b32_e32 v36, 1, v81
	v_lshlrev_b32_e32 v37, 1, v86
	v_add3_u32 v36, v51, v36, v37
	s_mov_b64 s[20:21], 0
.LBB1971_108:                           ; =>This Inner Loop Header: Depth=1
	v_add_u32_e32 v37, v35, v84
	v_lshrrev_b32_e32 v38, 1, v37
	v_and_b32_e32 v37, -2, v37
	v_not_b32_e32 v39, v38
	v_add_u32_e32 v37, v83, v37
	v_lshl_add_u32 v39, v39, 1, v36
	ds_read_u16 v37, v37
	ds_read_u16 v39, v39
	v_add_u32_e32 v48, 1, v38
	s_waitcnt lgkmcnt(1)
	v_lshlrev_b32_e32 v37, 16, v37
	s_waitcnt lgkmcnt(0)
	v_lshlrev_b32_e32 v39, 16, v39
	v_cmp_lt_f32_e64 s[8:9], v39, v37
	v_cndmask_b32_e64 v35, v35, v38, s[8:9]
	v_cndmask_b32_e64 v84, v48, v84, s[8:9]
	v_cmp_ge_u32_e64 s[8:9], v84, v35
	s_or_b64 s[20:21], s[8:9], s[20:21]
	s_andn2_b64 exec, exec, s[20:21]
	s_cbranch_execnz .LBB1971_108
; %bb.109:
	s_or_b64 exec, exec, s[20:21]
.LBB1971_110:
	s_or_b64 exec, exec, s[12:13]
	v_add_u32_e32 v86, v81, v86
	v_add_u32_e32 v85, v84, v85
	v_sub_u32_e32 v86, v86, v84
	v_cmp_le_u32_e64 s[8:9], v85, v81
	v_cmp_le_u32_e64 s[12:13], v86, v82
	v_lshrrev_b32_e32 v49, 5, v18
	v_lshrrev_b32_e32 v48, 5, v34
	;; [unrolled: 1-line block ×8, first 2 shown]
	v_add_u32_e32 v80, 0x1000, v68
	s_or_b64 s[8:9], s[8:9], s[12:13]
	s_and_saveexec_b64 s[22:23], s[8:9]
	s_cbranch_execz .LBB1971_116
; %bb.111:
	v_cmp_lt_u32_e64 s[8:9], v85, v81
                                        ; implicit-def: $vgpr11
	s_and_saveexec_b64 s[12:13], s[8:9]
	s_cbranch_execz .LBB1971_113
; %bb.112:
	v_lshl_add_u32 v10, v84, 1, v83
	ds_read_u16 v11, v10
.LBB1971_113:
	s_or_b64 exec, exec, s[12:13]
	v_cmp_ge_u32_e64 s[20:21], v86, v82
	v_cmp_lt_u32_e64 s[12:13], v86, v82
                                        ; implicit-def: $vgpr12
	s_and_saveexec_b64 s[24:25], s[12:13]
	s_cbranch_execz .LBB1971_115
; %bb.114:
	v_lshl_add_u32 v10, v86, 1, v51
	ds_read_u16 v12, v10
.LBB1971_115:
	s_or_b64 exec, exec, s[24:25]
	s_waitcnt lgkmcnt(0)
	v_lshlrev_b32_e32 v10, 16, v11
	v_lshlrev_b32_e32 v13, 16, v12
	v_cmp_nlt_f32_e64 s[12:13], v13, v10
	s_and_b64 s[8:9], s[8:9], s[12:13]
	s_or_b64 s[8:9], s[20:21], s[8:9]
	v_cndmask_b32_e64 v13, v86, v85, s[8:9]
	v_cndmask_b32_e64 v14, v82, v81, s[8:9]
	v_lshl_add_u32 v10, v13, 2, v50
	v_add_u32_e32 v13, 1, v13
	v_add_u32_e32 v14, -1, v14
	v_min_u32_e32 v14, v13, v14
	v_lshl_add_u32 v14, v14, 1, v51
	ds_read_u16 v14, v14
	v_cndmask_b32_e64 v52, v12, v11, s[8:9]
	v_cndmask_b32_e64 v15, v13, v86, s[8:9]
	v_cndmask_b32_e64 v13, v85, v13, s[8:9]
	v_cmp_lt_u32_e64 s[12:13], v13, v81
	s_waitcnt lgkmcnt(0)
	v_cndmask_b32_e64 v12, v14, v12, s[8:9]
	v_cndmask_b32_e64 v14, v11, v14, s[8:9]
	v_lshlrev_b32_e32 v11, 16, v12
	v_lshlrev_b32_e32 v16, 16, v14
	v_cmp_nlt_f32_e64 s[20:21], v11, v16
	v_cmp_ge_u32_e64 s[8:9], v15, v82
	s_and_b64 s[12:13], s[12:13], s[20:21]
	s_or_b64 s[8:9], s[8:9], s[12:13]
	v_cndmask_b32_e64 v16, v15, v13, s[8:9]
	v_cndmask_b32_e64 v17, v82, v81, s[8:9]
	v_lshl_add_u32 v11, v16, 2, v50
	v_add_u32_e32 v16, 1, v16
	v_add_u32_e32 v17, -1, v17
	v_min_u32_e32 v17, v16, v17
	v_lshl_add_u32 v17, v17, 1, v51
	ds_read_u16 v17, v17
	v_cndmask_b32_e64 v53, v12, v14, s[8:9]
	v_cndmask_b32_e64 v15, v16, v15, s[8:9]
	v_cndmask_b32_e64 v13, v13, v16, s[8:9]
	v_cmp_lt_u32_e64 s[12:13], v13, v81
	s_waitcnt lgkmcnt(0)
	v_cndmask_b32_e64 v55, v17, v12, s[8:9]
	v_cndmask_b32_e64 v14, v14, v17, s[8:9]
	v_lshlrev_b32_e32 v12, 16, v55
	v_lshlrev_b32_e32 v16, 16, v14
	v_cmp_nlt_f32_e64 s[20:21], v12, v16
	v_cmp_ge_u32_e64 s[8:9], v15, v82
	;; [unrolled: 21-line block ×6, first 2 shown]
	s_and_b64 s[12:13], s[12:13], s[20:21]
	s_or_b64 s[8:9], s[8:9], s[12:13]
	v_cndmask_b32_e64 v84, v83, v17, s[8:9]
	v_cndmask_b32_e64 v86, v82, v81, s[8:9]
	v_lshl_add_u32 v16, v84, 2, v50
	v_add_u32_e32 v84, 1, v84
	v_add_u32_e32 v86, -1, v86
	v_min_u32_e32 v86, v84, v86
	v_lshl_add_u32 v86, v86, 1, v51
	ds_read_u16 v86, v86
	v_cndmask_b32_e64 v70, v85, v71, s[8:9]
	v_cndmask_b32_e64 v83, v84, v83, s[8:9]
	;; [unrolled: 1-line block ×3, first 2 shown]
	v_cmp_lt_u32_e64 s[12:13], v17, v81
	s_waitcnt lgkmcnt(0)
	v_cndmask_b32_e64 v85, v86, v85, s[8:9]
	v_cndmask_b32_e64 v71, v71, v86, s[8:9]
	v_cmp_ge_u32_e64 s[8:9], v83, v82
	v_lshlrev_b32_e32 v81, 16, v85
	v_lshlrev_b32_e32 v82, 16, v71
	v_cmp_nlt_f32_e64 s[20:21], v81, v82
	s_and_b64 s[12:13], s[12:13], s[20:21]
	s_or_b64 s[8:9], s[8:9], s[12:13]
	v_cndmask_b32_e64 v17, v83, v17, s[8:9]
	v_lshl_add_u32 v17, v17, 2, v50
	ds_read_b32 v10, v10 offset:4096
	ds_read_b32 v11, v11 offset:4096
	;; [unrolled: 1-line block ×8, first 2 shown]
	v_cndmask_b32_e64 v71, v85, v71, s[8:9]
.LBB1971_116:
	s_or_b64 exec, exec, s[22:23]
	s_mov_b32 s8, 0x5040100
	v_perm_b32 v85, v71, v70, s8
	v_perm_b32 v84, v69, v67, s8
	;; [unrolled: 1-line block ×4, first 2 shown]
	; wave barrier
	s_waitcnt lgkmcnt(4)
	ds_write_b128 v68, v[10:13] offset:4096
	ds_write_b128 v66, v[82:85]
	s_waitcnt lgkmcnt(2)
	ds_write_b128 v80, v[14:17] offset:16
	v_and_b32_e32 v85, 0x3e0, v65
	v_or_b32_e32 v81, 16, v85
	v_min_u32_e32 v81, v64, v81
	v_add_u32_e32 v82, 16, v81
	v_min_u32_e32 v82, v64, v82
	v_and_b32_e32 v83, 24, v65
	v_min_u32_e32 v86, v64, v83
	v_sub_u32_e32 v87, v81, v85
	v_sub_u32_e32 v84, v82, v81
	v_sub_u32_e64 v84, v86, v84 clamp
	v_min_u32_e32 v87, v86, v87
	v_lshl_add_u32 v83, v85, 1, v51
	v_cmp_lt_u32_e64 s[8:9], v84, v87
	; wave barrier
	s_and_saveexec_b64 s[12:13], s[8:9]
	s_cbranch_execz .LBB1971_120
; %bb.117:
	v_lshlrev_b32_e32 v96, 1, v81
	v_lshlrev_b32_e32 v97, 1, v86
	v_add3_u32 v96, v51, v96, v97
	s_mov_b64 s[20:21], 0
.LBB1971_118:                           ; =>This Inner Loop Header: Depth=1
	v_add_u32_e32 v97, v87, v84
	v_lshrrev_b32_e32 v98, 1, v97
	v_and_b32_e32 v97, -2, v97
	v_not_b32_e32 v99, v98
	v_add_u32_e32 v97, v83, v97
	v_lshl_add_u32 v99, v99, 1, v96
	ds_read_u16 v97, v97
	ds_read_u16 v99, v99
	v_add_u32_e32 v100, 1, v98
	s_waitcnt lgkmcnt(1)
	v_lshlrev_b32_e32 v97, 16, v97
	s_waitcnt lgkmcnt(0)
	v_lshlrev_b32_e32 v99, 16, v99
	v_cmp_lt_f32_e64 s[8:9], v99, v97
	v_cndmask_b32_e64 v87, v87, v98, s[8:9]
	v_cndmask_b32_e64 v84, v100, v84, s[8:9]
	v_cmp_ge_u32_e64 s[8:9], v84, v87
	s_or_b64 s[20:21], s[8:9], s[20:21]
	s_andn2_b64 exec, exec, s[20:21]
	s_cbranch_execnz .LBB1971_118
; %bb.119:
	s_or_b64 exec, exec, s[20:21]
.LBB1971_120:
	s_or_b64 exec, exec, s[12:13]
	v_add_u32_e32 v86, v81, v86
	v_add_u32_e32 v85, v84, v85
	v_sub_u32_e32 v86, v86, v84
	v_cmp_le_u32_e64 s[8:9], v85, v81
	v_cmp_le_u32_e64 s[12:13], v86, v82
	s_or_b64 s[8:9], s[8:9], s[12:13]
	s_and_saveexec_b64 s[42:43], s[8:9]
	s_cbranch_execz .LBB1971_126
; %bb.121:
	v_cmp_lt_u32_e64 s[8:9], v85, v81
                                        ; implicit-def: $vgpr17
	s_and_saveexec_b64 s[12:13], s[8:9]
	s_cbranch_execz .LBB1971_123
; %bb.122:
	v_lshl_add_u32 v10, v84, 1, v83
	ds_read_u16 v17, v10
.LBB1971_123:
	s_or_b64 exec, exec, s[12:13]
	v_cmp_ge_u32_e64 s[20:21], v86, v82
	v_cmp_lt_u32_e64 s[12:13], v86, v82
                                        ; implicit-def: $vgpr52
	s_and_saveexec_b64 s[22:23], s[12:13]
	s_cbranch_execz .LBB1971_125
; %bb.124:
	v_lshl_add_u32 v10, v86, 1, v51
	ds_read_u16 v52, v10
.LBB1971_125:
	s_or_b64 exec, exec, s[22:23]
	s_waitcnt lgkmcnt(0)
	v_lshlrev_b32_e32 v10, 16, v17
	v_lshlrev_b32_e32 v11, 16, v52
	v_cmp_nlt_f32_e64 s[12:13], v11, v10
	s_and_b64 s[8:9], s[8:9], s[12:13]
	s_or_b64 s[8:9], s[20:21], s[8:9]
	v_cndmask_b32_e64 v10, v86, v85, s[8:9]
	v_cndmask_b32_e64 v11, v82, v81, s[8:9]
	v_add_u32_e32 v12, 1, v10
	v_add_u32_e32 v11, -1, v11
	v_min_u32_e32 v11, v12, v11
	v_lshl_add_u32 v11, v11, 1, v51
	ds_read_u16 v11, v11
	v_lshl_add_u32 v10, v10, 2, v50
	ds_read_b32 v10, v10 offset:4096
	s_waitcnt lgkmcnt(1)
	v_cndmask_b32_e64 v53, v11, v52, s[8:9]
	v_cndmask_b32_e64 v54, v17, v11, s[8:9]
	;; [unrolled: 1-line block ×4, first 2 shown]
	v_lshlrev_b32_e32 v13, 16, v53
	v_lshlrev_b32_e32 v14, 16, v54
	v_cmp_lt_u32_e64 s[20:21], v12, v81
	v_cmp_nlt_f32_e64 s[22:23], v13, v14
	v_cmp_ge_u32_e64 s[12:13], v11, v82
	s_and_b64 s[20:21], s[20:21], s[22:23]
	s_or_b64 s[20:21], s[12:13], s[20:21]
	v_cndmask_b32_e64 v13, v11, v12, s[20:21]
	v_cndmask_b32_e64 v14, v82, v81, s[20:21]
	v_add_u32_e32 v15, 1, v13
	v_add_u32_e32 v14, -1, v14
	v_min_u32_e32 v14, v15, v14
	v_lshl_add_u32 v14, v14, 1, v51
	ds_read_u16 v14, v14
	v_cndmask_b32_e64 v11, v15, v11, s[20:21]
	v_cndmask_b32_e64 v12, v12, v15, s[20:21]
	v_cmp_lt_u32_e64 s[22:23], v12, v81
	v_cmp_ge_u32_e64 s[12:13], v11, v82
	s_waitcnt lgkmcnt(0)
	v_cndmask_b32_e64 v55, v14, v53, s[20:21]
	v_cndmask_b32_e64 v67, v54, v14, s[20:21]
	v_lshlrev_b32_e32 v14, 16, v55
	v_lshlrev_b32_e32 v15, 16, v67
	v_cmp_nlt_f32_e64 s[24:25], v14, v15
	s_and_b64 s[22:23], s[22:23], s[24:25]
	s_or_b64 s[22:23], s[12:13], s[22:23]
	v_cndmask_b32_e64 v14, v11, v12, s[22:23]
	v_cndmask_b32_e64 v15, v82, v81, s[22:23]
	v_add_u32_e32 v16, 1, v14
	v_add_u32_e32 v15, -1, v15
	v_min_u32_e32 v15, v16, v15
	v_lshl_add_u32 v15, v15, 1, v51
	ds_read_u16 v15, v15
	v_cndmask_b32_e64 v12, v12, v16, s[22:23]
	v_cmp_lt_u32_e64 s[24:25], v12, v81
	v_cndmask_b32_e64 v53, v53, v54, s[20:21]
	v_cndmask_b32_e64 v54, v55, v67, s[22:23]
	s_waitcnt lgkmcnt(0)
	v_cndmask_b32_e64 v69, v15, v55, s[22:23]
	v_cndmask_b32_e64 v70, v67, v15, s[22:23]
	;; [unrolled: 1-line block ×3, first 2 shown]
	v_lshlrev_b32_e32 v11, 16, v69
	v_lshlrev_b32_e32 v16, 16, v70
	v_cmp_nlt_f32_e64 s[26:27], v11, v16
	v_cmp_ge_u32_e64 s[12:13], v15, v82
	s_and_b64 s[24:25], s[24:25], s[26:27]
	s_or_b64 s[12:13], s[12:13], s[24:25]
	v_cndmask_b32_e64 v16, v15, v12, s[12:13]
	v_cndmask_b32_e64 v11, v82, v81, s[12:13]
	v_add_u32_e32 v71, 1, v16
	v_add_u32_e32 v11, -1, v11
	v_min_u32_e32 v11, v71, v11
	v_lshl_add_u32 v11, v11, 1, v51
	ds_read_u16 v83, v11
	v_lshl_add_u32 v11, v13, 2, v50
	v_cndmask_b32_e64 v15, v71, v15, s[12:13]
	v_cndmask_b32_e64 v71, v12, v71, s[12:13]
	v_cmp_lt_u32_e64 s[26:27], v71, v81
	s_waitcnt lgkmcnt(0)
	v_cndmask_b32_e64 v84, v83, v69, s[12:13]
	v_cndmask_b32_e64 v83, v70, v83, s[12:13]
	v_lshlrev_b32_e32 v12, 16, v84
	v_lshlrev_b32_e32 v13, 16, v83
	v_cmp_nlt_f32_e64 s[28:29], v12, v13
	v_cmp_ge_u32_e64 s[24:25], v15, v82
	s_and_b64 s[26:27], s[26:27], s[28:29]
	s_or_b64 s[24:25], s[24:25], s[26:27]
	v_cndmask_b32_e64 v85, v15, v71, s[24:25]
	v_cndmask_b32_e64 v12, v82, v81, s[24:25]
	v_add_u32_e32 v86, 1, v85
	v_add_u32_e32 v12, -1, v12
	v_min_u32_e32 v12, v86, v12
	v_lshl_add_u32 v12, v12, 1, v51
	ds_read_b32 v11, v11 offset:4096
	ds_read_u16 v87, v12
	v_lshl_add_u32 v13, v16, 2, v50
	ds_read_b32 v13, v13 offset:4096
	v_lshl_add_u32 v12, v14, 2, v50
	v_cndmask_b32_e64 v16, v86, v15, s[24:25]
	s_waitcnt lgkmcnt(1)
	v_cndmask_b32_e64 v96, v87, v84, s[24:25]
	v_cndmask_b32_e64 v87, v83, v87, s[24:25]
	;; [unrolled: 1-line block ×3, first 2 shown]
	v_lshlrev_b32_e32 v14, 16, v96
	v_lshlrev_b32_e32 v15, 16, v87
	v_cmp_lt_u32_e64 s[28:29], v71, v81
	v_cmp_nlt_f32_e64 s[30:31], v14, v15
	v_cmp_ge_u32_e64 s[26:27], v16, v82
	s_and_b64 s[28:29], s[28:29], s[30:31]
	s_or_b64 s[26:27], s[26:27], s[28:29]
	v_cndmask_b32_e64 v15, v16, v71, s[26:27]
	v_cndmask_b32_e64 v14, v82, v81, s[26:27]
	v_add_u32_e32 v86, 1, v15
	v_add_u32_e32 v14, -1, v14
	v_min_u32_e32 v14, v86, v14
	v_lshl_add_u32 v14, v14, 1, v51
	ds_read_b32 v12, v12 offset:4096
	ds_read_u16 v97, v14
	v_lshl_add_u32 v15, v15, 2, v50
	ds_read_b32 v15, v15 offset:4096
	v_lshl_add_u32 v14, v85, 2, v50
	v_cndmask_b32_e64 v98, v86, v16, s[26:27]
	s_waitcnt lgkmcnt(1)
	v_cndmask_b32_e64 v85, v97, v96, s[26:27]
	v_cndmask_b32_e64 v97, v87, v97, s[26:27]
	;; [unrolled: 1-line block ×3, first 2 shown]
	v_lshlrev_b32_e32 v16, 16, v85
	v_lshlrev_b32_e32 v86, 16, v97
	v_cmp_lt_u32_e64 s[30:31], v71, v81
	v_cmp_nlt_f32_e64 s[36:37], v16, v86
	v_cmp_ge_u32_e64 s[28:29], v98, v82
	s_and_b64 s[30:31], s[30:31], s[36:37]
	s_or_b64 s[28:29], s[28:29], s[30:31]
	v_cndmask_b32_e64 v16, v98, v71, s[28:29]
	v_cndmask_b32_e64 v86, v82, v81, s[28:29]
	v_lshl_add_u32 v99, v16, 2, v50
	v_add_u32_e32 v100, 1, v16
	v_add_u32_e32 v16, -1, v86
	v_min_u32_e32 v16, v100, v16
	v_lshl_add_u32 v86, v16, 1, v51
	ds_read_b32 v14, v14 offset:4096
	ds_read_b32 v16, v99 offset:4096
	ds_read_u16 v86, v86
	v_cndmask_b32_e64 v55, v69, v70, s[12:13]
	v_cndmask_b32_e64 v67, v71, v100, s[28:29]
	;; [unrolled: 1-line block ×4, first 2 shown]
	s_waitcnt lgkmcnt(0)
	v_cndmask_b32_e64 v99, v86, v85, s[28:29]
	v_cndmask_b32_e64 v86, v97, v86, s[28:29]
	v_lshlrev_b32_e32 v69, 16, v99
	v_lshlrev_b32_e32 v70, 16, v86
	v_cmp_lt_u32_e64 s[12:13], v67, v81
	v_cmp_nlt_f32_e64 s[20:21], v69, v70
	v_cmp_ge_u32_e64 s[8:9], v17, v82
	s_and_b64 s[12:13], s[12:13], s[20:21]
	s_or_b64 s[8:9], s[8:9], s[12:13]
	v_cndmask_b32_e64 v17, v17, v67, s[8:9]
	v_lshl_add_u32 v17, v17, 2, v50
	ds_read_b32 v17, v17 offset:4096
	v_cndmask_b32_e64 v67, v84, v83, s[24:25]
	v_cndmask_b32_e64 v69, v96, v87, s[26:27]
	;; [unrolled: 1-line block ×4, first 2 shown]
.LBB1971_126:
	s_or_b64 exec, exec, s[42:43]
	s_mov_b32 s8, 0x5040100
	v_perm_b32 v85, v71, v70, s8
	v_perm_b32 v84, v69, v67, s8
	;; [unrolled: 1-line block ×4, first 2 shown]
	; wave barrier
	ds_write_b128 v68, v[10:13] offset:4096
	ds_write_b128 v66, v[82:85]
	s_waitcnt lgkmcnt(2)
	ds_write_b128 v80, v[14:17] offset:16
	v_and_b32_e32 v85, 0x3c0, v65
	v_or_b32_e32 v81, 32, v85
	v_min_u32_e32 v81, v64, v81
	v_add_u32_e32 v82, 32, v81
	v_min_u32_e32 v82, v64, v82
	v_and_b32_e32 v83, 56, v65
	v_min_u32_e32 v86, v64, v83
	v_sub_u32_e32 v87, v81, v85
	v_sub_u32_e32 v84, v82, v81
	v_sub_u32_e64 v84, v86, v84 clamp
	v_min_u32_e32 v87, v86, v87
	v_lshl_add_u32 v83, v85, 1, v51
	v_cmp_lt_u32_e64 s[8:9], v84, v87
	; wave barrier
	s_and_saveexec_b64 s[12:13], s[8:9]
	s_cbranch_execz .LBB1971_130
; %bb.127:
	v_lshlrev_b32_e32 v96, 1, v81
	v_lshlrev_b32_e32 v97, 1, v86
	v_add3_u32 v96, v51, v96, v97
	s_mov_b64 s[20:21], 0
.LBB1971_128:                           ; =>This Inner Loop Header: Depth=1
	v_add_u32_e32 v97, v87, v84
	v_lshrrev_b32_e32 v98, 1, v97
	v_and_b32_e32 v97, -2, v97
	v_not_b32_e32 v99, v98
	v_add_u32_e32 v97, v83, v97
	v_lshl_add_u32 v99, v99, 1, v96
	ds_read_u16 v97, v97
	ds_read_u16 v99, v99
	v_add_u32_e32 v100, 1, v98
	s_waitcnt lgkmcnt(1)
	v_lshlrev_b32_e32 v97, 16, v97
	s_waitcnt lgkmcnt(0)
	v_lshlrev_b32_e32 v99, 16, v99
	v_cmp_lt_f32_e64 s[8:9], v99, v97
	v_cndmask_b32_e64 v87, v87, v98, s[8:9]
	v_cndmask_b32_e64 v84, v100, v84, s[8:9]
	v_cmp_ge_u32_e64 s[8:9], v84, v87
	s_or_b64 s[20:21], s[8:9], s[20:21]
	s_andn2_b64 exec, exec, s[20:21]
	s_cbranch_execnz .LBB1971_128
; %bb.129:
	s_or_b64 exec, exec, s[20:21]
.LBB1971_130:
	s_or_b64 exec, exec, s[12:13]
	v_add_u32_e32 v86, v81, v86
	v_add_u32_e32 v85, v84, v85
	v_sub_u32_e32 v86, v86, v84
	v_cmp_le_u32_e64 s[8:9], v85, v81
	v_cmp_le_u32_e64 s[12:13], v86, v82
	s_or_b64 s[8:9], s[8:9], s[12:13]
	s_and_saveexec_b64 s[42:43], s[8:9]
	s_cbranch_execz .LBB1971_136
; %bb.131:
	v_cmp_lt_u32_e64 s[8:9], v85, v81
                                        ; implicit-def: $vgpr17
	s_and_saveexec_b64 s[12:13], s[8:9]
	s_cbranch_execz .LBB1971_133
; %bb.132:
	v_lshl_add_u32 v10, v84, 1, v83
	ds_read_u16 v17, v10
.LBB1971_133:
	s_or_b64 exec, exec, s[12:13]
	v_cmp_ge_u32_e64 s[20:21], v86, v82
	v_cmp_lt_u32_e64 s[12:13], v86, v82
                                        ; implicit-def: $vgpr52
	s_and_saveexec_b64 s[22:23], s[12:13]
	s_cbranch_execz .LBB1971_135
; %bb.134:
	v_lshl_add_u32 v10, v86, 1, v51
	ds_read_u16 v52, v10
.LBB1971_135:
	s_or_b64 exec, exec, s[22:23]
	s_waitcnt lgkmcnt(0)
	v_lshlrev_b32_e32 v10, 16, v17
	v_lshlrev_b32_e32 v11, 16, v52
	v_cmp_nlt_f32_e64 s[12:13], v11, v10
	s_and_b64 s[8:9], s[8:9], s[12:13]
	s_or_b64 s[8:9], s[20:21], s[8:9]
	v_cndmask_b32_e64 v10, v86, v85, s[8:9]
	v_cndmask_b32_e64 v11, v82, v81, s[8:9]
	v_add_u32_e32 v12, 1, v10
	v_add_u32_e32 v11, -1, v11
	v_min_u32_e32 v11, v12, v11
	v_lshl_add_u32 v11, v11, 1, v51
	ds_read_u16 v11, v11
	v_lshl_add_u32 v10, v10, 2, v50
	ds_read_b32 v10, v10 offset:4096
	s_waitcnt lgkmcnt(1)
	v_cndmask_b32_e64 v53, v11, v52, s[8:9]
	v_cndmask_b32_e64 v54, v17, v11, s[8:9]
	;; [unrolled: 1-line block ×4, first 2 shown]
	v_lshlrev_b32_e32 v13, 16, v53
	v_lshlrev_b32_e32 v14, 16, v54
	v_cmp_lt_u32_e64 s[20:21], v12, v81
	v_cmp_nlt_f32_e64 s[22:23], v13, v14
	v_cmp_ge_u32_e64 s[12:13], v11, v82
	s_and_b64 s[20:21], s[20:21], s[22:23]
	s_or_b64 s[20:21], s[12:13], s[20:21]
	v_cndmask_b32_e64 v13, v11, v12, s[20:21]
	v_cndmask_b32_e64 v14, v82, v81, s[20:21]
	v_add_u32_e32 v15, 1, v13
	v_add_u32_e32 v14, -1, v14
	v_min_u32_e32 v14, v15, v14
	v_lshl_add_u32 v14, v14, 1, v51
	ds_read_u16 v14, v14
	v_cndmask_b32_e64 v11, v15, v11, s[20:21]
	v_cndmask_b32_e64 v12, v12, v15, s[20:21]
	v_cmp_lt_u32_e64 s[22:23], v12, v81
	v_cmp_ge_u32_e64 s[12:13], v11, v82
	s_waitcnt lgkmcnt(0)
	v_cndmask_b32_e64 v55, v14, v53, s[20:21]
	v_cndmask_b32_e64 v67, v54, v14, s[20:21]
	v_lshlrev_b32_e32 v14, 16, v55
	v_lshlrev_b32_e32 v15, 16, v67
	v_cmp_nlt_f32_e64 s[24:25], v14, v15
	s_and_b64 s[22:23], s[22:23], s[24:25]
	s_or_b64 s[22:23], s[12:13], s[22:23]
	v_cndmask_b32_e64 v14, v11, v12, s[22:23]
	v_cndmask_b32_e64 v15, v82, v81, s[22:23]
	v_add_u32_e32 v16, 1, v14
	v_add_u32_e32 v15, -1, v15
	v_min_u32_e32 v15, v16, v15
	v_lshl_add_u32 v15, v15, 1, v51
	ds_read_u16 v15, v15
	v_cndmask_b32_e64 v12, v12, v16, s[22:23]
	v_cmp_lt_u32_e64 s[24:25], v12, v81
	v_cndmask_b32_e64 v53, v53, v54, s[20:21]
	v_cndmask_b32_e64 v54, v55, v67, s[22:23]
	s_waitcnt lgkmcnt(0)
	v_cndmask_b32_e64 v69, v15, v55, s[22:23]
	v_cndmask_b32_e64 v70, v67, v15, s[22:23]
	;; [unrolled: 1-line block ×3, first 2 shown]
	v_lshlrev_b32_e32 v11, 16, v69
	v_lshlrev_b32_e32 v16, 16, v70
	v_cmp_nlt_f32_e64 s[26:27], v11, v16
	v_cmp_ge_u32_e64 s[12:13], v15, v82
	s_and_b64 s[24:25], s[24:25], s[26:27]
	s_or_b64 s[12:13], s[12:13], s[24:25]
	v_cndmask_b32_e64 v16, v15, v12, s[12:13]
	v_cndmask_b32_e64 v11, v82, v81, s[12:13]
	v_add_u32_e32 v71, 1, v16
	v_add_u32_e32 v11, -1, v11
	v_min_u32_e32 v11, v71, v11
	v_lshl_add_u32 v11, v11, 1, v51
	ds_read_u16 v83, v11
	v_lshl_add_u32 v11, v13, 2, v50
	v_cndmask_b32_e64 v15, v71, v15, s[12:13]
	v_cndmask_b32_e64 v71, v12, v71, s[12:13]
	v_cmp_lt_u32_e64 s[26:27], v71, v81
	s_waitcnt lgkmcnt(0)
	v_cndmask_b32_e64 v84, v83, v69, s[12:13]
	v_cndmask_b32_e64 v83, v70, v83, s[12:13]
	v_lshlrev_b32_e32 v12, 16, v84
	v_lshlrev_b32_e32 v13, 16, v83
	v_cmp_nlt_f32_e64 s[28:29], v12, v13
	v_cmp_ge_u32_e64 s[24:25], v15, v82
	s_and_b64 s[26:27], s[26:27], s[28:29]
	s_or_b64 s[24:25], s[24:25], s[26:27]
	v_cndmask_b32_e64 v85, v15, v71, s[24:25]
	v_cndmask_b32_e64 v12, v82, v81, s[24:25]
	v_add_u32_e32 v86, 1, v85
	v_add_u32_e32 v12, -1, v12
	v_min_u32_e32 v12, v86, v12
	v_lshl_add_u32 v12, v12, 1, v51
	ds_read_b32 v11, v11 offset:4096
	ds_read_u16 v87, v12
	v_lshl_add_u32 v13, v16, 2, v50
	ds_read_b32 v13, v13 offset:4096
	v_lshl_add_u32 v12, v14, 2, v50
	v_cndmask_b32_e64 v16, v86, v15, s[24:25]
	s_waitcnt lgkmcnt(1)
	v_cndmask_b32_e64 v96, v87, v84, s[24:25]
	v_cndmask_b32_e64 v87, v83, v87, s[24:25]
	;; [unrolled: 1-line block ×3, first 2 shown]
	v_lshlrev_b32_e32 v14, 16, v96
	v_lshlrev_b32_e32 v15, 16, v87
	v_cmp_lt_u32_e64 s[28:29], v71, v81
	v_cmp_nlt_f32_e64 s[30:31], v14, v15
	v_cmp_ge_u32_e64 s[26:27], v16, v82
	s_and_b64 s[28:29], s[28:29], s[30:31]
	s_or_b64 s[26:27], s[26:27], s[28:29]
	v_cndmask_b32_e64 v15, v16, v71, s[26:27]
	v_cndmask_b32_e64 v14, v82, v81, s[26:27]
	v_add_u32_e32 v86, 1, v15
	v_add_u32_e32 v14, -1, v14
	v_min_u32_e32 v14, v86, v14
	v_lshl_add_u32 v14, v14, 1, v51
	ds_read_b32 v12, v12 offset:4096
	ds_read_u16 v97, v14
	v_lshl_add_u32 v15, v15, 2, v50
	ds_read_b32 v15, v15 offset:4096
	v_lshl_add_u32 v14, v85, 2, v50
	v_cndmask_b32_e64 v98, v86, v16, s[26:27]
	s_waitcnt lgkmcnt(1)
	v_cndmask_b32_e64 v85, v97, v96, s[26:27]
	v_cndmask_b32_e64 v97, v87, v97, s[26:27]
	;; [unrolled: 1-line block ×3, first 2 shown]
	v_lshlrev_b32_e32 v16, 16, v85
	v_lshlrev_b32_e32 v86, 16, v97
	v_cmp_lt_u32_e64 s[30:31], v71, v81
	v_cmp_nlt_f32_e64 s[36:37], v16, v86
	v_cmp_ge_u32_e64 s[28:29], v98, v82
	s_and_b64 s[30:31], s[30:31], s[36:37]
	s_or_b64 s[28:29], s[28:29], s[30:31]
	v_cndmask_b32_e64 v16, v98, v71, s[28:29]
	v_cndmask_b32_e64 v86, v82, v81, s[28:29]
	v_lshl_add_u32 v99, v16, 2, v50
	v_add_u32_e32 v100, 1, v16
	v_add_u32_e32 v16, -1, v86
	v_min_u32_e32 v16, v100, v16
	v_lshl_add_u32 v86, v16, 1, v51
	ds_read_b32 v14, v14 offset:4096
	ds_read_b32 v16, v99 offset:4096
	ds_read_u16 v86, v86
	v_cndmask_b32_e64 v55, v69, v70, s[12:13]
	v_cndmask_b32_e64 v67, v71, v100, s[28:29]
	;; [unrolled: 1-line block ×4, first 2 shown]
	s_waitcnt lgkmcnt(0)
	v_cndmask_b32_e64 v99, v86, v85, s[28:29]
	v_cndmask_b32_e64 v86, v97, v86, s[28:29]
	v_lshlrev_b32_e32 v69, 16, v99
	v_lshlrev_b32_e32 v70, 16, v86
	v_cmp_lt_u32_e64 s[12:13], v67, v81
	v_cmp_nlt_f32_e64 s[20:21], v69, v70
	v_cmp_ge_u32_e64 s[8:9], v17, v82
	s_and_b64 s[12:13], s[12:13], s[20:21]
	s_or_b64 s[8:9], s[8:9], s[12:13]
	v_cndmask_b32_e64 v17, v17, v67, s[8:9]
	v_lshl_add_u32 v17, v17, 2, v50
	ds_read_b32 v17, v17 offset:4096
	v_cndmask_b32_e64 v67, v84, v83, s[24:25]
	v_cndmask_b32_e64 v69, v96, v87, s[26:27]
	;; [unrolled: 1-line block ×4, first 2 shown]
.LBB1971_136:
	s_or_b64 exec, exec, s[42:43]
	s_mov_b32 s8, 0x5040100
	v_perm_b32 v85, v71, v70, s8
	v_perm_b32 v84, v69, v67, s8
	;; [unrolled: 1-line block ×4, first 2 shown]
	; wave barrier
	ds_write_b128 v68, v[10:13] offset:4096
	ds_write_b128 v66, v[82:85]
	s_waitcnt lgkmcnt(2)
	ds_write_b128 v80, v[14:17] offset:16
	v_and_b32_e32 v80, 0x380, v65
	v_or_b32_e32 v66, 64, v80
	v_min_u32_e32 v66, v64, v66
	v_add_u32_e32 v68, 64, v66
	v_min_u32_e32 v68, v64, v68
	v_and_b32_e32 v65, 0x78, v65
	v_min_u32_e32 v81, v64, v65
	v_sub_u32_e32 v82, v66, v80
	v_sub_u32_e32 v65, v68, v66
	v_sub_u32_e64 v65, v81, v65 clamp
	v_min_u32_e32 v82, v81, v82
	v_lshl_add_u32 v64, v80, 1, v51
	v_cmp_lt_u32_e64 s[8:9], v65, v82
	; wave barrier
	s_and_saveexec_b64 s[12:13], s[8:9]
	s_cbranch_execz .LBB1971_140
; %bb.137:
	v_lshlrev_b32_e32 v83, 1, v66
	v_lshlrev_b32_e32 v84, 1, v81
	v_add3_u32 v83, v51, v83, v84
	s_mov_b64 s[20:21], 0
.LBB1971_138:                           ; =>This Inner Loop Header: Depth=1
	v_add_u32_e32 v84, v82, v65
	v_lshrrev_b32_e32 v85, 1, v84
	v_and_b32_e32 v84, -2, v84
	v_not_b32_e32 v86, v85
	v_add_u32_e32 v84, v64, v84
	v_lshl_add_u32 v86, v86, 1, v83
	ds_read_u16 v84, v84
	ds_read_u16 v86, v86
	v_add_u32_e32 v87, 1, v85
	s_waitcnt lgkmcnt(1)
	v_lshlrev_b32_e32 v84, 16, v84
	s_waitcnt lgkmcnt(0)
	v_lshlrev_b32_e32 v86, 16, v86
	v_cmp_lt_f32_e64 s[8:9], v86, v84
	v_cndmask_b32_e64 v82, v82, v85, s[8:9]
	v_cndmask_b32_e64 v65, v87, v65, s[8:9]
	v_cmp_ge_u32_e64 s[8:9], v65, v82
	s_or_b64 s[20:21], s[8:9], s[20:21]
	s_andn2_b64 exec, exec, s[20:21]
	s_cbranch_execnz .LBB1971_138
; %bb.139:
	s_or_b64 exec, exec, s[20:21]
.LBB1971_140:
	s_or_b64 exec, exec, s[12:13]
	v_add_u32_e32 v81, v66, v81
	v_add_u32_e32 v80, v65, v80
	v_sub_u32_e32 v81, v81, v65
	v_cmp_le_u32_e64 s[8:9], v80, v66
	v_cmp_le_u32_e64 s[12:13], v81, v68
	s_or_b64 s[8:9], s[8:9], s[12:13]
	s_and_saveexec_b64 s[42:43], s[8:9]
	s_cbranch_execz .LBB1971_146
; %bb.141:
	v_cmp_lt_u32_e64 s[8:9], v80, v66
                                        ; implicit-def: $vgpr17
	s_and_saveexec_b64 s[12:13], s[8:9]
	s_cbranch_execz .LBB1971_143
; %bb.142:
	v_lshl_add_u32 v10, v65, 1, v64
	ds_read_u16 v17, v10
.LBB1971_143:
	s_or_b64 exec, exec, s[12:13]
	v_cmp_ge_u32_e64 s[20:21], v81, v68
	v_cmp_lt_u32_e64 s[12:13], v81, v68
                                        ; implicit-def: $vgpr52
	s_and_saveexec_b64 s[22:23], s[12:13]
	s_cbranch_execz .LBB1971_145
; %bb.144:
	v_lshl_add_u32 v10, v81, 1, v51
	ds_read_u16 v52, v10
.LBB1971_145:
	s_or_b64 exec, exec, s[22:23]
	s_waitcnt lgkmcnt(0)
	v_lshlrev_b32_e32 v10, 16, v17
	v_lshlrev_b32_e32 v11, 16, v52
	v_cmp_nlt_f32_e64 s[12:13], v11, v10
	s_and_b64 s[8:9], s[8:9], s[12:13]
	s_or_b64 s[8:9], s[20:21], s[8:9]
	v_cndmask_b32_e64 v10, v81, v80, s[8:9]
	v_cndmask_b32_e64 v11, v68, v66, s[8:9]
	v_add_u32_e32 v12, 1, v10
	v_add_u32_e32 v11, -1, v11
	v_min_u32_e32 v11, v12, v11
	v_lshl_add_u32 v11, v11, 1, v51
	ds_read_u16 v11, v11
	v_lshl_add_u32 v10, v10, 2, v50
	ds_read_b32 v10, v10 offset:4096
	s_waitcnt lgkmcnt(1)
	v_cndmask_b32_e64 v53, v11, v52, s[8:9]
	v_cndmask_b32_e64 v54, v17, v11, s[8:9]
	;; [unrolled: 1-line block ×4, first 2 shown]
	v_lshlrev_b32_e32 v13, 16, v53
	v_lshlrev_b32_e32 v14, 16, v54
	v_cmp_lt_u32_e64 s[20:21], v12, v66
	v_cmp_nlt_f32_e64 s[22:23], v13, v14
	v_cmp_ge_u32_e64 s[12:13], v11, v68
	s_and_b64 s[20:21], s[20:21], s[22:23]
	s_or_b64 s[20:21], s[12:13], s[20:21]
	v_cndmask_b32_e64 v13, v11, v12, s[20:21]
	v_cndmask_b32_e64 v14, v68, v66, s[20:21]
	v_add_u32_e32 v15, 1, v13
	v_add_u32_e32 v14, -1, v14
	v_min_u32_e32 v14, v15, v14
	v_lshl_add_u32 v14, v14, 1, v51
	ds_read_u16 v14, v14
	v_cndmask_b32_e64 v11, v15, v11, s[20:21]
	v_cndmask_b32_e64 v12, v12, v15, s[20:21]
	v_cmp_lt_u32_e64 s[22:23], v12, v66
	v_cmp_ge_u32_e64 s[12:13], v11, v68
	s_waitcnt lgkmcnt(0)
	v_cndmask_b32_e64 v55, v14, v53, s[20:21]
	v_cndmask_b32_e64 v64, v54, v14, s[20:21]
	v_lshlrev_b32_e32 v14, 16, v55
	v_lshlrev_b32_e32 v15, 16, v64
	v_cmp_nlt_f32_e64 s[24:25], v14, v15
	s_and_b64 s[22:23], s[22:23], s[24:25]
	s_or_b64 s[22:23], s[12:13], s[22:23]
	v_cndmask_b32_e64 v14, v11, v12, s[22:23]
	v_cndmask_b32_e64 v15, v68, v66, s[22:23]
	v_add_u32_e32 v16, 1, v14
	v_add_u32_e32 v15, -1, v15
	v_min_u32_e32 v15, v16, v15
	v_lshl_add_u32 v15, v15, 1, v51
	ds_read_u16 v15, v15
	v_cndmask_b32_e64 v12, v12, v16, s[22:23]
	v_cmp_lt_u32_e64 s[24:25], v12, v66
	v_cndmask_b32_e64 v53, v53, v54, s[20:21]
	v_cndmask_b32_e64 v54, v55, v64, s[22:23]
	s_waitcnt lgkmcnt(0)
	v_cndmask_b32_e64 v65, v15, v55, s[22:23]
	v_cndmask_b32_e64 v67, v64, v15, s[22:23]
	;; [unrolled: 1-line block ×3, first 2 shown]
	v_lshlrev_b32_e32 v11, 16, v65
	v_lshlrev_b32_e32 v16, 16, v67
	v_cmp_nlt_f32_e64 s[26:27], v11, v16
	v_cmp_ge_u32_e64 s[12:13], v15, v68
	s_and_b64 s[24:25], s[24:25], s[26:27]
	s_or_b64 s[12:13], s[12:13], s[24:25]
	v_cndmask_b32_e64 v16, v15, v12, s[12:13]
	v_cndmask_b32_e64 v11, v68, v66, s[12:13]
	v_add_u32_e32 v69, 1, v16
	v_add_u32_e32 v11, -1, v11
	v_min_u32_e32 v11, v69, v11
	v_lshl_add_u32 v11, v11, 1, v51
	ds_read_u16 v70, v11
	v_lshl_add_u32 v11, v13, 2, v50
	v_cndmask_b32_e64 v15, v69, v15, s[12:13]
	v_cndmask_b32_e64 v69, v12, v69, s[12:13]
	v_cmp_lt_u32_e64 s[26:27], v69, v66
	s_waitcnt lgkmcnt(0)
	v_cndmask_b32_e64 v71, v70, v65, s[12:13]
	v_cndmask_b32_e64 v70, v67, v70, s[12:13]
	v_lshlrev_b32_e32 v12, 16, v71
	v_lshlrev_b32_e32 v13, 16, v70
	v_cmp_nlt_f32_e64 s[28:29], v12, v13
	v_cmp_ge_u32_e64 s[24:25], v15, v68
	s_and_b64 s[26:27], s[26:27], s[28:29]
	s_or_b64 s[24:25], s[24:25], s[26:27]
	v_cndmask_b32_e64 v80, v15, v69, s[24:25]
	v_cndmask_b32_e64 v12, v68, v66, s[24:25]
	v_add_u32_e32 v81, 1, v80
	v_add_u32_e32 v12, -1, v12
	v_min_u32_e32 v12, v81, v12
	v_lshl_add_u32 v12, v12, 1, v51
	ds_read_b32 v11, v11 offset:4096
	ds_read_u16 v82, v12
	v_lshl_add_u32 v13, v16, 2, v50
	ds_read_b32 v13, v13 offset:4096
	v_lshl_add_u32 v12, v14, 2, v50
	v_cndmask_b32_e64 v16, v81, v15, s[24:25]
	s_waitcnt lgkmcnt(1)
	v_cndmask_b32_e64 v83, v82, v71, s[24:25]
	v_cndmask_b32_e64 v82, v70, v82, s[24:25]
	;; [unrolled: 1-line block ×3, first 2 shown]
	v_lshlrev_b32_e32 v14, 16, v83
	v_lshlrev_b32_e32 v15, 16, v82
	v_cmp_lt_u32_e64 s[28:29], v69, v66
	v_cmp_nlt_f32_e64 s[30:31], v14, v15
	v_cmp_ge_u32_e64 s[26:27], v16, v68
	s_and_b64 s[28:29], s[28:29], s[30:31]
	s_or_b64 s[26:27], s[26:27], s[28:29]
	v_cndmask_b32_e64 v15, v16, v69, s[26:27]
	v_cndmask_b32_e64 v14, v68, v66, s[26:27]
	v_add_u32_e32 v81, 1, v15
	v_add_u32_e32 v14, -1, v14
	v_min_u32_e32 v14, v81, v14
	v_lshl_add_u32 v14, v14, 1, v51
	ds_read_b32 v12, v12 offset:4096
	ds_read_u16 v84, v14
	v_lshl_add_u32 v15, v15, 2, v50
	ds_read_b32 v15, v15 offset:4096
	v_lshl_add_u32 v14, v80, 2, v50
	v_cndmask_b32_e64 v85, v81, v16, s[26:27]
	s_waitcnt lgkmcnt(1)
	v_cndmask_b32_e64 v80, v84, v83, s[26:27]
	v_cndmask_b32_e64 v84, v82, v84, s[26:27]
	;; [unrolled: 1-line block ×3, first 2 shown]
	v_lshlrev_b32_e32 v16, 16, v80
	v_lshlrev_b32_e32 v81, 16, v84
	v_cmp_lt_u32_e64 s[30:31], v69, v66
	v_cmp_nlt_f32_e64 s[36:37], v16, v81
	v_cmp_ge_u32_e64 s[28:29], v85, v68
	s_and_b64 s[30:31], s[30:31], s[36:37]
	s_or_b64 s[28:29], s[28:29], s[30:31]
	v_cndmask_b32_e64 v16, v85, v69, s[28:29]
	v_cndmask_b32_e64 v81, v68, v66, s[28:29]
	v_lshl_add_u32 v86, v16, 2, v50
	v_add_u32_e32 v87, 1, v16
	v_add_u32_e32 v16, -1, v81
	v_min_u32_e32 v16, v87, v16
	v_lshl_add_u32 v51, v16, 1, v51
	ds_read_b32 v14, v14 offset:4096
	ds_read_b32 v16, v86 offset:4096
	ds_read_u16 v51, v51
	v_cndmask_b32_e64 v55, v65, v67, s[12:13]
	v_cndmask_b32_e64 v65, v69, v87, s[28:29]
	v_cmp_lt_u32_e64 s[12:13], v65, v66
	v_cndmask_b32_e64 v52, v52, v17, s[8:9]
	s_waitcnt lgkmcnt(0)
	v_cndmask_b32_e64 v64, v51, v80, s[28:29]
	v_cndmask_b32_e64 v51, v84, v51, s[28:29]
	v_lshlrev_b32_e32 v66, 16, v64
	v_lshlrev_b32_e32 v67, 16, v51
	v_cndmask_b32_e64 v17, v87, v85, s[28:29]
	v_cmp_nlt_f32_e64 s[20:21], v66, v67
	v_cmp_ge_u32_e64 s[8:9], v17, v68
	s_and_b64 s[12:13], s[12:13], s[20:21]
	s_or_b64 s[8:9], s[8:9], s[12:13]
	v_cndmask_b32_e64 v17, v17, v65, s[8:9]
	v_lshl_add_u32 v17, v17, 2, v50
	ds_read_b32 v17, v17 offset:4096
	v_cndmask_b32_e64 v67, v71, v70, s[24:25]
	v_cndmask_b32_e64 v69, v83, v82, s[26:27]
	;; [unrolled: 1-line block ×4, first 2 shown]
.LBB1971_146:
	s_or_b64 exec, exec, s[42:43]
	s_movk_i32 s8, 0x81
	v_cmp_gt_u32_e64 s[8:9], s8, v0
	v_lshlrev_b32_e32 v50, 4, v18
	; wave barrier
	s_waitcnt lgkmcnt(0)
	s_barrier
	s_and_saveexec_b64 s[12:13], s[8:9]
	s_xor_b64 s[8:9], exec, s[12:13]
; %bb.147:
	v_lshlrev_b32_e32 v50, 4, v18
                                        ; implicit-def: $vgpr0
; %bb.148:
	s_andn2_saveexec_b64 s[42:43], s[8:9]
	s_cbranch_execz .LBB1971_162
; %bb.149:
	v_lshlrev_b32_e32 v51, 1, v30
	v_mov_b32_e32 v65, 0x1000
	v_add_u32_e32 v64, v51, v50
	v_lshl_add_u32 v65, v30, 2, v65
	s_movk_i32 s49, 0x80
	s_mov_b64 s[44:45], 0
	s_mov_b32 s48, 0x5040100
	s_branch .LBB1971_152
.LBB1971_150:                           ;   in Loop: Header=BB1971_152 Depth=1
	s_or_b64 exec, exec, s[22:23]
	s_waitcnt lgkmcnt(0)
	v_lshlrev_b32_e32 v10, 16, v17
	v_lshlrev_b32_e32 v11, 16, v52
	v_cmp_nlt_f32_e64 s[12:13], v11, v10
	s_and_b64 s[8:9], s[8:9], s[12:13]
	s_or_b64 s[8:9], s[20:21], s[8:9]
	v_cndmask_b32_e64 v10, v83, v82, s[8:9]
	v_cndmask_b32_e64 v11, v68, v66, s[8:9]
	v_add_u32_e32 v12, 1, v10
	v_add_u32_e32 v11, -1, v11
	v_min_u32_e32 v11, v12, v11
	v_lshlrev_b32_e32 v11, 1, v11
	ds_read_u16 v11, v11
	v_lshlrev_b32_e32 v10, 2, v10
	ds_read_b32 v10, v10 offset:4096
	s_waitcnt lgkmcnt(1)
	v_cndmask_b32_e64 v53, v11, v52, s[8:9]
	v_cndmask_b32_e64 v54, v17, v11, s[8:9]
	v_cndmask_b32_e64 v11, v12, v83, s[8:9]
	v_cndmask_b32_e64 v12, v82, v12, s[8:9]
	v_lshlrev_b32_e32 v13, 16, v53
	v_lshlrev_b32_e32 v14, 16, v54
	v_cmp_lt_u32_e64 s[20:21], v12, v66
	v_cmp_nlt_f32_e64 s[22:23], v13, v14
	v_cmp_ge_u32_e64 s[12:13], v11, v68
	s_and_b64 s[20:21], s[20:21], s[22:23]
	s_or_b64 s[20:21], s[12:13], s[20:21]
	v_cndmask_b32_e64 v13, v11, v12, s[20:21]
	v_cndmask_b32_e64 v14, v68, v66, s[20:21]
	v_add_u32_e32 v15, 1, v13
	v_add_u32_e32 v14, -1, v14
	v_min_u32_e32 v14, v15, v14
	v_lshlrev_b32_e32 v14, 1, v14
	ds_read_u16 v14, v14
	v_cndmask_b32_e64 v11, v15, v11, s[20:21]
	v_cndmask_b32_e64 v12, v12, v15, s[20:21]
	v_cmp_lt_u32_e64 s[22:23], v12, v66
	v_cmp_ge_u32_e64 s[12:13], v11, v68
	s_waitcnt lgkmcnt(0)
	v_cndmask_b32_e64 v55, v14, v53, s[20:21]
	v_cndmask_b32_e64 v67, v54, v14, s[20:21]
	v_lshlrev_b32_e32 v14, 16, v55
	v_lshlrev_b32_e32 v15, 16, v67
	v_cmp_nlt_f32_e64 s[24:25], v14, v15
	s_and_b64 s[22:23], s[22:23], s[24:25]
	s_or_b64 s[22:23], s[12:13], s[22:23]
	v_cndmask_b32_e64 v14, v11, v12, s[22:23]
	v_cndmask_b32_e64 v15, v68, v66, s[22:23]
	v_add_u32_e32 v16, 1, v14
	v_add_u32_e32 v15, -1, v15
	v_min_u32_e32 v15, v16, v15
	v_lshlrev_b32_e32 v15, 1, v15
	ds_read_u16 v15, v15
	v_cndmask_b32_e64 v12, v12, v16, s[22:23]
	v_cmp_lt_u32_e64 s[24:25], v12, v66
	v_cndmask_b32_e64 v52, v52, v17, s[8:9]
	v_cndmask_b32_e64 v53, v53, v54, s[20:21]
	s_waitcnt lgkmcnt(0)
	v_cndmask_b32_e64 v69, v15, v55, s[22:23]
	v_cndmask_b32_e64 v70, v67, v15, s[22:23]
	;; [unrolled: 1-line block ×3, first 2 shown]
	v_lshlrev_b32_e32 v11, 16, v69
	v_lshlrev_b32_e32 v16, 16, v70
	v_cmp_nlt_f32_e64 s[26:27], v11, v16
	v_cmp_ge_u32_e64 s[12:13], v15, v68
	s_and_b64 s[24:25], s[24:25], s[26:27]
	s_or_b64 s[12:13], s[12:13], s[24:25]
	v_cndmask_b32_e64 v16, v15, v12, s[12:13]
	v_cndmask_b32_e64 v11, v68, v66, s[12:13]
	v_add_u32_e32 v71, 1, v16
	v_add_u32_e32 v11, -1, v11
	v_min_u32_e32 v11, v71, v11
	v_lshlrev_b32_e32 v11, 1, v11
	ds_read_u16 v80, v11
	v_lshlrev_b32_e32 v11, 2, v13
	v_cndmask_b32_e64 v15, v71, v15, s[12:13]
	v_cndmask_b32_e64 v71, v12, v71, s[12:13]
	v_cmp_lt_u32_e64 s[26:27], v71, v66
	s_waitcnt lgkmcnt(0)
	v_cndmask_b32_e64 v81, v80, v69, s[12:13]
	v_cndmask_b32_e64 v80, v70, v80, s[12:13]
	v_lshlrev_b32_e32 v12, 16, v81
	v_lshlrev_b32_e32 v13, 16, v80
	v_cmp_nlt_f32_e64 s[28:29], v12, v13
	v_cmp_ge_u32_e64 s[24:25], v15, v68
	s_and_b64 s[26:27], s[26:27], s[28:29]
	s_or_b64 s[24:25], s[24:25], s[26:27]
	v_cndmask_b32_e64 v82, v15, v71, s[24:25]
	v_cndmask_b32_e64 v12, v68, v66, s[24:25]
	v_add_u32_e32 v83, 1, v82
	v_add_u32_e32 v12, -1, v12
	v_min_u32_e32 v12, v83, v12
	v_lshlrev_b32_e32 v12, 1, v12
	ds_read_b32 v11, v11 offset:4096
	ds_read_u16 v84, v12
	v_lshlrev_b32_e32 v13, 2, v16
	ds_read_b32 v13, v13 offset:4096
	v_lshlrev_b32_e32 v12, 2, v14
	v_cndmask_b32_e64 v16, v83, v15, s[24:25]
	s_waitcnt lgkmcnt(1)
	v_cndmask_b32_e64 v85, v84, v81, s[24:25]
	v_cndmask_b32_e64 v84, v80, v84, s[24:25]
	v_cndmask_b32_e64 v71, v71, v83, s[24:25]
	v_lshlrev_b32_e32 v14, 16, v85
	v_lshlrev_b32_e32 v15, 16, v84
	v_cmp_lt_u32_e64 s[28:29], v71, v66
	v_cmp_nlt_f32_e64 s[30:31], v14, v15
	v_cmp_ge_u32_e64 s[26:27], v16, v68
	s_and_b64 s[28:29], s[28:29], s[30:31]
	s_or_b64 s[26:27], s[26:27], s[28:29]
	v_cndmask_b32_e64 v15, v16, v71, s[26:27]
	v_cndmask_b32_e64 v14, v68, v66, s[26:27]
	v_add_u32_e32 v83, 1, v15
	v_add_u32_e32 v14, -1, v14
	v_min_u32_e32 v14, v83, v14
	v_lshlrev_b32_e32 v14, 1, v14
	ds_read_b32 v12, v12 offset:4096
	ds_read_u16 v86, v14
	v_lshlrev_b32_e32 v15, 2, v15
	ds_read_b32 v15, v15 offset:4096
	v_lshlrev_b32_e32 v14, 2, v82
	v_cndmask_b32_e64 v87, v83, v16, s[26:27]
	s_waitcnt lgkmcnt(1)
	v_cndmask_b32_e64 v82, v86, v85, s[26:27]
	v_cndmask_b32_e64 v86, v84, v86, s[26:27]
	;; [unrolled: 1-line block ×3, first 2 shown]
	v_lshlrev_b32_e32 v16, 16, v82
	v_lshlrev_b32_e32 v83, 16, v86
	v_cmp_lt_u32_e64 s[30:31], v71, v66
	v_cmp_nlt_f32_e64 s[36:37], v16, v83
	v_cmp_ge_u32_e64 s[28:29], v87, v68
	s_and_b64 s[30:31], s[30:31], s[36:37]
	s_or_b64 s[28:29], s[28:29], s[30:31]
	v_cndmask_b32_e64 v16, v87, v71, s[28:29]
	v_cndmask_b32_e64 v83, v68, v66, s[28:29]
	v_lshlrev_b32_e32 v96, 2, v16
	v_add_u32_e32 v97, 1, v16
	v_add_u32_e32 v16, -1, v83
	v_min_u32_e32 v16, v97, v16
	v_lshlrev_b32_e32 v83, 1, v16
	ds_read_b32 v14, v14 offset:4096
	ds_read_b32 v16, v96 offset:4096
	ds_read_u16 v83, v83
	v_cndmask_b32_e64 v54, v55, v67, s[22:23]
	v_cndmask_b32_e64 v17, v97, v87, s[28:29]
	;; [unrolled: 1-line block ×4, first 2 shown]
	s_waitcnt lgkmcnt(0)
	v_cndmask_b32_e64 v96, v83, v82, s[28:29]
	v_cndmask_b32_e64 v83, v86, v83, s[28:29]
	v_cmp_ge_u32_e64 s[8:9], v17, v68
	v_cmp_lt_u32_e64 s[12:13], v67, v66
	v_lshlrev_b32_e32 v66, 16, v96
	v_lshlrev_b32_e32 v68, 16, v83
	v_cmp_nlt_f32_e64 s[20:21], v66, v68
	s_and_b64 s[12:13], s[12:13], s[20:21]
	s_or_b64 s[8:9], s[8:9], s[12:13]
	v_cndmask_b32_e64 v17, v17, v67, s[8:9]
	v_lshlrev_b32_e32 v17, 2, v17
	ds_read_b32 v17, v17 offset:4096
	v_cndmask_b32_e64 v67, v81, v80, s[24:25]
	v_cndmask_b32_e64 v69, v85, v84, s[26:27]
	;; [unrolled: 1-line block ×4, first 2 shown]
.LBB1971_151:                           ;   in Loop: Header=BB1971_152 Depth=1
	s_or_b64 exec, exec, s[46:47]
	v_cmp_ge_u32_e64 s[8:9], s49, v0
	s_or_b64 s[44:45], s[8:9], s[44:45]
	s_waitcnt lgkmcnt(0)
	s_barrier
	s_andn2_b64 exec, exec, s[44:45]
	s_cbranch_execz .LBB1971_161
.LBB1971_152:                           ; =>This Loop Header: Depth=1
                                        ;     Child Loop BB1971_154 Depth 2
	s_mov_b32 s8, s49
	s_lshl_b32 s49, s49, 1
	v_perm_b32 v83, v71, v70, s48
	v_perm_b32 v82, v69, v67, s48
	;; [unrolled: 1-line block ×4, first 2 shown]
	s_sub_i32 s12, 0, s49
	ds_write_b128 v64, v[10:13] offset:4096
	ds_write_b128 v51, v[80:83]
	ds_write_b128 v65, v[14:17] offset:16
	v_and_b32_e32 v82, s12, v30
	v_add_u32_e32 v66, s8, v82
	v_min_u32_e32 v66, v66, v0
	s_add_i32 s9, s49, -1
	v_add_u32_e32 v68, s8, v66
	v_min_u32_e32 v68, v68, v0
	v_and_b32_e32 v80, s9, v30
	v_min_u32_e32 v83, v80, v0
	v_sub_u32_e32 v84, v66, v82
	v_sub_u32_e32 v81, v68, v66
	v_sub_u32_e64 v81, v83, v81 clamp
	v_min_u32_e32 v84, v83, v84
	v_lshlrev_b32_e32 v80, 1, v82
	v_cmp_lt_u32_e64 s[8:9], v81, v84
	s_waitcnt lgkmcnt(0)
	s_barrier
	s_and_saveexec_b64 s[12:13], s[8:9]
	s_cbranch_execz .LBB1971_156
; %bb.153:                              ;   in Loop: Header=BB1971_152 Depth=1
	v_lshlrev_b32_e32 v85, 1, v83
	v_lshl_add_u32 v85, v66, 1, v85
	s_mov_b64 s[20:21], 0
.LBB1971_154:                           ;   Parent Loop BB1971_152 Depth=1
                                        ; =>  This Inner Loop Header: Depth=2
	v_add_u32_e32 v86, v84, v81
	v_lshrrev_b32_e32 v87, 1, v86
	v_and_b32_e32 v86, -2, v86
	v_not_b32_e32 v96, v87
	v_add_u32_e32 v86, v80, v86
	v_lshl_add_u32 v96, v96, 1, v85
	ds_read_u16 v86, v86
	ds_read_u16 v96, v96
	v_add_u32_e32 v97, 1, v87
	s_waitcnt lgkmcnt(1)
	v_lshlrev_b32_e32 v86, 16, v86
	s_waitcnt lgkmcnt(0)
	v_lshlrev_b32_e32 v96, 16, v96
	v_cmp_lt_f32_e64 s[8:9], v96, v86
	v_cndmask_b32_e64 v84, v84, v87, s[8:9]
	v_cndmask_b32_e64 v81, v97, v81, s[8:9]
	v_cmp_ge_u32_e64 s[8:9], v81, v84
	s_or_b64 s[20:21], s[8:9], s[20:21]
	s_andn2_b64 exec, exec, s[20:21]
	s_cbranch_execnz .LBB1971_154
; %bb.155:                              ;   in Loop: Header=BB1971_152 Depth=1
	s_or_b64 exec, exec, s[20:21]
.LBB1971_156:                           ;   in Loop: Header=BB1971_152 Depth=1
	s_or_b64 exec, exec, s[12:13]
	v_sub_u32_e32 v83, v83, v81
	v_add_u32_e32 v82, v81, v82
	v_add_u32_e32 v83, v83, v66
	v_cmp_le_u32_e64 s[8:9], v82, v66
	v_cmp_le_u32_e64 s[12:13], v83, v68
	s_or_b64 s[8:9], s[8:9], s[12:13]
	s_and_saveexec_b64 s[46:47], s[8:9]
	s_cbranch_execz .LBB1971_151
; %bb.157:                              ;   in Loop: Header=BB1971_152 Depth=1
	v_cmp_lt_u32_e64 s[8:9], v82, v66
                                        ; implicit-def: $vgpr17
	s_and_saveexec_b64 s[12:13], s[8:9]
	s_cbranch_execz .LBB1971_159
; %bb.158:                              ;   in Loop: Header=BB1971_152 Depth=1
	v_lshl_add_u32 v10, v81, 1, v80
	ds_read_u16 v17, v10
.LBB1971_159:                           ;   in Loop: Header=BB1971_152 Depth=1
	s_or_b64 exec, exec, s[12:13]
	v_cmp_ge_u32_e64 s[20:21], v83, v68
	v_cmp_lt_u32_e64 s[12:13], v83, v68
                                        ; implicit-def: $vgpr52
	s_and_saveexec_b64 s[22:23], s[12:13]
	s_cbranch_execz .LBB1971_150
; %bb.160:                              ;   in Loop: Header=BB1971_152 Depth=1
	v_lshlrev_b32_e32 v10, 1, v83
	ds_read_u16 v52, v10
	s_branch .LBB1971_150
.LBB1971_161:
	s_or_b64 exec, exec, s[44:45]
.LBB1971_162:
	s_or_b64 exec, exec, s[42:43]
	s_mov_b32 s8, 0x5040100
	v_lshl_add_u32 v0, v33, 1, v50
	v_perm_b32 v33, v55, v54, s8
	v_perm_b32 v50, v53, v52, s8
	s_barrier
	ds_write2_b32 v0, v50, v33 offset1:1
	v_perm_b32 v33, v71, v70, s8
	v_perm_b32 v50, v69, v67, s8
	ds_write2_b32 v0, v50, v33 offset0:2 offset1:3
	s_waitcnt lgkmcnt(0)
	s_barrier
	ds_read_u16 v52, v1 offset:512
	ds_read_u16 v51, v3 offset:1024
	ds_read_u16 v50, v19 offset:1536
	ds_read_u16 v33, v21 offset:2048
	ds_read_u16 v25, v25 offset:2560
	ds_read_u16 v21, v27 offset:3072
	ds_read_u16 v3, v29 offset:3584
	v_add_co_u32_e64 v0, s[8:9], v4, v22
	v_mov_b32_e32 v19, 0
	v_addc_co_u32_e64 v1, s[8:9], 0, v5, s[8:9]
	s_and_saveexec_b64 s[8:9], vcc
	s_cbranch_execnz .LBB1971_189
; %bb.163:
	s_or_b64 exec, exec, s[8:9]
	s_and_saveexec_b64 s[8:9], s[4:5]
	s_cbranch_execnz .LBB1971_190
.LBB1971_164:
	s_or_b64 exec, exec, s[8:9]
	s_and_saveexec_b64 s[8:9], s[6:7]
	s_cbranch_execnz .LBB1971_191
.LBB1971_165:
	s_or_b64 exec, exec, s[8:9]
	s_and_saveexec_b64 s[8:9], s[10:11]
	s_cbranch_execnz .LBB1971_192
.LBB1971_166:
	s_or_b64 exec, exec, s[8:9]
	s_and_saveexec_b64 s[8:9], s[34:35]
	s_cbranch_execnz .LBB1971_193
.LBB1971_167:
	s_or_b64 exec, exec, s[8:9]
	s_and_saveexec_b64 s[8:9], s[14:15]
	s_cbranch_execnz .LBB1971_194
.LBB1971_168:
	s_or_b64 exec, exec, s[8:9]
	s_and_saveexec_b64 s[8:9], s[16:17]
	s_cbranch_execnz .LBB1971_195
.LBB1971_169:
	s_or_b64 exec, exec, s[8:9]
	s_and_saveexec_b64 s[8:9], s[18:19]
	s_cbranch_execz .LBB1971_171
.LBB1971_170:
	s_waitcnt lgkmcnt(0)
	flat_store_short v[0:1], v3 offset:3584
.LBB1971_171:
	s_or_b64 exec, exec, s[8:9]
	s_waitcnt lgkmcnt(0)
	s_barrier
	s_waitcnt lgkmcnt(0)
                                        ; implicit-def: $vgpr0_vgpr1
	s_and_saveexec_b64 s[12:13], vcc
	s_cbranch_execnz .LBB1971_196
; %bb.172:
	s_or_b64 exec, exec, s[12:13]
                                        ; implicit-def: $vgpr2_vgpr3
	s_and_saveexec_b64 s[12:13], s[4:5]
	s_cbranch_execnz .LBB1971_197
.LBB1971_173:
	s_or_b64 exec, exec, s[12:13]
                                        ; implicit-def: $vgpr4_vgpr5
	s_and_saveexec_b64 s[12:13], s[6:7]
	s_cbranch_execnz .LBB1971_198
.LBB1971_174:
	s_or_b64 exec, exec, s[12:13]
                                        ; implicit-def: $vgpr20_vgpr21
	s_and_saveexec_b64 s[12:13], s[10:11]
	s_cbranch_execnz .LBB1971_199
.LBB1971_175:
	s_or_b64 exec, exec, s[12:13]
                                        ; implicit-def: $vgpr22_vgpr23
	s_and_saveexec_b64 s[12:13], s[34:35]
	s_cbranch_execnz .LBB1971_200
.LBB1971_176:
	s_or_b64 exec, exec, s[12:13]
                                        ; implicit-def: $vgpr24_vgpr25
	s_and_saveexec_b64 s[12:13], s[14:15]
	s_cbranch_execnz .LBB1971_201
.LBB1971_177:
	s_or_b64 exec, exec, s[12:13]
                                        ; implicit-def: $vgpr26_vgpr27
	s_and_saveexec_b64 s[12:13], s[16:17]
	s_cbranch_execnz .LBB1971_202
.LBB1971_178:
	s_or_b64 exec, exec, s[12:13]
                                        ; implicit-def: $vgpr28_vgpr29
	s_and_saveexec_b64 s[12:13], s[18:19]
	s_cbranch_execz .LBB1971_180
.LBB1971_179:
	v_lshlrev_b32_e32 v28, 3, v32
	v_add_co_u32_e64 v6, s[8:9], v6, v28
	v_addc_co_u32_e64 v7, s[8:9], 0, v7, s[8:9]
	flat_load_dwordx2 v[28:29], v[6:7]
.LBB1971_180:
	s_or_b64 exec, exec, s[12:13]
	v_lshl_add_u32 v32, v49, 3, v30
	s_waitcnt vmcnt(0) lgkmcnt(0)
	ds_write_b64 v32, v[0:1]
	v_lshl_add_u32 v33, v48, 3, v30
	v_lshrrev_b32_e32 v1, 5, v11
	ds_write_b64 v33, v[2:3] offset:2048
	v_lshl_add_u32 v39, v39, 3, v30
	v_lshrrev_b32_e32 v0, 5, v10
	v_add_lshl_u32 v2, v1, v11, 3
	v_lshrrev_b32_e32 v1, 5, v12
	v_lshrrev_b32_e32 v11, 5, v15
	ds_write_b64 v39, v[4:5] offset:4096
	v_lshl_add_u32 v38, v38, 3, v30
	v_add_lshl_u32 v0, v0, v10, 3
	v_add_lshl_u32 v4, v1, v12, 3
	v_lshrrev_b32_e32 v10, 5, v14
	v_add_lshl_u32 v12, v11, v15, 3
	v_lshrrev_b32_e32 v11, 5, v16
	ds_write_b64 v38, v[20:21] offset:6144
	v_lshl_add_u32 v20, v37, 3, v30
	v_lshrrev_b32_e32 v1, 5, v13
	v_add_lshl_u32 v10, v10, v14, 3
	v_add_lshl_u32 v14, v11, v16, 3
	v_lshrrev_b32_e32 v11, 5, v17
	ds_write_b64 v20, v[22:23] offset:8192
	v_lshl_add_u32 v21, v36, 3, v30
	v_lshl_add_u32 v22, v35, 3, v30
	;; [unrolled: 1-line block ×3, first 2 shown]
	v_add_lshl_u32 v6, v1, v13, 3
	v_add_lshl_u32 v16, v11, v17, 3
	ds_write_b64 v21, v[24:25] offset:10240
	ds_write_b64 v22, v[26:27] offset:12288
	;; [unrolled: 1-line block ×3, first 2 shown]
	s_waitcnt lgkmcnt(0)
	s_barrier
	ds_read_b64 v[0:1], v0
	ds_read_b64 v[2:3], v2
	;; [unrolled: 1-line block ×8, first 2 shown]
	v_lshlrev_b32_e32 v24, 3, v30
	v_lshl_add_u32 v24, v31, 3, v24
	s_waitcnt lgkmcnt(0)
	s_barrier
	ds_write2_b64 v24, v[0:1], v[2:3] offset1:1
	ds_write2_b64 v24, v[4:5], v[6:7] offset0:2 offset1:3
	ds_write2_b64 v24, v[10:11], v[12:13] offset0:4 offset1:5
	;; [unrolled: 1-line block ×3, first 2 shown]
	s_waitcnt lgkmcnt(0)
	s_barrier
	ds_read_b64 v[14:15], v33 offset:2048
	ds_read_b64 v[12:13], v39 offset:4096
	;; [unrolled: 1-line block ×7, first 2 shown]
	v_add_co_u32_e64 v2, s[8:9], v8, v30
	v_addc_co_u32_e64 v3, s[8:9], 0, v9, s[8:9]
	s_and_saveexec_b64 s[8:9], vcc
	s_cbranch_execnz .LBB1971_203
; %bb.181:
	s_or_b64 exec, exec, s[8:9]
	s_and_saveexec_b64 s[8:9], s[4:5]
	s_cbranch_execnz .LBB1971_204
.LBB1971_182:
	s_or_b64 exec, exec, s[8:9]
	s_and_saveexec_b64 s[4:5], s[6:7]
	s_cbranch_execnz .LBB1971_205
.LBB1971_183:
	s_or_b64 exec, exec, s[4:5]
	s_and_saveexec_b64 s[4:5], s[10:11]
	s_cbranch_execnz .LBB1971_206
.LBB1971_184:
	s_or_b64 exec, exec, s[4:5]
	s_and_saveexec_b64 s[4:5], s[34:35]
	s_cbranch_execnz .LBB1971_207
.LBB1971_185:
	s_or_b64 exec, exec, s[4:5]
	s_and_saveexec_b64 s[4:5], s[14:15]
	s_cbranch_execnz .LBB1971_208
.LBB1971_186:
	s_or_b64 exec, exec, s[4:5]
	s_and_saveexec_b64 s[4:5], s[16:17]
	s_cbranch_execz .LBB1971_188
.LBB1971_187:
	v_add_co_u32_e32 v2, vcc, 0x3000, v2
	v_addc_co_u32_e32 v3, vcc, 0, v3, vcc
	s_waitcnt lgkmcnt(0)
	flat_store_dwordx2 v[2:3], v[0:1]
.LBB1971_188:
	s_or_b64 exec, exec, s[4:5]
	s_andn2_b64 s[4:5], s[38:39], exec
	s_and_b64 s[6:7], s[18:19], exec
	s_or_b64 s[38:39], s[4:5], s[6:7]
	s_or_b64 exec, exec, s[40:41]
	s_and_saveexec_b64 s[4:5], s[38:39]
	s_cbranch_execnz .LBB1971_3
	s_branch .LBB1971_4
.LBB1971_189:
	ds_read_u16 v2, v2
	s_waitcnt lgkmcnt(0)
	flat_store_short v[0:1], v2
	s_or_b64 exec, exec, s[8:9]
	s_and_saveexec_b64 s[8:9], s[4:5]
	s_cbranch_execz .LBB1971_164
.LBB1971_190:
	s_waitcnt lgkmcnt(0)
	flat_store_short v[0:1], v52 offset:512
	s_or_b64 exec, exec, s[8:9]
	s_and_saveexec_b64 s[8:9], s[6:7]
	s_cbranch_execz .LBB1971_165
.LBB1971_191:
	s_waitcnt lgkmcnt(0)
	flat_store_short v[0:1], v51 offset:1024
	s_or_b64 exec, exec, s[8:9]
	s_and_saveexec_b64 s[8:9], s[10:11]
	s_cbranch_execz .LBB1971_166
.LBB1971_192:
	s_waitcnt lgkmcnt(0)
	flat_store_short v[0:1], v50 offset:1536
	s_or_b64 exec, exec, s[8:9]
	s_and_saveexec_b64 s[8:9], s[34:35]
	s_cbranch_execz .LBB1971_167
.LBB1971_193:
	s_waitcnt lgkmcnt(0)
	flat_store_short v[0:1], v33 offset:2048
	s_or_b64 exec, exec, s[8:9]
	s_and_saveexec_b64 s[8:9], s[14:15]
	s_cbranch_execz .LBB1971_168
.LBB1971_194:
	s_waitcnt lgkmcnt(0)
	flat_store_short v[0:1], v25 offset:2560
	s_or_b64 exec, exec, s[8:9]
	s_and_saveexec_b64 s[8:9], s[16:17]
	s_cbranch_execz .LBB1971_169
.LBB1971_195:
	s_waitcnt lgkmcnt(0)
	flat_store_short v[0:1], v21 offset:3072
	s_or_b64 exec, exec, s[8:9]
	s_and_saveexec_b64 s[8:9], s[18:19]
	s_cbranch_execnz .LBB1971_170
	s_branch .LBB1971_171
.LBB1971_196:
	v_lshlrev_b32_e32 v0, 3, v18
	v_add_co_u32_e64 v0, s[8:9], v6, v0
	v_addc_co_u32_e64 v1, s[8:9], 0, v7, s[8:9]
	flat_load_dwordx2 v[0:1], v[0:1]
	s_or_b64 exec, exec, s[12:13]
                                        ; implicit-def: $vgpr2_vgpr3
	s_and_saveexec_b64 s[12:13], s[4:5]
	s_cbranch_execz .LBB1971_173
.LBB1971_197:
	v_lshlrev_b32_e32 v2, 3, v18
	v_add_co_u32_e64 v2, s[8:9], v6, v2
	v_addc_co_u32_e64 v3, s[8:9], 0, v7, s[8:9]
	flat_load_dwordx2 v[2:3], v[2:3] offset:2048
	s_or_b64 exec, exec, s[12:13]
                                        ; implicit-def: $vgpr4_vgpr5
	s_and_saveexec_b64 s[12:13], s[6:7]
	s_cbranch_execz .LBB1971_174
.LBB1971_198:
	v_lshlrev_b32_e32 v4, 3, v20
	v_add_co_u32_e64 v4, s[8:9], v6, v4
	v_addc_co_u32_e64 v5, s[8:9], 0, v7, s[8:9]
	flat_load_dwordx2 v[4:5], v[4:5]
	s_or_b64 exec, exec, s[12:13]
                                        ; implicit-def: $vgpr20_vgpr21
	s_and_saveexec_b64 s[12:13], s[10:11]
	s_cbranch_execz .LBB1971_175
.LBB1971_199:
	v_lshlrev_b32_e32 v20, 3, v23
	v_add_co_u32_e64 v20, s[8:9], v6, v20
	v_addc_co_u32_e64 v21, s[8:9], 0, v7, s[8:9]
	flat_load_dwordx2 v[20:21], v[20:21]
	s_or_b64 exec, exec, s[12:13]
                                        ; implicit-def: $vgpr22_vgpr23
	s_and_saveexec_b64 s[12:13], s[34:35]
	s_cbranch_execz .LBB1971_176
.LBB1971_200:
	v_lshlrev_b32_e32 v22, 3, v24
	v_add_co_u32_e64 v22, s[8:9], v6, v22
	v_addc_co_u32_e64 v23, s[8:9], 0, v7, s[8:9]
	flat_load_dwordx2 v[22:23], v[22:23]
	s_or_b64 exec, exec, s[12:13]
                                        ; implicit-def: $vgpr24_vgpr25
	s_and_saveexec_b64 s[12:13], s[14:15]
	s_cbranch_execz .LBB1971_177
.LBB1971_201:
	v_lshlrev_b32_e32 v24, 3, v26
	v_add_co_u32_e64 v24, s[8:9], v6, v24
	v_addc_co_u32_e64 v25, s[8:9], 0, v7, s[8:9]
	flat_load_dwordx2 v[24:25], v[24:25]
	s_or_b64 exec, exec, s[12:13]
                                        ; implicit-def: $vgpr26_vgpr27
	s_and_saveexec_b64 s[12:13], s[16:17]
	s_cbranch_execz .LBB1971_178
.LBB1971_202:
	v_lshlrev_b32_e32 v26, 3, v28
	v_add_co_u32_e64 v26, s[8:9], v6, v26
	v_addc_co_u32_e64 v27, s[8:9], 0, v7, s[8:9]
	flat_load_dwordx2 v[26:27], v[26:27]
	s_or_b64 exec, exec, s[12:13]
                                        ; implicit-def: $vgpr28_vgpr29
	s_and_saveexec_b64 s[12:13], s[18:19]
	s_cbranch_execnz .LBB1971_179
	s_branch .LBB1971_180
.LBB1971_203:
	ds_read_b64 v[16:17], v32
	s_waitcnt lgkmcnt(0)
	flat_store_dwordx2 v[2:3], v[16:17]
	s_or_b64 exec, exec, s[8:9]
	s_and_saveexec_b64 s[8:9], s[4:5]
	s_cbranch_execz .LBB1971_182
.LBB1971_204:
	s_waitcnt lgkmcnt(0)
	flat_store_dwordx2 v[2:3], v[14:15] offset:2048
	s_or_b64 exec, exec, s[8:9]
	s_and_saveexec_b64 s[4:5], s[6:7]
	s_cbranch_execz .LBB1971_183
.LBB1971_205:
	s_waitcnt lgkmcnt(0)
	v_add_co_u32_e32 v14, vcc, 0x1000, v2
	v_addc_co_u32_e32 v15, vcc, 0, v3, vcc
	flat_store_dwordx2 v[14:15], v[12:13]
	s_or_b64 exec, exec, s[4:5]
	s_and_saveexec_b64 s[4:5], s[10:11]
	s_cbranch_execz .LBB1971_184
.LBB1971_206:
	s_waitcnt lgkmcnt(0)
	v_add_co_u32_e32 v12, vcc, 0x1000, v2
	v_addc_co_u32_e32 v13, vcc, 0, v3, vcc
	flat_store_dwordx2 v[12:13], v[10:11] offset:2048
	s_or_b64 exec, exec, s[4:5]
	s_and_saveexec_b64 s[4:5], s[34:35]
	s_cbranch_execz .LBB1971_185
.LBB1971_207:
	s_waitcnt lgkmcnt(0)
	v_add_co_u32_e32 v10, vcc, 0x2000, v2
	v_addc_co_u32_e32 v11, vcc, 0, v3, vcc
	flat_store_dwordx2 v[10:11], v[6:7]
	s_or_b64 exec, exec, s[4:5]
	s_and_saveexec_b64 s[4:5], s[14:15]
	s_cbranch_execz .LBB1971_186
.LBB1971_208:
	s_waitcnt lgkmcnt(0)
	v_add_co_u32_e32 v6, vcc, 0x2000, v2
	v_addc_co_u32_e32 v7, vcc, 0, v3, vcc
	flat_store_dwordx2 v[6:7], v[4:5] offset:2048
	s_or_b64 exec, exec, s[4:5]
	s_and_saveexec_b64 s[4:5], s[16:17]
	s_cbranch_execnz .LBB1971_187
	s_branch .LBB1971_188
.Lfunc_end1971:
	.size	_ZN7rocprim17ROCPRIM_400000_NS6detail15block_sort_implIN3c108BFloat16ElLj256ELj8ELNS0_4arch9wavefront6targetE1EvE4sortIPS4_SA_N6thrust23THRUST_200600_302600_NS10device_ptrIlEESE_NSC_4lessIS4_EEEEvjbT_T0_T1_T2_T3_RNS8_12storage_typeE, .Lfunc_end1971-_ZN7rocprim17ROCPRIM_400000_NS6detail15block_sort_implIN3c108BFloat16ElLj256ELj8ELNS0_4arch9wavefront6targetE1EvE4sortIPS4_SA_N6thrust23THRUST_200600_302600_NS10device_ptrIlEESE_NSC_4lessIS4_EEEEvjbT_T0_T1_T2_T3_RNS8_12storage_typeE
                                        ; -- End function
	.section	.AMDGPU.csdata,"",@progbits
; Function info:
; codeLenInByte = 25404
; NumSgprs: 54
; NumVgprs: 101
; NumAgprs: 0
; TotalNumVgprs: 101
; ScratchSize: 8
; MemoryBound: 0
	.section	.text._ZN7rocprim17ROCPRIM_400000_NS6detail17trampoline_kernelINS0_14default_configENS1_37merge_sort_block_sort_config_selectorIN3c108BFloat16ElEEZNS1_21merge_sort_block_sortIS3_PS6_S9_N6thrust23THRUST_200600_302600_NS10device_ptrIlEESD_NSB_4lessIS6_EEEE10hipError_tT0_T1_T2_T3_mRjT4_P12ihipStream_tbNS1_7vsmem_tEEUlT_E_NS1_11comp_targetILNS1_3genE4ELNS1_11target_archE910ELNS1_3gpuE8ELNS1_3repE0EEENS1_30default_config_static_selectorELNS0_4arch9wavefront6targetE1EEEvSI_,"axG",@progbits,_ZN7rocprim17ROCPRIM_400000_NS6detail17trampoline_kernelINS0_14default_configENS1_37merge_sort_block_sort_config_selectorIN3c108BFloat16ElEEZNS1_21merge_sort_block_sortIS3_PS6_S9_N6thrust23THRUST_200600_302600_NS10device_ptrIlEESD_NSB_4lessIS6_EEEE10hipError_tT0_T1_T2_T3_mRjT4_P12ihipStream_tbNS1_7vsmem_tEEUlT_E_NS1_11comp_targetILNS1_3genE4ELNS1_11target_archE910ELNS1_3gpuE8ELNS1_3repE0EEENS1_30default_config_static_selectorELNS0_4arch9wavefront6targetE1EEEvSI_,comdat
	.protected	_ZN7rocprim17ROCPRIM_400000_NS6detail17trampoline_kernelINS0_14default_configENS1_37merge_sort_block_sort_config_selectorIN3c108BFloat16ElEEZNS1_21merge_sort_block_sortIS3_PS6_S9_N6thrust23THRUST_200600_302600_NS10device_ptrIlEESD_NSB_4lessIS6_EEEE10hipError_tT0_T1_T2_T3_mRjT4_P12ihipStream_tbNS1_7vsmem_tEEUlT_E_NS1_11comp_targetILNS1_3genE4ELNS1_11target_archE910ELNS1_3gpuE8ELNS1_3repE0EEENS1_30default_config_static_selectorELNS0_4arch9wavefront6targetE1EEEvSI_ ; -- Begin function _ZN7rocprim17ROCPRIM_400000_NS6detail17trampoline_kernelINS0_14default_configENS1_37merge_sort_block_sort_config_selectorIN3c108BFloat16ElEEZNS1_21merge_sort_block_sortIS3_PS6_S9_N6thrust23THRUST_200600_302600_NS10device_ptrIlEESD_NSB_4lessIS6_EEEE10hipError_tT0_T1_T2_T3_mRjT4_P12ihipStream_tbNS1_7vsmem_tEEUlT_E_NS1_11comp_targetILNS1_3genE4ELNS1_11target_archE910ELNS1_3gpuE8ELNS1_3repE0EEENS1_30default_config_static_selectorELNS0_4arch9wavefront6targetE1EEEvSI_
	.globl	_ZN7rocprim17ROCPRIM_400000_NS6detail17trampoline_kernelINS0_14default_configENS1_37merge_sort_block_sort_config_selectorIN3c108BFloat16ElEEZNS1_21merge_sort_block_sortIS3_PS6_S9_N6thrust23THRUST_200600_302600_NS10device_ptrIlEESD_NSB_4lessIS6_EEEE10hipError_tT0_T1_T2_T3_mRjT4_P12ihipStream_tbNS1_7vsmem_tEEUlT_E_NS1_11comp_targetILNS1_3genE4ELNS1_11target_archE910ELNS1_3gpuE8ELNS1_3repE0EEENS1_30default_config_static_selectorELNS0_4arch9wavefront6targetE1EEEvSI_
	.p2align	8
	.type	_ZN7rocprim17ROCPRIM_400000_NS6detail17trampoline_kernelINS0_14default_configENS1_37merge_sort_block_sort_config_selectorIN3c108BFloat16ElEEZNS1_21merge_sort_block_sortIS3_PS6_S9_N6thrust23THRUST_200600_302600_NS10device_ptrIlEESD_NSB_4lessIS6_EEEE10hipError_tT0_T1_T2_T3_mRjT4_P12ihipStream_tbNS1_7vsmem_tEEUlT_E_NS1_11comp_targetILNS1_3genE4ELNS1_11target_archE910ELNS1_3gpuE8ELNS1_3repE0EEENS1_30default_config_static_selectorELNS0_4arch9wavefront6targetE1EEEvSI_,@function
_ZN7rocprim17ROCPRIM_400000_NS6detail17trampoline_kernelINS0_14default_configENS1_37merge_sort_block_sort_config_selectorIN3c108BFloat16ElEEZNS1_21merge_sort_block_sortIS3_PS6_S9_N6thrust23THRUST_200600_302600_NS10device_ptrIlEESD_NSB_4lessIS6_EEEE10hipError_tT0_T1_T2_T3_mRjT4_P12ihipStream_tbNS1_7vsmem_tEEUlT_E_NS1_11comp_targetILNS1_3genE4ELNS1_11target_archE910ELNS1_3gpuE8ELNS1_3repE0EEENS1_30default_config_static_selectorELNS0_4arch9wavefront6targetE1EEEvSI_: ; @_ZN7rocprim17ROCPRIM_400000_NS6detail17trampoline_kernelINS0_14default_configENS1_37merge_sort_block_sort_config_selectorIN3c108BFloat16ElEEZNS1_21merge_sort_block_sortIS3_PS6_S9_N6thrust23THRUST_200600_302600_NS10device_ptrIlEESD_NSB_4lessIS6_EEEE10hipError_tT0_T1_T2_T3_mRjT4_P12ihipStream_tbNS1_7vsmem_tEEUlT_E_NS1_11comp_targetILNS1_3genE4ELNS1_11target_archE910ELNS1_3gpuE8ELNS1_3repE0EEENS1_30default_config_static_selectorELNS0_4arch9wavefront6targetE1EEEvSI_
; %bb.0:
	s_add_u32 flat_scratch_lo, s6, s11
	s_addc_u32 flat_scratch_hi, s7, 0
	s_mov_b32 s12, s8
	s_load_dwordx2 s[6:7], s[4:5], 0x40
	s_load_dword s8, s[4:5], 0x0
	s_add_u32 s0, s0, s11
	s_addc_u32 s1, s1, 0
	s_mov_b32 s32, 0
	s_waitcnt lgkmcnt(0)
	s_mul_i32 s7, s7, s10
	s_add_i32 s7, s7, s9
	s_mul_i32 s6, s7, s6
	s_add_i32 s6, s6, s12
	s_cmp_ge_u32 s6, s8
	s_cbranch_scc1 .LBB1972_2
; %bb.1:
	s_mov_b32 s13, s9
	s_load_dwordx2 s[8:9], s[4:5], 0x8
	s_load_dwordx8 s[16:23], s[4:5], 0x18
	s_lshl_b32 s10, s6, 11
	s_mov_b32 s7, 0
	v_mov_b32_e32 v31, v0
	s_waitcnt lgkmcnt(0)
	s_sub_i32 s14, s8, s10
	s_lshr_b64 s[8:9], s[8:9], 11
	s_cmp_eq_u64 s[8:9], s[6:7]
	s_cselect_b64 s[8:9], -1, 0
	s_lshl_b64 s[10:11], s[6:7], 12
	s_add_u32 s15, s16, s10
	s_addc_u32 s16, s17, s11
	s_add_u32 s10, s18, s10
	s_addc_u32 s11, s19, s11
	s_lshl_b64 s[6:7], s[6:7], 14
	s_add_u32 s17, s20, s6
	s_addc_u32 s18, s21, s7
	s_add_u32 s6, s22, s6
	s_addc_u32 s7, s23, s7
	v_cndmask_b32_e64 v1, 0, 1, s[8:9]
	s_add_u32 s8, s4, 64
	s_addc_u32 s9, s5, 0
	v_mov_b32_e32 v0, s14
	v_mov_b32_e32 v2, s15
	;; [unrolled: 1-line block ×9, first 2 shown]
	s_getpc_b64 s[4:5]
	s_add_u32 s4, s4, _ZN7rocprim17ROCPRIM_400000_NS6detail15block_sort_implIN3c108BFloat16ElLj256ELj8ELNS0_4arch9wavefront6targetE1EvE4sortIPS4_SA_N6thrust23THRUST_200600_302600_NS10device_ptrIlEESE_NSC_4lessIS4_EEEEvjbT_T0_T1_T2_T3_RNS8_12storage_typeE@rel32@lo+4
	s_addc_u32 s5, s5, _ZN7rocprim17ROCPRIM_400000_NS6detail15block_sort_implIN3c108BFloat16ElLj256ELj8ELNS0_4arch9wavefront6targetE1EvE4sortIPS4_SA_N6thrust23THRUST_200600_302600_NS10device_ptrIlEESE_NSC_4lessIS4_EEEEvjbT_T0_T1_T2_T3_RNS8_12storage_typeE@rel32@hi+12
	s_swappc_b64 s[30:31], s[4:5]
.LBB1972_2:
	s_endpgm
	.section	.rodata,"a",@progbits
	.p2align	6, 0x0
	.amdhsa_kernel _ZN7rocprim17ROCPRIM_400000_NS6detail17trampoline_kernelINS0_14default_configENS1_37merge_sort_block_sort_config_selectorIN3c108BFloat16ElEEZNS1_21merge_sort_block_sortIS3_PS6_S9_N6thrust23THRUST_200600_302600_NS10device_ptrIlEESD_NSB_4lessIS6_EEEE10hipError_tT0_T1_T2_T3_mRjT4_P12ihipStream_tbNS1_7vsmem_tEEUlT_E_NS1_11comp_targetILNS1_3genE4ELNS1_11target_archE910ELNS1_3gpuE8ELNS1_3repE0EEENS1_30default_config_static_selectorELNS0_4arch9wavefront6targetE1EEEvSI_
		.amdhsa_group_segment_fixed_size 16896
		.amdhsa_private_segment_fixed_size 8
		.amdhsa_kernarg_size 320
		.amdhsa_user_sgpr_count 8
		.amdhsa_user_sgpr_private_segment_buffer 1
		.amdhsa_user_sgpr_dispatch_ptr 0
		.amdhsa_user_sgpr_queue_ptr 0
		.amdhsa_user_sgpr_kernarg_segment_ptr 1
		.amdhsa_user_sgpr_dispatch_id 0
		.amdhsa_user_sgpr_flat_scratch_init 1
		.amdhsa_user_sgpr_kernarg_preload_length 0
		.amdhsa_user_sgpr_kernarg_preload_offset 0
		.amdhsa_user_sgpr_private_segment_size 0
		.amdhsa_uses_dynamic_stack 0
		.amdhsa_system_sgpr_private_segment_wavefront_offset 1
		.amdhsa_system_sgpr_workgroup_id_x 1
		.amdhsa_system_sgpr_workgroup_id_y 1
		.amdhsa_system_sgpr_workgroup_id_z 1
		.amdhsa_system_sgpr_workgroup_info 0
		.amdhsa_system_vgpr_workitem_id 2
		.amdhsa_next_free_vgpr 101
		.amdhsa_next_free_sgpr 50
		.amdhsa_accum_offset 104
		.amdhsa_reserve_vcc 1
		.amdhsa_reserve_flat_scratch 1
		.amdhsa_float_round_mode_32 0
		.amdhsa_float_round_mode_16_64 0
		.amdhsa_float_denorm_mode_32 3
		.amdhsa_float_denorm_mode_16_64 3
		.amdhsa_dx10_clamp 1
		.amdhsa_ieee_mode 1
		.amdhsa_fp16_overflow 0
		.amdhsa_tg_split 0
		.amdhsa_exception_fp_ieee_invalid_op 0
		.amdhsa_exception_fp_denorm_src 0
		.amdhsa_exception_fp_ieee_div_zero 0
		.amdhsa_exception_fp_ieee_overflow 0
		.amdhsa_exception_fp_ieee_underflow 0
		.amdhsa_exception_fp_ieee_inexact 0
		.amdhsa_exception_int_div_zero 0
	.end_amdhsa_kernel
	.section	.text._ZN7rocprim17ROCPRIM_400000_NS6detail17trampoline_kernelINS0_14default_configENS1_37merge_sort_block_sort_config_selectorIN3c108BFloat16ElEEZNS1_21merge_sort_block_sortIS3_PS6_S9_N6thrust23THRUST_200600_302600_NS10device_ptrIlEESD_NSB_4lessIS6_EEEE10hipError_tT0_T1_T2_T3_mRjT4_P12ihipStream_tbNS1_7vsmem_tEEUlT_E_NS1_11comp_targetILNS1_3genE4ELNS1_11target_archE910ELNS1_3gpuE8ELNS1_3repE0EEENS1_30default_config_static_selectorELNS0_4arch9wavefront6targetE1EEEvSI_,"axG",@progbits,_ZN7rocprim17ROCPRIM_400000_NS6detail17trampoline_kernelINS0_14default_configENS1_37merge_sort_block_sort_config_selectorIN3c108BFloat16ElEEZNS1_21merge_sort_block_sortIS3_PS6_S9_N6thrust23THRUST_200600_302600_NS10device_ptrIlEESD_NSB_4lessIS6_EEEE10hipError_tT0_T1_T2_T3_mRjT4_P12ihipStream_tbNS1_7vsmem_tEEUlT_E_NS1_11comp_targetILNS1_3genE4ELNS1_11target_archE910ELNS1_3gpuE8ELNS1_3repE0EEENS1_30default_config_static_selectorELNS0_4arch9wavefront6targetE1EEEvSI_,comdat
.Lfunc_end1972:
	.size	_ZN7rocprim17ROCPRIM_400000_NS6detail17trampoline_kernelINS0_14default_configENS1_37merge_sort_block_sort_config_selectorIN3c108BFloat16ElEEZNS1_21merge_sort_block_sortIS3_PS6_S9_N6thrust23THRUST_200600_302600_NS10device_ptrIlEESD_NSB_4lessIS6_EEEE10hipError_tT0_T1_T2_T3_mRjT4_P12ihipStream_tbNS1_7vsmem_tEEUlT_E_NS1_11comp_targetILNS1_3genE4ELNS1_11target_archE910ELNS1_3gpuE8ELNS1_3repE0EEENS1_30default_config_static_selectorELNS0_4arch9wavefront6targetE1EEEvSI_, .Lfunc_end1972-_ZN7rocprim17ROCPRIM_400000_NS6detail17trampoline_kernelINS0_14default_configENS1_37merge_sort_block_sort_config_selectorIN3c108BFloat16ElEEZNS1_21merge_sort_block_sortIS3_PS6_S9_N6thrust23THRUST_200600_302600_NS10device_ptrIlEESD_NSB_4lessIS6_EEEE10hipError_tT0_T1_T2_T3_mRjT4_P12ihipStream_tbNS1_7vsmem_tEEUlT_E_NS1_11comp_targetILNS1_3genE4ELNS1_11target_archE910ELNS1_3gpuE8ELNS1_3repE0EEENS1_30default_config_static_selectorELNS0_4arch9wavefront6targetE1EEEvSI_
                                        ; -- End function
	.section	.AMDGPU.csdata,"",@progbits
; Kernel info:
; codeLenInByte = 240
; NumSgprs: 56
; NumVgprs: 101
; NumAgprs: 0
; TotalNumVgprs: 101
; ScratchSize: 8
; MemoryBound: 0
; FloatMode: 240
; IeeeMode: 1
; LDSByteSize: 16896 bytes/workgroup (compile time only)
; SGPRBlocks: 6
; VGPRBlocks: 12
; NumSGPRsForWavesPerEU: 56
; NumVGPRsForWavesPerEU: 101
; AccumOffset: 104
; Occupancy: 3
; WaveLimiterHint : 1
; COMPUTE_PGM_RSRC2:SCRATCH_EN: 1
; COMPUTE_PGM_RSRC2:USER_SGPR: 8
; COMPUTE_PGM_RSRC2:TRAP_HANDLER: 0
; COMPUTE_PGM_RSRC2:TGID_X_EN: 1
; COMPUTE_PGM_RSRC2:TGID_Y_EN: 1
; COMPUTE_PGM_RSRC2:TGID_Z_EN: 1
; COMPUTE_PGM_RSRC2:TIDIG_COMP_CNT: 2
; COMPUTE_PGM_RSRC3_GFX90A:ACCUM_OFFSET: 25
; COMPUTE_PGM_RSRC3_GFX90A:TG_SPLIT: 0
	.section	.text._ZN7rocprim17ROCPRIM_400000_NS6detail17trampoline_kernelINS0_14default_configENS1_37merge_sort_block_sort_config_selectorIN3c108BFloat16ElEEZNS1_21merge_sort_block_sortIS3_PS6_S9_N6thrust23THRUST_200600_302600_NS10device_ptrIlEESD_NSB_4lessIS6_EEEE10hipError_tT0_T1_T2_T3_mRjT4_P12ihipStream_tbNS1_7vsmem_tEEUlT_E_NS1_11comp_targetILNS1_3genE3ELNS1_11target_archE908ELNS1_3gpuE7ELNS1_3repE0EEENS1_30default_config_static_selectorELNS0_4arch9wavefront6targetE1EEEvSI_,"axG",@progbits,_ZN7rocprim17ROCPRIM_400000_NS6detail17trampoline_kernelINS0_14default_configENS1_37merge_sort_block_sort_config_selectorIN3c108BFloat16ElEEZNS1_21merge_sort_block_sortIS3_PS6_S9_N6thrust23THRUST_200600_302600_NS10device_ptrIlEESD_NSB_4lessIS6_EEEE10hipError_tT0_T1_T2_T3_mRjT4_P12ihipStream_tbNS1_7vsmem_tEEUlT_E_NS1_11comp_targetILNS1_3genE3ELNS1_11target_archE908ELNS1_3gpuE7ELNS1_3repE0EEENS1_30default_config_static_selectorELNS0_4arch9wavefront6targetE1EEEvSI_,comdat
	.protected	_ZN7rocprim17ROCPRIM_400000_NS6detail17trampoline_kernelINS0_14default_configENS1_37merge_sort_block_sort_config_selectorIN3c108BFloat16ElEEZNS1_21merge_sort_block_sortIS3_PS6_S9_N6thrust23THRUST_200600_302600_NS10device_ptrIlEESD_NSB_4lessIS6_EEEE10hipError_tT0_T1_T2_T3_mRjT4_P12ihipStream_tbNS1_7vsmem_tEEUlT_E_NS1_11comp_targetILNS1_3genE3ELNS1_11target_archE908ELNS1_3gpuE7ELNS1_3repE0EEENS1_30default_config_static_selectorELNS0_4arch9wavefront6targetE1EEEvSI_ ; -- Begin function _ZN7rocprim17ROCPRIM_400000_NS6detail17trampoline_kernelINS0_14default_configENS1_37merge_sort_block_sort_config_selectorIN3c108BFloat16ElEEZNS1_21merge_sort_block_sortIS3_PS6_S9_N6thrust23THRUST_200600_302600_NS10device_ptrIlEESD_NSB_4lessIS6_EEEE10hipError_tT0_T1_T2_T3_mRjT4_P12ihipStream_tbNS1_7vsmem_tEEUlT_E_NS1_11comp_targetILNS1_3genE3ELNS1_11target_archE908ELNS1_3gpuE7ELNS1_3repE0EEENS1_30default_config_static_selectorELNS0_4arch9wavefront6targetE1EEEvSI_
	.globl	_ZN7rocprim17ROCPRIM_400000_NS6detail17trampoline_kernelINS0_14default_configENS1_37merge_sort_block_sort_config_selectorIN3c108BFloat16ElEEZNS1_21merge_sort_block_sortIS3_PS6_S9_N6thrust23THRUST_200600_302600_NS10device_ptrIlEESD_NSB_4lessIS6_EEEE10hipError_tT0_T1_T2_T3_mRjT4_P12ihipStream_tbNS1_7vsmem_tEEUlT_E_NS1_11comp_targetILNS1_3genE3ELNS1_11target_archE908ELNS1_3gpuE7ELNS1_3repE0EEENS1_30default_config_static_selectorELNS0_4arch9wavefront6targetE1EEEvSI_
	.p2align	8
	.type	_ZN7rocprim17ROCPRIM_400000_NS6detail17trampoline_kernelINS0_14default_configENS1_37merge_sort_block_sort_config_selectorIN3c108BFloat16ElEEZNS1_21merge_sort_block_sortIS3_PS6_S9_N6thrust23THRUST_200600_302600_NS10device_ptrIlEESD_NSB_4lessIS6_EEEE10hipError_tT0_T1_T2_T3_mRjT4_P12ihipStream_tbNS1_7vsmem_tEEUlT_E_NS1_11comp_targetILNS1_3genE3ELNS1_11target_archE908ELNS1_3gpuE7ELNS1_3repE0EEENS1_30default_config_static_selectorELNS0_4arch9wavefront6targetE1EEEvSI_,@function
_ZN7rocprim17ROCPRIM_400000_NS6detail17trampoline_kernelINS0_14default_configENS1_37merge_sort_block_sort_config_selectorIN3c108BFloat16ElEEZNS1_21merge_sort_block_sortIS3_PS6_S9_N6thrust23THRUST_200600_302600_NS10device_ptrIlEESD_NSB_4lessIS6_EEEE10hipError_tT0_T1_T2_T3_mRjT4_P12ihipStream_tbNS1_7vsmem_tEEUlT_E_NS1_11comp_targetILNS1_3genE3ELNS1_11target_archE908ELNS1_3gpuE7ELNS1_3repE0EEENS1_30default_config_static_selectorELNS0_4arch9wavefront6targetE1EEEvSI_: ; @_ZN7rocprim17ROCPRIM_400000_NS6detail17trampoline_kernelINS0_14default_configENS1_37merge_sort_block_sort_config_selectorIN3c108BFloat16ElEEZNS1_21merge_sort_block_sortIS3_PS6_S9_N6thrust23THRUST_200600_302600_NS10device_ptrIlEESD_NSB_4lessIS6_EEEE10hipError_tT0_T1_T2_T3_mRjT4_P12ihipStream_tbNS1_7vsmem_tEEUlT_E_NS1_11comp_targetILNS1_3genE3ELNS1_11target_archE908ELNS1_3gpuE7ELNS1_3repE0EEENS1_30default_config_static_selectorELNS0_4arch9wavefront6targetE1EEEvSI_
; %bb.0:
	.section	.rodata,"a",@progbits
	.p2align	6, 0x0
	.amdhsa_kernel _ZN7rocprim17ROCPRIM_400000_NS6detail17trampoline_kernelINS0_14default_configENS1_37merge_sort_block_sort_config_selectorIN3c108BFloat16ElEEZNS1_21merge_sort_block_sortIS3_PS6_S9_N6thrust23THRUST_200600_302600_NS10device_ptrIlEESD_NSB_4lessIS6_EEEE10hipError_tT0_T1_T2_T3_mRjT4_P12ihipStream_tbNS1_7vsmem_tEEUlT_E_NS1_11comp_targetILNS1_3genE3ELNS1_11target_archE908ELNS1_3gpuE7ELNS1_3repE0EEENS1_30default_config_static_selectorELNS0_4arch9wavefront6targetE1EEEvSI_
		.amdhsa_group_segment_fixed_size 0
		.amdhsa_private_segment_fixed_size 0
		.amdhsa_kernarg_size 64
		.amdhsa_user_sgpr_count 6
		.amdhsa_user_sgpr_private_segment_buffer 1
		.amdhsa_user_sgpr_dispatch_ptr 0
		.amdhsa_user_sgpr_queue_ptr 0
		.amdhsa_user_sgpr_kernarg_segment_ptr 1
		.amdhsa_user_sgpr_dispatch_id 0
		.amdhsa_user_sgpr_flat_scratch_init 0
		.amdhsa_user_sgpr_kernarg_preload_length 0
		.amdhsa_user_sgpr_kernarg_preload_offset 0
		.amdhsa_user_sgpr_private_segment_size 0
		.amdhsa_uses_dynamic_stack 0
		.amdhsa_system_sgpr_private_segment_wavefront_offset 0
		.amdhsa_system_sgpr_workgroup_id_x 1
		.amdhsa_system_sgpr_workgroup_id_y 0
		.amdhsa_system_sgpr_workgroup_id_z 0
		.amdhsa_system_sgpr_workgroup_info 0
		.amdhsa_system_vgpr_workitem_id 0
		.amdhsa_next_free_vgpr 1
		.amdhsa_next_free_sgpr 0
		.amdhsa_accum_offset 4
		.amdhsa_reserve_vcc 0
		.amdhsa_reserve_flat_scratch 0
		.amdhsa_float_round_mode_32 0
		.amdhsa_float_round_mode_16_64 0
		.amdhsa_float_denorm_mode_32 3
		.amdhsa_float_denorm_mode_16_64 3
		.amdhsa_dx10_clamp 1
		.amdhsa_ieee_mode 1
		.amdhsa_fp16_overflow 0
		.amdhsa_tg_split 0
		.amdhsa_exception_fp_ieee_invalid_op 0
		.amdhsa_exception_fp_denorm_src 0
		.amdhsa_exception_fp_ieee_div_zero 0
		.amdhsa_exception_fp_ieee_overflow 0
		.amdhsa_exception_fp_ieee_underflow 0
		.amdhsa_exception_fp_ieee_inexact 0
		.amdhsa_exception_int_div_zero 0
	.end_amdhsa_kernel
	.section	.text._ZN7rocprim17ROCPRIM_400000_NS6detail17trampoline_kernelINS0_14default_configENS1_37merge_sort_block_sort_config_selectorIN3c108BFloat16ElEEZNS1_21merge_sort_block_sortIS3_PS6_S9_N6thrust23THRUST_200600_302600_NS10device_ptrIlEESD_NSB_4lessIS6_EEEE10hipError_tT0_T1_T2_T3_mRjT4_P12ihipStream_tbNS1_7vsmem_tEEUlT_E_NS1_11comp_targetILNS1_3genE3ELNS1_11target_archE908ELNS1_3gpuE7ELNS1_3repE0EEENS1_30default_config_static_selectorELNS0_4arch9wavefront6targetE1EEEvSI_,"axG",@progbits,_ZN7rocprim17ROCPRIM_400000_NS6detail17trampoline_kernelINS0_14default_configENS1_37merge_sort_block_sort_config_selectorIN3c108BFloat16ElEEZNS1_21merge_sort_block_sortIS3_PS6_S9_N6thrust23THRUST_200600_302600_NS10device_ptrIlEESD_NSB_4lessIS6_EEEE10hipError_tT0_T1_T2_T3_mRjT4_P12ihipStream_tbNS1_7vsmem_tEEUlT_E_NS1_11comp_targetILNS1_3genE3ELNS1_11target_archE908ELNS1_3gpuE7ELNS1_3repE0EEENS1_30default_config_static_selectorELNS0_4arch9wavefront6targetE1EEEvSI_,comdat
.Lfunc_end1973:
	.size	_ZN7rocprim17ROCPRIM_400000_NS6detail17trampoline_kernelINS0_14default_configENS1_37merge_sort_block_sort_config_selectorIN3c108BFloat16ElEEZNS1_21merge_sort_block_sortIS3_PS6_S9_N6thrust23THRUST_200600_302600_NS10device_ptrIlEESD_NSB_4lessIS6_EEEE10hipError_tT0_T1_T2_T3_mRjT4_P12ihipStream_tbNS1_7vsmem_tEEUlT_E_NS1_11comp_targetILNS1_3genE3ELNS1_11target_archE908ELNS1_3gpuE7ELNS1_3repE0EEENS1_30default_config_static_selectorELNS0_4arch9wavefront6targetE1EEEvSI_, .Lfunc_end1973-_ZN7rocprim17ROCPRIM_400000_NS6detail17trampoline_kernelINS0_14default_configENS1_37merge_sort_block_sort_config_selectorIN3c108BFloat16ElEEZNS1_21merge_sort_block_sortIS3_PS6_S9_N6thrust23THRUST_200600_302600_NS10device_ptrIlEESD_NSB_4lessIS6_EEEE10hipError_tT0_T1_T2_T3_mRjT4_P12ihipStream_tbNS1_7vsmem_tEEUlT_E_NS1_11comp_targetILNS1_3genE3ELNS1_11target_archE908ELNS1_3gpuE7ELNS1_3repE0EEENS1_30default_config_static_selectorELNS0_4arch9wavefront6targetE1EEEvSI_
                                        ; -- End function
	.section	.AMDGPU.csdata,"",@progbits
; Kernel info:
; codeLenInByte = 0
; NumSgprs: 4
; NumVgprs: 0
; NumAgprs: 0
; TotalNumVgprs: 0
; ScratchSize: 0
; MemoryBound: 0
; FloatMode: 240
; IeeeMode: 1
; LDSByteSize: 0 bytes/workgroup (compile time only)
; SGPRBlocks: 0
; VGPRBlocks: 0
; NumSGPRsForWavesPerEU: 4
; NumVGPRsForWavesPerEU: 1
; AccumOffset: 4
; Occupancy: 8
; WaveLimiterHint : 0
; COMPUTE_PGM_RSRC2:SCRATCH_EN: 0
; COMPUTE_PGM_RSRC2:USER_SGPR: 6
; COMPUTE_PGM_RSRC2:TRAP_HANDLER: 0
; COMPUTE_PGM_RSRC2:TGID_X_EN: 1
; COMPUTE_PGM_RSRC2:TGID_Y_EN: 0
; COMPUTE_PGM_RSRC2:TGID_Z_EN: 0
; COMPUTE_PGM_RSRC2:TIDIG_COMP_CNT: 0
; COMPUTE_PGM_RSRC3_GFX90A:ACCUM_OFFSET: 0
; COMPUTE_PGM_RSRC3_GFX90A:TG_SPLIT: 0
	.section	.text._ZN7rocprim17ROCPRIM_400000_NS6detail17trampoline_kernelINS0_14default_configENS1_37merge_sort_block_sort_config_selectorIN3c108BFloat16ElEEZNS1_21merge_sort_block_sortIS3_PS6_S9_N6thrust23THRUST_200600_302600_NS10device_ptrIlEESD_NSB_4lessIS6_EEEE10hipError_tT0_T1_T2_T3_mRjT4_P12ihipStream_tbNS1_7vsmem_tEEUlT_E_NS1_11comp_targetILNS1_3genE2ELNS1_11target_archE906ELNS1_3gpuE6ELNS1_3repE0EEENS1_30default_config_static_selectorELNS0_4arch9wavefront6targetE1EEEvSI_,"axG",@progbits,_ZN7rocprim17ROCPRIM_400000_NS6detail17trampoline_kernelINS0_14default_configENS1_37merge_sort_block_sort_config_selectorIN3c108BFloat16ElEEZNS1_21merge_sort_block_sortIS3_PS6_S9_N6thrust23THRUST_200600_302600_NS10device_ptrIlEESD_NSB_4lessIS6_EEEE10hipError_tT0_T1_T2_T3_mRjT4_P12ihipStream_tbNS1_7vsmem_tEEUlT_E_NS1_11comp_targetILNS1_3genE2ELNS1_11target_archE906ELNS1_3gpuE6ELNS1_3repE0EEENS1_30default_config_static_selectorELNS0_4arch9wavefront6targetE1EEEvSI_,comdat
	.protected	_ZN7rocprim17ROCPRIM_400000_NS6detail17trampoline_kernelINS0_14default_configENS1_37merge_sort_block_sort_config_selectorIN3c108BFloat16ElEEZNS1_21merge_sort_block_sortIS3_PS6_S9_N6thrust23THRUST_200600_302600_NS10device_ptrIlEESD_NSB_4lessIS6_EEEE10hipError_tT0_T1_T2_T3_mRjT4_P12ihipStream_tbNS1_7vsmem_tEEUlT_E_NS1_11comp_targetILNS1_3genE2ELNS1_11target_archE906ELNS1_3gpuE6ELNS1_3repE0EEENS1_30default_config_static_selectorELNS0_4arch9wavefront6targetE1EEEvSI_ ; -- Begin function _ZN7rocprim17ROCPRIM_400000_NS6detail17trampoline_kernelINS0_14default_configENS1_37merge_sort_block_sort_config_selectorIN3c108BFloat16ElEEZNS1_21merge_sort_block_sortIS3_PS6_S9_N6thrust23THRUST_200600_302600_NS10device_ptrIlEESD_NSB_4lessIS6_EEEE10hipError_tT0_T1_T2_T3_mRjT4_P12ihipStream_tbNS1_7vsmem_tEEUlT_E_NS1_11comp_targetILNS1_3genE2ELNS1_11target_archE906ELNS1_3gpuE6ELNS1_3repE0EEENS1_30default_config_static_selectorELNS0_4arch9wavefront6targetE1EEEvSI_
	.globl	_ZN7rocprim17ROCPRIM_400000_NS6detail17trampoline_kernelINS0_14default_configENS1_37merge_sort_block_sort_config_selectorIN3c108BFloat16ElEEZNS1_21merge_sort_block_sortIS3_PS6_S9_N6thrust23THRUST_200600_302600_NS10device_ptrIlEESD_NSB_4lessIS6_EEEE10hipError_tT0_T1_T2_T3_mRjT4_P12ihipStream_tbNS1_7vsmem_tEEUlT_E_NS1_11comp_targetILNS1_3genE2ELNS1_11target_archE906ELNS1_3gpuE6ELNS1_3repE0EEENS1_30default_config_static_selectorELNS0_4arch9wavefront6targetE1EEEvSI_
	.p2align	8
	.type	_ZN7rocprim17ROCPRIM_400000_NS6detail17trampoline_kernelINS0_14default_configENS1_37merge_sort_block_sort_config_selectorIN3c108BFloat16ElEEZNS1_21merge_sort_block_sortIS3_PS6_S9_N6thrust23THRUST_200600_302600_NS10device_ptrIlEESD_NSB_4lessIS6_EEEE10hipError_tT0_T1_T2_T3_mRjT4_P12ihipStream_tbNS1_7vsmem_tEEUlT_E_NS1_11comp_targetILNS1_3genE2ELNS1_11target_archE906ELNS1_3gpuE6ELNS1_3repE0EEENS1_30default_config_static_selectorELNS0_4arch9wavefront6targetE1EEEvSI_,@function
_ZN7rocprim17ROCPRIM_400000_NS6detail17trampoline_kernelINS0_14default_configENS1_37merge_sort_block_sort_config_selectorIN3c108BFloat16ElEEZNS1_21merge_sort_block_sortIS3_PS6_S9_N6thrust23THRUST_200600_302600_NS10device_ptrIlEESD_NSB_4lessIS6_EEEE10hipError_tT0_T1_T2_T3_mRjT4_P12ihipStream_tbNS1_7vsmem_tEEUlT_E_NS1_11comp_targetILNS1_3genE2ELNS1_11target_archE906ELNS1_3gpuE6ELNS1_3repE0EEENS1_30default_config_static_selectorELNS0_4arch9wavefront6targetE1EEEvSI_: ; @_ZN7rocprim17ROCPRIM_400000_NS6detail17trampoline_kernelINS0_14default_configENS1_37merge_sort_block_sort_config_selectorIN3c108BFloat16ElEEZNS1_21merge_sort_block_sortIS3_PS6_S9_N6thrust23THRUST_200600_302600_NS10device_ptrIlEESD_NSB_4lessIS6_EEEE10hipError_tT0_T1_T2_T3_mRjT4_P12ihipStream_tbNS1_7vsmem_tEEUlT_E_NS1_11comp_targetILNS1_3genE2ELNS1_11target_archE906ELNS1_3gpuE6ELNS1_3repE0EEENS1_30default_config_static_selectorELNS0_4arch9wavefront6targetE1EEEvSI_
; %bb.0:
	.section	.rodata,"a",@progbits
	.p2align	6, 0x0
	.amdhsa_kernel _ZN7rocprim17ROCPRIM_400000_NS6detail17trampoline_kernelINS0_14default_configENS1_37merge_sort_block_sort_config_selectorIN3c108BFloat16ElEEZNS1_21merge_sort_block_sortIS3_PS6_S9_N6thrust23THRUST_200600_302600_NS10device_ptrIlEESD_NSB_4lessIS6_EEEE10hipError_tT0_T1_T2_T3_mRjT4_P12ihipStream_tbNS1_7vsmem_tEEUlT_E_NS1_11comp_targetILNS1_3genE2ELNS1_11target_archE906ELNS1_3gpuE6ELNS1_3repE0EEENS1_30default_config_static_selectorELNS0_4arch9wavefront6targetE1EEEvSI_
		.amdhsa_group_segment_fixed_size 0
		.amdhsa_private_segment_fixed_size 0
		.amdhsa_kernarg_size 64
		.amdhsa_user_sgpr_count 6
		.amdhsa_user_sgpr_private_segment_buffer 1
		.amdhsa_user_sgpr_dispatch_ptr 0
		.amdhsa_user_sgpr_queue_ptr 0
		.amdhsa_user_sgpr_kernarg_segment_ptr 1
		.amdhsa_user_sgpr_dispatch_id 0
		.amdhsa_user_sgpr_flat_scratch_init 0
		.amdhsa_user_sgpr_kernarg_preload_length 0
		.amdhsa_user_sgpr_kernarg_preload_offset 0
		.amdhsa_user_sgpr_private_segment_size 0
		.amdhsa_uses_dynamic_stack 0
		.amdhsa_system_sgpr_private_segment_wavefront_offset 0
		.amdhsa_system_sgpr_workgroup_id_x 1
		.amdhsa_system_sgpr_workgroup_id_y 0
		.amdhsa_system_sgpr_workgroup_id_z 0
		.amdhsa_system_sgpr_workgroup_info 0
		.amdhsa_system_vgpr_workitem_id 0
		.amdhsa_next_free_vgpr 1
		.amdhsa_next_free_sgpr 0
		.amdhsa_accum_offset 4
		.amdhsa_reserve_vcc 0
		.amdhsa_reserve_flat_scratch 0
		.amdhsa_float_round_mode_32 0
		.amdhsa_float_round_mode_16_64 0
		.amdhsa_float_denorm_mode_32 3
		.amdhsa_float_denorm_mode_16_64 3
		.amdhsa_dx10_clamp 1
		.amdhsa_ieee_mode 1
		.amdhsa_fp16_overflow 0
		.amdhsa_tg_split 0
		.amdhsa_exception_fp_ieee_invalid_op 0
		.amdhsa_exception_fp_denorm_src 0
		.amdhsa_exception_fp_ieee_div_zero 0
		.amdhsa_exception_fp_ieee_overflow 0
		.amdhsa_exception_fp_ieee_underflow 0
		.amdhsa_exception_fp_ieee_inexact 0
		.amdhsa_exception_int_div_zero 0
	.end_amdhsa_kernel
	.section	.text._ZN7rocprim17ROCPRIM_400000_NS6detail17trampoline_kernelINS0_14default_configENS1_37merge_sort_block_sort_config_selectorIN3c108BFloat16ElEEZNS1_21merge_sort_block_sortIS3_PS6_S9_N6thrust23THRUST_200600_302600_NS10device_ptrIlEESD_NSB_4lessIS6_EEEE10hipError_tT0_T1_T2_T3_mRjT4_P12ihipStream_tbNS1_7vsmem_tEEUlT_E_NS1_11comp_targetILNS1_3genE2ELNS1_11target_archE906ELNS1_3gpuE6ELNS1_3repE0EEENS1_30default_config_static_selectorELNS0_4arch9wavefront6targetE1EEEvSI_,"axG",@progbits,_ZN7rocprim17ROCPRIM_400000_NS6detail17trampoline_kernelINS0_14default_configENS1_37merge_sort_block_sort_config_selectorIN3c108BFloat16ElEEZNS1_21merge_sort_block_sortIS3_PS6_S9_N6thrust23THRUST_200600_302600_NS10device_ptrIlEESD_NSB_4lessIS6_EEEE10hipError_tT0_T1_T2_T3_mRjT4_P12ihipStream_tbNS1_7vsmem_tEEUlT_E_NS1_11comp_targetILNS1_3genE2ELNS1_11target_archE906ELNS1_3gpuE6ELNS1_3repE0EEENS1_30default_config_static_selectorELNS0_4arch9wavefront6targetE1EEEvSI_,comdat
.Lfunc_end1974:
	.size	_ZN7rocprim17ROCPRIM_400000_NS6detail17trampoline_kernelINS0_14default_configENS1_37merge_sort_block_sort_config_selectorIN3c108BFloat16ElEEZNS1_21merge_sort_block_sortIS3_PS6_S9_N6thrust23THRUST_200600_302600_NS10device_ptrIlEESD_NSB_4lessIS6_EEEE10hipError_tT0_T1_T2_T3_mRjT4_P12ihipStream_tbNS1_7vsmem_tEEUlT_E_NS1_11comp_targetILNS1_3genE2ELNS1_11target_archE906ELNS1_3gpuE6ELNS1_3repE0EEENS1_30default_config_static_selectorELNS0_4arch9wavefront6targetE1EEEvSI_, .Lfunc_end1974-_ZN7rocprim17ROCPRIM_400000_NS6detail17trampoline_kernelINS0_14default_configENS1_37merge_sort_block_sort_config_selectorIN3c108BFloat16ElEEZNS1_21merge_sort_block_sortIS3_PS6_S9_N6thrust23THRUST_200600_302600_NS10device_ptrIlEESD_NSB_4lessIS6_EEEE10hipError_tT0_T1_T2_T3_mRjT4_P12ihipStream_tbNS1_7vsmem_tEEUlT_E_NS1_11comp_targetILNS1_3genE2ELNS1_11target_archE906ELNS1_3gpuE6ELNS1_3repE0EEENS1_30default_config_static_selectorELNS0_4arch9wavefront6targetE1EEEvSI_
                                        ; -- End function
	.section	.AMDGPU.csdata,"",@progbits
; Kernel info:
; codeLenInByte = 0
; NumSgprs: 4
; NumVgprs: 0
; NumAgprs: 0
; TotalNumVgprs: 0
; ScratchSize: 0
; MemoryBound: 0
; FloatMode: 240
; IeeeMode: 1
; LDSByteSize: 0 bytes/workgroup (compile time only)
; SGPRBlocks: 0
; VGPRBlocks: 0
; NumSGPRsForWavesPerEU: 4
; NumVGPRsForWavesPerEU: 1
; AccumOffset: 4
; Occupancy: 8
; WaveLimiterHint : 0
; COMPUTE_PGM_RSRC2:SCRATCH_EN: 0
; COMPUTE_PGM_RSRC2:USER_SGPR: 6
; COMPUTE_PGM_RSRC2:TRAP_HANDLER: 0
; COMPUTE_PGM_RSRC2:TGID_X_EN: 1
; COMPUTE_PGM_RSRC2:TGID_Y_EN: 0
; COMPUTE_PGM_RSRC2:TGID_Z_EN: 0
; COMPUTE_PGM_RSRC2:TIDIG_COMP_CNT: 0
; COMPUTE_PGM_RSRC3_GFX90A:ACCUM_OFFSET: 0
; COMPUTE_PGM_RSRC3_GFX90A:TG_SPLIT: 0
	.section	.text._ZN7rocprim17ROCPRIM_400000_NS6detail17trampoline_kernelINS0_14default_configENS1_37merge_sort_block_sort_config_selectorIN3c108BFloat16ElEEZNS1_21merge_sort_block_sortIS3_PS6_S9_N6thrust23THRUST_200600_302600_NS10device_ptrIlEESD_NSB_4lessIS6_EEEE10hipError_tT0_T1_T2_T3_mRjT4_P12ihipStream_tbNS1_7vsmem_tEEUlT_E_NS1_11comp_targetILNS1_3genE10ELNS1_11target_archE1201ELNS1_3gpuE5ELNS1_3repE0EEENS1_30default_config_static_selectorELNS0_4arch9wavefront6targetE1EEEvSI_,"axG",@progbits,_ZN7rocprim17ROCPRIM_400000_NS6detail17trampoline_kernelINS0_14default_configENS1_37merge_sort_block_sort_config_selectorIN3c108BFloat16ElEEZNS1_21merge_sort_block_sortIS3_PS6_S9_N6thrust23THRUST_200600_302600_NS10device_ptrIlEESD_NSB_4lessIS6_EEEE10hipError_tT0_T1_T2_T3_mRjT4_P12ihipStream_tbNS1_7vsmem_tEEUlT_E_NS1_11comp_targetILNS1_3genE10ELNS1_11target_archE1201ELNS1_3gpuE5ELNS1_3repE0EEENS1_30default_config_static_selectorELNS0_4arch9wavefront6targetE1EEEvSI_,comdat
	.protected	_ZN7rocprim17ROCPRIM_400000_NS6detail17trampoline_kernelINS0_14default_configENS1_37merge_sort_block_sort_config_selectorIN3c108BFloat16ElEEZNS1_21merge_sort_block_sortIS3_PS6_S9_N6thrust23THRUST_200600_302600_NS10device_ptrIlEESD_NSB_4lessIS6_EEEE10hipError_tT0_T1_T2_T3_mRjT4_P12ihipStream_tbNS1_7vsmem_tEEUlT_E_NS1_11comp_targetILNS1_3genE10ELNS1_11target_archE1201ELNS1_3gpuE5ELNS1_3repE0EEENS1_30default_config_static_selectorELNS0_4arch9wavefront6targetE1EEEvSI_ ; -- Begin function _ZN7rocprim17ROCPRIM_400000_NS6detail17trampoline_kernelINS0_14default_configENS1_37merge_sort_block_sort_config_selectorIN3c108BFloat16ElEEZNS1_21merge_sort_block_sortIS3_PS6_S9_N6thrust23THRUST_200600_302600_NS10device_ptrIlEESD_NSB_4lessIS6_EEEE10hipError_tT0_T1_T2_T3_mRjT4_P12ihipStream_tbNS1_7vsmem_tEEUlT_E_NS1_11comp_targetILNS1_3genE10ELNS1_11target_archE1201ELNS1_3gpuE5ELNS1_3repE0EEENS1_30default_config_static_selectorELNS0_4arch9wavefront6targetE1EEEvSI_
	.globl	_ZN7rocprim17ROCPRIM_400000_NS6detail17trampoline_kernelINS0_14default_configENS1_37merge_sort_block_sort_config_selectorIN3c108BFloat16ElEEZNS1_21merge_sort_block_sortIS3_PS6_S9_N6thrust23THRUST_200600_302600_NS10device_ptrIlEESD_NSB_4lessIS6_EEEE10hipError_tT0_T1_T2_T3_mRjT4_P12ihipStream_tbNS1_7vsmem_tEEUlT_E_NS1_11comp_targetILNS1_3genE10ELNS1_11target_archE1201ELNS1_3gpuE5ELNS1_3repE0EEENS1_30default_config_static_selectorELNS0_4arch9wavefront6targetE1EEEvSI_
	.p2align	8
	.type	_ZN7rocprim17ROCPRIM_400000_NS6detail17trampoline_kernelINS0_14default_configENS1_37merge_sort_block_sort_config_selectorIN3c108BFloat16ElEEZNS1_21merge_sort_block_sortIS3_PS6_S9_N6thrust23THRUST_200600_302600_NS10device_ptrIlEESD_NSB_4lessIS6_EEEE10hipError_tT0_T1_T2_T3_mRjT4_P12ihipStream_tbNS1_7vsmem_tEEUlT_E_NS1_11comp_targetILNS1_3genE10ELNS1_11target_archE1201ELNS1_3gpuE5ELNS1_3repE0EEENS1_30default_config_static_selectorELNS0_4arch9wavefront6targetE1EEEvSI_,@function
_ZN7rocprim17ROCPRIM_400000_NS6detail17trampoline_kernelINS0_14default_configENS1_37merge_sort_block_sort_config_selectorIN3c108BFloat16ElEEZNS1_21merge_sort_block_sortIS3_PS6_S9_N6thrust23THRUST_200600_302600_NS10device_ptrIlEESD_NSB_4lessIS6_EEEE10hipError_tT0_T1_T2_T3_mRjT4_P12ihipStream_tbNS1_7vsmem_tEEUlT_E_NS1_11comp_targetILNS1_3genE10ELNS1_11target_archE1201ELNS1_3gpuE5ELNS1_3repE0EEENS1_30default_config_static_selectorELNS0_4arch9wavefront6targetE1EEEvSI_: ; @_ZN7rocprim17ROCPRIM_400000_NS6detail17trampoline_kernelINS0_14default_configENS1_37merge_sort_block_sort_config_selectorIN3c108BFloat16ElEEZNS1_21merge_sort_block_sortIS3_PS6_S9_N6thrust23THRUST_200600_302600_NS10device_ptrIlEESD_NSB_4lessIS6_EEEE10hipError_tT0_T1_T2_T3_mRjT4_P12ihipStream_tbNS1_7vsmem_tEEUlT_E_NS1_11comp_targetILNS1_3genE10ELNS1_11target_archE1201ELNS1_3gpuE5ELNS1_3repE0EEENS1_30default_config_static_selectorELNS0_4arch9wavefront6targetE1EEEvSI_
; %bb.0:
	.section	.rodata,"a",@progbits
	.p2align	6, 0x0
	.amdhsa_kernel _ZN7rocprim17ROCPRIM_400000_NS6detail17trampoline_kernelINS0_14default_configENS1_37merge_sort_block_sort_config_selectorIN3c108BFloat16ElEEZNS1_21merge_sort_block_sortIS3_PS6_S9_N6thrust23THRUST_200600_302600_NS10device_ptrIlEESD_NSB_4lessIS6_EEEE10hipError_tT0_T1_T2_T3_mRjT4_P12ihipStream_tbNS1_7vsmem_tEEUlT_E_NS1_11comp_targetILNS1_3genE10ELNS1_11target_archE1201ELNS1_3gpuE5ELNS1_3repE0EEENS1_30default_config_static_selectorELNS0_4arch9wavefront6targetE1EEEvSI_
		.amdhsa_group_segment_fixed_size 0
		.amdhsa_private_segment_fixed_size 0
		.amdhsa_kernarg_size 64
		.amdhsa_user_sgpr_count 6
		.amdhsa_user_sgpr_private_segment_buffer 1
		.amdhsa_user_sgpr_dispatch_ptr 0
		.amdhsa_user_sgpr_queue_ptr 0
		.amdhsa_user_sgpr_kernarg_segment_ptr 1
		.amdhsa_user_sgpr_dispatch_id 0
		.amdhsa_user_sgpr_flat_scratch_init 0
		.amdhsa_user_sgpr_kernarg_preload_length 0
		.amdhsa_user_sgpr_kernarg_preload_offset 0
		.amdhsa_user_sgpr_private_segment_size 0
		.amdhsa_uses_dynamic_stack 0
		.amdhsa_system_sgpr_private_segment_wavefront_offset 0
		.amdhsa_system_sgpr_workgroup_id_x 1
		.amdhsa_system_sgpr_workgroup_id_y 0
		.amdhsa_system_sgpr_workgroup_id_z 0
		.amdhsa_system_sgpr_workgroup_info 0
		.amdhsa_system_vgpr_workitem_id 0
		.amdhsa_next_free_vgpr 1
		.amdhsa_next_free_sgpr 0
		.amdhsa_accum_offset 4
		.amdhsa_reserve_vcc 0
		.amdhsa_reserve_flat_scratch 0
		.amdhsa_float_round_mode_32 0
		.amdhsa_float_round_mode_16_64 0
		.amdhsa_float_denorm_mode_32 3
		.amdhsa_float_denorm_mode_16_64 3
		.amdhsa_dx10_clamp 1
		.amdhsa_ieee_mode 1
		.amdhsa_fp16_overflow 0
		.amdhsa_tg_split 0
		.amdhsa_exception_fp_ieee_invalid_op 0
		.amdhsa_exception_fp_denorm_src 0
		.amdhsa_exception_fp_ieee_div_zero 0
		.amdhsa_exception_fp_ieee_overflow 0
		.amdhsa_exception_fp_ieee_underflow 0
		.amdhsa_exception_fp_ieee_inexact 0
		.amdhsa_exception_int_div_zero 0
	.end_amdhsa_kernel
	.section	.text._ZN7rocprim17ROCPRIM_400000_NS6detail17trampoline_kernelINS0_14default_configENS1_37merge_sort_block_sort_config_selectorIN3c108BFloat16ElEEZNS1_21merge_sort_block_sortIS3_PS6_S9_N6thrust23THRUST_200600_302600_NS10device_ptrIlEESD_NSB_4lessIS6_EEEE10hipError_tT0_T1_T2_T3_mRjT4_P12ihipStream_tbNS1_7vsmem_tEEUlT_E_NS1_11comp_targetILNS1_3genE10ELNS1_11target_archE1201ELNS1_3gpuE5ELNS1_3repE0EEENS1_30default_config_static_selectorELNS0_4arch9wavefront6targetE1EEEvSI_,"axG",@progbits,_ZN7rocprim17ROCPRIM_400000_NS6detail17trampoline_kernelINS0_14default_configENS1_37merge_sort_block_sort_config_selectorIN3c108BFloat16ElEEZNS1_21merge_sort_block_sortIS3_PS6_S9_N6thrust23THRUST_200600_302600_NS10device_ptrIlEESD_NSB_4lessIS6_EEEE10hipError_tT0_T1_T2_T3_mRjT4_P12ihipStream_tbNS1_7vsmem_tEEUlT_E_NS1_11comp_targetILNS1_3genE10ELNS1_11target_archE1201ELNS1_3gpuE5ELNS1_3repE0EEENS1_30default_config_static_selectorELNS0_4arch9wavefront6targetE1EEEvSI_,comdat
.Lfunc_end1975:
	.size	_ZN7rocprim17ROCPRIM_400000_NS6detail17trampoline_kernelINS0_14default_configENS1_37merge_sort_block_sort_config_selectorIN3c108BFloat16ElEEZNS1_21merge_sort_block_sortIS3_PS6_S9_N6thrust23THRUST_200600_302600_NS10device_ptrIlEESD_NSB_4lessIS6_EEEE10hipError_tT0_T1_T2_T3_mRjT4_P12ihipStream_tbNS1_7vsmem_tEEUlT_E_NS1_11comp_targetILNS1_3genE10ELNS1_11target_archE1201ELNS1_3gpuE5ELNS1_3repE0EEENS1_30default_config_static_selectorELNS0_4arch9wavefront6targetE1EEEvSI_, .Lfunc_end1975-_ZN7rocprim17ROCPRIM_400000_NS6detail17trampoline_kernelINS0_14default_configENS1_37merge_sort_block_sort_config_selectorIN3c108BFloat16ElEEZNS1_21merge_sort_block_sortIS3_PS6_S9_N6thrust23THRUST_200600_302600_NS10device_ptrIlEESD_NSB_4lessIS6_EEEE10hipError_tT0_T1_T2_T3_mRjT4_P12ihipStream_tbNS1_7vsmem_tEEUlT_E_NS1_11comp_targetILNS1_3genE10ELNS1_11target_archE1201ELNS1_3gpuE5ELNS1_3repE0EEENS1_30default_config_static_selectorELNS0_4arch9wavefront6targetE1EEEvSI_
                                        ; -- End function
	.section	.AMDGPU.csdata,"",@progbits
; Kernel info:
; codeLenInByte = 0
; NumSgprs: 4
; NumVgprs: 0
; NumAgprs: 0
; TotalNumVgprs: 0
; ScratchSize: 0
; MemoryBound: 0
; FloatMode: 240
; IeeeMode: 1
; LDSByteSize: 0 bytes/workgroup (compile time only)
; SGPRBlocks: 0
; VGPRBlocks: 0
; NumSGPRsForWavesPerEU: 4
; NumVGPRsForWavesPerEU: 1
; AccumOffset: 4
; Occupancy: 8
; WaveLimiterHint : 0
; COMPUTE_PGM_RSRC2:SCRATCH_EN: 0
; COMPUTE_PGM_RSRC2:USER_SGPR: 6
; COMPUTE_PGM_RSRC2:TRAP_HANDLER: 0
; COMPUTE_PGM_RSRC2:TGID_X_EN: 1
; COMPUTE_PGM_RSRC2:TGID_Y_EN: 0
; COMPUTE_PGM_RSRC2:TGID_Z_EN: 0
; COMPUTE_PGM_RSRC2:TIDIG_COMP_CNT: 0
; COMPUTE_PGM_RSRC3_GFX90A:ACCUM_OFFSET: 0
; COMPUTE_PGM_RSRC3_GFX90A:TG_SPLIT: 0
	.section	.text._ZN7rocprim17ROCPRIM_400000_NS6detail17trampoline_kernelINS0_14default_configENS1_37merge_sort_block_sort_config_selectorIN3c108BFloat16ElEEZNS1_21merge_sort_block_sortIS3_PS6_S9_N6thrust23THRUST_200600_302600_NS10device_ptrIlEESD_NSB_4lessIS6_EEEE10hipError_tT0_T1_T2_T3_mRjT4_P12ihipStream_tbNS1_7vsmem_tEEUlT_E_NS1_11comp_targetILNS1_3genE10ELNS1_11target_archE1200ELNS1_3gpuE4ELNS1_3repE0EEENS1_30default_config_static_selectorELNS0_4arch9wavefront6targetE1EEEvSI_,"axG",@progbits,_ZN7rocprim17ROCPRIM_400000_NS6detail17trampoline_kernelINS0_14default_configENS1_37merge_sort_block_sort_config_selectorIN3c108BFloat16ElEEZNS1_21merge_sort_block_sortIS3_PS6_S9_N6thrust23THRUST_200600_302600_NS10device_ptrIlEESD_NSB_4lessIS6_EEEE10hipError_tT0_T1_T2_T3_mRjT4_P12ihipStream_tbNS1_7vsmem_tEEUlT_E_NS1_11comp_targetILNS1_3genE10ELNS1_11target_archE1200ELNS1_3gpuE4ELNS1_3repE0EEENS1_30default_config_static_selectorELNS0_4arch9wavefront6targetE1EEEvSI_,comdat
	.protected	_ZN7rocprim17ROCPRIM_400000_NS6detail17trampoline_kernelINS0_14default_configENS1_37merge_sort_block_sort_config_selectorIN3c108BFloat16ElEEZNS1_21merge_sort_block_sortIS3_PS6_S9_N6thrust23THRUST_200600_302600_NS10device_ptrIlEESD_NSB_4lessIS6_EEEE10hipError_tT0_T1_T2_T3_mRjT4_P12ihipStream_tbNS1_7vsmem_tEEUlT_E_NS1_11comp_targetILNS1_3genE10ELNS1_11target_archE1200ELNS1_3gpuE4ELNS1_3repE0EEENS1_30default_config_static_selectorELNS0_4arch9wavefront6targetE1EEEvSI_ ; -- Begin function _ZN7rocprim17ROCPRIM_400000_NS6detail17trampoline_kernelINS0_14default_configENS1_37merge_sort_block_sort_config_selectorIN3c108BFloat16ElEEZNS1_21merge_sort_block_sortIS3_PS6_S9_N6thrust23THRUST_200600_302600_NS10device_ptrIlEESD_NSB_4lessIS6_EEEE10hipError_tT0_T1_T2_T3_mRjT4_P12ihipStream_tbNS1_7vsmem_tEEUlT_E_NS1_11comp_targetILNS1_3genE10ELNS1_11target_archE1200ELNS1_3gpuE4ELNS1_3repE0EEENS1_30default_config_static_selectorELNS0_4arch9wavefront6targetE1EEEvSI_
	.globl	_ZN7rocprim17ROCPRIM_400000_NS6detail17trampoline_kernelINS0_14default_configENS1_37merge_sort_block_sort_config_selectorIN3c108BFloat16ElEEZNS1_21merge_sort_block_sortIS3_PS6_S9_N6thrust23THRUST_200600_302600_NS10device_ptrIlEESD_NSB_4lessIS6_EEEE10hipError_tT0_T1_T2_T3_mRjT4_P12ihipStream_tbNS1_7vsmem_tEEUlT_E_NS1_11comp_targetILNS1_3genE10ELNS1_11target_archE1200ELNS1_3gpuE4ELNS1_3repE0EEENS1_30default_config_static_selectorELNS0_4arch9wavefront6targetE1EEEvSI_
	.p2align	8
	.type	_ZN7rocprim17ROCPRIM_400000_NS6detail17trampoline_kernelINS0_14default_configENS1_37merge_sort_block_sort_config_selectorIN3c108BFloat16ElEEZNS1_21merge_sort_block_sortIS3_PS6_S9_N6thrust23THRUST_200600_302600_NS10device_ptrIlEESD_NSB_4lessIS6_EEEE10hipError_tT0_T1_T2_T3_mRjT4_P12ihipStream_tbNS1_7vsmem_tEEUlT_E_NS1_11comp_targetILNS1_3genE10ELNS1_11target_archE1200ELNS1_3gpuE4ELNS1_3repE0EEENS1_30default_config_static_selectorELNS0_4arch9wavefront6targetE1EEEvSI_,@function
_ZN7rocprim17ROCPRIM_400000_NS6detail17trampoline_kernelINS0_14default_configENS1_37merge_sort_block_sort_config_selectorIN3c108BFloat16ElEEZNS1_21merge_sort_block_sortIS3_PS6_S9_N6thrust23THRUST_200600_302600_NS10device_ptrIlEESD_NSB_4lessIS6_EEEE10hipError_tT0_T1_T2_T3_mRjT4_P12ihipStream_tbNS1_7vsmem_tEEUlT_E_NS1_11comp_targetILNS1_3genE10ELNS1_11target_archE1200ELNS1_3gpuE4ELNS1_3repE0EEENS1_30default_config_static_selectorELNS0_4arch9wavefront6targetE1EEEvSI_: ; @_ZN7rocprim17ROCPRIM_400000_NS6detail17trampoline_kernelINS0_14default_configENS1_37merge_sort_block_sort_config_selectorIN3c108BFloat16ElEEZNS1_21merge_sort_block_sortIS3_PS6_S9_N6thrust23THRUST_200600_302600_NS10device_ptrIlEESD_NSB_4lessIS6_EEEE10hipError_tT0_T1_T2_T3_mRjT4_P12ihipStream_tbNS1_7vsmem_tEEUlT_E_NS1_11comp_targetILNS1_3genE10ELNS1_11target_archE1200ELNS1_3gpuE4ELNS1_3repE0EEENS1_30default_config_static_selectorELNS0_4arch9wavefront6targetE1EEEvSI_
; %bb.0:
	.section	.rodata,"a",@progbits
	.p2align	6, 0x0
	.amdhsa_kernel _ZN7rocprim17ROCPRIM_400000_NS6detail17trampoline_kernelINS0_14default_configENS1_37merge_sort_block_sort_config_selectorIN3c108BFloat16ElEEZNS1_21merge_sort_block_sortIS3_PS6_S9_N6thrust23THRUST_200600_302600_NS10device_ptrIlEESD_NSB_4lessIS6_EEEE10hipError_tT0_T1_T2_T3_mRjT4_P12ihipStream_tbNS1_7vsmem_tEEUlT_E_NS1_11comp_targetILNS1_3genE10ELNS1_11target_archE1200ELNS1_3gpuE4ELNS1_3repE0EEENS1_30default_config_static_selectorELNS0_4arch9wavefront6targetE1EEEvSI_
		.amdhsa_group_segment_fixed_size 0
		.amdhsa_private_segment_fixed_size 0
		.amdhsa_kernarg_size 64
		.amdhsa_user_sgpr_count 6
		.amdhsa_user_sgpr_private_segment_buffer 1
		.amdhsa_user_sgpr_dispatch_ptr 0
		.amdhsa_user_sgpr_queue_ptr 0
		.amdhsa_user_sgpr_kernarg_segment_ptr 1
		.amdhsa_user_sgpr_dispatch_id 0
		.amdhsa_user_sgpr_flat_scratch_init 0
		.amdhsa_user_sgpr_kernarg_preload_length 0
		.amdhsa_user_sgpr_kernarg_preload_offset 0
		.amdhsa_user_sgpr_private_segment_size 0
		.amdhsa_uses_dynamic_stack 0
		.amdhsa_system_sgpr_private_segment_wavefront_offset 0
		.amdhsa_system_sgpr_workgroup_id_x 1
		.amdhsa_system_sgpr_workgroup_id_y 0
		.amdhsa_system_sgpr_workgroup_id_z 0
		.amdhsa_system_sgpr_workgroup_info 0
		.amdhsa_system_vgpr_workitem_id 0
		.amdhsa_next_free_vgpr 1
		.amdhsa_next_free_sgpr 0
		.amdhsa_accum_offset 4
		.amdhsa_reserve_vcc 0
		.amdhsa_reserve_flat_scratch 0
		.amdhsa_float_round_mode_32 0
		.amdhsa_float_round_mode_16_64 0
		.amdhsa_float_denorm_mode_32 3
		.amdhsa_float_denorm_mode_16_64 3
		.amdhsa_dx10_clamp 1
		.amdhsa_ieee_mode 1
		.amdhsa_fp16_overflow 0
		.amdhsa_tg_split 0
		.amdhsa_exception_fp_ieee_invalid_op 0
		.amdhsa_exception_fp_denorm_src 0
		.amdhsa_exception_fp_ieee_div_zero 0
		.amdhsa_exception_fp_ieee_overflow 0
		.amdhsa_exception_fp_ieee_underflow 0
		.amdhsa_exception_fp_ieee_inexact 0
		.amdhsa_exception_int_div_zero 0
	.end_amdhsa_kernel
	.section	.text._ZN7rocprim17ROCPRIM_400000_NS6detail17trampoline_kernelINS0_14default_configENS1_37merge_sort_block_sort_config_selectorIN3c108BFloat16ElEEZNS1_21merge_sort_block_sortIS3_PS6_S9_N6thrust23THRUST_200600_302600_NS10device_ptrIlEESD_NSB_4lessIS6_EEEE10hipError_tT0_T1_T2_T3_mRjT4_P12ihipStream_tbNS1_7vsmem_tEEUlT_E_NS1_11comp_targetILNS1_3genE10ELNS1_11target_archE1200ELNS1_3gpuE4ELNS1_3repE0EEENS1_30default_config_static_selectorELNS0_4arch9wavefront6targetE1EEEvSI_,"axG",@progbits,_ZN7rocprim17ROCPRIM_400000_NS6detail17trampoline_kernelINS0_14default_configENS1_37merge_sort_block_sort_config_selectorIN3c108BFloat16ElEEZNS1_21merge_sort_block_sortIS3_PS6_S9_N6thrust23THRUST_200600_302600_NS10device_ptrIlEESD_NSB_4lessIS6_EEEE10hipError_tT0_T1_T2_T3_mRjT4_P12ihipStream_tbNS1_7vsmem_tEEUlT_E_NS1_11comp_targetILNS1_3genE10ELNS1_11target_archE1200ELNS1_3gpuE4ELNS1_3repE0EEENS1_30default_config_static_selectorELNS0_4arch9wavefront6targetE1EEEvSI_,comdat
.Lfunc_end1976:
	.size	_ZN7rocprim17ROCPRIM_400000_NS6detail17trampoline_kernelINS0_14default_configENS1_37merge_sort_block_sort_config_selectorIN3c108BFloat16ElEEZNS1_21merge_sort_block_sortIS3_PS6_S9_N6thrust23THRUST_200600_302600_NS10device_ptrIlEESD_NSB_4lessIS6_EEEE10hipError_tT0_T1_T2_T3_mRjT4_P12ihipStream_tbNS1_7vsmem_tEEUlT_E_NS1_11comp_targetILNS1_3genE10ELNS1_11target_archE1200ELNS1_3gpuE4ELNS1_3repE0EEENS1_30default_config_static_selectorELNS0_4arch9wavefront6targetE1EEEvSI_, .Lfunc_end1976-_ZN7rocprim17ROCPRIM_400000_NS6detail17trampoline_kernelINS0_14default_configENS1_37merge_sort_block_sort_config_selectorIN3c108BFloat16ElEEZNS1_21merge_sort_block_sortIS3_PS6_S9_N6thrust23THRUST_200600_302600_NS10device_ptrIlEESD_NSB_4lessIS6_EEEE10hipError_tT0_T1_T2_T3_mRjT4_P12ihipStream_tbNS1_7vsmem_tEEUlT_E_NS1_11comp_targetILNS1_3genE10ELNS1_11target_archE1200ELNS1_3gpuE4ELNS1_3repE0EEENS1_30default_config_static_selectorELNS0_4arch9wavefront6targetE1EEEvSI_
                                        ; -- End function
	.section	.AMDGPU.csdata,"",@progbits
; Kernel info:
; codeLenInByte = 0
; NumSgprs: 4
; NumVgprs: 0
; NumAgprs: 0
; TotalNumVgprs: 0
; ScratchSize: 0
; MemoryBound: 0
; FloatMode: 240
; IeeeMode: 1
; LDSByteSize: 0 bytes/workgroup (compile time only)
; SGPRBlocks: 0
; VGPRBlocks: 0
; NumSGPRsForWavesPerEU: 4
; NumVGPRsForWavesPerEU: 1
; AccumOffset: 4
; Occupancy: 8
; WaveLimiterHint : 0
; COMPUTE_PGM_RSRC2:SCRATCH_EN: 0
; COMPUTE_PGM_RSRC2:USER_SGPR: 6
; COMPUTE_PGM_RSRC2:TRAP_HANDLER: 0
; COMPUTE_PGM_RSRC2:TGID_X_EN: 1
; COMPUTE_PGM_RSRC2:TGID_Y_EN: 0
; COMPUTE_PGM_RSRC2:TGID_Z_EN: 0
; COMPUTE_PGM_RSRC2:TIDIG_COMP_CNT: 0
; COMPUTE_PGM_RSRC3_GFX90A:ACCUM_OFFSET: 0
; COMPUTE_PGM_RSRC3_GFX90A:TG_SPLIT: 0
	.section	.text._ZN7rocprim17ROCPRIM_400000_NS6detail17trampoline_kernelINS0_14default_configENS1_37merge_sort_block_sort_config_selectorIN3c108BFloat16ElEEZNS1_21merge_sort_block_sortIS3_PS6_S9_N6thrust23THRUST_200600_302600_NS10device_ptrIlEESD_NSB_4lessIS6_EEEE10hipError_tT0_T1_T2_T3_mRjT4_P12ihipStream_tbNS1_7vsmem_tEEUlT_E_NS1_11comp_targetILNS1_3genE9ELNS1_11target_archE1100ELNS1_3gpuE3ELNS1_3repE0EEENS1_30default_config_static_selectorELNS0_4arch9wavefront6targetE1EEEvSI_,"axG",@progbits,_ZN7rocprim17ROCPRIM_400000_NS6detail17trampoline_kernelINS0_14default_configENS1_37merge_sort_block_sort_config_selectorIN3c108BFloat16ElEEZNS1_21merge_sort_block_sortIS3_PS6_S9_N6thrust23THRUST_200600_302600_NS10device_ptrIlEESD_NSB_4lessIS6_EEEE10hipError_tT0_T1_T2_T3_mRjT4_P12ihipStream_tbNS1_7vsmem_tEEUlT_E_NS1_11comp_targetILNS1_3genE9ELNS1_11target_archE1100ELNS1_3gpuE3ELNS1_3repE0EEENS1_30default_config_static_selectorELNS0_4arch9wavefront6targetE1EEEvSI_,comdat
	.protected	_ZN7rocprim17ROCPRIM_400000_NS6detail17trampoline_kernelINS0_14default_configENS1_37merge_sort_block_sort_config_selectorIN3c108BFloat16ElEEZNS1_21merge_sort_block_sortIS3_PS6_S9_N6thrust23THRUST_200600_302600_NS10device_ptrIlEESD_NSB_4lessIS6_EEEE10hipError_tT0_T1_T2_T3_mRjT4_P12ihipStream_tbNS1_7vsmem_tEEUlT_E_NS1_11comp_targetILNS1_3genE9ELNS1_11target_archE1100ELNS1_3gpuE3ELNS1_3repE0EEENS1_30default_config_static_selectorELNS0_4arch9wavefront6targetE1EEEvSI_ ; -- Begin function _ZN7rocprim17ROCPRIM_400000_NS6detail17trampoline_kernelINS0_14default_configENS1_37merge_sort_block_sort_config_selectorIN3c108BFloat16ElEEZNS1_21merge_sort_block_sortIS3_PS6_S9_N6thrust23THRUST_200600_302600_NS10device_ptrIlEESD_NSB_4lessIS6_EEEE10hipError_tT0_T1_T2_T3_mRjT4_P12ihipStream_tbNS1_7vsmem_tEEUlT_E_NS1_11comp_targetILNS1_3genE9ELNS1_11target_archE1100ELNS1_3gpuE3ELNS1_3repE0EEENS1_30default_config_static_selectorELNS0_4arch9wavefront6targetE1EEEvSI_
	.globl	_ZN7rocprim17ROCPRIM_400000_NS6detail17trampoline_kernelINS0_14default_configENS1_37merge_sort_block_sort_config_selectorIN3c108BFloat16ElEEZNS1_21merge_sort_block_sortIS3_PS6_S9_N6thrust23THRUST_200600_302600_NS10device_ptrIlEESD_NSB_4lessIS6_EEEE10hipError_tT0_T1_T2_T3_mRjT4_P12ihipStream_tbNS1_7vsmem_tEEUlT_E_NS1_11comp_targetILNS1_3genE9ELNS1_11target_archE1100ELNS1_3gpuE3ELNS1_3repE0EEENS1_30default_config_static_selectorELNS0_4arch9wavefront6targetE1EEEvSI_
	.p2align	8
	.type	_ZN7rocprim17ROCPRIM_400000_NS6detail17trampoline_kernelINS0_14default_configENS1_37merge_sort_block_sort_config_selectorIN3c108BFloat16ElEEZNS1_21merge_sort_block_sortIS3_PS6_S9_N6thrust23THRUST_200600_302600_NS10device_ptrIlEESD_NSB_4lessIS6_EEEE10hipError_tT0_T1_T2_T3_mRjT4_P12ihipStream_tbNS1_7vsmem_tEEUlT_E_NS1_11comp_targetILNS1_3genE9ELNS1_11target_archE1100ELNS1_3gpuE3ELNS1_3repE0EEENS1_30default_config_static_selectorELNS0_4arch9wavefront6targetE1EEEvSI_,@function
_ZN7rocprim17ROCPRIM_400000_NS6detail17trampoline_kernelINS0_14default_configENS1_37merge_sort_block_sort_config_selectorIN3c108BFloat16ElEEZNS1_21merge_sort_block_sortIS3_PS6_S9_N6thrust23THRUST_200600_302600_NS10device_ptrIlEESD_NSB_4lessIS6_EEEE10hipError_tT0_T1_T2_T3_mRjT4_P12ihipStream_tbNS1_7vsmem_tEEUlT_E_NS1_11comp_targetILNS1_3genE9ELNS1_11target_archE1100ELNS1_3gpuE3ELNS1_3repE0EEENS1_30default_config_static_selectorELNS0_4arch9wavefront6targetE1EEEvSI_: ; @_ZN7rocprim17ROCPRIM_400000_NS6detail17trampoline_kernelINS0_14default_configENS1_37merge_sort_block_sort_config_selectorIN3c108BFloat16ElEEZNS1_21merge_sort_block_sortIS3_PS6_S9_N6thrust23THRUST_200600_302600_NS10device_ptrIlEESD_NSB_4lessIS6_EEEE10hipError_tT0_T1_T2_T3_mRjT4_P12ihipStream_tbNS1_7vsmem_tEEUlT_E_NS1_11comp_targetILNS1_3genE9ELNS1_11target_archE1100ELNS1_3gpuE3ELNS1_3repE0EEENS1_30default_config_static_selectorELNS0_4arch9wavefront6targetE1EEEvSI_
; %bb.0:
	.section	.rodata,"a",@progbits
	.p2align	6, 0x0
	.amdhsa_kernel _ZN7rocprim17ROCPRIM_400000_NS6detail17trampoline_kernelINS0_14default_configENS1_37merge_sort_block_sort_config_selectorIN3c108BFloat16ElEEZNS1_21merge_sort_block_sortIS3_PS6_S9_N6thrust23THRUST_200600_302600_NS10device_ptrIlEESD_NSB_4lessIS6_EEEE10hipError_tT0_T1_T2_T3_mRjT4_P12ihipStream_tbNS1_7vsmem_tEEUlT_E_NS1_11comp_targetILNS1_3genE9ELNS1_11target_archE1100ELNS1_3gpuE3ELNS1_3repE0EEENS1_30default_config_static_selectorELNS0_4arch9wavefront6targetE1EEEvSI_
		.amdhsa_group_segment_fixed_size 0
		.amdhsa_private_segment_fixed_size 0
		.amdhsa_kernarg_size 64
		.amdhsa_user_sgpr_count 6
		.amdhsa_user_sgpr_private_segment_buffer 1
		.amdhsa_user_sgpr_dispatch_ptr 0
		.amdhsa_user_sgpr_queue_ptr 0
		.amdhsa_user_sgpr_kernarg_segment_ptr 1
		.amdhsa_user_sgpr_dispatch_id 0
		.amdhsa_user_sgpr_flat_scratch_init 0
		.amdhsa_user_sgpr_kernarg_preload_length 0
		.amdhsa_user_sgpr_kernarg_preload_offset 0
		.amdhsa_user_sgpr_private_segment_size 0
		.amdhsa_uses_dynamic_stack 0
		.amdhsa_system_sgpr_private_segment_wavefront_offset 0
		.amdhsa_system_sgpr_workgroup_id_x 1
		.amdhsa_system_sgpr_workgroup_id_y 0
		.amdhsa_system_sgpr_workgroup_id_z 0
		.amdhsa_system_sgpr_workgroup_info 0
		.amdhsa_system_vgpr_workitem_id 0
		.amdhsa_next_free_vgpr 1
		.amdhsa_next_free_sgpr 0
		.amdhsa_accum_offset 4
		.amdhsa_reserve_vcc 0
		.amdhsa_reserve_flat_scratch 0
		.amdhsa_float_round_mode_32 0
		.amdhsa_float_round_mode_16_64 0
		.amdhsa_float_denorm_mode_32 3
		.amdhsa_float_denorm_mode_16_64 3
		.amdhsa_dx10_clamp 1
		.amdhsa_ieee_mode 1
		.amdhsa_fp16_overflow 0
		.amdhsa_tg_split 0
		.amdhsa_exception_fp_ieee_invalid_op 0
		.amdhsa_exception_fp_denorm_src 0
		.amdhsa_exception_fp_ieee_div_zero 0
		.amdhsa_exception_fp_ieee_overflow 0
		.amdhsa_exception_fp_ieee_underflow 0
		.amdhsa_exception_fp_ieee_inexact 0
		.amdhsa_exception_int_div_zero 0
	.end_amdhsa_kernel
	.section	.text._ZN7rocprim17ROCPRIM_400000_NS6detail17trampoline_kernelINS0_14default_configENS1_37merge_sort_block_sort_config_selectorIN3c108BFloat16ElEEZNS1_21merge_sort_block_sortIS3_PS6_S9_N6thrust23THRUST_200600_302600_NS10device_ptrIlEESD_NSB_4lessIS6_EEEE10hipError_tT0_T1_T2_T3_mRjT4_P12ihipStream_tbNS1_7vsmem_tEEUlT_E_NS1_11comp_targetILNS1_3genE9ELNS1_11target_archE1100ELNS1_3gpuE3ELNS1_3repE0EEENS1_30default_config_static_selectorELNS0_4arch9wavefront6targetE1EEEvSI_,"axG",@progbits,_ZN7rocprim17ROCPRIM_400000_NS6detail17trampoline_kernelINS0_14default_configENS1_37merge_sort_block_sort_config_selectorIN3c108BFloat16ElEEZNS1_21merge_sort_block_sortIS3_PS6_S9_N6thrust23THRUST_200600_302600_NS10device_ptrIlEESD_NSB_4lessIS6_EEEE10hipError_tT0_T1_T2_T3_mRjT4_P12ihipStream_tbNS1_7vsmem_tEEUlT_E_NS1_11comp_targetILNS1_3genE9ELNS1_11target_archE1100ELNS1_3gpuE3ELNS1_3repE0EEENS1_30default_config_static_selectorELNS0_4arch9wavefront6targetE1EEEvSI_,comdat
.Lfunc_end1977:
	.size	_ZN7rocprim17ROCPRIM_400000_NS6detail17trampoline_kernelINS0_14default_configENS1_37merge_sort_block_sort_config_selectorIN3c108BFloat16ElEEZNS1_21merge_sort_block_sortIS3_PS6_S9_N6thrust23THRUST_200600_302600_NS10device_ptrIlEESD_NSB_4lessIS6_EEEE10hipError_tT0_T1_T2_T3_mRjT4_P12ihipStream_tbNS1_7vsmem_tEEUlT_E_NS1_11comp_targetILNS1_3genE9ELNS1_11target_archE1100ELNS1_3gpuE3ELNS1_3repE0EEENS1_30default_config_static_selectorELNS0_4arch9wavefront6targetE1EEEvSI_, .Lfunc_end1977-_ZN7rocprim17ROCPRIM_400000_NS6detail17trampoline_kernelINS0_14default_configENS1_37merge_sort_block_sort_config_selectorIN3c108BFloat16ElEEZNS1_21merge_sort_block_sortIS3_PS6_S9_N6thrust23THRUST_200600_302600_NS10device_ptrIlEESD_NSB_4lessIS6_EEEE10hipError_tT0_T1_T2_T3_mRjT4_P12ihipStream_tbNS1_7vsmem_tEEUlT_E_NS1_11comp_targetILNS1_3genE9ELNS1_11target_archE1100ELNS1_3gpuE3ELNS1_3repE0EEENS1_30default_config_static_selectorELNS0_4arch9wavefront6targetE1EEEvSI_
                                        ; -- End function
	.section	.AMDGPU.csdata,"",@progbits
; Kernel info:
; codeLenInByte = 0
; NumSgprs: 4
; NumVgprs: 0
; NumAgprs: 0
; TotalNumVgprs: 0
; ScratchSize: 0
; MemoryBound: 0
; FloatMode: 240
; IeeeMode: 1
; LDSByteSize: 0 bytes/workgroup (compile time only)
; SGPRBlocks: 0
; VGPRBlocks: 0
; NumSGPRsForWavesPerEU: 4
; NumVGPRsForWavesPerEU: 1
; AccumOffset: 4
; Occupancy: 8
; WaveLimiterHint : 0
; COMPUTE_PGM_RSRC2:SCRATCH_EN: 0
; COMPUTE_PGM_RSRC2:USER_SGPR: 6
; COMPUTE_PGM_RSRC2:TRAP_HANDLER: 0
; COMPUTE_PGM_RSRC2:TGID_X_EN: 1
; COMPUTE_PGM_RSRC2:TGID_Y_EN: 0
; COMPUTE_PGM_RSRC2:TGID_Z_EN: 0
; COMPUTE_PGM_RSRC2:TIDIG_COMP_CNT: 0
; COMPUTE_PGM_RSRC3_GFX90A:ACCUM_OFFSET: 0
; COMPUTE_PGM_RSRC3_GFX90A:TG_SPLIT: 0
	.section	.text._ZN7rocprim17ROCPRIM_400000_NS6detail17trampoline_kernelINS0_14default_configENS1_37merge_sort_block_sort_config_selectorIN3c108BFloat16ElEEZNS1_21merge_sort_block_sortIS3_PS6_S9_N6thrust23THRUST_200600_302600_NS10device_ptrIlEESD_NSB_4lessIS6_EEEE10hipError_tT0_T1_T2_T3_mRjT4_P12ihipStream_tbNS1_7vsmem_tEEUlT_E_NS1_11comp_targetILNS1_3genE8ELNS1_11target_archE1030ELNS1_3gpuE2ELNS1_3repE0EEENS1_30default_config_static_selectorELNS0_4arch9wavefront6targetE1EEEvSI_,"axG",@progbits,_ZN7rocprim17ROCPRIM_400000_NS6detail17trampoline_kernelINS0_14default_configENS1_37merge_sort_block_sort_config_selectorIN3c108BFloat16ElEEZNS1_21merge_sort_block_sortIS3_PS6_S9_N6thrust23THRUST_200600_302600_NS10device_ptrIlEESD_NSB_4lessIS6_EEEE10hipError_tT0_T1_T2_T3_mRjT4_P12ihipStream_tbNS1_7vsmem_tEEUlT_E_NS1_11comp_targetILNS1_3genE8ELNS1_11target_archE1030ELNS1_3gpuE2ELNS1_3repE0EEENS1_30default_config_static_selectorELNS0_4arch9wavefront6targetE1EEEvSI_,comdat
	.protected	_ZN7rocprim17ROCPRIM_400000_NS6detail17trampoline_kernelINS0_14default_configENS1_37merge_sort_block_sort_config_selectorIN3c108BFloat16ElEEZNS1_21merge_sort_block_sortIS3_PS6_S9_N6thrust23THRUST_200600_302600_NS10device_ptrIlEESD_NSB_4lessIS6_EEEE10hipError_tT0_T1_T2_T3_mRjT4_P12ihipStream_tbNS1_7vsmem_tEEUlT_E_NS1_11comp_targetILNS1_3genE8ELNS1_11target_archE1030ELNS1_3gpuE2ELNS1_3repE0EEENS1_30default_config_static_selectorELNS0_4arch9wavefront6targetE1EEEvSI_ ; -- Begin function _ZN7rocprim17ROCPRIM_400000_NS6detail17trampoline_kernelINS0_14default_configENS1_37merge_sort_block_sort_config_selectorIN3c108BFloat16ElEEZNS1_21merge_sort_block_sortIS3_PS6_S9_N6thrust23THRUST_200600_302600_NS10device_ptrIlEESD_NSB_4lessIS6_EEEE10hipError_tT0_T1_T2_T3_mRjT4_P12ihipStream_tbNS1_7vsmem_tEEUlT_E_NS1_11comp_targetILNS1_3genE8ELNS1_11target_archE1030ELNS1_3gpuE2ELNS1_3repE0EEENS1_30default_config_static_selectorELNS0_4arch9wavefront6targetE1EEEvSI_
	.globl	_ZN7rocprim17ROCPRIM_400000_NS6detail17trampoline_kernelINS0_14default_configENS1_37merge_sort_block_sort_config_selectorIN3c108BFloat16ElEEZNS1_21merge_sort_block_sortIS3_PS6_S9_N6thrust23THRUST_200600_302600_NS10device_ptrIlEESD_NSB_4lessIS6_EEEE10hipError_tT0_T1_T2_T3_mRjT4_P12ihipStream_tbNS1_7vsmem_tEEUlT_E_NS1_11comp_targetILNS1_3genE8ELNS1_11target_archE1030ELNS1_3gpuE2ELNS1_3repE0EEENS1_30default_config_static_selectorELNS0_4arch9wavefront6targetE1EEEvSI_
	.p2align	8
	.type	_ZN7rocprim17ROCPRIM_400000_NS6detail17trampoline_kernelINS0_14default_configENS1_37merge_sort_block_sort_config_selectorIN3c108BFloat16ElEEZNS1_21merge_sort_block_sortIS3_PS6_S9_N6thrust23THRUST_200600_302600_NS10device_ptrIlEESD_NSB_4lessIS6_EEEE10hipError_tT0_T1_T2_T3_mRjT4_P12ihipStream_tbNS1_7vsmem_tEEUlT_E_NS1_11comp_targetILNS1_3genE8ELNS1_11target_archE1030ELNS1_3gpuE2ELNS1_3repE0EEENS1_30default_config_static_selectorELNS0_4arch9wavefront6targetE1EEEvSI_,@function
_ZN7rocprim17ROCPRIM_400000_NS6detail17trampoline_kernelINS0_14default_configENS1_37merge_sort_block_sort_config_selectorIN3c108BFloat16ElEEZNS1_21merge_sort_block_sortIS3_PS6_S9_N6thrust23THRUST_200600_302600_NS10device_ptrIlEESD_NSB_4lessIS6_EEEE10hipError_tT0_T1_T2_T3_mRjT4_P12ihipStream_tbNS1_7vsmem_tEEUlT_E_NS1_11comp_targetILNS1_3genE8ELNS1_11target_archE1030ELNS1_3gpuE2ELNS1_3repE0EEENS1_30default_config_static_selectorELNS0_4arch9wavefront6targetE1EEEvSI_: ; @_ZN7rocprim17ROCPRIM_400000_NS6detail17trampoline_kernelINS0_14default_configENS1_37merge_sort_block_sort_config_selectorIN3c108BFloat16ElEEZNS1_21merge_sort_block_sortIS3_PS6_S9_N6thrust23THRUST_200600_302600_NS10device_ptrIlEESD_NSB_4lessIS6_EEEE10hipError_tT0_T1_T2_T3_mRjT4_P12ihipStream_tbNS1_7vsmem_tEEUlT_E_NS1_11comp_targetILNS1_3genE8ELNS1_11target_archE1030ELNS1_3gpuE2ELNS1_3repE0EEENS1_30default_config_static_selectorELNS0_4arch9wavefront6targetE1EEEvSI_
; %bb.0:
	.section	.rodata,"a",@progbits
	.p2align	6, 0x0
	.amdhsa_kernel _ZN7rocprim17ROCPRIM_400000_NS6detail17trampoline_kernelINS0_14default_configENS1_37merge_sort_block_sort_config_selectorIN3c108BFloat16ElEEZNS1_21merge_sort_block_sortIS3_PS6_S9_N6thrust23THRUST_200600_302600_NS10device_ptrIlEESD_NSB_4lessIS6_EEEE10hipError_tT0_T1_T2_T3_mRjT4_P12ihipStream_tbNS1_7vsmem_tEEUlT_E_NS1_11comp_targetILNS1_3genE8ELNS1_11target_archE1030ELNS1_3gpuE2ELNS1_3repE0EEENS1_30default_config_static_selectorELNS0_4arch9wavefront6targetE1EEEvSI_
		.amdhsa_group_segment_fixed_size 0
		.amdhsa_private_segment_fixed_size 0
		.amdhsa_kernarg_size 64
		.amdhsa_user_sgpr_count 6
		.amdhsa_user_sgpr_private_segment_buffer 1
		.amdhsa_user_sgpr_dispatch_ptr 0
		.amdhsa_user_sgpr_queue_ptr 0
		.amdhsa_user_sgpr_kernarg_segment_ptr 1
		.amdhsa_user_sgpr_dispatch_id 0
		.amdhsa_user_sgpr_flat_scratch_init 0
		.amdhsa_user_sgpr_kernarg_preload_length 0
		.amdhsa_user_sgpr_kernarg_preload_offset 0
		.amdhsa_user_sgpr_private_segment_size 0
		.amdhsa_uses_dynamic_stack 0
		.amdhsa_system_sgpr_private_segment_wavefront_offset 0
		.amdhsa_system_sgpr_workgroup_id_x 1
		.amdhsa_system_sgpr_workgroup_id_y 0
		.amdhsa_system_sgpr_workgroup_id_z 0
		.amdhsa_system_sgpr_workgroup_info 0
		.amdhsa_system_vgpr_workitem_id 0
		.amdhsa_next_free_vgpr 1
		.amdhsa_next_free_sgpr 0
		.amdhsa_accum_offset 4
		.amdhsa_reserve_vcc 0
		.amdhsa_reserve_flat_scratch 0
		.amdhsa_float_round_mode_32 0
		.amdhsa_float_round_mode_16_64 0
		.amdhsa_float_denorm_mode_32 3
		.amdhsa_float_denorm_mode_16_64 3
		.amdhsa_dx10_clamp 1
		.amdhsa_ieee_mode 1
		.amdhsa_fp16_overflow 0
		.amdhsa_tg_split 0
		.amdhsa_exception_fp_ieee_invalid_op 0
		.amdhsa_exception_fp_denorm_src 0
		.amdhsa_exception_fp_ieee_div_zero 0
		.amdhsa_exception_fp_ieee_overflow 0
		.amdhsa_exception_fp_ieee_underflow 0
		.amdhsa_exception_fp_ieee_inexact 0
		.amdhsa_exception_int_div_zero 0
	.end_amdhsa_kernel
	.section	.text._ZN7rocprim17ROCPRIM_400000_NS6detail17trampoline_kernelINS0_14default_configENS1_37merge_sort_block_sort_config_selectorIN3c108BFloat16ElEEZNS1_21merge_sort_block_sortIS3_PS6_S9_N6thrust23THRUST_200600_302600_NS10device_ptrIlEESD_NSB_4lessIS6_EEEE10hipError_tT0_T1_T2_T3_mRjT4_P12ihipStream_tbNS1_7vsmem_tEEUlT_E_NS1_11comp_targetILNS1_3genE8ELNS1_11target_archE1030ELNS1_3gpuE2ELNS1_3repE0EEENS1_30default_config_static_selectorELNS0_4arch9wavefront6targetE1EEEvSI_,"axG",@progbits,_ZN7rocprim17ROCPRIM_400000_NS6detail17trampoline_kernelINS0_14default_configENS1_37merge_sort_block_sort_config_selectorIN3c108BFloat16ElEEZNS1_21merge_sort_block_sortIS3_PS6_S9_N6thrust23THRUST_200600_302600_NS10device_ptrIlEESD_NSB_4lessIS6_EEEE10hipError_tT0_T1_T2_T3_mRjT4_P12ihipStream_tbNS1_7vsmem_tEEUlT_E_NS1_11comp_targetILNS1_3genE8ELNS1_11target_archE1030ELNS1_3gpuE2ELNS1_3repE0EEENS1_30default_config_static_selectorELNS0_4arch9wavefront6targetE1EEEvSI_,comdat
.Lfunc_end1978:
	.size	_ZN7rocprim17ROCPRIM_400000_NS6detail17trampoline_kernelINS0_14default_configENS1_37merge_sort_block_sort_config_selectorIN3c108BFloat16ElEEZNS1_21merge_sort_block_sortIS3_PS6_S9_N6thrust23THRUST_200600_302600_NS10device_ptrIlEESD_NSB_4lessIS6_EEEE10hipError_tT0_T1_T2_T3_mRjT4_P12ihipStream_tbNS1_7vsmem_tEEUlT_E_NS1_11comp_targetILNS1_3genE8ELNS1_11target_archE1030ELNS1_3gpuE2ELNS1_3repE0EEENS1_30default_config_static_selectorELNS0_4arch9wavefront6targetE1EEEvSI_, .Lfunc_end1978-_ZN7rocprim17ROCPRIM_400000_NS6detail17trampoline_kernelINS0_14default_configENS1_37merge_sort_block_sort_config_selectorIN3c108BFloat16ElEEZNS1_21merge_sort_block_sortIS3_PS6_S9_N6thrust23THRUST_200600_302600_NS10device_ptrIlEESD_NSB_4lessIS6_EEEE10hipError_tT0_T1_T2_T3_mRjT4_P12ihipStream_tbNS1_7vsmem_tEEUlT_E_NS1_11comp_targetILNS1_3genE8ELNS1_11target_archE1030ELNS1_3gpuE2ELNS1_3repE0EEENS1_30default_config_static_selectorELNS0_4arch9wavefront6targetE1EEEvSI_
                                        ; -- End function
	.section	.AMDGPU.csdata,"",@progbits
; Kernel info:
; codeLenInByte = 0
; NumSgprs: 4
; NumVgprs: 0
; NumAgprs: 0
; TotalNumVgprs: 0
; ScratchSize: 0
; MemoryBound: 0
; FloatMode: 240
; IeeeMode: 1
; LDSByteSize: 0 bytes/workgroup (compile time only)
; SGPRBlocks: 0
; VGPRBlocks: 0
; NumSGPRsForWavesPerEU: 4
; NumVGPRsForWavesPerEU: 1
; AccumOffset: 4
; Occupancy: 8
; WaveLimiterHint : 0
; COMPUTE_PGM_RSRC2:SCRATCH_EN: 0
; COMPUTE_PGM_RSRC2:USER_SGPR: 6
; COMPUTE_PGM_RSRC2:TRAP_HANDLER: 0
; COMPUTE_PGM_RSRC2:TGID_X_EN: 1
; COMPUTE_PGM_RSRC2:TGID_Y_EN: 0
; COMPUTE_PGM_RSRC2:TGID_Z_EN: 0
; COMPUTE_PGM_RSRC2:TIDIG_COMP_CNT: 0
; COMPUTE_PGM_RSRC3_GFX90A:ACCUM_OFFSET: 0
; COMPUTE_PGM_RSRC3_GFX90A:TG_SPLIT: 0
	.section	.text._ZN7rocprim17ROCPRIM_400000_NS6detail17trampoline_kernelINS0_14default_configENS1_38merge_sort_block_merge_config_selectorIN3c108BFloat16ElEEZZNS1_27merge_sort_block_merge_implIS3_PS6_N6thrust23THRUST_200600_302600_NS10device_ptrIlEEmNSB_4lessIS6_EEEE10hipError_tT0_T1_T2_jT3_P12ihipStream_tbPNSt15iterator_traitsISH_E10value_typeEPNSN_ISI_E10value_typeEPSJ_NS1_7vsmem_tEENKUlT_SH_SI_SJ_E_clIS9_S9_PlSD_EESG_SW_SH_SI_SJ_EUlSW_E_NS1_11comp_targetILNS1_3genE0ELNS1_11target_archE4294967295ELNS1_3gpuE0ELNS1_3repE0EEENS1_48merge_mergepath_partition_config_static_selectorELNS0_4arch9wavefront6targetE1EEEvSI_,"axG",@progbits,_ZN7rocprim17ROCPRIM_400000_NS6detail17trampoline_kernelINS0_14default_configENS1_38merge_sort_block_merge_config_selectorIN3c108BFloat16ElEEZZNS1_27merge_sort_block_merge_implIS3_PS6_N6thrust23THRUST_200600_302600_NS10device_ptrIlEEmNSB_4lessIS6_EEEE10hipError_tT0_T1_T2_jT3_P12ihipStream_tbPNSt15iterator_traitsISH_E10value_typeEPNSN_ISI_E10value_typeEPSJ_NS1_7vsmem_tEENKUlT_SH_SI_SJ_E_clIS9_S9_PlSD_EESG_SW_SH_SI_SJ_EUlSW_E_NS1_11comp_targetILNS1_3genE0ELNS1_11target_archE4294967295ELNS1_3gpuE0ELNS1_3repE0EEENS1_48merge_mergepath_partition_config_static_selectorELNS0_4arch9wavefront6targetE1EEEvSI_,comdat
	.protected	_ZN7rocprim17ROCPRIM_400000_NS6detail17trampoline_kernelINS0_14default_configENS1_38merge_sort_block_merge_config_selectorIN3c108BFloat16ElEEZZNS1_27merge_sort_block_merge_implIS3_PS6_N6thrust23THRUST_200600_302600_NS10device_ptrIlEEmNSB_4lessIS6_EEEE10hipError_tT0_T1_T2_jT3_P12ihipStream_tbPNSt15iterator_traitsISH_E10value_typeEPNSN_ISI_E10value_typeEPSJ_NS1_7vsmem_tEENKUlT_SH_SI_SJ_E_clIS9_S9_PlSD_EESG_SW_SH_SI_SJ_EUlSW_E_NS1_11comp_targetILNS1_3genE0ELNS1_11target_archE4294967295ELNS1_3gpuE0ELNS1_3repE0EEENS1_48merge_mergepath_partition_config_static_selectorELNS0_4arch9wavefront6targetE1EEEvSI_ ; -- Begin function _ZN7rocprim17ROCPRIM_400000_NS6detail17trampoline_kernelINS0_14default_configENS1_38merge_sort_block_merge_config_selectorIN3c108BFloat16ElEEZZNS1_27merge_sort_block_merge_implIS3_PS6_N6thrust23THRUST_200600_302600_NS10device_ptrIlEEmNSB_4lessIS6_EEEE10hipError_tT0_T1_T2_jT3_P12ihipStream_tbPNSt15iterator_traitsISH_E10value_typeEPNSN_ISI_E10value_typeEPSJ_NS1_7vsmem_tEENKUlT_SH_SI_SJ_E_clIS9_S9_PlSD_EESG_SW_SH_SI_SJ_EUlSW_E_NS1_11comp_targetILNS1_3genE0ELNS1_11target_archE4294967295ELNS1_3gpuE0ELNS1_3repE0EEENS1_48merge_mergepath_partition_config_static_selectorELNS0_4arch9wavefront6targetE1EEEvSI_
	.globl	_ZN7rocprim17ROCPRIM_400000_NS6detail17trampoline_kernelINS0_14default_configENS1_38merge_sort_block_merge_config_selectorIN3c108BFloat16ElEEZZNS1_27merge_sort_block_merge_implIS3_PS6_N6thrust23THRUST_200600_302600_NS10device_ptrIlEEmNSB_4lessIS6_EEEE10hipError_tT0_T1_T2_jT3_P12ihipStream_tbPNSt15iterator_traitsISH_E10value_typeEPNSN_ISI_E10value_typeEPSJ_NS1_7vsmem_tEENKUlT_SH_SI_SJ_E_clIS9_S9_PlSD_EESG_SW_SH_SI_SJ_EUlSW_E_NS1_11comp_targetILNS1_3genE0ELNS1_11target_archE4294967295ELNS1_3gpuE0ELNS1_3repE0EEENS1_48merge_mergepath_partition_config_static_selectorELNS0_4arch9wavefront6targetE1EEEvSI_
	.p2align	8
	.type	_ZN7rocprim17ROCPRIM_400000_NS6detail17trampoline_kernelINS0_14default_configENS1_38merge_sort_block_merge_config_selectorIN3c108BFloat16ElEEZZNS1_27merge_sort_block_merge_implIS3_PS6_N6thrust23THRUST_200600_302600_NS10device_ptrIlEEmNSB_4lessIS6_EEEE10hipError_tT0_T1_T2_jT3_P12ihipStream_tbPNSt15iterator_traitsISH_E10value_typeEPNSN_ISI_E10value_typeEPSJ_NS1_7vsmem_tEENKUlT_SH_SI_SJ_E_clIS9_S9_PlSD_EESG_SW_SH_SI_SJ_EUlSW_E_NS1_11comp_targetILNS1_3genE0ELNS1_11target_archE4294967295ELNS1_3gpuE0ELNS1_3repE0EEENS1_48merge_mergepath_partition_config_static_selectorELNS0_4arch9wavefront6targetE1EEEvSI_,@function
_ZN7rocprim17ROCPRIM_400000_NS6detail17trampoline_kernelINS0_14default_configENS1_38merge_sort_block_merge_config_selectorIN3c108BFloat16ElEEZZNS1_27merge_sort_block_merge_implIS3_PS6_N6thrust23THRUST_200600_302600_NS10device_ptrIlEEmNSB_4lessIS6_EEEE10hipError_tT0_T1_T2_jT3_P12ihipStream_tbPNSt15iterator_traitsISH_E10value_typeEPNSN_ISI_E10value_typeEPSJ_NS1_7vsmem_tEENKUlT_SH_SI_SJ_E_clIS9_S9_PlSD_EESG_SW_SH_SI_SJ_EUlSW_E_NS1_11comp_targetILNS1_3genE0ELNS1_11target_archE4294967295ELNS1_3gpuE0ELNS1_3repE0EEENS1_48merge_mergepath_partition_config_static_selectorELNS0_4arch9wavefront6targetE1EEEvSI_: ; @_ZN7rocprim17ROCPRIM_400000_NS6detail17trampoline_kernelINS0_14default_configENS1_38merge_sort_block_merge_config_selectorIN3c108BFloat16ElEEZZNS1_27merge_sort_block_merge_implIS3_PS6_N6thrust23THRUST_200600_302600_NS10device_ptrIlEEmNSB_4lessIS6_EEEE10hipError_tT0_T1_T2_jT3_P12ihipStream_tbPNSt15iterator_traitsISH_E10value_typeEPNSN_ISI_E10value_typeEPSJ_NS1_7vsmem_tEENKUlT_SH_SI_SJ_E_clIS9_S9_PlSD_EESG_SW_SH_SI_SJ_EUlSW_E_NS1_11comp_targetILNS1_3genE0ELNS1_11target_archE4294967295ELNS1_3gpuE0ELNS1_3repE0EEENS1_48merge_mergepath_partition_config_static_selectorELNS0_4arch9wavefront6targetE1EEEvSI_
; %bb.0:
	.section	.rodata,"a",@progbits
	.p2align	6, 0x0
	.amdhsa_kernel _ZN7rocprim17ROCPRIM_400000_NS6detail17trampoline_kernelINS0_14default_configENS1_38merge_sort_block_merge_config_selectorIN3c108BFloat16ElEEZZNS1_27merge_sort_block_merge_implIS3_PS6_N6thrust23THRUST_200600_302600_NS10device_ptrIlEEmNSB_4lessIS6_EEEE10hipError_tT0_T1_T2_jT3_P12ihipStream_tbPNSt15iterator_traitsISH_E10value_typeEPNSN_ISI_E10value_typeEPSJ_NS1_7vsmem_tEENKUlT_SH_SI_SJ_E_clIS9_S9_PlSD_EESG_SW_SH_SI_SJ_EUlSW_E_NS1_11comp_targetILNS1_3genE0ELNS1_11target_archE4294967295ELNS1_3gpuE0ELNS1_3repE0EEENS1_48merge_mergepath_partition_config_static_selectorELNS0_4arch9wavefront6targetE1EEEvSI_
		.amdhsa_group_segment_fixed_size 0
		.amdhsa_private_segment_fixed_size 0
		.amdhsa_kernarg_size 48
		.amdhsa_user_sgpr_count 6
		.amdhsa_user_sgpr_private_segment_buffer 1
		.amdhsa_user_sgpr_dispatch_ptr 0
		.amdhsa_user_sgpr_queue_ptr 0
		.amdhsa_user_sgpr_kernarg_segment_ptr 1
		.amdhsa_user_sgpr_dispatch_id 0
		.amdhsa_user_sgpr_flat_scratch_init 0
		.amdhsa_user_sgpr_kernarg_preload_length 0
		.amdhsa_user_sgpr_kernarg_preload_offset 0
		.amdhsa_user_sgpr_private_segment_size 0
		.amdhsa_uses_dynamic_stack 0
		.amdhsa_system_sgpr_private_segment_wavefront_offset 0
		.amdhsa_system_sgpr_workgroup_id_x 1
		.amdhsa_system_sgpr_workgroup_id_y 0
		.amdhsa_system_sgpr_workgroup_id_z 0
		.amdhsa_system_sgpr_workgroup_info 0
		.amdhsa_system_vgpr_workitem_id 0
		.amdhsa_next_free_vgpr 1
		.amdhsa_next_free_sgpr 0
		.amdhsa_accum_offset 4
		.amdhsa_reserve_vcc 0
		.amdhsa_reserve_flat_scratch 0
		.amdhsa_float_round_mode_32 0
		.amdhsa_float_round_mode_16_64 0
		.amdhsa_float_denorm_mode_32 3
		.amdhsa_float_denorm_mode_16_64 3
		.amdhsa_dx10_clamp 1
		.amdhsa_ieee_mode 1
		.amdhsa_fp16_overflow 0
		.amdhsa_tg_split 0
		.amdhsa_exception_fp_ieee_invalid_op 0
		.amdhsa_exception_fp_denorm_src 0
		.amdhsa_exception_fp_ieee_div_zero 0
		.amdhsa_exception_fp_ieee_overflow 0
		.amdhsa_exception_fp_ieee_underflow 0
		.amdhsa_exception_fp_ieee_inexact 0
		.amdhsa_exception_int_div_zero 0
	.end_amdhsa_kernel
	.section	.text._ZN7rocprim17ROCPRIM_400000_NS6detail17trampoline_kernelINS0_14default_configENS1_38merge_sort_block_merge_config_selectorIN3c108BFloat16ElEEZZNS1_27merge_sort_block_merge_implIS3_PS6_N6thrust23THRUST_200600_302600_NS10device_ptrIlEEmNSB_4lessIS6_EEEE10hipError_tT0_T1_T2_jT3_P12ihipStream_tbPNSt15iterator_traitsISH_E10value_typeEPNSN_ISI_E10value_typeEPSJ_NS1_7vsmem_tEENKUlT_SH_SI_SJ_E_clIS9_S9_PlSD_EESG_SW_SH_SI_SJ_EUlSW_E_NS1_11comp_targetILNS1_3genE0ELNS1_11target_archE4294967295ELNS1_3gpuE0ELNS1_3repE0EEENS1_48merge_mergepath_partition_config_static_selectorELNS0_4arch9wavefront6targetE1EEEvSI_,"axG",@progbits,_ZN7rocprim17ROCPRIM_400000_NS6detail17trampoline_kernelINS0_14default_configENS1_38merge_sort_block_merge_config_selectorIN3c108BFloat16ElEEZZNS1_27merge_sort_block_merge_implIS3_PS6_N6thrust23THRUST_200600_302600_NS10device_ptrIlEEmNSB_4lessIS6_EEEE10hipError_tT0_T1_T2_jT3_P12ihipStream_tbPNSt15iterator_traitsISH_E10value_typeEPNSN_ISI_E10value_typeEPSJ_NS1_7vsmem_tEENKUlT_SH_SI_SJ_E_clIS9_S9_PlSD_EESG_SW_SH_SI_SJ_EUlSW_E_NS1_11comp_targetILNS1_3genE0ELNS1_11target_archE4294967295ELNS1_3gpuE0ELNS1_3repE0EEENS1_48merge_mergepath_partition_config_static_selectorELNS0_4arch9wavefront6targetE1EEEvSI_,comdat
.Lfunc_end1979:
	.size	_ZN7rocprim17ROCPRIM_400000_NS6detail17trampoline_kernelINS0_14default_configENS1_38merge_sort_block_merge_config_selectorIN3c108BFloat16ElEEZZNS1_27merge_sort_block_merge_implIS3_PS6_N6thrust23THRUST_200600_302600_NS10device_ptrIlEEmNSB_4lessIS6_EEEE10hipError_tT0_T1_T2_jT3_P12ihipStream_tbPNSt15iterator_traitsISH_E10value_typeEPNSN_ISI_E10value_typeEPSJ_NS1_7vsmem_tEENKUlT_SH_SI_SJ_E_clIS9_S9_PlSD_EESG_SW_SH_SI_SJ_EUlSW_E_NS1_11comp_targetILNS1_3genE0ELNS1_11target_archE4294967295ELNS1_3gpuE0ELNS1_3repE0EEENS1_48merge_mergepath_partition_config_static_selectorELNS0_4arch9wavefront6targetE1EEEvSI_, .Lfunc_end1979-_ZN7rocprim17ROCPRIM_400000_NS6detail17trampoline_kernelINS0_14default_configENS1_38merge_sort_block_merge_config_selectorIN3c108BFloat16ElEEZZNS1_27merge_sort_block_merge_implIS3_PS6_N6thrust23THRUST_200600_302600_NS10device_ptrIlEEmNSB_4lessIS6_EEEE10hipError_tT0_T1_T2_jT3_P12ihipStream_tbPNSt15iterator_traitsISH_E10value_typeEPNSN_ISI_E10value_typeEPSJ_NS1_7vsmem_tEENKUlT_SH_SI_SJ_E_clIS9_S9_PlSD_EESG_SW_SH_SI_SJ_EUlSW_E_NS1_11comp_targetILNS1_3genE0ELNS1_11target_archE4294967295ELNS1_3gpuE0ELNS1_3repE0EEENS1_48merge_mergepath_partition_config_static_selectorELNS0_4arch9wavefront6targetE1EEEvSI_
                                        ; -- End function
	.section	.AMDGPU.csdata,"",@progbits
; Kernel info:
; codeLenInByte = 0
; NumSgprs: 4
; NumVgprs: 0
; NumAgprs: 0
; TotalNumVgprs: 0
; ScratchSize: 0
; MemoryBound: 0
; FloatMode: 240
; IeeeMode: 1
; LDSByteSize: 0 bytes/workgroup (compile time only)
; SGPRBlocks: 0
; VGPRBlocks: 0
; NumSGPRsForWavesPerEU: 4
; NumVGPRsForWavesPerEU: 1
; AccumOffset: 4
; Occupancy: 8
; WaveLimiterHint : 0
; COMPUTE_PGM_RSRC2:SCRATCH_EN: 0
; COMPUTE_PGM_RSRC2:USER_SGPR: 6
; COMPUTE_PGM_RSRC2:TRAP_HANDLER: 0
; COMPUTE_PGM_RSRC2:TGID_X_EN: 1
; COMPUTE_PGM_RSRC2:TGID_Y_EN: 0
; COMPUTE_PGM_RSRC2:TGID_Z_EN: 0
; COMPUTE_PGM_RSRC2:TIDIG_COMP_CNT: 0
; COMPUTE_PGM_RSRC3_GFX90A:ACCUM_OFFSET: 0
; COMPUTE_PGM_RSRC3_GFX90A:TG_SPLIT: 0
	.section	.text._ZN7rocprim17ROCPRIM_400000_NS6detail17trampoline_kernelINS0_14default_configENS1_38merge_sort_block_merge_config_selectorIN3c108BFloat16ElEEZZNS1_27merge_sort_block_merge_implIS3_PS6_N6thrust23THRUST_200600_302600_NS10device_ptrIlEEmNSB_4lessIS6_EEEE10hipError_tT0_T1_T2_jT3_P12ihipStream_tbPNSt15iterator_traitsISH_E10value_typeEPNSN_ISI_E10value_typeEPSJ_NS1_7vsmem_tEENKUlT_SH_SI_SJ_E_clIS9_S9_PlSD_EESG_SW_SH_SI_SJ_EUlSW_E_NS1_11comp_targetILNS1_3genE10ELNS1_11target_archE1201ELNS1_3gpuE5ELNS1_3repE0EEENS1_48merge_mergepath_partition_config_static_selectorELNS0_4arch9wavefront6targetE1EEEvSI_,"axG",@progbits,_ZN7rocprim17ROCPRIM_400000_NS6detail17trampoline_kernelINS0_14default_configENS1_38merge_sort_block_merge_config_selectorIN3c108BFloat16ElEEZZNS1_27merge_sort_block_merge_implIS3_PS6_N6thrust23THRUST_200600_302600_NS10device_ptrIlEEmNSB_4lessIS6_EEEE10hipError_tT0_T1_T2_jT3_P12ihipStream_tbPNSt15iterator_traitsISH_E10value_typeEPNSN_ISI_E10value_typeEPSJ_NS1_7vsmem_tEENKUlT_SH_SI_SJ_E_clIS9_S9_PlSD_EESG_SW_SH_SI_SJ_EUlSW_E_NS1_11comp_targetILNS1_3genE10ELNS1_11target_archE1201ELNS1_3gpuE5ELNS1_3repE0EEENS1_48merge_mergepath_partition_config_static_selectorELNS0_4arch9wavefront6targetE1EEEvSI_,comdat
	.protected	_ZN7rocprim17ROCPRIM_400000_NS6detail17trampoline_kernelINS0_14default_configENS1_38merge_sort_block_merge_config_selectorIN3c108BFloat16ElEEZZNS1_27merge_sort_block_merge_implIS3_PS6_N6thrust23THRUST_200600_302600_NS10device_ptrIlEEmNSB_4lessIS6_EEEE10hipError_tT0_T1_T2_jT3_P12ihipStream_tbPNSt15iterator_traitsISH_E10value_typeEPNSN_ISI_E10value_typeEPSJ_NS1_7vsmem_tEENKUlT_SH_SI_SJ_E_clIS9_S9_PlSD_EESG_SW_SH_SI_SJ_EUlSW_E_NS1_11comp_targetILNS1_3genE10ELNS1_11target_archE1201ELNS1_3gpuE5ELNS1_3repE0EEENS1_48merge_mergepath_partition_config_static_selectorELNS0_4arch9wavefront6targetE1EEEvSI_ ; -- Begin function _ZN7rocprim17ROCPRIM_400000_NS6detail17trampoline_kernelINS0_14default_configENS1_38merge_sort_block_merge_config_selectorIN3c108BFloat16ElEEZZNS1_27merge_sort_block_merge_implIS3_PS6_N6thrust23THRUST_200600_302600_NS10device_ptrIlEEmNSB_4lessIS6_EEEE10hipError_tT0_T1_T2_jT3_P12ihipStream_tbPNSt15iterator_traitsISH_E10value_typeEPNSN_ISI_E10value_typeEPSJ_NS1_7vsmem_tEENKUlT_SH_SI_SJ_E_clIS9_S9_PlSD_EESG_SW_SH_SI_SJ_EUlSW_E_NS1_11comp_targetILNS1_3genE10ELNS1_11target_archE1201ELNS1_3gpuE5ELNS1_3repE0EEENS1_48merge_mergepath_partition_config_static_selectorELNS0_4arch9wavefront6targetE1EEEvSI_
	.globl	_ZN7rocprim17ROCPRIM_400000_NS6detail17trampoline_kernelINS0_14default_configENS1_38merge_sort_block_merge_config_selectorIN3c108BFloat16ElEEZZNS1_27merge_sort_block_merge_implIS3_PS6_N6thrust23THRUST_200600_302600_NS10device_ptrIlEEmNSB_4lessIS6_EEEE10hipError_tT0_T1_T2_jT3_P12ihipStream_tbPNSt15iterator_traitsISH_E10value_typeEPNSN_ISI_E10value_typeEPSJ_NS1_7vsmem_tEENKUlT_SH_SI_SJ_E_clIS9_S9_PlSD_EESG_SW_SH_SI_SJ_EUlSW_E_NS1_11comp_targetILNS1_3genE10ELNS1_11target_archE1201ELNS1_3gpuE5ELNS1_3repE0EEENS1_48merge_mergepath_partition_config_static_selectorELNS0_4arch9wavefront6targetE1EEEvSI_
	.p2align	8
	.type	_ZN7rocprim17ROCPRIM_400000_NS6detail17trampoline_kernelINS0_14default_configENS1_38merge_sort_block_merge_config_selectorIN3c108BFloat16ElEEZZNS1_27merge_sort_block_merge_implIS3_PS6_N6thrust23THRUST_200600_302600_NS10device_ptrIlEEmNSB_4lessIS6_EEEE10hipError_tT0_T1_T2_jT3_P12ihipStream_tbPNSt15iterator_traitsISH_E10value_typeEPNSN_ISI_E10value_typeEPSJ_NS1_7vsmem_tEENKUlT_SH_SI_SJ_E_clIS9_S9_PlSD_EESG_SW_SH_SI_SJ_EUlSW_E_NS1_11comp_targetILNS1_3genE10ELNS1_11target_archE1201ELNS1_3gpuE5ELNS1_3repE0EEENS1_48merge_mergepath_partition_config_static_selectorELNS0_4arch9wavefront6targetE1EEEvSI_,@function
_ZN7rocprim17ROCPRIM_400000_NS6detail17trampoline_kernelINS0_14default_configENS1_38merge_sort_block_merge_config_selectorIN3c108BFloat16ElEEZZNS1_27merge_sort_block_merge_implIS3_PS6_N6thrust23THRUST_200600_302600_NS10device_ptrIlEEmNSB_4lessIS6_EEEE10hipError_tT0_T1_T2_jT3_P12ihipStream_tbPNSt15iterator_traitsISH_E10value_typeEPNSN_ISI_E10value_typeEPSJ_NS1_7vsmem_tEENKUlT_SH_SI_SJ_E_clIS9_S9_PlSD_EESG_SW_SH_SI_SJ_EUlSW_E_NS1_11comp_targetILNS1_3genE10ELNS1_11target_archE1201ELNS1_3gpuE5ELNS1_3repE0EEENS1_48merge_mergepath_partition_config_static_selectorELNS0_4arch9wavefront6targetE1EEEvSI_: ; @_ZN7rocprim17ROCPRIM_400000_NS6detail17trampoline_kernelINS0_14default_configENS1_38merge_sort_block_merge_config_selectorIN3c108BFloat16ElEEZZNS1_27merge_sort_block_merge_implIS3_PS6_N6thrust23THRUST_200600_302600_NS10device_ptrIlEEmNSB_4lessIS6_EEEE10hipError_tT0_T1_T2_jT3_P12ihipStream_tbPNSt15iterator_traitsISH_E10value_typeEPNSN_ISI_E10value_typeEPSJ_NS1_7vsmem_tEENKUlT_SH_SI_SJ_E_clIS9_S9_PlSD_EESG_SW_SH_SI_SJ_EUlSW_E_NS1_11comp_targetILNS1_3genE10ELNS1_11target_archE1201ELNS1_3gpuE5ELNS1_3repE0EEENS1_48merge_mergepath_partition_config_static_selectorELNS0_4arch9wavefront6targetE1EEEvSI_
; %bb.0:
	.section	.rodata,"a",@progbits
	.p2align	6, 0x0
	.amdhsa_kernel _ZN7rocprim17ROCPRIM_400000_NS6detail17trampoline_kernelINS0_14default_configENS1_38merge_sort_block_merge_config_selectorIN3c108BFloat16ElEEZZNS1_27merge_sort_block_merge_implIS3_PS6_N6thrust23THRUST_200600_302600_NS10device_ptrIlEEmNSB_4lessIS6_EEEE10hipError_tT0_T1_T2_jT3_P12ihipStream_tbPNSt15iterator_traitsISH_E10value_typeEPNSN_ISI_E10value_typeEPSJ_NS1_7vsmem_tEENKUlT_SH_SI_SJ_E_clIS9_S9_PlSD_EESG_SW_SH_SI_SJ_EUlSW_E_NS1_11comp_targetILNS1_3genE10ELNS1_11target_archE1201ELNS1_3gpuE5ELNS1_3repE0EEENS1_48merge_mergepath_partition_config_static_selectorELNS0_4arch9wavefront6targetE1EEEvSI_
		.amdhsa_group_segment_fixed_size 0
		.amdhsa_private_segment_fixed_size 0
		.amdhsa_kernarg_size 48
		.amdhsa_user_sgpr_count 6
		.amdhsa_user_sgpr_private_segment_buffer 1
		.amdhsa_user_sgpr_dispatch_ptr 0
		.amdhsa_user_sgpr_queue_ptr 0
		.amdhsa_user_sgpr_kernarg_segment_ptr 1
		.amdhsa_user_sgpr_dispatch_id 0
		.amdhsa_user_sgpr_flat_scratch_init 0
		.amdhsa_user_sgpr_kernarg_preload_length 0
		.amdhsa_user_sgpr_kernarg_preload_offset 0
		.amdhsa_user_sgpr_private_segment_size 0
		.amdhsa_uses_dynamic_stack 0
		.amdhsa_system_sgpr_private_segment_wavefront_offset 0
		.amdhsa_system_sgpr_workgroup_id_x 1
		.amdhsa_system_sgpr_workgroup_id_y 0
		.amdhsa_system_sgpr_workgroup_id_z 0
		.amdhsa_system_sgpr_workgroup_info 0
		.amdhsa_system_vgpr_workitem_id 0
		.amdhsa_next_free_vgpr 1
		.amdhsa_next_free_sgpr 0
		.amdhsa_accum_offset 4
		.amdhsa_reserve_vcc 0
		.amdhsa_reserve_flat_scratch 0
		.amdhsa_float_round_mode_32 0
		.amdhsa_float_round_mode_16_64 0
		.amdhsa_float_denorm_mode_32 3
		.amdhsa_float_denorm_mode_16_64 3
		.amdhsa_dx10_clamp 1
		.amdhsa_ieee_mode 1
		.amdhsa_fp16_overflow 0
		.amdhsa_tg_split 0
		.amdhsa_exception_fp_ieee_invalid_op 0
		.amdhsa_exception_fp_denorm_src 0
		.amdhsa_exception_fp_ieee_div_zero 0
		.amdhsa_exception_fp_ieee_overflow 0
		.amdhsa_exception_fp_ieee_underflow 0
		.amdhsa_exception_fp_ieee_inexact 0
		.amdhsa_exception_int_div_zero 0
	.end_amdhsa_kernel
	.section	.text._ZN7rocprim17ROCPRIM_400000_NS6detail17trampoline_kernelINS0_14default_configENS1_38merge_sort_block_merge_config_selectorIN3c108BFloat16ElEEZZNS1_27merge_sort_block_merge_implIS3_PS6_N6thrust23THRUST_200600_302600_NS10device_ptrIlEEmNSB_4lessIS6_EEEE10hipError_tT0_T1_T2_jT3_P12ihipStream_tbPNSt15iterator_traitsISH_E10value_typeEPNSN_ISI_E10value_typeEPSJ_NS1_7vsmem_tEENKUlT_SH_SI_SJ_E_clIS9_S9_PlSD_EESG_SW_SH_SI_SJ_EUlSW_E_NS1_11comp_targetILNS1_3genE10ELNS1_11target_archE1201ELNS1_3gpuE5ELNS1_3repE0EEENS1_48merge_mergepath_partition_config_static_selectorELNS0_4arch9wavefront6targetE1EEEvSI_,"axG",@progbits,_ZN7rocprim17ROCPRIM_400000_NS6detail17trampoline_kernelINS0_14default_configENS1_38merge_sort_block_merge_config_selectorIN3c108BFloat16ElEEZZNS1_27merge_sort_block_merge_implIS3_PS6_N6thrust23THRUST_200600_302600_NS10device_ptrIlEEmNSB_4lessIS6_EEEE10hipError_tT0_T1_T2_jT3_P12ihipStream_tbPNSt15iterator_traitsISH_E10value_typeEPNSN_ISI_E10value_typeEPSJ_NS1_7vsmem_tEENKUlT_SH_SI_SJ_E_clIS9_S9_PlSD_EESG_SW_SH_SI_SJ_EUlSW_E_NS1_11comp_targetILNS1_3genE10ELNS1_11target_archE1201ELNS1_3gpuE5ELNS1_3repE0EEENS1_48merge_mergepath_partition_config_static_selectorELNS0_4arch9wavefront6targetE1EEEvSI_,comdat
.Lfunc_end1980:
	.size	_ZN7rocprim17ROCPRIM_400000_NS6detail17trampoline_kernelINS0_14default_configENS1_38merge_sort_block_merge_config_selectorIN3c108BFloat16ElEEZZNS1_27merge_sort_block_merge_implIS3_PS6_N6thrust23THRUST_200600_302600_NS10device_ptrIlEEmNSB_4lessIS6_EEEE10hipError_tT0_T1_T2_jT3_P12ihipStream_tbPNSt15iterator_traitsISH_E10value_typeEPNSN_ISI_E10value_typeEPSJ_NS1_7vsmem_tEENKUlT_SH_SI_SJ_E_clIS9_S9_PlSD_EESG_SW_SH_SI_SJ_EUlSW_E_NS1_11comp_targetILNS1_3genE10ELNS1_11target_archE1201ELNS1_3gpuE5ELNS1_3repE0EEENS1_48merge_mergepath_partition_config_static_selectorELNS0_4arch9wavefront6targetE1EEEvSI_, .Lfunc_end1980-_ZN7rocprim17ROCPRIM_400000_NS6detail17trampoline_kernelINS0_14default_configENS1_38merge_sort_block_merge_config_selectorIN3c108BFloat16ElEEZZNS1_27merge_sort_block_merge_implIS3_PS6_N6thrust23THRUST_200600_302600_NS10device_ptrIlEEmNSB_4lessIS6_EEEE10hipError_tT0_T1_T2_jT3_P12ihipStream_tbPNSt15iterator_traitsISH_E10value_typeEPNSN_ISI_E10value_typeEPSJ_NS1_7vsmem_tEENKUlT_SH_SI_SJ_E_clIS9_S9_PlSD_EESG_SW_SH_SI_SJ_EUlSW_E_NS1_11comp_targetILNS1_3genE10ELNS1_11target_archE1201ELNS1_3gpuE5ELNS1_3repE0EEENS1_48merge_mergepath_partition_config_static_selectorELNS0_4arch9wavefront6targetE1EEEvSI_
                                        ; -- End function
	.section	.AMDGPU.csdata,"",@progbits
; Kernel info:
; codeLenInByte = 0
; NumSgprs: 4
; NumVgprs: 0
; NumAgprs: 0
; TotalNumVgprs: 0
; ScratchSize: 0
; MemoryBound: 0
; FloatMode: 240
; IeeeMode: 1
; LDSByteSize: 0 bytes/workgroup (compile time only)
; SGPRBlocks: 0
; VGPRBlocks: 0
; NumSGPRsForWavesPerEU: 4
; NumVGPRsForWavesPerEU: 1
; AccumOffset: 4
; Occupancy: 8
; WaveLimiterHint : 0
; COMPUTE_PGM_RSRC2:SCRATCH_EN: 0
; COMPUTE_PGM_RSRC2:USER_SGPR: 6
; COMPUTE_PGM_RSRC2:TRAP_HANDLER: 0
; COMPUTE_PGM_RSRC2:TGID_X_EN: 1
; COMPUTE_PGM_RSRC2:TGID_Y_EN: 0
; COMPUTE_PGM_RSRC2:TGID_Z_EN: 0
; COMPUTE_PGM_RSRC2:TIDIG_COMP_CNT: 0
; COMPUTE_PGM_RSRC3_GFX90A:ACCUM_OFFSET: 0
; COMPUTE_PGM_RSRC3_GFX90A:TG_SPLIT: 0
	.section	.text._ZN7rocprim17ROCPRIM_400000_NS6detail17trampoline_kernelINS0_14default_configENS1_38merge_sort_block_merge_config_selectorIN3c108BFloat16ElEEZZNS1_27merge_sort_block_merge_implIS3_PS6_N6thrust23THRUST_200600_302600_NS10device_ptrIlEEmNSB_4lessIS6_EEEE10hipError_tT0_T1_T2_jT3_P12ihipStream_tbPNSt15iterator_traitsISH_E10value_typeEPNSN_ISI_E10value_typeEPSJ_NS1_7vsmem_tEENKUlT_SH_SI_SJ_E_clIS9_S9_PlSD_EESG_SW_SH_SI_SJ_EUlSW_E_NS1_11comp_targetILNS1_3genE5ELNS1_11target_archE942ELNS1_3gpuE9ELNS1_3repE0EEENS1_48merge_mergepath_partition_config_static_selectorELNS0_4arch9wavefront6targetE1EEEvSI_,"axG",@progbits,_ZN7rocprim17ROCPRIM_400000_NS6detail17trampoline_kernelINS0_14default_configENS1_38merge_sort_block_merge_config_selectorIN3c108BFloat16ElEEZZNS1_27merge_sort_block_merge_implIS3_PS6_N6thrust23THRUST_200600_302600_NS10device_ptrIlEEmNSB_4lessIS6_EEEE10hipError_tT0_T1_T2_jT3_P12ihipStream_tbPNSt15iterator_traitsISH_E10value_typeEPNSN_ISI_E10value_typeEPSJ_NS1_7vsmem_tEENKUlT_SH_SI_SJ_E_clIS9_S9_PlSD_EESG_SW_SH_SI_SJ_EUlSW_E_NS1_11comp_targetILNS1_3genE5ELNS1_11target_archE942ELNS1_3gpuE9ELNS1_3repE0EEENS1_48merge_mergepath_partition_config_static_selectorELNS0_4arch9wavefront6targetE1EEEvSI_,comdat
	.protected	_ZN7rocprim17ROCPRIM_400000_NS6detail17trampoline_kernelINS0_14default_configENS1_38merge_sort_block_merge_config_selectorIN3c108BFloat16ElEEZZNS1_27merge_sort_block_merge_implIS3_PS6_N6thrust23THRUST_200600_302600_NS10device_ptrIlEEmNSB_4lessIS6_EEEE10hipError_tT0_T1_T2_jT3_P12ihipStream_tbPNSt15iterator_traitsISH_E10value_typeEPNSN_ISI_E10value_typeEPSJ_NS1_7vsmem_tEENKUlT_SH_SI_SJ_E_clIS9_S9_PlSD_EESG_SW_SH_SI_SJ_EUlSW_E_NS1_11comp_targetILNS1_3genE5ELNS1_11target_archE942ELNS1_3gpuE9ELNS1_3repE0EEENS1_48merge_mergepath_partition_config_static_selectorELNS0_4arch9wavefront6targetE1EEEvSI_ ; -- Begin function _ZN7rocprim17ROCPRIM_400000_NS6detail17trampoline_kernelINS0_14default_configENS1_38merge_sort_block_merge_config_selectorIN3c108BFloat16ElEEZZNS1_27merge_sort_block_merge_implIS3_PS6_N6thrust23THRUST_200600_302600_NS10device_ptrIlEEmNSB_4lessIS6_EEEE10hipError_tT0_T1_T2_jT3_P12ihipStream_tbPNSt15iterator_traitsISH_E10value_typeEPNSN_ISI_E10value_typeEPSJ_NS1_7vsmem_tEENKUlT_SH_SI_SJ_E_clIS9_S9_PlSD_EESG_SW_SH_SI_SJ_EUlSW_E_NS1_11comp_targetILNS1_3genE5ELNS1_11target_archE942ELNS1_3gpuE9ELNS1_3repE0EEENS1_48merge_mergepath_partition_config_static_selectorELNS0_4arch9wavefront6targetE1EEEvSI_
	.globl	_ZN7rocprim17ROCPRIM_400000_NS6detail17trampoline_kernelINS0_14default_configENS1_38merge_sort_block_merge_config_selectorIN3c108BFloat16ElEEZZNS1_27merge_sort_block_merge_implIS3_PS6_N6thrust23THRUST_200600_302600_NS10device_ptrIlEEmNSB_4lessIS6_EEEE10hipError_tT0_T1_T2_jT3_P12ihipStream_tbPNSt15iterator_traitsISH_E10value_typeEPNSN_ISI_E10value_typeEPSJ_NS1_7vsmem_tEENKUlT_SH_SI_SJ_E_clIS9_S9_PlSD_EESG_SW_SH_SI_SJ_EUlSW_E_NS1_11comp_targetILNS1_3genE5ELNS1_11target_archE942ELNS1_3gpuE9ELNS1_3repE0EEENS1_48merge_mergepath_partition_config_static_selectorELNS0_4arch9wavefront6targetE1EEEvSI_
	.p2align	8
	.type	_ZN7rocprim17ROCPRIM_400000_NS6detail17trampoline_kernelINS0_14default_configENS1_38merge_sort_block_merge_config_selectorIN3c108BFloat16ElEEZZNS1_27merge_sort_block_merge_implIS3_PS6_N6thrust23THRUST_200600_302600_NS10device_ptrIlEEmNSB_4lessIS6_EEEE10hipError_tT0_T1_T2_jT3_P12ihipStream_tbPNSt15iterator_traitsISH_E10value_typeEPNSN_ISI_E10value_typeEPSJ_NS1_7vsmem_tEENKUlT_SH_SI_SJ_E_clIS9_S9_PlSD_EESG_SW_SH_SI_SJ_EUlSW_E_NS1_11comp_targetILNS1_3genE5ELNS1_11target_archE942ELNS1_3gpuE9ELNS1_3repE0EEENS1_48merge_mergepath_partition_config_static_selectorELNS0_4arch9wavefront6targetE1EEEvSI_,@function
_ZN7rocprim17ROCPRIM_400000_NS6detail17trampoline_kernelINS0_14default_configENS1_38merge_sort_block_merge_config_selectorIN3c108BFloat16ElEEZZNS1_27merge_sort_block_merge_implIS3_PS6_N6thrust23THRUST_200600_302600_NS10device_ptrIlEEmNSB_4lessIS6_EEEE10hipError_tT0_T1_T2_jT3_P12ihipStream_tbPNSt15iterator_traitsISH_E10value_typeEPNSN_ISI_E10value_typeEPSJ_NS1_7vsmem_tEENKUlT_SH_SI_SJ_E_clIS9_S9_PlSD_EESG_SW_SH_SI_SJ_EUlSW_E_NS1_11comp_targetILNS1_3genE5ELNS1_11target_archE942ELNS1_3gpuE9ELNS1_3repE0EEENS1_48merge_mergepath_partition_config_static_selectorELNS0_4arch9wavefront6targetE1EEEvSI_: ; @_ZN7rocprim17ROCPRIM_400000_NS6detail17trampoline_kernelINS0_14default_configENS1_38merge_sort_block_merge_config_selectorIN3c108BFloat16ElEEZZNS1_27merge_sort_block_merge_implIS3_PS6_N6thrust23THRUST_200600_302600_NS10device_ptrIlEEmNSB_4lessIS6_EEEE10hipError_tT0_T1_T2_jT3_P12ihipStream_tbPNSt15iterator_traitsISH_E10value_typeEPNSN_ISI_E10value_typeEPSJ_NS1_7vsmem_tEENKUlT_SH_SI_SJ_E_clIS9_S9_PlSD_EESG_SW_SH_SI_SJ_EUlSW_E_NS1_11comp_targetILNS1_3genE5ELNS1_11target_archE942ELNS1_3gpuE9ELNS1_3repE0EEENS1_48merge_mergepath_partition_config_static_selectorELNS0_4arch9wavefront6targetE1EEEvSI_
; %bb.0:
	.section	.rodata,"a",@progbits
	.p2align	6, 0x0
	.amdhsa_kernel _ZN7rocprim17ROCPRIM_400000_NS6detail17trampoline_kernelINS0_14default_configENS1_38merge_sort_block_merge_config_selectorIN3c108BFloat16ElEEZZNS1_27merge_sort_block_merge_implIS3_PS6_N6thrust23THRUST_200600_302600_NS10device_ptrIlEEmNSB_4lessIS6_EEEE10hipError_tT0_T1_T2_jT3_P12ihipStream_tbPNSt15iterator_traitsISH_E10value_typeEPNSN_ISI_E10value_typeEPSJ_NS1_7vsmem_tEENKUlT_SH_SI_SJ_E_clIS9_S9_PlSD_EESG_SW_SH_SI_SJ_EUlSW_E_NS1_11comp_targetILNS1_3genE5ELNS1_11target_archE942ELNS1_3gpuE9ELNS1_3repE0EEENS1_48merge_mergepath_partition_config_static_selectorELNS0_4arch9wavefront6targetE1EEEvSI_
		.amdhsa_group_segment_fixed_size 0
		.amdhsa_private_segment_fixed_size 0
		.amdhsa_kernarg_size 48
		.amdhsa_user_sgpr_count 6
		.amdhsa_user_sgpr_private_segment_buffer 1
		.amdhsa_user_sgpr_dispatch_ptr 0
		.amdhsa_user_sgpr_queue_ptr 0
		.amdhsa_user_sgpr_kernarg_segment_ptr 1
		.amdhsa_user_sgpr_dispatch_id 0
		.amdhsa_user_sgpr_flat_scratch_init 0
		.amdhsa_user_sgpr_kernarg_preload_length 0
		.amdhsa_user_sgpr_kernarg_preload_offset 0
		.amdhsa_user_sgpr_private_segment_size 0
		.amdhsa_uses_dynamic_stack 0
		.amdhsa_system_sgpr_private_segment_wavefront_offset 0
		.amdhsa_system_sgpr_workgroup_id_x 1
		.amdhsa_system_sgpr_workgroup_id_y 0
		.amdhsa_system_sgpr_workgroup_id_z 0
		.amdhsa_system_sgpr_workgroup_info 0
		.amdhsa_system_vgpr_workitem_id 0
		.amdhsa_next_free_vgpr 1
		.amdhsa_next_free_sgpr 0
		.amdhsa_accum_offset 4
		.amdhsa_reserve_vcc 0
		.amdhsa_reserve_flat_scratch 0
		.amdhsa_float_round_mode_32 0
		.amdhsa_float_round_mode_16_64 0
		.amdhsa_float_denorm_mode_32 3
		.amdhsa_float_denorm_mode_16_64 3
		.amdhsa_dx10_clamp 1
		.amdhsa_ieee_mode 1
		.amdhsa_fp16_overflow 0
		.amdhsa_tg_split 0
		.amdhsa_exception_fp_ieee_invalid_op 0
		.amdhsa_exception_fp_denorm_src 0
		.amdhsa_exception_fp_ieee_div_zero 0
		.amdhsa_exception_fp_ieee_overflow 0
		.amdhsa_exception_fp_ieee_underflow 0
		.amdhsa_exception_fp_ieee_inexact 0
		.amdhsa_exception_int_div_zero 0
	.end_amdhsa_kernel
	.section	.text._ZN7rocprim17ROCPRIM_400000_NS6detail17trampoline_kernelINS0_14default_configENS1_38merge_sort_block_merge_config_selectorIN3c108BFloat16ElEEZZNS1_27merge_sort_block_merge_implIS3_PS6_N6thrust23THRUST_200600_302600_NS10device_ptrIlEEmNSB_4lessIS6_EEEE10hipError_tT0_T1_T2_jT3_P12ihipStream_tbPNSt15iterator_traitsISH_E10value_typeEPNSN_ISI_E10value_typeEPSJ_NS1_7vsmem_tEENKUlT_SH_SI_SJ_E_clIS9_S9_PlSD_EESG_SW_SH_SI_SJ_EUlSW_E_NS1_11comp_targetILNS1_3genE5ELNS1_11target_archE942ELNS1_3gpuE9ELNS1_3repE0EEENS1_48merge_mergepath_partition_config_static_selectorELNS0_4arch9wavefront6targetE1EEEvSI_,"axG",@progbits,_ZN7rocprim17ROCPRIM_400000_NS6detail17trampoline_kernelINS0_14default_configENS1_38merge_sort_block_merge_config_selectorIN3c108BFloat16ElEEZZNS1_27merge_sort_block_merge_implIS3_PS6_N6thrust23THRUST_200600_302600_NS10device_ptrIlEEmNSB_4lessIS6_EEEE10hipError_tT0_T1_T2_jT3_P12ihipStream_tbPNSt15iterator_traitsISH_E10value_typeEPNSN_ISI_E10value_typeEPSJ_NS1_7vsmem_tEENKUlT_SH_SI_SJ_E_clIS9_S9_PlSD_EESG_SW_SH_SI_SJ_EUlSW_E_NS1_11comp_targetILNS1_3genE5ELNS1_11target_archE942ELNS1_3gpuE9ELNS1_3repE0EEENS1_48merge_mergepath_partition_config_static_selectorELNS0_4arch9wavefront6targetE1EEEvSI_,comdat
.Lfunc_end1981:
	.size	_ZN7rocprim17ROCPRIM_400000_NS6detail17trampoline_kernelINS0_14default_configENS1_38merge_sort_block_merge_config_selectorIN3c108BFloat16ElEEZZNS1_27merge_sort_block_merge_implIS3_PS6_N6thrust23THRUST_200600_302600_NS10device_ptrIlEEmNSB_4lessIS6_EEEE10hipError_tT0_T1_T2_jT3_P12ihipStream_tbPNSt15iterator_traitsISH_E10value_typeEPNSN_ISI_E10value_typeEPSJ_NS1_7vsmem_tEENKUlT_SH_SI_SJ_E_clIS9_S9_PlSD_EESG_SW_SH_SI_SJ_EUlSW_E_NS1_11comp_targetILNS1_3genE5ELNS1_11target_archE942ELNS1_3gpuE9ELNS1_3repE0EEENS1_48merge_mergepath_partition_config_static_selectorELNS0_4arch9wavefront6targetE1EEEvSI_, .Lfunc_end1981-_ZN7rocprim17ROCPRIM_400000_NS6detail17trampoline_kernelINS0_14default_configENS1_38merge_sort_block_merge_config_selectorIN3c108BFloat16ElEEZZNS1_27merge_sort_block_merge_implIS3_PS6_N6thrust23THRUST_200600_302600_NS10device_ptrIlEEmNSB_4lessIS6_EEEE10hipError_tT0_T1_T2_jT3_P12ihipStream_tbPNSt15iterator_traitsISH_E10value_typeEPNSN_ISI_E10value_typeEPSJ_NS1_7vsmem_tEENKUlT_SH_SI_SJ_E_clIS9_S9_PlSD_EESG_SW_SH_SI_SJ_EUlSW_E_NS1_11comp_targetILNS1_3genE5ELNS1_11target_archE942ELNS1_3gpuE9ELNS1_3repE0EEENS1_48merge_mergepath_partition_config_static_selectorELNS0_4arch9wavefront6targetE1EEEvSI_
                                        ; -- End function
	.section	.AMDGPU.csdata,"",@progbits
; Kernel info:
; codeLenInByte = 0
; NumSgprs: 4
; NumVgprs: 0
; NumAgprs: 0
; TotalNumVgprs: 0
; ScratchSize: 0
; MemoryBound: 0
; FloatMode: 240
; IeeeMode: 1
; LDSByteSize: 0 bytes/workgroup (compile time only)
; SGPRBlocks: 0
; VGPRBlocks: 0
; NumSGPRsForWavesPerEU: 4
; NumVGPRsForWavesPerEU: 1
; AccumOffset: 4
; Occupancy: 8
; WaveLimiterHint : 0
; COMPUTE_PGM_RSRC2:SCRATCH_EN: 0
; COMPUTE_PGM_RSRC2:USER_SGPR: 6
; COMPUTE_PGM_RSRC2:TRAP_HANDLER: 0
; COMPUTE_PGM_RSRC2:TGID_X_EN: 1
; COMPUTE_PGM_RSRC2:TGID_Y_EN: 0
; COMPUTE_PGM_RSRC2:TGID_Z_EN: 0
; COMPUTE_PGM_RSRC2:TIDIG_COMP_CNT: 0
; COMPUTE_PGM_RSRC3_GFX90A:ACCUM_OFFSET: 0
; COMPUTE_PGM_RSRC3_GFX90A:TG_SPLIT: 0
	.section	.text._ZN7rocprim17ROCPRIM_400000_NS6detail17trampoline_kernelINS0_14default_configENS1_38merge_sort_block_merge_config_selectorIN3c108BFloat16ElEEZZNS1_27merge_sort_block_merge_implIS3_PS6_N6thrust23THRUST_200600_302600_NS10device_ptrIlEEmNSB_4lessIS6_EEEE10hipError_tT0_T1_T2_jT3_P12ihipStream_tbPNSt15iterator_traitsISH_E10value_typeEPNSN_ISI_E10value_typeEPSJ_NS1_7vsmem_tEENKUlT_SH_SI_SJ_E_clIS9_S9_PlSD_EESG_SW_SH_SI_SJ_EUlSW_E_NS1_11comp_targetILNS1_3genE4ELNS1_11target_archE910ELNS1_3gpuE8ELNS1_3repE0EEENS1_48merge_mergepath_partition_config_static_selectorELNS0_4arch9wavefront6targetE1EEEvSI_,"axG",@progbits,_ZN7rocprim17ROCPRIM_400000_NS6detail17trampoline_kernelINS0_14default_configENS1_38merge_sort_block_merge_config_selectorIN3c108BFloat16ElEEZZNS1_27merge_sort_block_merge_implIS3_PS6_N6thrust23THRUST_200600_302600_NS10device_ptrIlEEmNSB_4lessIS6_EEEE10hipError_tT0_T1_T2_jT3_P12ihipStream_tbPNSt15iterator_traitsISH_E10value_typeEPNSN_ISI_E10value_typeEPSJ_NS1_7vsmem_tEENKUlT_SH_SI_SJ_E_clIS9_S9_PlSD_EESG_SW_SH_SI_SJ_EUlSW_E_NS1_11comp_targetILNS1_3genE4ELNS1_11target_archE910ELNS1_3gpuE8ELNS1_3repE0EEENS1_48merge_mergepath_partition_config_static_selectorELNS0_4arch9wavefront6targetE1EEEvSI_,comdat
	.protected	_ZN7rocprim17ROCPRIM_400000_NS6detail17trampoline_kernelINS0_14default_configENS1_38merge_sort_block_merge_config_selectorIN3c108BFloat16ElEEZZNS1_27merge_sort_block_merge_implIS3_PS6_N6thrust23THRUST_200600_302600_NS10device_ptrIlEEmNSB_4lessIS6_EEEE10hipError_tT0_T1_T2_jT3_P12ihipStream_tbPNSt15iterator_traitsISH_E10value_typeEPNSN_ISI_E10value_typeEPSJ_NS1_7vsmem_tEENKUlT_SH_SI_SJ_E_clIS9_S9_PlSD_EESG_SW_SH_SI_SJ_EUlSW_E_NS1_11comp_targetILNS1_3genE4ELNS1_11target_archE910ELNS1_3gpuE8ELNS1_3repE0EEENS1_48merge_mergepath_partition_config_static_selectorELNS0_4arch9wavefront6targetE1EEEvSI_ ; -- Begin function _ZN7rocprim17ROCPRIM_400000_NS6detail17trampoline_kernelINS0_14default_configENS1_38merge_sort_block_merge_config_selectorIN3c108BFloat16ElEEZZNS1_27merge_sort_block_merge_implIS3_PS6_N6thrust23THRUST_200600_302600_NS10device_ptrIlEEmNSB_4lessIS6_EEEE10hipError_tT0_T1_T2_jT3_P12ihipStream_tbPNSt15iterator_traitsISH_E10value_typeEPNSN_ISI_E10value_typeEPSJ_NS1_7vsmem_tEENKUlT_SH_SI_SJ_E_clIS9_S9_PlSD_EESG_SW_SH_SI_SJ_EUlSW_E_NS1_11comp_targetILNS1_3genE4ELNS1_11target_archE910ELNS1_3gpuE8ELNS1_3repE0EEENS1_48merge_mergepath_partition_config_static_selectorELNS0_4arch9wavefront6targetE1EEEvSI_
	.globl	_ZN7rocprim17ROCPRIM_400000_NS6detail17trampoline_kernelINS0_14default_configENS1_38merge_sort_block_merge_config_selectorIN3c108BFloat16ElEEZZNS1_27merge_sort_block_merge_implIS3_PS6_N6thrust23THRUST_200600_302600_NS10device_ptrIlEEmNSB_4lessIS6_EEEE10hipError_tT0_T1_T2_jT3_P12ihipStream_tbPNSt15iterator_traitsISH_E10value_typeEPNSN_ISI_E10value_typeEPSJ_NS1_7vsmem_tEENKUlT_SH_SI_SJ_E_clIS9_S9_PlSD_EESG_SW_SH_SI_SJ_EUlSW_E_NS1_11comp_targetILNS1_3genE4ELNS1_11target_archE910ELNS1_3gpuE8ELNS1_3repE0EEENS1_48merge_mergepath_partition_config_static_selectorELNS0_4arch9wavefront6targetE1EEEvSI_
	.p2align	8
	.type	_ZN7rocprim17ROCPRIM_400000_NS6detail17trampoline_kernelINS0_14default_configENS1_38merge_sort_block_merge_config_selectorIN3c108BFloat16ElEEZZNS1_27merge_sort_block_merge_implIS3_PS6_N6thrust23THRUST_200600_302600_NS10device_ptrIlEEmNSB_4lessIS6_EEEE10hipError_tT0_T1_T2_jT3_P12ihipStream_tbPNSt15iterator_traitsISH_E10value_typeEPNSN_ISI_E10value_typeEPSJ_NS1_7vsmem_tEENKUlT_SH_SI_SJ_E_clIS9_S9_PlSD_EESG_SW_SH_SI_SJ_EUlSW_E_NS1_11comp_targetILNS1_3genE4ELNS1_11target_archE910ELNS1_3gpuE8ELNS1_3repE0EEENS1_48merge_mergepath_partition_config_static_selectorELNS0_4arch9wavefront6targetE1EEEvSI_,@function
_ZN7rocprim17ROCPRIM_400000_NS6detail17trampoline_kernelINS0_14default_configENS1_38merge_sort_block_merge_config_selectorIN3c108BFloat16ElEEZZNS1_27merge_sort_block_merge_implIS3_PS6_N6thrust23THRUST_200600_302600_NS10device_ptrIlEEmNSB_4lessIS6_EEEE10hipError_tT0_T1_T2_jT3_P12ihipStream_tbPNSt15iterator_traitsISH_E10value_typeEPNSN_ISI_E10value_typeEPSJ_NS1_7vsmem_tEENKUlT_SH_SI_SJ_E_clIS9_S9_PlSD_EESG_SW_SH_SI_SJ_EUlSW_E_NS1_11comp_targetILNS1_3genE4ELNS1_11target_archE910ELNS1_3gpuE8ELNS1_3repE0EEENS1_48merge_mergepath_partition_config_static_selectorELNS0_4arch9wavefront6targetE1EEEvSI_: ; @_ZN7rocprim17ROCPRIM_400000_NS6detail17trampoline_kernelINS0_14default_configENS1_38merge_sort_block_merge_config_selectorIN3c108BFloat16ElEEZZNS1_27merge_sort_block_merge_implIS3_PS6_N6thrust23THRUST_200600_302600_NS10device_ptrIlEEmNSB_4lessIS6_EEEE10hipError_tT0_T1_T2_jT3_P12ihipStream_tbPNSt15iterator_traitsISH_E10value_typeEPNSN_ISI_E10value_typeEPSJ_NS1_7vsmem_tEENKUlT_SH_SI_SJ_E_clIS9_S9_PlSD_EESG_SW_SH_SI_SJ_EUlSW_E_NS1_11comp_targetILNS1_3genE4ELNS1_11target_archE910ELNS1_3gpuE8ELNS1_3repE0EEENS1_48merge_mergepath_partition_config_static_selectorELNS0_4arch9wavefront6targetE1EEEvSI_
; %bb.0:
	s_load_dword s0, s[4:5], 0x0
	v_lshl_or_b32 v0, s6, 7, v0
	s_waitcnt lgkmcnt(0)
	v_cmp_gt_u32_e32 vcc, s0, v0
	s_and_saveexec_b64 s[0:1], vcc
	s_cbranch_execz .LBB1982_6
; %bb.1:
	s_load_dwordx4 s[0:3], s[4:5], 0x8
	s_load_dwordx2 s[6:7], s[4:5], 0x28
	v_mov_b32_e32 v5, 0
	s_waitcnt lgkmcnt(0)
	v_mov_b32_e32 v1, s0
	v_alignbit_b32 v1, s1, v1, 9
	v_and_b32_e32 v1, -2, v1
	v_add_u32_e32 v2, -1, v1
	v_sub_u32_e32 v1, 0, v1
	v_and_b32_e32 v4, v0, v1
	v_lshlrev_b64 v[8:9], 10, v[4:5]
	v_mov_b32_e32 v1, s3
	v_cmp_lt_u64_e32 vcc, s[2:3], v[8:9]
	v_mov_b32_e32 v4, s2
	v_and_b32_e32 v6, v2, v0
	v_cndmask_b32_e32 v3, v9, v1, vcc
	v_cndmask_b32_e32 v2, v8, v4, vcc
	v_mov_b32_e32 v7, s1
	v_add_co_u32_e32 v8, vcc, s0, v8
	v_addc_co_u32_e32 v9, vcc, v9, v7, vcc
	v_cmp_lt_u64_e32 vcc, s[2:3], v[8:9]
	v_cndmask_b32_e32 v8, v8, v4, vcc
	v_cndmask_b32_e32 v9, v9, v1, vcc
	v_add_co_u32_e32 v10, vcc, s0, v8
	v_addc_co_u32_e32 v11, vcc, v9, v7, vcc
	v_cmp_lt_u64_e32 vcc, s[2:3], v[10:11]
	v_cndmask_b32_e32 v12, v10, v4, vcc
	v_cndmask_b32_e32 v1, v11, v1, vcc
	v_sub_co_u32_e32 v10, vcc, v12, v2
	v_mov_b32_e32 v7, v5
	v_subb_co_u32_e32 v11, vcc, v1, v3, vcc
	v_lshlrev_b64 v[4:5], 10, v[6:7]
	v_cmp_lt_u64_e32 vcc, v[10:11], v[4:5]
	v_cndmask_b32_e32 v11, v5, v11, vcc
	v_cndmask_b32_e32 v10, v4, v10, vcc
	v_sub_co_u32_e32 v6, vcc, v8, v2
	v_subb_co_u32_e32 v7, vcc, v9, v3, vcc
	v_sub_co_u32_e32 v4, vcc, v8, v12
	v_subb_co_u32_e32 v1, vcc, v9, v1, vcc
	v_add_co_u32_e32 v4, vcc, v10, v4
	v_addc_co_u32_e32 v5, vcc, v11, v1, vcc
	v_cmp_gt_u64_e32 vcc, v[4:5], v[10:11]
	v_cndmask_b32_e64 v5, v5, 0, vcc
	v_cndmask_b32_e64 v4, v4, 0, vcc
	v_cmp_lt_u64_e32 vcc, v[10:11], v[6:7]
	v_cndmask_b32_e32 v7, v7, v11, vcc
	v_cndmask_b32_e32 v6, v6, v10, vcc
	v_cmp_lt_u64_e32 vcc, v[4:5], v[6:7]
	s_and_saveexec_b64 s[0:1], vcc
	s_cbranch_execz .LBB1982_5
; %bb.2:
	s_load_dwordx2 s[2:3], s[4:5], 0x18
	v_lshlrev_b64 v[12:13], 1, v[2:3]
	v_lshlrev_b64 v[8:9], 1, v[8:9]
	s_waitcnt lgkmcnt(0)
	v_mov_b32_e32 v14, s3
	v_add_co_u32_e32 v1, vcc, s2, v12
	v_addc_co_u32_e32 v12, vcc, v14, v13, vcc
	v_add_co_u32_e32 v13, vcc, s2, v8
	v_addc_co_u32_e32 v14, vcc, v14, v9, vcc
	v_lshlrev_b64 v[8:9], 1, v[10:11]
	v_add_co_u32_e32 v8, vcc, v13, v8
	v_addc_co_u32_e32 v9, vcc, v14, v9, vcc
	s_mov_b64 s[2:3], 0
.LBB1982_3:                             ; =>This Inner Loop Header: Depth=1
	v_add_co_u32_e32 v10, vcc, v6, v4
	v_addc_co_u32_e32 v11, vcc, v7, v5, vcc
	v_lshrrev_b64 v[14:15], 1, v[10:11]
	v_and_b32_e32 v10, -2, v10
	v_not_b32_e32 v17, v15
	v_not_b32_e32 v16, v14
	v_add_co_u32_e32 v10, vcc, v1, v10
	v_addc_co_u32_e32 v11, vcc, v12, v11, vcc
	v_lshlrev_b64 v[16:17], 1, v[16:17]
	v_add_co_u32_e32 v16, vcc, v8, v16
	v_addc_co_u32_e32 v17, vcc, v9, v17, vcc
	global_load_ushort v13, v[10:11], off
	global_load_ushort v18, v[16:17], off
	v_add_co_u32_e32 v10, vcc, 1, v14
	v_addc_co_u32_e32 v11, vcc, 0, v15, vcc
	s_waitcnt vmcnt(1)
	v_lshlrev_b32_e32 v13, 16, v13
	s_waitcnt vmcnt(0)
	v_lshlrev_b32_e32 v16, 16, v18
	v_cmp_lt_f32_e32 vcc, v16, v13
	v_cndmask_b32_e32 v7, v7, v15, vcc
	v_cndmask_b32_e32 v6, v6, v14, vcc
	;; [unrolled: 1-line block ×4, first 2 shown]
	v_cmp_ge_u64_e32 vcc, v[4:5], v[6:7]
	s_or_b64 s[2:3], vcc, s[2:3]
	s_andn2_b64 exec, exec, s[2:3]
	s_cbranch_execnz .LBB1982_3
; %bb.4:
	s_or_b64 exec, exec, s[2:3]
.LBB1982_5:
	s_or_b64 exec, exec, s[0:1]
	v_add_co_u32_e32 v2, vcc, v4, v2
	v_mov_b32_e32 v1, 0
	v_addc_co_u32_e32 v3, vcc, v5, v3, vcc
	v_lshlrev_b64 v[0:1], 3, v[0:1]
	v_mov_b32_e32 v4, s7
	v_add_co_u32_e32 v0, vcc, s6, v0
	v_addc_co_u32_e32 v1, vcc, v4, v1, vcc
	global_store_dwordx2 v[0:1], v[2:3], off
.LBB1982_6:
	s_endpgm
	.section	.rodata,"a",@progbits
	.p2align	6, 0x0
	.amdhsa_kernel _ZN7rocprim17ROCPRIM_400000_NS6detail17trampoline_kernelINS0_14default_configENS1_38merge_sort_block_merge_config_selectorIN3c108BFloat16ElEEZZNS1_27merge_sort_block_merge_implIS3_PS6_N6thrust23THRUST_200600_302600_NS10device_ptrIlEEmNSB_4lessIS6_EEEE10hipError_tT0_T1_T2_jT3_P12ihipStream_tbPNSt15iterator_traitsISH_E10value_typeEPNSN_ISI_E10value_typeEPSJ_NS1_7vsmem_tEENKUlT_SH_SI_SJ_E_clIS9_S9_PlSD_EESG_SW_SH_SI_SJ_EUlSW_E_NS1_11comp_targetILNS1_3genE4ELNS1_11target_archE910ELNS1_3gpuE8ELNS1_3repE0EEENS1_48merge_mergepath_partition_config_static_selectorELNS0_4arch9wavefront6targetE1EEEvSI_
		.amdhsa_group_segment_fixed_size 0
		.amdhsa_private_segment_fixed_size 0
		.amdhsa_kernarg_size 48
		.amdhsa_user_sgpr_count 6
		.amdhsa_user_sgpr_private_segment_buffer 1
		.amdhsa_user_sgpr_dispatch_ptr 0
		.amdhsa_user_sgpr_queue_ptr 0
		.amdhsa_user_sgpr_kernarg_segment_ptr 1
		.amdhsa_user_sgpr_dispatch_id 0
		.amdhsa_user_sgpr_flat_scratch_init 0
		.amdhsa_user_sgpr_kernarg_preload_length 0
		.amdhsa_user_sgpr_kernarg_preload_offset 0
		.amdhsa_user_sgpr_private_segment_size 0
		.amdhsa_uses_dynamic_stack 0
		.amdhsa_system_sgpr_private_segment_wavefront_offset 0
		.amdhsa_system_sgpr_workgroup_id_x 1
		.amdhsa_system_sgpr_workgroup_id_y 0
		.amdhsa_system_sgpr_workgroup_id_z 0
		.amdhsa_system_sgpr_workgroup_info 0
		.amdhsa_system_vgpr_workitem_id 0
		.amdhsa_next_free_vgpr 19
		.amdhsa_next_free_sgpr 8
		.amdhsa_accum_offset 20
		.amdhsa_reserve_vcc 1
		.amdhsa_reserve_flat_scratch 0
		.amdhsa_float_round_mode_32 0
		.amdhsa_float_round_mode_16_64 0
		.amdhsa_float_denorm_mode_32 3
		.amdhsa_float_denorm_mode_16_64 3
		.amdhsa_dx10_clamp 1
		.amdhsa_ieee_mode 1
		.amdhsa_fp16_overflow 0
		.amdhsa_tg_split 0
		.amdhsa_exception_fp_ieee_invalid_op 0
		.amdhsa_exception_fp_denorm_src 0
		.amdhsa_exception_fp_ieee_div_zero 0
		.amdhsa_exception_fp_ieee_overflow 0
		.amdhsa_exception_fp_ieee_underflow 0
		.amdhsa_exception_fp_ieee_inexact 0
		.amdhsa_exception_int_div_zero 0
	.end_amdhsa_kernel
	.section	.text._ZN7rocprim17ROCPRIM_400000_NS6detail17trampoline_kernelINS0_14default_configENS1_38merge_sort_block_merge_config_selectorIN3c108BFloat16ElEEZZNS1_27merge_sort_block_merge_implIS3_PS6_N6thrust23THRUST_200600_302600_NS10device_ptrIlEEmNSB_4lessIS6_EEEE10hipError_tT0_T1_T2_jT3_P12ihipStream_tbPNSt15iterator_traitsISH_E10value_typeEPNSN_ISI_E10value_typeEPSJ_NS1_7vsmem_tEENKUlT_SH_SI_SJ_E_clIS9_S9_PlSD_EESG_SW_SH_SI_SJ_EUlSW_E_NS1_11comp_targetILNS1_3genE4ELNS1_11target_archE910ELNS1_3gpuE8ELNS1_3repE0EEENS1_48merge_mergepath_partition_config_static_selectorELNS0_4arch9wavefront6targetE1EEEvSI_,"axG",@progbits,_ZN7rocprim17ROCPRIM_400000_NS6detail17trampoline_kernelINS0_14default_configENS1_38merge_sort_block_merge_config_selectorIN3c108BFloat16ElEEZZNS1_27merge_sort_block_merge_implIS3_PS6_N6thrust23THRUST_200600_302600_NS10device_ptrIlEEmNSB_4lessIS6_EEEE10hipError_tT0_T1_T2_jT3_P12ihipStream_tbPNSt15iterator_traitsISH_E10value_typeEPNSN_ISI_E10value_typeEPSJ_NS1_7vsmem_tEENKUlT_SH_SI_SJ_E_clIS9_S9_PlSD_EESG_SW_SH_SI_SJ_EUlSW_E_NS1_11comp_targetILNS1_3genE4ELNS1_11target_archE910ELNS1_3gpuE8ELNS1_3repE0EEENS1_48merge_mergepath_partition_config_static_selectorELNS0_4arch9wavefront6targetE1EEEvSI_,comdat
.Lfunc_end1982:
	.size	_ZN7rocprim17ROCPRIM_400000_NS6detail17trampoline_kernelINS0_14default_configENS1_38merge_sort_block_merge_config_selectorIN3c108BFloat16ElEEZZNS1_27merge_sort_block_merge_implIS3_PS6_N6thrust23THRUST_200600_302600_NS10device_ptrIlEEmNSB_4lessIS6_EEEE10hipError_tT0_T1_T2_jT3_P12ihipStream_tbPNSt15iterator_traitsISH_E10value_typeEPNSN_ISI_E10value_typeEPSJ_NS1_7vsmem_tEENKUlT_SH_SI_SJ_E_clIS9_S9_PlSD_EESG_SW_SH_SI_SJ_EUlSW_E_NS1_11comp_targetILNS1_3genE4ELNS1_11target_archE910ELNS1_3gpuE8ELNS1_3repE0EEENS1_48merge_mergepath_partition_config_static_selectorELNS0_4arch9wavefront6targetE1EEEvSI_, .Lfunc_end1982-_ZN7rocprim17ROCPRIM_400000_NS6detail17trampoline_kernelINS0_14default_configENS1_38merge_sort_block_merge_config_selectorIN3c108BFloat16ElEEZZNS1_27merge_sort_block_merge_implIS3_PS6_N6thrust23THRUST_200600_302600_NS10device_ptrIlEEmNSB_4lessIS6_EEEE10hipError_tT0_T1_T2_jT3_P12ihipStream_tbPNSt15iterator_traitsISH_E10value_typeEPNSN_ISI_E10value_typeEPSJ_NS1_7vsmem_tEENKUlT_SH_SI_SJ_E_clIS9_S9_PlSD_EESG_SW_SH_SI_SJ_EUlSW_E_NS1_11comp_targetILNS1_3genE4ELNS1_11target_archE910ELNS1_3gpuE8ELNS1_3repE0EEENS1_48merge_mergepath_partition_config_static_selectorELNS0_4arch9wavefront6targetE1EEEvSI_
                                        ; -- End function
	.section	.AMDGPU.csdata,"",@progbits
; Kernel info:
; codeLenInByte = 508
; NumSgprs: 12
; NumVgprs: 19
; NumAgprs: 0
; TotalNumVgprs: 19
; ScratchSize: 0
; MemoryBound: 0
; FloatMode: 240
; IeeeMode: 1
; LDSByteSize: 0 bytes/workgroup (compile time only)
; SGPRBlocks: 1
; VGPRBlocks: 2
; NumSGPRsForWavesPerEU: 12
; NumVGPRsForWavesPerEU: 19
; AccumOffset: 20
; Occupancy: 8
; WaveLimiterHint : 0
; COMPUTE_PGM_RSRC2:SCRATCH_EN: 0
; COMPUTE_PGM_RSRC2:USER_SGPR: 6
; COMPUTE_PGM_RSRC2:TRAP_HANDLER: 0
; COMPUTE_PGM_RSRC2:TGID_X_EN: 1
; COMPUTE_PGM_RSRC2:TGID_Y_EN: 0
; COMPUTE_PGM_RSRC2:TGID_Z_EN: 0
; COMPUTE_PGM_RSRC2:TIDIG_COMP_CNT: 0
; COMPUTE_PGM_RSRC3_GFX90A:ACCUM_OFFSET: 4
; COMPUTE_PGM_RSRC3_GFX90A:TG_SPLIT: 0
	.section	.text._ZN7rocprim17ROCPRIM_400000_NS6detail17trampoline_kernelINS0_14default_configENS1_38merge_sort_block_merge_config_selectorIN3c108BFloat16ElEEZZNS1_27merge_sort_block_merge_implIS3_PS6_N6thrust23THRUST_200600_302600_NS10device_ptrIlEEmNSB_4lessIS6_EEEE10hipError_tT0_T1_T2_jT3_P12ihipStream_tbPNSt15iterator_traitsISH_E10value_typeEPNSN_ISI_E10value_typeEPSJ_NS1_7vsmem_tEENKUlT_SH_SI_SJ_E_clIS9_S9_PlSD_EESG_SW_SH_SI_SJ_EUlSW_E_NS1_11comp_targetILNS1_3genE3ELNS1_11target_archE908ELNS1_3gpuE7ELNS1_3repE0EEENS1_48merge_mergepath_partition_config_static_selectorELNS0_4arch9wavefront6targetE1EEEvSI_,"axG",@progbits,_ZN7rocprim17ROCPRIM_400000_NS6detail17trampoline_kernelINS0_14default_configENS1_38merge_sort_block_merge_config_selectorIN3c108BFloat16ElEEZZNS1_27merge_sort_block_merge_implIS3_PS6_N6thrust23THRUST_200600_302600_NS10device_ptrIlEEmNSB_4lessIS6_EEEE10hipError_tT0_T1_T2_jT3_P12ihipStream_tbPNSt15iterator_traitsISH_E10value_typeEPNSN_ISI_E10value_typeEPSJ_NS1_7vsmem_tEENKUlT_SH_SI_SJ_E_clIS9_S9_PlSD_EESG_SW_SH_SI_SJ_EUlSW_E_NS1_11comp_targetILNS1_3genE3ELNS1_11target_archE908ELNS1_3gpuE7ELNS1_3repE0EEENS1_48merge_mergepath_partition_config_static_selectorELNS0_4arch9wavefront6targetE1EEEvSI_,comdat
	.protected	_ZN7rocprim17ROCPRIM_400000_NS6detail17trampoline_kernelINS0_14default_configENS1_38merge_sort_block_merge_config_selectorIN3c108BFloat16ElEEZZNS1_27merge_sort_block_merge_implIS3_PS6_N6thrust23THRUST_200600_302600_NS10device_ptrIlEEmNSB_4lessIS6_EEEE10hipError_tT0_T1_T2_jT3_P12ihipStream_tbPNSt15iterator_traitsISH_E10value_typeEPNSN_ISI_E10value_typeEPSJ_NS1_7vsmem_tEENKUlT_SH_SI_SJ_E_clIS9_S9_PlSD_EESG_SW_SH_SI_SJ_EUlSW_E_NS1_11comp_targetILNS1_3genE3ELNS1_11target_archE908ELNS1_3gpuE7ELNS1_3repE0EEENS1_48merge_mergepath_partition_config_static_selectorELNS0_4arch9wavefront6targetE1EEEvSI_ ; -- Begin function _ZN7rocprim17ROCPRIM_400000_NS6detail17trampoline_kernelINS0_14default_configENS1_38merge_sort_block_merge_config_selectorIN3c108BFloat16ElEEZZNS1_27merge_sort_block_merge_implIS3_PS6_N6thrust23THRUST_200600_302600_NS10device_ptrIlEEmNSB_4lessIS6_EEEE10hipError_tT0_T1_T2_jT3_P12ihipStream_tbPNSt15iterator_traitsISH_E10value_typeEPNSN_ISI_E10value_typeEPSJ_NS1_7vsmem_tEENKUlT_SH_SI_SJ_E_clIS9_S9_PlSD_EESG_SW_SH_SI_SJ_EUlSW_E_NS1_11comp_targetILNS1_3genE3ELNS1_11target_archE908ELNS1_3gpuE7ELNS1_3repE0EEENS1_48merge_mergepath_partition_config_static_selectorELNS0_4arch9wavefront6targetE1EEEvSI_
	.globl	_ZN7rocprim17ROCPRIM_400000_NS6detail17trampoline_kernelINS0_14default_configENS1_38merge_sort_block_merge_config_selectorIN3c108BFloat16ElEEZZNS1_27merge_sort_block_merge_implIS3_PS6_N6thrust23THRUST_200600_302600_NS10device_ptrIlEEmNSB_4lessIS6_EEEE10hipError_tT0_T1_T2_jT3_P12ihipStream_tbPNSt15iterator_traitsISH_E10value_typeEPNSN_ISI_E10value_typeEPSJ_NS1_7vsmem_tEENKUlT_SH_SI_SJ_E_clIS9_S9_PlSD_EESG_SW_SH_SI_SJ_EUlSW_E_NS1_11comp_targetILNS1_3genE3ELNS1_11target_archE908ELNS1_3gpuE7ELNS1_3repE0EEENS1_48merge_mergepath_partition_config_static_selectorELNS0_4arch9wavefront6targetE1EEEvSI_
	.p2align	8
	.type	_ZN7rocprim17ROCPRIM_400000_NS6detail17trampoline_kernelINS0_14default_configENS1_38merge_sort_block_merge_config_selectorIN3c108BFloat16ElEEZZNS1_27merge_sort_block_merge_implIS3_PS6_N6thrust23THRUST_200600_302600_NS10device_ptrIlEEmNSB_4lessIS6_EEEE10hipError_tT0_T1_T2_jT3_P12ihipStream_tbPNSt15iterator_traitsISH_E10value_typeEPNSN_ISI_E10value_typeEPSJ_NS1_7vsmem_tEENKUlT_SH_SI_SJ_E_clIS9_S9_PlSD_EESG_SW_SH_SI_SJ_EUlSW_E_NS1_11comp_targetILNS1_3genE3ELNS1_11target_archE908ELNS1_3gpuE7ELNS1_3repE0EEENS1_48merge_mergepath_partition_config_static_selectorELNS0_4arch9wavefront6targetE1EEEvSI_,@function
_ZN7rocprim17ROCPRIM_400000_NS6detail17trampoline_kernelINS0_14default_configENS1_38merge_sort_block_merge_config_selectorIN3c108BFloat16ElEEZZNS1_27merge_sort_block_merge_implIS3_PS6_N6thrust23THRUST_200600_302600_NS10device_ptrIlEEmNSB_4lessIS6_EEEE10hipError_tT0_T1_T2_jT3_P12ihipStream_tbPNSt15iterator_traitsISH_E10value_typeEPNSN_ISI_E10value_typeEPSJ_NS1_7vsmem_tEENKUlT_SH_SI_SJ_E_clIS9_S9_PlSD_EESG_SW_SH_SI_SJ_EUlSW_E_NS1_11comp_targetILNS1_3genE3ELNS1_11target_archE908ELNS1_3gpuE7ELNS1_3repE0EEENS1_48merge_mergepath_partition_config_static_selectorELNS0_4arch9wavefront6targetE1EEEvSI_: ; @_ZN7rocprim17ROCPRIM_400000_NS6detail17trampoline_kernelINS0_14default_configENS1_38merge_sort_block_merge_config_selectorIN3c108BFloat16ElEEZZNS1_27merge_sort_block_merge_implIS3_PS6_N6thrust23THRUST_200600_302600_NS10device_ptrIlEEmNSB_4lessIS6_EEEE10hipError_tT0_T1_T2_jT3_P12ihipStream_tbPNSt15iterator_traitsISH_E10value_typeEPNSN_ISI_E10value_typeEPSJ_NS1_7vsmem_tEENKUlT_SH_SI_SJ_E_clIS9_S9_PlSD_EESG_SW_SH_SI_SJ_EUlSW_E_NS1_11comp_targetILNS1_3genE3ELNS1_11target_archE908ELNS1_3gpuE7ELNS1_3repE0EEENS1_48merge_mergepath_partition_config_static_selectorELNS0_4arch9wavefront6targetE1EEEvSI_
; %bb.0:
	.section	.rodata,"a",@progbits
	.p2align	6, 0x0
	.amdhsa_kernel _ZN7rocprim17ROCPRIM_400000_NS6detail17trampoline_kernelINS0_14default_configENS1_38merge_sort_block_merge_config_selectorIN3c108BFloat16ElEEZZNS1_27merge_sort_block_merge_implIS3_PS6_N6thrust23THRUST_200600_302600_NS10device_ptrIlEEmNSB_4lessIS6_EEEE10hipError_tT0_T1_T2_jT3_P12ihipStream_tbPNSt15iterator_traitsISH_E10value_typeEPNSN_ISI_E10value_typeEPSJ_NS1_7vsmem_tEENKUlT_SH_SI_SJ_E_clIS9_S9_PlSD_EESG_SW_SH_SI_SJ_EUlSW_E_NS1_11comp_targetILNS1_3genE3ELNS1_11target_archE908ELNS1_3gpuE7ELNS1_3repE0EEENS1_48merge_mergepath_partition_config_static_selectorELNS0_4arch9wavefront6targetE1EEEvSI_
		.amdhsa_group_segment_fixed_size 0
		.amdhsa_private_segment_fixed_size 0
		.amdhsa_kernarg_size 48
		.amdhsa_user_sgpr_count 6
		.amdhsa_user_sgpr_private_segment_buffer 1
		.amdhsa_user_sgpr_dispatch_ptr 0
		.amdhsa_user_sgpr_queue_ptr 0
		.amdhsa_user_sgpr_kernarg_segment_ptr 1
		.amdhsa_user_sgpr_dispatch_id 0
		.amdhsa_user_sgpr_flat_scratch_init 0
		.amdhsa_user_sgpr_kernarg_preload_length 0
		.amdhsa_user_sgpr_kernarg_preload_offset 0
		.amdhsa_user_sgpr_private_segment_size 0
		.amdhsa_uses_dynamic_stack 0
		.amdhsa_system_sgpr_private_segment_wavefront_offset 0
		.amdhsa_system_sgpr_workgroup_id_x 1
		.amdhsa_system_sgpr_workgroup_id_y 0
		.amdhsa_system_sgpr_workgroup_id_z 0
		.amdhsa_system_sgpr_workgroup_info 0
		.amdhsa_system_vgpr_workitem_id 0
		.amdhsa_next_free_vgpr 1
		.amdhsa_next_free_sgpr 0
		.amdhsa_accum_offset 4
		.amdhsa_reserve_vcc 0
		.amdhsa_reserve_flat_scratch 0
		.amdhsa_float_round_mode_32 0
		.amdhsa_float_round_mode_16_64 0
		.amdhsa_float_denorm_mode_32 3
		.amdhsa_float_denorm_mode_16_64 3
		.amdhsa_dx10_clamp 1
		.amdhsa_ieee_mode 1
		.amdhsa_fp16_overflow 0
		.amdhsa_tg_split 0
		.amdhsa_exception_fp_ieee_invalid_op 0
		.amdhsa_exception_fp_denorm_src 0
		.amdhsa_exception_fp_ieee_div_zero 0
		.amdhsa_exception_fp_ieee_overflow 0
		.amdhsa_exception_fp_ieee_underflow 0
		.amdhsa_exception_fp_ieee_inexact 0
		.amdhsa_exception_int_div_zero 0
	.end_amdhsa_kernel
	.section	.text._ZN7rocprim17ROCPRIM_400000_NS6detail17trampoline_kernelINS0_14default_configENS1_38merge_sort_block_merge_config_selectorIN3c108BFloat16ElEEZZNS1_27merge_sort_block_merge_implIS3_PS6_N6thrust23THRUST_200600_302600_NS10device_ptrIlEEmNSB_4lessIS6_EEEE10hipError_tT0_T1_T2_jT3_P12ihipStream_tbPNSt15iterator_traitsISH_E10value_typeEPNSN_ISI_E10value_typeEPSJ_NS1_7vsmem_tEENKUlT_SH_SI_SJ_E_clIS9_S9_PlSD_EESG_SW_SH_SI_SJ_EUlSW_E_NS1_11comp_targetILNS1_3genE3ELNS1_11target_archE908ELNS1_3gpuE7ELNS1_3repE0EEENS1_48merge_mergepath_partition_config_static_selectorELNS0_4arch9wavefront6targetE1EEEvSI_,"axG",@progbits,_ZN7rocprim17ROCPRIM_400000_NS6detail17trampoline_kernelINS0_14default_configENS1_38merge_sort_block_merge_config_selectorIN3c108BFloat16ElEEZZNS1_27merge_sort_block_merge_implIS3_PS6_N6thrust23THRUST_200600_302600_NS10device_ptrIlEEmNSB_4lessIS6_EEEE10hipError_tT0_T1_T2_jT3_P12ihipStream_tbPNSt15iterator_traitsISH_E10value_typeEPNSN_ISI_E10value_typeEPSJ_NS1_7vsmem_tEENKUlT_SH_SI_SJ_E_clIS9_S9_PlSD_EESG_SW_SH_SI_SJ_EUlSW_E_NS1_11comp_targetILNS1_3genE3ELNS1_11target_archE908ELNS1_3gpuE7ELNS1_3repE0EEENS1_48merge_mergepath_partition_config_static_selectorELNS0_4arch9wavefront6targetE1EEEvSI_,comdat
.Lfunc_end1983:
	.size	_ZN7rocprim17ROCPRIM_400000_NS6detail17trampoline_kernelINS0_14default_configENS1_38merge_sort_block_merge_config_selectorIN3c108BFloat16ElEEZZNS1_27merge_sort_block_merge_implIS3_PS6_N6thrust23THRUST_200600_302600_NS10device_ptrIlEEmNSB_4lessIS6_EEEE10hipError_tT0_T1_T2_jT3_P12ihipStream_tbPNSt15iterator_traitsISH_E10value_typeEPNSN_ISI_E10value_typeEPSJ_NS1_7vsmem_tEENKUlT_SH_SI_SJ_E_clIS9_S9_PlSD_EESG_SW_SH_SI_SJ_EUlSW_E_NS1_11comp_targetILNS1_3genE3ELNS1_11target_archE908ELNS1_3gpuE7ELNS1_3repE0EEENS1_48merge_mergepath_partition_config_static_selectorELNS0_4arch9wavefront6targetE1EEEvSI_, .Lfunc_end1983-_ZN7rocprim17ROCPRIM_400000_NS6detail17trampoline_kernelINS0_14default_configENS1_38merge_sort_block_merge_config_selectorIN3c108BFloat16ElEEZZNS1_27merge_sort_block_merge_implIS3_PS6_N6thrust23THRUST_200600_302600_NS10device_ptrIlEEmNSB_4lessIS6_EEEE10hipError_tT0_T1_T2_jT3_P12ihipStream_tbPNSt15iterator_traitsISH_E10value_typeEPNSN_ISI_E10value_typeEPSJ_NS1_7vsmem_tEENKUlT_SH_SI_SJ_E_clIS9_S9_PlSD_EESG_SW_SH_SI_SJ_EUlSW_E_NS1_11comp_targetILNS1_3genE3ELNS1_11target_archE908ELNS1_3gpuE7ELNS1_3repE0EEENS1_48merge_mergepath_partition_config_static_selectorELNS0_4arch9wavefront6targetE1EEEvSI_
                                        ; -- End function
	.section	.AMDGPU.csdata,"",@progbits
; Kernel info:
; codeLenInByte = 0
; NumSgprs: 4
; NumVgprs: 0
; NumAgprs: 0
; TotalNumVgprs: 0
; ScratchSize: 0
; MemoryBound: 0
; FloatMode: 240
; IeeeMode: 1
; LDSByteSize: 0 bytes/workgroup (compile time only)
; SGPRBlocks: 0
; VGPRBlocks: 0
; NumSGPRsForWavesPerEU: 4
; NumVGPRsForWavesPerEU: 1
; AccumOffset: 4
; Occupancy: 8
; WaveLimiterHint : 0
; COMPUTE_PGM_RSRC2:SCRATCH_EN: 0
; COMPUTE_PGM_RSRC2:USER_SGPR: 6
; COMPUTE_PGM_RSRC2:TRAP_HANDLER: 0
; COMPUTE_PGM_RSRC2:TGID_X_EN: 1
; COMPUTE_PGM_RSRC2:TGID_Y_EN: 0
; COMPUTE_PGM_RSRC2:TGID_Z_EN: 0
; COMPUTE_PGM_RSRC2:TIDIG_COMP_CNT: 0
; COMPUTE_PGM_RSRC3_GFX90A:ACCUM_OFFSET: 0
; COMPUTE_PGM_RSRC3_GFX90A:TG_SPLIT: 0
	.section	.text._ZN7rocprim17ROCPRIM_400000_NS6detail17trampoline_kernelINS0_14default_configENS1_38merge_sort_block_merge_config_selectorIN3c108BFloat16ElEEZZNS1_27merge_sort_block_merge_implIS3_PS6_N6thrust23THRUST_200600_302600_NS10device_ptrIlEEmNSB_4lessIS6_EEEE10hipError_tT0_T1_T2_jT3_P12ihipStream_tbPNSt15iterator_traitsISH_E10value_typeEPNSN_ISI_E10value_typeEPSJ_NS1_7vsmem_tEENKUlT_SH_SI_SJ_E_clIS9_S9_PlSD_EESG_SW_SH_SI_SJ_EUlSW_E_NS1_11comp_targetILNS1_3genE2ELNS1_11target_archE906ELNS1_3gpuE6ELNS1_3repE0EEENS1_48merge_mergepath_partition_config_static_selectorELNS0_4arch9wavefront6targetE1EEEvSI_,"axG",@progbits,_ZN7rocprim17ROCPRIM_400000_NS6detail17trampoline_kernelINS0_14default_configENS1_38merge_sort_block_merge_config_selectorIN3c108BFloat16ElEEZZNS1_27merge_sort_block_merge_implIS3_PS6_N6thrust23THRUST_200600_302600_NS10device_ptrIlEEmNSB_4lessIS6_EEEE10hipError_tT0_T1_T2_jT3_P12ihipStream_tbPNSt15iterator_traitsISH_E10value_typeEPNSN_ISI_E10value_typeEPSJ_NS1_7vsmem_tEENKUlT_SH_SI_SJ_E_clIS9_S9_PlSD_EESG_SW_SH_SI_SJ_EUlSW_E_NS1_11comp_targetILNS1_3genE2ELNS1_11target_archE906ELNS1_3gpuE6ELNS1_3repE0EEENS1_48merge_mergepath_partition_config_static_selectorELNS0_4arch9wavefront6targetE1EEEvSI_,comdat
	.protected	_ZN7rocprim17ROCPRIM_400000_NS6detail17trampoline_kernelINS0_14default_configENS1_38merge_sort_block_merge_config_selectorIN3c108BFloat16ElEEZZNS1_27merge_sort_block_merge_implIS3_PS6_N6thrust23THRUST_200600_302600_NS10device_ptrIlEEmNSB_4lessIS6_EEEE10hipError_tT0_T1_T2_jT3_P12ihipStream_tbPNSt15iterator_traitsISH_E10value_typeEPNSN_ISI_E10value_typeEPSJ_NS1_7vsmem_tEENKUlT_SH_SI_SJ_E_clIS9_S9_PlSD_EESG_SW_SH_SI_SJ_EUlSW_E_NS1_11comp_targetILNS1_3genE2ELNS1_11target_archE906ELNS1_3gpuE6ELNS1_3repE0EEENS1_48merge_mergepath_partition_config_static_selectorELNS0_4arch9wavefront6targetE1EEEvSI_ ; -- Begin function _ZN7rocprim17ROCPRIM_400000_NS6detail17trampoline_kernelINS0_14default_configENS1_38merge_sort_block_merge_config_selectorIN3c108BFloat16ElEEZZNS1_27merge_sort_block_merge_implIS3_PS6_N6thrust23THRUST_200600_302600_NS10device_ptrIlEEmNSB_4lessIS6_EEEE10hipError_tT0_T1_T2_jT3_P12ihipStream_tbPNSt15iterator_traitsISH_E10value_typeEPNSN_ISI_E10value_typeEPSJ_NS1_7vsmem_tEENKUlT_SH_SI_SJ_E_clIS9_S9_PlSD_EESG_SW_SH_SI_SJ_EUlSW_E_NS1_11comp_targetILNS1_3genE2ELNS1_11target_archE906ELNS1_3gpuE6ELNS1_3repE0EEENS1_48merge_mergepath_partition_config_static_selectorELNS0_4arch9wavefront6targetE1EEEvSI_
	.globl	_ZN7rocprim17ROCPRIM_400000_NS6detail17trampoline_kernelINS0_14default_configENS1_38merge_sort_block_merge_config_selectorIN3c108BFloat16ElEEZZNS1_27merge_sort_block_merge_implIS3_PS6_N6thrust23THRUST_200600_302600_NS10device_ptrIlEEmNSB_4lessIS6_EEEE10hipError_tT0_T1_T2_jT3_P12ihipStream_tbPNSt15iterator_traitsISH_E10value_typeEPNSN_ISI_E10value_typeEPSJ_NS1_7vsmem_tEENKUlT_SH_SI_SJ_E_clIS9_S9_PlSD_EESG_SW_SH_SI_SJ_EUlSW_E_NS1_11comp_targetILNS1_3genE2ELNS1_11target_archE906ELNS1_3gpuE6ELNS1_3repE0EEENS1_48merge_mergepath_partition_config_static_selectorELNS0_4arch9wavefront6targetE1EEEvSI_
	.p2align	8
	.type	_ZN7rocprim17ROCPRIM_400000_NS6detail17trampoline_kernelINS0_14default_configENS1_38merge_sort_block_merge_config_selectorIN3c108BFloat16ElEEZZNS1_27merge_sort_block_merge_implIS3_PS6_N6thrust23THRUST_200600_302600_NS10device_ptrIlEEmNSB_4lessIS6_EEEE10hipError_tT0_T1_T2_jT3_P12ihipStream_tbPNSt15iterator_traitsISH_E10value_typeEPNSN_ISI_E10value_typeEPSJ_NS1_7vsmem_tEENKUlT_SH_SI_SJ_E_clIS9_S9_PlSD_EESG_SW_SH_SI_SJ_EUlSW_E_NS1_11comp_targetILNS1_3genE2ELNS1_11target_archE906ELNS1_3gpuE6ELNS1_3repE0EEENS1_48merge_mergepath_partition_config_static_selectorELNS0_4arch9wavefront6targetE1EEEvSI_,@function
_ZN7rocprim17ROCPRIM_400000_NS6detail17trampoline_kernelINS0_14default_configENS1_38merge_sort_block_merge_config_selectorIN3c108BFloat16ElEEZZNS1_27merge_sort_block_merge_implIS3_PS6_N6thrust23THRUST_200600_302600_NS10device_ptrIlEEmNSB_4lessIS6_EEEE10hipError_tT0_T1_T2_jT3_P12ihipStream_tbPNSt15iterator_traitsISH_E10value_typeEPNSN_ISI_E10value_typeEPSJ_NS1_7vsmem_tEENKUlT_SH_SI_SJ_E_clIS9_S9_PlSD_EESG_SW_SH_SI_SJ_EUlSW_E_NS1_11comp_targetILNS1_3genE2ELNS1_11target_archE906ELNS1_3gpuE6ELNS1_3repE0EEENS1_48merge_mergepath_partition_config_static_selectorELNS0_4arch9wavefront6targetE1EEEvSI_: ; @_ZN7rocprim17ROCPRIM_400000_NS6detail17trampoline_kernelINS0_14default_configENS1_38merge_sort_block_merge_config_selectorIN3c108BFloat16ElEEZZNS1_27merge_sort_block_merge_implIS3_PS6_N6thrust23THRUST_200600_302600_NS10device_ptrIlEEmNSB_4lessIS6_EEEE10hipError_tT0_T1_T2_jT3_P12ihipStream_tbPNSt15iterator_traitsISH_E10value_typeEPNSN_ISI_E10value_typeEPSJ_NS1_7vsmem_tEENKUlT_SH_SI_SJ_E_clIS9_S9_PlSD_EESG_SW_SH_SI_SJ_EUlSW_E_NS1_11comp_targetILNS1_3genE2ELNS1_11target_archE906ELNS1_3gpuE6ELNS1_3repE0EEENS1_48merge_mergepath_partition_config_static_selectorELNS0_4arch9wavefront6targetE1EEEvSI_
; %bb.0:
	.section	.rodata,"a",@progbits
	.p2align	6, 0x0
	.amdhsa_kernel _ZN7rocprim17ROCPRIM_400000_NS6detail17trampoline_kernelINS0_14default_configENS1_38merge_sort_block_merge_config_selectorIN3c108BFloat16ElEEZZNS1_27merge_sort_block_merge_implIS3_PS6_N6thrust23THRUST_200600_302600_NS10device_ptrIlEEmNSB_4lessIS6_EEEE10hipError_tT0_T1_T2_jT3_P12ihipStream_tbPNSt15iterator_traitsISH_E10value_typeEPNSN_ISI_E10value_typeEPSJ_NS1_7vsmem_tEENKUlT_SH_SI_SJ_E_clIS9_S9_PlSD_EESG_SW_SH_SI_SJ_EUlSW_E_NS1_11comp_targetILNS1_3genE2ELNS1_11target_archE906ELNS1_3gpuE6ELNS1_3repE0EEENS1_48merge_mergepath_partition_config_static_selectorELNS0_4arch9wavefront6targetE1EEEvSI_
		.amdhsa_group_segment_fixed_size 0
		.amdhsa_private_segment_fixed_size 0
		.amdhsa_kernarg_size 48
		.amdhsa_user_sgpr_count 6
		.amdhsa_user_sgpr_private_segment_buffer 1
		.amdhsa_user_sgpr_dispatch_ptr 0
		.amdhsa_user_sgpr_queue_ptr 0
		.amdhsa_user_sgpr_kernarg_segment_ptr 1
		.amdhsa_user_sgpr_dispatch_id 0
		.amdhsa_user_sgpr_flat_scratch_init 0
		.amdhsa_user_sgpr_kernarg_preload_length 0
		.amdhsa_user_sgpr_kernarg_preload_offset 0
		.amdhsa_user_sgpr_private_segment_size 0
		.amdhsa_uses_dynamic_stack 0
		.amdhsa_system_sgpr_private_segment_wavefront_offset 0
		.amdhsa_system_sgpr_workgroup_id_x 1
		.amdhsa_system_sgpr_workgroup_id_y 0
		.amdhsa_system_sgpr_workgroup_id_z 0
		.amdhsa_system_sgpr_workgroup_info 0
		.amdhsa_system_vgpr_workitem_id 0
		.amdhsa_next_free_vgpr 1
		.amdhsa_next_free_sgpr 0
		.amdhsa_accum_offset 4
		.amdhsa_reserve_vcc 0
		.amdhsa_reserve_flat_scratch 0
		.amdhsa_float_round_mode_32 0
		.amdhsa_float_round_mode_16_64 0
		.amdhsa_float_denorm_mode_32 3
		.amdhsa_float_denorm_mode_16_64 3
		.amdhsa_dx10_clamp 1
		.amdhsa_ieee_mode 1
		.amdhsa_fp16_overflow 0
		.amdhsa_tg_split 0
		.amdhsa_exception_fp_ieee_invalid_op 0
		.amdhsa_exception_fp_denorm_src 0
		.amdhsa_exception_fp_ieee_div_zero 0
		.amdhsa_exception_fp_ieee_overflow 0
		.amdhsa_exception_fp_ieee_underflow 0
		.amdhsa_exception_fp_ieee_inexact 0
		.amdhsa_exception_int_div_zero 0
	.end_amdhsa_kernel
	.section	.text._ZN7rocprim17ROCPRIM_400000_NS6detail17trampoline_kernelINS0_14default_configENS1_38merge_sort_block_merge_config_selectorIN3c108BFloat16ElEEZZNS1_27merge_sort_block_merge_implIS3_PS6_N6thrust23THRUST_200600_302600_NS10device_ptrIlEEmNSB_4lessIS6_EEEE10hipError_tT0_T1_T2_jT3_P12ihipStream_tbPNSt15iterator_traitsISH_E10value_typeEPNSN_ISI_E10value_typeEPSJ_NS1_7vsmem_tEENKUlT_SH_SI_SJ_E_clIS9_S9_PlSD_EESG_SW_SH_SI_SJ_EUlSW_E_NS1_11comp_targetILNS1_3genE2ELNS1_11target_archE906ELNS1_3gpuE6ELNS1_3repE0EEENS1_48merge_mergepath_partition_config_static_selectorELNS0_4arch9wavefront6targetE1EEEvSI_,"axG",@progbits,_ZN7rocprim17ROCPRIM_400000_NS6detail17trampoline_kernelINS0_14default_configENS1_38merge_sort_block_merge_config_selectorIN3c108BFloat16ElEEZZNS1_27merge_sort_block_merge_implIS3_PS6_N6thrust23THRUST_200600_302600_NS10device_ptrIlEEmNSB_4lessIS6_EEEE10hipError_tT0_T1_T2_jT3_P12ihipStream_tbPNSt15iterator_traitsISH_E10value_typeEPNSN_ISI_E10value_typeEPSJ_NS1_7vsmem_tEENKUlT_SH_SI_SJ_E_clIS9_S9_PlSD_EESG_SW_SH_SI_SJ_EUlSW_E_NS1_11comp_targetILNS1_3genE2ELNS1_11target_archE906ELNS1_3gpuE6ELNS1_3repE0EEENS1_48merge_mergepath_partition_config_static_selectorELNS0_4arch9wavefront6targetE1EEEvSI_,comdat
.Lfunc_end1984:
	.size	_ZN7rocprim17ROCPRIM_400000_NS6detail17trampoline_kernelINS0_14default_configENS1_38merge_sort_block_merge_config_selectorIN3c108BFloat16ElEEZZNS1_27merge_sort_block_merge_implIS3_PS6_N6thrust23THRUST_200600_302600_NS10device_ptrIlEEmNSB_4lessIS6_EEEE10hipError_tT0_T1_T2_jT3_P12ihipStream_tbPNSt15iterator_traitsISH_E10value_typeEPNSN_ISI_E10value_typeEPSJ_NS1_7vsmem_tEENKUlT_SH_SI_SJ_E_clIS9_S9_PlSD_EESG_SW_SH_SI_SJ_EUlSW_E_NS1_11comp_targetILNS1_3genE2ELNS1_11target_archE906ELNS1_3gpuE6ELNS1_3repE0EEENS1_48merge_mergepath_partition_config_static_selectorELNS0_4arch9wavefront6targetE1EEEvSI_, .Lfunc_end1984-_ZN7rocprim17ROCPRIM_400000_NS6detail17trampoline_kernelINS0_14default_configENS1_38merge_sort_block_merge_config_selectorIN3c108BFloat16ElEEZZNS1_27merge_sort_block_merge_implIS3_PS6_N6thrust23THRUST_200600_302600_NS10device_ptrIlEEmNSB_4lessIS6_EEEE10hipError_tT0_T1_T2_jT3_P12ihipStream_tbPNSt15iterator_traitsISH_E10value_typeEPNSN_ISI_E10value_typeEPSJ_NS1_7vsmem_tEENKUlT_SH_SI_SJ_E_clIS9_S9_PlSD_EESG_SW_SH_SI_SJ_EUlSW_E_NS1_11comp_targetILNS1_3genE2ELNS1_11target_archE906ELNS1_3gpuE6ELNS1_3repE0EEENS1_48merge_mergepath_partition_config_static_selectorELNS0_4arch9wavefront6targetE1EEEvSI_
                                        ; -- End function
	.section	.AMDGPU.csdata,"",@progbits
; Kernel info:
; codeLenInByte = 0
; NumSgprs: 4
; NumVgprs: 0
; NumAgprs: 0
; TotalNumVgprs: 0
; ScratchSize: 0
; MemoryBound: 0
; FloatMode: 240
; IeeeMode: 1
; LDSByteSize: 0 bytes/workgroup (compile time only)
; SGPRBlocks: 0
; VGPRBlocks: 0
; NumSGPRsForWavesPerEU: 4
; NumVGPRsForWavesPerEU: 1
; AccumOffset: 4
; Occupancy: 8
; WaveLimiterHint : 0
; COMPUTE_PGM_RSRC2:SCRATCH_EN: 0
; COMPUTE_PGM_RSRC2:USER_SGPR: 6
; COMPUTE_PGM_RSRC2:TRAP_HANDLER: 0
; COMPUTE_PGM_RSRC2:TGID_X_EN: 1
; COMPUTE_PGM_RSRC2:TGID_Y_EN: 0
; COMPUTE_PGM_RSRC2:TGID_Z_EN: 0
; COMPUTE_PGM_RSRC2:TIDIG_COMP_CNT: 0
; COMPUTE_PGM_RSRC3_GFX90A:ACCUM_OFFSET: 0
; COMPUTE_PGM_RSRC3_GFX90A:TG_SPLIT: 0
	.section	.text._ZN7rocprim17ROCPRIM_400000_NS6detail17trampoline_kernelINS0_14default_configENS1_38merge_sort_block_merge_config_selectorIN3c108BFloat16ElEEZZNS1_27merge_sort_block_merge_implIS3_PS6_N6thrust23THRUST_200600_302600_NS10device_ptrIlEEmNSB_4lessIS6_EEEE10hipError_tT0_T1_T2_jT3_P12ihipStream_tbPNSt15iterator_traitsISH_E10value_typeEPNSN_ISI_E10value_typeEPSJ_NS1_7vsmem_tEENKUlT_SH_SI_SJ_E_clIS9_S9_PlSD_EESG_SW_SH_SI_SJ_EUlSW_E_NS1_11comp_targetILNS1_3genE9ELNS1_11target_archE1100ELNS1_3gpuE3ELNS1_3repE0EEENS1_48merge_mergepath_partition_config_static_selectorELNS0_4arch9wavefront6targetE1EEEvSI_,"axG",@progbits,_ZN7rocprim17ROCPRIM_400000_NS6detail17trampoline_kernelINS0_14default_configENS1_38merge_sort_block_merge_config_selectorIN3c108BFloat16ElEEZZNS1_27merge_sort_block_merge_implIS3_PS6_N6thrust23THRUST_200600_302600_NS10device_ptrIlEEmNSB_4lessIS6_EEEE10hipError_tT0_T1_T2_jT3_P12ihipStream_tbPNSt15iterator_traitsISH_E10value_typeEPNSN_ISI_E10value_typeEPSJ_NS1_7vsmem_tEENKUlT_SH_SI_SJ_E_clIS9_S9_PlSD_EESG_SW_SH_SI_SJ_EUlSW_E_NS1_11comp_targetILNS1_3genE9ELNS1_11target_archE1100ELNS1_3gpuE3ELNS1_3repE0EEENS1_48merge_mergepath_partition_config_static_selectorELNS0_4arch9wavefront6targetE1EEEvSI_,comdat
	.protected	_ZN7rocprim17ROCPRIM_400000_NS6detail17trampoline_kernelINS0_14default_configENS1_38merge_sort_block_merge_config_selectorIN3c108BFloat16ElEEZZNS1_27merge_sort_block_merge_implIS3_PS6_N6thrust23THRUST_200600_302600_NS10device_ptrIlEEmNSB_4lessIS6_EEEE10hipError_tT0_T1_T2_jT3_P12ihipStream_tbPNSt15iterator_traitsISH_E10value_typeEPNSN_ISI_E10value_typeEPSJ_NS1_7vsmem_tEENKUlT_SH_SI_SJ_E_clIS9_S9_PlSD_EESG_SW_SH_SI_SJ_EUlSW_E_NS1_11comp_targetILNS1_3genE9ELNS1_11target_archE1100ELNS1_3gpuE3ELNS1_3repE0EEENS1_48merge_mergepath_partition_config_static_selectorELNS0_4arch9wavefront6targetE1EEEvSI_ ; -- Begin function _ZN7rocprim17ROCPRIM_400000_NS6detail17trampoline_kernelINS0_14default_configENS1_38merge_sort_block_merge_config_selectorIN3c108BFloat16ElEEZZNS1_27merge_sort_block_merge_implIS3_PS6_N6thrust23THRUST_200600_302600_NS10device_ptrIlEEmNSB_4lessIS6_EEEE10hipError_tT0_T1_T2_jT3_P12ihipStream_tbPNSt15iterator_traitsISH_E10value_typeEPNSN_ISI_E10value_typeEPSJ_NS1_7vsmem_tEENKUlT_SH_SI_SJ_E_clIS9_S9_PlSD_EESG_SW_SH_SI_SJ_EUlSW_E_NS1_11comp_targetILNS1_3genE9ELNS1_11target_archE1100ELNS1_3gpuE3ELNS1_3repE0EEENS1_48merge_mergepath_partition_config_static_selectorELNS0_4arch9wavefront6targetE1EEEvSI_
	.globl	_ZN7rocprim17ROCPRIM_400000_NS6detail17trampoline_kernelINS0_14default_configENS1_38merge_sort_block_merge_config_selectorIN3c108BFloat16ElEEZZNS1_27merge_sort_block_merge_implIS3_PS6_N6thrust23THRUST_200600_302600_NS10device_ptrIlEEmNSB_4lessIS6_EEEE10hipError_tT0_T1_T2_jT3_P12ihipStream_tbPNSt15iterator_traitsISH_E10value_typeEPNSN_ISI_E10value_typeEPSJ_NS1_7vsmem_tEENKUlT_SH_SI_SJ_E_clIS9_S9_PlSD_EESG_SW_SH_SI_SJ_EUlSW_E_NS1_11comp_targetILNS1_3genE9ELNS1_11target_archE1100ELNS1_3gpuE3ELNS1_3repE0EEENS1_48merge_mergepath_partition_config_static_selectorELNS0_4arch9wavefront6targetE1EEEvSI_
	.p2align	8
	.type	_ZN7rocprim17ROCPRIM_400000_NS6detail17trampoline_kernelINS0_14default_configENS1_38merge_sort_block_merge_config_selectorIN3c108BFloat16ElEEZZNS1_27merge_sort_block_merge_implIS3_PS6_N6thrust23THRUST_200600_302600_NS10device_ptrIlEEmNSB_4lessIS6_EEEE10hipError_tT0_T1_T2_jT3_P12ihipStream_tbPNSt15iterator_traitsISH_E10value_typeEPNSN_ISI_E10value_typeEPSJ_NS1_7vsmem_tEENKUlT_SH_SI_SJ_E_clIS9_S9_PlSD_EESG_SW_SH_SI_SJ_EUlSW_E_NS1_11comp_targetILNS1_3genE9ELNS1_11target_archE1100ELNS1_3gpuE3ELNS1_3repE0EEENS1_48merge_mergepath_partition_config_static_selectorELNS0_4arch9wavefront6targetE1EEEvSI_,@function
_ZN7rocprim17ROCPRIM_400000_NS6detail17trampoline_kernelINS0_14default_configENS1_38merge_sort_block_merge_config_selectorIN3c108BFloat16ElEEZZNS1_27merge_sort_block_merge_implIS3_PS6_N6thrust23THRUST_200600_302600_NS10device_ptrIlEEmNSB_4lessIS6_EEEE10hipError_tT0_T1_T2_jT3_P12ihipStream_tbPNSt15iterator_traitsISH_E10value_typeEPNSN_ISI_E10value_typeEPSJ_NS1_7vsmem_tEENKUlT_SH_SI_SJ_E_clIS9_S9_PlSD_EESG_SW_SH_SI_SJ_EUlSW_E_NS1_11comp_targetILNS1_3genE9ELNS1_11target_archE1100ELNS1_3gpuE3ELNS1_3repE0EEENS1_48merge_mergepath_partition_config_static_selectorELNS0_4arch9wavefront6targetE1EEEvSI_: ; @_ZN7rocprim17ROCPRIM_400000_NS6detail17trampoline_kernelINS0_14default_configENS1_38merge_sort_block_merge_config_selectorIN3c108BFloat16ElEEZZNS1_27merge_sort_block_merge_implIS3_PS6_N6thrust23THRUST_200600_302600_NS10device_ptrIlEEmNSB_4lessIS6_EEEE10hipError_tT0_T1_T2_jT3_P12ihipStream_tbPNSt15iterator_traitsISH_E10value_typeEPNSN_ISI_E10value_typeEPSJ_NS1_7vsmem_tEENKUlT_SH_SI_SJ_E_clIS9_S9_PlSD_EESG_SW_SH_SI_SJ_EUlSW_E_NS1_11comp_targetILNS1_3genE9ELNS1_11target_archE1100ELNS1_3gpuE3ELNS1_3repE0EEENS1_48merge_mergepath_partition_config_static_selectorELNS0_4arch9wavefront6targetE1EEEvSI_
; %bb.0:
	.section	.rodata,"a",@progbits
	.p2align	6, 0x0
	.amdhsa_kernel _ZN7rocprim17ROCPRIM_400000_NS6detail17trampoline_kernelINS0_14default_configENS1_38merge_sort_block_merge_config_selectorIN3c108BFloat16ElEEZZNS1_27merge_sort_block_merge_implIS3_PS6_N6thrust23THRUST_200600_302600_NS10device_ptrIlEEmNSB_4lessIS6_EEEE10hipError_tT0_T1_T2_jT3_P12ihipStream_tbPNSt15iterator_traitsISH_E10value_typeEPNSN_ISI_E10value_typeEPSJ_NS1_7vsmem_tEENKUlT_SH_SI_SJ_E_clIS9_S9_PlSD_EESG_SW_SH_SI_SJ_EUlSW_E_NS1_11comp_targetILNS1_3genE9ELNS1_11target_archE1100ELNS1_3gpuE3ELNS1_3repE0EEENS1_48merge_mergepath_partition_config_static_selectorELNS0_4arch9wavefront6targetE1EEEvSI_
		.amdhsa_group_segment_fixed_size 0
		.amdhsa_private_segment_fixed_size 0
		.amdhsa_kernarg_size 48
		.amdhsa_user_sgpr_count 6
		.amdhsa_user_sgpr_private_segment_buffer 1
		.amdhsa_user_sgpr_dispatch_ptr 0
		.amdhsa_user_sgpr_queue_ptr 0
		.amdhsa_user_sgpr_kernarg_segment_ptr 1
		.amdhsa_user_sgpr_dispatch_id 0
		.amdhsa_user_sgpr_flat_scratch_init 0
		.amdhsa_user_sgpr_kernarg_preload_length 0
		.amdhsa_user_sgpr_kernarg_preload_offset 0
		.amdhsa_user_sgpr_private_segment_size 0
		.amdhsa_uses_dynamic_stack 0
		.amdhsa_system_sgpr_private_segment_wavefront_offset 0
		.amdhsa_system_sgpr_workgroup_id_x 1
		.amdhsa_system_sgpr_workgroup_id_y 0
		.amdhsa_system_sgpr_workgroup_id_z 0
		.amdhsa_system_sgpr_workgroup_info 0
		.amdhsa_system_vgpr_workitem_id 0
		.amdhsa_next_free_vgpr 1
		.amdhsa_next_free_sgpr 0
		.amdhsa_accum_offset 4
		.amdhsa_reserve_vcc 0
		.amdhsa_reserve_flat_scratch 0
		.amdhsa_float_round_mode_32 0
		.amdhsa_float_round_mode_16_64 0
		.amdhsa_float_denorm_mode_32 3
		.amdhsa_float_denorm_mode_16_64 3
		.amdhsa_dx10_clamp 1
		.amdhsa_ieee_mode 1
		.amdhsa_fp16_overflow 0
		.amdhsa_tg_split 0
		.amdhsa_exception_fp_ieee_invalid_op 0
		.amdhsa_exception_fp_denorm_src 0
		.amdhsa_exception_fp_ieee_div_zero 0
		.amdhsa_exception_fp_ieee_overflow 0
		.amdhsa_exception_fp_ieee_underflow 0
		.amdhsa_exception_fp_ieee_inexact 0
		.amdhsa_exception_int_div_zero 0
	.end_amdhsa_kernel
	.section	.text._ZN7rocprim17ROCPRIM_400000_NS6detail17trampoline_kernelINS0_14default_configENS1_38merge_sort_block_merge_config_selectorIN3c108BFloat16ElEEZZNS1_27merge_sort_block_merge_implIS3_PS6_N6thrust23THRUST_200600_302600_NS10device_ptrIlEEmNSB_4lessIS6_EEEE10hipError_tT0_T1_T2_jT3_P12ihipStream_tbPNSt15iterator_traitsISH_E10value_typeEPNSN_ISI_E10value_typeEPSJ_NS1_7vsmem_tEENKUlT_SH_SI_SJ_E_clIS9_S9_PlSD_EESG_SW_SH_SI_SJ_EUlSW_E_NS1_11comp_targetILNS1_3genE9ELNS1_11target_archE1100ELNS1_3gpuE3ELNS1_3repE0EEENS1_48merge_mergepath_partition_config_static_selectorELNS0_4arch9wavefront6targetE1EEEvSI_,"axG",@progbits,_ZN7rocprim17ROCPRIM_400000_NS6detail17trampoline_kernelINS0_14default_configENS1_38merge_sort_block_merge_config_selectorIN3c108BFloat16ElEEZZNS1_27merge_sort_block_merge_implIS3_PS6_N6thrust23THRUST_200600_302600_NS10device_ptrIlEEmNSB_4lessIS6_EEEE10hipError_tT0_T1_T2_jT3_P12ihipStream_tbPNSt15iterator_traitsISH_E10value_typeEPNSN_ISI_E10value_typeEPSJ_NS1_7vsmem_tEENKUlT_SH_SI_SJ_E_clIS9_S9_PlSD_EESG_SW_SH_SI_SJ_EUlSW_E_NS1_11comp_targetILNS1_3genE9ELNS1_11target_archE1100ELNS1_3gpuE3ELNS1_3repE0EEENS1_48merge_mergepath_partition_config_static_selectorELNS0_4arch9wavefront6targetE1EEEvSI_,comdat
.Lfunc_end1985:
	.size	_ZN7rocprim17ROCPRIM_400000_NS6detail17trampoline_kernelINS0_14default_configENS1_38merge_sort_block_merge_config_selectorIN3c108BFloat16ElEEZZNS1_27merge_sort_block_merge_implIS3_PS6_N6thrust23THRUST_200600_302600_NS10device_ptrIlEEmNSB_4lessIS6_EEEE10hipError_tT0_T1_T2_jT3_P12ihipStream_tbPNSt15iterator_traitsISH_E10value_typeEPNSN_ISI_E10value_typeEPSJ_NS1_7vsmem_tEENKUlT_SH_SI_SJ_E_clIS9_S9_PlSD_EESG_SW_SH_SI_SJ_EUlSW_E_NS1_11comp_targetILNS1_3genE9ELNS1_11target_archE1100ELNS1_3gpuE3ELNS1_3repE0EEENS1_48merge_mergepath_partition_config_static_selectorELNS0_4arch9wavefront6targetE1EEEvSI_, .Lfunc_end1985-_ZN7rocprim17ROCPRIM_400000_NS6detail17trampoline_kernelINS0_14default_configENS1_38merge_sort_block_merge_config_selectorIN3c108BFloat16ElEEZZNS1_27merge_sort_block_merge_implIS3_PS6_N6thrust23THRUST_200600_302600_NS10device_ptrIlEEmNSB_4lessIS6_EEEE10hipError_tT0_T1_T2_jT3_P12ihipStream_tbPNSt15iterator_traitsISH_E10value_typeEPNSN_ISI_E10value_typeEPSJ_NS1_7vsmem_tEENKUlT_SH_SI_SJ_E_clIS9_S9_PlSD_EESG_SW_SH_SI_SJ_EUlSW_E_NS1_11comp_targetILNS1_3genE9ELNS1_11target_archE1100ELNS1_3gpuE3ELNS1_3repE0EEENS1_48merge_mergepath_partition_config_static_selectorELNS0_4arch9wavefront6targetE1EEEvSI_
                                        ; -- End function
	.section	.AMDGPU.csdata,"",@progbits
; Kernel info:
; codeLenInByte = 0
; NumSgprs: 4
; NumVgprs: 0
; NumAgprs: 0
; TotalNumVgprs: 0
; ScratchSize: 0
; MemoryBound: 0
; FloatMode: 240
; IeeeMode: 1
; LDSByteSize: 0 bytes/workgroup (compile time only)
; SGPRBlocks: 0
; VGPRBlocks: 0
; NumSGPRsForWavesPerEU: 4
; NumVGPRsForWavesPerEU: 1
; AccumOffset: 4
; Occupancy: 8
; WaveLimiterHint : 0
; COMPUTE_PGM_RSRC2:SCRATCH_EN: 0
; COMPUTE_PGM_RSRC2:USER_SGPR: 6
; COMPUTE_PGM_RSRC2:TRAP_HANDLER: 0
; COMPUTE_PGM_RSRC2:TGID_X_EN: 1
; COMPUTE_PGM_RSRC2:TGID_Y_EN: 0
; COMPUTE_PGM_RSRC2:TGID_Z_EN: 0
; COMPUTE_PGM_RSRC2:TIDIG_COMP_CNT: 0
; COMPUTE_PGM_RSRC3_GFX90A:ACCUM_OFFSET: 0
; COMPUTE_PGM_RSRC3_GFX90A:TG_SPLIT: 0
	.section	.text._ZN7rocprim17ROCPRIM_400000_NS6detail17trampoline_kernelINS0_14default_configENS1_38merge_sort_block_merge_config_selectorIN3c108BFloat16ElEEZZNS1_27merge_sort_block_merge_implIS3_PS6_N6thrust23THRUST_200600_302600_NS10device_ptrIlEEmNSB_4lessIS6_EEEE10hipError_tT0_T1_T2_jT3_P12ihipStream_tbPNSt15iterator_traitsISH_E10value_typeEPNSN_ISI_E10value_typeEPSJ_NS1_7vsmem_tEENKUlT_SH_SI_SJ_E_clIS9_S9_PlSD_EESG_SW_SH_SI_SJ_EUlSW_E_NS1_11comp_targetILNS1_3genE8ELNS1_11target_archE1030ELNS1_3gpuE2ELNS1_3repE0EEENS1_48merge_mergepath_partition_config_static_selectorELNS0_4arch9wavefront6targetE1EEEvSI_,"axG",@progbits,_ZN7rocprim17ROCPRIM_400000_NS6detail17trampoline_kernelINS0_14default_configENS1_38merge_sort_block_merge_config_selectorIN3c108BFloat16ElEEZZNS1_27merge_sort_block_merge_implIS3_PS6_N6thrust23THRUST_200600_302600_NS10device_ptrIlEEmNSB_4lessIS6_EEEE10hipError_tT0_T1_T2_jT3_P12ihipStream_tbPNSt15iterator_traitsISH_E10value_typeEPNSN_ISI_E10value_typeEPSJ_NS1_7vsmem_tEENKUlT_SH_SI_SJ_E_clIS9_S9_PlSD_EESG_SW_SH_SI_SJ_EUlSW_E_NS1_11comp_targetILNS1_3genE8ELNS1_11target_archE1030ELNS1_3gpuE2ELNS1_3repE0EEENS1_48merge_mergepath_partition_config_static_selectorELNS0_4arch9wavefront6targetE1EEEvSI_,comdat
	.protected	_ZN7rocprim17ROCPRIM_400000_NS6detail17trampoline_kernelINS0_14default_configENS1_38merge_sort_block_merge_config_selectorIN3c108BFloat16ElEEZZNS1_27merge_sort_block_merge_implIS3_PS6_N6thrust23THRUST_200600_302600_NS10device_ptrIlEEmNSB_4lessIS6_EEEE10hipError_tT0_T1_T2_jT3_P12ihipStream_tbPNSt15iterator_traitsISH_E10value_typeEPNSN_ISI_E10value_typeEPSJ_NS1_7vsmem_tEENKUlT_SH_SI_SJ_E_clIS9_S9_PlSD_EESG_SW_SH_SI_SJ_EUlSW_E_NS1_11comp_targetILNS1_3genE8ELNS1_11target_archE1030ELNS1_3gpuE2ELNS1_3repE0EEENS1_48merge_mergepath_partition_config_static_selectorELNS0_4arch9wavefront6targetE1EEEvSI_ ; -- Begin function _ZN7rocprim17ROCPRIM_400000_NS6detail17trampoline_kernelINS0_14default_configENS1_38merge_sort_block_merge_config_selectorIN3c108BFloat16ElEEZZNS1_27merge_sort_block_merge_implIS3_PS6_N6thrust23THRUST_200600_302600_NS10device_ptrIlEEmNSB_4lessIS6_EEEE10hipError_tT0_T1_T2_jT3_P12ihipStream_tbPNSt15iterator_traitsISH_E10value_typeEPNSN_ISI_E10value_typeEPSJ_NS1_7vsmem_tEENKUlT_SH_SI_SJ_E_clIS9_S9_PlSD_EESG_SW_SH_SI_SJ_EUlSW_E_NS1_11comp_targetILNS1_3genE8ELNS1_11target_archE1030ELNS1_3gpuE2ELNS1_3repE0EEENS1_48merge_mergepath_partition_config_static_selectorELNS0_4arch9wavefront6targetE1EEEvSI_
	.globl	_ZN7rocprim17ROCPRIM_400000_NS6detail17trampoline_kernelINS0_14default_configENS1_38merge_sort_block_merge_config_selectorIN3c108BFloat16ElEEZZNS1_27merge_sort_block_merge_implIS3_PS6_N6thrust23THRUST_200600_302600_NS10device_ptrIlEEmNSB_4lessIS6_EEEE10hipError_tT0_T1_T2_jT3_P12ihipStream_tbPNSt15iterator_traitsISH_E10value_typeEPNSN_ISI_E10value_typeEPSJ_NS1_7vsmem_tEENKUlT_SH_SI_SJ_E_clIS9_S9_PlSD_EESG_SW_SH_SI_SJ_EUlSW_E_NS1_11comp_targetILNS1_3genE8ELNS1_11target_archE1030ELNS1_3gpuE2ELNS1_3repE0EEENS1_48merge_mergepath_partition_config_static_selectorELNS0_4arch9wavefront6targetE1EEEvSI_
	.p2align	8
	.type	_ZN7rocprim17ROCPRIM_400000_NS6detail17trampoline_kernelINS0_14default_configENS1_38merge_sort_block_merge_config_selectorIN3c108BFloat16ElEEZZNS1_27merge_sort_block_merge_implIS3_PS6_N6thrust23THRUST_200600_302600_NS10device_ptrIlEEmNSB_4lessIS6_EEEE10hipError_tT0_T1_T2_jT3_P12ihipStream_tbPNSt15iterator_traitsISH_E10value_typeEPNSN_ISI_E10value_typeEPSJ_NS1_7vsmem_tEENKUlT_SH_SI_SJ_E_clIS9_S9_PlSD_EESG_SW_SH_SI_SJ_EUlSW_E_NS1_11comp_targetILNS1_3genE8ELNS1_11target_archE1030ELNS1_3gpuE2ELNS1_3repE0EEENS1_48merge_mergepath_partition_config_static_selectorELNS0_4arch9wavefront6targetE1EEEvSI_,@function
_ZN7rocprim17ROCPRIM_400000_NS6detail17trampoline_kernelINS0_14default_configENS1_38merge_sort_block_merge_config_selectorIN3c108BFloat16ElEEZZNS1_27merge_sort_block_merge_implIS3_PS6_N6thrust23THRUST_200600_302600_NS10device_ptrIlEEmNSB_4lessIS6_EEEE10hipError_tT0_T1_T2_jT3_P12ihipStream_tbPNSt15iterator_traitsISH_E10value_typeEPNSN_ISI_E10value_typeEPSJ_NS1_7vsmem_tEENKUlT_SH_SI_SJ_E_clIS9_S9_PlSD_EESG_SW_SH_SI_SJ_EUlSW_E_NS1_11comp_targetILNS1_3genE8ELNS1_11target_archE1030ELNS1_3gpuE2ELNS1_3repE0EEENS1_48merge_mergepath_partition_config_static_selectorELNS0_4arch9wavefront6targetE1EEEvSI_: ; @_ZN7rocprim17ROCPRIM_400000_NS6detail17trampoline_kernelINS0_14default_configENS1_38merge_sort_block_merge_config_selectorIN3c108BFloat16ElEEZZNS1_27merge_sort_block_merge_implIS3_PS6_N6thrust23THRUST_200600_302600_NS10device_ptrIlEEmNSB_4lessIS6_EEEE10hipError_tT0_T1_T2_jT3_P12ihipStream_tbPNSt15iterator_traitsISH_E10value_typeEPNSN_ISI_E10value_typeEPSJ_NS1_7vsmem_tEENKUlT_SH_SI_SJ_E_clIS9_S9_PlSD_EESG_SW_SH_SI_SJ_EUlSW_E_NS1_11comp_targetILNS1_3genE8ELNS1_11target_archE1030ELNS1_3gpuE2ELNS1_3repE0EEENS1_48merge_mergepath_partition_config_static_selectorELNS0_4arch9wavefront6targetE1EEEvSI_
; %bb.0:
	.section	.rodata,"a",@progbits
	.p2align	6, 0x0
	.amdhsa_kernel _ZN7rocprim17ROCPRIM_400000_NS6detail17trampoline_kernelINS0_14default_configENS1_38merge_sort_block_merge_config_selectorIN3c108BFloat16ElEEZZNS1_27merge_sort_block_merge_implIS3_PS6_N6thrust23THRUST_200600_302600_NS10device_ptrIlEEmNSB_4lessIS6_EEEE10hipError_tT0_T1_T2_jT3_P12ihipStream_tbPNSt15iterator_traitsISH_E10value_typeEPNSN_ISI_E10value_typeEPSJ_NS1_7vsmem_tEENKUlT_SH_SI_SJ_E_clIS9_S9_PlSD_EESG_SW_SH_SI_SJ_EUlSW_E_NS1_11comp_targetILNS1_3genE8ELNS1_11target_archE1030ELNS1_3gpuE2ELNS1_3repE0EEENS1_48merge_mergepath_partition_config_static_selectorELNS0_4arch9wavefront6targetE1EEEvSI_
		.amdhsa_group_segment_fixed_size 0
		.amdhsa_private_segment_fixed_size 0
		.amdhsa_kernarg_size 48
		.amdhsa_user_sgpr_count 6
		.amdhsa_user_sgpr_private_segment_buffer 1
		.amdhsa_user_sgpr_dispatch_ptr 0
		.amdhsa_user_sgpr_queue_ptr 0
		.amdhsa_user_sgpr_kernarg_segment_ptr 1
		.amdhsa_user_sgpr_dispatch_id 0
		.amdhsa_user_sgpr_flat_scratch_init 0
		.amdhsa_user_sgpr_kernarg_preload_length 0
		.amdhsa_user_sgpr_kernarg_preload_offset 0
		.amdhsa_user_sgpr_private_segment_size 0
		.amdhsa_uses_dynamic_stack 0
		.amdhsa_system_sgpr_private_segment_wavefront_offset 0
		.amdhsa_system_sgpr_workgroup_id_x 1
		.amdhsa_system_sgpr_workgroup_id_y 0
		.amdhsa_system_sgpr_workgroup_id_z 0
		.amdhsa_system_sgpr_workgroup_info 0
		.amdhsa_system_vgpr_workitem_id 0
		.amdhsa_next_free_vgpr 1
		.amdhsa_next_free_sgpr 0
		.amdhsa_accum_offset 4
		.amdhsa_reserve_vcc 0
		.amdhsa_reserve_flat_scratch 0
		.amdhsa_float_round_mode_32 0
		.amdhsa_float_round_mode_16_64 0
		.amdhsa_float_denorm_mode_32 3
		.amdhsa_float_denorm_mode_16_64 3
		.amdhsa_dx10_clamp 1
		.amdhsa_ieee_mode 1
		.amdhsa_fp16_overflow 0
		.amdhsa_tg_split 0
		.amdhsa_exception_fp_ieee_invalid_op 0
		.amdhsa_exception_fp_denorm_src 0
		.amdhsa_exception_fp_ieee_div_zero 0
		.amdhsa_exception_fp_ieee_overflow 0
		.amdhsa_exception_fp_ieee_underflow 0
		.amdhsa_exception_fp_ieee_inexact 0
		.amdhsa_exception_int_div_zero 0
	.end_amdhsa_kernel
	.section	.text._ZN7rocprim17ROCPRIM_400000_NS6detail17trampoline_kernelINS0_14default_configENS1_38merge_sort_block_merge_config_selectorIN3c108BFloat16ElEEZZNS1_27merge_sort_block_merge_implIS3_PS6_N6thrust23THRUST_200600_302600_NS10device_ptrIlEEmNSB_4lessIS6_EEEE10hipError_tT0_T1_T2_jT3_P12ihipStream_tbPNSt15iterator_traitsISH_E10value_typeEPNSN_ISI_E10value_typeEPSJ_NS1_7vsmem_tEENKUlT_SH_SI_SJ_E_clIS9_S9_PlSD_EESG_SW_SH_SI_SJ_EUlSW_E_NS1_11comp_targetILNS1_3genE8ELNS1_11target_archE1030ELNS1_3gpuE2ELNS1_3repE0EEENS1_48merge_mergepath_partition_config_static_selectorELNS0_4arch9wavefront6targetE1EEEvSI_,"axG",@progbits,_ZN7rocprim17ROCPRIM_400000_NS6detail17trampoline_kernelINS0_14default_configENS1_38merge_sort_block_merge_config_selectorIN3c108BFloat16ElEEZZNS1_27merge_sort_block_merge_implIS3_PS6_N6thrust23THRUST_200600_302600_NS10device_ptrIlEEmNSB_4lessIS6_EEEE10hipError_tT0_T1_T2_jT3_P12ihipStream_tbPNSt15iterator_traitsISH_E10value_typeEPNSN_ISI_E10value_typeEPSJ_NS1_7vsmem_tEENKUlT_SH_SI_SJ_E_clIS9_S9_PlSD_EESG_SW_SH_SI_SJ_EUlSW_E_NS1_11comp_targetILNS1_3genE8ELNS1_11target_archE1030ELNS1_3gpuE2ELNS1_3repE0EEENS1_48merge_mergepath_partition_config_static_selectorELNS0_4arch9wavefront6targetE1EEEvSI_,comdat
.Lfunc_end1986:
	.size	_ZN7rocprim17ROCPRIM_400000_NS6detail17trampoline_kernelINS0_14default_configENS1_38merge_sort_block_merge_config_selectorIN3c108BFloat16ElEEZZNS1_27merge_sort_block_merge_implIS3_PS6_N6thrust23THRUST_200600_302600_NS10device_ptrIlEEmNSB_4lessIS6_EEEE10hipError_tT0_T1_T2_jT3_P12ihipStream_tbPNSt15iterator_traitsISH_E10value_typeEPNSN_ISI_E10value_typeEPSJ_NS1_7vsmem_tEENKUlT_SH_SI_SJ_E_clIS9_S9_PlSD_EESG_SW_SH_SI_SJ_EUlSW_E_NS1_11comp_targetILNS1_3genE8ELNS1_11target_archE1030ELNS1_3gpuE2ELNS1_3repE0EEENS1_48merge_mergepath_partition_config_static_selectorELNS0_4arch9wavefront6targetE1EEEvSI_, .Lfunc_end1986-_ZN7rocprim17ROCPRIM_400000_NS6detail17trampoline_kernelINS0_14default_configENS1_38merge_sort_block_merge_config_selectorIN3c108BFloat16ElEEZZNS1_27merge_sort_block_merge_implIS3_PS6_N6thrust23THRUST_200600_302600_NS10device_ptrIlEEmNSB_4lessIS6_EEEE10hipError_tT0_T1_T2_jT3_P12ihipStream_tbPNSt15iterator_traitsISH_E10value_typeEPNSN_ISI_E10value_typeEPSJ_NS1_7vsmem_tEENKUlT_SH_SI_SJ_E_clIS9_S9_PlSD_EESG_SW_SH_SI_SJ_EUlSW_E_NS1_11comp_targetILNS1_3genE8ELNS1_11target_archE1030ELNS1_3gpuE2ELNS1_3repE0EEENS1_48merge_mergepath_partition_config_static_selectorELNS0_4arch9wavefront6targetE1EEEvSI_
                                        ; -- End function
	.section	.AMDGPU.csdata,"",@progbits
; Kernel info:
; codeLenInByte = 0
; NumSgprs: 4
; NumVgprs: 0
; NumAgprs: 0
; TotalNumVgprs: 0
; ScratchSize: 0
; MemoryBound: 0
; FloatMode: 240
; IeeeMode: 1
; LDSByteSize: 0 bytes/workgroup (compile time only)
; SGPRBlocks: 0
; VGPRBlocks: 0
; NumSGPRsForWavesPerEU: 4
; NumVGPRsForWavesPerEU: 1
; AccumOffset: 4
; Occupancy: 8
; WaveLimiterHint : 0
; COMPUTE_PGM_RSRC2:SCRATCH_EN: 0
; COMPUTE_PGM_RSRC2:USER_SGPR: 6
; COMPUTE_PGM_RSRC2:TRAP_HANDLER: 0
; COMPUTE_PGM_RSRC2:TGID_X_EN: 1
; COMPUTE_PGM_RSRC2:TGID_Y_EN: 0
; COMPUTE_PGM_RSRC2:TGID_Z_EN: 0
; COMPUTE_PGM_RSRC2:TIDIG_COMP_CNT: 0
; COMPUTE_PGM_RSRC3_GFX90A:ACCUM_OFFSET: 0
; COMPUTE_PGM_RSRC3_GFX90A:TG_SPLIT: 0
	.section	.text._ZN7rocprim17ROCPRIM_400000_NS6detail17trampoline_kernelINS0_14default_configENS1_38merge_sort_block_merge_config_selectorIN3c108BFloat16ElEEZZNS1_27merge_sort_block_merge_implIS3_PS6_N6thrust23THRUST_200600_302600_NS10device_ptrIlEEmNSB_4lessIS6_EEEE10hipError_tT0_T1_T2_jT3_P12ihipStream_tbPNSt15iterator_traitsISH_E10value_typeEPNSN_ISI_E10value_typeEPSJ_NS1_7vsmem_tEENKUlT_SH_SI_SJ_E_clIS9_S9_PlSD_EESG_SW_SH_SI_SJ_EUlSW_E0_NS1_11comp_targetILNS1_3genE0ELNS1_11target_archE4294967295ELNS1_3gpuE0ELNS1_3repE0EEENS1_38merge_mergepath_config_static_selectorELNS0_4arch9wavefront6targetE1EEEvSI_,"axG",@progbits,_ZN7rocprim17ROCPRIM_400000_NS6detail17trampoline_kernelINS0_14default_configENS1_38merge_sort_block_merge_config_selectorIN3c108BFloat16ElEEZZNS1_27merge_sort_block_merge_implIS3_PS6_N6thrust23THRUST_200600_302600_NS10device_ptrIlEEmNSB_4lessIS6_EEEE10hipError_tT0_T1_T2_jT3_P12ihipStream_tbPNSt15iterator_traitsISH_E10value_typeEPNSN_ISI_E10value_typeEPSJ_NS1_7vsmem_tEENKUlT_SH_SI_SJ_E_clIS9_S9_PlSD_EESG_SW_SH_SI_SJ_EUlSW_E0_NS1_11comp_targetILNS1_3genE0ELNS1_11target_archE4294967295ELNS1_3gpuE0ELNS1_3repE0EEENS1_38merge_mergepath_config_static_selectorELNS0_4arch9wavefront6targetE1EEEvSI_,comdat
	.protected	_ZN7rocprim17ROCPRIM_400000_NS6detail17trampoline_kernelINS0_14default_configENS1_38merge_sort_block_merge_config_selectorIN3c108BFloat16ElEEZZNS1_27merge_sort_block_merge_implIS3_PS6_N6thrust23THRUST_200600_302600_NS10device_ptrIlEEmNSB_4lessIS6_EEEE10hipError_tT0_T1_T2_jT3_P12ihipStream_tbPNSt15iterator_traitsISH_E10value_typeEPNSN_ISI_E10value_typeEPSJ_NS1_7vsmem_tEENKUlT_SH_SI_SJ_E_clIS9_S9_PlSD_EESG_SW_SH_SI_SJ_EUlSW_E0_NS1_11comp_targetILNS1_3genE0ELNS1_11target_archE4294967295ELNS1_3gpuE0ELNS1_3repE0EEENS1_38merge_mergepath_config_static_selectorELNS0_4arch9wavefront6targetE1EEEvSI_ ; -- Begin function _ZN7rocprim17ROCPRIM_400000_NS6detail17trampoline_kernelINS0_14default_configENS1_38merge_sort_block_merge_config_selectorIN3c108BFloat16ElEEZZNS1_27merge_sort_block_merge_implIS3_PS6_N6thrust23THRUST_200600_302600_NS10device_ptrIlEEmNSB_4lessIS6_EEEE10hipError_tT0_T1_T2_jT3_P12ihipStream_tbPNSt15iterator_traitsISH_E10value_typeEPNSN_ISI_E10value_typeEPSJ_NS1_7vsmem_tEENKUlT_SH_SI_SJ_E_clIS9_S9_PlSD_EESG_SW_SH_SI_SJ_EUlSW_E0_NS1_11comp_targetILNS1_3genE0ELNS1_11target_archE4294967295ELNS1_3gpuE0ELNS1_3repE0EEENS1_38merge_mergepath_config_static_selectorELNS0_4arch9wavefront6targetE1EEEvSI_
	.globl	_ZN7rocprim17ROCPRIM_400000_NS6detail17trampoline_kernelINS0_14default_configENS1_38merge_sort_block_merge_config_selectorIN3c108BFloat16ElEEZZNS1_27merge_sort_block_merge_implIS3_PS6_N6thrust23THRUST_200600_302600_NS10device_ptrIlEEmNSB_4lessIS6_EEEE10hipError_tT0_T1_T2_jT3_P12ihipStream_tbPNSt15iterator_traitsISH_E10value_typeEPNSN_ISI_E10value_typeEPSJ_NS1_7vsmem_tEENKUlT_SH_SI_SJ_E_clIS9_S9_PlSD_EESG_SW_SH_SI_SJ_EUlSW_E0_NS1_11comp_targetILNS1_3genE0ELNS1_11target_archE4294967295ELNS1_3gpuE0ELNS1_3repE0EEENS1_38merge_mergepath_config_static_selectorELNS0_4arch9wavefront6targetE1EEEvSI_
	.p2align	8
	.type	_ZN7rocprim17ROCPRIM_400000_NS6detail17trampoline_kernelINS0_14default_configENS1_38merge_sort_block_merge_config_selectorIN3c108BFloat16ElEEZZNS1_27merge_sort_block_merge_implIS3_PS6_N6thrust23THRUST_200600_302600_NS10device_ptrIlEEmNSB_4lessIS6_EEEE10hipError_tT0_T1_T2_jT3_P12ihipStream_tbPNSt15iterator_traitsISH_E10value_typeEPNSN_ISI_E10value_typeEPSJ_NS1_7vsmem_tEENKUlT_SH_SI_SJ_E_clIS9_S9_PlSD_EESG_SW_SH_SI_SJ_EUlSW_E0_NS1_11comp_targetILNS1_3genE0ELNS1_11target_archE4294967295ELNS1_3gpuE0ELNS1_3repE0EEENS1_38merge_mergepath_config_static_selectorELNS0_4arch9wavefront6targetE1EEEvSI_,@function
_ZN7rocprim17ROCPRIM_400000_NS6detail17trampoline_kernelINS0_14default_configENS1_38merge_sort_block_merge_config_selectorIN3c108BFloat16ElEEZZNS1_27merge_sort_block_merge_implIS3_PS6_N6thrust23THRUST_200600_302600_NS10device_ptrIlEEmNSB_4lessIS6_EEEE10hipError_tT0_T1_T2_jT3_P12ihipStream_tbPNSt15iterator_traitsISH_E10value_typeEPNSN_ISI_E10value_typeEPSJ_NS1_7vsmem_tEENKUlT_SH_SI_SJ_E_clIS9_S9_PlSD_EESG_SW_SH_SI_SJ_EUlSW_E0_NS1_11comp_targetILNS1_3genE0ELNS1_11target_archE4294967295ELNS1_3gpuE0ELNS1_3repE0EEENS1_38merge_mergepath_config_static_selectorELNS0_4arch9wavefront6targetE1EEEvSI_: ; @_ZN7rocprim17ROCPRIM_400000_NS6detail17trampoline_kernelINS0_14default_configENS1_38merge_sort_block_merge_config_selectorIN3c108BFloat16ElEEZZNS1_27merge_sort_block_merge_implIS3_PS6_N6thrust23THRUST_200600_302600_NS10device_ptrIlEEmNSB_4lessIS6_EEEE10hipError_tT0_T1_T2_jT3_P12ihipStream_tbPNSt15iterator_traitsISH_E10value_typeEPNSN_ISI_E10value_typeEPSJ_NS1_7vsmem_tEENKUlT_SH_SI_SJ_E_clIS9_S9_PlSD_EESG_SW_SH_SI_SJ_EUlSW_E0_NS1_11comp_targetILNS1_3genE0ELNS1_11target_archE4294967295ELNS1_3gpuE0ELNS1_3repE0EEENS1_38merge_mergepath_config_static_selectorELNS0_4arch9wavefront6targetE1EEEvSI_
; %bb.0:
	.section	.rodata,"a",@progbits
	.p2align	6, 0x0
	.amdhsa_kernel _ZN7rocprim17ROCPRIM_400000_NS6detail17trampoline_kernelINS0_14default_configENS1_38merge_sort_block_merge_config_selectorIN3c108BFloat16ElEEZZNS1_27merge_sort_block_merge_implIS3_PS6_N6thrust23THRUST_200600_302600_NS10device_ptrIlEEmNSB_4lessIS6_EEEE10hipError_tT0_T1_T2_jT3_P12ihipStream_tbPNSt15iterator_traitsISH_E10value_typeEPNSN_ISI_E10value_typeEPSJ_NS1_7vsmem_tEENKUlT_SH_SI_SJ_E_clIS9_S9_PlSD_EESG_SW_SH_SI_SJ_EUlSW_E0_NS1_11comp_targetILNS1_3genE0ELNS1_11target_archE4294967295ELNS1_3gpuE0ELNS1_3repE0EEENS1_38merge_mergepath_config_static_selectorELNS0_4arch9wavefront6targetE1EEEvSI_
		.amdhsa_group_segment_fixed_size 0
		.amdhsa_private_segment_fixed_size 0
		.amdhsa_kernarg_size 72
		.amdhsa_user_sgpr_count 6
		.amdhsa_user_sgpr_private_segment_buffer 1
		.amdhsa_user_sgpr_dispatch_ptr 0
		.amdhsa_user_sgpr_queue_ptr 0
		.amdhsa_user_sgpr_kernarg_segment_ptr 1
		.amdhsa_user_sgpr_dispatch_id 0
		.amdhsa_user_sgpr_flat_scratch_init 0
		.amdhsa_user_sgpr_kernarg_preload_length 0
		.amdhsa_user_sgpr_kernarg_preload_offset 0
		.amdhsa_user_sgpr_private_segment_size 0
		.amdhsa_uses_dynamic_stack 0
		.amdhsa_system_sgpr_private_segment_wavefront_offset 0
		.amdhsa_system_sgpr_workgroup_id_x 1
		.amdhsa_system_sgpr_workgroup_id_y 0
		.amdhsa_system_sgpr_workgroup_id_z 0
		.amdhsa_system_sgpr_workgroup_info 0
		.amdhsa_system_vgpr_workitem_id 0
		.amdhsa_next_free_vgpr 1
		.amdhsa_next_free_sgpr 0
		.amdhsa_accum_offset 4
		.amdhsa_reserve_vcc 0
		.amdhsa_reserve_flat_scratch 0
		.amdhsa_float_round_mode_32 0
		.amdhsa_float_round_mode_16_64 0
		.amdhsa_float_denorm_mode_32 3
		.amdhsa_float_denorm_mode_16_64 3
		.amdhsa_dx10_clamp 1
		.amdhsa_ieee_mode 1
		.amdhsa_fp16_overflow 0
		.amdhsa_tg_split 0
		.amdhsa_exception_fp_ieee_invalid_op 0
		.amdhsa_exception_fp_denorm_src 0
		.amdhsa_exception_fp_ieee_div_zero 0
		.amdhsa_exception_fp_ieee_overflow 0
		.amdhsa_exception_fp_ieee_underflow 0
		.amdhsa_exception_fp_ieee_inexact 0
		.amdhsa_exception_int_div_zero 0
	.end_amdhsa_kernel
	.section	.text._ZN7rocprim17ROCPRIM_400000_NS6detail17trampoline_kernelINS0_14default_configENS1_38merge_sort_block_merge_config_selectorIN3c108BFloat16ElEEZZNS1_27merge_sort_block_merge_implIS3_PS6_N6thrust23THRUST_200600_302600_NS10device_ptrIlEEmNSB_4lessIS6_EEEE10hipError_tT0_T1_T2_jT3_P12ihipStream_tbPNSt15iterator_traitsISH_E10value_typeEPNSN_ISI_E10value_typeEPSJ_NS1_7vsmem_tEENKUlT_SH_SI_SJ_E_clIS9_S9_PlSD_EESG_SW_SH_SI_SJ_EUlSW_E0_NS1_11comp_targetILNS1_3genE0ELNS1_11target_archE4294967295ELNS1_3gpuE0ELNS1_3repE0EEENS1_38merge_mergepath_config_static_selectorELNS0_4arch9wavefront6targetE1EEEvSI_,"axG",@progbits,_ZN7rocprim17ROCPRIM_400000_NS6detail17trampoline_kernelINS0_14default_configENS1_38merge_sort_block_merge_config_selectorIN3c108BFloat16ElEEZZNS1_27merge_sort_block_merge_implIS3_PS6_N6thrust23THRUST_200600_302600_NS10device_ptrIlEEmNSB_4lessIS6_EEEE10hipError_tT0_T1_T2_jT3_P12ihipStream_tbPNSt15iterator_traitsISH_E10value_typeEPNSN_ISI_E10value_typeEPSJ_NS1_7vsmem_tEENKUlT_SH_SI_SJ_E_clIS9_S9_PlSD_EESG_SW_SH_SI_SJ_EUlSW_E0_NS1_11comp_targetILNS1_3genE0ELNS1_11target_archE4294967295ELNS1_3gpuE0ELNS1_3repE0EEENS1_38merge_mergepath_config_static_selectorELNS0_4arch9wavefront6targetE1EEEvSI_,comdat
.Lfunc_end1987:
	.size	_ZN7rocprim17ROCPRIM_400000_NS6detail17trampoline_kernelINS0_14default_configENS1_38merge_sort_block_merge_config_selectorIN3c108BFloat16ElEEZZNS1_27merge_sort_block_merge_implIS3_PS6_N6thrust23THRUST_200600_302600_NS10device_ptrIlEEmNSB_4lessIS6_EEEE10hipError_tT0_T1_T2_jT3_P12ihipStream_tbPNSt15iterator_traitsISH_E10value_typeEPNSN_ISI_E10value_typeEPSJ_NS1_7vsmem_tEENKUlT_SH_SI_SJ_E_clIS9_S9_PlSD_EESG_SW_SH_SI_SJ_EUlSW_E0_NS1_11comp_targetILNS1_3genE0ELNS1_11target_archE4294967295ELNS1_3gpuE0ELNS1_3repE0EEENS1_38merge_mergepath_config_static_selectorELNS0_4arch9wavefront6targetE1EEEvSI_, .Lfunc_end1987-_ZN7rocprim17ROCPRIM_400000_NS6detail17trampoline_kernelINS0_14default_configENS1_38merge_sort_block_merge_config_selectorIN3c108BFloat16ElEEZZNS1_27merge_sort_block_merge_implIS3_PS6_N6thrust23THRUST_200600_302600_NS10device_ptrIlEEmNSB_4lessIS6_EEEE10hipError_tT0_T1_T2_jT3_P12ihipStream_tbPNSt15iterator_traitsISH_E10value_typeEPNSN_ISI_E10value_typeEPSJ_NS1_7vsmem_tEENKUlT_SH_SI_SJ_E_clIS9_S9_PlSD_EESG_SW_SH_SI_SJ_EUlSW_E0_NS1_11comp_targetILNS1_3genE0ELNS1_11target_archE4294967295ELNS1_3gpuE0ELNS1_3repE0EEENS1_38merge_mergepath_config_static_selectorELNS0_4arch9wavefront6targetE1EEEvSI_
                                        ; -- End function
	.section	.AMDGPU.csdata,"",@progbits
; Kernel info:
; codeLenInByte = 0
; NumSgprs: 4
; NumVgprs: 0
; NumAgprs: 0
; TotalNumVgprs: 0
; ScratchSize: 0
; MemoryBound: 0
; FloatMode: 240
; IeeeMode: 1
; LDSByteSize: 0 bytes/workgroup (compile time only)
; SGPRBlocks: 0
; VGPRBlocks: 0
; NumSGPRsForWavesPerEU: 4
; NumVGPRsForWavesPerEU: 1
; AccumOffset: 4
; Occupancy: 8
; WaveLimiterHint : 0
; COMPUTE_PGM_RSRC2:SCRATCH_EN: 0
; COMPUTE_PGM_RSRC2:USER_SGPR: 6
; COMPUTE_PGM_RSRC2:TRAP_HANDLER: 0
; COMPUTE_PGM_RSRC2:TGID_X_EN: 1
; COMPUTE_PGM_RSRC2:TGID_Y_EN: 0
; COMPUTE_PGM_RSRC2:TGID_Z_EN: 0
; COMPUTE_PGM_RSRC2:TIDIG_COMP_CNT: 0
; COMPUTE_PGM_RSRC3_GFX90A:ACCUM_OFFSET: 0
; COMPUTE_PGM_RSRC3_GFX90A:TG_SPLIT: 0
	.section	.text._ZN7rocprim17ROCPRIM_400000_NS6detail17trampoline_kernelINS0_14default_configENS1_38merge_sort_block_merge_config_selectorIN3c108BFloat16ElEEZZNS1_27merge_sort_block_merge_implIS3_PS6_N6thrust23THRUST_200600_302600_NS10device_ptrIlEEmNSB_4lessIS6_EEEE10hipError_tT0_T1_T2_jT3_P12ihipStream_tbPNSt15iterator_traitsISH_E10value_typeEPNSN_ISI_E10value_typeEPSJ_NS1_7vsmem_tEENKUlT_SH_SI_SJ_E_clIS9_S9_PlSD_EESG_SW_SH_SI_SJ_EUlSW_E0_NS1_11comp_targetILNS1_3genE10ELNS1_11target_archE1201ELNS1_3gpuE5ELNS1_3repE0EEENS1_38merge_mergepath_config_static_selectorELNS0_4arch9wavefront6targetE1EEEvSI_,"axG",@progbits,_ZN7rocprim17ROCPRIM_400000_NS6detail17trampoline_kernelINS0_14default_configENS1_38merge_sort_block_merge_config_selectorIN3c108BFloat16ElEEZZNS1_27merge_sort_block_merge_implIS3_PS6_N6thrust23THRUST_200600_302600_NS10device_ptrIlEEmNSB_4lessIS6_EEEE10hipError_tT0_T1_T2_jT3_P12ihipStream_tbPNSt15iterator_traitsISH_E10value_typeEPNSN_ISI_E10value_typeEPSJ_NS1_7vsmem_tEENKUlT_SH_SI_SJ_E_clIS9_S9_PlSD_EESG_SW_SH_SI_SJ_EUlSW_E0_NS1_11comp_targetILNS1_3genE10ELNS1_11target_archE1201ELNS1_3gpuE5ELNS1_3repE0EEENS1_38merge_mergepath_config_static_selectorELNS0_4arch9wavefront6targetE1EEEvSI_,comdat
	.protected	_ZN7rocprim17ROCPRIM_400000_NS6detail17trampoline_kernelINS0_14default_configENS1_38merge_sort_block_merge_config_selectorIN3c108BFloat16ElEEZZNS1_27merge_sort_block_merge_implIS3_PS6_N6thrust23THRUST_200600_302600_NS10device_ptrIlEEmNSB_4lessIS6_EEEE10hipError_tT0_T1_T2_jT3_P12ihipStream_tbPNSt15iterator_traitsISH_E10value_typeEPNSN_ISI_E10value_typeEPSJ_NS1_7vsmem_tEENKUlT_SH_SI_SJ_E_clIS9_S9_PlSD_EESG_SW_SH_SI_SJ_EUlSW_E0_NS1_11comp_targetILNS1_3genE10ELNS1_11target_archE1201ELNS1_3gpuE5ELNS1_3repE0EEENS1_38merge_mergepath_config_static_selectorELNS0_4arch9wavefront6targetE1EEEvSI_ ; -- Begin function _ZN7rocprim17ROCPRIM_400000_NS6detail17trampoline_kernelINS0_14default_configENS1_38merge_sort_block_merge_config_selectorIN3c108BFloat16ElEEZZNS1_27merge_sort_block_merge_implIS3_PS6_N6thrust23THRUST_200600_302600_NS10device_ptrIlEEmNSB_4lessIS6_EEEE10hipError_tT0_T1_T2_jT3_P12ihipStream_tbPNSt15iterator_traitsISH_E10value_typeEPNSN_ISI_E10value_typeEPSJ_NS1_7vsmem_tEENKUlT_SH_SI_SJ_E_clIS9_S9_PlSD_EESG_SW_SH_SI_SJ_EUlSW_E0_NS1_11comp_targetILNS1_3genE10ELNS1_11target_archE1201ELNS1_3gpuE5ELNS1_3repE0EEENS1_38merge_mergepath_config_static_selectorELNS0_4arch9wavefront6targetE1EEEvSI_
	.globl	_ZN7rocprim17ROCPRIM_400000_NS6detail17trampoline_kernelINS0_14default_configENS1_38merge_sort_block_merge_config_selectorIN3c108BFloat16ElEEZZNS1_27merge_sort_block_merge_implIS3_PS6_N6thrust23THRUST_200600_302600_NS10device_ptrIlEEmNSB_4lessIS6_EEEE10hipError_tT0_T1_T2_jT3_P12ihipStream_tbPNSt15iterator_traitsISH_E10value_typeEPNSN_ISI_E10value_typeEPSJ_NS1_7vsmem_tEENKUlT_SH_SI_SJ_E_clIS9_S9_PlSD_EESG_SW_SH_SI_SJ_EUlSW_E0_NS1_11comp_targetILNS1_3genE10ELNS1_11target_archE1201ELNS1_3gpuE5ELNS1_3repE0EEENS1_38merge_mergepath_config_static_selectorELNS0_4arch9wavefront6targetE1EEEvSI_
	.p2align	8
	.type	_ZN7rocprim17ROCPRIM_400000_NS6detail17trampoline_kernelINS0_14default_configENS1_38merge_sort_block_merge_config_selectorIN3c108BFloat16ElEEZZNS1_27merge_sort_block_merge_implIS3_PS6_N6thrust23THRUST_200600_302600_NS10device_ptrIlEEmNSB_4lessIS6_EEEE10hipError_tT0_T1_T2_jT3_P12ihipStream_tbPNSt15iterator_traitsISH_E10value_typeEPNSN_ISI_E10value_typeEPSJ_NS1_7vsmem_tEENKUlT_SH_SI_SJ_E_clIS9_S9_PlSD_EESG_SW_SH_SI_SJ_EUlSW_E0_NS1_11comp_targetILNS1_3genE10ELNS1_11target_archE1201ELNS1_3gpuE5ELNS1_3repE0EEENS1_38merge_mergepath_config_static_selectorELNS0_4arch9wavefront6targetE1EEEvSI_,@function
_ZN7rocprim17ROCPRIM_400000_NS6detail17trampoline_kernelINS0_14default_configENS1_38merge_sort_block_merge_config_selectorIN3c108BFloat16ElEEZZNS1_27merge_sort_block_merge_implIS3_PS6_N6thrust23THRUST_200600_302600_NS10device_ptrIlEEmNSB_4lessIS6_EEEE10hipError_tT0_T1_T2_jT3_P12ihipStream_tbPNSt15iterator_traitsISH_E10value_typeEPNSN_ISI_E10value_typeEPSJ_NS1_7vsmem_tEENKUlT_SH_SI_SJ_E_clIS9_S9_PlSD_EESG_SW_SH_SI_SJ_EUlSW_E0_NS1_11comp_targetILNS1_3genE10ELNS1_11target_archE1201ELNS1_3gpuE5ELNS1_3repE0EEENS1_38merge_mergepath_config_static_selectorELNS0_4arch9wavefront6targetE1EEEvSI_: ; @_ZN7rocprim17ROCPRIM_400000_NS6detail17trampoline_kernelINS0_14default_configENS1_38merge_sort_block_merge_config_selectorIN3c108BFloat16ElEEZZNS1_27merge_sort_block_merge_implIS3_PS6_N6thrust23THRUST_200600_302600_NS10device_ptrIlEEmNSB_4lessIS6_EEEE10hipError_tT0_T1_T2_jT3_P12ihipStream_tbPNSt15iterator_traitsISH_E10value_typeEPNSN_ISI_E10value_typeEPSJ_NS1_7vsmem_tEENKUlT_SH_SI_SJ_E_clIS9_S9_PlSD_EESG_SW_SH_SI_SJ_EUlSW_E0_NS1_11comp_targetILNS1_3genE10ELNS1_11target_archE1201ELNS1_3gpuE5ELNS1_3repE0EEENS1_38merge_mergepath_config_static_selectorELNS0_4arch9wavefront6targetE1EEEvSI_
; %bb.0:
	.section	.rodata,"a",@progbits
	.p2align	6, 0x0
	.amdhsa_kernel _ZN7rocprim17ROCPRIM_400000_NS6detail17trampoline_kernelINS0_14default_configENS1_38merge_sort_block_merge_config_selectorIN3c108BFloat16ElEEZZNS1_27merge_sort_block_merge_implIS3_PS6_N6thrust23THRUST_200600_302600_NS10device_ptrIlEEmNSB_4lessIS6_EEEE10hipError_tT0_T1_T2_jT3_P12ihipStream_tbPNSt15iterator_traitsISH_E10value_typeEPNSN_ISI_E10value_typeEPSJ_NS1_7vsmem_tEENKUlT_SH_SI_SJ_E_clIS9_S9_PlSD_EESG_SW_SH_SI_SJ_EUlSW_E0_NS1_11comp_targetILNS1_3genE10ELNS1_11target_archE1201ELNS1_3gpuE5ELNS1_3repE0EEENS1_38merge_mergepath_config_static_selectorELNS0_4arch9wavefront6targetE1EEEvSI_
		.amdhsa_group_segment_fixed_size 0
		.amdhsa_private_segment_fixed_size 0
		.amdhsa_kernarg_size 72
		.amdhsa_user_sgpr_count 6
		.amdhsa_user_sgpr_private_segment_buffer 1
		.amdhsa_user_sgpr_dispatch_ptr 0
		.amdhsa_user_sgpr_queue_ptr 0
		.amdhsa_user_sgpr_kernarg_segment_ptr 1
		.amdhsa_user_sgpr_dispatch_id 0
		.amdhsa_user_sgpr_flat_scratch_init 0
		.amdhsa_user_sgpr_kernarg_preload_length 0
		.amdhsa_user_sgpr_kernarg_preload_offset 0
		.amdhsa_user_sgpr_private_segment_size 0
		.amdhsa_uses_dynamic_stack 0
		.amdhsa_system_sgpr_private_segment_wavefront_offset 0
		.amdhsa_system_sgpr_workgroup_id_x 1
		.amdhsa_system_sgpr_workgroup_id_y 0
		.amdhsa_system_sgpr_workgroup_id_z 0
		.amdhsa_system_sgpr_workgroup_info 0
		.amdhsa_system_vgpr_workitem_id 0
		.amdhsa_next_free_vgpr 1
		.amdhsa_next_free_sgpr 0
		.amdhsa_accum_offset 4
		.amdhsa_reserve_vcc 0
		.amdhsa_reserve_flat_scratch 0
		.amdhsa_float_round_mode_32 0
		.amdhsa_float_round_mode_16_64 0
		.amdhsa_float_denorm_mode_32 3
		.amdhsa_float_denorm_mode_16_64 3
		.amdhsa_dx10_clamp 1
		.amdhsa_ieee_mode 1
		.amdhsa_fp16_overflow 0
		.amdhsa_tg_split 0
		.amdhsa_exception_fp_ieee_invalid_op 0
		.amdhsa_exception_fp_denorm_src 0
		.amdhsa_exception_fp_ieee_div_zero 0
		.amdhsa_exception_fp_ieee_overflow 0
		.amdhsa_exception_fp_ieee_underflow 0
		.amdhsa_exception_fp_ieee_inexact 0
		.amdhsa_exception_int_div_zero 0
	.end_amdhsa_kernel
	.section	.text._ZN7rocprim17ROCPRIM_400000_NS6detail17trampoline_kernelINS0_14default_configENS1_38merge_sort_block_merge_config_selectorIN3c108BFloat16ElEEZZNS1_27merge_sort_block_merge_implIS3_PS6_N6thrust23THRUST_200600_302600_NS10device_ptrIlEEmNSB_4lessIS6_EEEE10hipError_tT0_T1_T2_jT3_P12ihipStream_tbPNSt15iterator_traitsISH_E10value_typeEPNSN_ISI_E10value_typeEPSJ_NS1_7vsmem_tEENKUlT_SH_SI_SJ_E_clIS9_S9_PlSD_EESG_SW_SH_SI_SJ_EUlSW_E0_NS1_11comp_targetILNS1_3genE10ELNS1_11target_archE1201ELNS1_3gpuE5ELNS1_3repE0EEENS1_38merge_mergepath_config_static_selectorELNS0_4arch9wavefront6targetE1EEEvSI_,"axG",@progbits,_ZN7rocprim17ROCPRIM_400000_NS6detail17trampoline_kernelINS0_14default_configENS1_38merge_sort_block_merge_config_selectorIN3c108BFloat16ElEEZZNS1_27merge_sort_block_merge_implIS3_PS6_N6thrust23THRUST_200600_302600_NS10device_ptrIlEEmNSB_4lessIS6_EEEE10hipError_tT0_T1_T2_jT3_P12ihipStream_tbPNSt15iterator_traitsISH_E10value_typeEPNSN_ISI_E10value_typeEPSJ_NS1_7vsmem_tEENKUlT_SH_SI_SJ_E_clIS9_S9_PlSD_EESG_SW_SH_SI_SJ_EUlSW_E0_NS1_11comp_targetILNS1_3genE10ELNS1_11target_archE1201ELNS1_3gpuE5ELNS1_3repE0EEENS1_38merge_mergepath_config_static_selectorELNS0_4arch9wavefront6targetE1EEEvSI_,comdat
.Lfunc_end1988:
	.size	_ZN7rocprim17ROCPRIM_400000_NS6detail17trampoline_kernelINS0_14default_configENS1_38merge_sort_block_merge_config_selectorIN3c108BFloat16ElEEZZNS1_27merge_sort_block_merge_implIS3_PS6_N6thrust23THRUST_200600_302600_NS10device_ptrIlEEmNSB_4lessIS6_EEEE10hipError_tT0_T1_T2_jT3_P12ihipStream_tbPNSt15iterator_traitsISH_E10value_typeEPNSN_ISI_E10value_typeEPSJ_NS1_7vsmem_tEENKUlT_SH_SI_SJ_E_clIS9_S9_PlSD_EESG_SW_SH_SI_SJ_EUlSW_E0_NS1_11comp_targetILNS1_3genE10ELNS1_11target_archE1201ELNS1_3gpuE5ELNS1_3repE0EEENS1_38merge_mergepath_config_static_selectorELNS0_4arch9wavefront6targetE1EEEvSI_, .Lfunc_end1988-_ZN7rocprim17ROCPRIM_400000_NS6detail17trampoline_kernelINS0_14default_configENS1_38merge_sort_block_merge_config_selectorIN3c108BFloat16ElEEZZNS1_27merge_sort_block_merge_implIS3_PS6_N6thrust23THRUST_200600_302600_NS10device_ptrIlEEmNSB_4lessIS6_EEEE10hipError_tT0_T1_T2_jT3_P12ihipStream_tbPNSt15iterator_traitsISH_E10value_typeEPNSN_ISI_E10value_typeEPSJ_NS1_7vsmem_tEENKUlT_SH_SI_SJ_E_clIS9_S9_PlSD_EESG_SW_SH_SI_SJ_EUlSW_E0_NS1_11comp_targetILNS1_3genE10ELNS1_11target_archE1201ELNS1_3gpuE5ELNS1_3repE0EEENS1_38merge_mergepath_config_static_selectorELNS0_4arch9wavefront6targetE1EEEvSI_
                                        ; -- End function
	.section	.AMDGPU.csdata,"",@progbits
; Kernel info:
; codeLenInByte = 0
; NumSgprs: 4
; NumVgprs: 0
; NumAgprs: 0
; TotalNumVgprs: 0
; ScratchSize: 0
; MemoryBound: 0
; FloatMode: 240
; IeeeMode: 1
; LDSByteSize: 0 bytes/workgroup (compile time only)
; SGPRBlocks: 0
; VGPRBlocks: 0
; NumSGPRsForWavesPerEU: 4
; NumVGPRsForWavesPerEU: 1
; AccumOffset: 4
; Occupancy: 8
; WaveLimiterHint : 0
; COMPUTE_PGM_RSRC2:SCRATCH_EN: 0
; COMPUTE_PGM_RSRC2:USER_SGPR: 6
; COMPUTE_PGM_RSRC2:TRAP_HANDLER: 0
; COMPUTE_PGM_RSRC2:TGID_X_EN: 1
; COMPUTE_PGM_RSRC2:TGID_Y_EN: 0
; COMPUTE_PGM_RSRC2:TGID_Z_EN: 0
; COMPUTE_PGM_RSRC2:TIDIG_COMP_CNT: 0
; COMPUTE_PGM_RSRC3_GFX90A:ACCUM_OFFSET: 0
; COMPUTE_PGM_RSRC3_GFX90A:TG_SPLIT: 0
	.section	.text._ZN7rocprim17ROCPRIM_400000_NS6detail17trampoline_kernelINS0_14default_configENS1_38merge_sort_block_merge_config_selectorIN3c108BFloat16ElEEZZNS1_27merge_sort_block_merge_implIS3_PS6_N6thrust23THRUST_200600_302600_NS10device_ptrIlEEmNSB_4lessIS6_EEEE10hipError_tT0_T1_T2_jT3_P12ihipStream_tbPNSt15iterator_traitsISH_E10value_typeEPNSN_ISI_E10value_typeEPSJ_NS1_7vsmem_tEENKUlT_SH_SI_SJ_E_clIS9_S9_PlSD_EESG_SW_SH_SI_SJ_EUlSW_E0_NS1_11comp_targetILNS1_3genE5ELNS1_11target_archE942ELNS1_3gpuE9ELNS1_3repE0EEENS1_38merge_mergepath_config_static_selectorELNS0_4arch9wavefront6targetE1EEEvSI_,"axG",@progbits,_ZN7rocprim17ROCPRIM_400000_NS6detail17trampoline_kernelINS0_14default_configENS1_38merge_sort_block_merge_config_selectorIN3c108BFloat16ElEEZZNS1_27merge_sort_block_merge_implIS3_PS6_N6thrust23THRUST_200600_302600_NS10device_ptrIlEEmNSB_4lessIS6_EEEE10hipError_tT0_T1_T2_jT3_P12ihipStream_tbPNSt15iterator_traitsISH_E10value_typeEPNSN_ISI_E10value_typeEPSJ_NS1_7vsmem_tEENKUlT_SH_SI_SJ_E_clIS9_S9_PlSD_EESG_SW_SH_SI_SJ_EUlSW_E0_NS1_11comp_targetILNS1_3genE5ELNS1_11target_archE942ELNS1_3gpuE9ELNS1_3repE0EEENS1_38merge_mergepath_config_static_selectorELNS0_4arch9wavefront6targetE1EEEvSI_,comdat
	.protected	_ZN7rocprim17ROCPRIM_400000_NS6detail17trampoline_kernelINS0_14default_configENS1_38merge_sort_block_merge_config_selectorIN3c108BFloat16ElEEZZNS1_27merge_sort_block_merge_implIS3_PS6_N6thrust23THRUST_200600_302600_NS10device_ptrIlEEmNSB_4lessIS6_EEEE10hipError_tT0_T1_T2_jT3_P12ihipStream_tbPNSt15iterator_traitsISH_E10value_typeEPNSN_ISI_E10value_typeEPSJ_NS1_7vsmem_tEENKUlT_SH_SI_SJ_E_clIS9_S9_PlSD_EESG_SW_SH_SI_SJ_EUlSW_E0_NS1_11comp_targetILNS1_3genE5ELNS1_11target_archE942ELNS1_3gpuE9ELNS1_3repE0EEENS1_38merge_mergepath_config_static_selectorELNS0_4arch9wavefront6targetE1EEEvSI_ ; -- Begin function _ZN7rocprim17ROCPRIM_400000_NS6detail17trampoline_kernelINS0_14default_configENS1_38merge_sort_block_merge_config_selectorIN3c108BFloat16ElEEZZNS1_27merge_sort_block_merge_implIS3_PS6_N6thrust23THRUST_200600_302600_NS10device_ptrIlEEmNSB_4lessIS6_EEEE10hipError_tT0_T1_T2_jT3_P12ihipStream_tbPNSt15iterator_traitsISH_E10value_typeEPNSN_ISI_E10value_typeEPSJ_NS1_7vsmem_tEENKUlT_SH_SI_SJ_E_clIS9_S9_PlSD_EESG_SW_SH_SI_SJ_EUlSW_E0_NS1_11comp_targetILNS1_3genE5ELNS1_11target_archE942ELNS1_3gpuE9ELNS1_3repE0EEENS1_38merge_mergepath_config_static_selectorELNS0_4arch9wavefront6targetE1EEEvSI_
	.globl	_ZN7rocprim17ROCPRIM_400000_NS6detail17trampoline_kernelINS0_14default_configENS1_38merge_sort_block_merge_config_selectorIN3c108BFloat16ElEEZZNS1_27merge_sort_block_merge_implIS3_PS6_N6thrust23THRUST_200600_302600_NS10device_ptrIlEEmNSB_4lessIS6_EEEE10hipError_tT0_T1_T2_jT3_P12ihipStream_tbPNSt15iterator_traitsISH_E10value_typeEPNSN_ISI_E10value_typeEPSJ_NS1_7vsmem_tEENKUlT_SH_SI_SJ_E_clIS9_S9_PlSD_EESG_SW_SH_SI_SJ_EUlSW_E0_NS1_11comp_targetILNS1_3genE5ELNS1_11target_archE942ELNS1_3gpuE9ELNS1_3repE0EEENS1_38merge_mergepath_config_static_selectorELNS0_4arch9wavefront6targetE1EEEvSI_
	.p2align	8
	.type	_ZN7rocprim17ROCPRIM_400000_NS6detail17trampoline_kernelINS0_14default_configENS1_38merge_sort_block_merge_config_selectorIN3c108BFloat16ElEEZZNS1_27merge_sort_block_merge_implIS3_PS6_N6thrust23THRUST_200600_302600_NS10device_ptrIlEEmNSB_4lessIS6_EEEE10hipError_tT0_T1_T2_jT3_P12ihipStream_tbPNSt15iterator_traitsISH_E10value_typeEPNSN_ISI_E10value_typeEPSJ_NS1_7vsmem_tEENKUlT_SH_SI_SJ_E_clIS9_S9_PlSD_EESG_SW_SH_SI_SJ_EUlSW_E0_NS1_11comp_targetILNS1_3genE5ELNS1_11target_archE942ELNS1_3gpuE9ELNS1_3repE0EEENS1_38merge_mergepath_config_static_selectorELNS0_4arch9wavefront6targetE1EEEvSI_,@function
_ZN7rocprim17ROCPRIM_400000_NS6detail17trampoline_kernelINS0_14default_configENS1_38merge_sort_block_merge_config_selectorIN3c108BFloat16ElEEZZNS1_27merge_sort_block_merge_implIS3_PS6_N6thrust23THRUST_200600_302600_NS10device_ptrIlEEmNSB_4lessIS6_EEEE10hipError_tT0_T1_T2_jT3_P12ihipStream_tbPNSt15iterator_traitsISH_E10value_typeEPNSN_ISI_E10value_typeEPSJ_NS1_7vsmem_tEENKUlT_SH_SI_SJ_E_clIS9_S9_PlSD_EESG_SW_SH_SI_SJ_EUlSW_E0_NS1_11comp_targetILNS1_3genE5ELNS1_11target_archE942ELNS1_3gpuE9ELNS1_3repE0EEENS1_38merge_mergepath_config_static_selectorELNS0_4arch9wavefront6targetE1EEEvSI_: ; @_ZN7rocprim17ROCPRIM_400000_NS6detail17trampoline_kernelINS0_14default_configENS1_38merge_sort_block_merge_config_selectorIN3c108BFloat16ElEEZZNS1_27merge_sort_block_merge_implIS3_PS6_N6thrust23THRUST_200600_302600_NS10device_ptrIlEEmNSB_4lessIS6_EEEE10hipError_tT0_T1_T2_jT3_P12ihipStream_tbPNSt15iterator_traitsISH_E10value_typeEPNSN_ISI_E10value_typeEPSJ_NS1_7vsmem_tEENKUlT_SH_SI_SJ_E_clIS9_S9_PlSD_EESG_SW_SH_SI_SJ_EUlSW_E0_NS1_11comp_targetILNS1_3genE5ELNS1_11target_archE942ELNS1_3gpuE9ELNS1_3repE0EEENS1_38merge_mergepath_config_static_selectorELNS0_4arch9wavefront6targetE1EEEvSI_
; %bb.0:
	.section	.rodata,"a",@progbits
	.p2align	6, 0x0
	.amdhsa_kernel _ZN7rocprim17ROCPRIM_400000_NS6detail17trampoline_kernelINS0_14default_configENS1_38merge_sort_block_merge_config_selectorIN3c108BFloat16ElEEZZNS1_27merge_sort_block_merge_implIS3_PS6_N6thrust23THRUST_200600_302600_NS10device_ptrIlEEmNSB_4lessIS6_EEEE10hipError_tT0_T1_T2_jT3_P12ihipStream_tbPNSt15iterator_traitsISH_E10value_typeEPNSN_ISI_E10value_typeEPSJ_NS1_7vsmem_tEENKUlT_SH_SI_SJ_E_clIS9_S9_PlSD_EESG_SW_SH_SI_SJ_EUlSW_E0_NS1_11comp_targetILNS1_3genE5ELNS1_11target_archE942ELNS1_3gpuE9ELNS1_3repE0EEENS1_38merge_mergepath_config_static_selectorELNS0_4arch9wavefront6targetE1EEEvSI_
		.amdhsa_group_segment_fixed_size 0
		.amdhsa_private_segment_fixed_size 0
		.amdhsa_kernarg_size 72
		.amdhsa_user_sgpr_count 6
		.amdhsa_user_sgpr_private_segment_buffer 1
		.amdhsa_user_sgpr_dispatch_ptr 0
		.amdhsa_user_sgpr_queue_ptr 0
		.amdhsa_user_sgpr_kernarg_segment_ptr 1
		.amdhsa_user_sgpr_dispatch_id 0
		.amdhsa_user_sgpr_flat_scratch_init 0
		.amdhsa_user_sgpr_kernarg_preload_length 0
		.amdhsa_user_sgpr_kernarg_preload_offset 0
		.amdhsa_user_sgpr_private_segment_size 0
		.amdhsa_uses_dynamic_stack 0
		.amdhsa_system_sgpr_private_segment_wavefront_offset 0
		.amdhsa_system_sgpr_workgroup_id_x 1
		.amdhsa_system_sgpr_workgroup_id_y 0
		.amdhsa_system_sgpr_workgroup_id_z 0
		.amdhsa_system_sgpr_workgroup_info 0
		.amdhsa_system_vgpr_workitem_id 0
		.amdhsa_next_free_vgpr 1
		.amdhsa_next_free_sgpr 0
		.amdhsa_accum_offset 4
		.amdhsa_reserve_vcc 0
		.amdhsa_reserve_flat_scratch 0
		.amdhsa_float_round_mode_32 0
		.amdhsa_float_round_mode_16_64 0
		.amdhsa_float_denorm_mode_32 3
		.amdhsa_float_denorm_mode_16_64 3
		.amdhsa_dx10_clamp 1
		.amdhsa_ieee_mode 1
		.amdhsa_fp16_overflow 0
		.amdhsa_tg_split 0
		.amdhsa_exception_fp_ieee_invalid_op 0
		.amdhsa_exception_fp_denorm_src 0
		.amdhsa_exception_fp_ieee_div_zero 0
		.amdhsa_exception_fp_ieee_overflow 0
		.amdhsa_exception_fp_ieee_underflow 0
		.amdhsa_exception_fp_ieee_inexact 0
		.amdhsa_exception_int_div_zero 0
	.end_amdhsa_kernel
	.section	.text._ZN7rocprim17ROCPRIM_400000_NS6detail17trampoline_kernelINS0_14default_configENS1_38merge_sort_block_merge_config_selectorIN3c108BFloat16ElEEZZNS1_27merge_sort_block_merge_implIS3_PS6_N6thrust23THRUST_200600_302600_NS10device_ptrIlEEmNSB_4lessIS6_EEEE10hipError_tT0_T1_T2_jT3_P12ihipStream_tbPNSt15iterator_traitsISH_E10value_typeEPNSN_ISI_E10value_typeEPSJ_NS1_7vsmem_tEENKUlT_SH_SI_SJ_E_clIS9_S9_PlSD_EESG_SW_SH_SI_SJ_EUlSW_E0_NS1_11comp_targetILNS1_3genE5ELNS1_11target_archE942ELNS1_3gpuE9ELNS1_3repE0EEENS1_38merge_mergepath_config_static_selectorELNS0_4arch9wavefront6targetE1EEEvSI_,"axG",@progbits,_ZN7rocprim17ROCPRIM_400000_NS6detail17trampoline_kernelINS0_14default_configENS1_38merge_sort_block_merge_config_selectorIN3c108BFloat16ElEEZZNS1_27merge_sort_block_merge_implIS3_PS6_N6thrust23THRUST_200600_302600_NS10device_ptrIlEEmNSB_4lessIS6_EEEE10hipError_tT0_T1_T2_jT3_P12ihipStream_tbPNSt15iterator_traitsISH_E10value_typeEPNSN_ISI_E10value_typeEPSJ_NS1_7vsmem_tEENKUlT_SH_SI_SJ_E_clIS9_S9_PlSD_EESG_SW_SH_SI_SJ_EUlSW_E0_NS1_11comp_targetILNS1_3genE5ELNS1_11target_archE942ELNS1_3gpuE9ELNS1_3repE0EEENS1_38merge_mergepath_config_static_selectorELNS0_4arch9wavefront6targetE1EEEvSI_,comdat
.Lfunc_end1989:
	.size	_ZN7rocprim17ROCPRIM_400000_NS6detail17trampoline_kernelINS0_14default_configENS1_38merge_sort_block_merge_config_selectorIN3c108BFloat16ElEEZZNS1_27merge_sort_block_merge_implIS3_PS6_N6thrust23THRUST_200600_302600_NS10device_ptrIlEEmNSB_4lessIS6_EEEE10hipError_tT0_T1_T2_jT3_P12ihipStream_tbPNSt15iterator_traitsISH_E10value_typeEPNSN_ISI_E10value_typeEPSJ_NS1_7vsmem_tEENKUlT_SH_SI_SJ_E_clIS9_S9_PlSD_EESG_SW_SH_SI_SJ_EUlSW_E0_NS1_11comp_targetILNS1_3genE5ELNS1_11target_archE942ELNS1_3gpuE9ELNS1_3repE0EEENS1_38merge_mergepath_config_static_selectorELNS0_4arch9wavefront6targetE1EEEvSI_, .Lfunc_end1989-_ZN7rocprim17ROCPRIM_400000_NS6detail17trampoline_kernelINS0_14default_configENS1_38merge_sort_block_merge_config_selectorIN3c108BFloat16ElEEZZNS1_27merge_sort_block_merge_implIS3_PS6_N6thrust23THRUST_200600_302600_NS10device_ptrIlEEmNSB_4lessIS6_EEEE10hipError_tT0_T1_T2_jT3_P12ihipStream_tbPNSt15iterator_traitsISH_E10value_typeEPNSN_ISI_E10value_typeEPSJ_NS1_7vsmem_tEENKUlT_SH_SI_SJ_E_clIS9_S9_PlSD_EESG_SW_SH_SI_SJ_EUlSW_E0_NS1_11comp_targetILNS1_3genE5ELNS1_11target_archE942ELNS1_3gpuE9ELNS1_3repE0EEENS1_38merge_mergepath_config_static_selectorELNS0_4arch9wavefront6targetE1EEEvSI_
                                        ; -- End function
	.section	.AMDGPU.csdata,"",@progbits
; Kernel info:
; codeLenInByte = 0
; NumSgprs: 4
; NumVgprs: 0
; NumAgprs: 0
; TotalNumVgprs: 0
; ScratchSize: 0
; MemoryBound: 0
; FloatMode: 240
; IeeeMode: 1
; LDSByteSize: 0 bytes/workgroup (compile time only)
; SGPRBlocks: 0
; VGPRBlocks: 0
; NumSGPRsForWavesPerEU: 4
; NumVGPRsForWavesPerEU: 1
; AccumOffset: 4
; Occupancy: 8
; WaveLimiterHint : 0
; COMPUTE_PGM_RSRC2:SCRATCH_EN: 0
; COMPUTE_PGM_RSRC2:USER_SGPR: 6
; COMPUTE_PGM_RSRC2:TRAP_HANDLER: 0
; COMPUTE_PGM_RSRC2:TGID_X_EN: 1
; COMPUTE_PGM_RSRC2:TGID_Y_EN: 0
; COMPUTE_PGM_RSRC2:TGID_Z_EN: 0
; COMPUTE_PGM_RSRC2:TIDIG_COMP_CNT: 0
; COMPUTE_PGM_RSRC3_GFX90A:ACCUM_OFFSET: 0
; COMPUTE_PGM_RSRC3_GFX90A:TG_SPLIT: 0
	.section	.text._ZN7rocprim17ROCPRIM_400000_NS6detail17trampoline_kernelINS0_14default_configENS1_38merge_sort_block_merge_config_selectorIN3c108BFloat16ElEEZZNS1_27merge_sort_block_merge_implIS3_PS6_N6thrust23THRUST_200600_302600_NS10device_ptrIlEEmNSB_4lessIS6_EEEE10hipError_tT0_T1_T2_jT3_P12ihipStream_tbPNSt15iterator_traitsISH_E10value_typeEPNSN_ISI_E10value_typeEPSJ_NS1_7vsmem_tEENKUlT_SH_SI_SJ_E_clIS9_S9_PlSD_EESG_SW_SH_SI_SJ_EUlSW_E0_NS1_11comp_targetILNS1_3genE4ELNS1_11target_archE910ELNS1_3gpuE8ELNS1_3repE0EEENS1_38merge_mergepath_config_static_selectorELNS0_4arch9wavefront6targetE1EEEvSI_,"axG",@progbits,_ZN7rocprim17ROCPRIM_400000_NS6detail17trampoline_kernelINS0_14default_configENS1_38merge_sort_block_merge_config_selectorIN3c108BFloat16ElEEZZNS1_27merge_sort_block_merge_implIS3_PS6_N6thrust23THRUST_200600_302600_NS10device_ptrIlEEmNSB_4lessIS6_EEEE10hipError_tT0_T1_T2_jT3_P12ihipStream_tbPNSt15iterator_traitsISH_E10value_typeEPNSN_ISI_E10value_typeEPSJ_NS1_7vsmem_tEENKUlT_SH_SI_SJ_E_clIS9_S9_PlSD_EESG_SW_SH_SI_SJ_EUlSW_E0_NS1_11comp_targetILNS1_3genE4ELNS1_11target_archE910ELNS1_3gpuE8ELNS1_3repE0EEENS1_38merge_mergepath_config_static_selectorELNS0_4arch9wavefront6targetE1EEEvSI_,comdat
	.protected	_ZN7rocprim17ROCPRIM_400000_NS6detail17trampoline_kernelINS0_14default_configENS1_38merge_sort_block_merge_config_selectorIN3c108BFloat16ElEEZZNS1_27merge_sort_block_merge_implIS3_PS6_N6thrust23THRUST_200600_302600_NS10device_ptrIlEEmNSB_4lessIS6_EEEE10hipError_tT0_T1_T2_jT3_P12ihipStream_tbPNSt15iterator_traitsISH_E10value_typeEPNSN_ISI_E10value_typeEPSJ_NS1_7vsmem_tEENKUlT_SH_SI_SJ_E_clIS9_S9_PlSD_EESG_SW_SH_SI_SJ_EUlSW_E0_NS1_11comp_targetILNS1_3genE4ELNS1_11target_archE910ELNS1_3gpuE8ELNS1_3repE0EEENS1_38merge_mergepath_config_static_selectorELNS0_4arch9wavefront6targetE1EEEvSI_ ; -- Begin function _ZN7rocprim17ROCPRIM_400000_NS6detail17trampoline_kernelINS0_14default_configENS1_38merge_sort_block_merge_config_selectorIN3c108BFloat16ElEEZZNS1_27merge_sort_block_merge_implIS3_PS6_N6thrust23THRUST_200600_302600_NS10device_ptrIlEEmNSB_4lessIS6_EEEE10hipError_tT0_T1_T2_jT3_P12ihipStream_tbPNSt15iterator_traitsISH_E10value_typeEPNSN_ISI_E10value_typeEPSJ_NS1_7vsmem_tEENKUlT_SH_SI_SJ_E_clIS9_S9_PlSD_EESG_SW_SH_SI_SJ_EUlSW_E0_NS1_11comp_targetILNS1_3genE4ELNS1_11target_archE910ELNS1_3gpuE8ELNS1_3repE0EEENS1_38merge_mergepath_config_static_selectorELNS0_4arch9wavefront6targetE1EEEvSI_
	.globl	_ZN7rocprim17ROCPRIM_400000_NS6detail17trampoline_kernelINS0_14default_configENS1_38merge_sort_block_merge_config_selectorIN3c108BFloat16ElEEZZNS1_27merge_sort_block_merge_implIS3_PS6_N6thrust23THRUST_200600_302600_NS10device_ptrIlEEmNSB_4lessIS6_EEEE10hipError_tT0_T1_T2_jT3_P12ihipStream_tbPNSt15iterator_traitsISH_E10value_typeEPNSN_ISI_E10value_typeEPSJ_NS1_7vsmem_tEENKUlT_SH_SI_SJ_E_clIS9_S9_PlSD_EESG_SW_SH_SI_SJ_EUlSW_E0_NS1_11comp_targetILNS1_3genE4ELNS1_11target_archE910ELNS1_3gpuE8ELNS1_3repE0EEENS1_38merge_mergepath_config_static_selectorELNS0_4arch9wavefront6targetE1EEEvSI_
	.p2align	8
	.type	_ZN7rocprim17ROCPRIM_400000_NS6detail17trampoline_kernelINS0_14default_configENS1_38merge_sort_block_merge_config_selectorIN3c108BFloat16ElEEZZNS1_27merge_sort_block_merge_implIS3_PS6_N6thrust23THRUST_200600_302600_NS10device_ptrIlEEmNSB_4lessIS6_EEEE10hipError_tT0_T1_T2_jT3_P12ihipStream_tbPNSt15iterator_traitsISH_E10value_typeEPNSN_ISI_E10value_typeEPSJ_NS1_7vsmem_tEENKUlT_SH_SI_SJ_E_clIS9_S9_PlSD_EESG_SW_SH_SI_SJ_EUlSW_E0_NS1_11comp_targetILNS1_3genE4ELNS1_11target_archE910ELNS1_3gpuE8ELNS1_3repE0EEENS1_38merge_mergepath_config_static_selectorELNS0_4arch9wavefront6targetE1EEEvSI_,@function
_ZN7rocprim17ROCPRIM_400000_NS6detail17trampoline_kernelINS0_14default_configENS1_38merge_sort_block_merge_config_selectorIN3c108BFloat16ElEEZZNS1_27merge_sort_block_merge_implIS3_PS6_N6thrust23THRUST_200600_302600_NS10device_ptrIlEEmNSB_4lessIS6_EEEE10hipError_tT0_T1_T2_jT3_P12ihipStream_tbPNSt15iterator_traitsISH_E10value_typeEPNSN_ISI_E10value_typeEPSJ_NS1_7vsmem_tEENKUlT_SH_SI_SJ_E_clIS9_S9_PlSD_EESG_SW_SH_SI_SJ_EUlSW_E0_NS1_11comp_targetILNS1_3genE4ELNS1_11target_archE910ELNS1_3gpuE8ELNS1_3repE0EEENS1_38merge_mergepath_config_static_selectorELNS0_4arch9wavefront6targetE1EEEvSI_: ; @_ZN7rocprim17ROCPRIM_400000_NS6detail17trampoline_kernelINS0_14default_configENS1_38merge_sort_block_merge_config_selectorIN3c108BFloat16ElEEZZNS1_27merge_sort_block_merge_implIS3_PS6_N6thrust23THRUST_200600_302600_NS10device_ptrIlEEmNSB_4lessIS6_EEEE10hipError_tT0_T1_T2_jT3_P12ihipStream_tbPNSt15iterator_traitsISH_E10value_typeEPNSN_ISI_E10value_typeEPSJ_NS1_7vsmem_tEENKUlT_SH_SI_SJ_E_clIS9_S9_PlSD_EESG_SW_SH_SI_SJ_EUlSW_E0_NS1_11comp_targetILNS1_3genE4ELNS1_11target_archE910ELNS1_3gpuE8ELNS1_3repE0EEENS1_38merge_mergepath_config_static_selectorELNS0_4arch9wavefront6targetE1EEEvSI_
; %bb.0:
	s_load_dwordx2 s[28:29], s[4:5], 0x48
	s_load_dword s2, s[4:5], 0x38
	s_add_u32 s0, s4, 0x48
	s_addc_u32 s1, s5, 0
	s_waitcnt lgkmcnt(0)
	s_mul_i32 s3, s29, s8
	s_add_i32 s3, s3, s7
	s_mul_i32 s3, s3, s28
	s_add_i32 s26, s3, s6
	s_cmp_ge_u32 s26, s2
	s_cbranch_scc1 .LBB1990_55
; %bb.1:
	s_load_dwordx2 s[2:3], s[4:5], 0x40
	s_load_dwordx4 s[16:19], s[4:5], 0x28
	s_load_dwordx8 s[8:15], s[4:5], 0x8
	s_mov_b32 s27, 0
	s_lshl_b64 s[4:5], s[26:27], 3
	s_waitcnt lgkmcnt(0)
	s_add_u32 s2, s2, s4
	v_mov_b32_e32 v1, s18
	s_addc_u32 s3, s3, s5
	v_alignbit_b32 v1, s19, v1, 9
	s_load_dwordx4 s[20:23], s[2:3], 0x0
	v_readfirstlane_b32 s2, v1
	s_and_b32 s2, s2, -2
	s_sub_i32 s31, 0, s2
	s_and_b32 s4, s26, s31
	s_mov_b32 s5, s27
	s_lshl_b64 s[2:3], s[4:5], 10
	s_lshl_b64 s[24:25], s[26:27], 10
	s_sub_u32 s29, s24, s2
	s_subb_u32 s33, s25, s3
	s_lshl_b64 s[4:5], s[4:5], 11
	s_add_u32 s7, s4, s18
	s_addc_u32 s30, s5, s19
	s_add_u32 s4, s7, s29
	s_addc_u32 s5, s30, s33
	s_waitcnt lgkmcnt(0)
	s_sub_u32 s29, s4, s22
	s_subb_u32 s23, s5, s23
	s_add_u32 s34, s29, 0x400
	s_addc_u32 s35, s23, 0
	v_pk_mov_b32 v[2:3], s[34:35], s[34:35] op_sel:[0,1]
	v_cmp_lt_u64_e32 vcc, s[16:17], v[2:3]
	s_and_b64 s[36:37], vcc, exec
	s_cselect_b32 s29, s16, s34
	s_or_b32 s23, s26, s31
	s_cmp_lg_u32 s23, -1
	s_cbranch_scc1 .LBB1990_3
; %bb.2:
	s_sub_u32 s2, s7, s2
	s_subb_u32 s3, s30, s3
	v_pk_mov_b32 v[2:3], s[2:3], s[2:3] op_sel:[0,1]
	v_cmp_lt_u64_e32 vcc, s[16:17], v[2:3]
	s_and_b64 s[22:23], vcc, exec
	s_cselect_b32 s22, s16, s2
	s_add_u32 s2, s2, s18
	s_addc_u32 s3, s3, s19
	v_pk_mov_b32 v[2:3], s[2:3], s[2:3] op_sel:[0,1]
	v_cmp_lt_u64_e32 vcc, s[16:17], v[2:3]
	s_and_b64 s[18:19], vcc, exec
	s_cselect_b32 s29, s16, s2
.LBB1990_3:
	s_lshr_b64 s[30:31], s[16:17], 10
	s_cmp_lg_u64 s[30:31], s[26:27]
	s_cselect_b64 s[18:19], -1, 0
	s_sub_u32 s2, s4, s20
	s_subb_u32 s3, s5, s21
	v_pk_mov_b32 v[2:3], s[2:3], s[2:3] op_sel:[0,1]
	v_cmp_lt_u64_e32 vcc, s[16:17], v[2:3]
	s_and_b64 s[4:5], vcc, exec
	s_cselect_b32 s3, s17, s3
	s_cselect_b32 s2, s16, s2
	s_sub_i32 s17, s22, s20
	s_lshl_b64 s[4:5], s[20:21], 1
	s_add_u32 s22, s8, s4
	s_addc_u32 s23, s9, s5
	s_lshl_b64 s[4:5], s[2:3], 1
	s_add_u32 s7, s8, s4
	s_addc_u32 s8, s9, s5
	s_cmp_lt_u32 s6, s28
	v_mov_b32_e32 v7, 0
	s_cselect_b32 s4, 12, 18
	global_load_dword v1, v7, s[0:1] offset:14
	s_add_u32 s0, s0, s4
	s_addc_u32 s1, s1, 0
	global_load_ushort v2, v7, s[0:1]
	s_cmp_eq_u64 s[30:31], s[26:27]
	s_waitcnt vmcnt(1)
	v_lshrrev_b32_e32 v3, 16, v1
	v_and_b32_e32 v1, 0xffff, v1
	v_mul_lo_u32 v1, v1, v3
	s_waitcnt vmcnt(0)
	v_mul_lo_u32 v18, v1, v2
	v_add_u32_e32 v4, v18, v0
	v_lshlrev_b32_e32 v1, 1, v0
	v_add_u32_e32 v2, v4, v18
	s_cbranch_scc1 .LBB1990_5
; %bb.4:
	v_mov_b32_e32 v3, s23
	v_add_co_u32_e32 v5, vcc, s22, v1
	v_subrev_u32_e32 v6, s17, v0
	v_addc_co_u32_e32 v3, vcc, 0, v3, vcc
	v_lshlrev_b64 v[8:9], 1, v[6:7]
	v_mov_b32_e32 v6, s8
	v_add_co_u32_e32 v8, vcc, s7, v8
	v_addc_co_u32_e32 v6, vcc, v6, v9, vcc
	v_cmp_gt_u32_e32 vcc, s17, v0
	v_cndmask_b32_e32 v9, v6, v3, vcc
	v_cndmask_b32_e32 v8, v8, v5, vcc
	v_mov_b32_e32 v5, v7
	global_load_ushort v15, v[8:9], off
	v_lshlrev_b64 v[8:9], 1, v[4:5]
	v_mov_b32_e32 v3, s23
	v_add_co_u32_e32 v5, vcc, s22, v8
	v_subrev_u32_e32 v6, s17, v4
	v_addc_co_u32_e32 v3, vcc, v3, v9, vcc
	v_lshlrev_b64 v[8:9], 1, v[6:7]
	v_mov_b32_e32 v6, s8
	v_add_co_u32_e32 v8, vcc, s7, v8
	v_addc_co_u32_e32 v6, vcc, v6, v9, vcc
	v_cmp_gt_u32_e32 vcc, s17, v4
	v_cndmask_b32_e32 v9, v6, v3, vcc
	v_cndmask_b32_e32 v8, v8, v5, vcc
	v_mov_b32_e32 v3, v7
	global_load_ushort v16, v[8:9], off
	v_lshlrev_b64 v[8:9], 1, v[2:3]
	v_mov_b32_e32 v3, s23
	v_add_co_u32_e32 v5, vcc, s22, v8
	v_subrev_u32_e32 v6, s17, v2
	v_addc_co_u32_e32 v3, vcc, v3, v9, vcc
	v_lshlrev_b64 v[6:7], 1, v[6:7]
	v_mov_b32_e32 v8, s8
	v_add_co_u32_e32 v6, vcc, s7, v6
	v_addc_co_u32_e32 v7, vcc, v8, v7, vcc
	v_cmp_gt_u32_e32 vcc, s17, v2
	v_cndmask_b32_e32 v7, v7, v3, vcc
	v_cndmask_b32_e32 v6, v6, v5, vcc
	global_load_ushort v17, v[6:7], off
	v_add_u32_e32 v6, v2, v18
	s_mov_b64 s[0:1], -1
	s_sub_i32 s6, s29, s2
	s_cbranch_execz .LBB1990_6
	s_branch .LBB1990_13
.LBB1990_5:
	s_mov_b64 s[0:1], 0
                                        ; implicit-def: $vgpr17
                                        ; implicit-def: $vgpr16
                                        ; implicit-def: $vgpr15
                                        ; implicit-def: $vgpr6
	s_sub_i32 s6, s29, s2
.LBB1990_6:
	s_add_i32 s4, s17, s6
	v_cmp_gt_u32_e32 vcc, s4, v0
                                        ; implicit-def: $vgpr15
	s_and_saveexec_b64 s[0:1], vcc
	s_cbranch_execz .LBB1990_8
; %bb.7:
	v_mov_b32_e32 v7, 0
	v_mov_b32_e32 v3, s23
	v_add_co_u32_e32 v5, vcc, s22, v1
	v_subrev_u32_e32 v6, s17, v0
	v_addc_co_u32_e32 v3, vcc, 0, v3, vcc
	v_lshlrev_b64 v[6:7], 1, v[6:7]
	v_mov_b32_e32 v8, s8
	v_add_co_u32_e32 v6, vcc, s7, v6
	v_addc_co_u32_e32 v7, vcc, v8, v7, vcc
	v_cmp_gt_u32_e32 vcc, s17, v0
	v_cndmask_b32_e32 v7, v7, v3, vcc
	v_cndmask_b32_e32 v6, v6, v5, vcc
	global_load_ushort v15, v[6:7], off
.LBB1990_8:
	s_or_b64 exec, exec, s[0:1]
	v_cmp_gt_u32_e32 vcc, s4, v4
                                        ; implicit-def: $vgpr16
	s_and_saveexec_b64 s[0:1], vcc
	s_cbranch_execz .LBB1990_10
; %bb.9:
	v_mov_b32_e32 v5, 0
	v_lshlrev_b64 v[6:7], 1, v[4:5]
	v_mov_b32_e32 v3, s23
	v_add_co_u32_e32 v8, vcc, s22, v6
	v_addc_co_u32_e32 v3, vcc, v3, v7, vcc
	v_subrev_u32_e32 v6, s17, v4
	v_mov_b32_e32 v7, v5
	v_lshlrev_b64 v[6:7], 1, v[6:7]
	v_mov_b32_e32 v5, s8
	v_add_co_u32_e32 v6, vcc, s7, v6
	v_addc_co_u32_e32 v5, vcc, v5, v7, vcc
	v_cmp_gt_u32_e32 vcc, s17, v4
	v_cndmask_b32_e32 v7, v5, v3, vcc
	v_cndmask_b32_e32 v6, v6, v8, vcc
	global_load_ushort v16, v[6:7], off
.LBB1990_10:
	s_or_b64 exec, exec, s[0:1]
	v_cmp_gt_u32_e32 vcc, s4, v2
                                        ; implicit-def: $vgpr17
	s_and_saveexec_b64 s[0:1], vcc
	s_cbranch_execz .LBB1990_12
; %bb.11:
	v_mov_b32_e32 v3, 0
	v_lshlrev_b64 v[6:7], 1, v[2:3]
	v_mov_b32_e32 v5, s23
	v_add_co_u32_e32 v8, vcc, s22, v6
	v_addc_co_u32_e32 v5, vcc, v5, v7, vcc
	v_subrev_u32_e32 v6, s17, v2
	v_mov_b32_e32 v7, v3
	v_lshlrev_b64 v[6:7], 1, v[6:7]
	v_mov_b32_e32 v3, s8
	v_add_co_u32_e32 v6, vcc, s7, v6
	v_addc_co_u32_e32 v3, vcc, v3, v7, vcc
	v_cmp_gt_u32_e32 vcc, s17, v2
	v_cndmask_b32_e32 v7, v3, v5, vcc
	v_cndmask_b32_e32 v6, v6, v8, vcc
	global_load_ushort v17, v[6:7], off
.LBB1990_12:
	s_or_b64 exec, exec, s[0:1]
	v_add_u32_e32 v6, v2, v18
	v_cmp_gt_u32_e64 s[0:1], s4, v6
.LBB1990_13:
                                        ; implicit-def: $vgpr19
	s_and_saveexec_b64 s[4:5], s[0:1]
	s_cbranch_execz .LBB1990_15
; %bb.14:
	v_mov_b32_e32 v7, 0
	v_lshlrev_b64 v[8:9], 1, v[6:7]
	v_mov_b32_e32 v3, s23
	v_add_co_u32_e32 v5, vcc, s22, v8
	v_addc_co_u32_e32 v3, vcc, v3, v9, vcc
	v_cmp_gt_u32_e32 vcc, s17, v6
	v_subrev_u32_e32 v6, s17, v6
	v_lshlrev_b64 v[6:7], 1, v[6:7]
	v_mov_b32_e32 v8, s8
	v_add_co_u32_e64 v6, s[0:1], s7, v6
	v_addc_co_u32_e64 v7, s[0:1], v8, v7, s[0:1]
	v_cndmask_b32_e32 v7, v7, v3, vcc
	v_cndmask_b32_e32 v6, v6, v5, vcc
	global_load_ushort v19, v[6:7], off
.LBB1990_15:
	s_or_b64 exec, exec, s[4:5]
	s_lshl_b64 s[0:1], s[20:21], 3
	s_add_u32 s7, s12, s0
	s_addc_u32 s8, s13, s1
	s_lshl_b64 s[0:1], s[2:3], 3
	s_add_u32 s4, s12, s0
	s_addc_u32 s5, s13, s1
	s_andn2_b64 vcc, exec, s[18:19]
	v_lshlrev_b32_e32 v14, 3, v0
	s_waitcnt vmcnt(0)
	ds_write_b16 v1, v15
	ds_write_b16 v1, v16 offset:512
	ds_write_b16 v1, v17 offset:1024
	;; [unrolled: 1-line block ×3, first 2 shown]
	s_cbranch_vccnz .LBB1990_17
; %bb.16:
	v_mov_b32_e32 v13, 0
	v_mov_b32_e32 v3, s8
	v_add_co_u32_e32 v5, vcc, s7, v14
	v_subrev_u32_e32 v12, s17, v0
	v_addc_co_u32_e32 v3, vcc, 0, v3, vcc
	v_lshlrev_b64 v[6:7], 3, v[12:13]
	v_mov_b32_e32 v8, s5
	v_add_co_u32_e32 v6, vcc, s4, v6
	v_addc_co_u32_e32 v7, vcc, v8, v7, vcc
	v_cmp_gt_u32_e32 vcc, s17, v0
	v_cndmask_b32_e32 v6, v6, v5, vcc
	v_mov_b32_e32 v5, v13
	v_lshlrev_b64 v[8:9], 3, v[4:5]
	v_cndmask_b32_e32 v7, v7, v3, vcc
	v_mov_b32_e32 v3, s8
	v_add_co_u32_e32 v5, vcc, s7, v8
	v_subrev_u32_e32 v12, s17, v4
	v_addc_co_u32_e32 v3, vcc, v3, v9, vcc
	v_lshlrev_b64 v[8:9], 3, v[12:13]
	v_mov_b32_e32 v10, s5
	v_add_co_u32_e32 v8, vcc, s4, v8
	v_addc_co_u32_e32 v9, vcc, v10, v9, vcc
	v_cmp_gt_u32_e32 vcc, s17, v4
	v_cndmask_b32_e32 v9, v9, v3, vcc
	v_mov_b32_e32 v3, v13
	v_lshlrev_b64 v[10:11], 3, v[2:3]
	v_cndmask_b32_e32 v8, v8, v5, vcc
	v_mov_b32_e32 v3, s8
	v_add_co_u32_e32 v5, vcc, s7, v10
	v_subrev_u32_e32 v12, s17, v2
	v_addc_co_u32_e32 v3, vcc, v3, v11, vcc
	v_lshlrev_b64 v[10:11], 3, v[12:13]
	v_mov_b32_e32 v12, s5
	v_add_co_u32_e32 v10, vcc, s4, v10
	v_addc_co_u32_e32 v11, vcc, v12, v11, vcc
	v_add_u32_e32 v12, v2, v18
	v_cmp_gt_u32_e32 vcc, s17, v2
	v_lshlrev_b64 v[20:21], 3, v[12:13]
	v_cndmask_b32_e32 v11, v11, v3, vcc
	v_cndmask_b32_e32 v10, v10, v5, vcc
	v_mov_b32_e32 v3, s8
	v_add_co_u32_e32 v5, vcc, s7, v20
	v_addc_co_u32_e32 v3, vcc, v3, v21, vcc
	v_cmp_gt_u32_e32 vcc, s17, v12
	v_subrev_u32_e32 v12, s17, v12
	v_lshlrev_b64 v[12:13], 3, v[12:13]
	v_mov_b32_e32 v20, s5
	v_add_co_u32_e64 v12, s[0:1], s4, v12
	v_addc_co_u32_e64 v13, s[0:1], v20, v13, s[0:1]
	v_cndmask_b32_e32 v13, v13, v3, vcc
	v_cndmask_b32_e32 v12, v12, v5, vcc
	global_load_dwordx2 v[6:7], v[6:7], off
	s_add_i32 s12, s17, s6
	global_load_dwordx2 v[8:9], v[8:9], off
	s_nop 0
	global_load_dwordx2 v[10:11], v[10:11], off
	s_nop 0
	global_load_dwordx2 v[12:13], v[12:13], off
	s_cbranch_execz .LBB1990_18
	s_branch .LBB1990_27
.LBB1990_17:
                                        ; implicit-def: $vgpr6_vgpr7
                                        ; implicit-def: $vgpr8_vgpr9
                                        ; implicit-def: $vgpr10_vgpr11
                                        ; implicit-def: $vgpr12_vgpr13
                                        ; implicit-def: $sgpr12
.LBB1990_18:
	s_add_i32 s12, s17, s6
	v_cmp_gt_u32_e32 vcc, s12, v0
                                        ; implicit-def: $vgpr6_vgpr7
	s_and_saveexec_b64 s[0:1], vcc
	s_cbranch_execz .LBB1990_20
; %bb.19:
	s_waitcnt vmcnt(3)
	v_mov_b32_e32 v7, 0
	v_mov_b32_e32 v3, s8
	v_add_co_u32_e32 v5, vcc, s7, v14
	v_subrev_u32_e32 v6, s17, v0
	v_addc_co_u32_e32 v3, vcc, 0, v3, vcc
	v_lshlrev_b64 v[6:7], 3, v[6:7]
	s_waitcnt vmcnt(2)
	v_mov_b32_e32 v8, s5
	v_add_co_u32_e32 v6, vcc, s4, v6
	v_addc_co_u32_e32 v7, vcc, v8, v7, vcc
	v_cmp_gt_u32_e32 vcc, s17, v0
	v_cndmask_b32_e32 v7, v7, v3, vcc
	v_cndmask_b32_e32 v6, v6, v5, vcc
	global_load_dwordx2 v[6:7], v[6:7], off
.LBB1990_20:
	s_or_b64 exec, exec, s[0:1]
	v_cmp_gt_u32_e32 vcc, s12, v4
                                        ; implicit-def: $vgpr8_vgpr9
	s_and_saveexec_b64 s[2:3], vcc
	s_cbranch_execz .LBB1990_22
; %bb.21:
	v_mov_b32_e32 v5, 0
	s_waitcnt vmcnt(2)
	v_lshlrev_b64 v[8:9], 3, v[4:5]
	v_mov_b32_e32 v3, s8
	v_add_co_u32_e32 v8, vcc, s7, v8
	v_addc_co_u32_e32 v3, vcc, v3, v9, vcc
	v_cmp_gt_u32_e32 vcc, s17, v4
	v_subrev_u32_e32 v4, s17, v4
	v_lshlrev_b64 v[4:5], 3, v[4:5]
	v_mov_b32_e32 v9, s5
	v_add_co_u32_e64 v4, s[0:1], s4, v4
	v_addc_co_u32_e64 v5, s[0:1], v9, v5, s[0:1]
	v_cndmask_b32_e32 v5, v5, v3, vcc
	v_cndmask_b32_e32 v4, v4, v8, vcc
	global_load_dwordx2 v[8:9], v[4:5], off
.LBB1990_22:
	s_or_b64 exec, exec, s[2:3]
	v_cmp_gt_u32_e32 vcc, s12, v2
                                        ; implicit-def: $vgpr10_vgpr11
	s_and_saveexec_b64 s[0:1], vcc
	s_cbranch_execz .LBB1990_24
; %bb.23:
	v_mov_b32_e32 v3, 0
	v_lshlrev_b64 v[4:5], 3, v[2:3]
	s_waitcnt vmcnt(1)
	v_mov_b32_e32 v10, s8
	v_add_co_u32_e32 v11, vcc, s7, v4
	v_addc_co_u32_e32 v10, vcc, v10, v5, vcc
	v_subrev_u32_e32 v4, s17, v2
	v_mov_b32_e32 v5, v3
	v_lshlrev_b64 v[4:5], 3, v[4:5]
	v_mov_b32_e32 v3, s5
	v_add_co_u32_e32 v4, vcc, s4, v4
	v_addc_co_u32_e32 v3, vcc, v3, v5, vcc
	v_cmp_gt_u32_e32 vcc, s17, v2
	v_cndmask_b32_e32 v5, v3, v10, vcc
	v_cndmask_b32_e32 v4, v4, v11, vcc
	global_load_dwordx2 v[10:11], v[4:5], off
.LBB1990_24:
	s_or_b64 exec, exec, s[0:1]
	v_add_u32_e32 v2, v2, v18
	v_cmp_gt_u32_e32 vcc, s12, v2
                                        ; implicit-def: $vgpr12_vgpr13
	s_and_saveexec_b64 s[2:3], vcc
	s_cbranch_execz .LBB1990_26
; %bb.25:
	v_mov_b32_e32 v3, 0
	v_lshlrev_b64 v[4:5], 3, v[2:3]
	s_waitcnt vmcnt(0)
	v_mov_b32_e32 v12, s8
	v_add_co_u32_e32 v4, vcc, s7, v4
	v_addc_co_u32_e32 v5, vcc, v12, v5, vcc
	v_cmp_gt_u32_e32 vcc, s17, v2
	v_subrev_u32_e32 v2, s17, v2
	v_lshlrev_b64 v[2:3], 3, v[2:3]
	v_mov_b32_e32 v12, s5
	v_add_co_u32_e64 v2, s[0:1], s4, v2
	v_addc_co_u32_e64 v3, s[0:1], v12, v3, s[0:1]
	v_cndmask_b32_e32 v3, v3, v5, vcc
	v_cndmask_b32_e32 v2, v2, v4, vcc
	global_load_dwordx2 v[12:13], v[2:3], off
.LBB1990_26:
	s_or_b64 exec, exec, s[2:3]
.LBB1990_27:
	v_lshlrev_b32_e32 v18, 2, v0
	v_min_u32_e32 v3, s12, v18
	v_sub_u32_e64 v2, v3, s6 clamp
	v_min_u32_e32 v4, s17, v3
	v_cmp_lt_u32_e32 vcc, v2, v4
	s_waitcnt lgkmcnt(0)
	s_barrier
	s_and_saveexec_b64 s[0:1], vcc
	s_cbranch_execz .LBB1990_31
; %bb.28:
	v_lshlrev_b32_e32 v5, 1, v3
	v_lshl_add_u32 v5, s17, 1, v5
	s_mov_b64 s[2:3], 0
.LBB1990_29:                            ; =>This Inner Loop Header: Depth=1
	v_add_u32_e32 v20, v4, v2
	v_lshrrev_b32_e32 v21, 1, v20
	v_not_b32_e32 v22, v21
	v_and_b32_e32 v20, -2, v20
	v_lshl_add_u32 v22, v22, 1, v5
	ds_read_u16 v20, v20
	ds_read_u16 v22, v22
	v_add_u32_e32 v23, 1, v21
	s_waitcnt lgkmcnt(1)
	v_lshlrev_b32_e32 v20, 16, v20
	s_waitcnt lgkmcnt(0)
	v_lshlrev_b32_e32 v22, 16, v22
	v_cmp_lt_f32_e32 vcc, v22, v20
	v_cndmask_b32_e32 v4, v4, v21, vcc
	v_cndmask_b32_e32 v2, v23, v2, vcc
	v_cmp_ge_u32_e32 vcc, v2, v4
	s_or_b64 s[2:3], vcc, s[2:3]
	s_andn2_b64 exec, exec, s[2:3]
	s_cbranch_execnz .LBB1990_29
; %bb.30:
	s_or_b64 exec, exec, s[2:3]
.LBB1990_31:
	s_or_b64 exec, exec, s[0:1]
	v_sub_u32_e32 v3, v3, v2
	v_add_u32_e32 v20, s17, v3
	v_cmp_ge_u32_e32 vcc, s17, v2
	v_cmp_ge_u32_e64 s[0:1], s12, v20
	s_or_b64 s[0:1], vcc, s[0:1]
                                        ; implicit-def: $vgpr5
                                        ; implicit-def: $vgpr21
                                        ; implicit-def: $vgpr4
                                        ; implicit-def: $vgpr3
	s_and_saveexec_b64 s[8:9], s[0:1]
	s_cbranch_execz .LBB1990_37
; %bb.32:
	v_cmp_gt_u32_e32 vcc, s17, v2
                                        ; implicit-def: $vgpr5
	s_and_saveexec_b64 s[0:1], vcc
	s_cbranch_execz .LBB1990_34
; %bb.33:
	v_lshlrev_b32_e32 v3, 1, v2
	ds_read_u16 v5, v3
.LBB1990_34:
	s_or_b64 exec, exec, s[0:1]
	v_cmp_le_u32_e64 s[0:1], s12, v20
	v_cmp_gt_u32_e64 s[2:3], s12, v20
                                        ; implicit-def: $vgpr15
	s_and_saveexec_b64 s[4:5], s[2:3]
	s_cbranch_execz .LBB1990_36
; %bb.35:
	v_lshlrev_b32_e32 v3, 1, v20
	ds_read_u16 v15, v3
.LBB1990_36:
	s_or_b64 exec, exec, s[4:5]
	s_waitcnt lgkmcnt(0)
	v_lshlrev_b32_e32 v3, 16, v5
	v_lshlrev_b32_e32 v4, 16, v15
	v_cmp_nlt_f32_e64 s[2:3], v4, v3
	s_and_b64 s[2:3], vcc, s[2:3]
	s_or_b64 vcc, s[0:1], s[2:3]
	v_mov_b32_e32 v16, s12
	v_mov_b32_e32 v17, s17
	v_cndmask_b32_e32 v3, v20, v2, vcc
	v_cndmask_b32_e32 v4, v16, v17, vcc
	v_add_u32_e32 v19, 1, v3
	v_add_u32_e32 v4, -1, v4
	v_min_u32_e32 v4, v19, v4
	v_lshlrev_b32_e32 v4, 1, v4
	ds_read_u16 v4, v4
	v_cndmask_b32_e32 v20, v19, v20, vcc
	v_cndmask_b32_e32 v2, v2, v19, vcc
	v_cmp_gt_u32_e64 s[2:3], s17, v2
	v_cmp_le_u32_e64 s[0:1], s12, v20
	s_waitcnt lgkmcnt(0)
	v_cndmask_b32_e32 v22, v4, v15, vcc
	v_cndmask_b32_e32 v23, v5, v4, vcc
	v_lshlrev_b32_e32 v4, 16, v22
	v_lshlrev_b32_e32 v19, 16, v23
	v_cmp_nlt_f32_e64 s[4:5], v4, v19
	s_and_b64 s[2:3], s[2:3], s[4:5]
	s_or_b64 s[0:1], s[0:1], s[2:3]
	v_cndmask_b32_e64 v4, v20, v2, s[0:1]
	v_cndmask_b32_e64 v19, v16, v17, s[0:1]
	v_add_u32_e32 v21, 1, v4
	v_add_u32_e32 v19, -1, v19
	v_min_u32_e32 v19, v21, v19
	v_lshlrev_b32_e32 v19, 1, v19
	ds_read_u16 v19, v19
	v_cndmask_b32_e64 v20, v21, v20, s[0:1]
	v_cndmask_b32_e64 v2, v2, v21, s[0:1]
	v_cmp_gt_u32_e64 s[4:5], s17, v2
	v_cmp_le_u32_e64 s[2:3], s12, v20
	s_waitcnt lgkmcnt(0)
	v_cndmask_b32_e64 v24, v19, v22, s[0:1]
	v_cndmask_b32_e64 v19, v23, v19, s[0:1]
	v_lshlrev_b32_e32 v21, 16, v24
	v_lshlrev_b32_e32 v25, 16, v19
	v_cmp_nlt_f32_e64 s[6:7], v21, v25
	s_and_b64 s[4:5], s[4:5], s[6:7]
	s_or_b64 s[2:3], s[2:3], s[4:5]
	v_cndmask_b32_e64 v21, v20, v2, s[2:3]
	v_cndmask_b32_e64 v16, v16, v17, s[2:3]
	v_add_u32_e32 v25, 1, v21
	v_add_u32_e32 v16, -1, v16
	v_min_u32_e32 v16, v25, v16
	v_lshlrev_b32_e32 v16, 1, v16
	ds_read_u16 v26, v16
	v_cndmask_b32_e64 v16, v22, v23, s[0:1]
	v_cndmask_b32_e64 v17, v24, v19, s[2:3]
	v_cndmask_b32_e32 v15, v15, v5, vcc
	v_cndmask_b32_e64 v5, v25, v20, s[2:3]
	s_waitcnt lgkmcnt(0)
	v_cndmask_b32_e64 v22, v26, v24, s[2:3]
	v_cndmask_b32_e64 v19, v19, v26, s[2:3]
	;; [unrolled: 1-line block ×3, first 2 shown]
	v_lshlrev_b32_e32 v20, 16, v22
	v_lshlrev_b32_e32 v23, 16, v19
	v_cmp_gt_u32_e64 s[0:1], s17, v2
	v_cmp_nlt_f32_e64 s[2:3], v20, v23
	v_cmp_le_u32_e32 vcc, s12, v5
	s_and_b64 s[0:1], s[0:1], s[2:3]
	s_or_b64 vcc, vcc, s[0:1]
	v_cndmask_b32_e32 v5, v5, v2, vcc
	v_cndmask_b32_e32 v19, v22, v19, vcc
.LBB1990_37:
	s_or_b64 exec, exec, s[8:9]
	v_mad_u32_u24 v20, v0, 6, v1
	s_barrier
	s_waitcnt vmcnt(0)
	ds_write2st64_b64 v20, v[6:7], v[8:9] offset1:4
	ds_write2st64_b64 v20, v[10:11], v[12:13] offset0:8 offset1:12
	v_lshrrev_b32_e32 v10, 2, v0
	v_and_b32_e32 v10, 60, v10
	s_mov_b32 s2, 0x5040100
	v_lshlrev_b32_e32 v2, 3, v3
	v_lshlrev_b32_e32 v3, 3, v4
	;; [unrolled: 1-line block ×4, first 2 shown]
	v_add_u32_e32 v10, v20, v10
	v_perm_b32 v11, v19, v17, s2
	v_perm_b32 v12, v16, v15, s2
	s_waitcnt lgkmcnt(0)
	s_barrier
	ds_read_b64 v[6:7], v2
	ds_read_b64 v[8:9], v3
	;; [unrolled: 1-line block ×4, first 2 shown]
	s_waitcnt lgkmcnt(0)
	s_barrier
	s_barrier
	ds_write2_b32 v10, v12, v11 offset1:1
	v_lshrrev_b32_e32 v10, 4, v0
	v_and_b32_e32 v10, 12, v10
	v_or_b32_e32 v23, 0x100, v0
	v_add_u32_e32 v24, v1, v10
	v_lshrrev_b32_e32 v10, 4, v23
	v_and_b32_e32 v10, 28, v10
	v_or_b32_e32 v22, 0x200, v0
	v_add_u32_e32 v25, v1, v10
	v_lshrrev_b32_e32 v10, 4, v22
	s_lshl_b64 s[0:1], s[24:25], 1
	v_and_b32_e32 v10, 44, v10
	v_or_b32_e32 v19, 0x300, v0
	s_add_u32 s0, s10, s0
	v_add_u32_e32 v26, v1, v10
	v_lshrrev_b32_e32 v10, 4, v19
	s_addc_u32 s1, s11, s1
	v_and_b32_e32 v10, 60, v10
	v_add_u32_e32 v27, v1, v10
	v_mov_b32_e32 v11, s1
	v_add_co_u32_e32 v10, vcc, s0, v1
	v_lshrrev_b32_e32 v12, 5, v23
	v_lshrrev_b32_e32 v13, 5, v22
	;; [unrolled: 1-line block ×3, first 2 shown]
	v_addc_co_u32_e32 v11, vcc, 0, v11, vcc
	v_lshrrev_b32_e32 v21, 3, v0
	v_lshrrev_b32_e32 v15, 5, v0
	s_and_b64 vcc, exec, s[18:19]
	v_lshlrev_b32_e32 v18, 3, v18
	v_lshl_add_u32 v1, v12, 3, v20
	v_lshl_add_u32 v16, v13, 3, v20
	;; [unrolled: 1-line block ×3, first 2 shown]
	s_waitcnt lgkmcnt(0)
	s_cbranch_vccz .LBB1990_39
; %bb.38:
	s_barrier
	ds_read_u16 v12, v24
	ds_read_u16 v13, v25 offset:512
	ds_read_u16 v28, v26 offset:1024
	;; [unrolled: 1-line block ×3, first 2 shown]
	s_lshl_b64 s[0:1], s[24:25], 3
	s_add_u32 s0, s14, s0
	s_waitcnt lgkmcnt(3)
	global_store_short v[10:11], v12, off
	s_waitcnt lgkmcnt(2)
	global_store_short v[10:11], v13, off offset:512
	s_waitcnt lgkmcnt(1)
	global_store_short v[10:11], v28, off offset:1024
	;; [unrolled: 2-line block ×3, first 2 shown]
	v_lshl_add_u32 v12, v21, 3, v18
	s_barrier
	ds_write2_b64 v12, v[6:7], v[8:9] offset1:1
	ds_write2_b64 v12, v[2:3], v[4:5] offset0:2 offset1:3
	v_lshl_add_u32 v12, v15, 3, v20
	s_addc_u32 s1, s15, s1
	s_waitcnt lgkmcnt(0)
	s_barrier
	ds_read_b64 v[28:29], v12
	ds_read_b64 v[30:31], v1 offset:2048
	ds_read_b64 v[32:33], v16 offset:4096
	;; [unrolled: 1-line block ×3, first 2 shown]
	v_mov_b32_e32 v34, s1
	v_add_co_u32_e32 v35, vcc, s0, v14
	v_addc_co_u32_e32 v34, vcc, 0, v34, vcc
	s_waitcnt lgkmcnt(3)
	global_store_dwordx2 v14, v[28:29], s[0:1]
	s_waitcnt lgkmcnt(2)
	global_store_dwordx2 v14, v[30:31], s[0:1] offset:2048
	v_add_co_u32_e32 v28, vcc, 0x1000, v35
	v_addc_co_u32_e32 v29, vcc, 0, v34, vcc
	s_waitcnt lgkmcnt(1)
	global_store_dwordx2 v[28:29], v[32:33], off
	s_mov_b64 s[6:7], -1
	s_cbranch_execz .LBB1990_40
	s_branch .LBB1990_53
.LBB1990_39:
	s_mov_b64 s[6:7], 0
                                        ; implicit-def: $vgpr12_vgpr13
.LBB1990_40:
	s_barrier
	s_waitcnt lgkmcnt(0)
	ds_read_u16 v25, v25 offset:512
	ds_read_u16 v13, v26 offset:1024
	;; [unrolled: 1-line block ×3, first 2 shown]
	s_sub_i32 s6, s16, s24
	v_cmp_gt_u32_e32 vcc, s6, v0
	s_and_saveexec_b64 s[0:1], vcc
	s_cbranch_execz .LBB1990_44
; %bb.41:
	ds_read_u16 v0, v24
	s_waitcnt lgkmcnt(0)
	global_store_short v[10:11], v0, off
	s_or_b64 exec, exec, s[0:1]
	v_cmp_gt_u32_e64 s[0:1], s6, v23
	s_and_saveexec_b64 s[2:3], s[0:1]
	s_cbranch_execnz .LBB1990_45
.LBB1990_42:
	s_or_b64 exec, exec, s[2:3]
	v_cmp_gt_u32_e64 s[2:3], s6, v22
	s_and_saveexec_b64 s[4:5], s[2:3]
	s_cbranch_execz .LBB1990_46
.LBB1990_43:
	s_waitcnt lgkmcnt(1)
	global_store_short v[10:11], v13, off offset:1024
	s_or_b64 exec, exec, s[4:5]
	v_cmp_gt_u32_e64 s[6:7], s6, v19
	s_and_saveexec_b64 s[4:5], s[6:7]
	s_cbranch_execnz .LBB1990_47
	s_branch .LBB1990_48
.LBB1990_44:
	s_or_b64 exec, exec, s[0:1]
	v_cmp_gt_u32_e64 s[0:1], s6, v23
	s_and_saveexec_b64 s[2:3], s[0:1]
	s_cbranch_execz .LBB1990_42
.LBB1990_45:
	s_waitcnt lgkmcnt(2)
	global_store_short v[10:11], v25, off offset:512
	s_or_b64 exec, exec, s[2:3]
	v_cmp_gt_u32_e64 s[2:3], s6, v22
	s_and_saveexec_b64 s[4:5], s[2:3]
	s_cbranch_execnz .LBB1990_43
.LBB1990_46:
	s_or_b64 exec, exec, s[4:5]
	v_cmp_gt_u32_e64 s[6:7], s6, v19
	s_and_saveexec_b64 s[4:5], s[6:7]
	s_cbranch_execz .LBB1990_48
.LBB1990_47:
	s_waitcnt lgkmcnt(0)
	global_store_short v[10:11], v12, off offset:1536
.LBB1990_48:
	s_or_b64 exec, exec, s[4:5]
	v_lshl_add_u32 v0, v21, 3, v18
	s_waitcnt lgkmcnt(0)
	s_barrier
	ds_write2_b64 v0, v[6:7], v[8:9] offset1:1
	ds_write2_b64 v0, v[2:3], v[4:5] offset0:2 offset1:3
	s_waitcnt lgkmcnt(0)
	s_barrier
	ds_read_b64 v[4:5], v1 offset:2048
	ds_read_b64 v[0:1], v16 offset:4096
	;; [unrolled: 1-line block ×3, first 2 shown]
	s_lshl_b64 s[4:5], s[24:25], 3
	s_add_u32 s4, s14, s4
	s_addc_u32 s5, s15, s5
	v_mov_b32_e32 v3, s5
	v_add_co_u32_e64 v2, s[4:5], s4, v14
	v_addc_co_u32_e64 v3, s[4:5], 0, v3, s[4:5]
	s_and_saveexec_b64 s[4:5], vcc
	s_cbranch_execz .LBB1990_56
; %bb.49:
	v_lshl_add_u32 v6, v15, 3, v20
	ds_read_b64 v[6:7], v6
	s_waitcnt lgkmcnt(0)
	global_store_dwordx2 v[2:3], v[6:7], off
	s_or_b64 exec, exec, s[4:5]
	s_and_saveexec_b64 s[4:5], s[0:1]
	s_cbranch_execnz .LBB1990_57
.LBB1990_50:
	s_or_b64 exec, exec, s[4:5]
	s_and_saveexec_b64 s[0:1], s[2:3]
	s_cbranch_execz .LBB1990_52
.LBB1990_51:
	v_add_co_u32_e32 v2, vcc, 0x1000, v2
	v_addc_co_u32_e32 v3, vcc, 0, v3, vcc
	s_waitcnt lgkmcnt(1)
	global_store_dwordx2 v[2:3], v[0:1], off
.LBB1990_52:
	s_or_b64 exec, exec, s[0:1]
.LBB1990_53:
	s_and_saveexec_b64 s[0:1], s[6:7]
	s_cbranch_execz .LBB1990_55
; %bb.54:
	s_lshl_b64 s[0:1], s[24:25], 3
	s_add_u32 s0, s14, s0
	s_addc_u32 s1, s15, s1
	s_waitcnt lgkmcnt(1)
	v_mov_b32_e32 v0, s1
	v_add_co_u32_e32 v1, vcc, s0, v14
	v_addc_co_u32_e32 v2, vcc, 0, v0, vcc
	v_add_co_u32_e32 v0, vcc, 0x1000, v1
	v_addc_co_u32_e32 v1, vcc, 0, v2, vcc
	s_waitcnt lgkmcnt(0)
	global_store_dwordx2 v[0:1], v[12:13], off offset:2048
.LBB1990_55:
	s_endpgm
.LBB1990_56:
	s_or_b64 exec, exec, s[4:5]
	s_and_saveexec_b64 s[4:5], s[0:1]
	s_cbranch_execz .LBB1990_50
.LBB1990_57:
	s_waitcnt lgkmcnt(2)
	global_store_dwordx2 v[2:3], v[4:5], off offset:2048
	s_or_b64 exec, exec, s[4:5]
	s_and_saveexec_b64 s[0:1], s[2:3]
	s_cbranch_execnz .LBB1990_51
	s_branch .LBB1990_52
	.section	.rodata,"a",@progbits
	.p2align	6, 0x0
	.amdhsa_kernel _ZN7rocprim17ROCPRIM_400000_NS6detail17trampoline_kernelINS0_14default_configENS1_38merge_sort_block_merge_config_selectorIN3c108BFloat16ElEEZZNS1_27merge_sort_block_merge_implIS3_PS6_N6thrust23THRUST_200600_302600_NS10device_ptrIlEEmNSB_4lessIS6_EEEE10hipError_tT0_T1_T2_jT3_P12ihipStream_tbPNSt15iterator_traitsISH_E10value_typeEPNSN_ISI_E10value_typeEPSJ_NS1_7vsmem_tEENKUlT_SH_SI_SJ_E_clIS9_S9_PlSD_EESG_SW_SH_SI_SJ_EUlSW_E0_NS1_11comp_targetILNS1_3genE4ELNS1_11target_archE910ELNS1_3gpuE8ELNS1_3repE0EEENS1_38merge_mergepath_config_static_selectorELNS0_4arch9wavefront6targetE1EEEvSI_
		.amdhsa_group_segment_fixed_size 8448
		.amdhsa_private_segment_fixed_size 0
		.amdhsa_kernarg_size 328
		.amdhsa_user_sgpr_count 6
		.amdhsa_user_sgpr_private_segment_buffer 1
		.amdhsa_user_sgpr_dispatch_ptr 0
		.amdhsa_user_sgpr_queue_ptr 0
		.amdhsa_user_sgpr_kernarg_segment_ptr 1
		.amdhsa_user_sgpr_dispatch_id 0
		.amdhsa_user_sgpr_flat_scratch_init 0
		.amdhsa_user_sgpr_kernarg_preload_length 0
		.amdhsa_user_sgpr_kernarg_preload_offset 0
		.amdhsa_user_sgpr_private_segment_size 0
		.amdhsa_uses_dynamic_stack 0
		.amdhsa_system_sgpr_private_segment_wavefront_offset 0
		.amdhsa_system_sgpr_workgroup_id_x 1
		.amdhsa_system_sgpr_workgroup_id_y 1
		.amdhsa_system_sgpr_workgroup_id_z 1
		.amdhsa_system_sgpr_workgroup_info 0
		.amdhsa_system_vgpr_workitem_id 0
		.amdhsa_next_free_vgpr 36
		.amdhsa_next_free_sgpr 38
		.amdhsa_accum_offset 36
		.amdhsa_reserve_vcc 1
		.amdhsa_reserve_flat_scratch 0
		.amdhsa_float_round_mode_32 0
		.amdhsa_float_round_mode_16_64 0
		.amdhsa_float_denorm_mode_32 3
		.amdhsa_float_denorm_mode_16_64 3
		.amdhsa_dx10_clamp 1
		.amdhsa_ieee_mode 1
		.amdhsa_fp16_overflow 0
		.amdhsa_tg_split 0
		.amdhsa_exception_fp_ieee_invalid_op 0
		.amdhsa_exception_fp_denorm_src 0
		.amdhsa_exception_fp_ieee_div_zero 0
		.amdhsa_exception_fp_ieee_overflow 0
		.amdhsa_exception_fp_ieee_underflow 0
		.amdhsa_exception_fp_ieee_inexact 0
		.amdhsa_exception_int_div_zero 0
	.end_amdhsa_kernel
	.section	.text._ZN7rocprim17ROCPRIM_400000_NS6detail17trampoline_kernelINS0_14default_configENS1_38merge_sort_block_merge_config_selectorIN3c108BFloat16ElEEZZNS1_27merge_sort_block_merge_implIS3_PS6_N6thrust23THRUST_200600_302600_NS10device_ptrIlEEmNSB_4lessIS6_EEEE10hipError_tT0_T1_T2_jT3_P12ihipStream_tbPNSt15iterator_traitsISH_E10value_typeEPNSN_ISI_E10value_typeEPSJ_NS1_7vsmem_tEENKUlT_SH_SI_SJ_E_clIS9_S9_PlSD_EESG_SW_SH_SI_SJ_EUlSW_E0_NS1_11comp_targetILNS1_3genE4ELNS1_11target_archE910ELNS1_3gpuE8ELNS1_3repE0EEENS1_38merge_mergepath_config_static_selectorELNS0_4arch9wavefront6targetE1EEEvSI_,"axG",@progbits,_ZN7rocprim17ROCPRIM_400000_NS6detail17trampoline_kernelINS0_14default_configENS1_38merge_sort_block_merge_config_selectorIN3c108BFloat16ElEEZZNS1_27merge_sort_block_merge_implIS3_PS6_N6thrust23THRUST_200600_302600_NS10device_ptrIlEEmNSB_4lessIS6_EEEE10hipError_tT0_T1_T2_jT3_P12ihipStream_tbPNSt15iterator_traitsISH_E10value_typeEPNSN_ISI_E10value_typeEPSJ_NS1_7vsmem_tEENKUlT_SH_SI_SJ_E_clIS9_S9_PlSD_EESG_SW_SH_SI_SJ_EUlSW_E0_NS1_11comp_targetILNS1_3genE4ELNS1_11target_archE910ELNS1_3gpuE8ELNS1_3repE0EEENS1_38merge_mergepath_config_static_selectorELNS0_4arch9wavefront6targetE1EEEvSI_,comdat
.Lfunc_end1990:
	.size	_ZN7rocprim17ROCPRIM_400000_NS6detail17trampoline_kernelINS0_14default_configENS1_38merge_sort_block_merge_config_selectorIN3c108BFloat16ElEEZZNS1_27merge_sort_block_merge_implIS3_PS6_N6thrust23THRUST_200600_302600_NS10device_ptrIlEEmNSB_4lessIS6_EEEE10hipError_tT0_T1_T2_jT3_P12ihipStream_tbPNSt15iterator_traitsISH_E10value_typeEPNSN_ISI_E10value_typeEPSJ_NS1_7vsmem_tEENKUlT_SH_SI_SJ_E_clIS9_S9_PlSD_EESG_SW_SH_SI_SJ_EUlSW_E0_NS1_11comp_targetILNS1_3genE4ELNS1_11target_archE910ELNS1_3gpuE8ELNS1_3repE0EEENS1_38merge_mergepath_config_static_selectorELNS0_4arch9wavefront6targetE1EEEvSI_, .Lfunc_end1990-_ZN7rocprim17ROCPRIM_400000_NS6detail17trampoline_kernelINS0_14default_configENS1_38merge_sort_block_merge_config_selectorIN3c108BFloat16ElEEZZNS1_27merge_sort_block_merge_implIS3_PS6_N6thrust23THRUST_200600_302600_NS10device_ptrIlEEmNSB_4lessIS6_EEEE10hipError_tT0_T1_T2_jT3_P12ihipStream_tbPNSt15iterator_traitsISH_E10value_typeEPNSN_ISI_E10value_typeEPSJ_NS1_7vsmem_tEENKUlT_SH_SI_SJ_E_clIS9_S9_PlSD_EESG_SW_SH_SI_SJ_EUlSW_E0_NS1_11comp_targetILNS1_3genE4ELNS1_11target_archE910ELNS1_3gpuE8ELNS1_3repE0EEENS1_38merge_mergepath_config_static_selectorELNS0_4arch9wavefront6targetE1EEEvSI_
                                        ; -- End function
	.section	.AMDGPU.csdata,"",@progbits
; Kernel info:
; codeLenInByte = 3476
; NumSgprs: 42
; NumVgprs: 36
; NumAgprs: 0
; TotalNumVgprs: 36
; ScratchSize: 0
; MemoryBound: 0
; FloatMode: 240
; IeeeMode: 1
; LDSByteSize: 8448 bytes/workgroup (compile time only)
; SGPRBlocks: 5
; VGPRBlocks: 4
; NumSGPRsForWavesPerEU: 42
; NumVGPRsForWavesPerEU: 36
; AccumOffset: 36
; Occupancy: 7
; WaveLimiterHint : 1
; COMPUTE_PGM_RSRC2:SCRATCH_EN: 0
; COMPUTE_PGM_RSRC2:USER_SGPR: 6
; COMPUTE_PGM_RSRC2:TRAP_HANDLER: 0
; COMPUTE_PGM_RSRC2:TGID_X_EN: 1
; COMPUTE_PGM_RSRC2:TGID_Y_EN: 1
; COMPUTE_PGM_RSRC2:TGID_Z_EN: 1
; COMPUTE_PGM_RSRC2:TIDIG_COMP_CNT: 0
; COMPUTE_PGM_RSRC3_GFX90A:ACCUM_OFFSET: 8
; COMPUTE_PGM_RSRC3_GFX90A:TG_SPLIT: 0
	.section	.text._ZN7rocprim17ROCPRIM_400000_NS6detail17trampoline_kernelINS0_14default_configENS1_38merge_sort_block_merge_config_selectorIN3c108BFloat16ElEEZZNS1_27merge_sort_block_merge_implIS3_PS6_N6thrust23THRUST_200600_302600_NS10device_ptrIlEEmNSB_4lessIS6_EEEE10hipError_tT0_T1_T2_jT3_P12ihipStream_tbPNSt15iterator_traitsISH_E10value_typeEPNSN_ISI_E10value_typeEPSJ_NS1_7vsmem_tEENKUlT_SH_SI_SJ_E_clIS9_S9_PlSD_EESG_SW_SH_SI_SJ_EUlSW_E0_NS1_11comp_targetILNS1_3genE3ELNS1_11target_archE908ELNS1_3gpuE7ELNS1_3repE0EEENS1_38merge_mergepath_config_static_selectorELNS0_4arch9wavefront6targetE1EEEvSI_,"axG",@progbits,_ZN7rocprim17ROCPRIM_400000_NS6detail17trampoline_kernelINS0_14default_configENS1_38merge_sort_block_merge_config_selectorIN3c108BFloat16ElEEZZNS1_27merge_sort_block_merge_implIS3_PS6_N6thrust23THRUST_200600_302600_NS10device_ptrIlEEmNSB_4lessIS6_EEEE10hipError_tT0_T1_T2_jT3_P12ihipStream_tbPNSt15iterator_traitsISH_E10value_typeEPNSN_ISI_E10value_typeEPSJ_NS1_7vsmem_tEENKUlT_SH_SI_SJ_E_clIS9_S9_PlSD_EESG_SW_SH_SI_SJ_EUlSW_E0_NS1_11comp_targetILNS1_3genE3ELNS1_11target_archE908ELNS1_3gpuE7ELNS1_3repE0EEENS1_38merge_mergepath_config_static_selectorELNS0_4arch9wavefront6targetE1EEEvSI_,comdat
	.protected	_ZN7rocprim17ROCPRIM_400000_NS6detail17trampoline_kernelINS0_14default_configENS1_38merge_sort_block_merge_config_selectorIN3c108BFloat16ElEEZZNS1_27merge_sort_block_merge_implIS3_PS6_N6thrust23THRUST_200600_302600_NS10device_ptrIlEEmNSB_4lessIS6_EEEE10hipError_tT0_T1_T2_jT3_P12ihipStream_tbPNSt15iterator_traitsISH_E10value_typeEPNSN_ISI_E10value_typeEPSJ_NS1_7vsmem_tEENKUlT_SH_SI_SJ_E_clIS9_S9_PlSD_EESG_SW_SH_SI_SJ_EUlSW_E0_NS1_11comp_targetILNS1_3genE3ELNS1_11target_archE908ELNS1_3gpuE7ELNS1_3repE0EEENS1_38merge_mergepath_config_static_selectorELNS0_4arch9wavefront6targetE1EEEvSI_ ; -- Begin function _ZN7rocprim17ROCPRIM_400000_NS6detail17trampoline_kernelINS0_14default_configENS1_38merge_sort_block_merge_config_selectorIN3c108BFloat16ElEEZZNS1_27merge_sort_block_merge_implIS3_PS6_N6thrust23THRUST_200600_302600_NS10device_ptrIlEEmNSB_4lessIS6_EEEE10hipError_tT0_T1_T2_jT3_P12ihipStream_tbPNSt15iterator_traitsISH_E10value_typeEPNSN_ISI_E10value_typeEPSJ_NS1_7vsmem_tEENKUlT_SH_SI_SJ_E_clIS9_S9_PlSD_EESG_SW_SH_SI_SJ_EUlSW_E0_NS1_11comp_targetILNS1_3genE3ELNS1_11target_archE908ELNS1_3gpuE7ELNS1_3repE0EEENS1_38merge_mergepath_config_static_selectorELNS0_4arch9wavefront6targetE1EEEvSI_
	.globl	_ZN7rocprim17ROCPRIM_400000_NS6detail17trampoline_kernelINS0_14default_configENS1_38merge_sort_block_merge_config_selectorIN3c108BFloat16ElEEZZNS1_27merge_sort_block_merge_implIS3_PS6_N6thrust23THRUST_200600_302600_NS10device_ptrIlEEmNSB_4lessIS6_EEEE10hipError_tT0_T1_T2_jT3_P12ihipStream_tbPNSt15iterator_traitsISH_E10value_typeEPNSN_ISI_E10value_typeEPSJ_NS1_7vsmem_tEENKUlT_SH_SI_SJ_E_clIS9_S9_PlSD_EESG_SW_SH_SI_SJ_EUlSW_E0_NS1_11comp_targetILNS1_3genE3ELNS1_11target_archE908ELNS1_3gpuE7ELNS1_3repE0EEENS1_38merge_mergepath_config_static_selectorELNS0_4arch9wavefront6targetE1EEEvSI_
	.p2align	8
	.type	_ZN7rocprim17ROCPRIM_400000_NS6detail17trampoline_kernelINS0_14default_configENS1_38merge_sort_block_merge_config_selectorIN3c108BFloat16ElEEZZNS1_27merge_sort_block_merge_implIS3_PS6_N6thrust23THRUST_200600_302600_NS10device_ptrIlEEmNSB_4lessIS6_EEEE10hipError_tT0_T1_T2_jT3_P12ihipStream_tbPNSt15iterator_traitsISH_E10value_typeEPNSN_ISI_E10value_typeEPSJ_NS1_7vsmem_tEENKUlT_SH_SI_SJ_E_clIS9_S9_PlSD_EESG_SW_SH_SI_SJ_EUlSW_E0_NS1_11comp_targetILNS1_3genE3ELNS1_11target_archE908ELNS1_3gpuE7ELNS1_3repE0EEENS1_38merge_mergepath_config_static_selectorELNS0_4arch9wavefront6targetE1EEEvSI_,@function
_ZN7rocprim17ROCPRIM_400000_NS6detail17trampoline_kernelINS0_14default_configENS1_38merge_sort_block_merge_config_selectorIN3c108BFloat16ElEEZZNS1_27merge_sort_block_merge_implIS3_PS6_N6thrust23THRUST_200600_302600_NS10device_ptrIlEEmNSB_4lessIS6_EEEE10hipError_tT0_T1_T2_jT3_P12ihipStream_tbPNSt15iterator_traitsISH_E10value_typeEPNSN_ISI_E10value_typeEPSJ_NS1_7vsmem_tEENKUlT_SH_SI_SJ_E_clIS9_S9_PlSD_EESG_SW_SH_SI_SJ_EUlSW_E0_NS1_11comp_targetILNS1_3genE3ELNS1_11target_archE908ELNS1_3gpuE7ELNS1_3repE0EEENS1_38merge_mergepath_config_static_selectorELNS0_4arch9wavefront6targetE1EEEvSI_: ; @_ZN7rocprim17ROCPRIM_400000_NS6detail17trampoline_kernelINS0_14default_configENS1_38merge_sort_block_merge_config_selectorIN3c108BFloat16ElEEZZNS1_27merge_sort_block_merge_implIS3_PS6_N6thrust23THRUST_200600_302600_NS10device_ptrIlEEmNSB_4lessIS6_EEEE10hipError_tT0_T1_T2_jT3_P12ihipStream_tbPNSt15iterator_traitsISH_E10value_typeEPNSN_ISI_E10value_typeEPSJ_NS1_7vsmem_tEENKUlT_SH_SI_SJ_E_clIS9_S9_PlSD_EESG_SW_SH_SI_SJ_EUlSW_E0_NS1_11comp_targetILNS1_3genE3ELNS1_11target_archE908ELNS1_3gpuE7ELNS1_3repE0EEENS1_38merge_mergepath_config_static_selectorELNS0_4arch9wavefront6targetE1EEEvSI_
; %bb.0:
	.section	.rodata,"a",@progbits
	.p2align	6, 0x0
	.amdhsa_kernel _ZN7rocprim17ROCPRIM_400000_NS6detail17trampoline_kernelINS0_14default_configENS1_38merge_sort_block_merge_config_selectorIN3c108BFloat16ElEEZZNS1_27merge_sort_block_merge_implIS3_PS6_N6thrust23THRUST_200600_302600_NS10device_ptrIlEEmNSB_4lessIS6_EEEE10hipError_tT0_T1_T2_jT3_P12ihipStream_tbPNSt15iterator_traitsISH_E10value_typeEPNSN_ISI_E10value_typeEPSJ_NS1_7vsmem_tEENKUlT_SH_SI_SJ_E_clIS9_S9_PlSD_EESG_SW_SH_SI_SJ_EUlSW_E0_NS1_11comp_targetILNS1_3genE3ELNS1_11target_archE908ELNS1_3gpuE7ELNS1_3repE0EEENS1_38merge_mergepath_config_static_selectorELNS0_4arch9wavefront6targetE1EEEvSI_
		.amdhsa_group_segment_fixed_size 0
		.amdhsa_private_segment_fixed_size 0
		.amdhsa_kernarg_size 72
		.amdhsa_user_sgpr_count 6
		.amdhsa_user_sgpr_private_segment_buffer 1
		.amdhsa_user_sgpr_dispatch_ptr 0
		.amdhsa_user_sgpr_queue_ptr 0
		.amdhsa_user_sgpr_kernarg_segment_ptr 1
		.amdhsa_user_sgpr_dispatch_id 0
		.amdhsa_user_sgpr_flat_scratch_init 0
		.amdhsa_user_sgpr_kernarg_preload_length 0
		.amdhsa_user_sgpr_kernarg_preload_offset 0
		.amdhsa_user_sgpr_private_segment_size 0
		.amdhsa_uses_dynamic_stack 0
		.amdhsa_system_sgpr_private_segment_wavefront_offset 0
		.amdhsa_system_sgpr_workgroup_id_x 1
		.amdhsa_system_sgpr_workgroup_id_y 0
		.amdhsa_system_sgpr_workgroup_id_z 0
		.amdhsa_system_sgpr_workgroup_info 0
		.amdhsa_system_vgpr_workitem_id 0
		.amdhsa_next_free_vgpr 1
		.amdhsa_next_free_sgpr 0
		.amdhsa_accum_offset 4
		.amdhsa_reserve_vcc 0
		.amdhsa_reserve_flat_scratch 0
		.amdhsa_float_round_mode_32 0
		.amdhsa_float_round_mode_16_64 0
		.amdhsa_float_denorm_mode_32 3
		.amdhsa_float_denorm_mode_16_64 3
		.amdhsa_dx10_clamp 1
		.amdhsa_ieee_mode 1
		.amdhsa_fp16_overflow 0
		.amdhsa_tg_split 0
		.amdhsa_exception_fp_ieee_invalid_op 0
		.amdhsa_exception_fp_denorm_src 0
		.amdhsa_exception_fp_ieee_div_zero 0
		.amdhsa_exception_fp_ieee_overflow 0
		.amdhsa_exception_fp_ieee_underflow 0
		.amdhsa_exception_fp_ieee_inexact 0
		.amdhsa_exception_int_div_zero 0
	.end_amdhsa_kernel
	.section	.text._ZN7rocprim17ROCPRIM_400000_NS6detail17trampoline_kernelINS0_14default_configENS1_38merge_sort_block_merge_config_selectorIN3c108BFloat16ElEEZZNS1_27merge_sort_block_merge_implIS3_PS6_N6thrust23THRUST_200600_302600_NS10device_ptrIlEEmNSB_4lessIS6_EEEE10hipError_tT0_T1_T2_jT3_P12ihipStream_tbPNSt15iterator_traitsISH_E10value_typeEPNSN_ISI_E10value_typeEPSJ_NS1_7vsmem_tEENKUlT_SH_SI_SJ_E_clIS9_S9_PlSD_EESG_SW_SH_SI_SJ_EUlSW_E0_NS1_11comp_targetILNS1_3genE3ELNS1_11target_archE908ELNS1_3gpuE7ELNS1_3repE0EEENS1_38merge_mergepath_config_static_selectorELNS0_4arch9wavefront6targetE1EEEvSI_,"axG",@progbits,_ZN7rocprim17ROCPRIM_400000_NS6detail17trampoline_kernelINS0_14default_configENS1_38merge_sort_block_merge_config_selectorIN3c108BFloat16ElEEZZNS1_27merge_sort_block_merge_implIS3_PS6_N6thrust23THRUST_200600_302600_NS10device_ptrIlEEmNSB_4lessIS6_EEEE10hipError_tT0_T1_T2_jT3_P12ihipStream_tbPNSt15iterator_traitsISH_E10value_typeEPNSN_ISI_E10value_typeEPSJ_NS1_7vsmem_tEENKUlT_SH_SI_SJ_E_clIS9_S9_PlSD_EESG_SW_SH_SI_SJ_EUlSW_E0_NS1_11comp_targetILNS1_3genE3ELNS1_11target_archE908ELNS1_3gpuE7ELNS1_3repE0EEENS1_38merge_mergepath_config_static_selectorELNS0_4arch9wavefront6targetE1EEEvSI_,comdat
.Lfunc_end1991:
	.size	_ZN7rocprim17ROCPRIM_400000_NS6detail17trampoline_kernelINS0_14default_configENS1_38merge_sort_block_merge_config_selectorIN3c108BFloat16ElEEZZNS1_27merge_sort_block_merge_implIS3_PS6_N6thrust23THRUST_200600_302600_NS10device_ptrIlEEmNSB_4lessIS6_EEEE10hipError_tT0_T1_T2_jT3_P12ihipStream_tbPNSt15iterator_traitsISH_E10value_typeEPNSN_ISI_E10value_typeEPSJ_NS1_7vsmem_tEENKUlT_SH_SI_SJ_E_clIS9_S9_PlSD_EESG_SW_SH_SI_SJ_EUlSW_E0_NS1_11comp_targetILNS1_3genE3ELNS1_11target_archE908ELNS1_3gpuE7ELNS1_3repE0EEENS1_38merge_mergepath_config_static_selectorELNS0_4arch9wavefront6targetE1EEEvSI_, .Lfunc_end1991-_ZN7rocprim17ROCPRIM_400000_NS6detail17trampoline_kernelINS0_14default_configENS1_38merge_sort_block_merge_config_selectorIN3c108BFloat16ElEEZZNS1_27merge_sort_block_merge_implIS3_PS6_N6thrust23THRUST_200600_302600_NS10device_ptrIlEEmNSB_4lessIS6_EEEE10hipError_tT0_T1_T2_jT3_P12ihipStream_tbPNSt15iterator_traitsISH_E10value_typeEPNSN_ISI_E10value_typeEPSJ_NS1_7vsmem_tEENKUlT_SH_SI_SJ_E_clIS9_S9_PlSD_EESG_SW_SH_SI_SJ_EUlSW_E0_NS1_11comp_targetILNS1_3genE3ELNS1_11target_archE908ELNS1_3gpuE7ELNS1_3repE0EEENS1_38merge_mergepath_config_static_selectorELNS0_4arch9wavefront6targetE1EEEvSI_
                                        ; -- End function
	.section	.AMDGPU.csdata,"",@progbits
; Kernel info:
; codeLenInByte = 0
; NumSgprs: 4
; NumVgprs: 0
; NumAgprs: 0
; TotalNumVgprs: 0
; ScratchSize: 0
; MemoryBound: 0
; FloatMode: 240
; IeeeMode: 1
; LDSByteSize: 0 bytes/workgroup (compile time only)
; SGPRBlocks: 0
; VGPRBlocks: 0
; NumSGPRsForWavesPerEU: 4
; NumVGPRsForWavesPerEU: 1
; AccumOffset: 4
; Occupancy: 8
; WaveLimiterHint : 0
; COMPUTE_PGM_RSRC2:SCRATCH_EN: 0
; COMPUTE_PGM_RSRC2:USER_SGPR: 6
; COMPUTE_PGM_RSRC2:TRAP_HANDLER: 0
; COMPUTE_PGM_RSRC2:TGID_X_EN: 1
; COMPUTE_PGM_RSRC2:TGID_Y_EN: 0
; COMPUTE_PGM_RSRC2:TGID_Z_EN: 0
; COMPUTE_PGM_RSRC2:TIDIG_COMP_CNT: 0
; COMPUTE_PGM_RSRC3_GFX90A:ACCUM_OFFSET: 0
; COMPUTE_PGM_RSRC3_GFX90A:TG_SPLIT: 0
	.section	.text._ZN7rocprim17ROCPRIM_400000_NS6detail17trampoline_kernelINS0_14default_configENS1_38merge_sort_block_merge_config_selectorIN3c108BFloat16ElEEZZNS1_27merge_sort_block_merge_implIS3_PS6_N6thrust23THRUST_200600_302600_NS10device_ptrIlEEmNSB_4lessIS6_EEEE10hipError_tT0_T1_T2_jT3_P12ihipStream_tbPNSt15iterator_traitsISH_E10value_typeEPNSN_ISI_E10value_typeEPSJ_NS1_7vsmem_tEENKUlT_SH_SI_SJ_E_clIS9_S9_PlSD_EESG_SW_SH_SI_SJ_EUlSW_E0_NS1_11comp_targetILNS1_3genE2ELNS1_11target_archE906ELNS1_3gpuE6ELNS1_3repE0EEENS1_38merge_mergepath_config_static_selectorELNS0_4arch9wavefront6targetE1EEEvSI_,"axG",@progbits,_ZN7rocprim17ROCPRIM_400000_NS6detail17trampoline_kernelINS0_14default_configENS1_38merge_sort_block_merge_config_selectorIN3c108BFloat16ElEEZZNS1_27merge_sort_block_merge_implIS3_PS6_N6thrust23THRUST_200600_302600_NS10device_ptrIlEEmNSB_4lessIS6_EEEE10hipError_tT0_T1_T2_jT3_P12ihipStream_tbPNSt15iterator_traitsISH_E10value_typeEPNSN_ISI_E10value_typeEPSJ_NS1_7vsmem_tEENKUlT_SH_SI_SJ_E_clIS9_S9_PlSD_EESG_SW_SH_SI_SJ_EUlSW_E0_NS1_11comp_targetILNS1_3genE2ELNS1_11target_archE906ELNS1_3gpuE6ELNS1_3repE0EEENS1_38merge_mergepath_config_static_selectorELNS0_4arch9wavefront6targetE1EEEvSI_,comdat
	.protected	_ZN7rocprim17ROCPRIM_400000_NS6detail17trampoline_kernelINS0_14default_configENS1_38merge_sort_block_merge_config_selectorIN3c108BFloat16ElEEZZNS1_27merge_sort_block_merge_implIS3_PS6_N6thrust23THRUST_200600_302600_NS10device_ptrIlEEmNSB_4lessIS6_EEEE10hipError_tT0_T1_T2_jT3_P12ihipStream_tbPNSt15iterator_traitsISH_E10value_typeEPNSN_ISI_E10value_typeEPSJ_NS1_7vsmem_tEENKUlT_SH_SI_SJ_E_clIS9_S9_PlSD_EESG_SW_SH_SI_SJ_EUlSW_E0_NS1_11comp_targetILNS1_3genE2ELNS1_11target_archE906ELNS1_3gpuE6ELNS1_3repE0EEENS1_38merge_mergepath_config_static_selectorELNS0_4arch9wavefront6targetE1EEEvSI_ ; -- Begin function _ZN7rocprim17ROCPRIM_400000_NS6detail17trampoline_kernelINS0_14default_configENS1_38merge_sort_block_merge_config_selectorIN3c108BFloat16ElEEZZNS1_27merge_sort_block_merge_implIS3_PS6_N6thrust23THRUST_200600_302600_NS10device_ptrIlEEmNSB_4lessIS6_EEEE10hipError_tT0_T1_T2_jT3_P12ihipStream_tbPNSt15iterator_traitsISH_E10value_typeEPNSN_ISI_E10value_typeEPSJ_NS1_7vsmem_tEENKUlT_SH_SI_SJ_E_clIS9_S9_PlSD_EESG_SW_SH_SI_SJ_EUlSW_E0_NS1_11comp_targetILNS1_3genE2ELNS1_11target_archE906ELNS1_3gpuE6ELNS1_3repE0EEENS1_38merge_mergepath_config_static_selectorELNS0_4arch9wavefront6targetE1EEEvSI_
	.globl	_ZN7rocprim17ROCPRIM_400000_NS6detail17trampoline_kernelINS0_14default_configENS1_38merge_sort_block_merge_config_selectorIN3c108BFloat16ElEEZZNS1_27merge_sort_block_merge_implIS3_PS6_N6thrust23THRUST_200600_302600_NS10device_ptrIlEEmNSB_4lessIS6_EEEE10hipError_tT0_T1_T2_jT3_P12ihipStream_tbPNSt15iterator_traitsISH_E10value_typeEPNSN_ISI_E10value_typeEPSJ_NS1_7vsmem_tEENKUlT_SH_SI_SJ_E_clIS9_S9_PlSD_EESG_SW_SH_SI_SJ_EUlSW_E0_NS1_11comp_targetILNS1_3genE2ELNS1_11target_archE906ELNS1_3gpuE6ELNS1_3repE0EEENS1_38merge_mergepath_config_static_selectorELNS0_4arch9wavefront6targetE1EEEvSI_
	.p2align	8
	.type	_ZN7rocprim17ROCPRIM_400000_NS6detail17trampoline_kernelINS0_14default_configENS1_38merge_sort_block_merge_config_selectorIN3c108BFloat16ElEEZZNS1_27merge_sort_block_merge_implIS3_PS6_N6thrust23THRUST_200600_302600_NS10device_ptrIlEEmNSB_4lessIS6_EEEE10hipError_tT0_T1_T2_jT3_P12ihipStream_tbPNSt15iterator_traitsISH_E10value_typeEPNSN_ISI_E10value_typeEPSJ_NS1_7vsmem_tEENKUlT_SH_SI_SJ_E_clIS9_S9_PlSD_EESG_SW_SH_SI_SJ_EUlSW_E0_NS1_11comp_targetILNS1_3genE2ELNS1_11target_archE906ELNS1_3gpuE6ELNS1_3repE0EEENS1_38merge_mergepath_config_static_selectorELNS0_4arch9wavefront6targetE1EEEvSI_,@function
_ZN7rocprim17ROCPRIM_400000_NS6detail17trampoline_kernelINS0_14default_configENS1_38merge_sort_block_merge_config_selectorIN3c108BFloat16ElEEZZNS1_27merge_sort_block_merge_implIS3_PS6_N6thrust23THRUST_200600_302600_NS10device_ptrIlEEmNSB_4lessIS6_EEEE10hipError_tT0_T1_T2_jT3_P12ihipStream_tbPNSt15iterator_traitsISH_E10value_typeEPNSN_ISI_E10value_typeEPSJ_NS1_7vsmem_tEENKUlT_SH_SI_SJ_E_clIS9_S9_PlSD_EESG_SW_SH_SI_SJ_EUlSW_E0_NS1_11comp_targetILNS1_3genE2ELNS1_11target_archE906ELNS1_3gpuE6ELNS1_3repE0EEENS1_38merge_mergepath_config_static_selectorELNS0_4arch9wavefront6targetE1EEEvSI_: ; @_ZN7rocprim17ROCPRIM_400000_NS6detail17trampoline_kernelINS0_14default_configENS1_38merge_sort_block_merge_config_selectorIN3c108BFloat16ElEEZZNS1_27merge_sort_block_merge_implIS3_PS6_N6thrust23THRUST_200600_302600_NS10device_ptrIlEEmNSB_4lessIS6_EEEE10hipError_tT0_T1_T2_jT3_P12ihipStream_tbPNSt15iterator_traitsISH_E10value_typeEPNSN_ISI_E10value_typeEPSJ_NS1_7vsmem_tEENKUlT_SH_SI_SJ_E_clIS9_S9_PlSD_EESG_SW_SH_SI_SJ_EUlSW_E0_NS1_11comp_targetILNS1_3genE2ELNS1_11target_archE906ELNS1_3gpuE6ELNS1_3repE0EEENS1_38merge_mergepath_config_static_selectorELNS0_4arch9wavefront6targetE1EEEvSI_
; %bb.0:
	.section	.rodata,"a",@progbits
	.p2align	6, 0x0
	.amdhsa_kernel _ZN7rocprim17ROCPRIM_400000_NS6detail17trampoline_kernelINS0_14default_configENS1_38merge_sort_block_merge_config_selectorIN3c108BFloat16ElEEZZNS1_27merge_sort_block_merge_implIS3_PS6_N6thrust23THRUST_200600_302600_NS10device_ptrIlEEmNSB_4lessIS6_EEEE10hipError_tT0_T1_T2_jT3_P12ihipStream_tbPNSt15iterator_traitsISH_E10value_typeEPNSN_ISI_E10value_typeEPSJ_NS1_7vsmem_tEENKUlT_SH_SI_SJ_E_clIS9_S9_PlSD_EESG_SW_SH_SI_SJ_EUlSW_E0_NS1_11comp_targetILNS1_3genE2ELNS1_11target_archE906ELNS1_3gpuE6ELNS1_3repE0EEENS1_38merge_mergepath_config_static_selectorELNS0_4arch9wavefront6targetE1EEEvSI_
		.amdhsa_group_segment_fixed_size 0
		.amdhsa_private_segment_fixed_size 0
		.amdhsa_kernarg_size 72
		.amdhsa_user_sgpr_count 6
		.amdhsa_user_sgpr_private_segment_buffer 1
		.amdhsa_user_sgpr_dispatch_ptr 0
		.amdhsa_user_sgpr_queue_ptr 0
		.amdhsa_user_sgpr_kernarg_segment_ptr 1
		.amdhsa_user_sgpr_dispatch_id 0
		.amdhsa_user_sgpr_flat_scratch_init 0
		.amdhsa_user_sgpr_kernarg_preload_length 0
		.amdhsa_user_sgpr_kernarg_preload_offset 0
		.amdhsa_user_sgpr_private_segment_size 0
		.amdhsa_uses_dynamic_stack 0
		.amdhsa_system_sgpr_private_segment_wavefront_offset 0
		.amdhsa_system_sgpr_workgroup_id_x 1
		.amdhsa_system_sgpr_workgroup_id_y 0
		.amdhsa_system_sgpr_workgroup_id_z 0
		.amdhsa_system_sgpr_workgroup_info 0
		.amdhsa_system_vgpr_workitem_id 0
		.amdhsa_next_free_vgpr 1
		.amdhsa_next_free_sgpr 0
		.amdhsa_accum_offset 4
		.amdhsa_reserve_vcc 0
		.amdhsa_reserve_flat_scratch 0
		.amdhsa_float_round_mode_32 0
		.amdhsa_float_round_mode_16_64 0
		.amdhsa_float_denorm_mode_32 3
		.amdhsa_float_denorm_mode_16_64 3
		.amdhsa_dx10_clamp 1
		.amdhsa_ieee_mode 1
		.amdhsa_fp16_overflow 0
		.amdhsa_tg_split 0
		.amdhsa_exception_fp_ieee_invalid_op 0
		.amdhsa_exception_fp_denorm_src 0
		.amdhsa_exception_fp_ieee_div_zero 0
		.amdhsa_exception_fp_ieee_overflow 0
		.amdhsa_exception_fp_ieee_underflow 0
		.amdhsa_exception_fp_ieee_inexact 0
		.amdhsa_exception_int_div_zero 0
	.end_amdhsa_kernel
	.section	.text._ZN7rocprim17ROCPRIM_400000_NS6detail17trampoline_kernelINS0_14default_configENS1_38merge_sort_block_merge_config_selectorIN3c108BFloat16ElEEZZNS1_27merge_sort_block_merge_implIS3_PS6_N6thrust23THRUST_200600_302600_NS10device_ptrIlEEmNSB_4lessIS6_EEEE10hipError_tT0_T1_T2_jT3_P12ihipStream_tbPNSt15iterator_traitsISH_E10value_typeEPNSN_ISI_E10value_typeEPSJ_NS1_7vsmem_tEENKUlT_SH_SI_SJ_E_clIS9_S9_PlSD_EESG_SW_SH_SI_SJ_EUlSW_E0_NS1_11comp_targetILNS1_3genE2ELNS1_11target_archE906ELNS1_3gpuE6ELNS1_3repE0EEENS1_38merge_mergepath_config_static_selectorELNS0_4arch9wavefront6targetE1EEEvSI_,"axG",@progbits,_ZN7rocprim17ROCPRIM_400000_NS6detail17trampoline_kernelINS0_14default_configENS1_38merge_sort_block_merge_config_selectorIN3c108BFloat16ElEEZZNS1_27merge_sort_block_merge_implIS3_PS6_N6thrust23THRUST_200600_302600_NS10device_ptrIlEEmNSB_4lessIS6_EEEE10hipError_tT0_T1_T2_jT3_P12ihipStream_tbPNSt15iterator_traitsISH_E10value_typeEPNSN_ISI_E10value_typeEPSJ_NS1_7vsmem_tEENKUlT_SH_SI_SJ_E_clIS9_S9_PlSD_EESG_SW_SH_SI_SJ_EUlSW_E0_NS1_11comp_targetILNS1_3genE2ELNS1_11target_archE906ELNS1_3gpuE6ELNS1_3repE0EEENS1_38merge_mergepath_config_static_selectorELNS0_4arch9wavefront6targetE1EEEvSI_,comdat
.Lfunc_end1992:
	.size	_ZN7rocprim17ROCPRIM_400000_NS6detail17trampoline_kernelINS0_14default_configENS1_38merge_sort_block_merge_config_selectorIN3c108BFloat16ElEEZZNS1_27merge_sort_block_merge_implIS3_PS6_N6thrust23THRUST_200600_302600_NS10device_ptrIlEEmNSB_4lessIS6_EEEE10hipError_tT0_T1_T2_jT3_P12ihipStream_tbPNSt15iterator_traitsISH_E10value_typeEPNSN_ISI_E10value_typeEPSJ_NS1_7vsmem_tEENKUlT_SH_SI_SJ_E_clIS9_S9_PlSD_EESG_SW_SH_SI_SJ_EUlSW_E0_NS1_11comp_targetILNS1_3genE2ELNS1_11target_archE906ELNS1_3gpuE6ELNS1_3repE0EEENS1_38merge_mergepath_config_static_selectorELNS0_4arch9wavefront6targetE1EEEvSI_, .Lfunc_end1992-_ZN7rocprim17ROCPRIM_400000_NS6detail17trampoline_kernelINS0_14default_configENS1_38merge_sort_block_merge_config_selectorIN3c108BFloat16ElEEZZNS1_27merge_sort_block_merge_implIS3_PS6_N6thrust23THRUST_200600_302600_NS10device_ptrIlEEmNSB_4lessIS6_EEEE10hipError_tT0_T1_T2_jT3_P12ihipStream_tbPNSt15iterator_traitsISH_E10value_typeEPNSN_ISI_E10value_typeEPSJ_NS1_7vsmem_tEENKUlT_SH_SI_SJ_E_clIS9_S9_PlSD_EESG_SW_SH_SI_SJ_EUlSW_E0_NS1_11comp_targetILNS1_3genE2ELNS1_11target_archE906ELNS1_3gpuE6ELNS1_3repE0EEENS1_38merge_mergepath_config_static_selectorELNS0_4arch9wavefront6targetE1EEEvSI_
                                        ; -- End function
	.section	.AMDGPU.csdata,"",@progbits
; Kernel info:
; codeLenInByte = 0
; NumSgprs: 4
; NumVgprs: 0
; NumAgprs: 0
; TotalNumVgprs: 0
; ScratchSize: 0
; MemoryBound: 0
; FloatMode: 240
; IeeeMode: 1
; LDSByteSize: 0 bytes/workgroup (compile time only)
; SGPRBlocks: 0
; VGPRBlocks: 0
; NumSGPRsForWavesPerEU: 4
; NumVGPRsForWavesPerEU: 1
; AccumOffset: 4
; Occupancy: 8
; WaveLimiterHint : 0
; COMPUTE_PGM_RSRC2:SCRATCH_EN: 0
; COMPUTE_PGM_RSRC2:USER_SGPR: 6
; COMPUTE_PGM_RSRC2:TRAP_HANDLER: 0
; COMPUTE_PGM_RSRC2:TGID_X_EN: 1
; COMPUTE_PGM_RSRC2:TGID_Y_EN: 0
; COMPUTE_PGM_RSRC2:TGID_Z_EN: 0
; COMPUTE_PGM_RSRC2:TIDIG_COMP_CNT: 0
; COMPUTE_PGM_RSRC3_GFX90A:ACCUM_OFFSET: 0
; COMPUTE_PGM_RSRC3_GFX90A:TG_SPLIT: 0
	.section	.text._ZN7rocprim17ROCPRIM_400000_NS6detail17trampoline_kernelINS0_14default_configENS1_38merge_sort_block_merge_config_selectorIN3c108BFloat16ElEEZZNS1_27merge_sort_block_merge_implIS3_PS6_N6thrust23THRUST_200600_302600_NS10device_ptrIlEEmNSB_4lessIS6_EEEE10hipError_tT0_T1_T2_jT3_P12ihipStream_tbPNSt15iterator_traitsISH_E10value_typeEPNSN_ISI_E10value_typeEPSJ_NS1_7vsmem_tEENKUlT_SH_SI_SJ_E_clIS9_S9_PlSD_EESG_SW_SH_SI_SJ_EUlSW_E0_NS1_11comp_targetILNS1_3genE9ELNS1_11target_archE1100ELNS1_3gpuE3ELNS1_3repE0EEENS1_38merge_mergepath_config_static_selectorELNS0_4arch9wavefront6targetE1EEEvSI_,"axG",@progbits,_ZN7rocprim17ROCPRIM_400000_NS6detail17trampoline_kernelINS0_14default_configENS1_38merge_sort_block_merge_config_selectorIN3c108BFloat16ElEEZZNS1_27merge_sort_block_merge_implIS3_PS6_N6thrust23THRUST_200600_302600_NS10device_ptrIlEEmNSB_4lessIS6_EEEE10hipError_tT0_T1_T2_jT3_P12ihipStream_tbPNSt15iterator_traitsISH_E10value_typeEPNSN_ISI_E10value_typeEPSJ_NS1_7vsmem_tEENKUlT_SH_SI_SJ_E_clIS9_S9_PlSD_EESG_SW_SH_SI_SJ_EUlSW_E0_NS1_11comp_targetILNS1_3genE9ELNS1_11target_archE1100ELNS1_3gpuE3ELNS1_3repE0EEENS1_38merge_mergepath_config_static_selectorELNS0_4arch9wavefront6targetE1EEEvSI_,comdat
	.protected	_ZN7rocprim17ROCPRIM_400000_NS6detail17trampoline_kernelINS0_14default_configENS1_38merge_sort_block_merge_config_selectorIN3c108BFloat16ElEEZZNS1_27merge_sort_block_merge_implIS3_PS6_N6thrust23THRUST_200600_302600_NS10device_ptrIlEEmNSB_4lessIS6_EEEE10hipError_tT0_T1_T2_jT3_P12ihipStream_tbPNSt15iterator_traitsISH_E10value_typeEPNSN_ISI_E10value_typeEPSJ_NS1_7vsmem_tEENKUlT_SH_SI_SJ_E_clIS9_S9_PlSD_EESG_SW_SH_SI_SJ_EUlSW_E0_NS1_11comp_targetILNS1_3genE9ELNS1_11target_archE1100ELNS1_3gpuE3ELNS1_3repE0EEENS1_38merge_mergepath_config_static_selectorELNS0_4arch9wavefront6targetE1EEEvSI_ ; -- Begin function _ZN7rocprim17ROCPRIM_400000_NS6detail17trampoline_kernelINS0_14default_configENS1_38merge_sort_block_merge_config_selectorIN3c108BFloat16ElEEZZNS1_27merge_sort_block_merge_implIS3_PS6_N6thrust23THRUST_200600_302600_NS10device_ptrIlEEmNSB_4lessIS6_EEEE10hipError_tT0_T1_T2_jT3_P12ihipStream_tbPNSt15iterator_traitsISH_E10value_typeEPNSN_ISI_E10value_typeEPSJ_NS1_7vsmem_tEENKUlT_SH_SI_SJ_E_clIS9_S9_PlSD_EESG_SW_SH_SI_SJ_EUlSW_E0_NS1_11comp_targetILNS1_3genE9ELNS1_11target_archE1100ELNS1_3gpuE3ELNS1_3repE0EEENS1_38merge_mergepath_config_static_selectorELNS0_4arch9wavefront6targetE1EEEvSI_
	.globl	_ZN7rocprim17ROCPRIM_400000_NS6detail17trampoline_kernelINS0_14default_configENS1_38merge_sort_block_merge_config_selectorIN3c108BFloat16ElEEZZNS1_27merge_sort_block_merge_implIS3_PS6_N6thrust23THRUST_200600_302600_NS10device_ptrIlEEmNSB_4lessIS6_EEEE10hipError_tT0_T1_T2_jT3_P12ihipStream_tbPNSt15iterator_traitsISH_E10value_typeEPNSN_ISI_E10value_typeEPSJ_NS1_7vsmem_tEENKUlT_SH_SI_SJ_E_clIS9_S9_PlSD_EESG_SW_SH_SI_SJ_EUlSW_E0_NS1_11comp_targetILNS1_3genE9ELNS1_11target_archE1100ELNS1_3gpuE3ELNS1_3repE0EEENS1_38merge_mergepath_config_static_selectorELNS0_4arch9wavefront6targetE1EEEvSI_
	.p2align	8
	.type	_ZN7rocprim17ROCPRIM_400000_NS6detail17trampoline_kernelINS0_14default_configENS1_38merge_sort_block_merge_config_selectorIN3c108BFloat16ElEEZZNS1_27merge_sort_block_merge_implIS3_PS6_N6thrust23THRUST_200600_302600_NS10device_ptrIlEEmNSB_4lessIS6_EEEE10hipError_tT0_T1_T2_jT3_P12ihipStream_tbPNSt15iterator_traitsISH_E10value_typeEPNSN_ISI_E10value_typeEPSJ_NS1_7vsmem_tEENKUlT_SH_SI_SJ_E_clIS9_S9_PlSD_EESG_SW_SH_SI_SJ_EUlSW_E0_NS1_11comp_targetILNS1_3genE9ELNS1_11target_archE1100ELNS1_3gpuE3ELNS1_3repE0EEENS1_38merge_mergepath_config_static_selectorELNS0_4arch9wavefront6targetE1EEEvSI_,@function
_ZN7rocprim17ROCPRIM_400000_NS6detail17trampoline_kernelINS0_14default_configENS1_38merge_sort_block_merge_config_selectorIN3c108BFloat16ElEEZZNS1_27merge_sort_block_merge_implIS3_PS6_N6thrust23THRUST_200600_302600_NS10device_ptrIlEEmNSB_4lessIS6_EEEE10hipError_tT0_T1_T2_jT3_P12ihipStream_tbPNSt15iterator_traitsISH_E10value_typeEPNSN_ISI_E10value_typeEPSJ_NS1_7vsmem_tEENKUlT_SH_SI_SJ_E_clIS9_S9_PlSD_EESG_SW_SH_SI_SJ_EUlSW_E0_NS1_11comp_targetILNS1_3genE9ELNS1_11target_archE1100ELNS1_3gpuE3ELNS1_3repE0EEENS1_38merge_mergepath_config_static_selectorELNS0_4arch9wavefront6targetE1EEEvSI_: ; @_ZN7rocprim17ROCPRIM_400000_NS6detail17trampoline_kernelINS0_14default_configENS1_38merge_sort_block_merge_config_selectorIN3c108BFloat16ElEEZZNS1_27merge_sort_block_merge_implIS3_PS6_N6thrust23THRUST_200600_302600_NS10device_ptrIlEEmNSB_4lessIS6_EEEE10hipError_tT0_T1_T2_jT3_P12ihipStream_tbPNSt15iterator_traitsISH_E10value_typeEPNSN_ISI_E10value_typeEPSJ_NS1_7vsmem_tEENKUlT_SH_SI_SJ_E_clIS9_S9_PlSD_EESG_SW_SH_SI_SJ_EUlSW_E0_NS1_11comp_targetILNS1_3genE9ELNS1_11target_archE1100ELNS1_3gpuE3ELNS1_3repE0EEENS1_38merge_mergepath_config_static_selectorELNS0_4arch9wavefront6targetE1EEEvSI_
; %bb.0:
	.section	.rodata,"a",@progbits
	.p2align	6, 0x0
	.amdhsa_kernel _ZN7rocprim17ROCPRIM_400000_NS6detail17trampoline_kernelINS0_14default_configENS1_38merge_sort_block_merge_config_selectorIN3c108BFloat16ElEEZZNS1_27merge_sort_block_merge_implIS3_PS6_N6thrust23THRUST_200600_302600_NS10device_ptrIlEEmNSB_4lessIS6_EEEE10hipError_tT0_T1_T2_jT3_P12ihipStream_tbPNSt15iterator_traitsISH_E10value_typeEPNSN_ISI_E10value_typeEPSJ_NS1_7vsmem_tEENKUlT_SH_SI_SJ_E_clIS9_S9_PlSD_EESG_SW_SH_SI_SJ_EUlSW_E0_NS1_11comp_targetILNS1_3genE9ELNS1_11target_archE1100ELNS1_3gpuE3ELNS1_3repE0EEENS1_38merge_mergepath_config_static_selectorELNS0_4arch9wavefront6targetE1EEEvSI_
		.amdhsa_group_segment_fixed_size 0
		.amdhsa_private_segment_fixed_size 0
		.amdhsa_kernarg_size 72
		.amdhsa_user_sgpr_count 6
		.amdhsa_user_sgpr_private_segment_buffer 1
		.amdhsa_user_sgpr_dispatch_ptr 0
		.amdhsa_user_sgpr_queue_ptr 0
		.amdhsa_user_sgpr_kernarg_segment_ptr 1
		.amdhsa_user_sgpr_dispatch_id 0
		.amdhsa_user_sgpr_flat_scratch_init 0
		.amdhsa_user_sgpr_kernarg_preload_length 0
		.amdhsa_user_sgpr_kernarg_preload_offset 0
		.amdhsa_user_sgpr_private_segment_size 0
		.amdhsa_uses_dynamic_stack 0
		.amdhsa_system_sgpr_private_segment_wavefront_offset 0
		.amdhsa_system_sgpr_workgroup_id_x 1
		.amdhsa_system_sgpr_workgroup_id_y 0
		.amdhsa_system_sgpr_workgroup_id_z 0
		.amdhsa_system_sgpr_workgroup_info 0
		.amdhsa_system_vgpr_workitem_id 0
		.amdhsa_next_free_vgpr 1
		.amdhsa_next_free_sgpr 0
		.amdhsa_accum_offset 4
		.amdhsa_reserve_vcc 0
		.amdhsa_reserve_flat_scratch 0
		.amdhsa_float_round_mode_32 0
		.amdhsa_float_round_mode_16_64 0
		.amdhsa_float_denorm_mode_32 3
		.amdhsa_float_denorm_mode_16_64 3
		.amdhsa_dx10_clamp 1
		.amdhsa_ieee_mode 1
		.amdhsa_fp16_overflow 0
		.amdhsa_tg_split 0
		.amdhsa_exception_fp_ieee_invalid_op 0
		.amdhsa_exception_fp_denorm_src 0
		.amdhsa_exception_fp_ieee_div_zero 0
		.amdhsa_exception_fp_ieee_overflow 0
		.amdhsa_exception_fp_ieee_underflow 0
		.amdhsa_exception_fp_ieee_inexact 0
		.amdhsa_exception_int_div_zero 0
	.end_amdhsa_kernel
	.section	.text._ZN7rocprim17ROCPRIM_400000_NS6detail17trampoline_kernelINS0_14default_configENS1_38merge_sort_block_merge_config_selectorIN3c108BFloat16ElEEZZNS1_27merge_sort_block_merge_implIS3_PS6_N6thrust23THRUST_200600_302600_NS10device_ptrIlEEmNSB_4lessIS6_EEEE10hipError_tT0_T1_T2_jT3_P12ihipStream_tbPNSt15iterator_traitsISH_E10value_typeEPNSN_ISI_E10value_typeEPSJ_NS1_7vsmem_tEENKUlT_SH_SI_SJ_E_clIS9_S9_PlSD_EESG_SW_SH_SI_SJ_EUlSW_E0_NS1_11comp_targetILNS1_3genE9ELNS1_11target_archE1100ELNS1_3gpuE3ELNS1_3repE0EEENS1_38merge_mergepath_config_static_selectorELNS0_4arch9wavefront6targetE1EEEvSI_,"axG",@progbits,_ZN7rocprim17ROCPRIM_400000_NS6detail17trampoline_kernelINS0_14default_configENS1_38merge_sort_block_merge_config_selectorIN3c108BFloat16ElEEZZNS1_27merge_sort_block_merge_implIS3_PS6_N6thrust23THRUST_200600_302600_NS10device_ptrIlEEmNSB_4lessIS6_EEEE10hipError_tT0_T1_T2_jT3_P12ihipStream_tbPNSt15iterator_traitsISH_E10value_typeEPNSN_ISI_E10value_typeEPSJ_NS1_7vsmem_tEENKUlT_SH_SI_SJ_E_clIS9_S9_PlSD_EESG_SW_SH_SI_SJ_EUlSW_E0_NS1_11comp_targetILNS1_3genE9ELNS1_11target_archE1100ELNS1_3gpuE3ELNS1_3repE0EEENS1_38merge_mergepath_config_static_selectorELNS0_4arch9wavefront6targetE1EEEvSI_,comdat
.Lfunc_end1993:
	.size	_ZN7rocprim17ROCPRIM_400000_NS6detail17trampoline_kernelINS0_14default_configENS1_38merge_sort_block_merge_config_selectorIN3c108BFloat16ElEEZZNS1_27merge_sort_block_merge_implIS3_PS6_N6thrust23THRUST_200600_302600_NS10device_ptrIlEEmNSB_4lessIS6_EEEE10hipError_tT0_T1_T2_jT3_P12ihipStream_tbPNSt15iterator_traitsISH_E10value_typeEPNSN_ISI_E10value_typeEPSJ_NS1_7vsmem_tEENKUlT_SH_SI_SJ_E_clIS9_S9_PlSD_EESG_SW_SH_SI_SJ_EUlSW_E0_NS1_11comp_targetILNS1_3genE9ELNS1_11target_archE1100ELNS1_3gpuE3ELNS1_3repE0EEENS1_38merge_mergepath_config_static_selectorELNS0_4arch9wavefront6targetE1EEEvSI_, .Lfunc_end1993-_ZN7rocprim17ROCPRIM_400000_NS6detail17trampoline_kernelINS0_14default_configENS1_38merge_sort_block_merge_config_selectorIN3c108BFloat16ElEEZZNS1_27merge_sort_block_merge_implIS3_PS6_N6thrust23THRUST_200600_302600_NS10device_ptrIlEEmNSB_4lessIS6_EEEE10hipError_tT0_T1_T2_jT3_P12ihipStream_tbPNSt15iterator_traitsISH_E10value_typeEPNSN_ISI_E10value_typeEPSJ_NS1_7vsmem_tEENKUlT_SH_SI_SJ_E_clIS9_S9_PlSD_EESG_SW_SH_SI_SJ_EUlSW_E0_NS1_11comp_targetILNS1_3genE9ELNS1_11target_archE1100ELNS1_3gpuE3ELNS1_3repE0EEENS1_38merge_mergepath_config_static_selectorELNS0_4arch9wavefront6targetE1EEEvSI_
                                        ; -- End function
	.section	.AMDGPU.csdata,"",@progbits
; Kernel info:
; codeLenInByte = 0
; NumSgprs: 4
; NumVgprs: 0
; NumAgprs: 0
; TotalNumVgprs: 0
; ScratchSize: 0
; MemoryBound: 0
; FloatMode: 240
; IeeeMode: 1
; LDSByteSize: 0 bytes/workgroup (compile time only)
; SGPRBlocks: 0
; VGPRBlocks: 0
; NumSGPRsForWavesPerEU: 4
; NumVGPRsForWavesPerEU: 1
; AccumOffset: 4
; Occupancy: 8
; WaveLimiterHint : 0
; COMPUTE_PGM_RSRC2:SCRATCH_EN: 0
; COMPUTE_PGM_RSRC2:USER_SGPR: 6
; COMPUTE_PGM_RSRC2:TRAP_HANDLER: 0
; COMPUTE_PGM_RSRC2:TGID_X_EN: 1
; COMPUTE_PGM_RSRC2:TGID_Y_EN: 0
; COMPUTE_PGM_RSRC2:TGID_Z_EN: 0
; COMPUTE_PGM_RSRC2:TIDIG_COMP_CNT: 0
; COMPUTE_PGM_RSRC3_GFX90A:ACCUM_OFFSET: 0
; COMPUTE_PGM_RSRC3_GFX90A:TG_SPLIT: 0
	.section	.text._ZN7rocprim17ROCPRIM_400000_NS6detail17trampoline_kernelINS0_14default_configENS1_38merge_sort_block_merge_config_selectorIN3c108BFloat16ElEEZZNS1_27merge_sort_block_merge_implIS3_PS6_N6thrust23THRUST_200600_302600_NS10device_ptrIlEEmNSB_4lessIS6_EEEE10hipError_tT0_T1_T2_jT3_P12ihipStream_tbPNSt15iterator_traitsISH_E10value_typeEPNSN_ISI_E10value_typeEPSJ_NS1_7vsmem_tEENKUlT_SH_SI_SJ_E_clIS9_S9_PlSD_EESG_SW_SH_SI_SJ_EUlSW_E0_NS1_11comp_targetILNS1_3genE8ELNS1_11target_archE1030ELNS1_3gpuE2ELNS1_3repE0EEENS1_38merge_mergepath_config_static_selectorELNS0_4arch9wavefront6targetE1EEEvSI_,"axG",@progbits,_ZN7rocprim17ROCPRIM_400000_NS6detail17trampoline_kernelINS0_14default_configENS1_38merge_sort_block_merge_config_selectorIN3c108BFloat16ElEEZZNS1_27merge_sort_block_merge_implIS3_PS6_N6thrust23THRUST_200600_302600_NS10device_ptrIlEEmNSB_4lessIS6_EEEE10hipError_tT0_T1_T2_jT3_P12ihipStream_tbPNSt15iterator_traitsISH_E10value_typeEPNSN_ISI_E10value_typeEPSJ_NS1_7vsmem_tEENKUlT_SH_SI_SJ_E_clIS9_S9_PlSD_EESG_SW_SH_SI_SJ_EUlSW_E0_NS1_11comp_targetILNS1_3genE8ELNS1_11target_archE1030ELNS1_3gpuE2ELNS1_3repE0EEENS1_38merge_mergepath_config_static_selectorELNS0_4arch9wavefront6targetE1EEEvSI_,comdat
	.protected	_ZN7rocprim17ROCPRIM_400000_NS6detail17trampoline_kernelINS0_14default_configENS1_38merge_sort_block_merge_config_selectorIN3c108BFloat16ElEEZZNS1_27merge_sort_block_merge_implIS3_PS6_N6thrust23THRUST_200600_302600_NS10device_ptrIlEEmNSB_4lessIS6_EEEE10hipError_tT0_T1_T2_jT3_P12ihipStream_tbPNSt15iterator_traitsISH_E10value_typeEPNSN_ISI_E10value_typeEPSJ_NS1_7vsmem_tEENKUlT_SH_SI_SJ_E_clIS9_S9_PlSD_EESG_SW_SH_SI_SJ_EUlSW_E0_NS1_11comp_targetILNS1_3genE8ELNS1_11target_archE1030ELNS1_3gpuE2ELNS1_3repE0EEENS1_38merge_mergepath_config_static_selectorELNS0_4arch9wavefront6targetE1EEEvSI_ ; -- Begin function _ZN7rocprim17ROCPRIM_400000_NS6detail17trampoline_kernelINS0_14default_configENS1_38merge_sort_block_merge_config_selectorIN3c108BFloat16ElEEZZNS1_27merge_sort_block_merge_implIS3_PS6_N6thrust23THRUST_200600_302600_NS10device_ptrIlEEmNSB_4lessIS6_EEEE10hipError_tT0_T1_T2_jT3_P12ihipStream_tbPNSt15iterator_traitsISH_E10value_typeEPNSN_ISI_E10value_typeEPSJ_NS1_7vsmem_tEENKUlT_SH_SI_SJ_E_clIS9_S9_PlSD_EESG_SW_SH_SI_SJ_EUlSW_E0_NS1_11comp_targetILNS1_3genE8ELNS1_11target_archE1030ELNS1_3gpuE2ELNS1_3repE0EEENS1_38merge_mergepath_config_static_selectorELNS0_4arch9wavefront6targetE1EEEvSI_
	.globl	_ZN7rocprim17ROCPRIM_400000_NS6detail17trampoline_kernelINS0_14default_configENS1_38merge_sort_block_merge_config_selectorIN3c108BFloat16ElEEZZNS1_27merge_sort_block_merge_implIS3_PS6_N6thrust23THRUST_200600_302600_NS10device_ptrIlEEmNSB_4lessIS6_EEEE10hipError_tT0_T1_T2_jT3_P12ihipStream_tbPNSt15iterator_traitsISH_E10value_typeEPNSN_ISI_E10value_typeEPSJ_NS1_7vsmem_tEENKUlT_SH_SI_SJ_E_clIS9_S9_PlSD_EESG_SW_SH_SI_SJ_EUlSW_E0_NS1_11comp_targetILNS1_3genE8ELNS1_11target_archE1030ELNS1_3gpuE2ELNS1_3repE0EEENS1_38merge_mergepath_config_static_selectorELNS0_4arch9wavefront6targetE1EEEvSI_
	.p2align	8
	.type	_ZN7rocprim17ROCPRIM_400000_NS6detail17trampoline_kernelINS0_14default_configENS1_38merge_sort_block_merge_config_selectorIN3c108BFloat16ElEEZZNS1_27merge_sort_block_merge_implIS3_PS6_N6thrust23THRUST_200600_302600_NS10device_ptrIlEEmNSB_4lessIS6_EEEE10hipError_tT0_T1_T2_jT3_P12ihipStream_tbPNSt15iterator_traitsISH_E10value_typeEPNSN_ISI_E10value_typeEPSJ_NS1_7vsmem_tEENKUlT_SH_SI_SJ_E_clIS9_S9_PlSD_EESG_SW_SH_SI_SJ_EUlSW_E0_NS1_11comp_targetILNS1_3genE8ELNS1_11target_archE1030ELNS1_3gpuE2ELNS1_3repE0EEENS1_38merge_mergepath_config_static_selectorELNS0_4arch9wavefront6targetE1EEEvSI_,@function
_ZN7rocprim17ROCPRIM_400000_NS6detail17trampoline_kernelINS0_14default_configENS1_38merge_sort_block_merge_config_selectorIN3c108BFloat16ElEEZZNS1_27merge_sort_block_merge_implIS3_PS6_N6thrust23THRUST_200600_302600_NS10device_ptrIlEEmNSB_4lessIS6_EEEE10hipError_tT0_T1_T2_jT3_P12ihipStream_tbPNSt15iterator_traitsISH_E10value_typeEPNSN_ISI_E10value_typeEPSJ_NS1_7vsmem_tEENKUlT_SH_SI_SJ_E_clIS9_S9_PlSD_EESG_SW_SH_SI_SJ_EUlSW_E0_NS1_11comp_targetILNS1_3genE8ELNS1_11target_archE1030ELNS1_3gpuE2ELNS1_3repE0EEENS1_38merge_mergepath_config_static_selectorELNS0_4arch9wavefront6targetE1EEEvSI_: ; @_ZN7rocprim17ROCPRIM_400000_NS6detail17trampoline_kernelINS0_14default_configENS1_38merge_sort_block_merge_config_selectorIN3c108BFloat16ElEEZZNS1_27merge_sort_block_merge_implIS3_PS6_N6thrust23THRUST_200600_302600_NS10device_ptrIlEEmNSB_4lessIS6_EEEE10hipError_tT0_T1_T2_jT3_P12ihipStream_tbPNSt15iterator_traitsISH_E10value_typeEPNSN_ISI_E10value_typeEPSJ_NS1_7vsmem_tEENKUlT_SH_SI_SJ_E_clIS9_S9_PlSD_EESG_SW_SH_SI_SJ_EUlSW_E0_NS1_11comp_targetILNS1_3genE8ELNS1_11target_archE1030ELNS1_3gpuE2ELNS1_3repE0EEENS1_38merge_mergepath_config_static_selectorELNS0_4arch9wavefront6targetE1EEEvSI_
; %bb.0:
	.section	.rodata,"a",@progbits
	.p2align	6, 0x0
	.amdhsa_kernel _ZN7rocprim17ROCPRIM_400000_NS6detail17trampoline_kernelINS0_14default_configENS1_38merge_sort_block_merge_config_selectorIN3c108BFloat16ElEEZZNS1_27merge_sort_block_merge_implIS3_PS6_N6thrust23THRUST_200600_302600_NS10device_ptrIlEEmNSB_4lessIS6_EEEE10hipError_tT0_T1_T2_jT3_P12ihipStream_tbPNSt15iterator_traitsISH_E10value_typeEPNSN_ISI_E10value_typeEPSJ_NS1_7vsmem_tEENKUlT_SH_SI_SJ_E_clIS9_S9_PlSD_EESG_SW_SH_SI_SJ_EUlSW_E0_NS1_11comp_targetILNS1_3genE8ELNS1_11target_archE1030ELNS1_3gpuE2ELNS1_3repE0EEENS1_38merge_mergepath_config_static_selectorELNS0_4arch9wavefront6targetE1EEEvSI_
		.amdhsa_group_segment_fixed_size 0
		.amdhsa_private_segment_fixed_size 0
		.amdhsa_kernarg_size 72
		.amdhsa_user_sgpr_count 6
		.amdhsa_user_sgpr_private_segment_buffer 1
		.amdhsa_user_sgpr_dispatch_ptr 0
		.amdhsa_user_sgpr_queue_ptr 0
		.amdhsa_user_sgpr_kernarg_segment_ptr 1
		.amdhsa_user_sgpr_dispatch_id 0
		.amdhsa_user_sgpr_flat_scratch_init 0
		.amdhsa_user_sgpr_kernarg_preload_length 0
		.amdhsa_user_sgpr_kernarg_preload_offset 0
		.amdhsa_user_sgpr_private_segment_size 0
		.amdhsa_uses_dynamic_stack 0
		.amdhsa_system_sgpr_private_segment_wavefront_offset 0
		.amdhsa_system_sgpr_workgroup_id_x 1
		.amdhsa_system_sgpr_workgroup_id_y 0
		.amdhsa_system_sgpr_workgroup_id_z 0
		.amdhsa_system_sgpr_workgroup_info 0
		.amdhsa_system_vgpr_workitem_id 0
		.amdhsa_next_free_vgpr 1
		.amdhsa_next_free_sgpr 0
		.amdhsa_accum_offset 4
		.amdhsa_reserve_vcc 0
		.amdhsa_reserve_flat_scratch 0
		.amdhsa_float_round_mode_32 0
		.amdhsa_float_round_mode_16_64 0
		.amdhsa_float_denorm_mode_32 3
		.amdhsa_float_denorm_mode_16_64 3
		.amdhsa_dx10_clamp 1
		.amdhsa_ieee_mode 1
		.amdhsa_fp16_overflow 0
		.amdhsa_tg_split 0
		.amdhsa_exception_fp_ieee_invalid_op 0
		.amdhsa_exception_fp_denorm_src 0
		.amdhsa_exception_fp_ieee_div_zero 0
		.amdhsa_exception_fp_ieee_overflow 0
		.amdhsa_exception_fp_ieee_underflow 0
		.amdhsa_exception_fp_ieee_inexact 0
		.amdhsa_exception_int_div_zero 0
	.end_amdhsa_kernel
	.section	.text._ZN7rocprim17ROCPRIM_400000_NS6detail17trampoline_kernelINS0_14default_configENS1_38merge_sort_block_merge_config_selectorIN3c108BFloat16ElEEZZNS1_27merge_sort_block_merge_implIS3_PS6_N6thrust23THRUST_200600_302600_NS10device_ptrIlEEmNSB_4lessIS6_EEEE10hipError_tT0_T1_T2_jT3_P12ihipStream_tbPNSt15iterator_traitsISH_E10value_typeEPNSN_ISI_E10value_typeEPSJ_NS1_7vsmem_tEENKUlT_SH_SI_SJ_E_clIS9_S9_PlSD_EESG_SW_SH_SI_SJ_EUlSW_E0_NS1_11comp_targetILNS1_3genE8ELNS1_11target_archE1030ELNS1_3gpuE2ELNS1_3repE0EEENS1_38merge_mergepath_config_static_selectorELNS0_4arch9wavefront6targetE1EEEvSI_,"axG",@progbits,_ZN7rocprim17ROCPRIM_400000_NS6detail17trampoline_kernelINS0_14default_configENS1_38merge_sort_block_merge_config_selectorIN3c108BFloat16ElEEZZNS1_27merge_sort_block_merge_implIS3_PS6_N6thrust23THRUST_200600_302600_NS10device_ptrIlEEmNSB_4lessIS6_EEEE10hipError_tT0_T1_T2_jT3_P12ihipStream_tbPNSt15iterator_traitsISH_E10value_typeEPNSN_ISI_E10value_typeEPSJ_NS1_7vsmem_tEENKUlT_SH_SI_SJ_E_clIS9_S9_PlSD_EESG_SW_SH_SI_SJ_EUlSW_E0_NS1_11comp_targetILNS1_3genE8ELNS1_11target_archE1030ELNS1_3gpuE2ELNS1_3repE0EEENS1_38merge_mergepath_config_static_selectorELNS0_4arch9wavefront6targetE1EEEvSI_,comdat
.Lfunc_end1994:
	.size	_ZN7rocprim17ROCPRIM_400000_NS6detail17trampoline_kernelINS0_14default_configENS1_38merge_sort_block_merge_config_selectorIN3c108BFloat16ElEEZZNS1_27merge_sort_block_merge_implIS3_PS6_N6thrust23THRUST_200600_302600_NS10device_ptrIlEEmNSB_4lessIS6_EEEE10hipError_tT0_T1_T2_jT3_P12ihipStream_tbPNSt15iterator_traitsISH_E10value_typeEPNSN_ISI_E10value_typeEPSJ_NS1_7vsmem_tEENKUlT_SH_SI_SJ_E_clIS9_S9_PlSD_EESG_SW_SH_SI_SJ_EUlSW_E0_NS1_11comp_targetILNS1_3genE8ELNS1_11target_archE1030ELNS1_3gpuE2ELNS1_3repE0EEENS1_38merge_mergepath_config_static_selectorELNS0_4arch9wavefront6targetE1EEEvSI_, .Lfunc_end1994-_ZN7rocprim17ROCPRIM_400000_NS6detail17trampoline_kernelINS0_14default_configENS1_38merge_sort_block_merge_config_selectorIN3c108BFloat16ElEEZZNS1_27merge_sort_block_merge_implIS3_PS6_N6thrust23THRUST_200600_302600_NS10device_ptrIlEEmNSB_4lessIS6_EEEE10hipError_tT0_T1_T2_jT3_P12ihipStream_tbPNSt15iterator_traitsISH_E10value_typeEPNSN_ISI_E10value_typeEPSJ_NS1_7vsmem_tEENKUlT_SH_SI_SJ_E_clIS9_S9_PlSD_EESG_SW_SH_SI_SJ_EUlSW_E0_NS1_11comp_targetILNS1_3genE8ELNS1_11target_archE1030ELNS1_3gpuE2ELNS1_3repE0EEENS1_38merge_mergepath_config_static_selectorELNS0_4arch9wavefront6targetE1EEEvSI_
                                        ; -- End function
	.section	.AMDGPU.csdata,"",@progbits
; Kernel info:
; codeLenInByte = 0
; NumSgprs: 4
; NumVgprs: 0
; NumAgprs: 0
; TotalNumVgprs: 0
; ScratchSize: 0
; MemoryBound: 0
; FloatMode: 240
; IeeeMode: 1
; LDSByteSize: 0 bytes/workgroup (compile time only)
; SGPRBlocks: 0
; VGPRBlocks: 0
; NumSGPRsForWavesPerEU: 4
; NumVGPRsForWavesPerEU: 1
; AccumOffset: 4
; Occupancy: 8
; WaveLimiterHint : 0
; COMPUTE_PGM_RSRC2:SCRATCH_EN: 0
; COMPUTE_PGM_RSRC2:USER_SGPR: 6
; COMPUTE_PGM_RSRC2:TRAP_HANDLER: 0
; COMPUTE_PGM_RSRC2:TGID_X_EN: 1
; COMPUTE_PGM_RSRC2:TGID_Y_EN: 0
; COMPUTE_PGM_RSRC2:TGID_Z_EN: 0
; COMPUTE_PGM_RSRC2:TIDIG_COMP_CNT: 0
; COMPUTE_PGM_RSRC3_GFX90A:ACCUM_OFFSET: 0
; COMPUTE_PGM_RSRC3_GFX90A:TG_SPLIT: 0
	.section	.text._ZN7rocprim17ROCPRIM_400000_NS6detail17trampoline_kernelINS0_14default_configENS1_38merge_sort_block_merge_config_selectorIN3c108BFloat16ElEEZZNS1_27merge_sort_block_merge_implIS3_PS6_N6thrust23THRUST_200600_302600_NS10device_ptrIlEEmNSB_4lessIS6_EEEE10hipError_tT0_T1_T2_jT3_P12ihipStream_tbPNSt15iterator_traitsISH_E10value_typeEPNSN_ISI_E10value_typeEPSJ_NS1_7vsmem_tEENKUlT_SH_SI_SJ_E_clIS9_S9_PlSD_EESG_SW_SH_SI_SJ_EUlSW_E1_NS1_11comp_targetILNS1_3genE0ELNS1_11target_archE4294967295ELNS1_3gpuE0ELNS1_3repE0EEENS1_36merge_oddeven_config_static_selectorELNS0_4arch9wavefront6targetE1EEEvSI_,"axG",@progbits,_ZN7rocprim17ROCPRIM_400000_NS6detail17trampoline_kernelINS0_14default_configENS1_38merge_sort_block_merge_config_selectorIN3c108BFloat16ElEEZZNS1_27merge_sort_block_merge_implIS3_PS6_N6thrust23THRUST_200600_302600_NS10device_ptrIlEEmNSB_4lessIS6_EEEE10hipError_tT0_T1_T2_jT3_P12ihipStream_tbPNSt15iterator_traitsISH_E10value_typeEPNSN_ISI_E10value_typeEPSJ_NS1_7vsmem_tEENKUlT_SH_SI_SJ_E_clIS9_S9_PlSD_EESG_SW_SH_SI_SJ_EUlSW_E1_NS1_11comp_targetILNS1_3genE0ELNS1_11target_archE4294967295ELNS1_3gpuE0ELNS1_3repE0EEENS1_36merge_oddeven_config_static_selectorELNS0_4arch9wavefront6targetE1EEEvSI_,comdat
	.protected	_ZN7rocprim17ROCPRIM_400000_NS6detail17trampoline_kernelINS0_14default_configENS1_38merge_sort_block_merge_config_selectorIN3c108BFloat16ElEEZZNS1_27merge_sort_block_merge_implIS3_PS6_N6thrust23THRUST_200600_302600_NS10device_ptrIlEEmNSB_4lessIS6_EEEE10hipError_tT0_T1_T2_jT3_P12ihipStream_tbPNSt15iterator_traitsISH_E10value_typeEPNSN_ISI_E10value_typeEPSJ_NS1_7vsmem_tEENKUlT_SH_SI_SJ_E_clIS9_S9_PlSD_EESG_SW_SH_SI_SJ_EUlSW_E1_NS1_11comp_targetILNS1_3genE0ELNS1_11target_archE4294967295ELNS1_3gpuE0ELNS1_3repE0EEENS1_36merge_oddeven_config_static_selectorELNS0_4arch9wavefront6targetE1EEEvSI_ ; -- Begin function _ZN7rocprim17ROCPRIM_400000_NS6detail17trampoline_kernelINS0_14default_configENS1_38merge_sort_block_merge_config_selectorIN3c108BFloat16ElEEZZNS1_27merge_sort_block_merge_implIS3_PS6_N6thrust23THRUST_200600_302600_NS10device_ptrIlEEmNSB_4lessIS6_EEEE10hipError_tT0_T1_T2_jT3_P12ihipStream_tbPNSt15iterator_traitsISH_E10value_typeEPNSN_ISI_E10value_typeEPSJ_NS1_7vsmem_tEENKUlT_SH_SI_SJ_E_clIS9_S9_PlSD_EESG_SW_SH_SI_SJ_EUlSW_E1_NS1_11comp_targetILNS1_3genE0ELNS1_11target_archE4294967295ELNS1_3gpuE0ELNS1_3repE0EEENS1_36merge_oddeven_config_static_selectorELNS0_4arch9wavefront6targetE1EEEvSI_
	.globl	_ZN7rocprim17ROCPRIM_400000_NS6detail17trampoline_kernelINS0_14default_configENS1_38merge_sort_block_merge_config_selectorIN3c108BFloat16ElEEZZNS1_27merge_sort_block_merge_implIS3_PS6_N6thrust23THRUST_200600_302600_NS10device_ptrIlEEmNSB_4lessIS6_EEEE10hipError_tT0_T1_T2_jT3_P12ihipStream_tbPNSt15iterator_traitsISH_E10value_typeEPNSN_ISI_E10value_typeEPSJ_NS1_7vsmem_tEENKUlT_SH_SI_SJ_E_clIS9_S9_PlSD_EESG_SW_SH_SI_SJ_EUlSW_E1_NS1_11comp_targetILNS1_3genE0ELNS1_11target_archE4294967295ELNS1_3gpuE0ELNS1_3repE0EEENS1_36merge_oddeven_config_static_selectorELNS0_4arch9wavefront6targetE1EEEvSI_
	.p2align	8
	.type	_ZN7rocprim17ROCPRIM_400000_NS6detail17trampoline_kernelINS0_14default_configENS1_38merge_sort_block_merge_config_selectorIN3c108BFloat16ElEEZZNS1_27merge_sort_block_merge_implIS3_PS6_N6thrust23THRUST_200600_302600_NS10device_ptrIlEEmNSB_4lessIS6_EEEE10hipError_tT0_T1_T2_jT3_P12ihipStream_tbPNSt15iterator_traitsISH_E10value_typeEPNSN_ISI_E10value_typeEPSJ_NS1_7vsmem_tEENKUlT_SH_SI_SJ_E_clIS9_S9_PlSD_EESG_SW_SH_SI_SJ_EUlSW_E1_NS1_11comp_targetILNS1_3genE0ELNS1_11target_archE4294967295ELNS1_3gpuE0ELNS1_3repE0EEENS1_36merge_oddeven_config_static_selectorELNS0_4arch9wavefront6targetE1EEEvSI_,@function
_ZN7rocprim17ROCPRIM_400000_NS6detail17trampoline_kernelINS0_14default_configENS1_38merge_sort_block_merge_config_selectorIN3c108BFloat16ElEEZZNS1_27merge_sort_block_merge_implIS3_PS6_N6thrust23THRUST_200600_302600_NS10device_ptrIlEEmNSB_4lessIS6_EEEE10hipError_tT0_T1_T2_jT3_P12ihipStream_tbPNSt15iterator_traitsISH_E10value_typeEPNSN_ISI_E10value_typeEPSJ_NS1_7vsmem_tEENKUlT_SH_SI_SJ_E_clIS9_S9_PlSD_EESG_SW_SH_SI_SJ_EUlSW_E1_NS1_11comp_targetILNS1_3genE0ELNS1_11target_archE4294967295ELNS1_3gpuE0ELNS1_3repE0EEENS1_36merge_oddeven_config_static_selectorELNS0_4arch9wavefront6targetE1EEEvSI_: ; @_ZN7rocprim17ROCPRIM_400000_NS6detail17trampoline_kernelINS0_14default_configENS1_38merge_sort_block_merge_config_selectorIN3c108BFloat16ElEEZZNS1_27merge_sort_block_merge_implIS3_PS6_N6thrust23THRUST_200600_302600_NS10device_ptrIlEEmNSB_4lessIS6_EEEE10hipError_tT0_T1_T2_jT3_P12ihipStream_tbPNSt15iterator_traitsISH_E10value_typeEPNSN_ISI_E10value_typeEPSJ_NS1_7vsmem_tEENKUlT_SH_SI_SJ_E_clIS9_S9_PlSD_EESG_SW_SH_SI_SJ_EUlSW_E1_NS1_11comp_targetILNS1_3genE0ELNS1_11target_archE4294967295ELNS1_3gpuE0ELNS1_3repE0EEENS1_36merge_oddeven_config_static_selectorELNS0_4arch9wavefront6targetE1EEEvSI_
; %bb.0:
	.section	.rodata,"a",@progbits
	.p2align	6, 0x0
	.amdhsa_kernel _ZN7rocprim17ROCPRIM_400000_NS6detail17trampoline_kernelINS0_14default_configENS1_38merge_sort_block_merge_config_selectorIN3c108BFloat16ElEEZZNS1_27merge_sort_block_merge_implIS3_PS6_N6thrust23THRUST_200600_302600_NS10device_ptrIlEEmNSB_4lessIS6_EEEE10hipError_tT0_T1_T2_jT3_P12ihipStream_tbPNSt15iterator_traitsISH_E10value_typeEPNSN_ISI_E10value_typeEPSJ_NS1_7vsmem_tEENKUlT_SH_SI_SJ_E_clIS9_S9_PlSD_EESG_SW_SH_SI_SJ_EUlSW_E1_NS1_11comp_targetILNS1_3genE0ELNS1_11target_archE4294967295ELNS1_3gpuE0ELNS1_3repE0EEENS1_36merge_oddeven_config_static_selectorELNS0_4arch9wavefront6targetE1EEEvSI_
		.amdhsa_group_segment_fixed_size 0
		.amdhsa_private_segment_fixed_size 0
		.amdhsa_kernarg_size 56
		.amdhsa_user_sgpr_count 6
		.amdhsa_user_sgpr_private_segment_buffer 1
		.amdhsa_user_sgpr_dispatch_ptr 0
		.amdhsa_user_sgpr_queue_ptr 0
		.amdhsa_user_sgpr_kernarg_segment_ptr 1
		.amdhsa_user_sgpr_dispatch_id 0
		.amdhsa_user_sgpr_flat_scratch_init 0
		.amdhsa_user_sgpr_kernarg_preload_length 0
		.amdhsa_user_sgpr_kernarg_preload_offset 0
		.amdhsa_user_sgpr_private_segment_size 0
		.amdhsa_uses_dynamic_stack 0
		.amdhsa_system_sgpr_private_segment_wavefront_offset 0
		.amdhsa_system_sgpr_workgroup_id_x 1
		.amdhsa_system_sgpr_workgroup_id_y 0
		.amdhsa_system_sgpr_workgroup_id_z 0
		.amdhsa_system_sgpr_workgroup_info 0
		.amdhsa_system_vgpr_workitem_id 0
		.amdhsa_next_free_vgpr 1
		.amdhsa_next_free_sgpr 0
		.amdhsa_accum_offset 4
		.amdhsa_reserve_vcc 0
		.amdhsa_reserve_flat_scratch 0
		.amdhsa_float_round_mode_32 0
		.amdhsa_float_round_mode_16_64 0
		.amdhsa_float_denorm_mode_32 3
		.amdhsa_float_denorm_mode_16_64 3
		.amdhsa_dx10_clamp 1
		.amdhsa_ieee_mode 1
		.amdhsa_fp16_overflow 0
		.amdhsa_tg_split 0
		.amdhsa_exception_fp_ieee_invalid_op 0
		.amdhsa_exception_fp_denorm_src 0
		.amdhsa_exception_fp_ieee_div_zero 0
		.amdhsa_exception_fp_ieee_overflow 0
		.amdhsa_exception_fp_ieee_underflow 0
		.amdhsa_exception_fp_ieee_inexact 0
		.amdhsa_exception_int_div_zero 0
	.end_amdhsa_kernel
	.section	.text._ZN7rocprim17ROCPRIM_400000_NS6detail17trampoline_kernelINS0_14default_configENS1_38merge_sort_block_merge_config_selectorIN3c108BFloat16ElEEZZNS1_27merge_sort_block_merge_implIS3_PS6_N6thrust23THRUST_200600_302600_NS10device_ptrIlEEmNSB_4lessIS6_EEEE10hipError_tT0_T1_T2_jT3_P12ihipStream_tbPNSt15iterator_traitsISH_E10value_typeEPNSN_ISI_E10value_typeEPSJ_NS1_7vsmem_tEENKUlT_SH_SI_SJ_E_clIS9_S9_PlSD_EESG_SW_SH_SI_SJ_EUlSW_E1_NS1_11comp_targetILNS1_3genE0ELNS1_11target_archE4294967295ELNS1_3gpuE0ELNS1_3repE0EEENS1_36merge_oddeven_config_static_selectorELNS0_4arch9wavefront6targetE1EEEvSI_,"axG",@progbits,_ZN7rocprim17ROCPRIM_400000_NS6detail17trampoline_kernelINS0_14default_configENS1_38merge_sort_block_merge_config_selectorIN3c108BFloat16ElEEZZNS1_27merge_sort_block_merge_implIS3_PS6_N6thrust23THRUST_200600_302600_NS10device_ptrIlEEmNSB_4lessIS6_EEEE10hipError_tT0_T1_T2_jT3_P12ihipStream_tbPNSt15iterator_traitsISH_E10value_typeEPNSN_ISI_E10value_typeEPSJ_NS1_7vsmem_tEENKUlT_SH_SI_SJ_E_clIS9_S9_PlSD_EESG_SW_SH_SI_SJ_EUlSW_E1_NS1_11comp_targetILNS1_3genE0ELNS1_11target_archE4294967295ELNS1_3gpuE0ELNS1_3repE0EEENS1_36merge_oddeven_config_static_selectorELNS0_4arch9wavefront6targetE1EEEvSI_,comdat
.Lfunc_end1995:
	.size	_ZN7rocprim17ROCPRIM_400000_NS6detail17trampoline_kernelINS0_14default_configENS1_38merge_sort_block_merge_config_selectorIN3c108BFloat16ElEEZZNS1_27merge_sort_block_merge_implIS3_PS6_N6thrust23THRUST_200600_302600_NS10device_ptrIlEEmNSB_4lessIS6_EEEE10hipError_tT0_T1_T2_jT3_P12ihipStream_tbPNSt15iterator_traitsISH_E10value_typeEPNSN_ISI_E10value_typeEPSJ_NS1_7vsmem_tEENKUlT_SH_SI_SJ_E_clIS9_S9_PlSD_EESG_SW_SH_SI_SJ_EUlSW_E1_NS1_11comp_targetILNS1_3genE0ELNS1_11target_archE4294967295ELNS1_3gpuE0ELNS1_3repE0EEENS1_36merge_oddeven_config_static_selectorELNS0_4arch9wavefront6targetE1EEEvSI_, .Lfunc_end1995-_ZN7rocprim17ROCPRIM_400000_NS6detail17trampoline_kernelINS0_14default_configENS1_38merge_sort_block_merge_config_selectorIN3c108BFloat16ElEEZZNS1_27merge_sort_block_merge_implIS3_PS6_N6thrust23THRUST_200600_302600_NS10device_ptrIlEEmNSB_4lessIS6_EEEE10hipError_tT0_T1_T2_jT3_P12ihipStream_tbPNSt15iterator_traitsISH_E10value_typeEPNSN_ISI_E10value_typeEPSJ_NS1_7vsmem_tEENKUlT_SH_SI_SJ_E_clIS9_S9_PlSD_EESG_SW_SH_SI_SJ_EUlSW_E1_NS1_11comp_targetILNS1_3genE0ELNS1_11target_archE4294967295ELNS1_3gpuE0ELNS1_3repE0EEENS1_36merge_oddeven_config_static_selectorELNS0_4arch9wavefront6targetE1EEEvSI_
                                        ; -- End function
	.section	.AMDGPU.csdata,"",@progbits
; Kernel info:
; codeLenInByte = 0
; NumSgprs: 4
; NumVgprs: 0
; NumAgprs: 0
; TotalNumVgprs: 0
; ScratchSize: 0
; MemoryBound: 0
; FloatMode: 240
; IeeeMode: 1
; LDSByteSize: 0 bytes/workgroup (compile time only)
; SGPRBlocks: 0
; VGPRBlocks: 0
; NumSGPRsForWavesPerEU: 4
; NumVGPRsForWavesPerEU: 1
; AccumOffset: 4
; Occupancy: 8
; WaveLimiterHint : 0
; COMPUTE_PGM_RSRC2:SCRATCH_EN: 0
; COMPUTE_PGM_RSRC2:USER_SGPR: 6
; COMPUTE_PGM_RSRC2:TRAP_HANDLER: 0
; COMPUTE_PGM_RSRC2:TGID_X_EN: 1
; COMPUTE_PGM_RSRC2:TGID_Y_EN: 0
; COMPUTE_PGM_RSRC2:TGID_Z_EN: 0
; COMPUTE_PGM_RSRC2:TIDIG_COMP_CNT: 0
; COMPUTE_PGM_RSRC3_GFX90A:ACCUM_OFFSET: 0
; COMPUTE_PGM_RSRC3_GFX90A:TG_SPLIT: 0
	.section	.text._ZN7rocprim17ROCPRIM_400000_NS6detail17trampoline_kernelINS0_14default_configENS1_38merge_sort_block_merge_config_selectorIN3c108BFloat16ElEEZZNS1_27merge_sort_block_merge_implIS3_PS6_N6thrust23THRUST_200600_302600_NS10device_ptrIlEEmNSB_4lessIS6_EEEE10hipError_tT0_T1_T2_jT3_P12ihipStream_tbPNSt15iterator_traitsISH_E10value_typeEPNSN_ISI_E10value_typeEPSJ_NS1_7vsmem_tEENKUlT_SH_SI_SJ_E_clIS9_S9_PlSD_EESG_SW_SH_SI_SJ_EUlSW_E1_NS1_11comp_targetILNS1_3genE10ELNS1_11target_archE1201ELNS1_3gpuE5ELNS1_3repE0EEENS1_36merge_oddeven_config_static_selectorELNS0_4arch9wavefront6targetE1EEEvSI_,"axG",@progbits,_ZN7rocprim17ROCPRIM_400000_NS6detail17trampoline_kernelINS0_14default_configENS1_38merge_sort_block_merge_config_selectorIN3c108BFloat16ElEEZZNS1_27merge_sort_block_merge_implIS3_PS6_N6thrust23THRUST_200600_302600_NS10device_ptrIlEEmNSB_4lessIS6_EEEE10hipError_tT0_T1_T2_jT3_P12ihipStream_tbPNSt15iterator_traitsISH_E10value_typeEPNSN_ISI_E10value_typeEPSJ_NS1_7vsmem_tEENKUlT_SH_SI_SJ_E_clIS9_S9_PlSD_EESG_SW_SH_SI_SJ_EUlSW_E1_NS1_11comp_targetILNS1_3genE10ELNS1_11target_archE1201ELNS1_3gpuE5ELNS1_3repE0EEENS1_36merge_oddeven_config_static_selectorELNS0_4arch9wavefront6targetE1EEEvSI_,comdat
	.protected	_ZN7rocprim17ROCPRIM_400000_NS6detail17trampoline_kernelINS0_14default_configENS1_38merge_sort_block_merge_config_selectorIN3c108BFloat16ElEEZZNS1_27merge_sort_block_merge_implIS3_PS6_N6thrust23THRUST_200600_302600_NS10device_ptrIlEEmNSB_4lessIS6_EEEE10hipError_tT0_T1_T2_jT3_P12ihipStream_tbPNSt15iterator_traitsISH_E10value_typeEPNSN_ISI_E10value_typeEPSJ_NS1_7vsmem_tEENKUlT_SH_SI_SJ_E_clIS9_S9_PlSD_EESG_SW_SH_SI_SJ_EUlSW_E1_NS1_11comp_targetILNS1_3genE10ELNS1_11target_archE1201ELNS1_3gpuE5ELNS1_3repE0EEENS1_36merge_oddeven_config_static_selectorELNS0_4arch9wavefront6targetE1EEEvSI_ ; -- Begin function _ZN7rocprim17ROCPRIM_400000_NS6detail17trampoline_kernelINS0_14default_configENS1_38merge_sort_block_merge_config_selectorIN3c108BFloat16ElEEZZNS1_27merge_sort_block_merge_implIS3_PS6_N6thrust23THRUST_200600_302600_NS10device_ptrIlEEmNSB_4lessIS6_EEEE10hipError_tT0_T1_T2_jT3_P12ihipStream_tbPNSt15iterator_traitsISH_E10value_typeEPNSN_ISI_E10value_typeEPSJ_NS1_7vsmem_tEENKUlT_SH_SI_SJ_E_clIS9_S9_PlSD_EESG_SW_SH_SI_SJ_EUlSW_E1_NS1_11comp_targetILNS1_3genE10ELNS1_11target_archE1201ELNS1_3gpuE5ELNS1_3repE0EEENS1_36merge_oddeven_config_static_selectorELNS0_4arch9wavefront6targetE1EEEvSI_
	.globl	_ZN7rocprim17ROCPRIM_400000_NS6detail17trampoline_kernelINS0_14default_configENS1_38merge_sort_block_merge_config_selectorIN3c108BFloat16ElEEZZNS1_27merge_sort_block_merge_implIS3_PS6_N6thrust23THRUST_200600_302600_NS10device_ptrIlEEmNSB_4lessIS6_EEEE10hipError_tT0_T1_T2_jT3_P12ihipStream_tbPNSt15iterator_traitsISH_E10value_typeEPNSN_ISI_E10value_typeEPSJ_NS1_7vsmem_tEENKUlT_SH_SI_SJ_E_clIS9_S9_PlSD_EESG_SW_SH_SI_SJ_EUlSW_E1_NS1_11comp_targetILNS1_3genE10ELNS1_11target_archE1201ELNS1_3gpuE5ELNS1_3repE0EEENS1_36merge_oddeven_config_static_selectorELNS0_4arch9wavefront6targetE1EEEvSI_
	.p2align	8
	.type	_ZN7rocprim17ROCPRIM_400000_NS6detail17trampoline_kernelINS0_14default_configENS1_38merge_sort_block_merge_config_selectorIN3c108BFloat16ElEEZZNS1_27merge_sort_block_merge_implIS3_PS6_N6thrust23THRUST_200600_302600_NS10device_ptrIlEEmNSB_4lessIS6_EEEE10hipError_tT0_T1_T2_jT3_P12ihipStream_tbPNSt15iterator_traitsISH_E10value_typeEPNSN_ISI_E10value_typeEPSJ_NS1_7vsmem_tEENKUlT_SH_SI_SJ_E_clIS9_S9_PlSD_EESG_SW_SH_SI_SJ_EUlSW_E1_NS1_11comp_targetILNS1_3genE10ELNS1_11target_archE1201ELNS1_3gpuE5ELNS1_3repE0EEENS1_36merge_oddeven_config_static_selectorELNS0_4arch9wavefront6targetE1EEEvSI_,@function
_ZN7rocprim17ROCPRIM_400000_NS6detail17trampoline_kernelINS0_14default_configENS1_38merge_sort_block_merge_config_selectorIN3c108BFloat16ElEEZZNS1_27merge_sort_block_merge_implIS3_PS6_N6thrust23THRUST_200600_302600_NS10device_ptrIlEEmNSB_4lessIS6_EEEE10hipError_tT0_T1_T2_jT3_P12ihipStream_tbPNSt15iterator_traitsISH_E10value_typeEPNSN_ISI_E10value_typeEPSJ_NS1_7vsmem_tEENKUlT_SH_SI_SJ_E_clIS9_S9_PlSD_EESG_SW_SH_SI_SJ_EUlSW_E1_NS1_11comp_targetILNS1_3genE10ELNS1_11target_archE1201ELNS1_3gpuE5ELNS1_3repE0EEENS1_36merge_oddeven_config_static_selectorELNS0_4arch9wavefront6targetE1EEEvSI_: ; @_ZN7rocprim17ROCPRIM_400000_NS6detail17trampoline_kernelINS0_14default_configENS1_38merge_sort_block_merge_config_selectorIN3c108BFloat16ElEEZZNS1_27merge_sort_block_merge_implIS3_PS6_N6thrust23THRUST_200600_302600_NS10device_ptrIlEEmNSB_4lessIS6_EEEE10hipError_tT0_T1_T2_jT3_P12ihipStream_tbPNSt15iterator_traitsISH_E10value_typeEPNSN_ISI_E10value_typeEPSJ_NS1_7vsmem_tEENKUlT_SH_SI_SJ_E_clIS9_S9_PlSD_EESG_SW_SH_SI_SJ_EUlSW_E1_NS1_11comp_targetILNS1_3genE10ELNS1_11target_archE1201ELNS1_3gpuE5ELNS1_3repE0EEENS1_36merge_oddeven_config_static_selectorELNS0_4arch9wavefront6targetE1EEEvSI_
; %bb.0:
	.section	.rodata,"a",@progbits
	.p2align	6, 0x0
	.amdhsa_kernel _ZN7rocprim17ROCPRIM_400000_NS6detail17trampoline_kernelINS0_14default_configENS1_38merge_sort_block_merge_config_selectorIN3c108BFloat16ElEEZZNS1_27merge_sort_block_merge_implIS3_PS6_N6thrust23THRUST_200600_302600_NS10device_ptrIlEEmNSB_4lessIS6_EEEE10hipError_tT0_T1_T2_jT3_P12ihipStream_tbPNSt15iterator_traitsISH_E10value_typeEPNSN_ISI_E10value_typeEPSJ_NS1_7vsmem_tEENKUlT_SH_SI_SJ_E_clIS9_S9_PlSD_EESG_SW_SH_SI_SJ_EUlSW_E1_NS1_11comp_targetILNS1_3genE10ELNS1_11target_archE1201ELNS1_3gpuE5ELNS1_3repE0EEENS1_36merge_oddeven_config_static_selectorELNS0_4arch9wavefront6targetE1EEEvSI_
		.amdhsa_group_segment_fixed_size 0
		.amdhsa_private_segment_fixed_size 0
		.amdhsa_kernarg_size 56
		.amdhsa_user_sgpr_count 6
		.amdhsa_user_sgpr_private_segment_buffer 1
		.amdhsa_user_sgpr_dispatch_ptr 0
		.amdhsa_user_sgpr_queue_ptr 0
		.amdhsa_user_sgpr_kernarg_segment_ptr 1
		.amdhsa_user_sgpr_dispatch_id 0
		.amdhsa_user_sgpr_flat_scratch_init 0
		.amdhsa_user_sgpr_kernarg_preload_length 0
		.amdhsa_user_sgpr_kernarg_preload_offset 0
		.amdhsa_user_sgpr_private_segment_size 0
		.amdhsa_uses_dynamic_stack 0
		.amdhsa_system_sgpr_private_segment_wavefront_offset 0
		.amdhsa_system_sgpr_workgroup_id_x 1
		.amdhsa_system_sgpr_workgroup_id_y 0
		.amdhsa_system_sgpr_workgroup_id_z 0
		.amdhsa_system_sgpr_workgroup_info 0
		.amdhsa_system_vgpr_workitem_id 0
		.amdhsa_next_free_vgpr 1
		.amdhsa_next_free_sgpr 0
		.amdhsa_accum_offset 4
		.amdhsa_reserve_vcc 0
		.amdhsa_reserve_flat_scratch 0
		.amdhsa_float_round_mode_32 0
		.amdhsa_float_round_mode_16_64 0
		.amdhsa_float_denorm_mode_32 3
		.amdhsa_float_denorm_mode_16_64 3
		.amdhsa_dx10_clamp 1
		.amdhsa_ieee_mode 1
		.amdhsa_fp16_overflow 0
		.amdhsa_tg_split 0
		.amdhsa_exception_fp_ieee_invalid_op 0
		.amdhsa_exception_fp_denorm_src 0
		.amdhsa_exception_fp_ieee_div_zero 0
		.amdhsa_exception_fp_ieee_overflow 0
		.amdhsa_exception_fp_ieee_underflow 0
		.amdhsa_exception_fp_ieee_inexact 0
		.amdhsa_exception_int_div_zero 0
	.end_amdhsa_kernel
	.section	.text._ZN7rocprim17ROCPRIM_400000_NS6detail17trampoline_kernelINS0_14default_configENS1_38merge_sort_block_merge_config_selectorIN3c108BFloat16ElEEZZNS1_27merge_sort_block_merge_implIS3_PS6_N6thrust23THRUST_200600_302600_NS10device_ptrIlEEmNSB_4lessIS6_EEEE10hipError_tT0_T1_T2_jT3_P12ihipStream_tbPNSt15iterator_traitsISH_E10value_typeEPNSN_ISI_E10value_typeEPSJ_NS1_7vsmem_tEENKUlT_SH_SI_SJ_E_clIS9_S9_PlSD_EESG_SW_SH_SI_SJ_EUlSW_E1_NS1_11comp_targetILNS1_3genE10ELNS1_11target_archE1201ELNS1_3gpuE5ELNS1_3repE0EEENS1_36merge_oddeven_config_static_selectorELNS0_4arch9wavefront6targetE1EEEvSI_,"axG",@progbits,_ZN7rocprim17ROCPRIM_400000_NS6detail17trampoline_kernelINS0_14default_configENS1_38merge_sort_block_merge_config_selectorIN3c108BFloat16ElEEZZNS1_27merge_sort_block_merge_implIS3_PS6_N6thrust23THRUST_200600_302600_NS10device_ptrIlEEmNSB_4lessIS6_EEEE10hipError_tT0_T1_T2_jT3_P12ihipStream_tbPNSt15iterator_traitsISH_E10value_typeEPNSN_ISI_E10value_typeEPSJ_NS1_7vsmem_tEENKUlT_SH_SI_SJ_E_clIS9_S9_PlSD_EESG_SW_SH_SI_SJ_EUlSW_E1_NS1_11comp_targetILNS1_3genE10ELNS1_11target_archE1201ELNS1_3gpuE5ELNS1_3repE0EEENS1_36merge_oddeven_config_static_selectorELNS0_4arch9wavefront6targetE1EEEvSI_,comdat
.Lfunc_end1996:
	.size	_ZN7rocprim17ROCPRIM_400000_NS6detail17trampoline_kernelINS0_14default_configENS1_38merge_sort_block_merge_config_selectorIN3c108BFloat16ElEEZZNS1_27merge_sort_block_merge_implIS3_PS6_N6thrust23THRUST_200600_302600_NS10device_ptrIlEEmNSB_4lessIS6_EEEE10hipError_tT0_T1_T2_jT3_P12ihipStream_tbPNSt15iterator_traitsISH_E10value_typeEPNSN_ISI_E10value_typeEPSJ_NS1_7vsmem_tEENKUlT_SH_SI_SJ_E_clIS9_S9_PlSD_EESG_SW_SH_SI_SJ_EUlSW_E1_NS1_11comp_targetILNS1_3genE10ELNS1_11target_archE1201ELNS1_3gpuE5ELNS1_3repE0EEENS1_36merge_oddeven_config_static_selectorELNS0_4arch9wavefront6targetE1EEEvSI_, .Lfunc_end1996-_ZN7rocprim17ROCPRIM_400000_NS6detail17trampoline_kernelINS0_14default_configENS1_38merge_sort_block_merge_config_selectorIN3c108BFloat16ElEEZZNS1_27merge_sort_block_merge_implIS3_PS6_N6thrust23THRUST_200600_302600_NS10device_ptrIlEEmNSB_4lessIS6_EEEE10hipError_tT0_T1_T2_jT3_P12ihipStream_tbPNSt15iterator_traitsISH_E10value_typeEPNSN_ISI_E10value_typeEPSJ_NS1_7vsmem_tEENKUlT_SH_SI_SJ_E_clIS9_S9_PlSD_EESG_SW_SH_SI_SJ_EUlSW_E1_NS1_11comp_targetILNS1_3genE10ELNS1_11target_archE1201ELNS1_3gpuE5ELNS1_3repE0EEENS1_36merge_oddeven_config_static_selectorELNS0_4arch9wavefront6targetE1EEEvSI_
                                        ; -- End function
	.section	.AMDGPU.csdata,"",@progbits
; Kernel info:
; codeLenInByte = 0
; NumSgprs: 4
; NumVgprs: 0
; NumAgprs: 0
; TotalNumVgprs: 0
; ScratchSize: 0
; MemoryBound: 0
; FloatMode: 240
; IeeeMode: 1
; LDSByteSize: 0 bytes/workgroup (compile time only)
; SGPRBlocks: 0
; VGPRBlocks: 0
; NumSGPRsForWavesPerEU: 4
; NumVGPRsForWavesPerEU: 1
; AccumOffset: 4
; Occupancy: 8
; WaveLimiterHint : 0
; COMPUTE_PGM_RSRC2:SCRATCH_EN: 0
; COMPUTE_PGM_RSRC2:USER_SGPR: 6
; COMPUTE_PGM_RSRC2:TRAP_HANDLER: 0
; COMPUTE_PGM_RSRC2:TGID_X_EN: 1
; COMPUTE_PGM_RSRC2:TGID_Y_EN: 0
; COMPUTE_PGM_RSRC2:TGID_Z_EN: 0
; COMPUTE_PGM_RSRC2:TIDIG_COMP_CNT: 0
; COMPUTE_PGM_RSRC3_GFX90A:ACCUM_OFFSET: 0
; COMPUTE_PGM_RSRC3_GFX90A:TG_SPLIT: 0
	.section	.text._ZN7rocprim17ROCPRIM_400000_NS6detail17trampoline_kernelINS0_14default_configENS1_38merge_sort_block_merge_config_selectorIN3c108BFloat16ElEEZZNS1_27merge_sort_block_merge_implIS3_PS6_N6thrust23THRUST_200600_302600_NS10device_ptrIlEEmNSB_4lessIS6_EEEE10hipError_tT0_T1_T2_jT3_P12ihipStream_tbPNSt15iterator_traitsISH_E10value_typeEPNSN_ISI_E10value_typeEPSJ_NS1_7vsmem_tEENKUlT_SH_SI_SJ_E_clIS9_S9_PlSD_EESG_SW_SH_SI_SJ_EUlSW_E1_NS1_11comp_targetILNS1_3genE5ELNS1_11target_archE942ELNS1_3gpuE9ELNS1_3repE0EEENS1_36merge_oddeven_config_static_selectorELNS0_4arch9wavefront6targetE1EEEvSI_,"axG",@progbits,_ZN7rocprim17ROCPRIM_400000_NS6detail17trampoline_kernelINS0_14default_configENS1_38merge_sort_block_merge_config_selectorIN3c108BFloat16ElEEZZNS1_27merge_sort_block_merge_implIS3_PS6_N6thrust23THRUST_200600_302600_NS10device_ptrIlEEmNSB_4lessIS6_EEEE10hipError_tT0_T1_T2_jT3_P12ihipStream_tbPNSt15iterator_traitsISH_E10value_typeEPNSN_ISI_E10value_typeEPSJ_NS1_7vsmem_tEENKUlT_SH_SI_SJ_E_clIS9_S9_PlSD_EESG_SW_SH_SI_SJ_EUlSW_E1_NS1_11comp_targetILNS1_3genE5ELNS1_11target_archE942ELNS1_3gpuE9ELNS1_3repE0EEENS1_36merge_oddeven_config_static_selectorELNS0_4arch9wavefront6targetE1EEEvSI_,comdat
	.protected	_ZN7rocprim17ROCPRIM_400000_NS6detail17trampoline_kernelINS0_14default_configENS1_38merge_sort_block_merge_config_selectorIN3c108BFloat16ElEEZZNS1_27merge_sort_block_merge_implIS3_PS6_N6thrust23THRUST_200600_302600_NS10device_ptrIlEEmNSB_4lessIS6_EEEE10hipError_tT0_T1_T2_jT3_P12ihipStream_tbPNSt15iterator_traitsISH_E10value_typeEPNSN_ISI_E10value_typeEPSJ_NS1_7vsmem_tEENKUlT_SH_SI_SJ_E_clIS9_S9_PlSD_EESG_SW_SH_SI_SJ_EUlSW_E1_NS1_11comp_targetILNS1_3genE5ELNS1_11target_archE942ELNS1_3gpuE9ELNS1_3repE0EEENS1_36merge_oddeven_config_static_selectorELNS0_4arch9wavefront6targetE1EEEvSI_ ; -- Begin function _ZN7rocprim17ROCPRIM_400000_NS6detail17trampoline_kernelINS0_14default_configENS1_38merge_sort_block_merge_config_selectorIN3c108BFloat16ElEEZZNS1_27merge_sort_block_merge_implIS3_PS6_N6thrust23THRUST_200600_302600_NS10device_ptrIlEEmNSB_4lessIS6_EEEE10hipError_tT0_T1_T2_jT3_P12ihipStream_tbPNSt15iterator_traitsISH_E10value_typeEPNSN_ISI_E10value_typeEPSJ_NS1_7vsmem_tEENKUlT_SH_SI_SJ_E_clIS9_S9_PlSD_EESG_SW_SH_SI_SJ_EUlSW_E1_NS1_11comp_targetILNS1_3genE5ELNS1_11target_archE942ELNS1_3gpuE9ELNS1_3repE0EEENS1_36merge_oddeven_config_static_selectorELNS0_4arch9wavefront6targetE1EEEvSI_
	.globl	_ZN7rocprim17ROCPRIM_400000_NS6detail17trampoline_kernelINS0_14default_configENS1_38merge_sort_block_merge_config_selectorIN3c108BFloat16ElEEZZNS1_27merge_sort_block_merge_implIS3_PS6_N6thrust23THRUST_200600_302600_NS10device_ptrIlEEmNSB_4lessIS6_EEEE10hipError_tT0_T1_T2_jT3_P12ihipStream_tbPNSt15iterator_traitsISH_E10value_typeEPNSN_ISI_E10value_typeEPSJ_NS1_7vsmem_tEENKUlT_SH_SI_SJ_E_clIS9_S9_PlSD_EESG_SW_SH_SI_SJ_EUlSW_E1_NS1_11comp_targetILNS1_3genE5ELNS1_11target_archE942ELNS1_3gpuE9ELNS1_3repE0EEENS1_36merge_oddeven_config_static_selectorELNS0_4arch9wavefront6targetE1EEEvSI_
	.p2align	8
	.type	_ZN7rocprim17ROCPRIM_400000_NS6detail17trampoline_kernelINS0_14default_configENS1_38merge_sort_block_merge_config_selectorIN3c108BFloat16ElEEZZNS1_27merge_sort_block_merge_implIS3_PS6_N6thrust23THRUST_200600_302600_NS10device_ptrIlEEmNSB_4lessIS6_EEEE10hipError_tT0_T1_T2_jT3_P12ihipStream_tbPNSt15iterator_traitsISH_E10value_typeEPNSN_ISI_E10value_typeEPSJ_NS1_7vsmem_tEENKUlT_SH_SI_SJ_E_clIS9_S9_PlSD_EESG_SW_SH_SI_SJ_EUlSW_E1_NS1_11comp_targetILNS1_3genE5ELNS1_11target_archE942ELNS1_3gpuE9ELNS1_3repE0EEENS1_36merge_oddeven_config_static_selectorELNS0_4arch9wavefront6targetE1EEEvSI_,@function
_ZN7rocprim17ROCPRIM_400000_NS6detail17trampoline_kernelINS0_14default_configENS1_38merge_sort_block_merge_config_selectorIN3c108BFloat16ElEEZZNS1_27merge_sort_block_merge_implIS3_PS6_N6thrust23THRUST_200600_302600_NS10device_ptrIlEEmNSB_4lessIS6_EEEE10hipError_tT0_T1_T2_jT3_P12ihipStream_tbPNSt15iterator_traitsISH_E10value_typeEPNSN_ISI_E10value_typeEPSJ_NS1_7vsmem_tEENKUlT_SH_SI_SJ_E_clIS9_S9_PlSD_EESG_SW_SH_SI_SJ_EUlSW_E1_NS1_11comp_targetILNS1_3genE5ELNS1_11target_archE942ELNS1_3gpuE9ELNS1_3repE0EEENS1_36merge_oddeven_config_static_selectorELNS0_4arch9wavefront6targetE1EEEvSI_: ; @_ZN7rocprim17ROCPRIM_400000_NS6detail17trampoline_kernelINS0_14default_configENS1_38merge_sort_block_merge_config_selectorIN3c108BFloat16ElEEZZNS1_27merge_sort_block_merge_implIS3_PS6_N6thrust23THRUST_200600_302600_NS10device_ptrIlEEmNSB_4lessIS6_EEEE10hipError_tT0_T1_T2_jT3_P12ihipStream_tbPNSt15iterator_traitsISH_E10value_typeEPNSN_ISI_E10value_typeEPSJ_NS1_7vsmem_tEENKUlT_SH_SI_SJ_E_clIS9_S9_PlSD_EESG_SW_SH_SI_SJ_EUlSW_E1_NS1_11comp_targetILNS1_3genE5ELNS1_11target_archE942ELNS1_3gpuE9ELNS1_3repE0EEENS1_36merge_oddeven_config_static_selectorELNS0_4arch9wavefront6targetE1EEEvSI_
; %bb.0:
	.section	.rodata,"a",@progbits
	.p2align	6, 0x0
	.amdhsa_kernel _ZN7rocprim17ROCPRIM_400000_NS6detail17trampoline_kernelINS0_14default_configENS1_38merge_sort_block_merge_config_selectorIN3c108BFloat16ElEEZZNS1_27merge_sort_block_merge_implIS3_PS6_N6thrust23THRUST_200600_302600_NS10device_ptrIlEEmNSB_4lessIS6_EEEE10hipError_tT0_T1_T2_jT3_P12ihipStream_tbPNSt15iterator_traitsISH_E10value_typeEPNSN_ISI_E10value_typeEPSJ_NS1_7vsmem_tEENKUlT_SH_SI_SJ_E_clIS9_S9_PlSD_EESG_SW_SH_SI_SJ_EUlSW_E1_NS1_11comp_targetILNS1_3genE5ELNS1_11target_archE942ELNS1_3gpuE9ELNS1_3repE0EEENS1_36merge_oddeven_config_static_selectorELNS0_4arch9wavefront6targetE1EEEvSI_
		.amdhsa_group_segment_fixed_size 0
		.amdhsa_private_segment_fixed_size 0
		.amdhsa_kernarg_size 56
		.amdhsa_user_sgpr_count 6
		.amdhsa_user_sgpr_private_segment_buffer 1
		.amdhsa_user_sgpr_dispatch_ptr 0
		.amdhsa_user_sgpr_queue_ptr 0
		.amdhsa_user_sgpr_kernarg_segment_ptr 1
		.amdhsa_user_sgpr_dispatch_id 0
		.amdhsa_user_sgpr_flat_scratch_init 0
		.amdhsa_user_sgpr_kernarg_preload_length 0
		.amdhsa_user_sgpr_kernarg_preload_offset 0
		.amdhsa_user_sgpr_private_segment_size 0
		.amdhsa_uses_dynamic_stack 0
		.amdhsa_system_sgpr_private_segment_wavefront_offset 0
		.amdhsa_system_sgpr_workgroup_id_x 1
		.amdhsa_system_sgpr_workgroup_id_y 0
		.amdhsa_system_sgpr_workgroup_id_z 0
		.amdhsa_system_sgpr_workgroup_info 0
		.amdhsa_system_vgpr_workitem_id 0
		.amdhsa_next_free_vgpr 1
		.amdhsa_next_free_sgpr 0
		.amdhsa_accum_offset 4
		.amdhsa_reserve_vcc 0
		.amdhsa_reserve_flat_scratch 0
		.amdhsa_float_round_mode_32 0
		.amdhsa_float_round_mode_16_64 0
		.amdhsa_float_denorm_mode_32 3
		.amdhsa_float_denorm_mode_16_64 3
		.amdhsa_dx10_clamp 1
		.amdhsa_ieee_mode 1
		.amdhsa_fp16_overflow 0
		.amdhsa_tg_split 0
		.amdhsa_exception_fp_ieee_invalid_op 0
		.amdhsa_exception_fp_denorm_src 0
		.amdhsa_exception_fp_ieee_div_zero 0
		.amdhsa_exception_fp_ieee_overflow 0
		.amdhsa_exception_fp_ieee_underflow 0
		.amdhsa_exception_fp_ieee_inexact 0
		.amdhsa_exception_int_div_zero 0
	.end_amdhsa_kernel
	.section	.text._ZN7rocprim17ROCPRIM_400000_NS6detail17trampoline_kernelINS0_14default_configENS1_38merge_sort_block_merge_config_selectorIN3c108BFloat16ElEEZZNS1_27merge_sort_block_merge_implIS3_PS6_N6thrust23THRUST_200600_302600_NS10device_ptrIlEEmNSB_4lessIS6_EEEE10hipError_tT0_T1_T2_jT3_P12ihipStream_tbPNSt15iterator_traitsISH_E10value_typeEPNSN_ISI_E10value_typeEPSJ_NS1_7vsmem_tEENKUlT_SH_SI_SJ_E_clIS9_S9_PlSD_EESG_SW_SH_SI_SJ_EUlSW_E1_NS1_11comp_targetILNS1_3genE5ELNS1_11target_archE942ELNS1_3gpuE9ELNS1_3repE0EEENS1_36merge_oddeven_config_static_selectorELNS0_4arch9wavefront6targetE1EEEvSI_,"axG",@progbits,_ZN7rocprim17ROCPRIM_400000_NS6detail17trampoline_kernelINS0_14default_configENS1_38merge_sort_block_merge_config_selectorIN3c108BFloat16ElEEZZNS1_27merge_sort_block_merge_implIS3_PS6_N6thrust23THRUST_200600_302600_NS10device_ptrIlEEmNSB_4lessIS6_EEEE10hipError_tT0_T1_T2_jT3_P12ihipStream_tbPNSt15iterator_traitsISH_E10value_typeEPNSN_ISI_E10value_typeEPSJ_NS1_7vsmem_tEENKUlT_SH_SI_SJ_E_clIS9_S9_PlSD_EESG_SW_SH_SI_SJ_EUlSW_E1_NS1_11comp_targetILNS1_3genE5ELNS1_11target_archE942ELNS1_3gpuE9ELNS1_3repE0EEENS1_36merge_oddeven_config_static_selectorELNS0_4arch9wavefront6targetE1EEEvSI_,comdat
.Lfunc_end1997:
	.size	_ZN7rocprim17ROCPRIM_400000_NS6detail17trampoline_kernelINS0_14default_configENS1_38merge_sort_block_merge_config_selectorIN3c108BFloat16ElEEZZNS1_27merge_sort_block_merge_implIS3_PS6_N6thrust23THRUST_200600_302600_NS10device_ptrIlEEmNSB_4lessIS6_EEEE10hipError_tT0_T1_T2_jT3_P12ihipStream_tbPNSt15iterator_traitsISH_E10value_typeEPNSN_ISI_E10value_typeEPSJ_NS1_7vsmem_tEENKUlT_SH_SI_SJ_E_clIS9_S9_PlSD_EESG_SW_SH_SI_SJ_EUlSW_E1_NS1_11comp_targetILNS1_3genE5ELNS1_11target_archE942ELNS1_3gpuE9ELNS1_3repE0EEENS1_36merge_oddeven_config_static_selectorELNS0_4arch9wavefront6targetE1EEEvSI_, .Lfunc_end1997-_ZN7rocprim17ROCPRIM_400000_NS6detail17trampoline_kernelINS0_14default_configENS1_38merge_sort_block_merge_config_selectorIN3c108BFloat16ElEEZZNS1_27merge_sort_block_merge_implIS3_PS6_N6thrust23THRUST_200600_302600_NS10device_ptrIlEEmNSB_4lessIS6_EEEE10hipError_tT0_T1_T2_jT3_P12ihipStream_tbPNSt15iterator_traitsISH_E10value_typeEPNSN_ISI_E10value_typeEPSJ_NS1_7vsmem_tEENKUlT_SH_SI_SJ_E_clIS9_S9_PlSD_EESG_SW_SH_SI_SJ_EUlSW_E1_NS1_11comp_targetILNS1_3genE5ELNS1_11target_archE942ELNS1_3gpuE9ELNS1_3repE0EEENS1_36merge_oddeven_config_static_selectorELNS0_4arch9wavefront6targetE1EEEvSI_
                                        ; -- End function
	.section	.AMDGPU.csdata,"",@progbits
; Kernel info:
; codeLenInByte = 0
; NumSgprs: 4
; NumVgprs: 0
; NumAgprs: 0
; TotalNumVgprs: 0
; ScratchSize: 0
; MemoryBound: 0
; FloatMode: 240
; IeeeMode: 1
; LDSByteSize: 0 bytes/workgroup (compile time only)
; SGPRBlocks: 0
; VGPRBlocks: 0
; NumSGPRsForWavesPerEU: 4
; NumVGPRsForWavesPerEU: 1
; AccumOffset: 4
; Occupancy: 8
; WaveLimiterHint : 0
; COMPUTE_PGM_RSRC2:SCRATCH_EN: 0
; COMPUTE_PGM_RSRC2:USER_SGPR: 6
; COMPUTE_PGM_RSRC2:TRAP_HANDLER: 0
; COMPUTE_PGM_RSRC2:TGID_X_EN: 1
; COMPUTE_PGM_RSRC2:TGID_Y_EN: 0
; COMPUTE_PGM_RSRC2:TGID_Z_EN: 0
; COMPUTE_PGM_RSRC2:TIDIG_COMP_CNT: 0
; COMPUTE_PGM_RSRC3_GFX90A:ACCUM_OFFSET: 0
; COMPUTE_PGM_RSRC3_GFX90A:TG_SPLIT: 0
	.section	.text._ZN7rocprim17ROCPRIM_400000_NS6detail17trampoline_kernelINS0_14default_configENS1_38merge_sort_block_merge_config_selectorIN3c108BFloat16ElEEZZNS1_27merge_sort_block_merge_implIS3_PS6_N6thrust23THRUST_200600_302600_NS10device_ptrIlEEmNSB_4lessIS6_EEEE10hipError_tT0_T1_T2_jT3_P12ihipStream_tbPNSt15iterator_traitsISH_E10value_typeEPNSN_ISI_E10value_typeEPSJ_NS1_7vsmem_tEENKUlT_SH_SI_SJ_E_clIS9_S9_PlSD_EESG_SW_SH_SI_SJ_EUlSW_E1_NS1_11comp_targetILNS1_3genE4ELNS1_11target_archE910ELNS1_3gpuE8ELNS1_3repE0EEENS1_36merge_oddeven_config_static_selectorELNS0_4arch9wavefront6targetE1EEEvSI_,"axG",@progbits,_ZN7rocprim17ROCPRIM_400000_NS6detail17trampoline_kernelINS0_14default_configENS1_38merge_sort_block_merge_config_selectorIN3c108BFloat16ElEEZZNS1_27merge_sort_block_merge_implIS3_PS6_N6thrust23THRUST_200600_302600_NS10device_ptrIlEEmNSB_4lessIS6_EEEE10hipError_tT0_T1_T2_jT3_P12ihipStream_tbPNSt15iterator_traitsISH_E10value_typeEPNSN_ISI_E10value_typeEPSJ_NS1_7vsmem_tEENKUlT_SH_SI_SJ_E_clIS9_S9_PlSD_EESG_SW_SH_SI_SJ_EUlSW_E1_NS1_11comp_targetILNS1_3genE4ELNS1_11target_archE910ELNS1_3gpuE8ELNS1_3repE0EEENS1_36merge_oddeven_config_static_selectorELNS0_4arch9wavefront6targetE1EEEvSI_,comdat
	.protected	_ZN7rocprim17ROCPRIM_400000_NS6detail17trampoline_kernelINS0_14default_configENS1_38merge_sort_block_merge_config_selectorIN3c108BFloat16ElEEZZNS1_27merge_sort_block_merge_implIS3_PS6_N6thrust23THRUST_200600_302600_NS10device_ptrIlEEmNSB_4lessIS6_EEEE10hipError_tT0_T1_T2_jT3_P12ihipStream_tbPNSt15iterator_traitsISH_E10value_typeEPNSN_ISI_E10value_typeEPSJ_NS1_7vsmem_tEENKUlT_SH_SI_SJ_E_clIS9_S9_PlSD_EESG_SW_SH_SI_SJ_EUlSW_E1_NS1_11comp_targetILNS1_3genE4ELNS1_11target_archE910ELNS1_3gpuE8ELNS1_3repE0EEENS1_36merge_oddeven_config_static_selectorELNS0_4arch9wavefront6targetE1EEEvSI_ ; -- Begin function _ZN7rocprim17ROCPRIM_400000_NS6detail17trampoline_kernelINS0_14default_configENS1_38merge_sort_block_merge_config_selectorIN3c108BFloat16ElEEZZNS1_27merge_sort_block_merge_implIS3_PS6_N6thrust23THRUST_200600_302600_NS10device_ptrIlEEmNSB_4lessIS6_EEEE10hipError_tT0_T1_T2_jT3_P12ihipStream_tbPNSt15iterator_traitsISH_E10value_typeEPNSN_ISI_E10value_typeEPSJ_NS1_7vsmem_tEENKUlT_SH_SI_SJ_E_clIS9_S9_PlSD_EESG_SW_SH_SI_SJ_EUlSW_E1_NS1_11comp_targetILNS1_3genE4ELNS1_11target_archE910ELNS1_3gpuE8ELNS1_3repE0EEENS1_36merge_oddeven_config_static_selectorELNS0_4arch9wavefront6targetE1EEEvSI_
	.globl	_ZN7rocprim17ROCPRIM_400000_NS6detail17trampoline_kernelINS0_14default_configENS1_38merge_sort_block_merge_config_selectorIN3c108BFloat16ElEEZZNS1_27merge_sort_block_merge_implIS3_PS6_N6thrust23THRUST_200600_302600_NS10device_ptrIlEEmNSB_4lessIS6_EEEE10hipError_tT0_T1_T2_jT3_P12ihipStream_tbPNSt15iterator_traitsISH_E10value_typeEPNSN_ISI_E10value_typeEPSJ_NS1_7vsmem_tEENKUlT_SH_SI_SJ_E_clIS9_S9_PlSD_EESG_SW_SH_SI_SJ_EUlSW_E1_NS1_11comp_targetILNS1_3genE4ELNS1_11target_archE910ELNS1_3gpuE8ELNS1_3repE0EEENS1_36merge_oddeven_config_static_selectorELNS0_4arch9wavefront6targetE1EEEvSI_
	.p2align	8
	.type	_ZN7rocprim17ROCPRIM_400000_NS6detail17trampoline_kernelINS0_14default_configENS1_38merge_sort_block_merge_config_selectorIN3c108BFloat16ElEEZZNS1_27merge_sort_block_merge_implIS3_PS6_N6thrust23THRUST_200600_302600_NS10device_ptrIlEEmNSB_4lessIS6_EEEE10hipError_tT0_T1_T2_jT3_P12ihipStream_tbPNSt15iterator_traitsISH_E10value_typeEPNSN_ISI_E10value_typeEPSJ_NS1_7vsmem_tEENKUlT_SH_SI_SJ_E_clIS9_S9_PlSD_EESG_SW_SH_SI_SJ_EUlSW_E1_NS1_11comp_targetILNS1_3genE4ELNS1_11target_archE910ELNS1_3gpuE8ELNS1_3repE0EEENS1_36merge_oddeven_config_static_selectorELNS0_4arch9wavefront6targetE1EEEvSI_,@function
_ZN7rocprim17ROCPRIM_400000_NS6detail17trampoline_kernelINS0_14default_configENS1_38merge_sort_block_merge_config_selectorIN3c108BFloat16ElEEZZNS1_27merge_sort_block_merge_implIS3_PS6_N6thrust23THRUST_200600_302600_NS10device_ptrIlEEmNSB_4lessIS6_EEEE10hipError_tT0_T1_T2_jT3_P12ihipStream_tbPNSt15iterator_traitsISH_E10value_typeEPNSN_ISI_E10value_typeEPSJ_NS1_7vsmem_tEENKUlT_SH_SI_SJ_E_clIS9_S9_PlSD_EESG_SW_SH_SI_SJ_EUlSW_E1_NS1_11comp_targetILNS1_3genE4ELNS1_11target_archE910ELNS1_3gpuE8ELNS1_3repE0EEENS1_36merge_oddeven_config_static_selectorELNS0_4arch9wavefront6targetE1EEEvSI_: ; @_ZN7rocprim17ROCPRIM_400000_NS6detail17trampoline_kernelINS0_14default_configENS1_38merge_sort_block_merge_config_selectorIN3c108BFloat16ElEEZZNS1_27merge_sort_block_merge_implIS3_PS6_N6thrust23THRUST_200600_302600_NS10device_ptrIlEEmNSB_4lessIS6_EEEE10hipError_tT0_T1_T2_jT3_P12ihipStream_tbPNSt15iterator_traitsISH_E10value_typeEPNSN_ISI_E10value_typeEPSJ_NS1_7vsmem_tEENKUlT_SH_SI_SJ_E_clIS9_S9_PlSD_EESG_SW_SH_SI_SJ_EUlSW_E1_NS1_11comp_targetILNS1_3genE4ELNS1_11target_archE910ELNS1_3gpuE8ELNS1_3repE0EEENS1_36merge_oddeven_config_static_selectorELNS0_4arch9wavefront6targetE1EEEvSI_
; %bb.0:
	s_load_dwordx4 s[8:11], s[4:5], 0x18
	s_waitcnt lgkmcnt(0)
	s_lshr_b32 s2, s10, 8
	s_cmp_lg_u32 s6, s2
	s_cselect_b64 s[0:1], -1, 0
	s_cmp_eq_u32 s6, s2
	s_cselect_b64 s[16:17], -1, 0
	s_lshl_b32 s18, s6, 8
	s_sub_i32 s2, s10, s18
	v_cmp_gt_u32_e64 s[2:3], s2, v0
	s_or_b64 s[0:1], s[0:1], s[2:3]
	s_and_saveexec_b64 s[12:13], s[0:1]
	s_cbranch_execz .LBB1998_26
; %bb.1:
	s_load_dwordx4 s[12:15], s[4:5], 0x0
	s_load_dwordx2 s[0:1], s[4:5], 0x10
	s_mov_b32 s19, 0
	s_lshl_b64 s[20:21], s[18:19], 1
	v_lshlrev_b32_e32 v4, 3, v0
	s_waitcnt lgkmcnt(0)
	s_add_u32 s20, s12, s20
	s_addc_u32 s21, s13, s21
	s_lshl_b64 s[22:23], s[18:19], 3
	s_add_u32 s0, s0, s22
	s_addc_u32 s1, s1, s23
	v_lshlrev_b32_e32 v1, 1, v0
	global_load_dwordx2 v[2:3], v4, s[0:1]
	global_load_ushort v6, v1, s[20:21]
	s_load_dword s20, s[4:5], 0x28
	v_add_u32_e32 v4, s18, v0
	s_waitcnt lgkmcnt(0)
	s_lshr_b32 s0, s20, 8
	s_sub_i32 s1, 0, s0
	s_and_b32 s1, s6, s1
	s_and_b32 s0, s1, s0
	s_lshl_b32 s21, s1, 8
	s_sub_i32 s6, 0, s20
	s_cmp_eq_u32 s0, 0
	s_cselect_b64 s[0:1], -1, 0
	s_and_b64 s[4:5], s[0:1], exec
	s_cselect_b32 s11, s20, s6
	s_add_i32 s11, s11, s21
	s_cmp_lt_u32 s11, s10
	s_cbranch_scc1 .LBB1998_6
; %bb.2:
	s_and_b64 vcc, exec, s[16:17]
	s_cbranch_vccz .LBB1998_7
; %bb.3:
	v_cmp_gt_u32_e32 vcc, s10, v4
	s_mov_b64 s[6:7], 0
	s_mov_b64 s[4:5], 0
                                        ; implicit-def: $vgpr0_vgpr1
	s_and_saveexec_b64 s[18:19], vcc
	s_cbranch_execz .LBB1998_5
; %bb.4:
	v_mov_b32_e32 v5, 0
	v_lshlrev_b64 v[0:1], 3, v[4:5]
	v_mov_b32_e32 v7, s9
	v_add_co_u32_e32 v0, vcc, s8, v0
	v_addc_co_u32_e32 v1, vcc, v7, v1, vcc
	v_lshlrev_b64 v[8:9], 1, v[4:5]
	v_mov_b32_e32 v5, s15
	v_add_co_u32_e32 v8, vcc, s14, v8
	s_mov_b64 s[4:5], exec
	v_addc_co_u32_e32 v9, vcc, v5, v9, vcc
	s_waitcnt vmcnt(0)
	global_store_short v[8:9], v6, off
.LBB1998_5:
	s_or_b64 exec, exec, s[18:19]
	s_and_b64 vcc, exec, s[6:7]
	s_cbranch_vccnz .LBB1998_8
	s_branch .LBB1998_9
.LBB1998_6:
	s_mov_b64 s[4:5], 0
                                        ; implicit-def: $vgpr0_vgpr1
	s_cbranch_execnz .LBB1998_10
	s_branch .LBB1998_24
.LBB1998_7:
	s_mov_b64 s[4:5], 0
                                        ; implicit-def: $vgpr0_vgpr1
	s_cbranch_execz .LBB1998_9
.LBB1998_8:
	v_mov_b32_e32 v5, 0
	v_lshlrev_b64 v[0:1], 1, v[4:5]
	v_mov_b32_e32 v7, s15
	v_add_co_u32_e32 v0, vcc, s14, v0
	v_addc_co_u32_e32 v1, vcc, v7, v1, vcc
	s_waitcnt vmcnt(0)
	global_store_short v[0:1], v6, off
	v_lshlrev_b64 v[0:1], 3, v[4:5]
	v_mov_b32_e32 v5, s9
	v_add_co_u32_e32 v0, vcc, s8, v0
	v_addc_co_u32_e32 v1, vcc, v5, v1, vcc
	s_or_b64 s[4:5], s[4:5], exec
.LBB1998_9:
	s_branch .LBB1998_24
.LBB1998_10:
	s_min_u32 s18, s11, s10
	s_add_i32 s6, s18, s20
	s_min_u32 s10, s6, s10
	s_min_u32 s6, s21, s18
	s_add_i32 s21, s21, s18
	v_subrev_u32_e32 v0, s21, v4
	v_add_u32_e32 v4, s6, v0
	s_and_b64 vcc, exec, s[16:17]
	s_cbranch_vccz .LBB1998_18
; %bb.11:
                                        ; implicit-def: $vgpr0_vgpr1
	s_and_saveexec_b64 s[6:7], s[2:3]
	s_cbranch_execz .LBB1998_17
; %bb.12:
	s_cmp_ge_u32 s11, s10
	v_mov_b32_e32 v0, s18
	s_cbranch_scc1 .LBB1998_16
; %bb.13:
	s_waitcnt vmcnt(0)
	v_lshlrev_b32_e32 v1, 16, v6
	s_mov_b64 s[2:3], 0
	v_mov_b32_e32 v5, s10
	v_mov_b32_e32 v0, s18
.LBB1998_14:                            ; =>This Inner Loop Header: Depth=1
	v_add_u32_e32 v7, v0, v5
	v_and_b32_e32 v8, -2, v7
	global_load_ushort v8, v8, s[12:13]
	v_lshrrev_b32_e32 v7, 1, v7
	v_add_u32_e32 v9, 1, v7
	s_waitcnt vmcnt(0)
	v_lshlrev_b32_e32 v8, 16, v8
	v_cmp_lt_f32_e32 vcc, v8, v1
	v_cndmask_b32_e64 v10, 0, 1, vcc
	v_cmp_nlt_f32_e32 vcc, v1, v8
	v_cndmask_b32_e64 v8, 0, 1, vcc
	v_cndmask_b32_e64 v8, v8, v10, s[0:1]
	v_and_b32_e32 v8, 1, v8
	v_cmp_eq_u32_e32 vcc, 1, v8
	v_cndmask_b32_e32 v5, v7, v5, vcc
	v_cndmask_b32_e32 v0, v0, v9, vcc
	v_cmp_ge_u32_e32 vcc, v0, v5
	s_or_b64 s[2:3], vcc, s[2:3]
	s_andn2_b64 exec, exec, s[2:3]
	s_cbranch_execnz .LBB1998_14
; %bb.15:
	s_or_b64 exec, exec, s[2:3]
.LBB1998_16:
	v_add_u32_e32 v0, v0, v4
	v_mov_b32_e32 v1, 0
	v_lshlrev_b64 v[8:9], 1, v[0:1]
	v_mov_b32_e32 v5, s15
	v_add_co_u32_e32 v8, vcc, s14, v8
	v_addc_co_u32_e32 v9, vcc, v5, v9, vcc
	v_lshlrev_b64 v[0:1], 3, v[0:1]
	v_mov_b32_e32 v5, s9
	v_add_co_u32_e32 v0, vcc, s8, v0
	s_waitcnt vmcnt(0)
	global_store_short v[8:9], v6, off
	v_addc_co_u32_e32 v1, vcc, v5, v1, vcc
	s_or_b64 s[4:5], s[4:5], exec
.LBB1998_17:
	s_or_b64 exec, exec, s[6:7]
	s_branch .LBB1998_24
.LBB1998_18:
                                        ; implicit-def: $vgpr0_vgpr1
	s_cbranch_execz .LBB1998_24
; %bb.19:
	s_cmp_ge_u32 s11, s10
	v_mov_b32_e32 v0, s18
	s_cbranch_scc1 .LBB1998_23
; %bb.20:
	s_waitcnt vmcnt(0)
	v_lshlrev_b32_e32 v1, 16, v6
	s_mov_b64 s[2:3], 0
	v_mov_b32_e32 v5, s10
	v_mov_b32_e32 v0, s18
.LBB1998_21:                            ; =>This Inner Loop Header: Depth=1
	v_add_u32_e32 v7, v0, v5
	v_and_b32_e32 v8, -2, v7
	global_load_ushort v8, v8, s[12:13]
	v_lshrrev_b32_e32 v7, 1, v7
	v_add_u32_e32 v9, 1, v7
	s_waitcnt vmcnt(0)
	v_lshlrev_b32_e32 v8, 16, v8
	v_cmp_lt_f32_e32 vcc, v8, v1
	v_cndmask_b32_e64 v10, 0, 1, vcc
	v_cmp_nlt_f32_e32 vcc, v1, v8
	v_cndmask_b32_e64 v8, 0, 1, vcc
	v_cndmask_b32_e64 v8, v8, v10, s[0:1]
	v_and_b32_e32 v8, 1, v8
	v_cmp_eq_u32_e32 vcc, 1, v8
	v_cndmask_b32_e32 v5, v7, v5, vcc
	v_cndmask_b32_e32 v0, v0, v9, vcc
	v_cmp_ge_u32_e32 vcc, v0, v5
	s_or_b64 s[2:3], vcc, s[2:3]
	s_andn2_b64 exec, exec, s[2:3]
	s_cbranch_execnz .LBB1998_21
; %bb.22:
	s_or_b64 exec, exec, s[2:3]
.LBB1998_23:
	v_add_u32_e32 v0, v0, v4
	v_mov_b32_e32 v1, 0
	v_lshlrev_b64 v[4:5], 1, v[0:1]
	v_mov_b32_e32 v7, s15
	v_add_co_u32_e32 v4, vcc, s14, v4
	v_addc_co_u32_e32 v5, vcc, v7, v5, vcc
	v_lshlrev_b64 v[0:1], 3, v[0:1]
	s_waitcnt vmcnt(0)
	global_store_short v[4:5], v6, off
	v_mov_b32_e32 v4, s9
	v_add_co_u32_e32 v0, vcc, s8, v0
	v_addc_co_u32_e32 v1, vcc, v4, v1, vcc
	s_mov_b64 s[4:5], -1
.LBB1998_24:
	s_and_b64 exec, exec, s[4:5]
	s_cbranch_execz .LBB1998_26
; %bb.25:
	s_waitcnt vmcnt(1)
	global_store_dwordx2 v[0:1], v[2:3], off
.LBB1998_26:
	s_endpgm
	.section	.rodata,"a",@progbits
	.p2align	6, 0x0
	.amdhsa_kernel _ZN7rocprim17ROCPRIM_400000_NS6detail17trampoline_kernelINS0_14default_configENS1_38merge_sort_block_merge_config_selectorIN3c108BFloat16ElEEZZNS1_27merge_sort_block_merge_implIS3_PS6_N6thrust23THRUST_200600_302600_NS10device_ptrIlEEmNSB_4lessIS6_EEEE10hipError_tT0_T1_T2_jT3_P12ihipStream_tbPNSt15iterator_traitsISH_E10value_typeEPNSN_ISI_E10value_typeEPSJ_NS1_7vsmem_tEENKUlT_SH_SI_SJ_E_clIS9_S9_PlSD_EESG_SW_SH_SI_SJ_EUlSW_E1_NS1_11comp_targetILNS1_3genE4ELNS1_11target_archE910ELNS1_3gpuE8ELNS1_3repE0EEENS1_36merge_oddeven_config_static_selectorELNS0_4arch9wavefront6targetE1EEEvSI_
		.amdhsa_group_segment_fixed_size 0
		.amdhsa_private_segment_fixed_size 0
		.amdhsa_kernarg_size 56
		.amdhsa_user_sgpr_count 6
		.amdhsa_user_sgpr_private_segment_buffer 1
		.amdhsa_user_sgpr_dispatch_ptr 0
		.amdhsa_user_sgpr_queue_ptr 0
		.amdhsa_user_sgpr_kernarg_segment_ptr 1
		.amdhsa_user_sgpr_dispatch_id 0
		.amdhsa_user_sgpr_flat_scratch_init 0
		.amdhsa_user_sgpr_kernarg_preload_length 0
		.amdhsa_user_sgpr_kernarg_preload_offset 0
		.amdhsa_user_sgpr_private_segment_size 0
		.amdhsa_uses_dynamic_stack 0
		.amdhsa_system_sgpr_private_segment_wavefront_offset 0
		.amdhsa_system_sgpr_workgroup_id_x 1
		.amdhsa_system_sgpr_workgroup_id_y 0
		.amdhsa_system_sgpr_workgroup_id_z 0
		.amdhsa_system_sgpr_workgroup_info 0
		.amdhsa_system_vgpr_workitem_id 0
		.amdhsa_next_free_vgpr 11
		.amdhsa_next_free_sgpr 24
		.amdhsa_accum_offset 12
		.amdhsa_reserve_vcc 1
		.amdhsa_reserve_flat_scratch 0
		.amdhsa_float_round_mode_32 0
		.amdhsa_float_round_mode_16_64 0
		.amdhsa_float_denorm_mode_32 3
		.amdhsa_float_denorm_mode_16_64 3
		.amdhsa_dx10_clamp 1
		.amdhsa_ieee_mode 1
		.amdhsa_fp16_overflow 0
		.amdhsa_tg_split 0
		.amdhsa_exception_fp_ieee_invalid_op 0
		.amdhsa_exception_fp_denorm_src 0
		.amdhsa_exception_fp_ieee_div_zero 0
		.amdhsa_exception_fp_ieee_overflow 0
		.amdhsa_exception_fp_ieee_underflow 0
		.amdhsa_exception_fp_ieee_inexact 0
		.amdhsa_exception_int_div_zero 0
	.end_amdhsa_kernel
	.section	.text._ZN7rocprim17ROCPRIM_400000_NS6detail17trampoline_kernelINS0_14default_configENS1_38merge_sort_block_merge_config_selectorIN3c108BFloat16ElEEZZNS1_27merge_sort_block_merge_implIS3_PS6_N6thrust23THRUST_200600_302600_NS10device_ptrIlEEmNSB_4lessIS6_EEEE10hipError_tT0_T1_T2_jT3_P12ihipStream_tbPNSt15iterator_traitsISH_E10value_typeEPNSN_ISI_E10value_typeEPSJ_NS1_7vsmem_tEENKUlT_SH_SI_SJ_E_clIS9_S9_PlSD_EESG_SW_SH_SI_SJ_EUlSW_E1_NS1_11comp_targetILNS1_3genE4ELNS1_11target_archE910ELNS1_3gpuE8ELNS1_3repE0EEENS1_36merge_oddeven_config_static_selectorELNS0_4arch9wavefront6targetE1EEEvSI_,"axG",@progbits,_ZN7rocprim17ROCPRIM_400000_NS6detail17trampoline_kernelINS0_14default_configENS1_38merge_sort_block_merge_config_selectorIN3c108BFloat16ElEEZZNS1_27merge_sort_block_merge_implIS3_PS6_N6thrust23THRUST_200600_302600_NS10device_ptrIlEEmNSB_4lessIS6_EEEE10hipError_tT0_T1_T2_jT3_P12ihipStream_tbPNSt15iterator_traitsISH_E10value_typeEPNSN_ISI_E10value_typeEPSJ_NS1_7vsmem_tEENKUlT_SH_SI_SJ_E_clIS9_S9_PlSD_EESG_SW_SH_SI_SJ_EUlSW_E1_NS1_11comp_targetILNS1_3genE4ELNS1_11target_archE910ELNS1_3gpuE8ELNS1_3repE0EEENS1_36merge_oddeven_config_static_selectorELNS0_4arch9wavefront6targetE1EEEvSI_,comdat
.Lfunc_end1998:
	.size	_ZN7rocprim17ROCPRIM_400000_NS6detail17trampoline_kernelINS0_14default_configENS1_38merge_sort_block_merge_config_selectorIN3c108BFloat16ElEEZZNS1_27merge_sort_block_merge_implIS3_PS6_N6thrust23THRUST_200600_302600_NS10device_ptrIlEEmNSB_4lessIS6_EEEE10hipError_tT0_T1_T2_jT3_P12ihipStream_tbPNSt15iterator_traitsISH_E10value_typeEPNSN_ISI_E10value_typeEPSJ_NS1_7vsmem_tEENKUlT_SH_SI_SJ_E_clIS9_S9_PlSD_EESG_SW_SH_SI_SJ_EUlSW_E1_NS1_11comp_targetILNS1_3genE4ELNS1_11target_archE910ELNS1_3gpuE8ELNS1_3repE0EEENS1_36merge_oddeven_config_static_selectorELNS0_4arch9wavefront6targetE1EEEvSI_, .Lfunc_end1998-_ZN7rocprim17ROCPRIM_400000_NS6detail17trampoline_kernelINS0_14default_configENS1_38merge_sort_block_merge_config_selectorIN3c108BFloat16ElEEZZNS1_27merge_sort_block_merge_implIS3_PS6_N6thrust23THRUST_200600_302600_NS10device_ptrIlEEmNSB_4lessIS6_EEEE10hipError_tT0_T1_T2_jT3_P12ihipStream_tbPNSt15iterator_traitsISH_E10value_typeEPNSN_ISI_E10value_typeEPSJ_NS1_7vsmem_tEENKUlT_SH_SI_SJ_E_clIS9_S9_PlSD_EESG_SW_SH_SI_SJ_EUlSW_E1_NS1_11comp_targetILNS1_3genE4ELNS1_11target_archE910ELNS1_3gpuE8ELNS1_3repE0EEENS1_36merge_oddeven_config_static_selectorELNS0_4arch9wavefront6targetE1EEEvSI_
                                        ; -- End function
	.section	.AMDGPU.csdata,"",@progbits
; Kernel info:
; codeLenInByte = 860
; NumSgprs: 28
; NumVgprs: 11
; NumAgprs: 0
; TotalNumVgprs: 11
; ScratchSize: 0
; MemoryBound: 0
; FloatMode: 240
; IeeeMode: 1
; LDSByteSize: 0 bytes/workgroup (compile time only)
; SGPRBlocks: 3
; VGPRBlocks: 1
; NumSGPRsForWavesPerEU: 28
; NumVGPRsForWavesPerEU: 11
; AccumOffset: 12
; Occupancy: 8
; WaveLimiterHint : 0
; COMPUTE_PGM_RSRC2:SCRATCH_EN: 0
; COMPUTE_PGM_RSRC2:USER_SGPR: 6
; COMPUTE_PGM_RSRC2:TRAP_HANDLER: 0
; COMPUTE_PGM_RSRC2:TGID_X_EN: 1
; COMPUTE_PGM_RSRC2:TGID_Y_EN: 0
; COMPUTE_PGM_RSRC2:TGID_Z_EN: 0
; COMPUTE_PGM_RSRC2:TIDIG_COMP_CNT: 0
; COMPUTE_PGM_RSRC3_GFX90A:ACCUM_OFFSET: 2
; COMPUTE_PGM_RSRC3_GFX90A:TG_SPLIT: 0
	.section	.text._ZN7rocprim17ROCPRIM_400000_NS6detail17trampoline_kernelINS0_14default_configENS1_38merge_sort_block_merge_config_selectorIN3c108BFloat16ElEEZZNS1_27merge_sort_block_merge_implIS3_PS6_N6thrust23THRUST_200600_302600_NS10device_ptrIlEEmNSB_4lessIS6_EEEE10hipError_tT0_T1_T2_jT3_P12ihipStream_tbPNSt15iterator_traitsISH_E10value_typeEPNSN_ISI_E10value_typeEPSJ_NS1_7vsmem_tEENKUlT_SH_SI_SJ_E_clIS9_S9_PlSD_EESG_SW_SH_SI_SJ_EUlSW_E1_NS1_11comp_targetILNS1_3genE3ELNS1_11target_archE908ELNS1_3gpuE7ELNS1_3repE0EEENS1_36merge_oddeven_config_static_selectorELNS0_4arch9wavefront6targetE1EEEvSI_,"axG",@progbits,_ZN7rocprim17ROCPRIM_400000_NS6detail17trampoline_kernelINS0_14default_configENS1_38merge_sort_block_merge_config_selectorIN3c108BFloat16ElEEZZNS1_27merge_sort_block_merge_implIS3_PS6_N6thrust23THRUST_200600_302600_NS10device_ptrIlEEmNSB_4lessIS6_EEEE10hipError_tT0_T1_T2_jT3_P12ihipStream_tbPNSt15iterator_traitsISH_E10value_typeEPNSN_ISI_E10value_typeEPSJ_NS1_7vsmem_tEENKUlT_SH_SI_SJ_E_clIS9_S9_PlSD_EESG_SW_SH_SI_SJ_EUlSW_E1_NS1_11comp_targetILNS1_3genE3ELNS1_11target_archE908ELNS1_3gpuE7ELNS1_3repE0EEENS1_36merge_oddeven_config_static_selectorELNS0_4arch9wavefront6targetE1EEEvSI_,comdat
	.protected	_ZN7rocprim17ROCPRIM_400000_NS6detail17trampoline_kernelINS0_14default_configENS1_38merge_sort_block_merge_config_selectorIN3c108BFloat16ElEEZZNS1_27merge_sort_block_merge_implIS3_PS6_N6thrust23THRUST_200600_302600_NS10device_ptrIlEEmNSB_4lessIS6_EEEE10hipError_tT0_T1_T2_jT3_P12ihipStream_tbPNSt15iterator_traitsISH_E10value_typeEPNSN_ISI_E10value_typeEPSJ_NS1_7vsmem_tEENKUlT_SH_SI_SJ_E_clIS9_S9_PlSD_EESG_SW_SH_SI_SJ_EUlSW_E1_NS1_11comp_targetILNS1_3genE3ELNS1_11target_archE908ELNS1_3gpuE7ELNS1_3repE0EEENS1_36merge_oddeven_config_static_selectorELNS0_4arch9wavefront6targetE1EEEvSI_ ; -- Begin function _ZN7rocprim17ROCPRIM_400000_NS6detail17trampoline_kernelINS0_14default_configENS1_38merge_sort_block_merge_config_selectorIN3c108BFloat16ElEEZZNS1_27merge_sort_block_merge_implIS3_PS6_N6thrust23THRUST_200600_302600_NS10device_ptrIlEEmNSB_4lessIS6_EEEE10hipError_tT0_T1_T2_jT3_P12ihipStream_tbPNSt15iterator_traitsISH_E10value_typeEPNSN_ISI_E10value_typeEPSJ_NS1_7vsmem_tEENKUlT_SH_SI_SJ_E_clIS9_S9_PlSD_EESG_SW_SH_SI_SJ_EUlSW_E1_NS1_11comp_targetILNS1_3genE3ELNS1_11target_archE908ELNS1_3gpuE7ELNS1_3repE0EEENS1_36merge_oddeven_config_static_selectorELNS0_4arch9wavefront6targetE1EEEvSI_
	.globl	_ZN7rocprim17ROCPRIM_400000_NS6detail17trampoline_kernelINS0_14default_configENS1_38merge_sort_block_merge_config_selectorIN3c108BFloat16ElEEZZNS1_27merge_sort_block_merge_implIS3_PS6_N6thrust23THRUST_200600_302600_NS10device_ptrIlEEmNSB_4lessIS6_EEEE10hipError_tT0_T1_T2_jT3_P12ihipStream_tbPNSt15iterator_traitsISH_E10value_typeEPNSN_ISI_E10value_typeEPSJ_NS1_7vsmem_tEENKUlT_SH_SI_SJ_E_clIS9_S9_PlSD_EESG_SW_SH_SI_SJ_EUlSW_E1_NS1_11comp_targetILNS1_3genE3ELNS1_11target_archE908ELNS1_3gpuE7ELNS1_3repE0EEENS1_36merge_oddeven_config_static_selectorELNS0_4arch9wavefront6targetE1EEEvSI_
	.p2align	8
	.type	_ZN7rocprim17ROCPRIM_400000_NS6detail17trampoline_kernelINS0_14default_configENS1_38merge_sort_block_merge_config_selectorIN3c108BFloat16ElEEZZNS1_27merge_sort_block_merge_implIS3_PS6_N6thrust23THRUST_200600_302600_NS10device_ptrIlEEmNSB_4lessIS6_EEEE10hipError_tT0_T1_T2_jT3_P12ihipStream_tbPNSt15iterator_traitsISH_E10value_typeEPNSN_ISI_E10value_typeEPSJ_NS1_7vsmem_tEENKUlT_SH_SI_SJ_E_clIS9_S9_PlSD_EESG_SW_SH_SI_SJ_EUlSW_E1_NS1_11comp_targetILNS1_3genE3ELNS1_11target_archE908ELNS1_3gpuE7ELNS1_3repE0EEENS1_36merge_oddeven_config_static_selectorELNS0_4arch9wavefront6targetE1EEEvSI_,@function
_ZN7rocprim17ROCPRIM_400000_NS6detail17trampoline_kernelINS0_14default_configENS1_38merge_sort_block_merge_config_selectorIN3c108BFloat16ElEEZZNS1_27merge_sort_block_merge_implIS3_PS6_N6thrust23THRUST_200600_302600_NS10device_ptrIlEEmNSB_4lessIS6_EEEE10hipError_tT0_T1_T2_jT3_P12ihipStream_tbPNSt15iterator_traitsISH_E10value_typeEPNSN_ISI_E10value_typeEPSJ_NS1_7vsmem_tEENKUlT_SH_SI_SJ_E_clIS9_S9_PlSD_EESG_SW_SH_SI_SJ_EUlSW_E1_NS1_11comp_targetILNS1_3genE3ELNS1_11target_archE908ELNS1_3gpuE7ELNS1_3repE0EEENS1_36merge_oddeven_config_static_selectorELNS0_4arch9wavefront6targetE1EEEvSI_: ; @_ZN7rocprim17ROCPRIM_400000_NS6detail17trampoline_kernelINS0_14default_configENS1_38merge_sort_block_merge_config_selectorIN3c108BFloat16ElEEZZNS1_27merge_sort_block_merge_implIS3_PS6_N6thrust23THRUST_200600_302600_NS10device_ptrIlEEmNSB_4lessIS6_EEEE10hipError_tT0_T1_T2_jT3_P12ihipStream_tbPNSt15iterator_traitsISH_E10value_typeEPNSN_ISI_E10value_typeEPSJ_NS1_7vsmem_tEENKUlT_SH_SI_SJ_E_clIS9_S9_PlSD_EESG_SW_SH_SI_SJ_EUlSW_E1_NS1_11comp_targetILNS1_3genE3ELNS1_11target_archE908ELNS1_3gpuE7ELNS1_3repE0EEENS1_36merge_oddeven_config_static_selectorELNS0_4arch9wavefront6targetE1EEEvSI_
; %bb.0:
	.section	.rodata,"a",@progbits
	.p2align	6, 0x0
	.amdhsa_kernel _ZN7rocprim17ROCPRIM_400000_NS6detail17trampoline_kernelINS0_14default_configENS1_38merge_sort_block_merge_config_selectorIN3c108BFloat16ElEEZZNS1_27merge_sort_block_merge_implIS3_PS6_N6thrust23THRUST_200600_302600_NS10device_ptrIlEEmNSB_4lessIS6_EEEE10hipError_tT0_T1_T2_jT3_P12ihipStream_tbPNSt15iterator_traitsISH_E10value_typeEPNSN_ISI_E10value_typeEPSJ_NS1_7vsmem_tEENKUlT_SH_SI_SJ_E_clIS9_S9_PlSD_EESG_SW_SH_SI_SJ_EUlSW_E1_NS1_11comp_targetILNS1_3genE3ELNS1_11target_archE908ELNS1_3gpuE7ELNS1_3repE0EEENS1_36merge_oddeven_config_static_selectorELNS0_4arch9wavefront6targetE1EEEvSI_
		.amdhsa_group_segment_fixed_size 0
		.amdhsa_private_segment_fixed_size 0
		.amdhsa_kernarg_size 56
		.amdhsa_user_sgpr_count 6
		.amdhsa_user_sgpr_private_segment_buffer 1
		.amdhsa_user_sgpr_dispatch_ptr 0
		.amdhsa_user_sgpr_queue_ptr 0
		.amdhsa_user_sgpr_kernarg_segment_ptr 1
		.amdhsa_user_sgpr_dispatch_id 0
		.amdhsa_user_sgpr_flat_scratch_init 0
		.amdhsa_user_sgpr_kernarg_preload_length 0
		.amdhsa_user_sgpr_kernarg_preload_offset 0
		.amdhsa_user_sgpr_private_segment_size 0
		.amdhsa_uses_dynamic_stack 0
		.amdhsa_system_sgpr_private_segment_wavefront_offset 0
		.amdhsa_system_sgpr_workgroup_id_x 1
		.amdhsa_system_sgpr_workgroup_id_y 0
		.amdhsa_system_sgpr_workgroup_id_z 0
		.amdhsa_system_sgpr_workgroup_info 0
		.amdhsa_system_vgpr_workitem_id 0
		.amdhsa_next_free_vgpr 1
		.amdhsa_next_free_sgpr 0
		.amdhsa_accum_offset 4
		.amdhsa_reserve_vcc 0
		.amdhsa_reserve_flat_scratch 0
		.amdhsa_float_round_mode_32 0
		.amdhsa_float_round_mode_16_64 0
		.amdhsa_float_denorm_mode_32 3
		.amdhsa_float_denorm_mode_16_64 3
		.amdhsa_dx10_clamp 1
		.amdhsa_ieee_mode 1
		.amdhsa_fp16_overflow 0
		.amdhsa_tg_split 0
		.amdhsa_exception_fp_ieee_invalid_op 0
		.amdhsa_exception_fp_denorm_src 0
		.amdhsa_exception_fp_ieee_div_zero 0
		.amdhsa_exception_fp_ieee_overflow 0
		.amdhsa_exception_fp_ieee_underflow 0
		.amdhsa_exception_fp_ieee_inexact 0
		.amdhsa_exception_int_div_zero 0
	.end_amdhsa_kernel
	.section	.text._ZN7rocprim17ROCPRIM_400000_NS6detail17trampoline_kernelINS0_14default_configENS1_38merge_sort_block_merge_config_selectorIN3c108BFloat16ElEEZZNS1_27merge_sort_block_merge_implIS3_PS6_N6thrust23THRUST_200600_302600_NS10device_ptrIlEEmNSB_4lessIS6_EEEE10hipError_tT0_T1_T2_jT3_P12ihipStream_tbPNSt15iterator_traitsISH_E10value_typeEPNSN_ISI_E10value_typeEPSJ_NS1_7vsmem_tEENKUlT_SH_SI_SJ_E_clIS9_S9_PlSD_EESG_SW_SH_SI_SJ_EUlSW_E1_NS1_11comp_targetILNS1_3genE3ELNS1_11target_archE908ELNS1_3gpuE7ELNS1_3repE0EEENS1_36merge_oddeven_config_static_selectorELNS0_4arch9wavefront6targetE1EEEvSI_,"axG",@progbits,_ZN7rocprim17ROCPRIM_400000_NS6detail17trampoline_kernelINS0_14default_configENS1_38merge_sort_block_merge_config_selectorIN3c108BFloat16ElEEZZNS1_27merge_sort_block_merge_implIS3_PS6_N6thrust23THRUST_200600_302600_NS10device_ptrIlEEmNSB_4lessIS6_EEEE10hipError_tT0_T1_T2_jT3_P12ihipStream_tbPNSt15iterator_traitsISH_E10value_typeEPNSN_ISI_E10value_typeEPSJ_NS1_7vsmem_tEENKUlT_SH_SI_SJ_E_clIS9_S9_PlSD_EESG_SW_SH_SI_SJ_EUlSW_E1_NS1_11comp_targetILNS1_3genE3ELNS1_11target_archE908ELNS1_3gpuE7ELNS1_3repE0EEENS1_36merge_oddeven_config_static_selectorELNS0_4arch9wavefront6targetE1EEEvSI_,comdat
.Lfunc_end1999:
	.size	_ZN7rocprim17ROCPRIM_400000_NS6detail17trampoline_kernelINS0_14default_configENS1_38merge_sort_block_merge_config_selectorIN3c108BFloat16ElEEZZNS1_27merge_sort_block_merge_implIS3_PS6_N6thrust23THRUST_200600_302600_NS10device_ptrIlEEmNSB_4lessIS6_EEEE10hipError_tT0_T1_T2_jT3_P12ihipStream_tbPNSt15iterator_traitsISH_E10value_typeEPNSN_ISI_E10value_typeEPSJ_NS1_7vsmem_tEENKUlT_SH_SI_SJ_E_clIS9_S9_PlSD_EESG_SW_SH_SI_SJ_EUlSW_E1_NS1_11comp_targetILNS1_3genE3ELNS1_11target_archE908ELNS1_3gpuE7ELNS1_3repE0EEENS1_36merge_oddeven_config_static_selectorELNS0_4arch9wavefront6targetE1EEEvSI_, .Lfunc_end1999-_ZN7rocprim17ROCPRIM_400000_NS6detail17trampoline_kernelINS0_14default_configENS1_38merge_sort_block_merge_config_selectorIN3c108BFloat16ElEEZZNS1_27merge_sort_block_merge_implIS3_PS6_N6thrust23THRUST_200600_302600_NS10device_ptrIlEEmNSB_4lessIS6_EEEE10hipError_tT0_T1_T2_jT3_P12ihipStream_tbPNSt15iterator_traitsISH_E10value_typeEPNSN_ISI_E10value_typeEPSJ_NS1_7vsmem_tEENKUlT_SH_SI_SJ_E_clIS9_S9_PlSD_EESG_SW_SH_SI_SJ_EUlSW_E1_NS1_11comp_targetILNS1_3genE3ELNS1_11target_archE908ELNS1_3gpuE7ELNS1_3repE0EEENS1_36merge_oddeven_config_static_selectorELNS0_4arch9wavefront6targetE1EEEvSI_
                                        ; -- End function
	.section	.AMDGPU.csdata,"",@progbits
; Kernel info:
; codeLenInByte = 0
; NumSgprs: 4
; NumVgprs: 0
; NumAgprs: 0
; TotalNumVgprs: 0
; ScratchSize: 0
; MemoryBound: 0
; FloatMode: 240
; IeeeMode: 1
; LDSByteSize: 0 bytes/workgroup (compile time only)
; SGPRBlocks: 0
; VGPRBlocks: 0
; NumSGPRsForWavesPerEU: 4
; NumVGPRsForWavesPerEU: 1
; AccumOffset: 4
; Occupancy: 8
; WaveLimiterHint : 0
; COMPUTE_PGM_RSRC2:SCRATCH_EN: 0
; COMPUTE_PGM_RSRC2:USER_SGPR: 6
; COMPUTE_PGM_RSRC2:TRAP_HANDLER: 0
; COMPUTE_PGM_RSRC2:TGID_X_EN: 1
; COMPUTE_PGM_RSRC2:TGID_Y_EN: 0
; COMPUTE_PGM_RSRC2:TGID_Z_EN: 0
; COMPUTE_PGM_RSRC2:TIDIG_COMP_CNT: 0
; COMPUTE_PGM_RSRC3_GFX90A:ACCUM_OFFSET: 0
; COMPUTE_PGM_RSRC3_GFX90A:TG_SPLIT: 0
	.section	.text._ZN7rocprim17ROCPRIM_400000_NS6detail17trampoline_kernelINS0_14default_configENS1_38merge_sort_block_merge_config_selectorIN3c108BFloat16ElEEZZNS1_27merge_sort_block_merge_implIS3_PS6_N6thrust23THRUST_200600_302600_NS10device_ptrIlEEmNSB_4lessIS6_EEEE10hipError_tT0_T1_T2_jT3_P12ihipStream_tbPNSt15iterator_traitsISH_E10value_typeEPNSN_ISI_E10value_typeEPSJ_NS1_7vsmem_tEENKUlT_SH_SI_SJ_E_clIS9_S9_PlSD_EESG_SW_SH_SI_SJ_EUlSW_E1_NS1_11comp_targetILNS1_3genE2ELNS1_11target_archE906ELNS1_3gpuE6ELNS1_3repE0EEENS1_36merge_oddeven_config_static_selectorELNS0_4arch9wavefront6targetE1EEEvSI_,"axG",@progbits,_ZN7rocprim17ROCPRIM_400000_NS6detail17trampoline_kernelINS0_14default_configENS1_38merge_sort_block_merge_config_selectorIN3c108BFloat16ElEEZZNS1_27merge_sort_block_merge_implIS3_PS6_N6thrust23THRUST_200600_302600_NS10device_ptrIlEEmNSB_4lessIS6_EEEE10hipError_tT0_T1_T2_jT3_P12ihipStream_tbPNSt15iterator_traitsISH_E10value_typeEPNSN_ISI_E10value_typeEPSJ_NS1_7vsmem_tEENKUlT_SH_SI_SJ_E_clIS9_S9_PlSD_EESG_SW_SH_SI_SJ_EUlSW_E1_NS1_11comp_targetILNS1_3genE2ELNS1_11target_archE906ELNS1_3gpuE6ELNS1_3repE0EEENS1_36merge_oddeven_config_static_selectorELNS0_4arch9wavefront6targetE1EEEvSI_,comdat
	.protected	_ZN7rocprim17ROCPRIM_400000_NS6detail17trampoline_kernelINS0_14default_configENS1_38merge_sort_block_merge_config_selectorIN3c108BFloat16ElEEZZNS1_27merge_sort_block_merge_implIS3_PS6_N6thrust23THRUST_200600_302600_NS10device_ptrIlEEmNSB_4lessIS6_EEEE10hipError_tT0_T1_T2_jT3_P12ihipStream_tbPNSt15iterator_traitsISH_E10value_typeEPNSN_ISI_E10value_typeEPSJ_NS1_7vsmem_tEENKUlT_SH_SI_SJ_E_clIS9_S9_PlSD_EESG_SW_SH_SI_SJ_EUlSW_E1_NS1_11comp_targetILNS1_3genE2ELNS1_11target_archE906ELNS1_3gpuE6ELNS1_3repE0EEENS1_36merge_oddeven_config_static_selectorELNS0_4arch9wavefront6targetE1EEEvSI_ ; -- Begin function _ZN7rocprim17ROCPRIM_400000_NS6detail17trampoline_kernelINS0_14default_configENS1_38merge_sort_block_merge_config_selectorIN3c108BFloat16ElEEZZNS1_27merge_sort_block_merge_implIS3_PS6_N6thrust23THRUST_200600_302600_NS10device_ptrIlEEmNSB_4lessIS6_EEEE10hipError_tT0_T1_T2_jT3_P12ihipStream_tbPNSt15iterator_traitsISH_E10value_typeEPNSN_ISI_E10value_typeEPSJ_NS1_7vsmem_tEENKUlT_SH_SI_SJ_E_clIS9_S9_PlSD_EESG_SW_SH_SI_SJ_EUlSW_E1_NS1_11comp_targetILNS1_3genE2ELNS1_11target_archE906ELNS1_3gpuE6ELNS1_3repE0EEENS1_36merge_oddeven_config_static_selectorELNS0_4arch9wavefront6targetE1EEEvSI_
	.globl	_ZN7rocprim17ROCPRIM_400000_NS6detail17trampoline_kernelINS0_14default_configENS1_38merge_sort_block_merge_config_selectorIN3c108BFloat16ElEEZZNS1_27merge_sort_block_merge_implIS3_PS6_N6thrust23THRUST_200600_302600_NS10device_ptrIlEEmNSB_4lessIS6_EEEE10hipError_tT0_T1_T2_jT3_P12ihipStream_tbPNSt15iterator_traitsISH_E10value_typeEPNSN_ISI_E10value_typeEPSJ_NS1_7vsmem_tEENKUlT_SH_SI_SJ_E_clIS9_S9_PlSD_EESG_SW_SH_SI_SJ_EUlSW_E1_NS1_11comp_targetILNS1_3genE2ELNS1_11target_archE906ELNS1_3gpuE6ELNS1_3repE0EEENS1_36merge_oddeven_config_static_selectorELNS0_4arch9wavefront6targetE1EEEvSI_
	.p2align	8
	.type	_ZN7rocprim17ROCPRIM_400000_NS6detail17trampoline_kernelINS0_14default_configENS1_38merge_sort_block_merge_config_selectorIN3c108BFloat16ElEEZZNS1_27merge_sort_block_merge_implIS3_PS6_N6thrust23THRUST_200600_302600_NS10device_ptrIlEEmNSB_4lessIS6_EEEE10hipError_tT0_T1_T2_jT3_P12ihipStream_tbPNSt15iterator_traitsISH_E10value_typeEPNSN_ISI_E10value_typeEPSJ_NS1_7vsmem_tEENKUlT_SH_SI_SJ_E_clIS9_S9_PlSD_EESG_SW_SH_SI_SJ_EUlSW_E1_NS1_11comp_targetILNS1_3genE2ELNS1_11target_archE906ELNS1_3gpuE6ELNS1_3repE0EEENS1_36merge_oddeven_config_static_selectorELNS0_4arch9wavefront6targetE1EEEvSI_,@function
_ZN7rocprim17ROCPRIM_400000_NS6detail17trampoline_kernelINS0_14default_configENS1_38merge_sort_block_merge_config_selectorIN3c108BFloat16ElEEZZNS1_27merge_sort_block_merge_implIS3_PS6_N6thrust23THRUST_200600_302600_NS10device_ptrIlEEmNSB_4lessIS6_EEEE10hipError_tT0_T1_T2_jT3_P12ihipStream_tbPNSt15iterator_traitsISH_E10value_typeEPNSN_ISI_E10value_typeEPSJ_NS1_7vsmem_tEENKUlT_SH_SI_SJ_E_clIS9_S9_PlSD_EESG_SW_SH_SI_SJ_EUlSW_E1_NS1_11comp_targetILNS1_3genE2ELNS1_11target_archE906ELNS1_3gpuE6ELNS1_3repE0EEENS1_36merge_oddeven_config_static_selectorELNS0_4arch9wavefront6targetE1EEEvSI_: ; @_ZN7rocprim17ROCPRIM_400000_NS6detail17trampoline_kernelINS0_14default_configENS1_38merge_sort_block_merge_config_selectorIN3c108BFloat16ElEEZZNS1_27merge_sort_block_merge_implIS3_PS6_N6thrust23THRUST_200600_302600_NS10device_ptrIlEEmNSB_4lessIS6_EEEE10hipError_tT0_T1_T2_jT3_P12ihipStream_tbPNSt15iterator_traitsISH_E10value_typeEPNSN_ISI_E10value_typeEPSJ_NS1_7vsmem_tEENKUlT_SH_SI_SJ_E_clIS9_S9_PlSD_EESG_SW_SH_SI_SJ_EUlSW_E1_NS1_11comp_targetILNS1_3genE2ELNS1_11target_archE906ELNS1_3gpuE6ELNS1_3repE0EEENS1_36merge_oddeven_config_static_selectorELNS0_4arch9wavefront6targetE1EEEvSI_
; %bb.0:
	.section	.rodata,"a",@progbits
	.p2align	6, 0x0
	.amdhsa_kernel _ZN7rocprim17ROCPRIM_400000_NS6detail17trampoline_kernelINS0_14default_configENS1_38merge_sort_block_merge_config_selectorIN3c108BFloat16ElEEZZNS1_27merge_sort_block_merge_implIS3_PS6_N6thrust23THRUST_200600_302600_NS10device_ptrIlEEmNSB_4lessIS6_EEEE10hipError_tT0_T1_T2_jT3_P12ihipStream_tbPNSt15iterator_traitsISH_E10value_typeEPNSN_ISI_E10value_typeEPSJ_NS1_7vsmem_tEENKUlT_SH_SI_SJ_E_clIS9_S9_PlSD_EESG_SW_SH_SI_SJ_EUlSW_E1_NS1_11comp_targetILNS1_3genE2ELNS1_11target_archE906ELNS1_3gpuE6ELNS1_3repE0EEENS1_36merge_oddeven_config_static_selectorELNS0_4arch9wavefront6targetE1EEEvSI_
		.amdhsa_group_segment_fixed_size 0
		.amdhsa_private_segment_fixed_size 0
		.amdhsa_kernarg_size 56
		.amdhsa_user_sgpr_count 6
		.amdhsa_user_sgpr_private_segment_buffer 1
		.amdhsa_user_sgpr_dispatch_ptr 0
		.amdhsa_user_sgpr_queue_ptr 0
		.amdhsa_user_sgpr_kernarg_segment_ptr 1
		.amdhsa_user_sgpr_dispatch_id 0
		.amdhsa_user_sgpr_flat_scratch_init 0
		.amdhsa_user_sgpr_kernarg_preload_length 0
		.amdhsa_user_sgpr_kernarg_preload_offset 0
		.amdhsa_user_sgpr_private_segment_size 0
		.amdhsa_uses_dynamic_stack 0
		.amdhsa_system_sgpr_private_segment_wavefront_offset 0
		.amdhsa_system_sgpr_workgroup_id_x 1
		.amdhsa_system_sgpr_workgroup_id_y 0
		.amdhsa_system_sgpr_workgroup_id_z 0
		.amdhsa_system_sgpr_workgroup_info 0
		.amdhsa_system_vgpr_workitem_id 0
		.amdhsa_next_free_vgpr 1
		.amdhsa_next_free_sgpr 0
		.amdhsa_accum_offset 4
		.amdhsa_reserve_vcc 0
		.amdhsa_reserve_flat_scratch 0
		.amdhsa_float_round_mode_32 0
		.amdhsa_float_round_mode_16_64 0
		.amdhsa_float_denorm_mode_32 3
		.amdhsa_float_denorm_mode_16_64 3
		.amdhsa_dx10_clamp 1
		.amdhsa_ieee_mode 1
		.amdhsa_fp16_overflow 0
		.amdhsa_tg_split 0
		.amdhsa_exception_fp_ieee_invalid_op 0
		.amdhsa_exception_fp_denorm_src 0
		.amdhsa_exception_fp_ieee_div_zero 0
		.amdhsa_exception_fp_ieee_overflow 0
		.amdhsa_exception_fp_ieee_underflow 0
		.amdhsa_exception_fp_ieee_inexact 0
		.amdhsa_exception_int_div_zero 0
	.end_amdhsa_kernel
	.section	.text._ZN7rocprim17ROCPRIM_400000_NS6detail17trampoline_kernelINS0_14default_configENS1_38merge_sort_block_merge_config_selectorIN3c108BFloat16ElEEZZNS1_27merge_sort_block_merge_implIS3_PS6_N6thrust23THRUST_200600_302600_NS10device_ptrIlEEmNSB_4lessIS6_EEEE10hipError_tT0_T1_T2_jT3_P12ihipStream_tbPNSt15iterator_traitsISH_E10value_typeEPNSN_ISI_E10value_typeEPSJ_NS1_7vsmem_tEENKUlT_SH_SI_SJ_E_clIS9_S9_PlSD_EESG_SW_SH_SI_SJ_EUlSW_E1_NS1_11comp_targetILNS1_3genE2ELNS1_11target_archE906ELNS1_3gpuE6ELNS1_3repE0EEENS1_36merge_oddeven_config_static_selectorELNS0_4arch9wavefront6targetE1EEEvSI_,"axG",@progbits,_ZN7rocprim17ROCPRIM_400000_NS6detail17trampoline_kernelINS0_14default_configENS1_38merge_sort_block_merge_config_selectorIN3c108BFloat16ElEEZZNS1_27merge_sort_block_merge_implIS3_PS6_N6thrust23THRUST_200600_302600_NS10device_ptrIlEEmNSB_4lessIS6_EEEE10hipError_tT0_T1_T2_jT3_P12ihipStream_tbPNSt15iterator_traitsISH_E10value_typeEPNSN_ISI_E10value_typeEPSJ_NS1_7vsmem_tEENKUlT_SH_SI_SJ_E_clIS9_S9_PlSD_EESG_SW_SH_SI_SJ_EUlSW_E1_NS1_11comp_targetILNS1_3genE2ELNS1_11target_archE906ELNS1_3gpuE6ELNS1_3repE0EEENS1_36merge_oddeven_config_static_selectorELNS0_4arch9wavefront6targetE1EEEvSI_,comdat
.Lfunc_end2000:
	.size	_ZN7rocprim17ROCPRIM_400000_NS6detail17trampoline_kernelINS0_14default_configENS1_38merge_sort_block_merge_config_selectorIN3c108BFloat16ElEEZZNS1_27merge_sort_block_merge_implIS3_PS6_N6thrust23THRUST_200600_302600_NS10device_ptrIlEEmNSB_4lessIS6_EEEE10hipError_tT0_T1_T2_jT3_P12ihipStream_tbPNSt15iterator_traitsISH_E10value_typeEPNSN_ISI_E10value_typeEPSJ_NS1_7vsmem_tEENKUlT_SH_SI_SJ_E_clIS9_S9_PlSD_EESG_SW_SH_SI_SJ_EUlSW_E1_NS1_11comp_targetILNS1_3genE2ELNS1_11target_archE906ELNS1_3gpuE6ELNS1_3repE0EEENS1_36merge_oddeven_config_static_selectorELNS0_4arch9wavefront6targetE1EEEvSI_, .Lfunc_end2000-_ZN7rocprim17ROCPRIM_400000_NS6detail17trampoline_kernelINS0_14default_configENS1_38merge_sort_block_merge_config_selectorIN3c108BFloat16ElEEZZNS1_27merge_sort_block_merge_implIS3_PS6_N6thrust23THRUST_200600_302600_NS10device_ptrIlEEmNSB_4lessIS6_EEEE10hipError_tT0_T1_T2_jT3_P12ihipStream_tbPNSt15iterator_traitsISH_E10value_typeEPNSN_ISI_E10value_typeEPSJ_NS1_7vsmem_tEENKUlT_SH_SI_SJ_E_clIS9_S9_PlSD_EESG_SW_SH_SI_SJ_EUlSW_E1_NS1_11comp_targetILNS1_3genE2ELNS1_11target_archE906ELNS1_3gpuE6ELNS1_3repE0EEENS1_36merge_oddeven_config_static_selectorELNS0_4arch9wavefront6targetE1EEEvSI_
                                        ; -- End function
	.section	.AMDGPU.csdata,"",@progbits
; Kernel info:
; codeLenInByte = 0
; NumSgprs: 4
; NumVgprs: 0
; NumAgprs: 0
; TotalNumVgprs: 0
; ScratchSize: 0
; MemoryBound: 0
; FloatMode: 240
; IeeeMode: 1
; LDSByteSize: 0 bytes/workgroup (compile time only)
; SGPRBlocks: 0
; VGPRBlocks: 0
; NumSGPRsForWavesPerEU: 4
; NumVGPRsForWavesPerEU: 1
; AccumOffset: 4
; Occupancy: 8
; WaveLimiterHint : 0
; COMPUTE_PGM_RSRC2:SCRATCH_EN: 0
; COMPUTE_PGM_RSRC2:USER_SGPR: 6
; COMPUTE_PGM_RSRC2:TRAP_HANDLER: 0
; COMPUTE_PGM_RSRC2:TGID_X_EN: 1
; COMPUTE_PGM_RSRC2:TGID_Y_EN: 0
; COMPUTE_PGM_RSRC2:TGID_Z_EN: 0
; COMPUTE_PGM_RSRC2:TIDIG_COMP_CNT: 0
; COMPUTE_PGM_RSRC3_GFX90A:ACCUM_OFFSET: 0
; COMPUTE_PGM_RSRC3_GFX90A:TG_SPLIT: 0
	.section	.text._ZN7rocprim17ROCPRIM_400000_NS6detail17trampoline_kernelINS0_14default_configENS1_38merge_sort_block_merge_config_selectorIN3c108BFloat16ElEEZZNS1_27merge_sort_block_merge_implIS3_PS6_N6thrust23THRUST_200600_302600_NS10device_ptrIlEEmNSB_4lessIS6_EEEE10hipError_tT0_T1_T2_jT3_P12ihipStream_tbPNSt15iterator_traitsISH_E10value_typeEPNSN_ISI_E10value_typeEPSJ_NS1_7vsmem_tEENKUlT_SH_SI_SJ_E_clIS9_S9_PlSD_EESG_SW_SH_SI_SJ_EUlSW_E1_NS1_11comp_targetILNS1_3genE9ELNS1_11target_archE1100ELNS1_3gpuE3ELNS1_3repE0EEENS1_36merge_oddeven_config_static_selectorELNS0_4arch9wavefront6targetE1EEEvSI_,"axG",@progbits,_ZN7rocprim17ROCPRIM_400000_NS6detail17trampoline_kernelINS0_14default_configENS1_38merge_sort_block_merge_config_selectorIN3c108BFloat16ElEEZZNS1_27merge_sort_block_merge_implIS3_PS6_N6thrust23THRUST_200600_302600_NS10device_ptrIlEEmNSB_4lessIS6_EEEE10hipError_tT0_T1_T2_jT3_P12ihipStream_tbPNSt15iterator_traitsISH_E10value_typeEPNSN_ISI_E10value_typeEPSJ_NS1_7vsmem_tEENKUlT_SH_SI_SJ_E_clIS9_S9_PlSD_EESG_SW_SH_SI_SJ_EUlSW_E1_NS1_11comp_targetILNS1_3genE9ELNS1_11target_archE1100ELNS1_3gpuE3ELNS1_3repE0EEENS1_36merge_oddeven_config_static_selectorELNS0_4arch9wavefront6targetE1EEEvSI_,comdat
	.protected	_ZN7rocprim17ROCPRIM_400000_NS6detail17trampoline_kernelINS0_14default_configENS1_38merge_sort_block_merge_config_selectorIN3c108BFloat16ElEEZZNS1_27merge_sort_block_merge_implIS3_PS6_N6thrust23THRUST_200600_302600_NS10device_ptrIlEEmNSB_4lessIS6_EEEE10hipError_tT0_T1_T2_jT3_P12ihipStream_tbPNSt15iterator_traitsISH_E10value_typeEPNSN_ISI_E10value_typeEPSJ_NS1_7vsmem_tEENKUlT_SH_SI_SJ_E_clIS9_S9_PlSD_EESG_SW_SH_SI_SJ_EUlSW_E1_NS1_11comp_targetILNS1_3genE9ELNS1_11target_archE1100ELNS1_3gpuE3ELNS1_3repE0EEENS1_36merge_oddeven_config_static_selectorELNS0_4arch9wavefront6targetE1EEEvSI_ ; -- Begin function _ZN7rocprim17ROCPRIM_400000_NS6detail17trampoline_kernelINS0_14default_configENS1_38merge_sort_block_merge_config_selectorIN3c108BFloat16ElEEZZNS1_27merge_sort_block_merge_implIS3_PS6_N6thrust23THRUST_200600_302600_NS10device_ptrIlEEmNSB_4lessIS6_EEEE10hipError_tT0_T1_T2_jT3_P12ihipStream_tbPNSt15iterator_traitsISH_E10value_typeEPNSN_ISI_E10value_typeEPSJ_NS1_7vsmem_tEENKUlT_SH_SI_SJ_E_clIS9_S9_PlSD_EESG_SW_SH_SI_SJ_EUlSW_E1_NS1_11comp_targetILNS1_3genE9ELNS1_11target_archE1100ELNS1_3gpuE3ELNS1_3repE0EEENS1_36merge_oddeven_config_static_selectorELNS0_4arch9wavefront6targetE1EEEvSI_
	.globl	_ZN7rocprim17ROCPRIM_400000_NS6detail17trampoline_kernelINS0_14default_configENS1_38merge_sort_block_merge_config_selectorIN3c108BFloat16ElEEZZNS1_27merge_sort_block_merge_implIS3_PS6_N6thrust23THRUST_200600_302600_NS10device_ptrIlEEmNSB_4lessIS6_EEEE10hipError_tT0_T1_T2_jT3_P12ihipStream_tbPNSt15iterator_traitsISH_E10value_typeEPNSN_ISI_E10value_typeEPSJ_NS1_7vsmem_tEENKUlT_SH_SI_SJ_E_clIS9_S9_PlSD_EESG_SW_SH_SI_SJ_EUlSW_E1_NS1_11comp_targetILNS1_3genE9ELNS1_11target_archE1100ELNS1_3gpuE3ELNS1_3repE0EEENS1_36merge_oddeven_config_static_selectorELNS0_4arch9wavefront6targetE1EEEvSI_
	.p2align	8
	.type	_ZN7rocprim17ROCPRIM_400000_NS6detail17trampoline_kernelINS0_14default_configENS1_38merge_sort_block_merge_config_selectorIN3c108BFloat16ElEEZZNS1_27merge_sort_block_merge_implIS3_PS6_N6thrust23THRUST_200600_302600_NS10device_ptrIlEEmNSB_4lessIS6_EEEE10hipError_tT0_T1_T2_jT3_P12ihipStream_tbPNSt15iterator_traitsISH_E10value_typeEPNSN_ISI_E10value_typeEPSJ_NS1_7vsmem_tEENKUlT_SH_SI_SJ_E_clIS9_S9_PlSD_EESG_SW_SH_SI_SJ_EUlSW_E1_NS1_11comp_targetILNS1_3genE9ELNS1_11target_archE1100ELNS1_3gpuE3ELNS1_3repE0EEENS1_36merge_oddeven_config_static_selectorELNS0_4arch9wavefront6targetE1EEEvSI_,@function
_ZN7rocprim17ROCPRIM_400000_NS6detail17trampoline_kernelINS0_14default_configENS1_38merge_sort_block_merge_config_selectorIN3c108BFloat16ElEEZZNS1_27merge_sort_block_merge_implIS3_PS6_N6thrust23THRUST_200600_302600_NS10device_ptrIlEEmNSB_4lessIS6_EEEE10hipError_tT0_T1_T2_jT3_P12ihipStream_tbPNSt15iterator_traitsISH_E10value_typeEPNSN_ISI_E10value_typeEPSJ_NS1_7vsmem_tEENKUlT_SH_SI_SJ_E_clIS9_S9_PlSD_EESG_SW_SH_SI_SJ_EUlSW_E1_NS1_11comp_targetILNS1_3genE9ELNS1_11target_archE1100ELNS1_3gpuE3ELNS1_3repE0EEENS1_36merge_oddeven_config_static_selectorELNS0_4arch9wavefront6targetE1EEEvSI_: ; @_ZN7rocprim17ROCPRIM_400000_NS6detail17trampoline_kernelINS0_14default_configENS1_38merge_sort_block_merge_config_selectorIN3c108BFloat16ElEEZZNS1_27merge_sort_block_merge_implIS3_PS6_N6thrust23THRUST_200600_302600_NS10device_ptrIlEEmNSB_4lessIS6_EEEE10hipError_tT0_T1_T2_jT3_P12ihipStream_tbPNSt15iterator_traitsISH_E10value_typeEPNSN_ISI_E10value_typeEPSJ_NS1_7vsmem_tEENKUlT_SH_SI_SJ_E_clIS9_S9_PlSD_EESG_SW_SH_SI_SJ_EUlSW_E1_NS1_11comp_targetILNS1_3genE9ELNS1_11target_archE1100ELNS1_3gpuE3ELNS1_3repE0EEENS1_36merge_oddeven_config_static_selectorELNS0_4arch9wavefront6targetE1EEEvSI_
; %bb.0:
	.section	.rodata,"a",@progbits
	.p2align	6, 0x0
	.amdhsa_kernel _ZN7rocprim17ROCPRIM_400000_NS6detail17trampoline_kernelINS0_14default_configENS1_38merge_sort_block_merge_config_selectorIN3c108BFloat16ElEEZZNS1_27merge_sort_block_merge_implIS3_PS6_N6thrust23THRUST_200600_302600_NS10device_ptrIlEEmNSB_4lessIS6_EEEE10hipError_tT0_T1_T2_jT3_P12ihipStream_tbPNSt15iterator_traitsISH_E10value_typeEPNSN_ISI_E10value_typeEPSJ_NS1_7vsmem_tEENKUlT_SH_SI_SJ_E_clIS9_S9_PlSD_EESG_SW_SH_SI_SJ_EUlSW_E1_NS1_11comp_targetILNS1_3genE9ELNS1_11target_archE1100ELNS1_3gpuE3ELNS1_3repE0EEENS1_36merge_oddeven_config_static_selectorELNS0_4arch9wavefront6targetE1EEEvSI_
		.amdhsa_group_segment_fixed_size 0
		.amdhsa_private_segment_fixed_size 0
		.amdhsa_kernarg_size 56
		.amdhsa_user_sgpr_count 6
		.amdhsa_user_sgpr_private_segment_buffer 1
		.amdhsa_user_sgpr_dispatch_ptr 0
		.amdhsa_user_sgpr_queue_ptr 0
		.amdhsa_user_sgpr_kernarg_segment_ptr 1
		.amdhsa_user_sgpr_dispatch_id 0
		.amdhsa_user_sgpr_flat_scratch_init 0
		.amdhsa_user_sgpr_kernarg_preload_length 0
		.amdhsa_user_sgpr_kernarg_preload_offset 0
		.amdhsa_user_sgpr_private_segment_size 0
		.amdhsa_uses_dynamic_stack 0
		.amdhsa_system_sgpr_private_segment_wavefront_offset 0
		.amdhsa_system_sgpr_workgroup_id_x 1
		.amdhsa_system_sgpr_workgroup_id_y 0
		.amdhsa_system_sgpr_workgroup_id_z 0
		.amdhsa_system_sgpr_workgroup_info 0
		.amdhsa_system_vgpr_workitem_id 0
		.amdhsa_next_free_vgpr 1
		.amdhsa_next_free_sgpr 0
		.amdhsa_accum_offset 4
		.amdhsa_reserve_vcc 0
		.amdhsa_reserve_flat_scratch 0
		.amdhsa_float_round_mode_32 0
		.amdhsa_float_round_mode_16_64 0
		.amdhsa_float_denorm_mode_32 3
		.amdhsa_float_denorm_mode_16_64 3
		.amdhsa_dx10_clamp 1
		.amdhsa_ieee_mode 1
		.amdhsa_fp16_overflow 0
		.amdhsa_tg_split 0
		.amdhsa_exception_fp_ieee_invalid_op 0
		.amdhsa_exception_fp_denorm_src 0
		.amdhsa_exception_fp_ieee_div_zero 0
		.amdhsa_exception_fp_ieee_overflow 0
		.amdhsa_exception_fp_ieee_underflow 0
		.amdhsa_exception_fp_ieee_inexact 0
		.amdhsa_exception_int_div_zero 0
	.end_amdhsa_kernel
	.section	.text._ZN7rocprim17ROCPRIM_400000_NS6detail17trampoline_kernelINS0_14default_configENS1_38merge_sort_block_merge_config_selectorIN3c108BFloat16ElEEZZNS1_27merge_sort_block_merge_implIS3_PS6_N6thrust23THRUST_200600_302600_NS10device_ptrIlEEmNSB_4lessIS6_EEEE10hipError_tT0_T1_T2_jT3_P12ihipStream_tbPNSt15iterator_traitsISH_E10value_typeEPNSN_ISI_E10value_typeEPSJ_NS1_7vsmem_tEENKUlT_SH_SI_SJ_E_clIS9_S9_PlSD_EESG_SW_SH_SI_SJ_EUlSW_E1_NS1_11comp_targetILNS1_3genE9ELNS1_11target_archE1100ELNS1_3gpuE3ELNS1_3repE0EEENS1_36merge_oddeven_config_static_selectorELNS0_4arch9wavefront6targetE1EEEvSI_,"axG",@progbits,_ZN7rocprim17ROCPRIM_400000_NS6detail17trampoline_kernelINS0_14default_configENS1_38merge_sort_block_merge_config_selectorIN3c108BFloat16ElEEZZNS1_27merge_sort_block_merge_implIS3_PS6_N6thrust23THRUST_200600_302600_NS10device_ptrIlEEmNSB_4lessIS6_EEEE10hipError_tT0_T1_T2_jT3_P12ihipStream_tbPNSt15iterator_traitsISH_E10value_typeEPNSN_ISI_E10value_typeEPSJ_NS1_7vsmem_tEENKUlT_SH_SI_SJ_E_clIS9_S9_PlSD_EESG_SW_SH_SI_SJ_EUlSW_E1_NS1_11comp_targetILNS1_3genE9ELNS1_11target_archE1100ELNS1_3gpuE3ELNS1_3repE0EEENS1_36merge_oddeven_config_static_selectorELNS0_4arch9wavefront6targetE1EEEvSI_,comdat
.Lfunc_end2001:
	.size	_ZN7rocprim17ROCPRIM_400000_NS6detail17trampoline_kernelINS0_14default_configENS1_38merge_sort_block_merge_config_selectorIN3c108BFloat16ElEEZZNS1_27merge_sort_block_merge_implIS3_PS6_N6thrust23THRUST_200600_302600_NS10device_ptrIlEEmNSB_4lessIS6_EEEE10hipError_tT0_T1_T2_jT3_P12ihipStream_tbPNSt15iterator_traitsISH_E10value_typeEPNSN_ISI_E10value_typeEPSJ_NS1_7vsmem_tEENKUlT_SH_SI_SJ_E_clIS9_S9_PlSD_EESG_SW_SH_SI_SJ_EUlSW_E1_NS1_11comp_targetILNS1_3genE9ELNS1_11target_archE1100ELNS1_3gpuE3ELNS1_3repE0EEENS1_36merge_oddeven_config_static_selectorELNS0_4arch9wavefront6targetE1EEEvSI_, .Lfunc_end2001-_ZN7rocprim17ROCPRIM_400000_NS6detail17trampoline_kernelINS0_14default_configENS1_38merge_sort_block_merge_config_selectorIN3c108BFloat16ElEEZZNS1_27merge_sort_block_merge_implIS3_PS6_N6thrust23THRUST_200600_302600_NS10device_ptrIlEEmNSB_4lessIS6_EEEE10hipError_tT0_T1_T2_jT3_P12ihipStream_tbPNSt15iterator_traitsISH_E10value_typeEPNSN_ISI_E10value_typeEPSJ_NS1_7vsmem_tEENKUlT_SH_SI_SJ_E_clIS9_S9_PlSD_EESG_SW_SH_SI_SJ_EUlSW_E1_NS1_11comp_targetILNS1_3genE9ELNS1_11target_archE1100ELNS1_3gpuE3ELNS1_3repE0EEENS1_36merge_oddeven_config_static_selectorELNS0_4arch9wavefront6targetE1EEEvSI_
                                        ; -- End function
	.section	.AMDGPU.csdata,"",@progbits
; Kernel info:
; codeLenInByte = 0
; NumSgprs: 4
; NumVgprs: 0
; NumAgprs: 0
; TotalNumVgprs: 0
; ScratchSize: 0
; MemoryBound: 0
; FloatMode: 240
; IeeeMode: 1
; LDSByteSize: 0 bytes/workgroup (compile time only)
; SGPRBlocks: 0
; VGPRBlocks: 0
; NumSGPRsForWavesPerEU: 4
; NumVGPRsForWavesPerEU: 1
; AccumOffset: 4
; Occupancy: 8
; WaveLimiterHint : 0
; COMPUTE_PGM_RSRC2:SCRATCH_EN: 0
; COMPUTE_PGM_RSRC2:USER_SGPR: 6
; COMPUTE_PGM_RSRC2:TRAP_HANDLER: 0
; COMPUTE_PGM_RSRC2:TGID_X_EN: 1
; COMPUTE_PGM_RSRC2:TGID_Y_EN: 0
; COMPUTE_PGM_RSRC2:TGID_Z_EN: 0
; COMPUTE_PGM_RSRC2:TIDIG_COMP_CNT: 0
; COMPUTE_PGM_RSRC3_GFX90A:ACCUM_OFFSET: 0
; COMPUTE_PGM_RSRC3_GFX90A:TG_SPLIT: 0
	.section	.text._ZN7rocprim17ROCPRIM_400000_NS6detail17trampoline_kernelINS0_14default_configENS1_38merge_sort_block_merge_config_selectorIN3c108BFloat16ElEEZZNS1_27merge_sort_block_merge_implIS3_PS6_N6thrust23THRUST_200600_302600_NS10device_ptrIlEEmNSB_4lessIS6_EEEE10hipError_tT0_T1_T2_jT3_P12ihipStream_tbPNSt15iterator_traitsISH_E10value_typeEPNSN_ISI_E10value_typeEPSJ_NS1_7vsmem_tEENKUlT_SH_SI_SJ_E_clIS9_S9_PlSD_EESG_SW_SH_SI_SJ_EUlSW_E1_NS1_11comp_targetILNS1_3genE8ELNS1_11target_archE1030ELNS1_3gpuE2ELNS1_3repE0EEENS1_36merge_oddeven_config_static_selectorELNS0_4arch9wavefront6targetE1EEEvSI_,"axG",@progbits,_ZN7rocprim17ROCPRIM_400000_NS6detail17trampoline_kernelINS0_14default_configENS1_38merge_sort_block_merge_config_selectorIN3c108BFloat16ElEEZZNS1_27merge_sort_block_merge_implIS3_PS6_N6thrust23THRUST_200600_302600_NS10device_ptrIlEEmNSB_4lessIS6_EEEE10hipError_tT0_T1_T2_jT3_P12ihipStream_tbPNSt15iterator_traitsISH_E10value_typeEPNSN_ISI_E10value_typeEPSJ_NS1_7vsmem_tEENKUlT_SH_SI_SJ_E_clIS9_S9_PlSD_EESG_SW_SH_SI_SJ_EUlSW_E1_NS1_11comp_targetILNS1_3genE8ELNS1_11target_archE1030ELNS1_3gpuE2ELNS1_3repE0EEENS1_36merge_oddeven_config_static_selectorELNS0_4arch9wavefront6targetE1EEEvSI_,comdat
	.protected	_ZN7rocprim17ROCPRIM_400000_NS6detail17trampoline_kernelINS0_14default_configENS1_38merge_sort_block_merge_config_selectorIN3c108BFloat16ElEEZZNS1_27merge_sort_block_merge_implIS3_PS6_N6thrust23THRUST_200600_302600_NS10device_ptrIlEEmNSB_4lessIS6_EEEE10hipError_tT0_T1_T2_jT3_P12ihipStream_tbPNSt15iterator_traitsISH_E10value_typeEPNSN_ISI_E10value_typeEPSJ_NS1_7vsmem_tEENKUlT_SH_SI_SJ_E_clIS9_S9_PlSD_EESG_SW_SH_SI_SJ_EUlSW_E1_NS1_11comp_targetILNS1_3genE8ELNS1_11target_archE1030ELNS1_3gpuE2ELNS1_3repE0EEENS1_36merge_oddeven_config_static_selectorELNS0_4arch9wavefront6targetE1EEEvSI_ ; -- Begin function _ZN7rocprim17ROCPRIM_400000_NS6detail17trampoline_kernelINS0_14default_configENS1_38merge_sort_block_merge_config_selectorIN3c108BFloat16ElEEZZNS1_27merge_sort_block_merge_implIS3_PS6_N6thrust23THRUST_200600_302600_NS10device_ptrIlEEmNSB_4lessIS6_EEEE10hipError_tT0_T1_T2_jT3_P12ihipStream_tbPNSt15iterator_traitsISH_E10value_typeEPNSN_ISI_E10value_typeEPSJ_NS1_7vsmem_tEENKUlT_SH_SI_SJ_E_clIS9_S9_PlSD_EESG_SW_SH_SI_SJ_EUlSW_E1_NS1_11comp_targetILNS1_3genE8ELNS1_11target_archE1030ELNS1_3gpuE2ELNS1_3repE0EEENS1_36merge_oddeven_config_static_selectorELNS0_4arch9wavefront6targetE1EEEvSI_
	.globl	_ZN7rocprim17ROCPRIM_400000_NS6detail17trampoline_kernelINS0_14default_configENS1_38merge_sort_block_merge_config_selectorIN3c108BFloat16ElEEZZNS1_27merge_sort_block_merge_implIS3_PS6_N6thrust23THRUST_200600_302600_NS10device_ptrIlEEmNSB_4lessIS6_EEEE10hipError_tT0_T1_T2_jT3_P12ihipStream_tbPNSt15iterator_traitsISH_E10value_typeEPNSN_ISI_E10value_typeEPSJ_NS1_7vsmem_tEENKUlT_SH_SI_SJ_E_clIS9_S9_PlSD_EESG_SW_SH_SI_SJ_EUlSW_E1_NS1_11comp_targetILNS1_3genE8ELNS1_11target_archE1030ELNS1_3gpuE2ELNS1_3repE0EEENS1_36merge_oddeven_config_static_selectorELNS0_4arch9wavefront6targetE1EEEvSI_
	.p2align	8
	.type	_ZN7rocprim17ROCPRIM_400000_NS6detail17trampoline_kernelINS0_14default_configENS1_38merge_sort_block_merge_config_selectorIN3c108BFloat16ElEEZZNS1_27merge_sort_block_merge_implIS3_PS6_N6thrust23THRUST_200600_302600_NS10device_ptrIlEEmNSB_4lessIS6_EEEE10hipError_tT0_T1_T2_jT3_P12ihipStream_tbPNSt15iterator_traitsISH_E10value_typeEPNSN_ISI_E10value_typeEPSJ_NS1_7vsmem_tEENKUlT_SH_SI_SJ_E_clIS9_S9_PlSD_EESG_SW_SH_SI_SJ_EUlSW_E1_NS1_11comp_targetILNS1_3genE8ELNS1_11target_archE1030ELNS1_3gpuE2ELNS1_3repE0EEENS1_36merge_oddeven_config_static_selectorELNS0_4arch9wavefront6targetE1EEEvSI_,@function
_ZN7rocprim17ROCPRIM_400000_NS6detail17trampoline_kernelINS0_14default_configENS1_38merge_sort_block_merge_config_selectorIN3c108BFloat16ElEEZZNS1_27merge_sort_block_merge_implIS3_PS6_N6thrust23THRUST_200600_302600_NS10device_ptrIlEEmNSB_4lessIS6_EEEE10hipError_tT0_T1_T2_jT3_P12ihipStream_tbPNSt15iterator_traitsISH_E10value_typeEPNSN_ISI_E10value_typeEPSJ_NS1_7vsmem_tEENKUlT_SH_SI_SJ_E_clIS9_S9_PlSD_EESG_SW_SH_SI_SJ_EUlSW_E1_NS1_11comp_targetILNS1_3genE8ELNS1_11target_archE1030ELNS1_3gpuE2ELNS1_3repE0EEENS1_36merge_oddeven_config_static_selectorELNS0_4arch9wavefront6targetE1EEEvSI_: ; @_ZN7rocprim17ROCPRIM_400000_NS6detail17trampoline_kernelINS0_14default_configENS1_38merge_sort_block_merge_config_selectorIN3c108BFloat16ElEEZZNS1_27merge_sort_block_merge_implIS3_PS6_N6thrust23THRUST_200600_302600_NS10device_ptrIlEEmNSB_4lessIS6_EEEE10hipError_tT0_T1_T2_jT3_P12ihipStream_tbPNSt15iterator_traitsISH_E10value_typeEPNSN_ISI_E10value_typeEPSJ_NS1_7vsmem_tEENKUlT_SH_SI_SJ_E_clIS9_S9_PlSD_EESG_SW_SH_SI_SJ_EUlSW_E1_NS1_11comp_targetILNS1_3genE8ELNS1_11target_archE1030ELNS1_3gpuE2ELNS1_3repE0EEENS1_36merge_oddeven_config_static_selectorELNS0_4arch9wavefront6targetE1EEEvSI_
; %bb.0:
	.section	.rodata,"a",@progbits
	.p2align	6, 0x0
	.amdhsa_kernel _ZN7rocprim17ROCPRIM_400000_NS6detail17trampoline_kernelINS0_14default_configENS1_38merge_sort_block_merge_config_selectorIN3c108BFloat16ElEEZZNS1_27merge_sort_block_merge_implIS3_PS6_N6thrust23THRUST_200600_302600_NS10device_ptrIlEEmNSB_4lessIS6_EEEE10hipError_tT0_T1_T2_jT3_P12ihipStream_tbPNSt15iterator_traitsISH_E10value_typeEPNSN_ISI_E10value_typeEPSJ_NS1_7vsmem_tEENKUlT_SH_SI_SJ_E_clIS9_S9_PlSD_EESG_SW_SH_SI_SJ_EUlSW_E1_NS1_11comp_targetILNS1_3genE8ELNS1_11target_archE1030ELNS1_3gpuE2ELNS1_3repE0EEENS1_36merge_oddeven_config_static_selectorELNS0_4arch9wavefront6targetE1EEEvSI_
		.amdhsa_group_segment_fixed_size 0
		.amdhsa_private_segment_fixed_size 0
		.amdhsa_kernarg_size 56
		.amdhsa_user_sgpr_count 6
		.amdhsa_user_sgpr_private_segment_buffer 1
		.amdhsa_user_sgpr_dispatch_ptr 0
		.amdhsa_user_sgpr_queue_ptr 0
		.amdhsa_user_sgpr_kernarg_segment_ptr 1
		.amdhsa_user_sgpr_dispatch_id 0
		.amdhsa_user_sgpr_flat_scratch_init 0
		.amdhsa_user_sgpr_kernarg_preload_length 0
		.amdhsa_user_sgpr_kernarg_preload_offset 0
		.amdhsa_user_sgpr_private_segment_size 0
		.amdhsa_uses_dynamic_stack 0
		.amdhsa_system_sgpr_private_segment_wavefront_offset 0
		.amdhsa_system_sgpr_workgroup_id_x 1
		.amdhsa_system_sgpr_workgroup_id_y 0
		.amdhsa_system_sgpr_workgroup_id_z 0
		.amdhsa_system_sgpr_workgroup_info 0
		.amdhsa_system_vgpr_workitem_id 0
		.amdhsa_next_free_vgpr 1
		.amdhsa_next_free_sgpr 0
		.amdhsa_accum_offset 4
		.amdhsa_reserve_vcc 0
		.amdhsa_reserve_flat_scratch 0
		.amdhsa_float_round_mode_32 0
		.amdhsa_float_round_mode_16_64 0
		.amdhsa_float_denorm_mode_32 3
		.amdhsa_float_denorm_mode_16_64 3
		.amdhsa_dx10_clamp 1
		.amdhsa_ieee_mode 1
		.amdhsa_fp16_overflow 0
		.amdhsa_tg_split 0
		.amdhsa_exception_fp_ieee_invalid_op 0
		.amdhsa_exception_fp_denorm_src 0
		.amdhsa_exception_fp_ieee_div_zero 0
		.amdhsa_exception_fp_ieee_overflow 0
		.amdhsa_exception_fp_ieee_underflow 0
		.amdhsa_exception_fp_ieee_inexact 0
		.amdhsa_exception_int_div_zero 0
	.end_amdhsa_kernel
	.section	.text._ZN7rocprim17ROCPRIM_400000_NS6detail17trampoline_kernelINS0_14default_configENS1_38merge_sort_block_merge_config_selectorIN3c108BFloat16ElEEZZNS1_27merge_sort_block_merge_implIS3_PS6_N6thrust23THRUST_200600_302600_NS10device_ptrIlEEmNSB_4lessIS6_EEEE10hipError_tT0_T1_T2_jT3_P12ihipStream_tbPNSt15iterator_traitsISH_E10value_typeEPNSN_ISI_E10value_typeEPSJ_NS1_7vsmem_tEENKUlT_SH_SI_SJ_E_clIS9_S9_PlSD_EESG_SW_SH_SI_SJ_EUlSW_E1_NS1_11comp_targetILNS1_3genE8ELNS1_11target_archE1030ELNS1_3gpuE2ELNS1_3repE0EEENS1_36merge_oddeven_config_static_selectorELNS0_4arch9wavefront6targetE1EEEvSI_,"axG",@progbits,_ZN7rocprim17ROCPRIM_400000_NS6detail17trampoline_kernelINS0_14default_configENS1_38merge_sort_block_merge_config_selectorIN3c108BFloat16ElEEZZNS1_27merge_sort_block_merge_implIS3_PS6_N6thrust23THRUST_200600_302600_NS10device_ptrIlEEmNSB_4lessIS6_EEEE10hipError_tT0_T1_T2_jT3_P12ihipStream_tbPNSt15iterator_traitsISH_E10value_typeEPNSN_ISI_E10value_typeEPSJ_NS1_7vsmem_tEENKUlT_SH_SI_SJ_E_clIS9_S9_PlSD_EESG_SW_SH_SI_SJ_EUlSW_E1_NS1_11comp_targetILNS1_3genE8ELNS1_11target_archE1030ELNS1_3gpuE2ELNS1_3repE0EEENS1_36merge_oddeven_config_static_selectorELNS0_4arch9wavefront6targetE1EEEvSI_,comdat
.Lfunc_end2002:
	.size	_ZN7rocprim17ROCPRIM_400000_NS6detail17trampoline_kernelINS0_14default_configENS1_38merge_sort_block_merge_config_selectorIN3c108BFloat16ElEEZZNS1_27merge_sort_block_merge_implIS3_PS6_N6thrust23THRUST_200600_302600_NS10device_ptrIlEEmNSB_4lessIS6_EEEE10hipError_tT0_T1_T2_jT3_P12ihipStream_tbPNSt15iterator_traitsISH_E10value_typeEPNSN_ISI_E10value_typeEPSJ_NS1_7vsmem_tEENKUlT_SH_SI_SJ_E_clIS9_S9_PlSD_EESG_SW_SH_SI_SJ_EUlSW_E1_NS1_11comp_targetILNS1_3genE8ELNS1_11target_archE1030ELNS1_3gpuE2ELNS1_3repE0EEENS1_36merge_oddeven_config_static_selectorELNS0_4arch9wavefront6targetE1EEEvSI_, .Lfunc_end2002-_ZN7rocprim17ROCPRIM_400000_NS6detail17trampoline_kernelINS0_14default_configENS1_38merge_sort_block_merge_config_selectorIN3c108BFloat16ElEEZZNS1_27merge_sort_block_merge_implIS3_PS6_N6thrust23THRUST_200600_302600_NS10device_ptrIlEEmNSB_4lessIS6_EEEE10hipError_tT0_T1_T2_jT3_P12ihipStream_tbPNSt15iterator_traitsISH_E10value_typeEPNSN_ISI_E10value_typeEPSJ_NS1_7vsmem_tEENKUlT_SH_SI_SJ_E_clIS9_S9_PlSD_EESG_SW_SH_SI_SJ_EUlSW_E1_NS1_11comp_targetILNS1_3genE8ELNS1_11target_archE1030ELNS1_3gpuE2ELNS1_3repE0EEENS1_36merge_oddeven_config_static_selectorELNS0_4arch9wavefront6targetE1EEEvSI_
                                        ; -- End function
	.section	.AMDGPU.csdata,"",@progbits
; Kernel info:
; codeLenInByte = 0
; NumSgprs: 4
; NumVgprs: 0
; NumAgprs: 0
; TotalNumVgprs: 0
; ScratchSize: 0
; MemoryBound: 0
; FloatMode: 240
; IeeeMode: 1
; LDSByteSize: 0 bytes/workgroup (compile time only)
; SGPRBlocks: 0
; VGPRBlocks: 0
; NumSGPRsForWavesPerEU: 4
; NumVGPRsForWavesPerEU: 1
; AccumOffset: 4
; Occupancy: 8
; WaveLimiterHint : 0
; COMPUTE_PGM_RSRC2:SCRATCH_EN: 0
; COMPUTE_PGM_RSRC2:USER_SGPR: 6
; COMPUTE_PGM_RSRC2:TRAP_HANDLER: 0
; COMPUTE_PGM_RSRC2:TGID_X_EN: 1
; COMPUTE_PGM_RSRC2:TGID_Y_EN: 0
; COMPUTE_PGM_RSRC2:TGID_Z_EN: 0
; COMPUTE_PGM_RSRC2:TIDIG_COMP_CNT: 0
; COMPUTE_PGM_RSRC3_GFX90A:ACCUM_OFFSET: 0
; COMPUTE_PGM_RSRC3_GFX90A:TG_SPLIT: 0
	.section	.text._ZN7rocprim17ROCPRIM_400000_NS6detail17trampoline_kernelINS0_14default_configENS1_38merge_sort_block_merge_config_selectorIN3c108BFloat16ElEEZZNS1_27merge_sort_block_merge_implIS3_PS6_N6thrust23THRUST_200600_302600_NS10device_ptrIlEEmNSB_4lessIS6_EEEE10hipError_tT0_T1_T2_jT3_P12ihipStream_tbPNSt15iterator_traitsISH_E10value_typeEPNSN_ISI_E10value_typeEPSJ_NS1_7vsmem_tEENKUlT_SH_SI_SJ_E_clIS9_S9_SD_PlEESG_SW_SH_SI_SJ_EUlSW_E_NS1_11comp_targetILNS1_3genE0ELNS1_11target_archE4294967295ELNS1_3gpuE0ELNS1_3repE0EEENS1_48merge_mergepath_partition_config_static_selectorELNS0_4arch9wavefront6targetE1EEEvSI_,"axG",@progbits,_ZN7rocprim17ROCPRIM_400000_NS6detail17trampoline_kernelINS0_14default_configENS1_38merge_sort_block_merge_config_selectorIN3c108BFloat16ElEEZZNS1_27merge_sort_block_merge_implIS3_PS6_N6thrust23THRUST_200600_302600_NS10device_ptrIlEEmNSB_4lessIS6_EEEE10hipError_tT0_T1_T2_jT3_P12ihipStream_tbPNSt15iterator_traitsISH_E10value_typeEPNSN_ISI_E10value_typeEPSJ_NS1_7vsmem_tEENKUlT_SH_SI_SJ_E_clIS9_S9_SD_PlEESG_SW_SH_SI_SJ_EUlSW_E_NS1_11comp_targetILNS1_3genE0ELNS1_11target_archE4294967295ELNS1_3gpuE0ELNS1_3repE0EEENS1_48merge_mergepath_partition_config_static_selectorELNS0_4arch9wavefront6targetE1EEEvSI_,comdat
	.protected	_ZN7rocprim17ROCPRIM_400000_NS6detail17trampoline_kernelINS0_14default_configENS1_38merge_sort_block_merge_config_selectorIN3c108BFloat16ElEEZZNS1_27merge_sort_block_merge_implIS3_PS6_N6thrust23THRUST_200600_302600_NS10device_ptrIlEEmNSB_4lessIS6_EEEE10hipError_tT0_T1_T2_jT3_P12ihipStream_tbPNSt15iterator_traitsISH_E10value_typeEPNSN_ISI_E10value_typeEPSJ_NS1_7vsmem_tEENKUlT_SH_SI_SJ_E_clIS9_S9_SD_PlEESG_SW_SH_SI_SJ_EUlSW_E_NS1_11comp_targetILNS1_3genE0ELNS1_11target_archE4294967295ELNS1_3gpuE0ELNS1_3repE0EEENS1_48merge_mergepath_partition_config_static_selectorELNS0_4arch9wavefront6targetE1EEEvSI_ ; -- Begin function _ZN7rocprim17ROCPRIM_400000_NS6detail17trampoline_kernelINS0_14default_configENS1_38merge_sort_block_merge_config_selectorIN3c108BFloat16ElEEZZNS1_27merge_sort_block_merge_implIS3_PS6_N6thrust23THRUST_200600_302600_NS10device_ptrIlEEmNSB_4lessIS6_EEEE10hipError_tT0_T1_T2_jT3_P12ihipStream_tbPNSt15iterator_traitsISH_E10value_typeEPNSN_ISI_E10value_typeEPSJ_NS1_7vsmem_tEENKUlT_SH_SI_SJ_E_clIS9_S9_SD_PlEESG_SW_SH_SI_SJ_EUlSW_E_NS1_11comp_targetILNS1_3genE0ELNS1_11target_archE4294967295ELNS1_3gpuE0ELNS1_3repE0EEENS1_48merge_mergepath_partition_config_static_selectorELNS0_4arch9wavefront6targetE1EEEvSI_
	.globl	_ZN7rocprim17ROCPRIM_400000_NS6detail17trampoline_kernelINS0_14default_configENS1_38merge_sort_block_merge_config_selectorIN3c108BFloat16ElEEZZNS1_27merge_sort_block_merge_implIS3_PS6_N6thrust23THRUST_200600_302600_NS10device_ptrIlEEmNSB_4lessIS6_EEEE10hipError_tT0_T1_T2_jT3_P12ihipStream_tbPNSt15iterator_traitsISH_E10value_typeEPNSN_ISI_E10value_typeEPSJ_NS1_7vsmem_tEENKUlT_SH_SI_SJ_E_clIS9_S9_SD_PlEESG_SW_SH_SI_SJ_EUlSW_E_NS1_11comp_targetILNS1_3genE0ELNS1_11target_archE4294967295ELNS1_3gpuE0ELNS1_3repE0EEENS1_48merge_mergepath_partition_config_static_selectorELNS0_4arch9wavefront6targetE1EEEvSI_
	.p2align	8
	.type	_ZN7rocprim17ROCPRIM_400000_NS6detail17trampoline_kernelINS0_14default_configENS1_38merge_sort_block_merge_config_selectorIN3c108BFloat16ElEEZZNS1_27merge_sort_block_merge_implIS3_PS6_N6thrust23THRUST_200600_302600_NS10device_ptrIlEEmNSB_4lessIS6_EEEE10hipError_tT0_T1_T2_jT3_P12ihipStream_tbPNSt15iterator_traitsISH_E10value_typeEPNSN_ISI_E10value_typeEPSJ_NS1_7vsmem_tEENKUlT_SH_SI_SJ_E_clIS9_S9_SD_PlEESG_SW_SH_SI_SJ_EUlSW_E_NS1_11comp_targetILNS1_3genE0ELNS1_11target_archE4294967295ELNS1_3gpuE0ELNS1_3repE0EEENS1_48merge_mergepath_partition_config_static_selectorELNS0_4arch9wavefront6targetE1EEEvSI_,@function
_ZN7rocprim17ROCPRIM_400000_NS6detail17trampoline_kernelINS0_14default_configENS1_38merge_sort_block_merge_config_selectorIN3c108BFloat16ElEEZZNS1_27merge_sort_block_merge_implIS3_PS6_N6thrust23THRUST_200600_302600_NS10device_ptrIlEEmNSB_4lessIS6_EEEE10hipError_tT0_T1_T2_jT3_P12ihipStream_tbPNSt15iterator_traitsISH_E10value_typeEPNSN_ISI_E10value_typeEPSJ_NS1_7vsmem_tEENKUlT_SH_SI_SJ_E_clIS9_S9_SD_PlEESG_SW_SH_SI_SJ_EUlSW_E_NS1_11comp_targetILNS1_3genE0ELNS1_11target_archE4294967295ELNS1_3gpuE0ELNS1_3repE0EEENS1_48merge_mergepath_partition_config_static_selectorELNS0_4arch9wavefront6targetE1EEEvSI_: ; @_ZN7rocprim17ROCPRIM_400000_NS6detail17trampoline_kernelINS0_14default_configENS1_38merge_sort_block_merge_config_selectorIN3c108BFloat16ElEEZZNS1_27merge_sort_block_merge_implIS3_PS6_N6thrust23THRUST_200600_302600_NS10device_ptrIlEEmNSB_4lessIS6_EEEE10hipError_tT0_T1_T2_jT3_P12ihipStream_tbPNSt15iterator_traitsISH_E10value_typeEPNSN_ISI_E10value_typeEPSJ_NS1_7vsmem_tEENKUlT_SH_SI_SJ_E_clIS9_S9_SD_PlEESG_SW_SH_SI_SJ_EUlSW_E_NS1_11comp_targetILNS1_3genE0ELNS1_11target_archE4294967295ELNS1_3gpuE0ELNS1_3repE0EEENS1_48merge_mergepath_partition_config_static_selectorELNS0_4arch9wavefront6targetE1EEEvSI_
; %bb.0:
	.section	.rodata,"a",@progbits
	.p2align	6, 0x0
	.amdhsa_kernel _ZN7rocprim17ROCPRIM_400000_NS6detail17trampoline_kernelINS0_14default_configENS1_38merge_sort_block_merge_config_selectorIN3c108BFloat16ElEEZZNS1_27merge_sort_block_merge_implIS3_PS6_N6thrust23THRUST_200600_302600_NS10device_ptrIlEEmNSB_4lessIS6_EEEE10hipError_tT0_T1_T2_jT3_P12ihipStream_tbPNSt15iterator_traitsISH_E10value_typeEPNSN_ISI_E10value_typeEPSJ_NS1_7vsmem_tEENKUlT_SH_SI_SJ_E_clIS9_S9_SD_PlEESG_SW_SH_SI_SJ_EUlSW_E_NS1_11comp_targetILNS1_3genE0ELNS1_11target_archE4294967295ELNS1_3gpuE0ELNS1_3repE0EEENS1_48merge_mergepath_partition_config_static_selectorELNS0_4arch9wavefront6targetE1EEEvSI_
		.amdhsa_group_segment_fixed_size 0
		.amdhsa_private_segment_fixed_size 0
		.amdhsa_kernarg_size 48
		.amdhsa_user_sgpr_count 6
		.amdhsa_user_sgpr_private_segment_buffer 1
		.amdhsa_user_sgpr_dispatch_ptr 0
		.amdhsa_user_sgpr_queue_ptr 0
		.amdhsa_user_sgpr_kernarg_segment_ptr 1
		.amdhsa_user_sgpr_dispatch_id 0
		.amdhsa_user_sgpr_flat_scratch_init 0
		.amdhsa_user_sgpr_kernarg_preload_length 0
		.amdhsa_user_sgpr_kernarg_preload_offset 0
		.amdhsa_user_sgpr_private_segment_size 0
		.amdhsa_uses_dynamic_stack 0
		.amdhsa_system_sgpr_private_segment_wavefront_offset 0
		.amdhsa_system_sgpr_workgroup_id_x 1
		.amdhsa_system_sgpr_workgroup_id_y 0
		.amdhsa_system_sgpr_workgroup_id_z 0
		.amdhsa_system_sgpr_workgroup_info 0
		.amdhsa_system_vgpr_workitem_id 0
		.amdhsa_next_free_vgpr 1
		.amdhsa_next_free_sgpr 0
		.amdhsa_accum_offset 4
		.amdhsa_reserve_vcc 0
		.amdhsa_reserve_flat_scratch 0
		.amdhsa_float_round_mode_32 0
		.amdhsa_float_round_mode_16_64 0
		.amdhsa_float_denorm_mode_32 3
		.amdhsa_float_denorm_mode_16_64 3
		.amdhsa_dx10_clamp 1
		.amdhsa_ieee_mode 1
		.amdhsa_fp16_overflow 0
		.amdhsa_tg_split 0
		.amdhsa_exception_fp_ieee_invalid_op 0
		.amdhsa_exception_fp_denorm_src 0
		.amdhsa_exception_fp_ieee_div_zero 0
		.amdhsa_exception_fp_ieee_overflow 0
		.amdhsa_exception_fp_ieee_underflow 0
		.amdhsa_exception_fp_ieee_inexact 0
		.amdhsa_exception_int_div_zero 0
	.end_amdhsa_kernel
	.section	.text._ZN7rocprim17ROCPRIM_400000_NS6detail17trampoline_kernelINS0_14default_configENS1_38merge_sort_block_merge_config_selectorIN3c108BFloat16ElEEZZNS1_27merge_sort_block_merge_implIS3_PS6_N6thrust23THRUST_200600_302600_NS10device_ptrIlEEmNSB_4lessIS6_EEEE10hipError_tT0_T1_T2_jT3_P12ihipStream_tbPNSt15iterator_traitsISH_E10value_typeEPNSN_ISI_E10value_typeEPSJ_NS1_7vsmem_tEENKUlT_SH_SI_SJ_E_clIS9_S9_SD_PlEESG_SW_SH_SI_SJ_EUlSW_E_NS1_11comp_targetILNS1_3genE0ELNS1_11target_archE4294967295ELNS1_3gpuE0ELNS1_3repE0EEENS1_48merge_mergepath_partition_config_static_selectorELNS0_4arch9wavefront6targetE1EEEvSI_,"axG",@progbits,_ZN7rocprim17ROCPRIM_400000_NS6detail17trampoline_kernelINS0_14default_configENS1_38merge_sort_block_merge_config_selectorIN3c108BFloat16ElEEZZNS1_27merge_sort_block_merge_implIS3_PS6_N6thrust23THRUST_200600_302600_NS10device_ptrIlEEmNSB_4lessIS6_EEEE10hipError_tT0_T1_T2_jT3_P12ihipStream_tbPNSt15iterator_traitsISH_E10value_typeEPNSN_ISI_E10value_typeEPSJ_NS1_7vsmem_tEENKUlT_SH_SI_SJ_E_clIS9_S9_SD_PlEESG_SW_SH_SI_SJ_EUlSW_E_NS1_11comp_targetILNS1_3genE0ELNS1_11target_archE4294967295ELNS1_3gpuE0ELNS1_3repE0EEENS1_48merge_mergepath_partition_config_static_selectorELNS0_4arch9wavefront6targetE1EEEvSI_,comdat
.Lfunc_end2003:
	.size	_ZN7rocprim17ROCPRIM_400000_NS6detail17trampoline_kernelINS0_14default_configENS1_38merge_sort_block_merge_config_selectorIN3c108BFloat16ElEEZZNS1_27merge_sort_block_merge_implIS3_PS6_N6thrust23THRUST_200600_302600_NS10device_ptrIlEEmNSB_4lessIS6_EEEE10hipError_tT0_T1_T2_jT3_P12ihipStream_tbPNSt15iterator_traitsISH_E10value_typeEPNSN_ISI_E10value_typeEPSJ_NS1_7vsmem_tEENKUlT_SH_SI_SJ_E_clIS9_S9_SD_PlEESG_SW_SH_SI_SJ_EUlSW_E_NS1_11comp_targetILNS1_3genE0ELNS1_11target_archE4294967295ELNS1_3gpuE0ELNS1_3repE0EEENS1_48merge_mergepath_partition_config_static_selectorELNS0_4arch9wavefront6targetE1EEEvSI_, .Lfunc_end2003-_ZN7rocprim17ROCPRIM_400000_NS6detail17trampoline_kernelINS0_14default_configENS1_38merge_sort_block_merge_config_selectorIN3c108BFloat16ElEEZZNS1_27merge_sort_block_merge_implIS3_PS6_N6thrust23THRUST_200600_302600_NS10device_ptrIlEEmNSB_4lessIS6_EEEE10hipError_tT0_T1_T2_jT3_P12ihipStream_tbPNSt15iterator_traitsISH_E10value_typeEPNSN_ISI_E10value_typeEPSJ_NS1_7vsmem_tEENKUlT_SH_SI_SJ_E_clIS9_S9_SD_PlEESG_SW_SH_SI_SJ_EUlSW_E_NS1_11comp_targetILNS1_3genE0ELNS1_11target_archE4294967295ELNS1_3gpuE0ELNS1_3repE0EEENS1_48merge_mergepath_partition_config_static_selectorELNS0_4arch9wavefront6targetE1EEEvSI_
                                        ; -- End function
	.section	.AMDGPU.csdata,"",@progbits
; Kernel info:
; codeLenInByte = 0
; NumSgprs: 4
; NumVgprs: 0
; NumAgprs: 0
; TotalNumVgprs: 0
; ScratchSize: 0
; MemoryBound: 0
; FloatMode: 240
; IeeeMode: 1
; LDSByteSize: 0 bytes/workgroup (compile time only)
; SGPRBlocks: 0
; VGPRBlocks: 0
; NumSGPRsForWavesPerEU: 4
; NumVGPRsForWavesPerEU: 1
; AccumOffset: 4
; Occupancy: 8
; WaveLimiterHint : 0
; COMPUTE_PGM_RSRC2:SCRATCH_EN: 0
; COMPUTE_PGM_RSRC2:USER_SGPR: 6
; COMPUTE_PGM_RSRC2:TRAP_HANDLER: 0
; COMPUTE_PGM_RSRC2:TGID_X_EN: 1
; COMPUTE_PGM_RSRC2:TGID_Y_EN: 0
; COMPUTE_PGM_RSRC2:TGID_Z_EN: 0
; COMPUTE_PGM_RSRC2:TIDIG_COMP_CNT: 0
; COMPUTE_PGM_RSRC3_GFX90A:ACCUM_OFFSET: 0
; COMPUTE_PGM_RSRC3_GFX90A:TG_SPLIT: 0
	.section	.text._ZN7rocprim17ROCPRIM_400000_NS6detail17trampoline_kernelINS0_14default_configENS1_38merge_sort_block_merge_config_selectorIN3c108BFloat16ElEEZZNS1_27merge_sort_block_merge_implIS3_PS6_N6thrust23THRUST_200600_302600_NS10device_ptrIlEEmNSB_4lessIS6_EEEE10hipError_tT0_T1_T2_jT3_P12ihipStream_tbPNSt15iterator_traitsISH_E10value_typeEPNSN_ISI_E10value_typeEPSJ_NS1_7vsmem_tEENKUlT_SH_SI_SJ_E_clIS9_S9_SD_PlEESG_SW_SH_SI_SJ_EUlSW_E_NS1_11comp_targetILNS1_3genE10ELNS1_11target_archE1201ELNS1_3gpuE5ELNS1_3repE0EEENS1_48merge_mergepath_partition_config_static_selectorELNS0_4arch9wavefront6targetE1EEEvSI_,"axG",@progbits,_ZN7rocprim17ROCPRIM_400000_NS6detail17trampoline_kernelINS0_14default_configENS1_38merge_sort_block_merge_config_selectorIN3c108BFloat16ElEEZZNS1_27merge_sort_block_merge_implIS3_PS6_N6thrust23THRUST_200600_302600_NS10device_ptrIlEEmNSB_4lessIS6_EEEE10hipError_tT0_T1_T2_jT3_P12ihipStream_tbPNSt15iterator_traitsISH_E10value_typeEPNSN_ISI_E10value_typeEPSJ_NS1_7vsmem_tEENKUlT_SH_SI_SJ_E_clIS9_S9_SD_PlEESG_SW_SH_SI_SJ_EUlSW_E_NS1_11comp_targetILNS1_3genE10ELNS1_11target_archE1201ELNS1_3gpuE5ELNS1_3repE0EEENS1_48merge_mergepath_partition_config_static_selectorELNS0_4arch9wavefront6targetE1EEEvSI_,comdat
	.protected	_ZN7rocprim17ROCPRIM_400000_NS6detail17trampoline_kernelINS0_14default_configENS1_38merge_sort_block_merge_config_selectorIN3c108BFloat16ElEEZZNS1_27merge_sort_block_merge_implIS3_PS6_N6thrust23THRUST_200600_302600_NS10device_ptrIlEEmNSB_4lessIS6_EEEE10hipError_tT0_T1_T2_jT3_P12ihipStream_tbPNSt15iterator_traitsISH_E10value_typeEPNSN_ISI_E10value_typeEPSJ_NS1_7vsmem_tEENKUlT_SH_SI_SJ_E_clIS9_S9_SD_PlEESG_SW_SH_SI_SJ_EUlSW_E_NS1_11comp_targetILNS1_3genE10ELNS1_11target_archE1201ELNS1_3gpuE5ELNS1_3repE0EEENS1_48merge_mergepath_partition_config_static_selectorELNS0_4arch9wavefront6targetE1EEEvSI_ ; -- Begin function _ZN7rocprim17ROCPRIM_400000_NS6detail17trampoline_kernelINS0_14default_configENS1_38merge_sort_block_merge_config_selectorIN3c108BFloat16ElEEZZNS1_27merge_sort_block_merge_implIS3_PS6_N6thrust23THRUST_200600_302600_NS10device_ptrIlEEmNSB_4lessIS6_EEEE10hipError_tT0_T1_T2_jT3_P12ihipStream_tbPNSt15iterator_traitsISH_E10value_typeEPNSN_ISI_E10value_typeEPSJ_NS1_7vsmem_tEENKUlT_SH_SI_SJ_E_clIS9_S9_SD_PlEESG_SW_SH_SI_SJ_EUlSW_E_NS1_11comp_targetILNS1_3genE10ELNS1_11target_archE1201ELNS1_3gpuE5ELNS1_3repE0EEENS1_48merge_mergepath_partition_config_static_selectorELNS0_4arch9wavefront6targetE1EEEvSI_
	.globl	_ZN7rocprim17ROCPRIM_400000_NS6detail17trampoline_kernelINS0_14default_configENS1_38merge_sort_block_merge_config_selectorIN3c108BFloat16ElEEZZNS1_27merge_sort_block_merge_implIS3_PS6_N6thrust23THRUST_200600_302600_NS10device_ptrIlEEmNSB_4lessIS6_EEEE10hipError_tT0_T1_T2_jT3_P12ihipStream_tbPNSt15iterator_traitsISH_E10value_typeEPNSN_ISI_E10value_typeEPSJ_NS1_7vsmem_tEENKUlT_SH_SI_SJ_E_clIS9_S9_SD_PlEESG_SW_SH_SI_SJ_EUlSW_E_NS1_11comp_targetILNS1_3genE10ELNS1_11target_archE1201ELNS1_3gpuE5ELNS1_3repE0EEENS1_48merge_mergepath_partition_config_static_selectorELNS0_4arch9wavefront6targetE1EEEvSI_
	.p2align	8
	.type	_ZN7rocprim17ROCPRIM_400000_NS6detail17trampoline_kernelINS0_14default_configENS1_38merge_sort_block_merge_config_selectorIN3c108BFloat16ElEEZZNS1_27merge_sort_block_merge_implIS3_PS6_N6thrust23THRUST_200600_302600_NS10device_ptrIlEEmNSB_4lessIS6_EEEE10hipError_tT0_T1_T2_jT3_P12ihipStream_tbPNSt15iterator_traitsISH_E10value_typeEPNSN_ISI_E10value_typeEPSJ_NS1_7vsmem_tEENKUlT_SH_SI_SJ_E_clIS9_S9_SD_PlEESG_SW_SH_SI_SJ_EUlSW_E_NS1_11comp_targetILNS1_3genE10ELNS1_11target_archE1201ELNS1_3gpuE5ELNS1_3repE0EEENS1_48merge_mergepath_partition_config_static_selectorELNS0_4arch9wavefront6targetE1EEEvSI_,@function
_ZN7rocprim17ROCPRIM_400000_NS6detail17trampoline_kernelINS0_14default_configENS1_38merge_sort_block_merge_config_selectorIN3c108BFloat16ElEEZZNS1_27merge_sort_block_merge_implIS3_PS6_N6thrust23THRUST_200600_302600_NS10device_ptrIlEEmNSB_4lessIS6_EEEE10hipError_tT0_T1_T2_jT3_P12ihipStream_tbPNSt15iterator_traitsISH_E10value_typeEPNSN_ISI_E10value_typeEPSJ_NS1_7vsmem_tEENKUlT_SH_SI_SJ_E_clIS9_S9_SD_PlEESG_SW_SH_SI_SJ_EUlSW_E_NS1_11comp_targetILNS1_3genE10ELNS1_11target_archE1201ELNS1_3gpuE5ELNS1_3repE0EEENS1_48merge_mergepath_partition_config_static_selectorELNS0_4arch9wavefront6targetE1EEEvSI_: ; @_ZN7rocprim17ROCPRIM_400000_NS6detail17trampoline_kernelINS0_14default_configENS1_38merge_sort_block_merge_config_selectorIN3c108BFloat16ElEEZZNS1_27merge_sort_block_merge_implIS3_PS6_N6thrust23THRUST_200600_302600_NS10device_ptrIlEEmNSB_4lessIS6_EEEE10hipError_tT0_T1_T2_jT3_P12ihipStream_tbPNSt15iterator_traitsISH_E10value_typeEPNSN_ISI_E10value_typeEPSJ_NS1_7vsmem_tEENKUlT_SH_SI_SJ_E_clIS9_S9_SD_PlEESG_SW_SH_SI_SJ_EUlSW_E_NS1_11comp_targetILNS1_3genE10ELNS1_11target_archE1201ELNS1_3gpuE5ELNS1_3repE0EEENS1_48merge_mergepath_partition_config_static_selectorELNS0_4arch9wavefront6targetE1EEEvSI_
; %bb.0:
	.section	.rodata,"a",@progbits
	.p2align	6, 0x0
	.amdhsa_kernel _ZN7rocprim17ROCPRIM_400000_NS6detail17trampoline_kernelINS0_14default_configENS1_38merge_sort_block_merge_config_selectorIN3c108BFloat16ElEEZZNS1_27merge_sort_block_merge_implIS3_PS6_N6thrust23THRUST_200600_302600_NS10device_ptrIlEEmNSB_4lessIS6_EEEE10hipError_tT0_T1_T2_jT3_P12ihipStream_tbPNSt15iterator_traitsISH_E10value_typeEPNSN_ISI_E10value_typeEPSJ_NS1_7vsmem_tEENKUlT_SH_SI_SJ_E_clIS9_S9_SD_PlEESG_SW_SH_SI_SJ_EUlSW_E_NS1_11comp_targetILNS1_3genE10ELNS1_11target_archE1201ELNS1_3gpuE5ELNS1_3repE0EEENS1_48merge_mergepath_partition_config_static_selectorELNS0_4arch9wavefront6targetE1EEEvSI_
		.amdhsa_group_segment_fixed_size 0
		.amdhsa_private_segment_fixed_size 0
		.amdhsa_kernarg_size 48
		.amdhsa_user_sgpr_count 6
		.amdhsa_user_sgpr_private_segment_buffer 1
		.amdhsa_user_sgpr_dispatch_ptr 0
		.amdhsa_user_sgpr_queue_ptr 0
		.amdhsa_user_sgpr_kernarg_segment_ptr 1
		.amdhsa_user_sgpr_dispatch_id 0
		.amdhsa_user_sgpr_flat_scratch_init 0
		.amdhsa_user_sgpr_kernarg_preload_length 0
		.amdhsa_user_sgpr_kernarg_preload_offset 0
		.amdhsa_user_sgpr_private_segment_size 0
		.amdhsa_uses_dynamic_stack 0
		.amdhsa_system_sgpr_private_segment_wavefront_offset 0
		.amdhsa_system_sgpr_workgroup_id_x 1
		.amdhsa_system_sgpr_workgroup_id_y 0
		.amdhsa_system_sgpr_workgroup_id_z 0
		.amdhsa_system_sgpr_workgroup_info 0
		.amdhsa_system_vgpr_workitem_id 0
		.amdhsa_next_free_vgpr 1
		.amdhsa_next_free_sgpr 0
		.amdhsa_accum_offset 4
		.amdhsa_reserve_vcc 0
		.amdhsa_reserve_flat_scratch 0
		.amdhsa_float_round_mode_32 0
		.amdhsa_float_round_mode_16_64 0
		.amdhsa_float_denorm_mode_32 3
		.amdhsa_float_denorm_mode_16_64 3
		.amdhsa_dx10_clamp 1
		.amdhsa_ieee_mode 1
		.amdhsa_fp16_overflow 0
		.amdhsa_tg_split 0
		.amdhsa_exception_fp_ieee_invalid_op 0
		.amdhsa_exception_fp_denorm_src 0
		.amdhsa_exception_fp_ieee_div_zero 0
		.amdhsa_exception_fp_ieee_overflow 0
		.amdhsa_exception_fp_ieee_underflow 0
		.amdhsa_exception_fp_ieee_inexact 0
		.amdhsa_exception_int_div_zero 0
	.end_amdhsa_kernel
	.section	.text._ZN7rocprim17ROCPRIM_400000_NS6detail17trampoline_kernelINS0_14default_configENS1_38merge_sort_block_merge_config_selectorIN3c108BFloat16ElEEZZNS1_27merge_sort_block_merge_implIS3_PS6_N6thrust23THRUST_200600_302600_NS10device_ptrIlEEmNSB_4lessIS6_EEEE10hipError_tT0_T1_T2_jT3_P12ihipStream_tbPNSt15iterator_traitsISH_E10value_typeEPNSN_ISI_E10value_typeEPSJ_NS1_7vsmem_tEENKUlT_SH_SI_SJ_E_clIS9_S9_SD_PlEESG_SW_SH_SI_SJ_EUlSW_E_NS1_11comp_targetILNS1_3genE10ELNS1_11target_archE1201ELNS1_3gpuE5ELNS1_3repE0EEENS1_48merge_mergepath_partition_config_static_selectorELNS0_4arch9wavefront6targetE1EEEvSI_,"axG",@progbits,_ZN7rocprim17ROCPRIM_400000_NS6detail17trampoline_kernelINS0_14default_configENS1_38merge_sort_block_merge_config_selectorIN3c108BFloat16ElEEZZNS1_27merge_sort_block_merge_implIS3_PS6_N6thrust23THRUST_200600_302600_NS10device_ptrIlEEmNSB_4lessIS6_EEEE10hipError_tT0_T1_T2_jT3_P12ihipStream_tbPNSt15iterator_traitsISH_E10value_typeEPNSN_ISI_E10value_typeEPSJ_NS1_7vsmem_tEENKUlT_SH_SI_SJ_E_clIS9_S9_SD_PlEESG_SW_SH_SI_SJ_EUlSW_E_NS1_11comp_targetILNS1_3genE10ELNS1_11target_archE1201ELNS1_3gpuE5ELNS1_3repE0EEENS1_48merge_mergepath_partition_config_static_selectorELNS0_4arch9wavefront6targetE1EEEvSI_,comdat
.Lfunc_end2004:
	.size	_ZN7rocprim17ROCPRIM_400000_NS6detail17trampoline_kernelINS0_14default_configENS1_38merge_sort_block_merge_config_selectorIN3c108BFloat16ElEEZZNS1_27merge_sort_block_merge_implIS3_PS6_N6thrust23THRUST_200600_302600_NS10device_ptrIlEEmNSB_4lessIS6_EEEE10hipError_tT0_T1_T2_jT3_P12ihipStream_tbPNSt15iterator_traitsISH_E10value_typeEPNSN_ISI_E10value_typeEPSJ_NS1_7vsmem_tEENKUlT_SH_SI_SJ_E_clIS9_S9_SD_PlEESG_SW_SH_SI_SJ_EUlSW_E_NS1_11comp_targetILNS1_3genE10ELNS1_11target_archE1201ELNS1_3gpuE5ELNS1_3repE0EEENS1_48merge_mergepath_partition_config_static_selectorELNS0_4arch9wavefront6targetE1EEEvSI_, .Lfunc_end2004-_ZN7rocprim17ROCPRIM_400000_NS6detail17trampoline_kernelINS0_14default_configENS1_38merge_sort_block_merge_config_selectorIN3c108BFloat16ElEEZZNS1_27merge_sort_block_merge_implIS3_PS6_N6thrust23THRUST_200600_302600_NS10device_ptrIlEEmNSB_4lessIS6_EEEE10hipError_tT0_T1_T2_jT3_P12ihipStream_tbPNSt15iterator_traitsISH_E10value_typeEPNSN_ISI_E10value_typeEPSJ_NS1_7vsmem_tEENKUlT_SH_SI_SJ_E_clIS9_S9_SD_PlEESG_SW_SH_SI_SJ_EUlSW_E_NS1_11comp_targetILNS1_3genE10ELNS1_11target_archE1201ELNS1_3gpuE5ELNS1_3repE0EEENS1_48merge_mergepath_partition_config_static_selectorELNS0_4arch9wavefront6targetE1EEEvSI_
                                        ; -- End function
	.section	.AMDGPU.csdata,"",@progbits
; Kernel info:
; codeLenInByte = 0
; NumSgprs: 4
; NumVgprs: 0
; NumAgprs: 0
; TotalNumVgprs: 0
; ScratchSize: 0
; MemoryBound: 0
; FloatMode: 240
; IeeeMode: 1
; LDSByteSize: 0 bytes/workgroup (compile time only)
; SGPRBlocks: 0
; VGPRBlocks: 0
; NumSGPRsForWavesPerEU: 4
; NumVGPRsForWavesPerEU: 1
; AccumOffset: 4
; Occupancy: 8
; WaveLimiterHint : 0
; COMPUTE_PGM_RSRC2:SCRATCH_EN: 0
; COMPUTE_PGM_RSRC2:USER_SGPR: 6
; COMPUTE_PGM_RSRC2:TRAP_HANDLER: 0
; COMPUTE_PGM_RSRC2:TGID_X_EN: 1
; COMPUTE_PGM_RSRC2:TGID_Y_EN: 0
; COMPUTE_PGM_RSRC2:TGID_Z_EN: 0
; COMPUTE_PGM_RSRC2:TIDIG_COMP_CNT: 0
; COMPUTE_PGM_RSRC3_GFX90A:ACCUM_OFFSET: 0
; COMPUTE_PGM_RSRC3_GFX90A:TG_SPLIT: 0
	.section	.text._ZN7rocprim17ROCPRIM_400000_NS6detail17trampoline_kernelINS0_14default_configENS1_38merge_sort_block_merge_config_selectorIN3c108BFloat16ElEEZZNS1_27merge_sort_block_merge_implIS3_PS6_N6thrust23THRUST_200600_302600_NS10device_ptrIlEEmNSB_4lessIS6_EEEE10hipError_tT0_T1_T2_jT3_P12ihipStream_tbPNSt15iterator_traitsISH_E10value_typeEPNSN_ISI_E10value_typeEPSJ_NS1_7vsmem_tEENKUlT_SH_SI_SJ_E_clIS9_S9_SD_PlEESG_SW_SH_SI_SJ_EUlSW_E_NS1_11comp_targetILNS1_3genE5ELNS1_11target_archE942ELNS1_3gpuE9ELNS1_3repE0EEENS1_48merge_mergepath_partition_config_static_selectorELNS0_4arch9wavefront6targetE1EEEvSI_,"axG",@progbits,_ZN7rocprim17ROCPRIM_400000_NS6detail17trampoline_kernelINS0_14default_configENS1_38merge_sort_block_merge_config_selectorIN3c108BFloat16ElEEZZNS1_27merge_sort_block_merge_implIS3_PS6_N6thrust23THRUST_200600_302600_NS10device_ptrIlEEmNSB_4lessIS6_EEEE10hipError_tT0_T1_T2_jT3_P12ihipStream_tbPNSt15iterator_traitsISH_E10value_typeEPNSN_ISI_E10value_typeEPSJ_NS1_7vsmem_tEENKUlT_SH_SI_SJ_E_clIS9_S9_SD_PlEESG_SW_SH_SI_SJ_EUlSW_E_NS1_11comp_targetILNS1_3genE5ELNS1_11target_archE942ELNS1_3gpuE9ELNS1_3repE0EEENS1_48merge_mergepath_partition_config_static_selectorELNS0_4arch9wavefront6targetE1EEEvSI_,comdat
	.protected	_ZN7rocprim17ROCPRIM_400000_NS6detail17trampoline_kernelINS0_14default_configENS1_38merge_sort_block_merge_config_selectorIN3c108BFloat16ElEEZZNS1_27merge_sort_block_merge_implIS3_PS6_N6thrust23THRUST_200600_302600_NS10device_ptrIlEEmNSB_4lessIS6_EEEE10hipError_tT0_T1_T2_jT3_P12ihipStream_tbPNSt15iterator_traitsISH_E10value_typeEPNSN_ISI_E10value_typeEPSJ_NS1_7vsmem_tEENKUlT_SH_SI_SJ_E_clIS9_S9_SD_PlEESG_SW_SH_SI_SJ_EUlSW_E_NS1_11comp_targetILNS1_3genE5ELNS1_11target_archE942ELNS1_3gpuE9ELNS1_3repE0EEENS1_48merge_mergepath_partition_config_static_selectorELNS0_4arch9wavefront6targetE1EEEvSI_ ; -- Begin function _ZN7rocprim17ROCPRIM_400000_NS6detail17trampoline_kernelINS0_14default_configENS1_38merge_sort_block_merge_config_selectorIN3c108BFloat16ElEEZZNS1_27merge_sort_block_merge_implIS3_PS6_N6thrust23THRUST_200600_302600_NS10device_ptrIlEEmNSB_4lessIS6_EEEE10hipError_tT0_T1_T2_jT3_P12ihipStream_tbPNSt15iterator_traitsISH_E10value_typeEPNSN_ISI_E10value_typeEPSJ_NS1_7vsmem_tEENKUlT_SH_SI_SJ_E_clIS9_S9_SD_PlEESG_SW_SH_SI_SJ_EUlSW_E_NS1_11comp_targetILNS1_3genE5ELNS1_11target_archE942ELNS1_3gpuE9ELNS1_3repE0EEENS1_48merge_mergepath_partition_config_static_selectorELNS0_4arch9wavefront6targetE1EEEvSI_
	.globl	_ZN7rocprim17ROCPRIM_400000_NS6detail17trampoline_kernelINS0_14default_configENS1_38merge_sort_block_merge_config_selectorIN3c108BFloat16ElEEZZNS1_27merge_sort_block_merge_implIS3_PS6_N6thrust23THRUST_200600_302600_NS10device_ptrIlEEmNSB_4lessIS6_EEEE10hipError_tT0_T1_T2_jT3_P12ihipStream_tbPNSt15iterator_traitsISH_E10value_typeEPNSN_ISI_E10value_typeEPSJ_NS1_7vsmem_tEENKUlT_SH_SI_SJ_E_clIS9_S9_SD_PlEESG_SW_SH_SI_SJ_EUlSW_E_NS1_11comp_targetILNS1_3genE5ELNS1_11target_archE942ELNS1_3gpuE9ELNS1_3repE0EEENS1_48merge_mergepath_partition_config_static_selectorELNS0_4arch9wavefront6targetE1EEEvSI_
	.p2align	8
	.type	_ZN7rocprim17ROCPRIM_400000_NS6detail17trampoline_kernelINS0_14default_configENS1_38merge_sort_block_merge_config_selectorIN3c108BFloat16ElEEZZNS1_27merge_sort_block_merge_implIS3_PS6_N6thrust23THRUST_200600_302600_NS10device_ptrIlEEmNSB_4lessIS6_EEEE10hipError_tT0_T1_T2_jT3_P12ihipStream_tbPNSt15iterator_traitsISH_E10value_typeEPNSN_ISI_E10value_typeEPSJ_NS1_7vsmem_tEENKUlT_SH_SI_SJ_E_clIS9_S9_SD_PlEESG_SW_SH_SI_SJ_EUlSW_E_NS1_11comp_targetILNS1_3genE5ELNS1_11target_archE942ELNS1_3gpuE9ELNS1_3repE0EEENS1_48merge_mergepath_partition_config_static_selectorELNS0_4arch9wavefront6targetE1EEEvSI_,@function
_ZN7rocprim17ROCPRIM_400000_NS6detail17trampoline_kernelINS0_14default_configENS1_38merge_sort_block_merge_config_selectorIN3c108BFloat16ElEEZZNS1_27merge_sort_block_merge_implIS3_PS6_N6thrust23THRUST_200600_302600_NS10device_ptrIlEEmNSB_4lessIS6_EEEE10hipError_tT0_T1_T2_jT3_P12ihipStream_tbPNSt15iterator_traitsISH_E10value_typeEPNSN_ISI_E10value_typeEPSJ_NS1_7vsmem_tEENKUlT_SH_SI_SJ_E_clIS9_S9_SD_PlEESG_SW_SH_SI_SJ_EUlSW_E_NS1_11comp_targetILNS1_3genE5ELNS1_11target_archE942ELNS1_3gpuE9ELNS1_3repE0EEENS1_48merge_mergepath_partition_config_static_selectorELNS0_4arch9wavefront6targetE1EEEvSI_: ; @_ZN7rocprim17ROCPRIM_400000_NS6detail17trampoline_kernelINS0_14default_configENS1_38merge_sort_block_merge_config_selectorIN3c108BFloat16ElEEZZNS1_27merge_sort_block_merge_implIS3_PS6_N6thrust23THRUST_200600_302600_NS10device_ptrIlEEmNSB_4lessIS6_EEEE10hipError_tT0_T1_T2_jT3_P12ihipStream_tbPNSt15iterator_traitsISH_E10value_typeEPNSN_ISI_E10value_typeEPSJ_NS1_7vsmem_tEENKUlT_SH_SI_SJ_E_clIS9_S9_SD_PlEESG_SW_SH_SI_SJ_EUlSW_E_NS1_11comp_targetILNS1_3genE5ELNS1_11target_archE942ELNS1_3gpuE9ELNS1_3repE0EEENS1_48merge_mergepath_partition_config_static_selectorELNS0_4arch9wavefront6targetE1EEEvSI_
; %bb.0:
	.section	.rodata,"a",@progbits
	.p2align	6, 0x0
	.amdhsa_kernel _ZN7rocprim17ROCPRIM_400000_NS6detail17trampoline_kernelINS0_14default_configENS1_38merge_sort_block_merge_config_selectorIN3c108BFloat16ElEEZZNS1_27merge_sort_block_merge_implIS3_PS6_N6thrust23THRUST_200600_302600_NS10device_ptrIlEEmNSB_4lessIS6_EEEE10hipError_tT0_T1_T2_jT3_P12ihipStream_tbPNSt15iterator_traitsISH_E10value_typeEPNSN_ISI_E10value_typeEPSJ_NS1_7vsmem_tEENKUlT_SH_SI_SJ_E_clIS9_S9_SD_PlEESG_SW_SH_SI_SJ_EUlSW_E_NS1_11comp_targetILNS1_3genE5ELNS1_11target_archE942ELNS1_3gpuE9ELNS1_3repE0EEENS1_48merge_mergepath_partition_config_static_selectorELNS0_4arch9wavefront6targetE1EEEvSI_
		.amdhsa_group_segment_fixed_size 0
		.amdhsa_private_segment_fixed_size 0
		.amdhsa_kernarg_size 48
		.amdhsa_user_sgpr_count 6
		.amdhsa_user_sgpr_private_segment_buffer 1
		.amdhsa_user_sgpr_dispatch_ptr 0
		.amdhsa_user_sgpr_queue_ptr 0
		.amdhsa_user_sgpr_kernarg_segment_ptr 1
		.amdhsa_user_sgpr_dispatch_id 0
		.amdhsa_user_sgpr_flat_scratch_init 0
		.amdhsa_user_sgpr_kernarg_preload_length 0
		.amdhsa_user_sgpr_kernarg_preload_offset 0
		.amdhsa_user_sgpr_private_segment_size 0
		.amdhsa_uses_dynamic_stack 0
		.amdhsa_system_sgpr_private_segment_wavefront_offset 0
		.amdhsa_system_sgpr_workgroup_id_x 1
		.amdhsa_system_sgpr_workgroup_id_y 0
		.amdhsa_system_sgpr_workgroup_id_z 0
		.amdhsa_system_sgpr_workgroup_info 0
		.amdhsa_system_vgpr_workitem_id 0
		.amdhsa_next_free_vgpr 1
		.amdhsa_next_free_sgpr 0
		.amdhsa_accum_offset 4
		.amdhsa_reserve_vcc 0
		.amdhsa_reserve_flat_scratch 0
		.amdhsa_float_round_mode_32 0
		.amdhsa_float_round_mode_16_64 0
		.amdhsa_float_denorm_mode_32 3
		.amdhsa_float_denorm_mode_16_64 3
		.amdhsa_dx10_clamp 1
		.amdhsa_ieee_mode 1
		.amdhsa_fp16_overflow 0
		.amdhsa_tg_split 0
		.amdhsa_exception_fp_ieee_invalid_op 0
		.amdhsa_exception_fp_denorm_src 0
		.amdhsa_exception_fp_ieee_div_zero 0
		.amdhsa_exception_fp_ieee_overflow 0
		.amdhsa_exception_fp_ieee_underflow 0
		.amdhsa_exception_fp_ieee_inexact 0
		.amdhsa_exception_int_div_zero 0
	.end_amdhsa_kernel
	.section	.text._ZN7rocprim17ROCPRIM_400000_NS6detail17trampoline_kernelINS0_14default_configENS1_38merge_sort_block_merge_config_selectorIN3c108BFloat16ElEEZZNS1_27merge_sort_block_merge_implIS3_PS6_N6thrust23THRUST_200600_302600_NS10device_ptrIlEEmNSB_4lessIS6_EEEE10hipError_tT0_T1_T2_jT3_P12ihipStream_tbPNSt15iterator_traitsISH_E10value_typeEPNSN_ISI_E10value_typeEPSJ_NS1_7vsmem_tEENKUlT_SH_SI_SJ_E_clIS9_S9_SD_PlEESG_SW_SH_SI_SJ_EUlSW_E_NS1_11comp_targetILNS1_3genE5ELNS1_11target_archE942ELNS1_3gpuE9ELNS1_3repE0EEENS1_48merge_mergepath_partition_config_static_selectorELNS0_4arch9wavefront6targetE1EEEvSI_,"axG",@progbits,_ZN7rocprim17ROCPRIM_400000_NS6detail17trampoline_kernelINS0_14default_configENS1_38merge_sort_block_merge_config_selectorIN3c108BFloat16ElEEZZNS1_27merge_sort_block_merge_implIS3_PS6_N6thrust23THRUST_200600_302600_NS10device_ptrIlEEmNSB_4lessIS6_EEEE10hipError_tT0_T1_T2_jT3_P12ihipStream_tbPNSt15iterator_traitsISH_E10value_typeEPNSN_ISI_E10value_typeEPSJ_NS1_7vsmem_tEENKUlT_SH_SI_SJ_E_clIS9_S9_SD_PlEESG_SW_SH_SI_SJ_EUlSW_E_NS1_11comp_targetILNS1_3genE5ELNS1_11target_archE942ELNS1_3gpuE9ELNS1_3repE0EEENS1_48merge_mergepath_partition_config_static_selectorELNS0_4arch9wavefront6targetE1EEEvSI_,comdat
.Lfunc_end2005:
	.size	_ZN7rocprim17ROCPRIM_400000_NS6detail17trampoline_kernelINS0_14default_configENS1_38merge_sort_block_merge_config_selectorIN3c108BFloat16ElEEZZNS1_27merge_sort_block_merge_implIS3_PS6_N6thrust23THRUST_200600_302600_NS10device_ptrIlEEmNSB_4lessIS6_EEEE10hipError_tT0_T1_T2_jT3_P12ihipStream_tbPNSt15iterator_traitsISH_E10value_typeEPNSN_ISI_E10value_typeEPSJ_NS1_7vsmem_tEENKUlT_SH_SI_SJ_E_clIS9_S9_SD_PlEESG_SW_SH_SI_SJ_EUlSW_E_NS1_11comp_targetILNS1_3genE5ELNS1_11target_archE942ELNS1_3gpuE9ELNS1_3repE0EEENS1_48merge_mergepath_partition_config_static_selectorELNS0_4arch9wavefront6targetE1EEEvSI_, .Lfunc_end2005-_ZN7rocprim17ROCPRIM_400000_NS6detail17trampoline_kernelINS0_14default_configENS1_38merge_sort_block_merge_config_selectorIN3c108BFloat16ElEEZZNS1_27merge_sort_block_merge_implIS3_PS6_N6thrust23THRUST_200600_302600_NS10device_ptrIlEEmNSB_4lessIS6_EEEE10hipError_tT0_T1_T2_jT3_P12ihipStream_tbPNSt15iterator_traitsISH_E10value_typeEPNSN_ISI_E10value_typeEPSJ_NS1_7vsmem_tEENKUlT_SH_SI_SJ_E_clIS9_S9_SD_PlEESG_SW_SH_SI_SJ_EUlSW_E_NS1_11comp_targetILNS1_3genE5ELNS1_11target_archE942ELNS1_3gpuE9ELNS1_3repE0EEENS1_48merge_mergepath_partition_config_static_selectorELNS0_4arch9wavefront6targetE1EEEvSI_
                                        ; -- End function
	.section	.AMDGPU.csdata,"",@progbits
; Kernel info:
; codeLenInByte = 0
; NumSgprs: 4
; NumVgprs: 0
; NumAgprs: 0
; TotalNumVgprs: 0
; ScratchSize: 0
; MemoryBound: 0
; FloatMode: 240
; IeeeMode: 1
; LDSByteSize: 0 bytes/workgroup (compile time only)
; SGPRBlocks: 0
; VGPRBlocks: 0
; NumSGPRsForWavesPerEU: 4
; NumVGPRsForWavesPerEU: 1
; AccumOffset: 4
; Occupancy: 8
; WaveLimiterHint : 0
; COMPUTE_PGM_RSRC2:SCRATCH_EN: 0
; COMPUTE_PGM_RSRC2:USER_SGPR: 6
; COMPUTE_PGM_RSRC2:TRAP_HANDLER: 0
; COMPUTE_PGM_RSRC2:TGID_X_EN: 1
; COMPUTE_PGM_RSRC2:TGID_Y_EN: 0
; COMPUTE_PGM_RSRC2:TGID_Z_EN: 0
; COMPUTE_PGM_RSRC2:TIDIG_COMP_CNT: 0
; COMPUTE_PGM_RSRC3_GFX90A:ACCUM_OFFSET: 0
; COMPUTE_PGM_RSRC3_GFX90A:TG_SPLIT: 0
	.section	.text._ZN7rocprim17ROCPRIM_400000_NS6detail17trampoline_kernelINS0_14default_configENS1_38merge_sort_block_merge_config_selectorIN3c108BFloat16ElEEZZNS1_27merge_sort_block_merge_implIS3_PS6_N6thrust23THRUST_200600_302600_NS10device_ptrIlEEmNSB_4lessIS6_EEEE10hipError_tT0_T1_T2_jT3_P12ihipStream_tbPNSt15iterator_traitsISH_E10value_typeEPNSN_ISI_E10value_typeEPSJ_NS1_7vsmem_tEENKUlT_SH_SI_SJ_E_clIS9_S9_SD_PlEESG_SW_SH_SI_SJ_EUlSW_E_NS1_11comp_targetILNS1_3genE4ELNS1_11target_archE910ELNS1_3gpuE8ELNS1_3repE0EEENS1_48merge_mergepath_partition_config_static_selectorELNS0_4arch9wavefront6targetE1EEEvSI_,"axG",@progbits,_ZN7rocprim17ROCPRIM_400000_NS6detail17trampoline_kernelINS0_14default_configENS1_38merge_sort_block_merge_config_selectorIN3c108BFloat16ElEEZZNS1_27merge_sort_block_merge_implIS3_PS6_N6thrust23THRUST_200600_302600_NS10device_ptrIlEEmNSB_4lessIS6_EEEE10hipError_tT0_T1_T2_jT3_P12ihipStream_tbPNSt15iterator_traitsISH_E10value_typeEPNSN_ISI_E10value_typeEPSJ_NS1_7vsmem_tEENKUlT_SH_SI_SJ_E_clIS9_S9_SD_PlEESG_SW_SH_SI_SJ_EUlSW_E_NS1_11comp_targetILNS1_3genE4ELNS1_11target_archE910ELNS1_3gpuE8ELNS1_3repE0EEENS1_48merge_mergepath_partition_config_static_selectorELNS0_4arch9wavefront6targetE1EEEvSI_,comdat
	.protected	_ZN7rocprim17ROCPRIM_400000_NS6detail17trampoline_kernelINS0_14default_configENS1_38merge_sort_block_merge_config_selectorIN3c108BFloat16ElEEZZNS1_27merge_sort_block_merge_implIS3_PS6_N6thrust23THRUST_200600_302600_NS10device_ptrIlEEmNSB_4lessIS6_EEEE10hipError_tT0_T1_T2_jT3_P12ihipStream_tbPNSt15iterator_traitsISH_E10value_typeEPNSN_ISI_E10value_typeEPSJ_NS1_7vsmem_tEENKUlT_SH_SI_SJ_E_clIS9_S9_SD_PlEESG_SW_SH_SI_SJ_EUlSW_E_NS1_11comp_targetILNS1_3genE4ELNS1_11target_archE910ELNS1_3gpuE8ELNS1_3repE0EEENS1_48merge_mergepath_partition_config_static_selectorELNS0_4arch9wavefront6targetE1EEEvSI_ ; -- Begin function _ZN7rocprim17ROCPRIM_400000_NS6detail17trampoline_kernelINS0_14default_configENS1_38merge_sort_block_merge_config_selectorIN3c108BFloat16ElEEZZNS1_27merge_sort_block_merge_implIS3_PS6_N6thrust23THRUST_200600_302600_NS10device_ptrIlEEmNSB_4lessIS6_EEEE10hipError_tT0_T1_T2_jT3_P12ihipStream_tbPNSt15iterator_traitsISH_E10value_typeEPNSN_ISI_E10value_typeEPSJ_NS1_7vsmem_tEENKUlT_SH_SI_SJ_E_clIS9_S9_SD_PlEESG_SW_SH_SI_SJ_EUlSW_E_NS1_11comp_targetILNS1_3genE4ELNS1_11target_archE910ELNS1_3gpuE8ELNS1_3repE0EEENS1_48merge_mergepath_partition_config_static_selectorELNS0_4arch9wavefront6targetE1EEEvSI_
	.globl	_ZN7rocprim17ROCPRIM_400000_NS6detail17trampoline_kernelINS0_14default_configENS1_38merge_sort_block_merge_config_selectorIN3c108BFloat16ElEEZZNS1_27merge_sort_block_merge_implIS3_PS6_N6thrust23THRUST_200600_302600_NS10device_ptrIlEEmNSB_4lessIS6_EEEE10hipError_tT0_T1_T2_jT3_P12ihipStream_tbPNSt15iterator_traitsISH_E10value_typeEPNSN_ISI_E10value_typeEPSJ_NS1_7vsmem_tEENKUlT_SH_SI_SJ_E_clIS9_S9_SD_PlEESG_SW_SH_SI_SJ_EUlSW_E_NS1_11comp_targetILNS1_3genE4ELNS1_11target_archE910ELNS1_3gpuE8ELNS1_3repE0EEENS1_48merge_mergepath_partition_config_static_selectorELNS0_4arch9wavefront6targetE1EEEvSI_
	.p2align	8
	.type	_ZN7rocprim17ROCPRIM_400000_NS6detail17trampoline_kernelINS0_14default_configENS1_38merge_sort_block_merge_config_selectorIN3c108BFloat16ElEEZZNS1_27merge_sort_block_merge_implIS3_PS6_N6thrust23THRUST_200600_302600_NS10device_ptrIlEEmNSB_4lessIS6_EEEE10hipError_tT0_T1_T2_jT3_P12ihipStream_tbPNSt15iterator_traitsISH_E10value_typeEPNSN_ISI_E10value_typeEPSJ_NS1_7vsmem_tEENKUlT_SH_SI_SJ_E_clIS9_S9_SD_PlEESG_SW_SH_SI_SJ_EUlSW_E_NS1_11comp_targetILNS1_3genE4ELNS1_11target_archE910ELNS1_3gpuE8ELNS1_3repE0EEENS1_48merge_mergepath_partition_config_static_selectorELNS0_4arch9wavefront6targetE1EEEvSI_,@function
_ZN7rocprim17ROCPRIM_400000_NS6detail17trampoline_kernelINS0_14default_configENS1_38merge_sort_block_merge_config_selectorIN3c108BFloat16ElEEZZNS1_27merge_sort_block_merge_implIS3_PS6_N6thrust23THRUST_200600_302600_NS10device_ptrIlEEmNSB_4lessIS6_EEEE10hipError_tT0_T1_T2_jT3_P12ihipStream_tbPNSt15iterator_traitsISH_E10value_typeEPNSN_ISI_E10value_typeEPSJ_NS1_7vsmem_tEENKUlT_SH_SI_SJ_E_clIS9_S9_SD_PlEESG_SW_SH_SI_SJ_EUlSW_E_NS1_11comp_targetILNS1_3genE4ELNS1_11target_archE910ELNS1_3gpuE8ELNS1_3repE0EEENS1_48merge_mergepath_partition_config_static_selectorELNS0_4arch9wavefront6targetE1EEEvSI_: ; @_ZN7rocprim17ROCPRIM_400000_NS6detail17trampoline_kernelINS0_14default_configENS1_38merge_sort_block_merge_config_selectorIN3c108BFloat16ElEEZZNS1_27merge_sort_block_merge_implIS3_PS6_N6thrust23THRUST_200600_302600_NS10device_ptrIlEEmNSB_4lessIS6_EEEE10hipError_tT0_T1_T2_jT3_P12ihipStream_tbPNSt15iterator_traitsISH_E10value_typeEPNSN_ISI_E10value_typeEPSJ_NS1_7vsmem_tEENKUlT_SH_SI_SJ_E_clIS9_S9_SD_PlEESG_SW_SH_SI_SJ_EUlSW_E_NS1_11comp_targetILNS1_3genE4ELNS1_11target_archE910ELNS1_3gpuE8ELNS1_3repE0EEENS1_48merge_mergepath_partition_config_static_selectorELNS0_4arch9wavefront6targetE1EEEvSI_
; %bb.0:
	s_load_dword s0, s[4:5], 0x0
	v_lshl_or_b32 v0, s6, 7, v0
	s_waitcnt lgkmcnt(0)
	v_cmp_gt_u32_e32 vcc, s0, v0
	s_and_saveexec_b64 s[0:1], vcc
	s_cbranch_execz .LBB2006_6
; %bb.1:
	s_load_dwordx4 s[0:3], s[4:5], 0x8
	s_load_dwordx2 s[6:7], s[4:5], 0x28
	v_mov_b32_e32 v5, 0
	s_waitcnt lgkmcnt(0)
	v_mov_b32_e32 v1, s0
	v_alignbit_b32 v1, s1, v1, 9
	v_and_b32_e32 v1, -2, v1
	v_add_u32_e32 v2, -1, v1
	v_sub_u32_e32 v1, 0, v1
	v_and_b32_e32 v4, v0, v1
	v_lshlrev_b64 v[8:9], 10, v[4:5]
	v_mov_b32_e32 v1, s3
	v_cmp_lt_u64_e32 vcc, s[2:3], v[8:9]
	v_mov_b32_e32 v4, s2
	v_and_b32_e32 v6, v2, v0
	v_cndmask_b32_e32 v3, v9, v1, vcc
	v_cndmask_b32_e32 v2, v8, v4, vcc
	v_mov_b32_e32 v7, s1
	v_add_co_u32_e32 v8, vcc, s0, v8
	v_addc_co_u32_e32 v9, vcc, v9, v7, vcc
	v_cmp_lt_u64_e32 vcc, s[2:3], v[8:9]
	v_cndmask_b32_e32 v8, v8, v4, vcc
	v_cndmask_b32_e32 v9, v9, v1, vcc
	v_add_co_u32_e32 v10, vcc, s0, v8
	v_addc_co_u32_e32 v11, vcc, v9, v7, vcc
	v_cmp_lt_u64_e32 vcc, s[2:3], v[10:11]
	v_cndmask_b32_e32 v12, v10, v4, vcc
	v_cndmask_b32_e32 v1, v11, v1, vcc
	v_sub_co_u32_e32 v10, vcc, v12, v2
	v_mov_b32_e32 v7, v5
	v_subb_co_u32_e32 v11, vcc, v1, v3, vcc
	v_lshlrev_b64 v[4:5], 10, v[6:7]
	v_cmp_lt_u64_e32 vcc, v[10:11], v[4:5]
	v_cndmask_b32_e32 v11, v5, v11, vcc
	v_cndmask_b32_e32 v10, v4, v10, vcc
	v_sub_co_u32_e32 v6, vcc, v8, v2
	v_subb_co_u32_e32 v7, vcc, v9, v3, vcc
	v_sub_co_u32_e32 v4, vcc, v8, v12
	v_subb_co_u32_e32 v1, vcc, v9, v1, vcc
	v_add_co_u32_e32 v4, vcc, v10, v4
	v_addc_co_u32_e32 v5, vcc, v11, v1, vcc
	v_cmp_gt_u64_e32 vcc, v[4:5], v[10:11]
	v_cndmask_b32_e64 v5, v5, 0, vcc
	v_cndmask_b32_e64 v4, v4, 0, vcc
	v_cmp_lt_u64_e32 vcc, v[10:11], v[6:7]
	v_cndmask_b32_e32 v7, v7, v11, vcc
	v_cndmask_b32_e32 v6, v6, v10, vcc
	v_cmp_lt_u64_e32 vcc, v[4:5], v[6:7]
	s_and_saveexec_b64 s[0:1], vcc
	s_cbranch_execz .LBB2006_5
; %bb.2:
	s_load_dwordx2 s[2:3], s[4:5], 0x18
	v_lshlrev_b64 v[12:13], 1, v[2:3]
	v_lshlrev_b64 v[8:9], 1, v[8:9]
	s_waitcnt lgkmcnt(0)
	v_mov_b32_e32 v14, s3
	v_add_co_u32_e32 v1, vcc, s2, v12
	v_addc_co_u32_e32 v12, vcc, v14, v13, vcc
	v_add_co_u32_e32 v13, vcc, s2, v8
	v_addc_co_u32_e32 v14, vcc, v14, v9, vcc
	v_lshlrev_b64 v[8:9], 1, v[10:11]
	v_add_co_u32_e32 v8, vcc, v13, v8
	v_addc_co_u32_e32 v9, vcc, v14, v9, vcc
	s_mov_b64 s[2:3], 0
.LBB2006_3:                             ; =>This Inner Loop Header: Depth=1
	v_add_co_u32_e32 v10, vcc, v6, v4
	v_addc_co_u32_e32 v11, vcc, v7, v5, vcc
	v_lshrrev_b64 v[14:15], 1, v[10:11]
	v_and_b32_e32 v10, -2, v10
	v_not_b32_e32 v17, v15
	v_not_b32_e32 v16, v14
	v_add_co_u32_e32 v10, vcc, v1, v10
	v_addc_co_u32_e32 v11, vcc, v12, v11, vcc
	v_lshlrev_b64 v[16:17], 1, v[16:17]
	v_add_co_u32_e32 v16, vcc, v8, v16
	v_addc_co_u32_e32 v17, vcc, v9, v17, vcc
	global_load_ushort v13, v[10:11], off
	global_load_ushort v18, v[16:17], off
	v_add_co_u32_e32 v10, vcc, 1, v14
	v_addc_co_u32_e32 v11, vcc, 0, v15, vcc
	s_waitcnt vmcnt(1)
	v_lshlrev_b32_e32 v13, 16, v13
	s_waitcnt vmcnt(0)
	v_lshlrev_b32_e32 v16, 16, v18
	v_cmp_lt_f32_e32 vcc, v16, v13
	v_cndmask_b32_e32 v7, v7, v15, vcc
	v_cndmask_b32_e32 v6, v6, v14, vcc
	;; [unrolled: 1-line block ×4, first 2 shown]
	v_cmp_ge_u64_e32 vcc, v[4:5], v[6:7]
	s_or_b64 s[2:3], vcc, s[2:3]
	s_andn2_b64 exec, exec, s[2:3]
	s_cbranch_execnz .LBB2006_3
; %bb.4:
	s_or_b64 exec, exec, s[2:3]
.LBB2006_5:
	s_or_b64 exec, exec, s[0:1]
	v_add_co_u32_e32 v2, vcc, v4, v2
	v_mov_b32_e32 v1, 0
	v_addc_co_u32_e32 v3, vcc, v5, v3, vcc
	v_lshlrev_b64 v[0:1], 3, v[0:1]
	v_mov_b32_e32 v4, s7
	v_add_co_u32_e32 v0, vcc, s6, v0
	v_addc_co_u32_e32 v1, vcc, v4, v1, vcc
	global_store_dwordx2 v[0:1], v[2:3], off
.LBB2006_6:
	s_endpgm
	.section	.rodata,"a",@progbits
	.p2align	6, 0x0
	.amdhsa_kernel _ZN7rocprim17ROCPRIM_400000_NS6detail17trampoline_kernelINS0_14default_configENS1_38merge_sort_block_merge_config_selectorIN3c108BFloat16ElEEZZNS1_27merge_sort_block_merge_implIS3_PS6_N6thrust23THRUST_200600_302600_NS10device_ptrIlEEmNSB_4lessIS6_EEEE10hipError_tT0_T1_T2_jT3_P12ihipStream_tbPNSt15iterator_traitsISH_E10value_typeEPNSN_ISI_E10value_typeEPSJ_NS1_7vsmem_tEENKUlT_SH_SI_SJ_E_clIS9_S9_SD_PlEESG_SW_SH_SI_SJ_EUlSW_E_NS1_11comp_targetILNS1_3genE4ELNS1_11target_archE910ELNS1_3gpuE8ELNS1_3repE0EEENS1_48merge_mergepath_partition_config_static_selectorELNS0_4arch9wavefront6targetE1EEEvSI_
		.amdhsa_group_segment_fixed_size 0
		.amdhsa_private_segment_fixed_size 0
		.amdhsa_kernarg_size 48
		.amdhsa_user_sgpr_count 6
		.amdhsa_user_sgpr_private_segment_buffer 1
		.amdhsa_user_sgpr_dispatch_ptr 0
		.amdhsa_user_sgpr_queue_ptr 0
		.amdhsa_user_sgpr_kernarg_segment_ptr 1
		.amdhsa_user_sgpr_dispatch_id 0
		.amdhsa_user_sgpr_flat_scratch_init 0
		.amdhsa_user_sgpr_kernarg_preload_length 0
		.amdhsa_user_sgpr_kernarg_preload_offset 0
		.amdhsa_user_sgpr_private_segment_size 0
		.amdhsa_uses_dynamic_stack 0
		.amdhsa_system_sgpr_private_segment_wavefront_offset 0
		.amdhsa_system_sgpr_workgroup_id_x 1
		.amdhsa_system_sgpr_workgroup_id_y 0
		.amdhsa_system_sgpr_workgroup_id_z 0
		.amdhsa_system_sgpr_workgroup_info 0
		.amdhsa_system_vgpr_workitem_id 0
		.amdhsa_next_free_vgpr 19
		.amdhsa_next_free_sgpr 8
		.amdhsa_accum_offset 20
		.amdhsa_reserve_vcc 1
		.amdhsa_reserve_flat_scratch 0
		.amdhsa_float_round_mode_32 0
		.amdhsa_float_round_mode_16_64 0
		.amdhsa_float_denorm_mode_32 3
		.amdhsa_float_denorm_mode_16_64 3
		.amdhsa_dx10_clamp 1
		.amdhsa_ieee_mode 1
		.amdhsa_fp16_overflow 0
		.amdhsa_tg_split 0
		.amdhsa_exception_fp_ieee_invalid_op 0
		.amdhsa_exception_fp_denorm_src 0
		.amdhsa_exception_fp_ieee_div_zero 0
		.amdhsa_exception_fp_ieee_overflow 0
		.amdhsa_exception_fp_ieee_underflow 0
		.amdhsa_exception_fp_ieee_inexact 0
		.amdhsa_exception_int_div_zero 0
	.end_amdhsa_kernel
	.section	.text._ZN7rocprim17ROCPRIM_400000_NS6detail17trampoline_kernelINS0_14default_configENS1_38merge_sort_block_merge_config_selectorIN3c108BFloat16ElEEZZNS1_27merge_sort_block_merge_implIS3_PS6_N6thrust23THRUST_200600_302600_NS10device_ptrIlEEmNSB_4lessIS6_EEEE10hipError_tT0_T1_T2_jT3_P12ihipStream_tbPNSt15iterator_traitsISH_E10value_typeEPNSN_ISI_E10value_typeEPSJ_NS1_7vsmem_tEENKUlT_SH_SI_SJ_E_clIS9_S9_SD_PlEESG_SW_SH_SI_SJ_EUlSW_E_NS1_11comp_targetILNS1_3genE4ELNS1_11target_archE910ELNS1_3gpuE8ELNS1_3repE0EEENS1_48merge_mergepath_partition_config_static_selectorELNS0_4arch9wavefront6targetE1EEEvSI_,"axG",@progbits,_ZN7rocprim17ROCPRIM_400000_NS6detail17trampoline_kernelINS0_14default_configENS1_38merge_sort_block_merge_config_selectorIN3c108BFloat16ElEEZZNS1_27merge_sort_block_merge_implIS3_PS6_N6thrust23THRUST_200600_302600_NS10device_ptrIlEEmNSB_4lessIS6_EEEE10hipError_tT0_T1_T2_jT3_P12ihipStream_tbPNSt15iterator_traitsISH_E10value_typeEPNSN_ISI_E10value_typeEPSJ_NS1_7vsmem_tEENKUlT_SH_SI_SJ_E_clIS9_S9_SD_PlEESG_SW_SH_SI_SJ_EUlSW_E_NS1_11comp_targetILNS1_3genE4ELNS1_11target_archE910ELNS1_3gpuE8ELNS1_3repE0EEENS1_48merge_mergepath_partition_config_static_selectorELNS0_4arch9wavefront6targetE1EEEvSI_,comdat
.Lfunc_end2006:
	.size	_ZN7rocprim17ROCPRIM_400000_NS6detail17trampoline_kernelINS0_14default_configENS1_38merge_sort_block_merge_config_selectorIN3c108BFloat16ElEEZZNS1_27merge_sort_block_merge_implIS3_PS6_N6thrust23THRUST_200600_302600_NS10device_ptrIlEEmNSB_4lessIS6_EEEE10hipError_tT0_T1_T2_jT3_P12ihipStream_tbPNSt15iterator_traitsISH_E10value_typeEPNSN_ISI_E10value_typeEPSJ_NS1_7vsmem_tEENKUlT_SH_SI_SJ_E_clIS9_S9_SD_PlEESG_SW_SH_SI_SJ_EUlSW_E_NS1_11comp_targetILNS1_3genE4ELNS1_11target_archE910ELNS1_3gpuE8ELNS1_3repE0EEENS1_48merge_mergepath_partition_config_static_selectorELNS0_4arch9wavefront6targetE1EEEvSI_, .Lfunc_end2006-_ZN7rocprim17ROCPRIM_400000_NS6detail17trampoline_kernelINS0_14default_configENS1_38merge_sort_block_merge_config_selectorIN3c108BFloat16ElEEZZNS1_27merge_sort_block_merge_implIS3_PS6_N6thrust23THRUST_200600_302600_NS10device_ptrIlEEmNSB_4lessIS6_EEEE10hipError_tT0_T1_T2_jT3_P12ihipStream_tbPNSt15iterator_traitsISH_E10value_typeEPNSN_ISI_E10value_typeEPSJ_NS1_7vsmem_tEENKUlT_SH_SI_SJ_E_clIS9_S9_SD_PlEESG_SW_SH_SI_SJ_EUlSW_E_NS1_11comp_targetILNS1_3genE4ELNS1_11target_archE910ELNS1_3gpuE8ELNS1_3repE0EEENS1_48merge_mergepath_partition_config_static_selectorELNS0_4arch9wavefront6targetE1EEEvSI_
                                        ; -- End function
	.section	.AMDGPU.csdata,"",@progbits
; Kernel info:
; codeLenInByte = 508
; NumSgprs: 12
; NumVgprs: 19
; NumAgprs: 0
; TotalNumVgprs: 19
; ScratchSize: 0
; MemoryBound: 0
; FloatMode: 240
; IeeeMode: 1
; LDSByteSize: 0 bytes/workgroup (compile time only)
; SGPRBlocks: 1
; VGPRBlocks: 2
; NumSGPRsForWavesPerEU: 12
; NumVGPRsForWavesPerEU: 19
; AccumOffset: 20
; Occupancy: 8
; WaveLimiterHint : 0
; COMPUTE_PGM_RSRC2:SCRATCH_EN: 0
; COMPUTE_PGM_RSRC2:USER_SGPR: 6
; COMPUTE_PGM_RSRC2:TRAP_HANDLER: 0
; COMPUTE_PGM_RSRC2:TGID_X_EN: 1
; COMPUTE_PGM_RSRC2:TGID_Y_EN: 0
; COMPUTE_PGM_RSRC2:TGID_Z_EN: 0
; COMPUTE_PGM_RSRC2:TIDIG_COMP_CNT: 0
; COMPUTE_PGM_RSRC3_GFX90A:ACCUM_OFFSET: 4
; COMPUTE_PGM_RSRC3_GFX90A:TG_SPLIT: 0
	.section	.text._ZN7rocprim17ROCPRIM_400000_NS6detail17trampoline_kernelINS0_14default_configENS1_38merge_sort_block_merge_config_selectorIN3c108BFloat16ElEEZZNS1_27merge_sort_block_merge_implIS3_PS6_N6thrust23THRUST_200600_302600_NS10device_ptrIlEEmNSB_4lessIS6_EEEE10hipError_tT0_T1_T2_jT3_P12ihipStream_tbPNSt15iterator_traitsISH_E10value_typeEPNSN_ISI_E10value_typeEPSJ_NS1_7vsmem_tEENKUlT_SH_SI_SJ_E_clIS9_S9_SD_PlEESG_SW_SH_SI_SJ_EUlSW_E_NS1_11comp_targetILNS1_3genE3ELNS1_11target_archE908ELNS1_3gpuE7ELNS1_3repE0EEENS1_48merge_mergepath_partition_config_static_selectorELNS0_4arch9wavefront6targetE1EEEvSI_,"axG",@progbits,_ZN7rocprim17ROCPRIM_400000_NS6detail17trampoline_kernelINS0_14default_configENS1_38merge_sort_block_merge_config_selectorIN3c108BFloat16ElEEZZNS1_27merge_sort_block_merge_implIS3_PS6_N6thrust23THRUST_200600_302600_NS10device_ptrIlEEmNSB_4lessIS6_EEEE10hipError_tT0_T1_T2_jT3_P12ihipStream_tbPNSt15iterator_traitsISH_E10value_typeEPNSN_ISI_E10value_typeEPSJ_NS1_7vsmem_tEENKUlT_SH_SI_SJ_E_clIS9_S9_SD_PlEESG_SW_SH_SI_SJ_EUlSW_E_NS1_11comp_targetILNS1_3genE3ELNS1_11target_archE908ELNS1_3gpuE7ELNS1_3repE0EEENS1_48merge_mergepath_partition_config_static_selectorELNS0_4arch9wavefront6targetE1EEEvSI_,comdat
	.protected	_ZN7rocprim17ROCPRIM_400000_NS6detail17trampoline_kernelINS0_14default_configENS1_38merge_sort_block_merge_config_selectorIN3c108BFloat16ElEEZZNS1_27merge_sort_block_merge_implIS3_PS6_N6thrust23THRUST_200600_302600_NS10device_ptrIlEEmNSB_4lessIS6_EEEE10hipError_tT0_T1_T2_jT3_P12ihipStream_tbPNSt15iterator_traitsISH_E10value_typeEPNSN_ISI_E10value_typeEPSJ_NS1_7vsmem_tEENKUlT_SH_SI_SJ_E_clIS9_S9_SD_PlEESG_SW_SH_SI_SJ_EUlSW_E_NS1_11comp_targetILNS1_3genE3ELNS1_11target_archE908ELNS1_3gpuE7ELNS1_3repE0EEENS1_48merge_mergepath_partition_config_static_selectorELNS0_4arch9wavefront6targetE1EEEvSI_ ; -- Begin function _ZN7rocprim17ROCPRIM_400000_NS6detail17trampoline_kernelINS0_14default_configENS1_38merge_sort_block_merge_config_selectorIN3c108BFloat16ElEEZZNS1_27merge_sort_block_merge_implIS3_PS6_N6thrust23THRUST_200600_302600_NS10device_ptrIlEEmNSB_4lessIS6_EEEE10hipError_tT0_T1_T2_jT3_P12ihipStream_tbPNSt15iterator_traitsISH_E10value_typeEPNSN_ISI_E10value_typeEPSJ_NS1_7vsmem_tEENKUlT_SH_SI_SJ_E_clIS9_S9_SD_PlEESG_SW_SH_SI_SJ_EUlSW_E_NS1_11comp_targetILNS1_3genE3ELNS1_11target_archE908ELNS1_3gpuE7ELNS1_3repE0EEENS1_48merge_mergepath_partition_config_static_selectorELNS0_4arch9wavefront6targetE1EEEvSI_
	.globl	_ZN7rocprim17ROCPRIM_400000_NS6detail17trampoline_kernelINS0_14default_configENS1_38merge_sort_block_merge_config_selectorIN3c108BFloat16ElEEZZNS1_27merge_sort_block_merge_implIS3_PS6_N6thrust23THRUST_200600_302600_NS10device_ptrIlEEmNSB_4lessIS6_EEEE10hipError_tT0_T1_T2_jT3_P12ihipStream_tbPNSt15iterator_traitsISH_E10value_typeEPNSN_ISI_E10value_typeEPSJ_NS1_7vsmem_tEENKUlT_SH_SI_SJ_E_clIS9_S9_SD_PlEESG_SW_SH_SI_SJ_EUlSW_E_NS1_11comp_targetILNS1_3genE3ELNS1_11target_archE908ELNS1_3gpuE7ELNS1_3repE0EEENS1_48merge_mergepath_partition_config_static_selectorELNS0_4arch9wavefront6targetE1EEEvSI_
	.p2align	8
	.type	_ZN7rocprim17ROCPRIM_400000_NS6detail17trampoline_kernelINS0_14default_configENS1_38merge_sort_block_merge_config_selectorIN3c108BFloat16ElEEZZNS1_27merge_sort_block_merge_implIS3_PS6_N6thrust23THRUST_200600_302600_NS10device_ptrIlEEmNSB_4lessIS6_EEEE10hipError_tT0_T1_T2_jT3_P12ihipStream_tbPNSt15iterator_traitsISH_E10value_typeEPNSN_ISI_E10value_typeEPSJ_NS1_7vsmem_tEENKUlT_SH_SI_SJ_E_clIS9_S9_SD_PlEESG_SW_SH_SI_SJ_EUlSW_E_NS1_11comp_targetILNS1_3genE3ELNS1_11target_archE908ELNS1_3gpuE7ELNS1_3repE0EEENS1_48merge_mergepath_partition_config_static_selectorELNS0_4arch9wavefront6targetE1EEEvSI_,@function
_ZN7rocprim17ROCPRIM_400000_NS6detail17trampoline_kernelINS0_14default_configENS1_38merge_sort_block_merge_config_selectorIN3c108BFloat16ElEEZZNS1_27merge_sort_block_merge_implIS3_PS6_N6thrust23THRUST_200600_302600_NS10device_ptrIlEEmNSB_4lessIS6_EEEE10hipError_tT0_T1_T2_jT3_P12ihipStream_tbPNSt15iterator_traitsISH_E10value_typeEPNSN_ISI_E10value_typeEPSJ_NS1_7vsmem_tEENKUlT_SH_SI_SJ_E_clIS9_S9_SD_PlEESG_SW_SH_SI_SJ_EUlSW_E_NS1_11comp_targetILNS1_3genE3ELNS1_11target_archE908ELNS1_3gpuE7ELNS1_3repE0EEENS1_48merge_mergepath_partition_config_static_selectorELNS0_4arch9wavefront6targetE1EEEvSI_: ; @_ZN7rocprim17ROCPRIM_400000_NS6detail17trampoline_kernelINS0_14default_configENS1_38merge_sort_block_merge_config_selectorIN3c108BFloat16ElEEZZNS1_27merge_sort_block_merge_implIS3_PS6_N6thrust23THRUST_200600_302600_NS10device_ptrIlEEmNSB_4lessIS6_EEEE10hipError_tT0_T1_T2_jT3_P12ihipStream_tbPNSt15iterator_traitsISH_E10value_typeEPNSN_ISI_E10value_typeEPSJ_NS1_7vsmem_tEENKUlT_SH_SI_SJ_E_clIS9_S9_SD_PlEESG_SW_SH_SI_SJ_EUlSW_E_NS1_11comp_targetILNS1_3genE3ELNS1_11target_archE908ELNS1_3gpuE7ELNS1_3repE0EEENS1_48merge_mergepath_partition_config_static_selectorELNS0_4arch9wavefront6targetE1EEEvSI_
; %bb.0:
	.section	.rodata,"a",@progbits
	.p2align	6, 0x0
	.amdhsa_kernel _ZN7rocprim17ROCPRIM_400000_NS6detail17trampoline_kernelINS0_14default_configENS1_38merge_sort_block_merge_config_selectorIN3c108BFloat16ElEEZZNS1_27merge_sort_block_merge_implIS3_PS6_N6thrust23THRUST_200600_302600_NS10device_ptrIlEEmNSB_4lessIS6_EEEE10hipError_tT0_T1_T2_jT3_P12ihipStream_tbPNSt15iterator_traitsISH_E10value_typeEPNSN_ISI_E10value_typeEPSJ_NS1_7vsmem_tEENKUlT_SH_SI_SJ_E_clIS9_S9_SD_PlEESG_SW_SH_SI_SJ_EUlSW_E_NS1_11comp_targetILNS1_3genE3ELNS1_11target_archE908ELNS1_3gpuE7ELNS1_3repE0EEENS1_48merge_mergepath_partition_config_static_selectorELNS0_4arch9wavefront6targetE1EEEvSI_
		.amdhsa_group_segment_fixed_size 0
		.amdhsa_private_segment_fixed_size 0
		.amdhsa_kernarg_size 48
		.amdhsa_user_sgpr_count 6
		.amdhsa_user_sgpr_private_segment_buffer 1
		.amdhsa_user_sgpr_dispatch_ptr 0
		.amdhsa_user_sgpr_queue_ptr 0
		.amdhsa_user_sgpr_kernarg_segment_ptr 1
		.amdhsa_user_sgpr_dispatch_id 0
		.amdhsa_user_sgpr_flat_scratch_init 0
		.amdhsa_user_sgpr_kernarg_preload_length 0
		.amdhsa_user_sgpr_kernarg_preload_offset 0
		.amdhsa_user_sgpr_private_segment_size 0
		.amdhsa_uses_dynamic_stack 0
		.amdhsa_system_sgpr_private_segment_wavefront_offset 0
		.amdhsa_system_sgpr_workgroup_id_x 1
		.amdhsa_system_sgpr_workgroup_id_y 0
		.amdhsa_system_sgpr_workgroup_id_z 0
		.amdhsa_system_sgpr_workgroup_info 0
		.amdhsa_system_vgpr_workitem_id 0
		.amdhsa_next_free_vgpr 1
		.amdhsa_next_free_sgpr 0
		.amdhsa_accum_offset 4
		.amdhsa_reserve_vcc 0
		.amdhsa_reserve_flat_scratch 0
		.amdhsa_float_round_mode_32 0
		.amdhsa_float_round_mode_16_64 0
		.amdhsa_float_denorm_mode_32 3
		.amdhsa_float_denorm_mode_16_64 3
		.amdhsa_dx10_clamp 1
		.amdhsa_ieee_mode 1
		.amdhsa_fp16_overflow 0
		.amdhsa_tg_split 0
		.amdhsa_exception_fp_ieee_invalid_op 0
		.amdhsa_exception_fp_denorm_src 0
		.amdhsa_exception_fp_ieee_div_zero 0
		.amdhsa_exception_fp_ieee_overflow 0
		.amdhsa_exception_fp_ieee_underflow 0
		.amdhsa_exception_fp_ieee_inexact 0
		.amdhsa_exception_int_div_zero 0
	.end_amdhsa_kernel
	.section	.text._ZN7rocprim17ROCPRIM_400000_NS6detail17trampoline_kernelINS0_14default_configENS1_38merge_sort_block_merge_config_selectorIN3c108BFloat16ElEEZZNS1_27merge_sort_block_merge_implIS3_PS6_N6thrust23THRUST_200600_302600_NS10device_ptrIlEEmNSB_4lessIS6_EEEE10hipError_tT0_T1_T2_jT3_P12ihipStream_tbPNSt15iterator_traitsISH_E10value_typeEPNSN_ISI_E10value_typeEPSJ_NS1_7vsmem_tEENKUlT_SH_SI_SJ_E_clIS9_S9_SD_PlEESG_SW_SH_SI_SJ_EUlSW_E_NS1_11comp_targetILNS1_3genE3ELNS1_11target_archE908ELNS1_3gpuE7ELNS1_3repE0EEENS1_48merge_mergepath_partition_config_static_selectorELNS0_4arch9wavefront6targetE1EEEvSI_,"axG",@progbits,_ZN7rocprim17ROCPRIM_400000_NS6detail17trampoline_kernelINS0_14default_configENS1_38merge_sort_block_merge_config_selectorIN3c108BFloat16ElEEZZNS1_27merge_sort_block_merge_implIS3_PS6_N6thrust23THRUST_200600_302600_NS10device_ptrIlEEmNSB_4lessIS6_EEEE10hipError_tT0_T1_T2_jT3_P12ihipStream_tbPNSt15iterator_traitsISH_E10value_typeEPNSN_ISI_E10value_typeEPSJ_NS1_7vsmem_tEENKUlT_SH_SI_SJ_E_clIS9_S9_SD_PlEESG_SW_SH_SI_SJ_EUlSW_E_NS1_11comp_targetILNS1_3genE3ELNS1_11target_archE908ELNS1_3gpuE7ELNS1_3repE0EEENS1_48merge_mergepath_partition_config_static_selectorELNS0_4arch9wavefront6targetE1EEEvSI_,comdat
.Lfunc_end2007:
	.size	_ZN7rocprim17ROCPRIM_400000_NS6detail17trampoline_kernelINS0_14default_configENS1_38merge_sort_block_merge_config_selectorIN3c108BFloat16ElEEZZNS1_27merge_sort_block_merge_implIS3_PS6_N6thrust23THRUST_200600_302600_NS10device_ptrIlEEmNSB_4lessIS6_EEEE10hipError_tT0_T1_T2_jT3_P12ihipStream_tbPNSt15iterator_traitsISH_E10value_typeEPNSN_ISI_E10value_typeEPSJ_NS1_7vsmem_tEENKUlT_SH_SI_SJ_E_clIS9_S9_SD_PlEESG_SW_SH_SI_SJ_EUlSW_E_NS1_11comp_targetILNS1_3genE3ELNS1_11target_archE908ELNS1_3gpuE7ELNS1_3repE0EEENS1_48merge_mergepath_partition_config_static_selectorELNS0_4arch9wavefront6targetE1EEEvSI_, .Lfunc_end2007-_ZN7rocprim17ROCPRIM_400000_NS6detail17trampoline_kernelINS0_14default_configENS1_38merge_sort_block_merge_config_selectorIN3c108BFloat16ElEEZZNS1_27merge_sort_block_merge_implIS3_PS6_N6thrust23THRUST_200600_302600_NS10device_ptrIlEEmNSB_4lessIS6_EEEE10hipError_tT0_T1_T2_jT3_P12ihipStream_tbPNSt15iterator_traitsISH_E10value_typeEPNSN_ISI_E10value_typeEPSJ_NS1_7vsmem_tEENKUlT_SH_SI_SJ_E_clIS9_S9_SD_PlEESG_SW_SH_SI_SJ_EUlSW_E_NS1_11comp_targetILNS1_3genE3ELNS1_11target_archE908ELNS1_3gpuE7ELNS1_3repE0EEENS1_48merge_mergepath_partition_config_static_selectorELNS0_4arch9wavefront6targetE1EEEvSI_
                                        ; -- End function
	.section	.AMDGPU.csdata,"",@progbits
; Kernel info:
; codeLenInByte = 0
; NumSgprs: 4
; NumVgprs: 0
; NumAgprs: 0
; TotalNumVgprs: 0
; ScratchSize: 0
; MemoryBound: 0
; FloatMode: 240
; IeeeMode: 1
; LDSByteSize: 0 bytes/workgroup (compile time only)
; SGPRBlocks: 0
; VGPRBlocks: 0
; NumSGPRsForWavesPerEU: 4
; NumVGPRsForWavesPerEU: 1
; AccumOffset: 4
; Occupancy: 8
; WaveLimiterHint : 0
; COMPUTE_PGM_RSRC2:SCRATCH_EN: 0
; COMPUTE_PGM_RSRC2:USER_SGPR: 6
; COMPUTE_PGM_RSRC2:TRAP_HANDLER: 0
; COMPUTE_PGM_RSRC2:TGID_X_EN: 1
; COMPUTE_PGM_RSRC2:TGID_Y_EN: 0
; COMPUTE_PGM_RSRC2:TGID_Z_EN: 0
; COMPUTE_PGM_RSRC2:TIDIG_COMP_CNT: 0
; COMPUTE_PGM_RSRC3_GFX90A:ACCUM_OFFSET: 0
; COMPUTE_PGM_RSRC3_GFX90A:TG_SPLIT: 0
	.section	.text._ZN7rocprim17ROCPRIM_400000_NS6detail17trampoline_kernelINS0_14default_configENS1_38merge_sort_block_merge_config_selectorIN3c108BFloat16ElEEZZNS1_27merge_sort_block_merge_implIS3_PS6_N6thrust23THRUST_200600_302600_NS10device_ptrIlEEmNSB_4lessIS6_EEEE10hipError_tT0_T1_T2_jT3_P12ihipStream_tbPNSt15iterator_traitsISH_E10value_typeEPNSN_ISI_E10value_typeEPSJ_NS1_7vsmem_tEENKUlT_SH_SI_SJ_E_clIS9_S9_SD_PlEESG_SW_SH_SI_SJ_EUlSW_E_NS1_11comp_targetILNS1_3genE2ELNS1_11target_archE906ELNS1_3gpuE6ELNS1_3repE0EEENS1_48merge_mergepath_partition_config_static_selectorELNS0_4arch9wavefront6targetE1EEEvSI_,"axG",@progbits,_ZN7rocprim17ROCPRIM_400000_NS6detail17trampoline_kernelINS0_14default_configENS1_38merge_sort_block_merge_config_selectorIN3c108BFloat16ElEEZZNS1_27merge_sort_block_merge_implIS3_PS6_N6thrust23THRUST_200600_302600_NS10device_ptrIlEEmNSB_4lessIS6_EEEE10hipError_tT0_T1_T2_jT3_P12ihipStream_tbPNSt15iterator_traitsISH_E10value_typeEPNSN_ISI_E10value_typeEPSJ_NS1_7vsmem_tEENKUlT_SH_SI_SJ_E_clIS9_S9_SD_PlEESG_SW_SH_SI_SJ_EUlSW_E_NS1_11comp_targetILNS1_3genE2ELNS1_11target_archE906ELNS1_3gpuE6ELNS1_3repE0EEENS1_48merge_mergepath_partition_config_static_selectorELNS0_4arch9wavefront6targetE1EEEvSI_,comdat
	.protected	_ZN7rocprim17ROCPRIM_400000_NS6detail17trampoline_kernelINS0_14default_configENS1_38merge_sort_block_merge_config_selectorIN3c108BFloat16ElEEZZNS1_27merge_sort_block_merge_implIS3_PS6_N6thrust23THRUST_200600_302600_NS10device_ptrIlEEmNSB_4lessIS6_EEEE10hipError_tT0_T1_T2_jT3_P12ihipStream_tbPNSt15iterator_traitsISH_E10value_typeEPNSN_ISI_E10value_typeEPSJ_NS1_7vsmem_tEENKUlT_SH_SI_SJ_E_clIS9_S9_SD_PlEESG_SW_SH_SI_SJ_EUlSW_E_NS1_11comp_targetILNS1_3genE2ELNS1_11target_archE906ELNS1_3gpuE6ELNS1_3repE0EEENS1_48merge_mergepath_partition_config_static_selectorELNS0_4arch9wavefront6targetE1EEEvSI_ ; -- Begin function _ZN7rocprim17ROCPRIM_400000_NS6detail17trampoline_kernelINS0_14default_configENS1_38merge_sort_block_merge_config_selectorIN3c108BFloat16ElEEZZNS1_27merge_sort_block_merge_implIS3_PS6_N6thrust23THRUST_200600_302600_NS10device_ptrIlEEmNSB_4lessIS6_EEEE10hipError_tT0_T1_T2_jT3_P12ihipStream_tbPNSt15iterator_traitsISH_E10value_typeEPNSN_ISI_E10value_typeEPSJ_NS1_7vsmem_tEENKUlT_SH_SI_SJ_E_clIS9_S9_SD_PlEESG_SW_SH_SI_SJ_EUlSW_E_NS1_11comp_targetILNS1_3genE2ELNS1_11target_archE906ELNS1_3gpuE6ELNS1_3repE0EEENS1_48merge_mergepath_partition_config_static_selectorELNS0_4arch9wavefront6targetE1EEEvSI_
	.globl	_ZN7rocprim17ROCPRIM_400000_NS6detail17trampoline_kernelINS0_14default_configENS1_38merge_sort_block_merge_config_selectorIN3c108BFloat16ElEEZZNS1_27merge_sort_block_merge_implIS3_PS6_N6thrust23THRUST_200600_302600_NS10device_ptrIlEEmNSB_4lessIS6_EEEE10hipError_tT0_T1_T2_jT3_P12ihipStream_tbPNSt15iterator_traitsISH_E10value_typeEPNSN_ISI_E10value_typeEPSJ_NS1_7vsmem_tEENKUlT_SH_SI_SJ_E_clIS9_S9_SD_PlEESG_SW_SH_SI_SJ_EUlSW_E_NS1_11comp_targetILNS1_3genE2ELNS1_11target_archE906ELNS1_3gpuE6ELNS1_3repE0EEENS1_48merge_mergepath_partition_config_static_selectorELNS0_4arch9wavefront6targetE1EEEvSI_
	.p2align	8
	.type	_ZN7rocprim17ROCPRIM_400000_NS6detail17trampoline_kernelINS0_14default_configENS1_38merge_sort_block_merge_config_selectorIN3c108BFloat16ElEEZZNS1_27merge_sort_block_merge_implIS3_PS6_N6thrust23THRUST_200600_302600_NS10device_ptrIlEEmNSB_4lessIS6_EEEE10hipError_tT0_T1_T2_jT3_P12ihipStream_tbPNSt15iterator_traitsISH_E10value_typeEPNSN_ISI_E10value_typeEPSJ_NS1_7vsmem_tEENKUlT_SH_SI_SJ_E_clIS9_S9_SD_PlEESG_SW_SH_SI_SJ_EUlSW_E_NS1_11comp_targetILNS1_3genE2ELNS1_11target_archE906ELNS1_3gpuE6ELNS1_3repE0EEENS1_48merge_mergepath_partition_config_static_selectorELNS0_4arch9wavefront6targetE1EEEvSI_,@function
_ZN7rocprim17ROCPRIM_400000_NS6detail17trampoline_kernelINS0_14default_configENS1_38merge_sort_block_merge_config_selectorIN3c108BFloat16ElEEZZNS1_27merge_sort_block_merge_implIS3_PS6_N6thrust23THRUST_200600_302600_NS10device_ptrIlEEmNSB_4lessIS6_EEEE10hipError_tT0_T1_T2_jT3_P12ihipStream_tbPNSt15iterator_traitsISH_E10value_typeEPNSN_ISI_E10value_typeEPSJ_NS1_7vsmem_tEENKUlT_SH_SI_SJ_E_clIS9_S9_SD_PlEESG_SW_SH_SI_SJ_EUlSW_E_NS1_11comp_targetILNS1_3genE2ELNS1_11target_archE906ELNS1_3gpuE6ELNS1_3repE0EEENS1_48merge_mergepath_partition_config_static_selectorELNS0_4arch9wavefront6targetE1EEEvSI_: ; @_ZN7rocprim17ROCPRIM_400000_NS6detail17trampoline_kernelINS0_14default_configENS1_38merge_sort_block_merge_config_selectorIN3c108BFloat16ElEEZZNS1_27merge_sort_block_merge_implIS3_PS6_N6thrust23THRUST_200600_302600_NS10device_ptrIlEEmNSB_4lessIS6_EEEE10hipError_tT0_T1_T2_jT3_P12ihipStream_tbPNSt15iterator_traitsISH_E10value_typeEPNSN_ISI_E10value_typeEPSJ_NS1_7vsmem_tEENKUlT_SH_SI_SJ_E_clIS9_S9_SD_PlEESG_SW_SH_SI_SJ_EUlSW_E_NS1_11comp_targetILNS1_3genE2ELNS1_11target_archE906ELNS1_3gpuE6ELNS1_3repE0EEENS1_48merge_mergepath_partition_config_static_selectorELNS0_4arch9wavefront6targetE1EEEvSI_
; %bb.0:
	.section	.rodata,"a",@progbits
	.p2align	6, 0x0
	.amdhsa_kernel _ZN7rocprim17ROCPRIM_400000_NS6detail17trampoline_kernelINS0_14default_configENS1_38merge_sort_block_merge_config_selectorIN3c108BFloat16ElEEZZNS1_27merge_sort_block_merge_implIS3_PS6_N6thrust23THRUST_200600_302600_NS10device_ptrIlEEmNSB_4lessIS6_EEEE10hipError_tT0_T1_T2_jT3_P12ihipStream_tbPNSt15iterator_traitsISH_E10value_typeEPNSN_ISI_E10value_typeEPSJ_NS1_7vsmem_tEENKUlT_SH_SI_SJ_E_clIS9_S9_SD_PlEESG_SW_SH_SI_SJ_EUlSW_E_NS1_11comp_targetILNS1_3genE2ELNS1_11target_archE906ELNS1_3gpuE6ELNS1_3repE0EEENS1_48merge_mergepath_partition_config_static_selectorELNS0_4arch9wavefront6targetE1EEEvSI_
		.amdhsa_group_segment_fixed_size 0
		.amdhsa_private_segment_fixed_size 0
		.amdhsa_kernarg_size 48
		.amdhsa_user_sgpr_count 6
		.amdhsa_user_sgpr_private_segment_buffer 1
		.amdhsa_user_sgpr_dispatch_ptr 0
		.amdhsa_user_sgpr_queue_ptr 0
		.amdhsa_user_sgpr_kernarg_segment_ptr 1
		.amdhsa_user_sgpr_dispatch_id 0
		.amdhsa_user_sgpr_flat_scratch_init 0
		.amdhsa_user_sgpr_kernarg_preload_length 0
		.amdhsa_user_sgpr_kernarg_preload_offset 0
		.amdhsa_user_sgpr_private_segment_size 0
		.amdhsa_uses_dynamic_stack 0
		.amdhsa_system_sgpr_private_segment_wavefront_offset 0
		.amdhsa_system_sgpr_workgroup_id_x 1
		.amdhsa_system_sgpr_workgroup_id_y 0
		.amdhsa_system_sgpr_workgroup_id_z 0
		.amdhsa_system_sgpr_workgroup_info 0
		.amdhsa_system_vgpr_workitem_id 0
		.amdhsa_next_free_vgpr 1
		.amdhsa_next_free_sgpr 0
		.amdhsa_accum_offset 4
		.amdhsa_reserve_vcc 0
		.amdhsa_reserve_flat_scratch 0
		.amdhsa_float_round_mode_32 0
		.amdhsa_float_round_mode_16_64 0
		.amdhsa_float_denorm_mode_32 3
		.amdhsa_float_denorm_mode_16_64 3
		.amdhsa_dx10_clamp 1
		.amdhsa_ieee_mode 1
		.amdhsa_fp16_overflow 0
		.amdhsa_tg_split 0
		.amdhsa_exception_fp_ieee_invalid_op 0
		.amdhsa_exception_fp_denorm_src 0
		.amdhsa_exception_fp_ieee_div_zero 0
		.amdhsa_exception_fp_ieee_overflow 0
		.amdhsa_exception_fp_ieee_underflow 0
		.amdhsa_exception_fp_ieee_inexact 0
		.amdhsa_exception_int_div_zero 0
	.end_amdhsa_kernel
	.section	.text._ZN7rocprim17ROCPRIM_400000_NS6detail17trampoline_kernelINS0_14default_configENS1_38merge_sort_block_merge_config_selectorIN3c108BFloat16ElEEZZNS1_27merge_sort_block_merge_implIS3_PS6_N6thrust23THRUST_200600_302600_NS10device_ptrIlEEmNSB_4lessIS6_EEEE10hipError_tT0_T1_T2_jT3_P12ihipStream_tbPNSt15iterator_traitsISH_E10value_typeEPNSN_ISI_E10value_typeEPSJ_NS1_7vsmem_tEENKUlT_SH_SI_SJ_E_clIS9_S9_SD_PlEESG_SW_SH_SI_SJ_EUlSW_E_NS1_11comp_targetILNS1_3genE2ELNS1_11target_archE906ELNS1_3gpuE6ELNS1_3repE0EEENS1_48merge_mergepath_partition_config_static_selectorELNS0_4arch9wavefront6targetE1EEEvSI_,"axG",@progbits,_ZN7rocprim17ROCPRIM_400000_NS6detail17trampoline_kernelINS0_14default_configENS1_38merge_sort_block_merge_config_selectorIN3c108BFloat16ElEEZZNS1_27merge_sort_block_merge_implIS3_PS6_N6thrust23THRUST_200600_302600_NS10device_ptrIlEEmNSB_4lessIS6_EEEE10hipError_tT0_T1_T2_jT3_P12ihipStream_tbPNSt15iterator_traitsISH_E10value_typeEPNSN_ISI_E10value_typeEPSJ_NS1_7vsmem_tEENKUlT_SH_SI_SJ_E_clIS9_S9_SD_PlEESG_SW_SH_SI_SJ_EUlSW_E_NS1_11comp_targetILNS1_3genE2ELNS1_11target_archE906ELNS1_3gpuE6ELNS1_3repE0EEENS1_48merge_mergepath_partition_config_static_selectorELNS0_4arch9wavefront6targetE1EEEvSI_,comdat
.Lfunc_end2008:
	.size	_ZN7rocprim17ROCPRIM_400000_NS6detail17trampoline_kernelINS0_14default_configENS1_38merge_sort_block_merge_config_selectorIN3c108BFloat16ElEEZZNS1_27merge_sort_block_merge_implIS3_PS6_N6thrust23THRUST_200600_302600_NS10device_ptrIlEEmNSB_4lessIS6_EEEE10hipError_tT0_T1_T2_jT3_P12ihipStream_tbPNSt15iterator_traitsISH_E10value_typeEPNSN_ISI_E10value_typeEPSJ_NS1_7vsmem_tEENKUlT_SH_SI_SJ_E_clIS9_S9_SD_PlEESG_SW_SH_SI_SJ_EUlSW_E_NS1_11comp_targetILNS1_3genE2ELNS1_11target_archE906ELNS1_3gpuE6ELNS1_3repE0EEENS1_48merge_mergepath_partition_config_static_selectorELNS0_4arch9wavefront6targetE1EEEvSI_, .Lfunc_end2008-_ZN7rocprim17ROCPRIM_400000_NS6detail17trampoline_kernelINS0_14default_configENS1_38merge_sort_block_merge_config_selectorIN3c108BFloat16ElEEZZNS1_27merge_sort_block_merge_implIS3_PS6_N6thrust23THRUST_200600_302600_NS10device_ptrIlEEmNSB_4lessIS6_EEEE10hipError_tT0_T1_T2_jT3_P12ihipStream_tbPNSt15iterator_traitsISH_E10value_typeEPNSN_ISI_E10value_typeEPSJ_NS1_7vsmem_tEENKUlT_SH_SI_SJ_E_clIS9_S9_SD_PlEESG_SW_SH_SI_SJ_EUlSW_E_NS1_11comp_targetILNS1_3genE2ELNS1_11target_archE906ELNS1_3gpuE6ELNS1_3repE0EEENS1_48merge_mergepath_partition_config_static_selectorELNS0_4arch9wavefront6targetE1EEEvSI_
                                        ; -- End function
	.section	.AMDGPU.csdata,"",@progbits
; Kernel info:
; codeLenInByte = 0
; NumSgprs: 4
; NumVgprs: 0
; NumAgprs: 0
; TotalNumVgprs: 0
; ScratchSize: 0
; MemoryBound: 0
; FloatMode: 240
; IeeeMode: 1
; LDSByteSize: 0 bytes/workgroup (compile time only)
; SGPRBlocks: 0
; VGPRBlocks: 0
; NumSGPRsForWavesPerEU: 4
; NumVGPRsForWavesPerEU: 1
; AccumOffset: 4
; Occupancy: 8
; WaveLimiterHint : 0
; COMPUTE_PGM_RSRC2:SCRATCH_EN: 0
; COMPUTE_PGM_RSRC2:USER_SGPR: 6
; COMPUTE_PGM_RSRC2:TRAP_HANDLER: 0
; COMPUTE_PGM_RSRC2:TGID_X_EN: 1
; COMPUTE_PGM_RSRC2:TGID_Y_EN: 0
; COMPUTE_PGM_RSRC2:TGID_Z_EN: 0
; COMPUTE_PGM_RSRC2:TIDIG_COMP_CNT: 0
; COMPUTE_PGM_RSRC3_GFX90A:ACCUM_OFFSET: 0
; COMPUTE_PGM_RSRC3_GFX90A:TG_SPLIT: 0
	.section	.text._ZN7rocprim17ROCPRIM_400000_NS6detail17trampoline_kernelINS0_14default_configENS1_38merge_sort_block_merge_config_selectorIN3c108BFloat16ElEEZZNS1_27merge_sort_block_merge_implIS3_PS6_N6thrust23THRUST_200600_302600_NS10device_ptrIlEEmNSB_4lessIS6_EEEE10hipError_tT0_T1_T2_jT3_P12ihipStream_tbPNSt15iterator_traitsISH_E10value_typeEPNSN_ISI_E10value_typeEPSJ_NS1_7vsmem_tEENKUlT_SH_SI_SJ_E_clIS9_S9_SD_PlEESG_SW_SH_SI_SJ_EUlSW_E_NS1_11comp_targetILNS1_3genE9ELNS1_11target_archE1100ELNS1_3gpuE3ELNS1_3repE0EEENS1_48merge_mergepath_partition_config_static_selectorELNS0_4arch9wavefront6targetE1EEEvSI_,"axG",@progbits,_ZN7rocprim17ROCPRIM_400000_NS6detail17trampoline_kernelINS0_14default_configENS1_38merge_sort_block_merge_config_selectorIN3c108BFloat16ElEEZZNS1_27merge_sort_block_merge_implIS3_PS6_N6thrust23THRUST_200600_302600_NS10device_ptrIlEEmNSB_4lessIS6_EEEE10hipError_tT0_T1_T2_jT3_P12ihipStream_tbPNSt15iterator_traitsISH_E10value_typeEPNSN_ISI_E10value_typeEPSJ_NS1_7vsmem_tEENKUlT_SH_SI_SJ_E_clIS9_S9_SD_PlEESG_SW_SH_SI_SJ_EUlSW_E_NS1_11comp_targetILNS1_3genE9ELNS1_11target_archE1100ELNS1_3gpuE3ELNS1_3repE0EEENS1_48merge_mergepath_partition_config_static_selectorELNS0_4arch9wavefront6targetE1EEEvSI_,comdat
	.protected	_ZN7rocprim17ROCPRIM_400000_NS6detail17trampoline_kernelINS0_14default_configENS1_38merge_sort_block_merge_config_selectorIN3c108BFloat16ElEEZZNS1_27merge_sort_block_merge_implIS3_PS6_N6thrust23THRUST_200600_302600_NS10device_ptrIlEEmNSB_4lessIS6_EEEE10hipError_tT0_T1_T2_jT3_P12ihipStream_tbPNSt15iterator_traitsISH_E10value_typeEPNSN_ISI_E10value_typeEPSJ_NS1_7vsmem_tEENKUlT_SH_SI_SJ_E_clIS9_S9_SD_PlEESG_SW_SH_SI_SJ_EUlSW_E_NS1_11comp_targetILNS1_3genE9ELNS1_11target_archE1100ELNS1_3gpuE3ELNS1_3repE0EEENS1_48merge_mergepath_partition_config_static_selectorELNS0_4arch9wavefront6targetE1EEEvSI_ ; -- Begin function _ZN7rocprim17ROCPRIM_400000_NS6detail17trampoline_kernelINS0_14default_configENS1_38merge_sort_block_merge_config_selectorIN3c108BFloat16ElEEZZNS1_27merge_sort_block_merge_implIS3_PS6_N6thrust23THRUST_200600_302600_NS10device_ptrIlEEmNSB_4lessIS6_EEEE10hipError_tT0_T1_T2_jT3_P12ihipStream_tbPNSt15iterator_traitsISH_E10value_typeEPNSN_ISI_E10value_typeEPSJ_NS1_7vsmem_tEENKUlT_SH_SI_SJ_E_clIS9_S9_SD_PlEESG_SW_SH_SI_SJ_EUlSW_E_NS1_11comp_targetILNS1_3genE9ELNS1_11target_archE1100ELNS1_3gpuE3ELNS1_3repE0EEENS1_48merge_mergepath_partition_config_static_selectorELNS0_4arch9wavefront6targetE1EEEvSI_
	.globl	_ZN7rocprim17ROCPRIM_400000_NS6detail17trampoline_kernelINS0_14default_configENS1_38merge_sort_block_merge_config_selectorIN3c108BFloat16ElEEZZNS1_27merge_sort_block_merge_implIS3_PS6_N6thrust23THRUST_200600_302600_NS10device_ptrIlEEmNSB_4lessIS6_EEEE10hipError_tT0_T1_T2_jT3_P12ihipStream_tbPNSt15iterator_traitsISH_E10value_typeEPNSN_ISI_E10value_typeEPSJ_NS1_7vsmem_tEENKUlT_SH_SI_SJ_E_clIS9_S9_SD_PlEESG_SW_SH_SI_SJ_EUlSW_E_NS1_11comp_targetILNS1_3genE9ELNS1_11target_archE1100ELNS1_3gpuE3ELNS1_3repE0EEENS1_48merge_mergepath_partition_config_static_selectorELNS0_4arch9wavefront6targetE1EEEvSI_
	.p2align	8
	.type	_ZN7rocprim17ROCPRIM_400000_NS6detail17trampoline_kernelINS0_14default_configENS1_38merge_sort_block_merge_config_selectorIN3c108BFloat16ElEEZZNS1_27merge_sort_block_merge_implIS3_PS6_N6thrust23THRUST_200600_302600_NS10device_ptrIlEEmNSB_4lessIS6_EEEE10hipError_tT0_T1_T2_jT3_P12ihipStream_tbPNSt15iterator_traitsISH_E10value_typeEPNSN_ISI_E10value_typeEPSJ_NS1_7vsmem_tEENKUlT_SH_SI_SJ_E_clIS9_S9_SD_PlEESG_SW_SH_SI_SJ_EUlSW_E_NS1_11comp_targetILNS1_3genE9ELNS1_11target_archE1100ELNS1_3gpuE3ELNS1_3repE0EEENS1_48merge_mergepath_partition_config_static_selectorELNS0_4arch9wavefront6targetE1EEEvSI_,@function
_ZN7rocprim17ROCPRIM_400000_NS6detail17trampoline_kernelINS0_14default_configENS1_38merge_sort_block_merge_config_selectorIN3c108BFloat16ElEEZZNS1_27merge_sort_block_merge_implIS3_PS6_N6thrust23THRUST_200600_302600_NS10device_ptrIlEEmNSB_4lessIS6_EEEE10hipError_tT0_T1_T2_jT3_P12ihipStream_tbPNSt15iterator_traitsISH_E10value_typeEPNSN_ISI_E10value_typeEPSJ_NS1_7vsmem_tEENKUlT_SH_SI_SJ_E_clIS9_S9_SD_PlEESG_SW_SH_SI_SJ_EUlSW_E_NS1_11comp_targetILNS1_3genE9ELNS1_11target_archE1100ELNS1_3gpuE3ELNS1_3repE0EEENS1_48merge_mergepath_partition_config_static_selectorELNS0_4arch9wavefront6targetE1EEEvSI_: ; @_ZN7rocprim17ROCPRIM_400000_NS6detail17trampoline_kernelINS0_14default_configENS1_38merge_sort_block_merge_config_selectorIN3c108BFloat16ElEEZZNS1_27merge_sort_block_merge_implIS3_PS6_N6thrust23THRUST_200600_302600_NS10device_ptrIlEEmNSB_4lessIS6_EEEE10hipError_tT0_T1_T2_jT3_P12ihipStream_tbPNSt15iterator_traitsISH_E10value_typeEPNSN_ISI_E10value_typeEPSJ_NS1_7vsmem_tEENKUlT_SH_SI_SJ_E_clIS9_S9_SD_PlEESG_SW_SH_SI_SJ_EUlSW_E_NS1_11comp_targetILNS1_3genE9ELNS1_11target_archE1100ELNS1_3gpuE3ELNS1_3repE0EEENS1_48merge_mergepath_partition_config_static_selectorELNS0_4arch9wavefront6targetE1EEEvSI_
; %bb.0:
	.section	.rodata,"a",@progbits
	.p2align	6, 0x0
	.amdhsa_kernel _ZN7rocprim17ROCPRIM_400000_NS6detail17trampoline_kernelINS0_14default_configENS1_38merge_sort_block_merge_config_selectorIN3c108BFloat16ElEEZZNS1_27merge_sort_block_merge_implIS3_PS6_N6thrust23THRUST_200600_302600_NS10device_ptrIlEEmNSB_4lessIS6_EEEE10hipError_tT0_T1_T2_jT3_P12ihipStream_tbPNSt15iterator_traitsISH_E10value_typeEPNSN_ISI_E10value_typeEPSJ_NS1_7vsmem_tEENKUlT_SH_SI_SJ_E_clIS9_S9_SD_PlEESG_SW_SH_SI_SJ_EUlSW_E_NS1_11comp_targetILNS1_3genE9ELNS1_11target_archE1100ELNS1_3gpuE3ELNS1_3repE0EEENS1_48merge_mergepath_partition_config_static_selectorELNS0_4arch9wavefront6targetE1EEEvSI_
		.amdhsa_group_segment_fixed_size 0
		.amdhsa_private_segment_fixed_size 0
		.amdhsa_kernarg_size 48
		.amdhsa_user_sgpr_count 6
		.amdhsa_user_sgpr_private_segment_buffer 1
		.amdhsa_user_sgpr_dispatch_ptr 0
		.amdhsa_user_sgpr_queue_ptr 0
		.amdhsa_user_sgpr_kernarg_segment_ptr 1
		.amdhsa_user_sgpr_dispatch_id 0
		.amdhsa_user_sgpr_flat_scratch_init 0
		.amdhsa_user_sgpr_kernarg_preload_length 0
		.amdhsa_user_sgpr_kernarg_preload_offset 0
		.amdhsa_user_sgpr_private_segment_size 0
		.amdhsa_uses_dynamic_stack 0
		.amdhsa_system_sgpr_private_segment_wavefront_offset 0
		.amdhsa_system_sgpr_workgroup_id_x 1
		.amdhsa_system_sgpr_workgroup_id_y 0
		.amdhsa_system_sgpr_workgroup_id_z 0
		.amdhsa_system_sgpr_workgroup_info 0
		.amdhsa_system_vgpr_workitem_id 0
		.amdhsa_next_free_vgpr 1
		.amdhsa_next_free_sgpr 0
		.amdhsa_accum_offset 4
		.amdhsa_reserve_vcc 0
		.amdhsa_reserve_flat_scratch 0
		.amdhsa_float_round_mode_32 0
		.amdhsa_float_round_mode_16_64 0
		.amdhsa_float_denorm_mode_32 3
		.amdhsa_float_denorm_mode_16_64 3
		.amdhsa_dx10_clamp 1
		.amdhsa_ieee_mode 1
		.amdhsa_fp16_overflow 0
		.amdhsa_tg_split 0
		.amdhsa_exception_fp_ieee_invalid_op 0
		.amdhsa_exception_fp_denorm_src 0
		.amdhsa_exception_fp_ieee_div_zero 0
		.amdhsa_exception_fp_ieee_overflow 0
		.amdhsa_exception_fp_ieee_underflow 0
		.amdhsa_exception_fp_ieee_inexact 0
		.amdhsa_exception_int_div_zero 0
	.end_amdhsa_kernel
	.section	.text._ZN7rocprim17ROCPRIM_400000_NS6detail17trampoline_kernelINS0_14default_configENS1_38merge_sort_block_merge_config_selectorIN3c108BFloat16ElEEZZNS1_27merge_sort_block_merge_implIS3_PS6_N6thrust23THRUST_200600_302600_NS10device_ptrIlEEmNSB_4lessIS6_EEEE10hipError_tT0_T1_T2_jT3_P12ihipStream_tbPNSt15iterator_traitsISH_E10value_typeEPNSN_ISI_E10value_typeEPSJ_NS1_7vsmem_tEENKUlT_SH_SI_SJ_E_clIS9_S9_SD_PlEESG_SW_SH_SI_SJ_EUlSW_E_NS1_11comp_targetILNS1_3genE9ELNS1_11target_archE1100ELNS1_3gpuE3ELNS1_3repE0EEENS1_48merge_mergepath_partition_config_static_selectorELNS0_4arch9wavefront6targetE1EEEvSI_,"axG",@progbits,_ZN7rocprim17ROCPRIM_400000_NS6detail17trampoline_kernelINS0_14default_configENS1_38merge_sort_block_merge_config_selectorIN3c108BFloat16ElEEZZNS1_27merge_sort_block_merge_implIS3_PS6_N6thrust23THRUST_200600_302600_NS10device_ptrIlEEmNSB_4lessIS6_EEEE10hipError_tT0_T1_T2_jT3_P12ihipStream_tbPNSt15iterator_traitsISH_E10value_typeEPNSN_ISI_E10value_typeEPSJ_NS1_7vsmem_tEENKUlT_SH_SI_SJ_E_clIS9_S9_SD_PlEESG_SW_SH_SI_SJ_EUlSW_E_NS1_11comp_targetILNS1_3genE9ELNS1_11target_archE1100ELNS1_3gpuE3ELNS1_3repE0EEENS1_48merge_mergepath_partition_config_static_selectorELNS0_4arch9wavefront6targetE1EEEvSI_,comdat
.Lfunc_end2009:
	.size	_ZN7rocprim17ROCPRIM_400000_NS6detail17trampoline_kernelINS0_14default_configENS1_38merge_sort_block_merge_config_selectorIN3c108BFloat16ElEEZZNS1_27merge_sort_block_merge_implIS3_PS6_N6thrust23THRUST_200600_302600_NS10device_ptrIlEEmNSB_4lessIS6_EEEE10hipError_tT0_T1_T2_jT3_P12ihipStream_tbPNSt15iterator_traitsISH_E10value_typeEPNSN_ISI_E10value_typeEPSJ_NS1_7vsmem_tEENKUlT_SH_SI_SJ_E_clIS9_S9_SD_PlEESG_SW_SH_SI_SJ_EUlSW_E_NS1_11comp_targetILNS1_3genE9ELNS1_11target_archE1100ELNS1_3gpuE3ELNS1_3repE0EEENS1_48merge_mergepath_partition_config_static_selectorELNS0_4arch9wavefront6targetE1EEEvSI_, .Lfunc_end2009-_ZN7rocprim17ROCPRIM_400000_NS6detail17trampoline_kernelINS0_14default_configENS1_38merge_sort_block_merge_config_selectorIN3c108BFloat16ElEEZZNS1_27merge_sort_block_merge_implIS3_PS6_N6thrust23THRUST_200600_302600_NS10device_ptrIlEEmNSB_4lessIS6_EEEE10hipError_tT0_T1_T2_jT3_P12ihipStream_tbPNSt15iterator_traitsISH_E10value_typeEPNSN_ISI_E10value_typeEPSJ_NS1_7vsmem_tEENKUlT_SH_SI_SJ_E_clIS9_S9_SD_PlEESG_SW_SH_SI_SJ_EUlSW_E_NS1_11comp_targetILNS1_3genE9ELNS1_11target_archE1100ELNS1_3gpuE3ELNS1_3repE0EEENS1_48merge_mergepath_partition_config_static_selectorELNS0_4arch9wavefront6targetE1EEEvSI_
                                        ; -- End function
	.section	.AMDGPU.csdata,"",@progbits
; Kernel info:
; codeLenInByte = 0
; NumSgprs: 4
; NumVgprs: 0
; NumAgprs: 0
; TotalNumVgprs: 0
; ScratchSize: 0
; MemoryBound: 0
; FloatMode: 240
; IeeeMode: 1
; LDSByteSize: 0 bytes/workgroup (compile time only)
; SGPRBlocks: 0
; VGPRBlocks: 0
; NumSGPRsForWavesPerEU: 4
; NumVGPRsForWavesPerEU: 1
; AccumOffset: 4
; Occupancy: 8
; WaveLimiterHint : 0
; COMPUTE_PGM_RSRC2:SCRATCH_EN: 0
; COMPUTE_PGM_RSRC2:USER_SGPR: 6
; COMPUTE_PGM_RSRC2:TRAP_HANDLER: 0
; COMPUTE_PGM_RSRC2:TGID_X_EN: 1
; COMPUTE_PGM_RSRC2:TGID_Y_EN: 0
; COMPUTE_PGM_RSRC2:TGID_Z_EN: 0
; COMPUTE_PGM_RSRC2:TIDIG_COMP_CNT: 0
; COMPUTE_PGM_RSRC3_GFX90A:ACCUM_OFFSET: 0
; COMPUTE_PGM_RSRC3_GFX90A:TG_SPLIT: 0
	.section	.text._ZN7rocprim17ROCPRIM_400000_NS6detail17trampoline_kernelINS0_14default_configENS1_38merge_sort_block_merge_config_selectorIN3c108BFloat16ElEEZZNS1_27merge_sort_block_merge_implIS3_PS6_N6thrust23THRUST_200600_302600_NS10device_ptrIlEEmNSB_4lessIS6_EEEE10hipError_tT0_T1_T2_jT3_P12ihipStream_tbPNSt15iterator_traitsISH_E10value_typeEPNSN_ISI_E10value_typeEPSJ_NS1_7vsmem_tEENKUlT_SH_SI_SJ_E_clIS9_S9_SD_PlEESG_SW_SH_SI_SJ_EUlSW_E_NS1_11comp_targetILNS1_3genE8ELNS1_11target_archE1030ELNS1_3gpuE2ELNS1_3repE0EEENS1_48merge_mergepath_partition_config_static_selectorELNS0_4arch9wavefront6targetE1EEEvSI_,"axG",@progbits,_ZN7rocprim17ROCPRIM_400000_NS6detail17trampoline_kernelINS0_14default_configENS1_38merge_sort_block_merge_config_selectorIN3c108BFloat16ElEEZZNS1_27merge_sort_block_merge_implIS3_PS6_N6thrust23THRUST_200600_302600_NS10device_ptrIlEEmNSB_4lessIS6_EEEE10hipError_tT0_T1_T2_jT3_P12ihipStream_tbPNSt15iterator_traitsISH_E10value_typeEPNSN_ISI_E10value_typeEPSJ_NS1_7vsmem_tEENKUlT_SH_SI_SJ_E_clIS9_S9_SD_PlEESG_SW_SH_SI_SJ_EUlSW_E_NS1_11comp_targetILNS1_3genE8ELNS1_11target_archE1030ELNS1_3gpuE2ELNS1_3repE0EEENS1_48merge_mergepath_partition_config_static_selectorELNS0_4arch9wavefront6targetE1EEEvSI_,comdat
	.protected	_ZN7rocprim17ROCPRIM_400000_NS6detail17trampoline_kernelINS0_14default_configENS1_38merge_sort_block_merge_config_selectorIN3c108BFloat16ElEEZZNS1_27merge_sort_block_merge_implIS3_PS6_N6thrust23THRUST_200600_302600_NS10device_ptrIlEEmNSB_4lessIS6_EEEE10hipError_tT0_T1_T2_jT3_P12ihipStream_tbPNSt15iterator_traitsISH_E10value_typeEPNSN_ISI_E10value_typeEPSJ_NS1_7vsmem_tEENKUlT_SH_SI_SJ_E_clIS9_S9_SD_PlEESG_SW_SH_SI_SJ_EUlSW_E_NS1_11comp_targetILNS1_3genE8ELNS1_11target_archE1030ELNS1_3gpuE2ELNS1_3repE0EEENS1_48merge_mergepath_partition_config_static_selectorELNS0_4arch9wavefront6targetE1EEEvSI_ ; -- Begin function _ZN7rocprim17ROCPRIM_400000_NS6detail17trampoline_kernelINS0_14default_configENS1_38merge_sort_block_merge_config_selectorIN3c108BFloat16ElEEZZNS1_27merge_sort_block_merge_implIS3_PS6_N6thrust23THRUST_200600_302600_NS10device_ptrIlEEmNSB_4lessIS6_EEEE10hipError_tT0_T1_T2_jT3_P12ihipStream_tbPNSt15iterator_traitsISH_E10value_typeEPNSN_ISI_E10value_typeEPSJ_NS1_7vsmem_tEENKUlT_SH_SI_SJ_E_clIS9_S9_SD_PlEESG_SW_SH_SI_SJ_EUlSW_E_NS1_11comp_targetILNS1_3genE8ELNS1_11target_archE1030ELNS1_3gpuE2ELNS1_3repE0EEENS1_48merge_mergepath_partition_config_static_selectorELNS0_4arch9wavefront6targetE1EEEvSI_
	.globl	_ZN7rocprim17ROCPRIM_400000_NS6detail17trampoline_kernelINS0_14default_configENS1_38merge_sort_block_merge_config_selectorIN3c108BFloat16ElEEZZNS1_27merge_sort_block_merge_implIS3_PS6_N6thrust23THRUST_200600_302600_NS10device_ptrIlEEmNSB_4lessIS6_EEEE10hipError_tT0_T1_T2_jT3_P12ihipStream_tbPNSt15iterator_traitsISH_E10value_typeEPNSN_ISI_E10value_typeEPSJ_NS1_7vsmem_tEENKUlT_SH_SI_SJ_E_clIS9_S9_SD_PlEESG_SW_SH_SI_SJ_EUlSW_E_NS1_11comp_targetILNS1_3genE8ELNS1_11target_archE1030ELNS1_3gpuE2ELNS1_3repE0EEENS1_48merge_mergepath_partition_config_static_selectorELNS0_4arch9wavefront6targetE1EEEvSI_
	.p2align	8
	.type	_ZN7rocprim17ROCPRIM_400000_NS6detail17trampoline_kernelINS0_14default_configENS1_38merge_sort_block_merge_config_selectorIN3c108BFloat16ElEEZZNS1_27merge_sort_block_merge_implIS3_PS6_N6thrust23THRUST_200600_302600_NS10device_ptrIlEEmNSB_4lessIS6_EEEE10hipError_tT0_T1_T2_jT3_P12ihipStream_tbPNSt15iterator_traitsISH_E10value_typeEPNSN_ISI_E10value_typeEPSJ_NS1_7vsmem_tEENKUlT_SH_SI_SJ_E_clIS9_S9_SD_PlEESG_SW_SH_SI_SJ_EUlSW_E_NS1_11comp_targetILNS1_3genE8ELNS1_11target_archE1030ELNS1_3gpuE2ELNS1_3repE0EEENS1_48merge_mergepath_partition_config_static_selectorELNS0_4arch9wavefront6targetE1EEEvSI_,@function
_ZN7rocprim17ROCPRIM_400000_NS6detail17trampoline_kernelINS0_14default_configENS1_38merge_sort_block_merge_config_selectorIN3c108BFloat16ElEEZZNS1_27merge_sort_block_merge_implIS3_PS6_N6thrust23THRUST_200600_302600_NS10device_ptrIlEEmNSB_4lessIS6_EEEE10hipError_tT0_T1_T2_jT3_P12ihipStream_tbPNSt15iterator_traitsISH_E10value_typeEPNSN_ISI_E10value_typeEPSJ_NS1_7vsmem_tEENKUlT_SH_SI_SJ_E_clIS9_S9_SD_PlEESG_SW_SH_SI_SJ_EUlSW_E_NS1_11comp_targetILNS1_3genE8ELNS1_11target_archE1030ELNS1_3gpuE2ELNS1_3repE0EEENS1_48merge_mergepath_partition_config_static_selectorELNS0_4arch9wavefront6targetE1EEEvSI_: ; @_ZN7rocprim17ROCPRIM_400000_NS6detail17trampoline_kernelINS0_14default_configENS1_38merge_sort_block_merge_config_selectorIN3c108BFloat16ElEEZZNS1_27merge_sort_block_merge_implIS3_PS6_N6thrust23THRUST_200600_302600_NS10device_ptrIlEEmNSB_4lessIS6_EEEE10hipError_tT0_T1_T2_jT3_P12ihipStream_tbPNSt15iterator_traitsISH_E10value_typeEPNSN_ISI_E10value_typeEPSJ_NS1_7vsmem_tEENKUlT_SH_SI_SJ_E_clIS9_S9_SD_PlEESG_SW_SH_SI_SJ_EUlSW_E_NS1_11comp_targetILNS1_3genE8ELNS1_11target_archE1030ELNS1_3gpuE2ELNS1_3repE0EEENS1_48merge_mergepath_partition_config_static_selectorELNS0_4arch9wavefront6targetE1EEEvSI_
; %bb.0:
	.section	.rodata,"a",@progbits
	.p2align	6, 0x0
	.amdhsa_kernel _ZN7rocprim17ROCPRIM_400000_NS6detail17trampoline_kernelINS0_14default_configENS1_38merge_sort_block_merge_config_selectorIN3c108BFloat16ElEEZZNS1_27merge_sort_block_merge_implIS3_PS6_N6thrust23THRUST_200600_302600_NS10device_ptrIlEEmNSB_4lessIS6_EEEE10hipError_tT0_T1_T2_jT3_P12ihipStream_tbPNSt15iterator_traitsISH_E10value_typeEPNSN_ISI_E10value_typeEPSJ_NS1_7vsmem_tEENKUlT_SH_SI_SJ_E_clIS9_S9_SD_PlEESG_SW_SH_SI_SJ_EUlSW_E_NS1_11comp_targetILNS1_3genE8ELNS1_11target_archE1030ELNS1_3gpuE2ELNS1_3repE0EEENS1_48merge_mergepath_partition_config_static_selectorELNS0_4arch9wavefront6targetE1EEEvSI_
		.amdhsa_group_segment_fixed_size 0
		.amdhsa_private_segment_fixed_size 0
		.amdhsa_kernarg_size 48
		.amdhsa_user_sgpr_count 6
		.amdhsa_user_sgpr_private_segment_buffer 1
		.amdhsa_user_sgpr_dispatch_ptr 0
		.amdhsa_user_sgpr_queue_ptr 0
		.amdhsa_user_sgpr_kernarg_segment_ptr 1
		.amdhsa_user_sgpr_dispatch_id 0
		.amdhsa_user_sgpr_flat_scratch_init 0
		.amdhsa_user_sgpr_kernarg_preload_length 0
		.amdhsa_user_sgpr_kernarg_preload_offset 0
		.amdhsa_user_sgpr_private_segment_size 0
		.amdhsa_uses_dynamic_stack 0
		.amdhsa_system_sgpr_private_segment_wavefront_offset 0
		.amdhsa_system_sgpr_workgroup_id_x 1
		.amdhsa_system_sgpr_workgroup_id_y 0
		.amdhsa_system_sgpr_workgroup_id_z 0
		.amdhsa_system_sgpr_workgroup_info 0
		.amdhsa_system_vgpr_workitem_id 0
		.amdhsa_next_free_vgpr 1
		.amdhsa_next_free_sgpr 0
		.amdhsa_accum_offset 4
		.amdhsa_reserve_vcc 0
		.amdhsa_reserve_flat_scratch 0
		.amdhsa_float_round_mode_32 0
		.amdhsa_float_round_mode_16_64 0
		.amdhsa_float_denorm_mode_32 3
		.amdhsa_float_denorm_mode_16_64 3
		.amdhsa_dx10_clamp 1
		.amdhsa_ieee_mode 1
		.amdhsa_fp16_overflow 0
		.amdhsa_tg_split 0
		.amdhsa_exception_fp_ieee_invalid_op 0
		.amdhsa_exception_fp_denorm_src 0
		.amdhsa_exception_fp_ieee_div_zero 0
		.amdhsa_exception_fp_ieee_overflow 0
		.amdhsa_exception_fp_ieee_underflow 0
		.amdhsa_exception_fp_ieee_inexact 0
		.amdhsa_exception_int_div_zero 0
	.end_amdhsa_kernel
	.section	.text._ZN7rocprim17ROCPRIM_400000_NS6detail17trampoline_kernelINS0_14default_configENS1_38merge_sort_block_merge_config_selectorIN3c108BFloat16ElEEZZNS1_27merge_sort_block_merge_implIS3_PS6_N6thrust23THRUST_200600_302600_NS10device_ptrIlEEmNSB_4lessIS6_EEEE10hipError_tT0_T1_T2_jT3_P12ihipStream_tbPNSt15iterator_traitsISH_E10value_typeEPNSN_ISI_E10value_typeEPSJ_NS1_7vsmem_tEENKUlT_SH_SI_SJ_E_clIS9_S9_SD_PlEESG_SW_SH_SI_SJ_EUlSW_E_NS1_11comp_targetILNS1_3genE8ELNS1_11target_archE1030ELNS1_3gpuE2ELNS1_3repE0EEENS1_48merge_mergepath_partition_config_static_selectorELNS0_4arch9wavefront6targetE1EEEvSI_,"axG",@progbits,_ZN7rocprim17ROCPRIM_400000_NS6detail17trampoline_kernelINS0_14default_configENS1_38merge_sort_block_merge_config_selectorIN3c108BFloat16ElEEZZNS1_27merge_sort_block_merge_implIS3_PS6_N6thrust23THRUST_200600_302600_NS10device_ptrIlEEmNSB_4lessIS6_EEEE10hipError_tT0_T1_T2_jT3_P12ihipStream_tbPNSt15iterator_traitsISH_E10value_typeEPNSN_ISI_E10value_typeEPSJ_NS1_7vsmem_tEENKUlT_SH_SI_SJ_E_clIS9_S9_SD_PlEESG_SW_SH_SI_SJ_EUlSW_E_NS1_11comp_targetILNS1_3genE8ELNS1_11target_archE1030ELNS1_3gpuE2ELNS1_3repE0EEENS1_48merge_mergepath_partition_config_static_selectorELNS0_4arch9wavefront6targetE1EEEvSI_,comdat
.Lfunc_end2010:
	.size	_ZN7rocprim17ROCPRIM_400000_NS6detail17trampoline_kernelINS0_14default_configENS1_38merge_sort_block_merge_config_selectorIN3c108BFloat16ElEEZZNS1_27merge_sort_block_merge_implIS3_PS6_N6thrust23THRUST_200600_302600_NS10device_ptrIlEEmNSB_4lessIS6_EEEE10hipError_tT0_T1_T2_jT3_P12ihipStream_tbPNSt15iterator_traitsISH_E10value_typeEPNSN_ISI_E10value_typeEPSJ_NS1_7vsmem_tEENKUlT_SH_SI_SJ_E_clIS9_S9_SD_PlEESG_SW_SH_SI_SJ_EUlSW_E_NS1_11comp_targetILNS1_3genE8ELNS1_11target_archE1030ELNS1_3gpuE2ELNS1_3repE0EEENS1_48merge_mergepath_partition_config_static_selectorELNS0_4arch9wavefront6targetE1EEEvSI_, .Lfunc_end2010-_ZN7rocprim17ROCPRIM_400000_NS6detail17trampoline_kernelINS0_14default_configENS1_38merge_sort_block_merge_config_selectorIN3c108BFloat16ElEEZZNS1_27merge_sort_block_merge_implIS3_PS6_N6thrust23THRUST_200600_302600_NS10device_ptrIlEEmNSB_4lessIS6_EEEE10hipError_tT0_T1_T2_jT3_P12ihipStream_tbPNSt15iterator_traitsISH_E10value_typeEPNSN_ISI_E10value_typeEPSJ_NS1_7vsmem_tEENKUlT_SH_SI_SJ_E_clIS9_S9_SD_PlEESG_SW_SH_SI_SJ_EUlSW_E_NS1_11comp_targetILNS1_3genE8ELNS1_11target_archE1030ELNS1_3gpuE2ELNS1_3repE0EEENS1_48merge_mergepath_partition_config_static_selectorELNS0_4arch9wavefront6targetE1EEEvSI_
                                        ; -- End function
	.section	.AMDGPU.csdata,"",@progbits
; Kernel info:
; codeLenInByte = 0
; NumSgprs: 4
; NumVgprs: 0
; NumAgprs: 0
; TotalNumVgprs: 0
; ScratchSize: 0
; MemoryBound: 0
; FloatMode: 240
; IeeeMode: 1
; LDSByteSize: 0 bytes/workgroup (compile time only)
; SGPRBlocks: 0
; VGPRBlocks: 0
; NumSGPRsForWavesPerEU: 4
; NumVGPRsForWavesPerEU: 1
; AccumOffset: 4
; Occupancy: 8
; WaveLimiterHint : 0
; COMPUTE_PGM_RSRC2:SCRATCH_EN: 0
; COMPUTE_PGM_RSRC2:USER_SGPR: 6
; COMPUTE_PGM_RSRC2:TRAP_HANDLER: 0
; COMPUTE_PGM_RSRC2:TGID_X_EN: 1
; COMPUTE_PGM_RSRC2:TGID_Y_EN: 0
; COMPUTE_PGM_RSRC2:TGID_Z_EN: 0
; COMPUTE_PGM_RSRC2:TIDIG_COMP_CNT: 0
; COMPUTE_PGM_RSRC3_GFX90A:ACCUM_OFFSET: 0
; COMPUTE_PGM_RSRC3_GFX90A:TG_SPLIT: 0
	.section	.text._ZN7rocprim17ROCPRIM_400000_NS6detail17trampoline_kernelINS0_14default_configENS1_38merge_sort_block_merge_config_selectorIN3c108BFloat16ElEEZZNS1_27merge_sort_block_merge_implIS3_PS6_N6thrust23THRUST_200600_302600_NS10device_ptrIlEEmNSB_4lessIS6_EEEE10hipError_tT0_T1_T2_jT3_P12ihipStream_tbPNSt15iterator_traitsISH_E10value_typeEPNSN_ISI_E10value_typeEPSJ_NS1_7vsmem_tEENKUlT_SH_SI_SJ_E_clIS9_S9_SD_PlEESG_SW_SH_SI_SJ_EUlSW_E0_NS1_11comp_targetILNS1_3genE0ELNS1_11target_archE4294967295ELNS1_3gpuE0ELNS1_3repE0EEENS1_38merge_mergepath_config_static_selectorELNS0_4arch9wavefront6targetE1EEEvSI_,"axG",@progbits,_ZN7rocprim17ROCPRIM_400000_NS6detail17trampoline_kernelINS0_14default_configENS1_38merge_sort_block_merge_config_selectorIN3c108BFloat16ElEEZZNS1_27merge_sort_block_merge_implIS3_PS6_N6thrust23THRUST_200600_302600_NS10device_ptrIlEEmNSB_4lessIS6_EEEE10hipError_tT0_T1_T2_jT3_P12ihipStream_tbPNSt15iterator_traitsISH_E10value_typeEPNSN_ISI_E10value_typeEPSJ_NS1_7vsmem_tEENKUlT_SH_SI_SJ_E_clIS9_S9_SD_PlEESG_SW_SH_SI_SJ_EUlSW_E0_NS1_11comp_targetILNS1_3genE0ELNS1_11target_archE4294967295ELNS1_3gpuE0ELNS1_3repE0EEENS1_38merge_mergepath_config_static_selectorELNS0_4arch9wavefront6targetE1EEEvSI_,comdat
	.protected	_ZN7rocprim17ROCPRIM_400000_NS6detail17trampoline_kernelINS0_14default_configENS1_38merge_sort_block_merge_config_selectorIN3c108BFloat16ElEEZZNS1_27merge_sort_block_merge_implIS3_PS6_N6thrust23THRUST_200600_302600_NS10device_ptrIlEEmNSB_4lessIS6_EEEE10hipError_tT0_T1_T2_jT3_P12ihipStream_tbPNSt15iterator_traitsISH_E10value_typeEPNSN_ISI_E10value_typeEPSJ_NS1_7vsmem_tEENKUlT_SH_SI_SJ_E_clIS9_S9_SD_PlEESG_SW_SH_SI_SJ_EUlSW_E0_NS1_11comp_targetILNS1_3genE0ELNS1_11target_archE4294967295ELNS1_3gpuE0ELNS1_3repE0EEENS1_38merge_mergepath_config_static_selectorELNS0_4arch9wavefront6targetE1EEEvSI_ ; -- Begin function _ZN7rocprim17ROCPRIM_400000_NS6detail17trampoline_kernelINS0_14default_configENS1_38merge_sort_block_merge_config_selectorIN3c108BFloat16ElEEZZNS1_27merge_sort_block_merge_implIS3_PS6_N6thrust23THRUST_200600_302600_NS10device_ptrIlEEmNSB_4lessIS6_EEEE10hipError_tT0_T1_T2_jT3_P12ihipStream_tbPNSt15iterator_traitsISH_E10value_typeEPNSN_ISI_E10value_typeEPSJ_NS1_7vsmem_tEENKUlT_SH_SI_SJ_E_clIS9_S9_SD_PlEESG_SW_SH_SI_SJ_EUlSW_E0_NS1_11comp_targetILNS1_3genE0ELNS1_11target_archE4294967295ELNS1_3gpuE0ELNS1_3repE0EEENS1_38merge_mergepath_config_static_selectorELNS0_4arch9wavefront6targetE1EEEvSI_
	.globl	_ZN7rocprim17ROCPRIM_400000_NS6detail17trampoline_kernelINS0_14default_configENS1_38merge_sort_block_merge_config_selectorIN3c108BFloat16ElEEZZNS1_27merge_sort_block_merge_implIS3_PS6_N6thrust23THRUST_200600_302600_NS10device_ptrIlEEmNSB_4lessIS6_EEEE10hipError_tT0_T1_T2_jT3_P12ihipStream_tbPNSt15iterator_traitsISH_E10value_typeEPNSN_ISI_E10value_typeEPSJ_NS1_7vsmem_tEENKUlT_SH_SI_SJ_E_clIS9_S9_SD_PlEESG_SW_SH_SI_SJ_EUlSW_E0_NS1_11comp_targetILNS1_3genE0ELNS1_11target_archE4294967295ELNS1_3gpuE0ELNS1_3repE0EEENS1_38merge_mergepath_config_static_selectorELNS0_4arch9wavefront6targetE1EEEvSI_
	.p2align	8
	.type	_ZN7rocprim17ROCPRIM_400000_NS6detail17trampoline_kernelINS0_14default_configENS1_38merge_sort_block_merge_config_selectorIN3c108BFloat16ElEEZZNS1_27merge_sort_block_merge_implIS3_PS6_N6thrust23THRUST_200600_302600_NS10device_ptrIlEEmNSB_4lessIS6_EEEE10hipError_tT0_T1_T2_jT3_P12ihipStream_tbPNSt15iterator_traitsISH_E10value_typeEPNSN_ISI_E10value_typeEPSJ_NS1_7vsmem_tEENKUlT_SH_SI_SJ_E_clIS9_S9_SD_PlEESG_SW_SH_SI_SJ_EUlSW_E0_NS1_11comp_targetILNS1_3genE0ELNS1_11target_archE4294967295ELNS1_3gpuE0ELNS1_3repE0EEENS1_38merge_mergepath_config_static_selectorELNS0_4arch9wavefront6targetE1EEEvSI_,@function
_ZN7rocprim17ROCPRIM_400000_NS6detail17trampoline_kernelINS0_14default_configENS1_38merge_sort_block_merge_config_selectorIN3c108BFloat16ElEEZZNS1_27merge_sort_block_merge_implIS3_PS6_N6thrust23THRUST_200600_302600_NS10device_ptrIlEEmNSB_4lessIS6_EEEE10hipError_tT0_T1_T2_jT3_P12ihipStream_tbPNSt15iterator_traitsISH_E10value_typeEPNSN_ISI_E10value_typeEPSJ_NS1_7vsmem_tEENKUlT_SH_SI_SJ_E_clIS9_S9_SD_PlEESG_SW_SH_SI_SJ_EUlSW_E0_NS1_11comp_targetILNS1_3genE0ELNS1_11target_archE4294967295ELNS1_3gpuE0ELNS1_3repE0EEENS1_38merge_mergepath_config_static_selectorELNS0_4arch9wavefront6targetE1EEEvSI_: ; @_ZN7rocprim17ROCPRIM_400000_NS6detail17trampoline_kernelINS0_14default_configENS1_38merge_sort_block_merge_config_selectorIN3c108BFloat16ElEEZZNS1_27merge_sort_block_merge_implIS3_PS6_N6thrust23THRUST_200600_302600_NS10device_ptrIlEEmNSB_4lessIS6_EEEE10hipError_tT0_T1_T2_jT3_P12ihipStream_tbPNSt15iterator_traitsISH_E10value_typeEPNSN_ISI_E10value_typeEPSJ_NS1_7vsmem_tEENKUlT_SH_SI_SJ_E_clIS9_S9_SD_PlEESG_SW_SH_SI_SJ_EUlSW_E0_NS1_11comp_targetILNS1_3genE0ELNS1_11target_archE4294967295ELNS1_3gpuE0ELNS1_3repE0EEENS1_38merge_mergepath_config_static_selectorELNS0_4arch9wavefront6targetE1EEEvSI_
; %bb.0:
	.section	.rodata,"a",@progbits
	.p2align	6, 0x0
	.amdhsa_kernel _ZN7rocprim17ROCPRIM_400000_NS6detail17trampoline_kernelINS0_14default_configENS1_38merge_sort_block_merge_config_selectorIN3c108BFloat16ElEEZZNS1_27merge_sort_block_merge_implIS3_PS6_N6thrust23THRUST_200600_302600_NS10device_ptrIlEEmNSB_4lessIS6_EEEE10hipError_tT0_T1_T2_jT3_P12ihipStream_tbPNSt15iterator_traitsISH_E10value_typeEPNSN_ISI_E10value_typeEPSJ_NS1_7vsmem_tEENKUlT_SH_SI_SJ_E_clIS9_S9_SD_PlEESG_SW_SH_SI_SJ_EUlSW_E0_NS1_11comp_targetILNS1_3genE0ELNS1_11target_archE4294967295ELNS1_3gpuE0ELNS1_3repE0EEENS1_38merge_mergepath_config_static_selectorELNS0_4arch9wavefront6targetE1EEEvSI_
		.amdhsa_group_segment_fixed_size 0
		.amdhsa_private_segment_fixed_size 0
		.amdhsa_kernarg_size 72
		.amdhsa_user_sgpr_count 6
		.amdhsa_user_sgpr_private_segment_buffer 1
		.amdhsa_user_sgpr_dispatch_ptr 0
		.amdhsa_user_sgpr_queue_ptr 0
		.amdhsa_user_sgpr_kernarg_segment_ptr 1
		.amdhsa_user_sgpr_dispatch_id 0
		.amdhsa_user_sgpr_flat_scratch_init 0
		.amdhsa_user_sgpr_kernarg_preload_length 0
		.amdhsa_user_sgpr_kernarg_preload_offset 0
		.amdhsa_user_sgpr_private_segment_size 0
		.amdhsa_uses_dynamic_stack 0
		.amdhsa_system_sgpr_private_segment_wavefront_offset 0
		.amdhsa_system_sgpr_workgroup_id_x 1
		.amdhsa_system_sgpr_workgroup_id_y 0
		.amdhsa_system_sgpr_workgroup_id_z 0
		.amdhsa_system_sgpr_workgroup_info 0
		.amdhsa_system_vgpr_workitem_id 0
		.amdhsa_next_free_vgpr 1
		.amdhsa_next_free_sgpr 0
		.amdhsa_accum_offset 4
		.amdhsa_reserve_vcc 0
		.amdhsa_reserve_flat_scratch 0
		.amdhsa_float_round_mode_32 0
		.amdhsa_float_round_mode_16_64 0
		.amdhsa_float_denorm_mode_32 3
		.amdhsa_float_denorm_mode_16_64 3
		.amdhsa_dx10_clamp 1
		.amdhsa_ieee_mode 1
		.amdhsa_fp16_overflow 0
		.amdhsa_tg_split 0
		.amdhsa_exception_fp_ieee_invalid_op 0
		.amdhsa_exception_fp_denorm_src 0
		.amdhsa_exception_fp_ieee_div_zero 0
		.amdhsa_exception_fp_ieee_overflow 0
		.amdhsa_exception_fp_ieee_underflow 0
		.amdhsa_exception_fp_ieee_inexact 0
		.amdhsa_exception_int_div_zero 0
	.end_amdhsa_kernel
	.section	.text._ZN7rocprim17ROCPRIM_400000_NS6detail17trampoline_kernelINS0_14default_configENS1_38merge_sort_block_merge_config_selectorIN3c108BFloat16ElEEZZNS1_27merge_sort_block_merge_implIS3_PS6_N6thrust23THRUST_200600_302600_NS10device_ptrIlEEmNSB_4lessIS6_EEEE10hipError_tT0_T1_T2_jT3_P12ihipStream_tbPNSt15iterator_traitsISH_E10value_typeEPNSN_ISI_E10value_typeEPSJ_NS1_7vsmem_tEENKUlT_SH_SI_SJ_E_clIS9_S9_SD_PlEESG_SW_SH_SI_SJ_EUlSW_E0_NS1_11comp_targetILNS1_3genE0ELNS1_11target_archE4294967295ELNS1_3gpuE0ELNS1_3repE0EEENS1_38merge_mergepath_config_static_selectorELNS0_4arch9wavefront6targetE1EEEvSI_,"axG",@progbits,_ZN7rocprim17ROCPRIM_400000_NS6detail17trampoline_kernelINS0_14default_configENS1_38merge_sort_block_merge_config_selectorIN3c108BFloat16ElEEZZNS1_27merge_sort_block_merge_implIS3_PS6_N6thrust23THRUST_200600_302600_NS10device_ptrIlEEmNSB_4lessIS6_EEEE10hipError_tT0_T1_T2_jT3_P12ihipStream_tbPNSt15iterator_traitsISH_E10value_typeEPNSN_ISI_E10value_typeEPSJ_NS1_7vsmem_tEENKUlT_SH_SI_SJ_E_clIS9_S9_SD_PlEESG_SW_SH_SI_SJ_EUlSW_E0_NS1_11comp_targetILNS1_3genE0ELNS1_11target_archE4294967295ELNS1_3gpuE0ELNS1_3repE0EEENS1_38merge_mergepath_config_static_selectorELNS0_4arch9wavefront6targetE1EEEvSI_,comdat
.Lfunc_end2011:
	.size	_ZN7rocprim17ROCPRIM_400000_NS6detail17trampoline_kernelINS0_14default_configENS1_38merge_sort_block_merge_config_selectorIN3c108BFloat16ElEEZZNS1_27merge_sort_block_merge_implIS3_PS6_N6thrust23THRUST_200600_302600_NS10device_ptrIlEEmNSB_4lessIS6_EEEE10hipError_tT0_T1_T2_jT3_P12ihipStream_tbPNSt15iterator_traitsISH_E10value_typeEPNSN_ISI_E10value_typeEPSJ_NS1_7vsmem_tEENKUlT_SH_SI_SJ_E_clIS9_S9_SD_PlEESG_SW_SH_SI_SJ_EUlSW_E0_NS1_11comp_targetILNS1_3genE0ELNS1_11target_archE4294967295ELNS1_3gpuE0ELNS1_3repE0EEENS1_38merge_mergepath_config_static_selectorELNS0_4arch9wavefront6targetE1EEEvSI_, .Lfunc_end2011-_ZN7rocprim17ROCPRIM_400000_NS6detail17trampoline_kernelINS0_14default_configENS1_38merge_sort_block_merge_config_selectorIN3c108BFloat16ElEEZZNS1_27merge_sort_block_merge_implIS3_PS6_N6thrust23THRUST_200600_302600_NS10device_ptrIlEEmNSB_4lessIS6_EEEE10hipError_tT0_T1_T2_jT3_P12ihipStream_tbPNSt15iterator_traitsISH_E10value_typeEPNSN_ISI_E10value_typeEPSJ_NS1_7vsmem_tEENKUlT_SH_SI_SJ_E_clIS9_S9_SD_PlEESG_SW_SH_SI_SJ_EUlSW_E0_NS1_11comp_targetILNS1_3genE0ELNS1_11target_archE4294967295ELNS1_3gpuE0ELNS1_3repE0EEENS1_38merge_mergepath_config_static_selectorELNS0_4arch9wavefront6targetE1EEEvSI_
                                        ; -- End function
	.section	.AMDGPU.csdata,"",@progbits
; Kernel info:
; codeLenInByte = 0
; NumSgprs: 4
; NumVgprs: 0
; NumAgprs: 0
; TotalNumVgprs: 0
; ScratchSize: 0
; MemoryBound: 0
; FloatMode: 240
; IeeeMode: 1
; LDSByteSize: 0 bytes/workgroup (compile time only)
; SGPRBlocks: 0
; VGPRBlocks: 0
; NumSGPRsForWavesPerEU: 4
; NumVGPRsForWavesPerEU: 1
; AccumOffset: 4
; Occupancy: 8
; WaveLimiterHint : 0
; COMPUTE_PGM_RSRC2:SCRATCH_EN: 0
; COMPUTE_PGM_RSRC2:USER_SGPR: 6
; COMPUTE_PGM_RSRC2:TRAP_HANDLER: 0
; COMPUTE_PGM_RSRC2:TGID_X_EN: 1
; COMPUTE_PGM_RSRC2:TGID_Y_EN: 0
; COMPUTE_PGM_RSRC2:TGID_Z_EN: 0
; COMPUTE_PGM_RSRC2:TIDIG_COMP_CNT: 0
; COMPUTE_PGM_RSRC3_GFX90A:ACCUM_OFFSET: 0
; COMPUTE_PGM_RSRC3_GFX90A:TG_SPLIT: 0
	.section	.text._ZN7rocprim17ROCPRIM_400000_NS6detail17trampoline_kernelINS0_14default_configENS1_38merge_sort_block_merge_config_selectorIN3c108BFloat16ElEEZZNS1_27merge_sort_block_merge_implIS3_PS6_N6thrust23THRUST_200600_302600_NS10device_ptrIlEEmNSB_4lessIS6_EEEE10hipError_tT0_T1_T2_jT3_P12ihipStream_tbPNSt15iterator_traitsISH_E10value_typeEPNSN_ISI_E10value_typeEPSJ_NS1_7vsmem_tEENKUlT_SH_SI_SJ_E_clIS9_S9_SD_PlEESG_SW_SH_SI_SJ_EUlSW_E0_NS1_11comp_targetILNS1_3genE10ELNS1_11target_archE1201ELNS1_3gpuE5ELNS1_3repE0EEENS1_38merge_mergepath_config_static_selectorELNS0_4arch9wavefront6targetE1EEEvSI_,"axG",@progbits,_ZN7rocprim17ROCPRIM_400000_NS6detail17trampoline_kernelINS0_14default_configENS1_38merge_sort_block_merge_config_selectorIN3c108BFloat16ElEEZZNS1_27merge_sort_block_merge_implIS3_PS6_N6thrust23THRUST_200600_302600_NS10device_ptrIlEEmNSB_4lessIS6_EEEE10hipError_tT0_T1_T2_jT3_P12ihipStream_tbPNSt15iterator_traitsISH_E10value_typeEPNSN_ISI_E10value_typeEPSJ_NS1_7vsmem_tEENKUlT_SH_SI_SJ_E_clIS9_S9_SD_PlEESG_SW_SH_SI_SJ_EUlSW_E0_NS1_11comp_targetILNS1_3genE10ELNS1_11target_archE1201ELNS1_3gpuE5ELNS1_3repE0EEENS1_38merge_mergepath_config_static_selectorELNS0_4arch9wavefront6targetE1EEEvSI_,comdat
	.protected	_ZN7rocprim17ROCPRIM_400000_NS6detail17trampoline_kernelINS0_14default_configENS1_38merge_sort_block_merge_config_selectorIN3c108BFloat16ElEEZZNS1_27merge_sort_block_merge_implIS3_PS6_N6thrust23THRUST_200600_302600_NS10device_ptrIlEEmNSB_4lessIS6_EEEE10hipError_tT0_T1_T2_jT3_P12ihipStream_tbPNSt15iterator_traitsISH_E10value_typeEPNSN_ISI_E10value_typeEPSJ_NS1_7vsmem_tEENKUlT_SH_SI_SJ_E_clIS9_S9_SD_PlEESG_SW_SH_SI_SJ_EUlSW_E0_NS1_11comp_targetILNS1_3genE10ELNS1_11target_archE1201ELNS1_3gpuE5ELNS1_3repE0EEENS1_38merge_mergepath_config_static_selectorELNS0_4arch9wavefront6targetE1EEEvSI_ ; -- Begin function _ZN7rocprim17ROCPRIM_400000_NS6detail17trampoline_kernelINS0_14default_configENS1_38merge_sort_block_merge_config_selectorIN3c108BFloat16ElEEZZNS1_27merge_sort_block_merge_implIS3_PS6_N6thrust23THRUST_200600_302600_NS10device_ptrIlEEmNSB_4lessIS6_EEEE10hipError_tT0_T1_T2_jT3_P12ihipStream_tbPNSt15iterator_traitsISH_E10value_typeEPNSN_ISI_E10value_typeEPSJ_NS1_7vsmem_tEENKUlT_SH_SI_SJ_E_clIS9_S9_SD_PlEESG_SW_SH_SI_SJ_EUlSW_E0_NS1_11comp_targetILNS1_3genE10ELNS1_11target_archE1201ELNS1_3gpuE5ELNS1_3repE0EEENS1_38merge_mergepath_config_static_selectorELNS0_4arch9wavefront6targetE1EEEvSI_
	.globl	_ZN7rocprim17ROCPRIM_400000_NS6detail17trampoline_kernelINS0_14default_configENS1_38merge_sort_block_merge_config_selectorIN3c108BFloat16ElEEZZNS1_27merge_sort_block_merge_implIS3_PS6_N6thrust23THRUST_200600_302600_NS10device_ptrIlEEmNSB_4lessIS6_EEEE10hipError_tT0_T1_T2_jT3_P12ihipStream_tbPNSt15iterator_traitsISH_E10value_typeEPNSN_ISI_E10value_typeEPSJ_NS1_7vsmem_tEENKUlT_SH_SI_SJ_E_clIS9_S9_SD_PlEESG_SW_SH_SI_SJ_EUlSW_E0_NS1_11comp_targetILNS1_3genE10ELNS1_11target_archE1201ELNS1_3gpuE5ELNS1_3repE0EEENS1_38merge_mergepath_config_static_selectorELNS0_4arch9wavefront6targetE1EEEvSI_
	.p2align	8
	.type	_ZN7rocprim17ROCPRIM_400000_NS6detail17trampoline_kernelINS0_14default_configENS1_38merge_sort_block_merge_config_selectorIN3c108BFloat16ElEEZZNS1_27merge_sort_block_merge_implIS3_PS6_N6thrust23THRUST_200600_302600_NS10device_ptrIlEEmNSB_4lessIS6_EEEE10hipError_tT0_T1_T2_jT3_P12ihipStream_tbPNSt15iterator_traitsISH_E10value_typeEPNSN_ISI_E10value_typeEPSJ_NS1_7vsmem_tEENKUlT_SH_SI_SJ_E_clIS9_S9_SD_PlEESG_SW_SH_SI_SJ_EUlSW_E0_NS1_11comp_targetILNS1_3genE10ELNS1_11target_archE1201ELNS1_3gpuE5ELNS1_3repE0EEENS1_38merge_mergepath_config_static_selectorELNS0_4arch9wavefront6targetE1EEEvSI_,@function
_ZN7rocprim17ROCPRIM_400000_NS6detail17trampoline_kernelINS0_14default_configENS1_38merge_sort_block_merge_config_selectorIN3c108BFloat16ElEEZZNS1_27merge_sort_block_merge_implIS3_PS6_N6thrust23THRUST_200600_302600_NS10device_ptrIlEEmNSB_4lessIS6_EEEE10hipError_tT0_T1_T2_jT3_P12ihipStream_tbPNSt15iterator_traitsISH_E10value_typeEPNSN_ISI_E10value_typeEPSJ_NS1_7vsmem_tEENKUlT_SH_SI_SJ_E_clIS9_S9_SD_PlEESG_SW_SH_SI_SJ_EUlSW_E0_NS1_11comp_targetILNS1_3genE10ELNS1_11target_archE1201ELNS1_3gpuE5ELNS1_3repE0EEENS1_38merge_mergepath_config_static_selectorELNS0_4arch9wavefront6targetE1EEEvSI_: ; @_ZN7rocprim17ROCPRIM_400000_NS6detail17trampoline_kernelINS0_14default_configENS1_38merge_sort_block_merge_config_selectorIN3c108BFloat16ElEEZZNS1_27merge_sort_block_merge_implIS3_PS6_N6thrust23THRUST_200600_302600_NS10device_ptrIlEEmNSB_4lessIS6_EEEE10hipError_tT0_T1_T2_jT3_P12ihipStream_tbPNSt15iterator_traitsISH_E10value_typeEPNSN_ISI_E10value_typeEPSJ_NS1_7vsmem_tEENKUlT_SH_SI_SJ_E_clIS9_S9_SD_PlEESG_SW_SH_SI_SJ_EUlSW_E0_NS1_11comp_targetILNS1_3genE10ELNS1_11target_archE1201ELNS1_3gpuE5ELNS1_3repE0EEENS1_38merge_mergepath_config_static_selectorELNS0_4arch9wavefront6targetE1EEEvSI_
; %bb.0:
	.section	.rodata,"a",@progbits
	.p2align	6, 0x0
	.amdhsa_kernel _ZN7rocprim17ROCPRIM_400000_NS6detail17trampoline_kernelINS0_14default_configENS1_38merge_sort_block_merge_config_selectorIN3c108BFloat16ElEEZZNS1_27merge_sort_block_merge_implIS3_PS6_N6thrust23THRUST_200600_302600_NS10device_ptrIlEEmNSB_4lessIS6_EEEE10hipError_tT0_T1_T2_jT3_P12ihipStream_tbPNSt15iterator_traitsISH_E10value_typeEPNSN_ISI_E10value_typeEPSJ_NS1_7vsmem_tEENKUlT_SH_SI_SJ_E_clIS9_S9_SD_PlEESG_SW_SH_SI_SJ_EUlSW_E0_NS1_11comp_targetILNS1_3genE10ELNS1_11target_archE1201ELNS1_3gpuE5ELNS1_3repE0EEENS1_38merge_mergepath_config_static_selectorELNS0_4arch9wavefront6targetE1EEEvSI_
		.amdhsa_group_segment_fixed_size 0
		.amdhsa_private_segment_fixed_size 0
		.amdhsa_kernarg_size 72
		.amdhsa_user_sgpr_count 6
		.amdhsa_user_sgpr_private_segment_buffer 1
		.amdhsa_user_sgpr_dispatch_ptr 0
		.amdhsa_user_sgpr_queue_ptr 0
		.amdhsa_user_sgpr_kernarg_segment_ptr 1
		.amdhsa_user_sgpr_dispatch_id 0
		.amdhsa_user_sgpr_flat_scratch_init 0
		.amdhsa_user_sgpr_kernarg_preload_length 0
		.amdhsa_user_sgpr_kernarg_preload_offset 0
		.amdhsa_user_sgpr_private_segment_size 0
		.amdhsa_uses_dynamic_stack 0
		.amdhsa_system_sgpr_private_segment_wavefront_offset 0
		.amdhsa_system_sgpr_workgroup_id_x 1
		.amdhsa_system_sgpr_workgroup_id_y 0
		.amdhsa_system_sgpr_workgroup_id_z 0
		.amdhsa_system_sgpr_workgroup_info 0
		.amdhsa_system_vgpr_workitem_id 0
		.amdhsa_next_free_vgpr 1
		.amdhsa_next_free_sgpr 0
		.amdhsa_accum_offset 4
		.amdhsa_reserve_vcc 0
		.amdhsa_reserve_flat_scratch 0
		.amdhsa_float_round_mode_32 0
		.amdhsa_float_round_mode_16_64 0
		.amdhsa_float_denorm_mode_32 3
		.amdhsa_float_denorm_mode_16_64 3
		.amdhsa_dx10_clamp 1
		.amdhsa_ieee_mode 1
		.amdhsa_fp16_overflow 0
		.amdhsa_tg_split 0
		.amdhsa_exception_fp_ieee_invalid_op 0
		.amdhsa_exception_fp_denorm_src 0
		.amdhsa_exception_fp_ieee_div_zero 0
		.amdhsa_exception_fp_ieee_overflow 0
		.amdhsa_exception_fp_ieee_underflow 0
		.amdhsa_exception_fp_ieee_inexact 0
		.amdhsa_exception_int_div_zero 0
	.end_amdhsa_kernel
	.section	.text._ZN7rocprim17ROCPRIM_400000_NS6detail17trampoline_kernelINS0_14default_configENS1_38merge_sort_block_merge_config_selectorIN3c108BFloat16ElEEZZNS1_27merge_sort_block_merge_implIS3_PS6_N6thrust23THRUST_200600_302600_NS10device_ptrIlEEmNSB_4lessIS6_EEEE10hipError_tT0_T1_T2_jT3_P12ihipStream_tbPNSt15iterator_traitsISH_E10value_typeEPNSN_ISI_E10value_typeEPSJ_NS1_7vsmem_tEENKUlT_SH_SI_SJ_E_clIS9_S9_SD_PlEESG_SW_SH_SI_SJ_EUlSW_E0_NS1_11comp_targetILNS1_3genE10ELNS1_11target_archE1201ELNS1_3gpuE5ELNS1_3repE0EEENS1_38merge_mergepath_config_static_selectorELNS0_4arch9wavefront6targetE1EEEvSI_,"axG",@progbits,_ZN7rocprim17ROCPRIM_400000_NS6detail17trampoline_kernelINS0_14default_configENS1_38merge_sort_block_merge_config_selectorIN3c108BFloat16ElEEZZNS1_27merge_sort_block_merge_implIS3_PS6_N6thrust23THRUST_200600_302600_NS10device_ptrIlEEmNSB_4lessIS6_EEEE10hipError_tT0_T1_T2_jT3_P12ihipStream_tbPNSt15iterator_traitsISH_E10value_typeEPNSN_ISI_E10value_typeEPSJ_NS1_7vsmem_tEENKUlT_SH_SI_SJ_E_clIS9_S9_SD_PlEESG_SW_SH_SI_SJ_EUlSW_E0_NS1_11comp_targetILNS1_3genE10ELNS1_11target_archE1201ELNS1_3gpuE5ELNS1_3repE0EEENS1_38merge_mergepath_config_static_selectorELNS0_4arch9wavefront6targetE1EEEvSI_,comdat
.Lfunc_end2012:
	.size	_ZN7rocprim17ROCPRIM_400000_NS6detail17trampoline_kernelINS0_14default_configENS1_38merge_sort_block_merge_config_selectorIN3c108BFloat16ElEEZZNS1_27merge_sort_block_merge_implIS3_PS6_N6thrust23THRUST_200600_302600_NS10device_ptrIlEEmNSB_4lessIS6_EEEE10hipError_tT0_T1_T2_jT3_P12ihipStream_tbPNSt15iterator_traitsISH_E10value_typeEPNSN_ISI_E10value_typeEPSJ_NS1_7vsmem_tEENKUlT_SH_SI_SJ_E_clIS9_S9_SD_PlEESG_SW_SH_SI_SJ_EUlSW_E0_NS1_11comp_targetILNS1_3genE10ELNS1_11target_archE1201ELNS1_3gpuE5ELNS1_3repE0EEENS1_38merge_mergepath_config_static_selectorELNS0_4arch9wavefront6targetE1EEEvSI_, .Lfunc_end2012-_ZN7rocprim17ROCPRIM_400000_NS6detail17trampoline_kernelINS0_14default_configENS1_38merge_sort_block_merge_config_selectorIN3c108BFloat16ElEEZZNS1_27merge_sort_block_merge_implIS3_PS6_N6thrust23THRUST_200600_302600_NS10device_ptrIlEEmNSB_4lessIS6_EEEE10hipError_tT0_T1_T2_jT3_P12ihipStream_tbPNSt15iterator_traitsISH_E10value_typeEPNSN_ISI_E10value_typeEPSJ_NS1_7vsmem_tEENKUlT_SH_SI_SJ_E_clIS9_S9_SD_PlEESG_SW_SH_SI_SJ_EUlSW_E0_NS1_11comp_targetILNS1_3genE10ELNS1_11target_archE1201ELNS1_3gpuE5ELNS1_3repE0EEENS1_38merge_mergepath_config_static_selectorELNS0_4arch9wavefront6targetE1EEEvSI_
                                        ; -- End function
	.section	.AMDGPU.csdata,"",@progbits
; Kernel info:
; codeLenInByte = 0
; NumSgprs: 4
; NumVgprs: 0
; NumAgprs: 0
; TotalNumVgprs: 0
; ScratchSize: 0
; MemoryBound: 0
; FloatMode: 240
; IeeeMode: 1
; LDSByteSize: 0 bytes/workgroup (compile time only)
; SGPRBlocks: 0
; VGPRBlocks: 0
; NumSGPRsForWavesPerEU: 4
; NumVGPRsForWavesPerEU: 1
; AccumOffset: 4
; Occupancy: 8
; WaveLimiterHint : 0
; COMPUTE_PGM_RSRC2:SCRATCH_EN: 0
; COMPUTE_PGM_RSRC2:USER_SGPR: 6
; COMPUTE_PGM_RSRC2:TRAP_HANDLER: 0
; COMPUTE_PGM_RSRC2:TGID_X_EN: 1
; COMPUTE_PGM_RSRC2:TGID_Y_EN: 0
; COMPUTE_PGM_RSRC2:TGID_Z_EN: 0
; COMPUTE_PGM_RSRC2:TIDIG_COMP_CNT: 0
; COMPUTE_PGM_RSRC3_GFX90A:ACCUM_OFFSET: 0
; COMPUTE_PGM_RSRC3_GFX90A:TG_SPLIT: 0
	.section	.text._ZN7rocprim17ROCPRIM_400000_NS6detail17trampoline_kernelINS0_14default_configENS1_38merge_sort_block_merge_config_selectorIN3c108BFloat16ElEEZZNS1_27merge_sort_block_merge_implIS3_PS6_N6thrust23THRUST_200600_302600_NS10device_ptrIlEEmNSB_4lessIS6_EEEE10hipError_tT0_T1_T2_jT3_P12ihipStream_tbPNSt15iterator_traitsISH_E10value_typeEPNSN_ISI_E10value_typeEPSJ_NS1_7vsmem_tEENKUlT_SH_SI_SJ_E_clIS9_S9_SD_PlEESG_SW_SH_SI_SJ_EUlSW_E0_NS1_11comp_targetILNS1_3genE5ELNS1_11target_archE942ELNS1_3gpuE9ELNS1_3repE0EEENS1_38merge_mergepath_config_static_selectorELNS0_4arch9wavefront6targetE1EEEvSI_,"axG",@progbits,_ZN7rocprim17ROCPRIM_400000_NS6detail17trampoline_kernelINS0_14default_configENS1_38merge_sort_block_merge_config_selectorIN3c108BFloat16ElEEZZNS1_27merge_sort_block_merge_implIS3_PS6_N6thrust23THRUST_200600_302600_NS10device_ptrIlEEmNSB_4lessIS6_EEEE10hipError_tT0_T1_T2_jT3_P12ihipStream_tbPNSt15iterator_traitsISH_E10value_typeEPNSN_ISI_E10value_typeEPSJ_NS1_7vsmem_tEENKUlT_SH_SI_SJ_E_clIS9_S9_SD_PlEESG_SW_SH_SI_SJ_EUlSW_E0_NS1_11comp_targetILNS1_3genE5ELNS1_11target_archE942ELNS1_3gpuE9ELNS1_3repE0EEENS1_38merge_mergepath_config_static_selectorELNS0_4arch9wavefront6targetE1EEEvSI_,comdat
	.protected	_ZN7rocprim17ROCPRIM_400000_NS6detail17trampoline_kernelINS0_14default_configENS1_38merge_sort_block_merge_config_selectorIN3c108BFloat16ElEEZZNS1_27merge_sort_block_merge_implIS3_PS6_N6thrust23THRUST_200600_302600_NS10device_ptrIlEEmNSB_4lessIS6_EEEE10hipError_tT0_T1_T2_jT3_P12ihipStream_tbPNSt15iterator_traitsISH_E10value_typeEPNSN_ISI_E10value_typeEPSJ_NS1_7vsmem_tEENKUlT_SH_SI_SJ_E_clIS9_S9_SD_PlEESG_SW_SH_SI_SJ_EUlSW_E0_NS1_11comp_targetILNS1_3genE5ELNS1_11target_archE942ELNS1_3gpuE9ELNS1_3repE0EEENS1_38merge_mergepath_config_static_selectorELNS0_4arch9wavefront6targetE1EEEvSI_ ; -- Begin function _ZN7rocprim17ROCPRIM_400000_NS6detail17trampoline_kernelINS0_14default_configENS1_38merge_sort_block_merge_config_selectorIN3c108BFloat16ElEEZZNS1_27merge_sort_block_merge_implIS3_PS6_N6thrust23THRUST_200600_302600_NS10device_ptrIlEEmNSB_4lessIS6_EEEE10hipError_tT0_T1_T2_jT3_P12ihipStream_tbPNSt15iterator_traitsISH_E10value_typeEPNSN_ISI_E10value_typeEPSJ_NS1_7vsmem_tEENKUlT_SH_SI_SJ_E_clIS9_S9_SD_PlEESG_SW_SH_SI_SJ_EUlSW_E0_NS1_11comp_targetILNS1_3genE5ELNS1_11target_archE942ELNS1_3gpuE9ELNS1_3repE0EEENS1_38merge_mergepath_config_static_selectorELNS0_4arch9wavefront6targetE1EEEvSI_
	.globl	_ZN7rocprim17ROCPRIM_400000_NS6detail17trampoline_kernelINS0_14default_configENS1_38merge_sort_block_merge_config_selectorIN3c108BFloat16ElEEZZNS1_27merge_sort_block_merge_implIS3_PS6_N6thrust23THRUST_200600_302600_NS10device_ptrIlEEmNSB_4lessIS6_EEEE10hipError_tT0_T1_T2_jT3_P12ihipStream_tbPNSt15iterator_traitsISH_E10value_typeEPNSN_ISI_E10value_typeEPSJ_NS1_7vsmem_tEENKUlT_SH_SI_SJ_E_clIS9_S9_SD_PlEESG_SW_SH_SI_SJ_EUlSW_E0_NS1_11comp_targetILNS1_3genE5ELNS1_11target_archE942ELNS1_3gpuE9ELNS1_3repE0EEENS1_38merge_mergepath_config_static_selectorELNS0_4arch9wavefront6targetE1EEEvSI_
	.p2align	8
	.type	_ZN7rocprim17ROCPRIM_400000_NS6detail17trampoline_kernelINS0_14default_configENS1_38merge_sort_block_merge_config_selectorIN3c108BFloat16ElEEZZNS1_27merge_sort_block_merge_implIS3_PS6_N6thrust23THRUST_200600_302600_NS10device_ptrIlEEmNSB_4lessIS6_EEEE10hipError_tT0_T1_T2_jT3_P12ihipStream_tbPNSt15iterator_traitsISH_E10value_typeEPNSN_ISI_E10value_typeEPSJ_NS1_7vsmem_tEENKUlT_SH_SI_SJ_E_clIS9_S9_SD_PlEESG_SW_SH_SI_SJ_EUlSW_E0_NS1_11comp_targetILNS1_3genE5ELNS1_11target_archE942ELNS1_3gpuE9ELNS1_3repE0EEENS1_38merge_mergepath_config_static_selectorELNS0_4arch9wavefront6targetE1EEEvSI_,@function
_ZN7rocprim17ROCPRIM_400000_NS6detail17trampoline_kernelINS0_14default_configENS1_38merge_sort_block_merge_config_selectorIN3c108BFloat16ElEEZZNS1_27merge_sort_block_merge_implIS3_PS6_N6thrust23THRUST_200600_302600_NS10device_ptrIlEEmNSB_4lessIS6_EEEE10hipError_tT0_T1_T2_jT3_P12ihipStream_tbPNSt15iterator_traitsISH_E10value_typeEPNSN_ISI_E10value_typeEPSJ_NS1_7vsmem_tEENKUlT_SH_SI_SJ_E_clIS9_S9_SD_PlEESG_SW_SH_SI_SJ_EUlSW_E0_NS1_11comp_targetILNS1_3genE5ELNS1_11target_archE942ELNS1_3gpuE9ELNS1_3repE0EEENS1_38merge_mergepath_config_static_selectorELNS0_4arch9wavefront6targetE1EEEvSI_: ; @_ZN7rocprim17ROCPRIM_400000_NS6detail17trampoline_kernelINS0_14default_configENS1_38merge_sort_block_merge_config_selectorIN3c108BFloat16ElEEZZNS1_27merge_sort_block_merge_implIS3_PS6_N6thrust23THRUST_200600_302600_NS10device_ptrIlEEmNSB_4lessIS6_EEEE10hipError_tT0_T1_T2_jT3_P12ihipStream_tbPNSt15iterator_traitsISH_E10value_typeEPNSN_ISI_E10value_typeEPSJ_NS1_7vsmem_tEENKUlT_SH_SI_SJ_E_clIS9_S9_SD_PlEESG_SW_SH_SI_SJ_EUlSW_E0_NS1_11comp_targetILNS1_3genE5ELNS1_11target_archE942ELNS1_3gpuE9ELNS1_3repE0EEENS1_38merge_mergepath_config_static_selectorELNS0_4arch9wavefront6targetE1EEEvSI_
; %bb.0:
	.section	.rodata,"a",@progbits
	.p2align	6, 0x0
	.amdhsa_kernel _ZN7rocprim17ROCPRIM_400000_NS6detail17trampoline_kernelINS0_14default_configENS1_38merge_sort_block_merge_config_selectorIN3c108BFloat16ElEEZZNS1_27merge_sort_block_merge_implIS3_PS6_N6thrust23THRUST_200600_302600_NS10device_ptrIlEEmNSB_4lessIS6_EEEE10hipError_tT0_T1_T2_jT3_P12ihipStream_tbPNSt15iterator_traitsISH_E10value_typeEPNSN_ISI_E10value_typeEPSJ_NS1_7vsmem_tEENKUlT_SH_SI_SJ_E_clIS9_S9_SD_PlEESG_SW_SH_SI_SJ_EUlSW_E0_NS1_11comp_targetILNS1_3genE5ELNS1_11target_archE942ELNS1_3gpuE9ELNS1_3repE0EEENS1_38merge_mergepath_config_static_selectorELNS0_4arch9wavefront6targetE1EEEvSI_
		.amdhsa_group_segment_fixed_size 0
		.amdhsa_private_segment_fixed_size 0
		.amdhsa_kernarg_size 72
		.amdhsa_user_sgpr_count 6
		.amdhsa_user_sgpr_private_segment_buffer 1
		.amdhsa_user_sgpr_dispatch_ptr 0
		.amdhsa_user_sgpr_queue_ptr 0
		.amdhsa_user_sgpr_kernarg_segment_ptr 1
		.amdhsa_user_sgpr_dispatch_id 0
		.amdhsa_user_sgpr_flat_scratch_init 0
		.amdhsa_user_sgpr_kernarg_preload_length 0
		.amdhsa_user_sgpr_kernarg_preload_offset 0
		.amdhsa_user_sgpr_private_segment_size 0
		.amdhsa_uses_dynamic_stack 0
		.amdhsa_system_sgpr_private_segment_wavefront_offset 0
		.amdhsa_system_sgpr_workgroup_id_x 1
		.amdhsa_system_sgpr_workgroup_id_y 0
		.amdhsa_system_sgpr_workgroup_id_z 0
		.amdhsa_system_sgpr_workgroup_info 0
		.amdhsa_system_vgpr_workitem_id 0
		.amdhsa_next_free_vgpr 1
		.amdhsa_next_free_sgpr 0
		.amdhsa_accum_offset 4
		.amdhsa_reserve_vcc 0
		.amdhsa_reserve_flat_scratch 0
		.amdhsa_float_round_mode_32 0
		.amdhsa_float_round_mode_16_64 0
		.amdhsa_float_denorm_mode_32 3
		.amdhsa_float_denorm_mode_16_64 3
		.amdhsa_dx10_clamp 1
		.amdhsa_ieee_mode 1
		.amdhsa_fp16_overflow 0
		.amdhsa_tg_split 0
		.amdhsa_exception_fp_ieee_invalid_op 0
		.amdhsa_exception_fp_denorm_src 0
		.amdhsa_exception_fp_ieee_div_zero 0
		.amdhsa_exception_fp_ieee_overflow 0
		.amdhsa_exception_fp_ieee_underflow 0
		.amdhsa_exception_fp_ieee_inexact 0
		.amdhsa_exception_int_div_zero 0
	.end_amdhsa_kernel
	.section	.text._ZN7rocprim17ROCPRIM_400000_NS6detail17trampoline_kernelINS0_14default_configENS1_38merge_sort_block_merge_config_selectorIN3c108BFloat16ElEEZZNS1_27merge_sort_block_merge_implIS3_PS6_N6thrust23THRUST_200600_302600_NS10device_ptrIlEEmNSB_4lessIS6_EEEE10hipError_tT0_T1_T2_jT3_P12ihipStream_tbPNSt15iterator_traitsISH_E10value_typeEPNSN_ISI_E10value_typeEPSJ_NS1_7vsmem_tEENKUlT_SH_SI_SJ_E_clIS9_S9_SD_PlEESG_SW_SH_SI_SJ_EUlSW_E0_NS1_11comp_targetILNS1_3genE5ELNS1_11target_archE942ELNS1_3gpuE9ELNS1_3repE0EEENS1_38merge_mergepath_config_static_selectorELNS0_4arch9wavefront6targetE1EEEvSI_,"axG",@progbits,_ZN7rocprim17ROCPRIM_400000_NS6detail17trampoline_kernelINS0_14default_configENS1_38merge_sort_block_merge_config_selectorIN3c108BFloat16ElEEZZNS1_27merge_sort_block_merge_implIS3_PS6_N6thrust23THRUST_200600_302600_NS10device_ptrIlEEmNSB_4lessIS6_EEEE10hipError_tT0_T1_T2_jT3_P12ihipStream_tbPNSt15iterator_traitsISH_E10value_typeEPNSN_ISI_E10value_typeEPSJ_NS1_7vsmem_tEENKUlT_SH_SI_SJ_E_clIS9_S9_SD_PlEESG_SW_SH_SI_SJ_EUlSW_E0_NS1_11comp_targetILNS1_3genE5ELNS1_11target_archE942ELNS1_3gpuE9ELNS1_3repE0EEENS1_38merge_mergepath_config_static_selectorELNS0_4arch9wavefront6targetE1EEEvSI_,comdat
.Lfunc_end2013:
	.size	_ZN7rocprim17ROCPRIM_400000_NS6detail17trampoline_kernelINS0_14default_configENS1_38merge_sort_block_merge_config_selectorIN3c108BFloat16ElEEZZNS1_27merge_sort_block_merge_implIS3_PS6_N6thrust23THRUST_200600_302600_NS10device_ptrIlEEmNSB_4lessIS6_EEEE10hipError_tT0_T1_T2_jT3_P12ihipStream_tbPNSt15iterator_traitsISH_E10value_typeEPNSN_ISI_E10value_typeEPSJ_NS1_7vsmem_tEENKUlT_SH_SI_SJ_E_clIS9_S9_SD_PlEESG_SW_SH_SI_SJ_EUlSW_E0_NS1_11comp_targetILNS1_3genE5ELNS1_11target_archE942ELNS1_3gpuE9ELNS1_3repE0EEENS1_38merge_mergepath_config_static_selectorELNS0_4arch9wavefront6targetE1EEEvSI_, .Lfunc_end2013-_ZN7rocprim17ROCPRIM_400000_NS6detail17trampoline_kernelINS0_14default_configENS1_38merge_sort_block_merge_config_selectorIN3c108BFloat16ElEEZZNS1_27merge_sort_block_merge_implIS3_PS6_N6thrust23THRUST_200600_302600_NS10device_ptrIlEEmNSB_4lessIS6_EEEE10hipError_tT0_T1_T2_jT3_P12ihipStream_tbPNSt15iterator_traitsISH_E10value_typeEPNSN_ISI_E10value_typeEPSJ_NS1_7vsmem_tEENKUlT_SH_SI_SJ_E_clIS9_S9_SD_PlEESG_SW_SH_SI_SJ_EUlSW_E0_NS1_11comp_targetILNS1_3genE5ELNS1_11target_archE942ELNS1_3gpuE9ELNS1_3repE0EEENS1_38merge_mergepath_config_static_selectorELNS0_4arch9wavefront6targetE1EEEvSI_
                                        ; -- End function
	.section	.AMDGPU.csdata,"",@progbits
; Kernel info:
; codeLenInByte = 0
; NumSgprs: 4
; NumVgprs: 0
; NumAgprs: 0
; TotalNumVgprs: 0
; ScratchSize: 0
; MemoryBound: 0
; FloatMode: 240
; IeeeMode: 1
; LDSByteSize: 0 bytes/workgroup (compile time only)
; SGPRBlocks: 0
; VGPRBlocks: 0
; NumSGPRsForWavesPerEU: 4
; NumVGPRsForWavesPerEU: 1
; AccumOffset: 4
; Occupancy: 8
; WaveLimiterHint : 0
; COMPUTE_PGM_RSRC2:SCRATCH_EN: 0
; COMPUTE_PGM_RSRC2:USER_SGPR: 6
; COMPUTE_PGM_RSRC2:TRAP_HANDLER: 0
; COMPUTE_PGM_RSRC2:TGID_X_EN: 1
; COMPUTE_PGM_RSRC2:TGID_Y_EN: 0
; COMPUTE_PGM_RSRC2:TGID_Z_EN: 0
; COMPUTE_PGM_RSRC2:TIDIG_COMP_CNT: 0
; COMPUTE_PGM_RSRC3_GFX90A:ACCUM_OFFSET: 0
; COMPUTE_PGM_RSRC3_GFX90A:TG_SPLIT: 0
	.section	.text._ZN7rocprim17ROCPRIM_400000_NS6detail17trampoline_kernelINS0_14default_configENS1_38merge_sort_block_merge_config_selectorIN3c108BFloat16ElEEZZNS1_27merge_sort_block_merge_implIS3_PS6_N6thrust23THRUST_200600_302600_NS10device_ptrIlEEmNSB_4lessIS6_EEEE10hipError_tT0_T1_T2_jT3_P12ihipStream_tbPNSt15iterator_traitsISH_E10value_typeEPNSN_ISI_E10value_typeEPSJ_NS1_7vsmem_tEENKUlT_SH_SI_SJ_E_clIS9_S9_SD_PlEESG_SW_SH_SI_SJ_EUlSW_E0_NS1_11comp_targetILNS1_3genE4ELNS1_11target_archE910ELNS1_3gpuE8ELNS1_3repE0EEENS1_38merge_mergepath_config_static_selectorELNS0_4arch9wavefront6targetE1EEEvSI_,"axG",@progbits,_ZN7rocprim17ROCPRIM_400000_NS6detail17trampoline_kernelINS0_14default_configENS1_38merge_sort_block_merge_config_selectorIN3c108BFloat16ElEEZZNS1_27merge_sort_block_merge_implIS3_PS6_N6thrust23THRUST_200600_302600_NS10device_ptrIlEEmNSB_4lessIS6_EEEE10hipError_tT0_T1_T2_jT3_P12ihipStream_tbPNSt15iterator_traitsISH_E10value_typeEPNSN_ISI_E10value_typeEPSJ_NS1_7vsmem_tEENKUlT_SH_SI_SJ_E_clIS9_S9_SD_PlEESG_SW_SH_SI_SJ_EUlSW_E0_NS1_11comp_targetILNS1_3genE4ELNS1_11target_archE910ELNS1_3gpuE8ELNS1_3repE0EEENS1_38merge_mergepath_config_static_selectorELNS0_4arch9wavefront6targetE1EEEvSI_,comdat
	.protected	_ZN7rocprim17ROCPRIM_400000_NS6detail17trampoline_kernelINS0_14default_configENS1_38merge_sort_block_merge_config_selectorIN3c108BFloat16ElEEZZNS1_27merge_sort_block_merge_implIS3_PS6_N6thrust23THRUST_200600_302600_NS10device_ptrIlEEmNSB_4lessIS6_EEEE10hipError_tT0_T1_T2_jT3_P12ihipStream_tbPNSt15iterator_traitsISH_E10value_typeEPNSN_ISI_E10value_typeEPSJ_NS1_7vsmem_tEENKUlT_SH_SI_SJ_E_clIS9_S9_SD_PlEESG_SW_SH_SI_SJ_EUlSW_E0_NS1_11comp_targetILNS1_3genE4ELNS1_11target_archE910ELNS1_3gpuE8ELNS1_3repE0EEENS1_38merge_mergepath_config_static_selectorELNS0_4arch9wavefront6targetE1EEEvSI_ ; -- Begin function _ZN7rocprim17ROCPRIM_400000_NS6detail17trampoline_kernelINS0_14default_configENS1_38merge_sort_block_merge_config_selectorIN3c108BFloat16ElEEZZNS1_27merge_sort_block_merge_implIS3_PS6_N6thrust23THRUST_200600_302600_NS10device_ptrIlEEmNSB_4lessIS6_EEEE10hipError_tT0_T1_T2_jT3_P12ihipStream_tbPNSt15iterator_traitsISH_E10value_typeEPNSN_ISI_E10value_typeEPSJ_NS1_7vsmem_tEENKUlT_SH_SI_SJ_E_clIS9_S9_SD_PlEESG_SW_SH_SI_SJ_EUlSW_E0_NS1_11comp_targetILNS1_3genE4ELNS1_11target_archE910ELNS1_3gpuE8ELNS1_3repE0EEENS1_38merge_mergepath_config_static_selectorELNS0_4arch9wavefront6targetE1EEEvSI_
	.globl	_ZN7rocprim17ROCPRIM_400000_NS6detail17trampoline_kernelINS0_14default_configENS1_38merge_sort_block_merge_config_selectorIN3c108BFloat16ElEEZZNS1_27merge_sort_block_merge_implIS3_PS6_N6thrust23THRUST_200600_302600_NS10device_ptrIlEEmNSB_4lessIS6_EEEE10hipError_tT0_T1_T2_jT3_P12ihipStream_tbPNSt15iterator_traitsISH_E10value_typeEPNSN_ISI_E10value_typeEPSJ_NS1_7vsmem_tEENKUlT_SH_SI_SJ_E_clIS9_S9_SD_PlEESG_SW_SH_SI_SJ_EUlSW_E0_NS1_11comp_targetILNS1_3genE4ELNS1_11target_archE910ELNS1_3gpuE8ELNS1_3repE0EEENS1_38merge_mergepath_config_static_selectorELNS0_4arch9wavefront6targetE1EEEvSI_
	.p2align	8
	.type	_ZN7rocprim17ROCPRIM_400000_NS6detail17trampoline_kernelINS0_14default_configENS1_38merge_sort_block_merge_config_selectorIN3c108BFloat16ElEEZZNS1_27merge_sort_block_merge_implIS3_PS6_N6thrust23THRUST_200600_302600_NS10device_ptrIlEEmNSB_4lessIS6_EEEE10hipError_tT0_T1_T2_jT3_P12ihipStream_tbPNSt15iterator_traitsISH_E10value_typeEPNSN_ISI_E10value_typeEPSJ_NS1_7vsmem_tEENKUlT_SH_SI_SJ_E_clIS9_S9_SD_PlEESG_SW_SH_SI_SJ_EUlSW_E0_NS1_11comp_targetILNS1_3genE4ELNS1_11target_archE910ELNS1_3gpuE8ELNS1_3repE0EEENS1_38merge_mergepath_config_static_selectorELNS0_4arch9wavefront6targetE1EEEvSI_,@function
_ZN7rocprim17ROCPRIM_400000_NS6detail17trampoline_kernelINS0_14default_configENS1_38merge_sort_block_merge_config_selectorIN3c108BFloat16ElEEZZNS1_27merge_sort_block_merge_implIS3_PS6_N6thrust23THRUST_200600_302600_NS10device_ptrIlEEmNSB_4lessIS6_EEEE10hipError_tT0_T1_T2_jT3_P12ihipStream_tbPNSt15iterator_traitsISH_E10value_typeEPNSN_ISI_E10value_typeEPSJ_NS1_7vsmem_tEENKUlT_SH_SI_SJ_E_clIS9_S9_SD_PlEESG_SW_SH_SI_SJ_EUlSW_E0_NS1_11comp_targetILNS1_3genE4ELNS1_11target_archE910ELNS1_3gpuE8ELNS1_3repE0EEENS1_38merge_mergepath_config_static_selectorELNS0_4arch9wavefront6targetE1EEEvSI_: ; @_ZN7rocprim17ROCPRIM_400000_NS6detail17trampoline_kernelINS0_14default_configENS1_38merge_sort_block_merge_config_selectorIN3c108BFloat16ElEEZZNS1_27merge_sort_block_merge_implIS3_PS6_N6thrust23THRUST_200600_302600_NS10device_ptrIlEEmNSB_4lessIS6_EEEE10hipError_tT0_T1_T2_jT3_P12ihipStream_tbPNSt15iterator_traitsISH_E10value_typeEPNSN_ISI_E10value_typeEPSJ_NS1_7vsmem_tEENKUlT_SH_SI_SJ_E_clIS9_S9_SD_PlEESG_SW_SH_SI_SJ_EUlSW_E0_NS1_11comp_targetILNS1_3genE4ELNS1_11target_archE910ELNS1_3gpuE8ELNS1_3repE0EEENS1_38merge_mergepath_config_static_selectorELNS0_4arch9wavefront6targetE1EEEvSI_
; %bb.0:
	s_load_dwordx2 s[28:29], s[4:5], 0x48
	s_load_dword s2, s[4:5], 0x38
	s_add_u32 s0, s4, 0x48
	s_addc_u32 s1, s5, 0
	s_waitcnt lgkmcnt(0)
	s_mul_i32 s3, s29, s8
	s_add_i32 s3, s3, s7
	s_mul_i32 s3, s3, s28
	s_add_i32 s26, s3, s6
	s_cmp_ge_u32 s26, s2
	s_cbranch_scc1 .LBB2014_55
; %bb.1:
	s_load_dwordx2 s[2:3], s[4:5], 0x40
	s_load_dwordx4 s[16:19], s[4:5], 0x28
	s_load_dwordx8 s[8:15], s[4:5], 0x8
	s_mov_b32 s27, 0
	s_lshl_b64 s[4:5], s[26:27], 3
	s_waitcnt lgkmcnt(0)
	s_add_u32 s2, s2, s4
	v_mov_b32_e32 v1, s18
	s_addc_u32 s3, s3, s5
	v_alignbit_b32 v1, s19, v1, 9
	s_load_dwordx4 s[20:23], s[2:3], 0x0
	v_readfirstlane_b32 s2, v1
	s_and_b32 s2, s2, -2
	s_sub_i32 s31, 0, s2
	s_and_b32 s4, s26, s31
	s_mov_b32 s5, s27
	s_lshl_b64 s[2:3], s[4:5], 10
	s_lshl_b64 s[24:25], s[26:27], 10
	s_sub_u32 s29, s24, s2
	s_subb_u32 s33, s25, s3
	s_lshl_b64 s[4:5], s[4:5], 11
	s_add_u32 s7, s4, s18
	s_addc_u32 s30, s5, s19
	s_add_u32 s4, s7, s29
	s_addc_u32 s5, s30, s33
	s_waitcnt lgkmcnt(0)
	s_sub_u32 s29, s4, s22
	s_subb_u32 s23, s5, s23
	s_add_u32 s34, s29, 0x400
	s_addc_u32 s35, s23, 0
	v_pk_mov_b32 v[2:3], s[34:35], s[34:35] op_sel:[0,1]
	v_cmp_lt_u64_e32 vcc, s[16:17], v[2:3]
	s_and_b64 s[36:37], vcc, exec
	s_cselect_b32 s29, s16, s34
	s_or_b32 s23, s26, s31
	s_cmp_lg_u32 s23, -1
	s_cbranch_scc1 .LBB2014_3
; %bb.2:
	s_sub_u32 s2, s7, s2
	s_subb_u32 s3, s30, s3
	v_pk_mov_b32 v[2:3], s[2:3], s[2:3] op_sel:[0,1]
	v_cmp_lt_u64_e32 vcc, s[16:17], v[2:3]
	s_and_b64 s[22:23], vcc, exec
	s_cselect_b32 s22, s16, s2
	s_add_u32 s2, s2, s18
	s_addc_u32 s3, s3, s19
	v_pk_mov_b32 v[2:3], s[2:3], s[2:3] op_sel:[0,1]
	v_cmp_lt_u64_e32 vcc, s[16:17], v[2:3]
	s_and_b64 s[18:19], vcc, exec
	s_cselect_b32 s29, s16, s2
.LBB2014_3:
	s_lshr_b64 s[30:31], s[16:17], 10
	s_cmp_lg_u64 s[30:31], s[26:27]
	s_cselect_b64 s[18:19], -1, 0
	s_sub_u32 s2, s4, s20
	s_subb_u32 s3, s5, s21
	v_pk_mov_b32 v[2:3], s[2:3], s[2:3] op_sel:[0,1]
	v_cmp_lt_u64_e32 vcc, s[16:17], v[2:3]
	s_and_b64 s[4:5], vcc, exec
	s_cselect_b32 s3, s17, s3
	s_cselect_b32 s2, s16, s2
	s_sub_i32 s17, s22, s20
	s_lshl_b64 s[4:5], s[20:21], 1
	s_add_u32 s22, s8, s4
	s_addc_u32 s23, s9, s5
	s_lshl_b64 s[4:5], s[2:3], 1
	s_add_u32 s7, s8, s4
	s_addc_u32 s8, s9, s5
	s_cmp_lt_u32 s6, s28
	v_mov_b32_e32 v3, 0
	s_cselect_b32 s4, 12, 18
	global_load_dword v1, v3, s[0:1] offset:14
	s_add_u32 s0, s0, s4
	s_addc_u32 s1, s1, 0
	global_load_ushort v2, v3, s[0:1]
	s_cmp_eq_u64 s[30:31], s[26:27]
	s_waitcnt vmcnt(1)
	v_lshrrev_b32_e32 v4, 16, v1
	v_and_b32_e32 v1, 0xffff, v1
	v_mul_lo_u32 v1, v1, v4
	s_waitcnt vmcnt(0)
	v_mul_lo_u32 v15, v1, v2
	v_add_u32_e32 v12, v15, v0
	v_lshlrev_b32_e32 v1, 1, v0
	v_add_u32_e32 v10, v12, v15
	s_cbranch_scc1 .LBB2014_5
; %bb.4:
	v_mov_b32_e32 v2, s23
	v_add_co_u32_e32 v6, vcc, s22, v1
	v_addc_co_u32_e32 v7, vcc, 0, v2, vcc
	v_subrev_u32_e32 v2, s17, v0
	v_lshlrev_b64 v[4:5], 1, v[2:3]
	v_mov_b32_e32 v2, s8
	v_add_co_u32_e32 v4, vcc, s7, v4
	v_addc_co_u32_e32 v2, vcc, v2, v5, vcc
	v_cmp_gt_u32_e32 vcc, s17, v0
	v_cndmask_b32_e32 v5, v2, v7, vcc
	v_cndmask_b32_e32 v4, v4, v6, vcc
	v_mov_b32_e32 v13, v3
	global_load_ushort v17, v[4:5], off
	v_lshlrev_b64 v[4:5], 1, v[12:13]
	v_mov_b32_e32 v2, s23
	v_add_co_u32_e32 v6, vcc, s22, v4
	v_addc_co_u32_e32 v7, vcc, v2, v5, vcc
	v_subrev_u32_e32 v2, s17, v12
	v_lshlrev_b64 v[4:5], 1, v[2:3]
	v_mov_b32_e32 v2, s8
	v_add_co_u32_e32 v4, vcc, s7, v4
	v_addc_co_u32_e32 v2, vcc, v2, v5, vcc
	v_cmp_gt_u32_e32 vcc, s17, v12
	v_cndmask_b32_e32 v5, v2, v7, vcc
	v_cndmask_b32_e32 v4, v4, v6, vcc
	v_mov_b32_e32 v11, v3
	global_load_ushort v18, v[4:5], off
	v_lshlrev_b64 v[4:5], 1, v[10:11]
	v_mov_b32_e32 v2, s23
	v_add_co_u32_e32 v4, vcc, s22, v4
	v_addc_co_u32_e32 v5, vcc, v2, v5, vcc
	v_subrev_u32_e32 v2, s17, v10
	v_lshlrev_b64 v[2:3], 1, v[2:3]
	v_mov_b32_e32 v6, s8
	v_add_co_u32_e32 v2, vcc, s7, v2
	v_addc_co_u32_e32 v3, vcc, v6, v3, vcc
	v_cmp_gt_u32_e32 vcc, s17, v10
	v_cndmask_b32_e32 v3, v3, v5, vcc
	v_cndmask_b32_e32 v2, v2, v4, vcc
	global_load_ushort v19, v[2:3], off
	v_add_u32_e32 v2, v10, v15
	s_mov_b64 s[0:1], -1
	s_sub_i32 s6, s29, s2
	s_cbranch_execz .LBB2014_6
	s_branch .LBB2014_13
.LBB2014_5:
	s_mov_b64 s[0:1], 0
                                        ; implicit-def: $vgpr19
                                        ; implicit-def: $vgpr18
                                        ; implicit-def: $vgpr17
                                        ; implicit-def: $vgpr2
	s_sub_i32 s6, s29, s2
.LBB2014_6:
	s_add_i32 s4, s17, s6
	v_cmp_gt_u32_e32 vcc, s4, v0
                                        ; implicit-def: $vgpr17
	s_and_saveexec_b64 s[0:1], vcc
	s_cbranch_execz .LBB2014_8
; %bb.7:
	v_mov_b32_e32 v2, s23
	v_add_co_u32_e32 v4, vcc, s22, v1
	v_mov_b32_e32 v3, 0
	v_addc_co_u32_e32 v5, vcc, 0, v2, vcc
	v_subrev_u32_e32 v2, s17, v0
	v_lshlrev_b64 v[2:3], 1, v[2:3]
	v_mov_b32_e32 v6, s8
	v_add_co_u32_e32 v2, vcc, s7, v2
	v_addc_co_u32_e32 v3, vcc, v6, v3, vcc
	v_cmp_gt_u32_e32 vcc, s17, v0
	v_cndmask_b32_e32 v3, v3, v5, vcc
	v_cndmask_b32_e32 v2, v2, v4, vcc
	global_load_ushort v17, v[2:3], off
.LBB2014_8:
	s_or_b64 exec, exec, s[0:1]
	v_cmp_gt_u32_e32 vcc, s4, v12
                                        ; implicit-def: $vgpr18
	s_and_saveexec_b64 s[0:1], vcc
	s_cbranch_execz .LBB2014_10
; %bb.9:
	v_mov_b32_e32 v13, 0
	v_lshlrev_b64 v[2:3], 1, v[12:13]
	v_mov_b32_e32 v4, s23
	v_add_co_u32_e32 v5, vcc, s22, v2
	v_addc_co_u32_e32 v4, vcc, v4, v3, vcc
	v_subrev_u32_e32 v2, s17, v12
	v_mov_b32_e32 v3, v13
	v_lshlrev_b64 v[2:3], 1, v[2:3]
	v_mov_b32_e32 v6, s8
	v_add_co_u32_e32 v2, vcc, s7, v2
	v_addc_co_u32_e32 v3, vcc, v6, v3, vcc
	v_cmp_gt_u32_e32 vcc, s17, v12
	v_cndmask_b32_e32 v3, v3, v4, vcc
	v_cndmask_b32_e32 v2, v2, v5, vcc
	global_load_ushort v18, v[2:3], off
.LBB2014_10:
	s_or_b64 exec, exec, s[0:1]
	v_cmp_gt_u32_e32 vcc, s4, v10
                                        ; implicit-def: $vgpr19
	s_and_saveexec_b64 s[0:1], vcc
	s_cbranch_execz .LBB2014_12
; %bb.11:
	v_mov_b32_e32 v11, 0
	v_lshlrev_b64 v[2:3], 1, v[10:11]
	v_mov_b32_e32 v4, s23
	v_add_co_u32_e32 v5, vcc, s22, v2
	v_addc_co_u32_e32 v4, vcc, v4, v3, vcc
	v_subrev_u32_e32 v2, s17, v10
	v_mov_b32_e32 v3, v11
	v_lshlrev_b64 v[2:3], 1, v[2:3]
	v_mov_b32_e32 v6, s8
	v_add_co_u32_e32 v2, vcc, s7, v2
	v_addc_co_u32_e32 v3, vcc, v6, v3, vcc
	v_cmp_gt_u32_e32 vcc, s17, v10
	v_cndmask_b32_e32 v3, v3, v4, vcc
	v_cndmask_b32_e32 v2, v2, v5, vcc
	global_load_ushort v19, v[2:3], off
.LBB2014_12:
	s_or_b64 exec, exec, s[0:1]
	v_add_u32_e32 v2, v10, v15
	v_cmp_gt_u32_e64 s[0:1], s4, v2
.LBB2014_13:
                                        ; implicit-def: $vgpr20
	s_and_saveexec_b64 s[4:5], s[0:1]
	s_cbranch_execz .LBB2014_15
; %bb.14:
	v_mov_b32_e32 v3, 0
	v_lshlrev_b64 v[4:5], 1, v[2:3]
	v_mov_b32_e32 v6, s23
	v_add_co_u32_e32 v4, vcc, s22, v4
	v_addc_co_u32_e32 v5, vcc, v6, v5, vcc
	v_cmp_gt_u32_e32 vcc, s17, v2
	v_subrev_u32_e32 v2, s17, v2
	v_lshlrev_b64 v[2:3], 1, v[2:3]
	v_mov_b32_e32 v6, s8
	v_add_co_u32_e64 v2, s[0:1], s7, v2
	v_addc_co_u32_e64 v3, s[0:1], v6, v3, s[0:1]
	v_cndmask_b32_e32 v3, v3, v5, vcc
	v_cndmask_b32_e32 v2, v2, v4, vcc
	global_load_ushort v20, v[2:3], off
.LBB2014_15:
	s_or_b64 exec, exec, s[4:5]
	s_lshl_b64 s[0:1], s[20:21], 3
	s_add_u32 s4, s12, s0
	s_addc_u32 s5, s13, s1
	s_lshl_b64 s[0:1], s[2:3], 3
	s_add_u32 s7, s12, s0
	s_addc_u32 s8, s13, s1
	s_andn2_b64 vcc, exec, s[18:19]
	v_lshlrev_b32_e32 v16, 3, v0
	s_waitcnt vmcnt(0)
	ds_write_b16 v1, v17
	ds_write_b16 v1, v18 offset:512
	ds_write_b16 v1, v19 offset:1024
	;; [unrolled: 1-line block ×3, first 2 shown]
	s_cbranch_vccnz .LBB2014_17
; %bb.16:
	v_subrev_u32_e32 v6, s17, v0
	v_mov_b32_e32 v7, 0
	v_lshlrev_b64 v[2:3], 3, v[6:7]
	v_mov_b32_e32 v4, s8
	v_add_co_u32_e32 v2, vcc, s7, v2
	v_addc_co_u32_e32 v3, vcc, v4, v3, vcc
	v_mov_b32_e32 v4, s5
	v_add_co_u32_e32 v5, vcc, s4, v16
	v_addc_co_u32_e32 v4, vcc, 0, v4, vcc
	v_cmp_gt_u32_e32 vcc, s17, v0
	v_subrev_u32_e32 v6, s17, v12
	v_cndmask_b32_e32 v3, v3, v4, vcc
	v_cndmask_b32_e32 v2, v2, v5, vcc
	v_lshlrev_b64 v[4:5], 3, v[6:7]
	v_mov_b32_e32 v6, s8
	v_add_co_u32_e32 v8, vcc, s7, v4
	v_mov_b32_e32 v13, v7
	v_addc_co_u32_e32 v6, vcc, v6, v5, vcc
	v_lshlrev_b64 v[4:5], 3, v[12:13]
	v_mov_b32_e32 v9, s5
	v_add_co_u32_e32 v4, vcc, s4, v4
	v_addc_co_u32_e32 v5, vcc, v9, v5, vcc
	v_cmp_gt_u32_e32 vcc, s17, v12
	v_cndmask_b32_e32 v5, v6, v5, vcc
	v_subrev_u32_e32 v6, s17, v10
	v_cndmask_b32_e32 v4, v8, v4, vcc
	v_lshlrev_b64 v[8:9], 3, v[6:7]
	v_mov_b32_e32 v6, s8
	v_add_co_u32_e32 v8, vcc, s7, v8
	v_mov_b32_e32 v11, v7
	v_addc_co_u32_e32 v9, vcc, v6, v9, vcc
	v_lshlrev_b64 v[6:7], 3, v[10:11]
	v_mov_b32_e32 v11, s5
	v_add_co_u32_e32 v6, vcc, s4, v6
	v_addc_co_u32_e32 v7, vcc, v11, v7, vcc
	v_cmp_gt_u32_e32 vcc, s17, v10
	v_cndmask_b32_e32 v7, v9, v7, vcc
	v_cndmask_b32_e32 v6, v8, v6, vcc
	global_load_dwordx2 v[2:3], v[2:3], off
	v_add_u32_e32 v14, v10, v15
	global_load_dwordx2 v[4:5], v[4:5], off
	s_add_i32 s9, s17, s6
	global_load_dwordx2 v[6:7], v[6:7], off
	s_mov_b64 s[0:1], -1
	s_cbranch_execz .LBB2014_18
	s_branch .LBB2014_23
.LBB2014_17:
	s_mov_b64 s[0:1], 0
                                        ; implicit-def: $vgpr14
                                        ; implicit-def: $vgpr2_vgpr3_vgpr4_vgpr5_vgpr6_vgpr7_vgpr8_vgpr9
                                        ; implicit-def: $sgpr9
.LBB2014_18:
	s_add_i32 s9, s17, s6
	v_cmp_gt_u32_e32 vcc, s9, v0
                                        ; implicit-def: $vgpr2_vgpr3_vgpr4_vgpr5_vgpr6_vgpr7_vgpr8_vgpr9
	s_and_saveexec_b64 s[0:1], vcc
	s_cbranch_execz .LBB2014_37
; %bb.19:
	s_waitcnt vmcnt(2)
	v_mov_b32_e32 v2, s5
	s_waitcnt vmcnt(1)
	v_add_co_u32_e32 v4, vcc, s4, v16
	v_mov_b32_e32 v3, 0
	v_addc_co_u32_e32 v5, vcc, 0, v2, vcc
	v_subrev_u32_e32 v2, s17, v0
	v_lshlrev_b64 v[2:3], 3, v[2:3]
	s_waitcnt vmcnt(0)
	v_mov_b32_e32 v6, s8
	v_add_co_u32_e32 v2, vcc, s7, v2
	v_addc_co_u32_e32 v3, vcc, v6, v3, vcc
	v_cmp_gt_u32_e32 vcc, s17, v0
	v_cndmask_b32_e32 v3, v3, v5, vcc
	v_cndmask_b32_e32 v2, v2, v4, vcc
	global_load_dwordx2 v[2:3], v[2:3], off
	s_or_b64 exec, exec, s[0:1]
	v_cmp_gt_u32_e32 vcc, s9, v12
	s_and_saveexec_b64 s[2:3], vcc
	s_cbranch_execnz .LBB2014_38
.LBB2014_20:
	s_or_b64 exec, exec, s[2:3]
	v_cmp_gt_u32_e32 vcc, s9, v10
	s_and_saveexec_b64 s[0:1], vcc
	s_cbranch_execz .LBB2014_22
.LBB2014_21:
	v_mov_b32_e32 v11, 0
	s_waitcnt vmcnt(0)
	v_lshlrev_b64 v[6:7], 3, v[10:11]
	v_mov_b32_e32 v12, s5
	v_add_co_u32_e32 v13, vcc, s4, v6
	v_addc_co_u32_e32 v12, vcc, v12, v7, vcc
	v_subrev_u32_e32 v6, s17, v10
	v_mov_b32_e32 v7, v11
	v_lshlrev_b64 v[6:7], 3, v[6:7]
	v_mov_b32_e32 v11, s8
	v_add_co_u32_e32 v6, vcc, s7, v6
	v_addc_co_u32_e32 v7, vcc, v11, v7, vcc
	v_cmp_gt_u32_e32 vcc, s17, v10
	v_cndmask_b32_e32 v7, v7, v12, vcc
	v_cndmask_b32_e32 v6, v6, v13, vcc
	global_load_dwordx2 v[6:7], v[6:7], off
.LBB2014_22:
	s_or_b64 exec, exec, s[0:1]
	v_add_u32_e32 v14, v10, v15
	v_cmp_gt_u32_e64 s[0:1], s9, v14
.LBB2014_23:
	v_mov_b32_e32 v10, s9
	s_and_saveexec_b64 s[2:3], s[0:1]
	s_cbranch_execz .LBB2014_25
; %bb.24:
	v_subrev_u32_e32 v8, s17, v14
	v_mov_b32_e32 v9, 0
	v_lshlrev_b64 v[10:11], 3, v[8:9]
	v_mov_b32_e32 v8, s8
	v_add_co_u32_e32 v10, vcc, s7, v10
	v_mov_b32_e32 v15, v9
	v_addc_co_u32_e32 v11, vcc, v8, v11, vcc
	v_lshlrev_b64 v[8:9], 3, v[14:15]
	v_mov_b32_e32 v12, s5
	v_add_co_u32_e32 v8, vcc, s4, v8
	v_addc_co_u32_e32 v9, vcc, v12, v9, vcc
	v_cmp_gt_u32_e32 vcc, s17, v14
	v_cndmask_b32_e32 v9, v11, v9, vcc
	v_cndmask_b32_e32 v8, v10, v8, vcc
	global_load_dwordx2 v[8:9], v[8:9], off
	v_mov_b32_e32 v10, s9
.LBB2014_25:
	s_or_b64 exec, exec, s[2:3]
	v_lshlrev_b32_e32 v12, 2, v0
	v_min_u32_e32 v13, v10, v12
	v_sub_u32_e64 v11, v13, s6 clamp
	v_min_u32_e32 v14, s17, v13
	v_cmp_lt_u32_e32 vcc, v11, v14
	s_waitcnt lgkmcnt(0)
	s_barrier
	s_and_saveexec_b64 s[0:1], vcc
	s_cbranch_execz .LBB2014_29
; %bb.26:
	v_lshlrev_b32_e32 v15, 1, v13
	v_lshl_add_u32 v15, s17, 1, v15
	s_mov_b64 s[2:3], 0
.LBB2014_27:                            ; =>This Inner Loop Header: Depth=1
	v_add_u32_e32 v21, v14, v11
	v_lshrrev_b32_e32 v22, 1, v21
	v_not_b32_e32 v23, v22
	v_and_b32_e32 v21, -2, v21
	v_lshl_add_u32 v23, v23, 1, v15
	ds_read_u16 v21, v21
	ds_read_u16 v23, v23
	v_add_u32_e32 v24, 1, v22
	s_waitcnt lgkmcnt(1)
	v_lshlrev_b32_e32 v21, 16, v21
	s_waitcnt lgkmcnt(0)
	v_lshlrev_b32_e32 v23, 16, v23
	v_cmp_lt_f32_e32 vcc, v23, v21
	v_cndmask_b32_e32 v14, v14, v22, vcc
	v_cndmask_b32_e32 v11, v24, v11, vcc
	v_cmp_ge_u32_e32 vcc, v11, v14
	s_or_b64 s[2:3], vcc, s[2:3]
	s_andn2_b64 exec, exec, s[2:3]
	s_cbranch_execnz .LBB2014_27
; %bb.28:
	s_or_b64 exec, exec, s[2:3]
.LBB2014_29:
	s_or_b64 exec, exec, s[0:1]
	v_sub_u32_e32 v13, v13, v11
	v_add_u32_e32 v23, s17, v13
	v_cmp_ge_u32_e32 vcc, s17, v11
	v_cmp_le_u32_e64 s[0:1], v23, v10
	s_or_b64 s[0:1], vcc, s[0:1]
                                        ; implicit-def: $vgpr22
                                        ; implicit-def: $vgpr21
                                        ; implicit-def: $vgpr15
                                        ; implicit-def: $vgpr13
	s_and_saveexec_b64 s[8:9], s[0:1]
	s_cbranch_execz .LBB2014_35
; %bb.30:
	v_cmp_gt_u32_e32 vcc, s17, v11
                                        ; implicit-def: $vgpr14
	s_and_saveexec_b64 s[0:1], vcc
	s_cbranch_execz .LBB2014_32
; %bb.31:
	v_lshlrev_b32_e32 v13, 1, v11
	ds_read_u16 v14, v13
.LBB2014_32:
	s_or_b64 exec, exec, s[0:1]
	v_cmp_ge_u32_e64 s[0:1], v23, v10
	v_cmp_lt_u32_e64 s[2:3], v23, v10
                                        ; implicit-def: $vgpr17
	s_and_saveexec_b64 s[4:5], s[2:3]
	s_cbranch_execz .LBB2014_34
; %bb.33:
	v_lshlrev_b32_e32 v13, 1, v23
	ds_read_u16 v17, v13
.LBB2014_34:
	s_or_b64 exec, exec, s[4:5]
	s_waitcnt lgkmcnt(0)
	v_lshlrev_b32_e32 v13, 16, v14
	v_lshlrev_b32_e32 v15, 16, v17
	v_cmp_nlt_f32_e64 s[2:3], v15, v13
	s_and_b64 s[2:3], vcc, s[2:3]
	s_or_b64 vcc, s[0:1], s[2:3]
	v_mov_b32_e32 v18, s17
	v_cndmask_b32_e32 v13, v23, v11, vcc
	v_cndmask_b32_e32 v15, v10, v18, vcc
	v_add_u32_e32 v19, 1, v13
	v_add_u32_e32 v15, -1, v15
	v_min_u32_e32 v15, v19, v15
	v_lshlrev_b32_e32 v15, 1, v15
	ds_read_u16 v15, v15
	v_cndmask_b32_e32 v21, v19, v23, vcc
	v_cndmask_b32_e32 v11, v11, v19, vcc
	v_cmp_gt_u32_e64 s[2:3], s17, v11
	v_cmp_ge_u32_e64 s[0:1], v21, v10
	s_waitcnt lgkmcnt(0)
	v_cndmask_b32_e32 v20, v15, v17, vcc
	v_cndmask_b32_e32 v22, v14, v15, vcc
	v_lshlrev_b32_e32 v15, 16, v20
	v_lshlrev_b32_e32 v19, 16, v22
	v_cmp_nlt_f32_e64 s[4:5], v15, v19
	s_and_b64 s[2:3], s[2:3], s[4:5]
	s_or_b64 s[0:1], s[0:1], s[2:3]
	v_cndmask_b32_e64 v15, v21, v11, s[0:1]
	v_cndmask_b32_e64 v19, v10, v18, s[0:1]
	v_add_u32_e32 v23, 1, v15
	v_add_u32_e32 v19, -1, v19
	v_min_u32_e32 v19, v23, v19
	v_lshlrev_b32_e32 v19, 1, v19
	ds_read_u16 v19, v19
	v_cndmask_b32_e64 v26, v23, v21, s[0:1]
	v_cndmask_b32_e64 v11, v11, v23, s[0:1]
	v_cmp_gt_u32_e64 s[4:5], s17, v11
	v_cmp_ge_u32_e64 s[2:3], v26, v10
	s_waitcnt lgkmcnt(0)
	v_cndmask_b32_e64 v24, v19, v20, s[0:1]
	v_cndmask_b32_e64 v25, v22, v19, s[0:1]
	v_lshlrev_b32_e32 v19, 16, v24
	v_lshlrev_b32_e32 v21, 16, v25
	v_cmp_nlt_f32_e64 s[6:7], v19, v21
	s_and_b64 s[4:5], s[4:5], s[6:7]
	s_or_b64 s[2:3], s[2:3], s[4:5]
	v_cndmask_b32_e64 v21, v26, v11, s[2:3]
	v_cndmask_b32_e64 v18, v10, v18, s[2:3]
	v_add_u32_e32 v23, 1, v21
	v_add_u32_e32 v18, -1, v18
	v_min_u32_e32 v18, v23, v18
	v_lshlrev_b32_e32 v18, 1, v18
	ds_read_u16 v27, v18
	v_cndmask_b32_e32 v17, v17, v14, vcc
	v_cndmask_b32_e64 v18, v20, v22, s[0:1]
	v_cndmask_b32_e64 v22, v23, v26, s[2:3]
	;; [unrolled: 1-line block ×3, first 2 shown]
	s_waitcnt lgkmcnt(0)
	v_cndmask_b32_e64 v14, v27, v24, s[2:3]
	v_cndmask_b32_e64 v20, v25, v27, s[2:3]
	v_cmp_ge_u32_e32 vcc, v22, v10
	v_lshlrev_b32_e32 v10, 16, v14
	v_lshlrev_b32_e32 v23, 16, v20
	v_cndmask_b32_e64 v19, v24, v25, s[2:3]
	v_cmp_gt_u32_e64 s[0:1], s17, v11
	v_cmp_nlt_f32_e64 s[2:3], v10, v23
	s_and_b64 s[0:1], s[0:1], s[2:3]
	s_or_b64 vcc, vcc, s[0:1]
	v_cndmask_b32_e32 v22, v22, v11, vcc
	v_cndmask_b32_e32 v20, v14, v20, vcc
.LBB2014_35:
	s_or_b64 exec, exec, s[8:9]
	v_lshrrev_b32_e32 v10, 2, v0
	v_mad_u32_u24 v14, v0, 6, v1
	v_and_b32_e32 v10, 60, v10
	s_mov_b32 s2, 0x5040100
	s_barrier
	s_waitcnt vmcnt(0)
	ds_write2st64_b64 v14, v[2:3], v[4:5] offset1:4
	ds_write2st64_b64 v14, v[6:7], v[8:9] offset0:8 offset1:12
	v_lshlrev_b32_e32 v2, 3, v13
	v_lshlrev_b32_e32 v3, 3, v15
	;; [unrolled: 1-line block ×4, first 2 shown]
	v_add_u32_e32 v10, v14, v10
	v_perm_b32 v11, v20, v19, s2
	v_perm_b32 v13, v18, v17, s2
	s_waitcnt lgkmcnt(0)
	s_barrier
	ds_read_b64 v[6:7], v2
	ds_read_b64 v[8:9], v3
	;; [unrolled: 1-line block ×4, first 2 shown]
	s_waitcnt lgkmcnt(0)
	s_barrier
	s_barrier
	ds_write2_b32 v10, v13, v11 offset1:1
	v_lshrrev_b32_e32 v10, 4, v0
	v_and_b32_e32 v10, 12, v10
	v_or_b32_e32 v23, 0x100, v0
	v_add_u32_e32 v24, v1, v10
	v_lshrrev_b32_e32 v10, 4, v23
	v_and_b32_e32 v10, 28, v10
	v_or_b32_e32 v22, 0x200, v0
	v_add_u32_e32 v25, v1, v10
	v_lshrrev_b32_e32 v10, 4, v22
	s_lshl_b64 s[0:1], s[24:25], 1
	v_and_b32_e32 v10, 44, v10
	v_or_b32_e32 v20, 0x300, v0
	s_add_u32 s0, s10, s0
	v_add_u32_e32 v26, v1, v10
	v_lshrrev_b32_e32 v10, 4, v20
	s_addc_u32 s1, s11, s1
	v_and_b32_e32 v10, 60, v10
	v_add_u32_e32 v27, v1, v10
	v_mov_b32_e32 v11, s1
	v_add_co_u32_e32 v10, vcc, s0, v1
	v_lshrrev_b32_e32 v13, 5, v23
	v_lshrrev_b32_e32 v17, 5, v22
	;; [unrolled: 1-line block ×3, first 2 shown]
	v_addc_co_u32_e32 v11, vcc, 0, v11, vcc
	v_lshrrev_b32_e32 v21, 3, v0
	v_lshrrev_b32_e32 v15, 5, v0
	s_and_b64 vcc, exec, s[18:19]
	v_lshlrev_b32_e32 v19, 3, v12
	v_lshl_add_u32 v1, v13, 3, v14
	v_lshl_add_u32 v17, v17, 3, v14
	;; [unrolled: 1-line block ×3, first 2 shown]
	s_waitcnt lgkmcnt(0)
	s_cbranch_vccz .LBB2014_39
; %bb.36:
	s_barrier
	ds_read_u16 v12, v24
	ds_read_u16 v13, v25 offset:512
	ds_read_u16 v28, v26 offset:1024
	;; [unrolled: 1-line block ×3, first 2 shown]
	s_lshl_b64 s[0:1], s[24:25], 3
	s_add_u32 s0, s14, s0
	s_waitcnt lgkmcnt(3)
	global_store_short v[10:11], v12, off
	s_waitcnt lgkmcnt(2)
	global_store_short v[10:11], v13, off offset:512
	s_waitcnt lgkmcnt(1)
	global_store_short v[10:11], v28, off offset:1024
	;; [unrolled: 2-line block ×3, first 2 shown]
	v_lshl_add_u32 v12, v21, 3, v19
	s_barrier
	ds_write2_b64 v12, v[6:7], v[8:9] offset1:1
	ds_write2_b64 v12, v[2:3], v[4:5] offset0:2 offset1:3
	v_lshl_add_u32 v12, v15, 3, v14
	s_addc_u32 s1, s15, s1
	s_waitcnt lgkmcnt(0)
	s_barrier
	ds_read_b64 v[28:29], v12
	ds_read_b64 v[30:31], v1 offset:2048
	ds_read_b64 v[32:33], v17 offset:4096
	;; [unrolled: 1-line block ×3, first 2 shown]
	v_mov_b32_e32 v34, s1
	v_add_co_u32_e32 v35, vcc, s0, v16
	v_addc_co_u32_e32 v34, vcc, 0, v34, vcc
	s_waitcnt lgkmcnt(3)
	global_store_dwordx2 v16, v[28:29], s[0:1]
	s_waitcnt lgkmcnt(2)
	global_store_dwordx2 v16, v[30:31], s[0:1] offset:2048
	v_add_co_u32_e32 v28, vcc, 0x1000, v35
	v_addc_co_u32_e32 v29, vcc, 0, v34, vcc
	s_waitcnt lgkmcnt(1)
	global_store_dwordx2 v[28:29], v[32:33], off
	s_mov_b64 s[6:7], -1
	s_cbranch_execz .LBB2014_40
	s_branch .LBB2014_53
.LBB2014_37:
	s_or_b64 exec, exec, s[0:1]
	v_cmp_gt_u32_e32 vcc, s9, v12
	s_and_saveexec_b64 s[2:3], vcc
	s_cbranch_execz .LBB2014_20
.LBB2014_38:
	v_mov_b32_e32 v13, 0
	s_waitcnt vmcnt(1)
	v_lshlrev_b64 v[4:5], 3, v[12:13]
	v_mov_b32_e32 v11, s5
	v_add_co_u32_e32 v14, vcc, s4, v4
	v_addc_co_u32_e32 v11, vcc, v11, v5, vcc
	v_cmp_gt_u32_e32 vcc, s17, v12
	v_subrev_u32_e32 v12, s17, v12
	v_lshlrev_b64 v[4:5], 3, v[12:13]
	v_mov_b32_e32 v12, s8
	v_add_co_u32_e64 v4, s[0:1], s7, v4
	v_addc_co_u32_e64 v5, s[0:1], v12, v5, s[0:1]
	v_cndmask_b32_e32 v5, v5, v11, vcc
	v_cndmask_b32_e32 v4, v4, v14, vcc
	global_load_dwordx2 v[4:5], v[4:5], off
	s_or_b64 exec, exec, s[2:3]
	v_cmp_gt_u32_e32 vcc, s9, v10
	s_and_saveexec_b64 s[0:1], vcc
	s_cbranch_execnz .LBB2014_21
	s_branch .LBB2014_22
.LBB2014_39:
	s_mov_b64 s[6:7], 0
                                        ; implicit-def: $vgpr12_vgpr13
.LBB2014_40:
	s_barrier
	s_waitcnt lgkmcnt(0)
	ds_read_u16 v25, v25 offset:512
	ds_read_u16 v13, v26 offset:1024
	;; [unrolled: 1-line block ×3, first 2 shown]
	s_sub_i32 s6, s16, s24
	v_cmp_gt_u32_e32 vcc, s6, v0
	s_and_saveexec_b64 s[0:1], vcc
	s_cbranch_execz .LBB2014_44
; %bb.41:
	ds_read_u16 v0, v24
	s_waitcnt lgkmcnt(0)
	global_store_short v[10:11], v0, off
	s_or_b64 exec, exec, s[0:1]
	v_cmp_gt_u32_e64 s[0:1], s6, v23
	s_and_saveexec_b64 s[2:3], s[0:1]
	s_cbranch_execnz .LBB2014_45
.LBB2014_42:
	s_or_b64 exec, exec, s[2:3]
	v_cmp_gt_u32_e64 s[2:3], s6, v22
	s_and_saveexec_b64 s[4:5], s[2:3]
	s_cbranch_execz .LBB2014_46
.LBB2014_43:
	s_waitcnt lgkmcnt(1)
	global_store_short v[10:11], v13, off offset:1024
	s_or_b64 exec, exec, s[4:5]
	v_cmp_gt_u32_e64 s[6:7], s6, v20
	s_and_saveexec_b64 s[4:5], s[6:7]
	s_cbranch_execnz .LBB2014_47
	s_branch .LBB2014_48
.LBB2014_44:
	s_or_b64 exec, exec, s[0:1]
	v_cmp_gt_u32_e64 s[0:1], s6, v23
	s_and_saveexec_b64 s[2:3], s[0:1]
	s_cbranch_execz .LBB2014_42
.LBB2014_45:
	s_waitcnt lgkmcnt(2)
	global_store_short v[10:11], v25, off offset:512
	s_or_b64 exec, exec, s[2:3]
	v_cmp_gt_u32_e64 s[2:3], s6, v22
	s_and_saveexec_b64 s[4:5], s[2:3]
	s_cbranch_execnz .LBB2014_43
.LBB2014_46:
	s_or_b64 exec, exec, s[4:5]
	v_cmp_gt_u32_e64 s[6:7], s6, v20
	s_and_saveexec_b64 s[4:5], s[6:7]
	s_cbranch_execz .LBB2014_48
.LBB2014_47:
	s_waitcnt lgkmcnt(0)
	global_store_short v[10:11], v12, off offset:1536
.LBB2014_48:
	s_or_b64 exec, exec, s[4:5]
	v_lshl_add_u32 v0, v21, 3, v19
	s_waitcnt lgkmcnt(0)
	s_barrier
	ds_write2_b64 v0, v[6:7], v[8:9] offset1:1
	ds_write2_b64 v0, v[2:3], v[4:5] offset0:2 offset1:3
	s_waitcnt lgkmcnt(0)
	s_barrier
	ds_read_b64 v[4:5], v1 offset:2048
	ds_read_b64 v[0:1], v17 offset:4096
	;; [unrolled: 1-line block ×3, first 2 shown]
	s_lshl_b64 s[4:5], s[24:25], 3
	s_add_u32 s4, s14, s4
	s_addc_u32 s5, s15, s5
	v_mov_b32_e32 v3, s5
	v_add_co_u32_e64 v2, s[4:5], s4, v16
	v_addc_co_u32_e64 v3, s[4:5], 0, v3, s[4:5]
	s_and_saveexec_b64 s[4:5], vcc
	s_cbranch_execz .LBB2014_56
; %bb.49:
	v_lshl_add_u32 v6, v15, 3, v14
	ds_read_b64 v[6:7], v6
	s_waitcnt lgkmcnt(0)
	global_store_dwordx2 v[2:3], v[6:7], off
	s_or_b64 exec, exec, s[4:5]
	s_and_saveexec_b64 s[4:5], s[0:1]
	s_cbranch_execnz .LBB2014_57
.LBB2014_50:
	s_or_b64 exec, exec, s[4:5]
	s_and_saveexec_b64 s[0:1], s[2:3]
	s_cbranch_execz .LBB2014_52
.LBB2014_51:
	v_add_co_u32_e32 v2, vcc, 0x1000, v2
	v_addc_co_u32_e32 v3, vcc, 0, v3, vcc
	s_waitcnt lgkmcnt(1)
	global_store_dwordx2 v[2:3], v[0:1], off
.LBB2014_52:
	s_or_b64 exec, exec, s[0:1]
.LBB2014_53:
	s_and_saveexec_b64 s[0:1], s[6:7]
	s_cbranch_execz .LBB2014_55
; %bb.54:
	s_lshl_b64 s[0:1], s[24:25], 3
	s_add_u32 s0, s14, s0
	s_addc_u32 s1, s15, s1
	s_waitcnt lgkmcnt(1)
	v_mov_b32_e32 v0, s1
	v_add_co_u32_e32 v1, vcc, s0, v16
	v_addc_co_u32_e32 v2, vcc, 0, v0, vcc
	v_add_co_u32_e32 v0, vcc, 0x1000, v1
	v_addc_co_u32_e32 v1, vcc, 0, v2, vcc
	s_waitcnt lgkmcnt(0)
	global_store_dwordx2 v[0:1], v[12:13], off offset:2048
.LBB2014_55:
	s_endpgm
.LBB2014_56:
	s_or_b64 exec, exec, s[4:5]
	s_and_saveexec_b64 s[4:5], s[0:1]
	s_cbranch_execz .LBB2014_50
.LBB2014_57:
	s_waitcnt lgkmcnt(2)
	global_store_dwordx2 v[2:3], v[4:5], off offset:2048
	s_or_b64 exec, exec, s[4:5]
	s_and_saveexec_b64 s[0:1], s[2:3]
	s_cbranch_execnz .LBB2014_51
	s_branch .LBB2014_52
	.section	.rodata,"a",@progbits
	.p2align	6, 0x0
	.amdhsa_kernel _ZN7rocprim17ROCPRIM_400000_NS6detail17trampoline_kernelINS0_14default_configENS1_38merge_sort_block_merge_config_selectorIN3c108BFloat16ElEEZZNS1_27merge_sort_block_merge_implIS3_PS6_N6thrust23THRUST_200600_302600_NS10device_ptrIlEEmNSB_4lessIS6_EEEE10hipError_tT0_T1_T2_jT3_P12ihipStream_tbPNSt15iterator_traitsISH_E10value_typeEPNSN_ISI_E10value_typeEPSJ_NS1_7vsmem_tEENKUlT_SH_SI_SJ_E_clIS9_S9_SD_PlEESG_SW_SH_SI_SJ_EUlSW_E0_NS1_11comp_targetILNS1_3genE4ELNS1_11target_archE910ELNS1_3gpuE8ELNS1_3repE0EEENS1_38merge_mergepath_config_static_selectorELNS0_4arch9wavefront6targetE1EEEvSI_
		.amdhsa_group_segment_fixed_size 8448
		.amdhsa_private_segment_fixed_size 0
		.amdhsa_kernarg_size 328
		.amdhsa_user_sgpr_count 6
		.amdhsa_user_sgpr_private_segment_buffer 1
		.amdhsa_user_sgpr_dispatch_ptr 0
		.amdhsa_user_sgpr_queue_ptr 0
		.amdhsa_user_sgpr_kernarg_segment_ptr 1
		.amdhsa_user_sgpr_dispatch_id 0
		.amdhsa_user_sgpr_flat_scratch_init 0
		.amdhsa_user_sgpr_kernarg_preload_length 0
		.amdhsa_user_sgpr_kernarg_preload_offset 0
		.amdhsa_user_sgpr_private_segment_size 0
		.amdhsa_uses_dynamic_stack 0
		.amdhsa_system_sgpr_private_segment_wavefront_offset 0
		.amdhsa_system_sgpr_workgroup_id_x 1
		.amdhsa_system_sgpr_workgroup_id_y 1
		.amdhsa_system_sgpr_workgroup_id_z 1
		.amdhsa_system_sgpr_workgroup_info 0
		.amdhsa_system_vgpr_workitem_id 0
		.amdhsa_next_free_vgpr 36
		.amdhsa_next_free_sgpr 38
		.amdhsa_accum_offset 36
		.amdhsa_reserve_vcc 1
		.amdhsa_reserve_flat_scratch 0
		.amdhsa_float_round_mode_32 0
		.amdhsa_float_round_mode_16_64 0
		.amdhsa_float_denorm_mode_32 3
		.amdhsa_float_denorm_mode_16_64 3
		.amdhsa_dx10_clamp 1
		.amdhsa_ieee_mode 1
		.amdhsa_fp16_overflow 0
		.amdhsa_tg_split 0
		.amdhsa_exception_fp_ieee_invalid_op 0
		.amdhsa_exception_fp_denorm_src 0
		.amdhsa_exception_fp_ieee_div_zero 0
		.amdhsa_exception_fp_ieee_overflow 0
		.amdhsa_exception_fp_ieee_underflow 0
		.amdhsa_exception_fp_ieee_inexact 0
		.amdhsa_exception_int_div_zero 0
	.end_amdhsa_kernel
	.section	.text._ZN7rocprim17ROCPRIM_400000_NS6detail17trampoline_kernelINS0_14default_configENS1_38merge_sort_block_merge_config_selectorIN3c108BFloat16ElEEZZNS1_27merge_sort_block_merge_implIS3_PS6_N6thrust23THRUST_200600_302600_NS10device_ptrIlEEmNSB_4lessIS6_EEEE10hipError_tT0_T1_T2_jT3_P12ihipStream_tbPNSt15iterator_traitsISH_E10value_typeEPNSN_ISI_E10value_typeEPSJ_NS1_7vsmem_tEENKUlT_SH_SI_SJ_E_clIS9_S9_SD_PlEESG_SW_SH_SI_SJ_EUlSW_E0_NS1_11comp_targetILNS1_3genE4ELNS1_11target_archE910ELNS1_3gpuE8ELNS1_3repE0EEENS1_38merge_mergepath_config_static_selectorELNS0_4arch9wavefront6targetE1EEEvSI_,"axG",@progbits,_ZN7rocprim17ROCPRIM_400000_NS6detail17trampoline_kernelINS0_14default_configENS1_38merge_sort_block_merge_config_selectorIN3c108BFloat16ElEEZZNS1_27merge_sort_block_merge_implIS3_PS6_N6thrust23THRUST_200600_302600_NS10device_ptrIlEEmNSB_4lessIS6_EEEE10hipError_tT0_T1_T2_jT3_P12ihipStream_tbPNSt15iterator_traitsISH_E10value_typeEPNSN_ISI_E10value_typeEPSJ_NS1_7vsmem_tEENKUlT_SH_SI_SJ_E_clIS9_S9_SD_PlEESG_SW_SH_SI_SJ_EUlSW_E0_NS1_11comp_targetILNS1_3genE4ELNS1_11target_archE910ELNS1_3gpuE8ELNS1_3repE0EEENS1_38merge_mergepath_config_static_selectorELNS0_4arch9wavefront6targetE1EEEvSI_,comdat
.Lfunc_end2014:
	.size	_ZN7rocprim17ROCPRIM_400000_NS6detail17trampoline_kernelINS0_14default_configENS1_38merge_sort_block_merge_config_selectorIN3c108BFloat16ElEEZZNS1_27merge_sort_block_merge_implIS3_PS6_N6thrust23THRUST_200600_302600_NS10device_ptrIlEEmNSB_4lessIS6_EEEE10hipError_tT0_T1_T2_jT3_P12ihipStream_tbPNSt15iterator_traitsISH_E10value_typeEPNSN_ISI_E10value_typeEPSJ_NS1_7vsmem_tEENKUlT_SH_SI_SJ_E_clIS9_S9_SD_PlEESG_SW_SH_SI_SJ_EUlSW_E0_NS1_11comp_targetILNS1_3genE4ELNS1_11target_archE910ELNS1_3gpuE8ELNS1_3repE0EEENS1_38merge_mergepath_config_static_selectorELNS0_4arch9wavefront6targetE1EEEvSI_, .Lfunc_end2014-_ZN7rocprim17ROCPRIM_400000_NS6detail17trampoline_kernelINS0_14default_configENS1_38merge_sort_block_merge_config_selectorIN3c108BFloat16ElEEZZNS1_27merge_sort_block_merge_implIS3_PS6_N6thrust23THRUST_200600_302600_NS10device_ptrIlEEmNSB_4lessIS6_EEEE10hipError_tT0_T1_T2_jT3_P12ihipStream_tbPNSt15iterator_traitsISH_E10value_typeEPNSN_ISI_E10value_typeEPSJ_NS1_7vsmem_tEENKUlT_SH_SI_SJ_E_clIS9_S9_SD_PlEESG_SW_SH_SI_SJ_EUlSW_E0_NS1_11comp_targetILNS1_3genE4ELNS1_11target_archE910ELNS1_3gpuE8ELNS1_3repE0EEENS1_38merge_mergepath_config_static_selectorELNS0_4arch9wavefront6targetE1EEEvSI_
                                        ; -- End function
	.section	.AMDGPU.csdata,"",@progbits
; Kernel info:
; codeLenInByte = 3444
; NumSgprs: 42
; NumVgprs: 36
; NumAgprs: 0
; TotalNumVgprs: 36
; ScratchSize: 0
; MemoryBound: 0
; FloatMode: 240
; IeeeMode: 1
; LDSByteSize: 8448 bytes/workgroup (compile time only)
; SGPRBlocks: 5
; VGPRBlocks: 4
; NumSGPRsForWavesPerEU: 42
; NumVGPRsForWavesPerEU: 36
; AccumOffset: 36
; Occupancy: 7
; WaveLimiterHint : 1
; COMPUTE_PGM_RSRC2:SCRATCH_EN: 0
; COMPUTE_PGM_RSRC2:USER_SGPR: 6
; COMPUTE_PGM_RSRC2:TRAP_HANDLER: 0
; COMPUTE_PGM_RSRC2:TGID_X_EN: 1
; COMPUTE_PGM_RSRC2:TGID_Y_EN: 1
; COMPUTE_PGM_RSRC2:TGID_Z_EN: 1
; COMPUTE_PGM_RSRC2:TIDIG_COMP_CNT: 0
; COMPUTE_PGM_RSRC3_GFX90A:ACCUM_OFFSET: 8
; COMPUTE_PGM_RSRC3_GFX90A:TG_SPLIT: 0
	.section	.text._ZN7rocprim17ROCPRIM_400000_NS6detail17trampoline_kernelINS0_14default_configENS1_38merge_sort_block_merge_config_selectorIN3c108BFloat16ElEEZZNS1_27merge_sort_block_merge_implIS3_PS6_N6thrust23THRUST_200600_302600_NS10device_ptrIlEEmNSB_4lessIS6_EEEE10hipError_tT0_T1_T2_jT3_P12ihipStream_tbPNSt15iterator_traitsISH_E10value_typeEPNSN_ISI_E10value_typeEPSJ_NS1_7vsmem_tEENKUlT_SH_SI_SJ_E_clIS9_S9_SD_PlEESG_SW_SH_SI_SJ_EUlSW_E0_NS1_11comp_targetILNS1_3genE3ELNS1_11target_archE908ELNS1_3gpuE7ELNS1_3repE0EEENS1_38merge_mergepath_config_static_selectorELNS0_4arch9wavefront6targetE1EEEvSI_,"axG",@progbits,_ZN7rocprim17ROCPRIM_400000_NS6detail17trampoline_kernelINS0_14default_configENS1_38merge_sort_block_merge_config_selectorIN3c108BFloat16ElEEZZNS1_27merge_sort_block_merge_implIS3_PS6_N6thrust23THRUST_200600_302600_NS10device_ptrIlEEmNSB_4lessIS6_EEEE10hipError_tT0_T1_T2_jT3_P12ihipStream_tbPNSt15iterator_traitsISH_E10value_typeEPNSN_ISI_E10value_typeEPSJ_NS1_7vsmem_tEENKUlT_SH_SI_SJ_E_clIS9_S9_SD_PlEESG_SW_SH_SI_SJ_EUlSW_E0_NS1_11comp_targetILNS1_3genE3ELNS1_11target_archE908ELNS1_3gpuE7ELNS1_3repE0EEENS1_38merge_mergepath_config_static_selectorELNS0_4arch9wavefront6targetE1EEEvSI_,comdat
	.protected	_ZN7rocprim17ROCPRIM_400000_NS6detail17trampoline_kernelINS0_14default_configENS1_38merge_sort_block_merge_config_selectorIN3c108BFloat16ElEEZZNS1_27merge_sort_block_merge_implIS3_PS6_N6thrust23THRUST_200600_302600_NS10device_ptrIlEEmNSB_4lessIS6_EEEE10hipError_tT0_T1_T2_jT3_P12ihipStream_tbPNSt15iterator_traitsISH_E10value_typeEPNSN_ISI_E10value_typeEPSJ_NS1_7vsmem_tEENKUlT_SH_SI_SJ_E_clIS9_S9_SD_PlEESG_SW_SH_SI_SJ_EUlSW_E0_NS1_11comp_targetILNS1_3genE3ELNS1_11target_archE908ELNS1_3gpuE7ELNS1_3repE0EEENS1_38merge_mergepath_config_static_selectorELNS0_4arch9wavefront6targetE1EEEvSI_ ; -- Begin function _ZN7rocprim17ROCPRIM_400000_NS6detail17trampoline_kernelINS0_14default_configENS1_38merge_sort_block_merge_config_selectorIN3c108BFloat16ElEEZZNS1_27merge_sort_block_merge_implIS3_PS6_N6thrust23THRUST_200600_302600_NS10device_ptrIlEEmNSB_4lessIS6_EEEE10hipError_tT0_T1_T2_jT3_P12ihipStream_tbPNSt15iterator_traitsISH_E10value_typeEPNSN_ISI_E10value_typeEPSJ_NS1_7vsmem_tEENKUlT_SH_SI_SJ_E_clIS9_S9_SD_PlEESG_SW_SH_SI_SJ_EUlSW_E0_NS1_11comp_targetILNS1_3genE3ELNS1_11target_archE908ELNS1_3gpuE7ELNS1_3repE0EEENS1_38merge_mergepath_config_static_selectorELNS0_4arch9wavefront6targetE1EEEvSI_
	.globl	_ZN7rocprim17ROCPRIM_400000_NS6detail17trampoline_kernelINS0_14default_configENS1_38merge_sort_block_merge_config_selectorIN3c108BFloat16ElEEZZNS1_27merge_sort_block_merge_implIS3_PS6_N6thrust23THRUST_200600_302600_NS10device_ptrIlEEmNSB_4lessIS6_EEEE10hipError_tT0_T1_T2_jT3_P12ihipStream_tbPNSt15iterator_traitsISH_E10value_typeEPNSN_ISI_E10value_typeEPSJ_NS1_7vsmem_tEENKUlT_SH_SI_SJ_E_clIS9_S9_SD_PlEESG_SW_SH_SI_SJ_EUlSW_E0_NS1_11comp_targetILNS1_3genE3ELNS1_11target_archE908ELNS1_3gpuE7ELNS1_3repE0EEENS1_38merge_mergepath_config_static_selectorELNS0_4arch9wavefront6targetE1EEEvSI_
	.p2align	8
	.type	_ZN7rocprim17ROCPRIM_400000_NS6detail17trampoline_kernelINS0_14default_configENS1_38merge_sort_block_merge_config_selectorIN3c108BFloat16ElEEZZNS1_27merge_sort_block_merge_implIS3_PS6_N6thrust23THRUST_200600_302600_NS10device_ptrIlEEmNSB_4lessIS6_EEEE10hipError_tT0_T1_T2_jT3_P12ihipStream_tbPNSt15iterator_traitsISH_E10value_typeEPNSN_ISI_E10value_typeEPSJ_NS1_7vsmem_tEENKUlT_SH_SI_SJ_E_clIS9_S9_SD_PlEESG_SW_SH_SI_SJ_EUlSW_E0_NS1_11comp_targetILNS1_3genE3ELNS1_11target_archE908ELNS1_3gpuE7ELNS1_3repE0EEENS1_38merge_mergepath_config_static_selectorELNS0_4arch9wavefront6targetE1EEEvSI_,@function
_ZN7rocprim17ROCPRIM_400000_NS6detail17trampoline_kernelINS0_14default_configENS1_38merge_sort_block_merge_config_selectorIN3c108BFloat16ElEEZZNS1_27merge_sort_block_merge_implIS3_PS6_N6thrust23THRUST_200600_302600_NS10device_ptrIlEEmNSB_4lessIS6_EEEE10hipError_tT0_T1_T2_jT3_P12ihipStream_tbPNSt15iterator_traitsISH_E10value_typeEPNSN_ISI_E10value_typeEPSJ_NS1_7vsmem_tEENKUlT_SH_SI_SJ_E_clIS9_S9_SD_PlEESG_SW_SH_SI_SJ_EUlSW_E0_NS1_11comp_targetILNS1_3genE3ELNS1_11target_archE908ELNS1_3gpuE7ELNS1_3repE0EEENS1_38merge_mergepath_config_static_selectorELNS0_4arch9wavefront6targetE1EEEvSI_: ; @_ZN7rocprim17ROCPRIM_400000_NS6detail17trampoline_kernelINS0_14default_configENS1_38merge_sort_block_merge_config_selectorIN3c108BFloat16ElEEZZNS1_27merge_sort_block_merge_implIS3_PS6_N6thrust23THRUST_200600_302600_NS10device_ptrIlEEmNSB_4lessIS6_EEEE10hipError_tT0_T1_T2_jT3_P12ihipStream_tbPNSt15iterator_traitsISH_E10value_typeEPNSN_ISI_E10value_typeEPSJ_NS1_7vsmem_tEENKUlT_SH_SI_SJ_E_clIS9_S9_SD_PlEESG_SW_SH_SI_SJ_EUlSW_E0_NS1_11comp_targetILNS1_3genE3ELNS1_11target_archE908ELNS1_3gpuE7ELNS1_3repE0EEENS1_38merge_mergepath_config_static_selectorELNS0_4arch9wavefront6targetE1EEEvSI_
; %bb.0:
	.section	.rodata,"a",@progbits
	.p2align	6, 0x0
	.amdhsa_kernel _ZN7rocprim17ROCPRIM_400000_NS6detail17trampoline_kernelINS0_14default_configENS1_38merge_sort_block_merge_config_selectorIN3c108BFloat16ElEEZZNS1_27merge_sort_block_merge_implIS3_PS6_N6thrust23THRUST_200600_302600_NS10device_ptrIlEEmNSB_4lessIS6_EEEE10hipError_tT0_T1_T2_jT3_P12ihipStream_tbPNSt15iterator_traitsISH_E10value_typeEPNSN_ISI_E10value_typeEPSJ_NS1_7vsmem_tEENKUlT_SH_SI_SJ_E_clIS9_S9_SD_PlEESG_SW_SH_SI_SJ_EUlSW_E0_NS1_11comp_targetILNS1_3genE3ELNS1_11target_archE908ELNS1_3gpuE7ELNS1_3repE0EEENS1_38merge_mergepath_config_static_selectorELNS0_4arch9wavefront6targetE1EEEvSI_
		.amdhsa_group_segment_fixed_size 0
		.amdhsa_private_segment_fixed_size 0
		.amdhsa_kernarg_size 72
		.amdhsa_user_sgpr_count 6
		.amdhsa_user_sgpr_private_segment_buffer 1
		.amdhsa_user_sgpr_dispatch_ptr 0
		.amdhsa_user_sgpr_queue_ptr 0
		.amdhsa_user_sgpr_kernarg_segment_ptr 1
		.amdhsa_user_sgpr_dispatch_id 0
		.amdhsa_user_sgpr_flat_scratch_init 0
		.amdhsa_user_sgpr_kernarg_preload_length 0
		.amdhsa_user_sgpr_kernarg_preload_offset 0
		.amdhsa_user_sgpr_private_segment_size 0
		.amdhsa_uses_dynamic_stack 0
		.amdhsa_system_sgpr_private_segment_wavefront_offset 0
		.amdhsa_system_sgpr_workgroup_id_x 1
		.amdhsa_system_sgpr_workgroup_id_y 0
		.amdhsa_system_sgpr_workgroup_id_z 0
		.amdhsa_system_sgpr_workgroup_info 0
		.amdhsa_system_vgpr_workitem_id 0
		.amdhsa_next_free_vgpr 1
		.amdhsa_next_free_sgpr 0
		.amdhsa_accum_offset 4
		.amdhsa_reserve_vcc 0
		.amdhsa_reserve_flat_scratch 0
		.amdhsa_float_round_mode_32 0
		.amdhsa_float_round_mode_16_64 0
		.amdhsa_float_denorm_mode_32 3
		.amdhsa_float_denorm_mode_16_64 3
		.amdhsa_dx10_clamp 1
		.amdhsa_ieee_mode 1
		.amdhsa_fp16_overflow 0
		.amdhsa_tg_split 0
		.amdhsa_exception_fp_ieee_invalid_op 0
		.amdhsa_exception_fp_denorm_src 0
		.amdhsa_exception_fp_ieee_div_zero 0
		.amdhsa_exception_fp_ieee_overflow 0
		.amdhsa_exception_fp_ieee_underflow 0
		.amdhsa_exception_fp_ieee_inexact 0
		.amdhsa_exception_int_div_zero 0
	.end_amdhsa_kernel
	.section	.text._ZN7rocprim17ROCPRIM_400000_NS6detail17trampoline_kernelINS0_14default_configENS1_38merge_sort_block_merge_config_selectorIN3c108BFloat16ElEEZZNS1_27merge_sort_block_merge_implIS3_PS6_N6thrust23THRUST_200600_302600_NS10device_ptrIlEEmNSB_4lessIS6_EEEE10hipError_tT0_T1_T2_jT3_P12ihipStream_tbPNSt15iterator_traitsISH_E10value_typeEPNSN_ISI_E10value_typeEPSJ_NS1_7vsmem_tEENKUlT_SH_SI_SJ_E_clIS9_S9_SD_PlEESG_SW_SH_SI_SJ_EUlSW_E0_NS1_11comp_targetILNS1_3genE3ELNS1_11target_archE908ELNS1_3gpuE7ELNS1_3repE0EEENS1_38merge_mergepath_config_static_selectorELNS0_4arch9wavefront6targetE1EEEvSI_,"axG",@progbits,_ZN7rocprim17ROCPRIM_400000_NS6detail17trampoline_kernelINS0_14default_configENS1_38merge_sort_block_merge_config_selectorIN3c108BFloat16ElEEZZNS1_27merge_sort_block_merge_implIS3_PS6_N6thrust23THRUST_200600_302600_NS10device_ptrIlEEmNSB_4lessIS6_EEEE10hipError_tT0_T1_T2_jT3_P12ihipStream_tbPNSt15iterator_traitsISH_E10value_typeEPNSN_ISI_E10value_typeEPSJ_NS1_7vsmem_tEENKUlT_SH_SI_SJ_E_clIS9_S9_SD_PlEESG_SW_SH_SI_SJ_EUlSW_E0_NS1_11comp_targetILNS1_3genE3ELNS1_11target_archE908ELNS1_3gpuE7ELNS1_3repE0EEENS1_38merge_mergepath_config_static_selectorELNS0_4arch9wavefront6targetE1EEEvSI_,comdat
.Lfunc_end2015:
	.size	_ZN7rocprim17ROCPRIM_400000_NS6detail17trampoline_kernelINS0_14default_configENS1_38merge_sort_block_merge_config_selectorIN3c108BFloat16ElEEZZNS1_27merge_sort_block_merge_implIS3_PS6_N6thrust23THRUST_200600_302600_NS10device_ptrIlEEmNSB_4lessIS6_EEEE10hipError_tT0_T1_T2_jT3_P12ihipStream_tbPNSt15iterator_traitsISH_E10value_typeEPNSN_ISI_E10value_typeEPSJ_NS1_7vsmem_tEENKUlT_SH_SI_SJ_E_clIS9_S9_SD_PlEESG_SW_SH_SI_SJ_EUlSW_E0_NS1_11comp_targetILNS1_3genE3ELNS1_11target_archE908ELNS1_3gpuE7ELNS1_3repE0EEENS1_38merge_mergepath_config_static_selectorELNS0_4arch9wavefront6targetE1EEEvSI_, .Lfunc_end2015-_ZN7rocprim17ROCPRIM_400000_NS6detail17trampoline_kernelINS0_14default_configENS1_38merge_sort_block_merge_config_selectorIN3c108BFloat16ElEEZZNS1_27merge_sort_block_merge_implIS3_PS6_N6thrust23THRUST_200600_302600_NS10device_ptrIlEEmNSB_4lessIS6_EEEE10hipError_tT0_T1_T2_jT3_P12ihipStream_tbPNSt15iterator_traitsISH_E10value_typeEPNSN_ISI_E10value_typeEPSJ_NS1_7vsmem_tEENKUlT_SH_SI_SJ_E_clIS9_S9_SD_PlEESG_SW_SH_SI_SJ_EUlSW_E0_NS1_11comp_targetILNS1_3genE3ELNS1_11target_archE908ELNS1_3gpuE7ELNS1_3repE0EEENS1_38merge_mergepath_config_static_selectorELNS0_4arch9wavefront6targetE1EEEvSI_
                                        ; -- End function
	.section	.AMDGPU.csdata,"",@progbits
; Kernel info:
; codeLenInByte = 0
; NumSgprs: 4
; NumVgprs: 0
; NumAgprs: 0
; TotalNumVgprs: 0
; ScratchSize: 0
; MemoryBound: 0
; FloatMode: 240
; IeeeMode: 1
; LDSByteSize: 0 bytes/workgroup (compile time only)
; SGPRBlocks: 0
; VGPRBlocks: 0
; NumSGPRsForWavesPerEU: 4
; NumVGPRsForWavesPerEU: 1
; AccumOffset: 4
; Occupancy: 8
; WaveLimiterHint : 0
; COMPUTE_PGM_RSRC2:SCRATCH_EN: 0
; COMPUTE_PGM_RSRC2:USER_SGPR: 6
; COMPUTE_PGM_RSRC2:TRAP_HANDLER: 0
; COMPUTE_PGM_RSRC2:TGID_X_EN: 1
; COMPUTE_PGM_RSRC2:TGID_Y_EN: 0
; COMPUTE_PGM_RSRC2:TGID_Z_EN: 0
; COMPUTE_PGM_RSRC2:TIDIG_COMP_CNT: 0
; COMPUTE_PGM_RSRC3_GFX90A:ACCUM_OFFSET: 0
; COMPUTE_PGM_RSRC3_GFX90A:TG_SPLIT: 0
	.section	.text._ZN7rocprim17ROCPRIM_400000_NS6detail17trampoline_kernelINS0_14default_configENS1_38merge_sort_block_merge_config_selectorIN3c108BFloat16ElEEZZNS1_27merge_sort_block_merge_implIS3_PS6_N6thrust23THRUST_200600_302600_NS10device_ptrIlEEmNSB_4lessIS6_EEEE10hipError_tT0_T1_T2_jT3_P12ihipStream_tbPNSt15iterator_traitsISH_E10value_typeEPNSN_ISI_E10value_typeEPSJ_NS1_7vsmem_tEENKUlT_SH_SI_SJ_E_clIS9_S9_SD_PlEESG_SW_SH_SI_SJ_EUlSW_E0_NS1_11comp_targetILNS1_3genE2ELNS1_11target_archE906ELNS1_3gpuE6ELNS1_3repE0EEENS1_38merge_mergepath_config_static_selectorELNS0_4arch9wavefront6targetE1EEEvSI_,"axG",@progbits,_ZN7rocprim17ROCPRIM_400000_NS6detail17trampoline_kernelINS0_14default_configENS1_38merge_sort_block_merge_config_selectorIN3c108BFloat16ElEEZZNS1_27merge_sort_block_merge_implIS3_PS6_N6thrust23THRUST_200600_302600_NS10device_ptrIlEEmNSB_4lessIS6_EEEE10hipError_tT0_T1_T2_jT3_P12ihipStream_tbPNSt15iterator_traitsISH_E10value_typeEPNSN_ISI_E10value_typeEPSJ_NS1_7vsmem_tEENKUlT_SH_SI_SJ_E_clIS9_S9_SD_PlEESG_SW_SH_SI_SJ_EUlSW_E0_NS1_11comp_targetILNS1_3genE2ELNS1_11target_archE906ELNS1_3gpuE6ELNS1_3repE0EEENS1_38merge_mergepath_config_static_selectorELNS0_4arch9wavefront6targetE1EEEvSI_,comdat
	.protected	_ZN7rocprim17ROCPRIM_400000_NS6detail17trampoline_kernelINS0_14default_configENS1_38merge_sort_block_merge_config_selectorIN3c108BFloat16ElEEZZNS1_27merge_sort_block_merge_implIS3_PS6_N6thrust23THRUST_200600_302600_NS10device_ptrIlEEmNSB_4lessIS6_EEEE10hipError_tT0_T1_T2_jT3_P12ihipStream_tbPNSt15iterator_traitsISH_E10value_typeEPNSN_ISI_E10value_typeEPSJ_NS1_7vsmem_tEENKUlT_SH_SI_SJ_E_clIS9_S9_SD_PlEESG_SW_SH_SI_SJ_EUlSW_E0_NS1_11comp_targetILNS1_3genE2ELNS1_11target_archE906ELNS1_3gpuE6ELNS1_3repE0EEENS1_38merge_mergepath_config_static_selectorELNS0_4arch9wavefront6targetE1EEEvSI_ ; -- Begin function _ZN7rocprim17ROCPRIM_400000_NS6detail17trampoline_kernelINS0_14default_configENS1_38merge_sort_block_merge_config_selectorIN3c108BFloat16ElEEZZNS1_27merge_sort_block_merge_implIS3_PS6_N6thrust23THRUST_200600_302600_NS10device_ptrIlEEmNSB_4lessIS6_EEEE10hipError_tT0_T1_T2_jT3_P12ihipStream_tbPNSt15iterator_traitsISH_E10value_typeEPNSN_ISI_E10value_typeEPSJ_NS1_7vsmem_tEENKUlT_SH_SI_SJ_E_clIS9_S9_SD_PlEESG_SW_SH_SI_SJ_EUlSW_E0_NS1_11comp_targetILNS1_3genE2ELNS1_11target_archE906ELNS1_3gpuE6ELNS1_3repE0EEENS1_38merge_mergepath_config_static_selectorELNS0_4arch9wavefront6targetE1EEEvSI_
	.globl	_ZN7rocprim17ROCPRIM_400000_NS6detail17trampoline_kernelINS0_14default_configENS1_38merge_sort_block_merge_config_selectorIN3c108BFloat16ElEEZZNS1_27merge_sort_block_merge_implIS3_PS6_N6thrust23THRUST_200600_302600_NS10device_ptrIlEEmNSB_4lessIS6_EEEE10hipError_tT0_T1_T2_jT3_P12ihipStream_tbPNSt15iterator_traitsISH_E10value_typeEPNSN_ISI_E10value_typeEPSJ_NS1_7vsmem_tEENKUlT_SH_SI_SJ_E_clIS9_S9_SD_PlEESG_SW_SH_SI_SJ_EUlSW_E0_NS1_11comp_targetILNS1_3genE2ELNS1_11target_archE906ELNS1_3gpuE6ELNS1_3repE0EEENS1_38merge_mergepath_config_static_selectorELNS0_4arch9wavefront6targetE1EEEvSI_
	.p2align	8
	.type	_ZN7rocprim17ROCPRIM_400000_NS6detail17trampoline_kernelINS0_14default_configENS1_38merge_sort_block_merge_config_selectorIN3c108BFloat16ElEEZZNS1_27merge_sort_block_merge_implIS3_PS6_N6thrust23THRUST_200600_302600_NS10device_ptrIlEEmNSB_4lessIS6_EEEE10hipError_tT0_T1_T2_jT3_P12ihipStream_tbPNSt15iterator_traitsISH_E10value_typeEPNSN_ISI_E10value_typeEPSJ_NS1_7vsmem_tEENKUlT_SH_SI_SJ_E_clIS9_S9_SD_PlEESG_SW_SH_SI_SJ_EUlSW_E0_NS1_11comp_targetILNS1_3genE2ELNS1_11target_archE906ELNS1_3gpuE6ELNS1_3repE0EEENS1_38merge_mergepath_config_static_selectorELNS0_4arch9wavefront6targetE1EEEvSI_,@function
_ZN7rocprim17ROCPRIM_400000_NS6detail17trampoline_kernelINS0_14default_configENS1_38merge_sort_block_merge_config_selectorIN3c108BFloat16ElEEZZNS1_27merge_sort_block_merge_implIS3_PS6_N6thrust23THRUST_200600_302600_NS10device_ptrIlEEmNSB_4lessIS6_EEEE10hipError_tT0_T1_T2_jT3_P12ihipStream_tbPNSt15iterator_traitsISH_E10value_typeEPNSN_ISI_E10value_typeEPSJ_NS1_7vsmem_tEENKUlT_SH_SI_SJ_E_clIS9_S9_SD_PlEESG_SW_SH_SI_SJ_EUlSW_E0_NS1_11comp_targetILNS1_3genE2ELNS1_11target_archE906ELNS1_3gpuE6ELNS1_3repE0EEENS1_38merge_mergepath_config_static_selectorELNS0_4arch9wavefront6targetE1EEEvSI_: ; @_ZN7rocprim17ROCPRIM_400000_NS6detail17trampoline_kernelINS0_14default_configENS1_38merge_sort_block_merge_config_selectorIN3c108BFloat16ElEEZZNS1_27merge_sort_block_merge_implIS3_PS6_N6thrust23THRUST_200600_302600_NS10device_ptrIlEEmNSB_4lessIS6_EEEE10hipError_tT0_T1_T2_jT3_P12ihipStream_tbPNSt15iterator_traitsISH_E10value_typeEPNSN_ISI_E10value_typeEPSJ_NS1_7vsmem_tEENKUlT_SH_SI_SJ_E_clIS9_S9_SD_PlEESG_SW_SH_SI_SJ_EUlSW_E0_NS1_11comp_targetILNS1_3genE2ELNS1_11target_archE906ELNS1_3gpuE6ELNS1_3repE0EEENS1_38merge_mergepath_config_static_selectorELNS0_4arch9wavefront6targetE1EEEvSI_
; %bb.0:
	.section	.rodata,"a",@progbits
	.p2align	6, 0x0
	.amdhsa_kernel _ZN7rocprim17ROCPRIM_400000_NS6detail17trampoline_kernelINS0_14default_configENS1_38merge_sort_block_merge_config_selectorIN3c108BFloat16ElEEZZNS1_27merge_sort_block_merge_implIS3_PS6_N6thrust23THRUST_200600_302600_NS10device_ptrIlEEmNSB_4lessIS6_EEEE10hipError_tT0_T1_T2_jT3_P12ihipStream_tbPNSt15iterator_traitsISH_E10value_typeEPNSN_ISI_E10value_typeEPSJ_NS1_7vsmem_tEENKUlT_SH_SI_SJ_E_clIS9_S9_SD_PlEESG_SW_SH_SI_SJ_EUlSW_E0_NS1_11comp_targetILNS1_3genE2ELNS1_11target_archE906ELNS1_3gpuE6ELNS1_3repE0EEENS1_38merge_mergepath_config_static_selectorELNS0_4arch9wavefront6targetE1EEEvSI_
		.amdhsa_group_segment_fixed_size 0
		.amdhsa_private_segment_fixed_size 0
		.amdhsa_kernarg_size 72
		.amdhsa_user_sgpr_count 6
		.amdhsa_user_sgpr_private_segment_buffer 1
		.amdhsa_user_sgpr_dispatch_ptr 0
		.amdhsa_user_sgpr_queue_ptr 0
		.amdhsa_user_sgpr_kernarg_segment_ptr 1
		.amdhsa_user_sgpr_dispatch_id 0
		.amdhsa_user_sgpr_flat_scratch_init 0
		.amdhsa_user_sgpr_kernarg_preload_length 0
		.amdhsa_user_sgpr_kernarg_preload_offset 0
		.amdhsa_user_sgpr_private_segment_size 0
		.amdhsa_uses_dynamic_stack 0
		.amdhsa_system_sgpr_private_segment_wavefront_offset 0
		.amdhsa_system_sgpr_workgroup_id_x 1
		.amdhsa_system_sgpr_workgroup_id_y 0
		.amdhsa_system_sgpr_workgroup_id_z 0
		.amdhsa_system_sgpr_workgroup_info 0
		.amdhsa_system_vgpr_workitem_id 0
		.amdhsa_next_free_vgpr 1
		.amdhsa_next_free_sgpr 0
		.amdhsa_accum_offset 4
		.amdhsa_reserve_vcc 0
		.amdhsa_reserve_flat_scratch 0
		.amdhsa_float_round_mode_32 0
		.amdhsa_float_round_mode_16_64 0
		.amdhsa_float_denorm_mode_32 3
		.amdhsa_float_denorm_mode_16_64 3
		.amdhsa_dx10_clamp 1
		.amdhsa_ieee_mode 1
		.amdhsa_fp16_overflow 0
		.amdhsa_tg_split 0
		.amdhsa_exception_fp_ieee_invalid_op 0
		.amdhsa_exception_fp_denorm_src 0
		.amdhsa_exception_fp_ieee_div_zero 0
		.amdhsa_exception_fp_ieee_overflow 0
		.amdhsa_exception_fp_ieee_underflow 0
		.amdhsa_exception_fp_ieee_inexact 0
		.amdhsa_exception_int_div_zero 0
	.end_amdhsa_kernel
	.section	.text._ZN7rocprim17ROCPRIM_400000_NS6detail17trampoline_kernelINS0_14default_configENS1_38merge_sort_block_merge_config_selectorIN3c108BFloat16ElEEZZNS1_27merge_sort_block_merge_implIS3_PS6_N6thrust23THRUST_200600_302600_NS10device_ptrIlEEmNSB_4lessIS6_EEEE10hipError_tT0_T1_T2_jT3_P12ihipStream_tbPNSt15iterator_traitsISH_E10value_typeEPNSN_ISI_E10value_typeEPSJ_NS1_7vsmem_tEENKUlT_SH_SI_SJ_E_clIS9_S9_SD_PlEESG_SW_SH_SI_SJ_EUlSW_E0_NS1_11comp_targetILNS1_3genE2ELNS1_11target_archE906ELNS1_3gpuE6ELNS1_3repE0EEENS1_38merge_mergepath_config_static_selectorELNS0_4arch9wavefront6targetE1EEEvSI_,"axG",@progbits,_ZN7rocprim17ROCPRIM_400000_NS6detail17trampoline_kernelINS0_14default_configENS1_38merge_sort_block_merge_config_selectorIN3c108BFloat16ElEEZZNS1_27merge_sort_block_merge_implIS3_PS6_N6thrust23THRUST_200600_302600_NS10device_ptrIlEEmNSB_4lessIS6_EEEE10hipError_tT0_T1_T2_jT3_P12ihipStream_tbPNSt15iterator_traitsISH_E10value_typeEPNSN_ISI_E10value_typeEPSJ_NS1_7vsmem_tEENKUlT_SH_SI_SJ_E_clIS9_S9_SD_PlEESG_SW_SH_SI_SJ_EUlSW_E0_NS1_11comp_targetILNS1_3genE2ELNS1_11target_archE906ELNS1_3gpuE6ELNS1_3repE0EEENS1_38merge_mergepath_config_static_selectorELNS0_4arch9wavefront6targetE1EEEvSI_,comdat
.Lfunc_end2016:
	.size	_ZN7rocprim17ROCPRIM_400000_NS6detail17trampoline_kernelINS0_14default_configENS1_38merge_sort_block_merge_config_selectorIN3c108BFloat16ElEEZZNS1_27merge_sort_block_merge_implIS3_PS6_N6thrust23THRUST_200600_302600_NS10device_ptrIlEEmNSB_4lessIS6_EEEE10hipError_tT0_T1_T2_jT3_P12ihipStream_tbPNSt15iterator_traitsISH_E10value_typeEPNSN_ISI_E10value_typeEPSJ_NS1_7vsmem_tEENKUlT_SH_SI_SJ_E_clIS9_S9_SD_PlEESG_SW_SH_SI_SJ_EUlSW_E0_NS1_11comp_targetILNS1_3genE2ELNS1_11target_archE906ELNS1_3gpuE6ELNS1_3repE0EEENS1_38merge_mergepath_config_static_selectorELNS0_4arch9wavefront6targetE1EEEvSI_, .Lfunc_end2016-_ZN7rocprim17ROCPRIM_400000_NS6detail17trampoline_kernelINS0_14default_configENS1_38merge_sort_block_merge_config_selectorIN3c108BFloat16ElEEZZNS1_27merge_sort_block_merge_implIS3_PS6_N6thrust23THRUST_200600_302600_NS10device_ptrIlEEmNSB_4lessIS6_EEEE10hipError_tT0_T1_T2_jT3_P12ihipStream_tbPNSt15iterator_traitsISH_E10value_typeEPNSN_ISI_E10value_typeEPSJ_NS1_7vsmem_tEENKUlT_SH_SI_SJ_E_clIS9_S9_SD_PlEESG_SW_SH_SI_SJ_EUlSW_E0_NS1_11comp_targetILNS1_3genE2ELNS1_11target_archE906ELNS1_3gpuE6ELNS1_3repE0EEENS1_38merge_mergepath_config_static_selectorELNS0_4arch9wavefront6targetE1EEEvSI_
                                        ; -- End function
	.section	.AMDGPU.csdata,"",@progbits
; Kernel info:
; codeLenInByte = 0
; NumSgprs: 4
; NumVgprs: 0
; NumAgprs: 0
; TotalNumVgprs: 0
; ScratchSize: 0
; MemoryBound: 0
; FloatMode: 240
; IeeeMode: 1
; LDSByteSize: 0 bytes/workgroup (compile time only)
; SGPRBlocks: 0
; VGPRBlocks: 0
; NumSGPRsForWavesPerEU: 4
; NumVGPRsForWavesPerEU: 1
; AccumOffset: 4
; Occupancy: 8
; WaveLimiterHint : 0
; COMPUTE_PGM_RSRC2:SCRATCH_EN: 0
; COMPUTE_PGM_RSRC2:USER_SGPR: 6
; COMPUTE_PGM_RSRC2:TRAP_HANDLER: 0
; COMPUTE_PGM_RSRC2:TGID_X_EN: 1
; COMPUTE_PGM_RSRC2:TGID_Y_EN: 0
; COMPUTE_PGM_RSRC2:TGID_Z_EN: 0
; COMPUTE_PGM_RSRC2:TIDIG_COMP_CNT: 0
; COMPUTE_PGM_RSRC3_GFX90A:ACCUM_OFFSET: 0
; COMPUTE_PGM_RSRC3_GFX90A:TG_SPLIT: 0
	.section	.text._ZN7rocprim17ROCPRIM_400000_NS6detail17trampoline_kernelINS0_14default_configENS1_38merge_sort_block_merge_config_selectorIN3c108BFloat16ElEEZZNS1_27merge_sort_block_merge_implIS3_PS6_N6thrust23THRUST_200600_302600_NS10device_ptrIlEEmNSB_4lessIS6_EEEE10hipError_tT0_T1_T2_jT3_P12ihipStream_tbPNSt15iterator_traitsISH_E10value_typeEPNSN_ISI_E10value_typeEPSJ_NS1_7vsmem_tEENKUlT_SH_SI_SJ_E_clIS9_S9_SD_PlEESG_SW_SH_SI_SJ_EUlSW_E0_NS1_11comp_targetILNS1_3genE9ELNS1_11target_archE1100ELNS1_3gpuE3ELNS1_3repE0EEENS1_38merge_mergepath_config_static_selectorELNS0_4arch9wavefront6targetE1EEEvSI_,"axG",@progbits,_ZN7rocprim17ROCPRIM_400000_NS6detail17trampoline_kernelINS0_14default_configENS1_38merge_sort_block_merge_config_selectorIN3c108BFloat16ElEEZZNS1_27merge_sort_block_merge_implIS3_PS6_N6thrust23THRUST_200600_302600_NS10device_ptrIlEEmNSB_4lessIS6_EEEE10hipError_tT0_T1_T2_jT3_P12ihipStream_tbPNSt15iterator_traitsISH_E10value_typeEPNSN_ISI_E10value_typeEPSJ_NS1_7vsmem_tEENKUlT_SH_SI_SJ_E_clIS9_S9_SD_PlEESG_SW_SH_SI_SJ_EUlSW_E0_NS1_11comp_targetILNS1_3genE9ELNS1_11target_archE1100ELNS1_3gpuE3ELNS1_3repE0EEENS1_38merge_mergepath_config_static_selectorELNS0_4arch9wavefront6targetE1EEEvSI_,comdat
	.protected	_ZN7rocprim17ROCPRIM_400000_NS6detail17trampoline_kernelINS0_14default_configENS1_38merge_sort_block_merge_config_selectorIN3c108BFloat16ElEEZZNS1_27merge_sort_block_merge_implIS3_PS6_N6thrust23THRUST_200600_302600_NS10device_ptrIlEEmNSB_4lessIS6_EEEE10hipError_tT0_T1_T2_jT3_P12ihipStream_tbPNSt15iterator_traitsISH_E10value_typeEPNSN_ISI_E10value_typeEPSJ_NS1_7vsmem_tEENKUlT_SH_SI_SJ_E_clIS9_S9_SD_PlEESG_SW_SH_SI_SJ_EUlSW_E0_NS1_11comp_targetILNS1_3genE9ELNS1_11target_archE1100ELNS1_3gpuE3ELNS1_3repE0EEENS1_38merge_mergepath_config_static_selectorELNS0_4arch9wavefront6targetE1EEEvSI_ ; -- Begin function _ZN7rocprim17ROCPRIM_400000_NS6detail17trampoline_kernelINS0_14default_configENS1_38merge_sort_block_merge_config_selectorIN3c108BFloat16ElEEZZNS1_27merge_sort_block_merge_implIS3_PS6_N6thrust23THRUST_200600_302600_NS10device_ptrIlEEmNSB_4lessIS6_EEEE10hipError_tT0_T1_T2_jT3_P12ihipStream_tbPNSt15iterator_traitsISH_E10value_typeEPNSN_ISI_E10value_typeEPSJ_NS1_7vsmem_tEENKUlT_SH_SI_SJ_E_clIS9_S9_SD_PlEESG_SW_SH_SI_SJ_EUlSW_E0_NS1_11comp_targetILNS1_3genE9ELNS1_11target_archE1100ELNS1_3gpuE3ELNS1_3repE0EEENS1_38merge_mergepath_config_static_selectorELNS0_4arch9wavefront6targetE1EEEvSI_
	.globl	_ZN7rocprim17ROCPRIM_400000_NS6detail17trampoline_kernelINS0_14default_configENS1_38merge_sort_block_merge_config_selectorIN3c108BFloat16ElEEZZNS1_27merge_sort_block_merge_implIS3_PS6_N6thrust23THRUST_200600_302600_NS10device_ptrIlEEmNSB_4lessIS6_EEEE10hipError_tT0_T1_T2_jT3_P12ihipStream_tbPNSt15iterator_traitsISH_E10value_typeEPNSN_ISI_E10value_typeEPSJ_NS1_7vsmem_tEENKUlT_SH_SI_SJ_E_clIS9_S9_SD_PlEESG_SW_SH_SI_SJ_EUlSW_E0_NS1_11comp_targetILNS1_3genE9ELNS1_11target_archE1100ELNS1_3gpuE3ELNS1_3repE0EEENS1_38merge_mergepath_config_static_selectorELNS0_4arch9wavefront6targetE1EEEvSI_
	.p2align	8
	.type	_ZN7rocprim17ROCPRIM_400000_NS6detail17trampoline_kernelINS0_14default_configENS1_38merge_sort_block_merge_config_selectorIN3c108BFloat16ElEEZZNS1_27merge_sort_block_merge_implIS3_PS6_N6thrust23THRUST_200600_302600_NS10device_ptrIlEEmNSB_4lessIS6_EEEE10hipError_tT0_T1_T2_jT3_P12ihipStream_tbPNSt15iterator_traitsISH_E10value_typeEPNSN_ISI_E10value_typeEPSJ_NS1_7vsmem_tEENKUlT_SH_SI_SJ_E_clIS9_S9_SD_PlEESG_SW_SH_SI_SJ_EUlSW_E0_NS1_11comp_targetILNS1_3genE9ELNS1_11target_archE1100ELNS1_3gpuE3ELNS1_3repE0EEENS1_38merge_mergepath_config_static_selectorELNS0_4arch9wavefront6targetE1EEEvSI_,@function
_ZN7rocprim17ROCPRIM_400000_NS6detail17trampoline_kernelINS0_14default_configENS1_38merge_sort_block_merge_config_selectorIN3c108BFloat16ElEEZZNS1_27merge_sort_block_merge_implIS3_PS6_N6thrust23THRUST_200600_302600_NS10device_ptrIlEEmNSB_4lessIS6_EEEE10hipError_tT0_T1_T2_jT3_P12ihipStream_tbPNSt15iterator_traitsISH_E10value_typeEPNSN_ISI_E10value_typeEPSJ_NS1_7vsmem_tEENKUlT_SH_SI_SJ_E_clIS9_S9_SD_PlEESG_SW_SH_SI_SJ_EUlSW_E0_NS1_11comp_targetILNS1_3genE9ELNS1_11target_archE1100ELNS1_3gpuE3ELNS1_3repE0EEENS1_38merge_mergepath_config_static_selectorELNS0_4arch9wavefront6targetE1EEEvSI_: ; @_ZN7rocprim17ROCPRIM_400000_NS6detail17trampoline_kernelINS0_14default_configENS1_38merge_sort_block_merge_config_selectorIN3c108BFloat16ElEEZZNS1_27merge_sort_block_merge_implIS3_PS6_N6thrust23THRUST_200600_302600_NS10device_ptrIlEEmNSB_4lessIS6_EEEE10hipError_tT0_T1_T2_jT3_P12ihipStream_tbPNSt15iterator_traitsISH_E10value_typeEPNSN_ISI_E10value_typeEPSJ_NS1_7vsmem_tEENKUlT_SH_SI_SJ_E_clIS9_S9_SD_PlEESG_SW_SH_SI_SJ_EUlSW_E0_NS1_11comp_targetILNS1_3genE9ELNS1_11target_archE1100ELNS1_3gpuE3ELNS1_3repE0EEENS1_38merge_mergepath_config_static_selectorELNS0_4arch9wavefront6targetE1EEEvSI_
; %bb.0:
	.section	.rodata,"a",@progbits
	.p2align	6, 0x0
	.amdhsa_kernel _ZN7rocprim17ROCPRIM_400000_NS6detail17trampoline_kernelINS0_14default_configENS1_38merge_sort_block_merge_config_selectorIN3c108BFloat16ElEEZZNS1_27merge_sort_block_merge_implIS3_PS6_N6thrust23THRUST_200600_302600_NS10device_ptrIlEEmNSB_4lessIS6_EEEE10hipError_tT0_T1_T2_jT3_P12ihipStream_tbPNSt15iterator_traitsISH_E10value_typeEPNSN_ISI_E10value_typeEPSJ_NS1_7vsmem_tEENKUlT_SH_SI_SJ_E_clIS9_S9_SD_PlEESG_SW_SH_SI_SJ_EUlSW_E0_NS1_11comp_targetILNS1_3genE9ELNS1_11target_archE1100ELNS1_3gpuE3ELNS1_3repE0EEENS1_38merge_mergepath_config_static_selectorELNS0_4arch9wavefront6targetE1EEEvSI_
		.amdhsa_group_segment_fixed_size 0
		.amdhsa_private_segment_fixed_size 0
		.amdhsa_kernarg_size 72
		.amdhsa_user_sgpr_count 6
		.amdhsa_user_sgpr_private_segment_buffer 1
		.amdhsa_user_sgpr_dispatch_ptr 0
		.amdhsa_user_sgpr_queue_ptr 0
		.amdhsa_user_sgpr_kernarg_segment_ptr 1
		.amdhsa_user_sgpr_dispatch_id 0
		.amdhsa_user_sgpr_flat_scratch_init 0
		.amdhsa_user_sgpr_kernarg_preload_length 0
		.amdhsa_user_sgpr_kernarg_preload_offset 0
		.amdhsa_user_sgpr_private_segment_size 0
		.amdhsa_uses_dynamic_stack 0
		.amdhsa_system_sgpr_private_segment_wavefront_offset 0
		.amdhsa_system_sgpr_workgroup_id_x 1
		.amdhsa_system_sgpr_workgroup_id_y 0
		.amdhsa_system_sgpr_workgroup_id_z 0
		.amdhsa_system_sgpr_workgroup_info 0
		.amdhsa_system_vgpr_workitem_id 0
		.amdhsa_next_free_vgpr 1
		.amdhsa_next_free_sgpr 0
		.amdhsa_accum_offset 4
		.amdhsa_reserve_vcc 0
		.amdhsa_reserve_flat_scratch 0
		.amdhsa_float_round_mode_32 0
		.amdhsa_float_round_mode_16_64 0
		.amdhsa_float_denorm_mode_32 3
		.amdhsa_float_denorm_mode_16_64 3
		.amdhsa_dx10_clamp 1
		.amdhsa_ieee_mode 1
		.amdhsa_fp16_overflow 0
		.amdhsa_tg_split 0
		.amdhsa_exception_fp_ieee_invalid_op 0
		.amdhsa_exception_fp_denorm_src 0
		.amdhsa_exception_fp_ieee_div_zero 0
		.amdhsa_exception_fp_ieee_overflow 0
		.amdhsa_exception_fp_ieee_underflow 0
		.amdhsa_exception_fp_ieee_inexact 0
		.amdhsa_exception_int_div_zero 0
	.end_amdhsa_kernel
	.section	.text._ZN7rocprim17ROCPRIM_400000_NS6detail17trampoline_kernelINS0_14default_configENS1_38merge_sort_block_merge_config_selectorIN3c108BFloat16ElEEZZNS1_27merge_sort_block_merge_implIS3_PS6_N6thrust23THRUST_200600_302600_NS10device_ptrIlEEmNSB_4lessIS6_EEEE10hipError_tT0_T1_T2_jT3_P12ihipStream_tbPNSt15iterator_traitsISH_E10value_typeEPNSN_ISI_E10value_typeEPSJ_NS1_7vsmem_tEENKUlT_SH_SI_SJ_E_clIS9_S9_SD_PlEESG_SW_SH_SI_SJ_EUlSW_E0_NS1_11comp_targetILNS1_3genE9ELNS1_11target_archE1100ELNS1_3gpuE3ELNS1_3repE0EEENS1_38merge_mergepath_config_static_selectorELNS0_4arch9wavefront6targetE1EEEvSI_,"axG",@progbits,_ZN7rocprim17ROCPRIM_400000_NS6detail17trampoline_kernelINS0_14default_configENS1_38merge_sort_block_merge_config_selectorIN3c108BFloat16ElEEZZNS1_27merge_sort_block_merge_implIS3_PS6_N6thrust23THRUST_200600_302600_NS10device_ptrIlEEmNSB_4lessIS6_EEEE10hipError_tT0_T1_T2_jT3_P12ihipStream_tbPNSt15iterator_traitsISH_E10value_typeEPNSN_ISI_E10value_typeEPSJ_NS1_7vsmem_tEENKUlT_SH_SI_SJ_E_clIS9_S9_SD_PlEESG_SW_SH_SI_SJ_EUlSW_E0_NS1_11comp_targetILNS1_3genE9ELNS1_11target_archE1100ELNS1_3gpuE3ELNS1_3repE0EEENS1_38merge_mergepath_config_static_selectorELNS0_4arch9wavefront6targetE1EEEvSI_,comdat
.Lfunc_end2017:
	.size	_ZN7rocprim17ROCPRIM_400000_NS6detail17trampoline_kernelINS0_14default_configENS1_38merge_sort_block_merge_config_selectorIN3c108BFloat16ElEEZZNS1_27merge_sort_block_merge_implIS3_PS6_N6thrust23THRUST_200600_302600_NS10device_ptrIlEEmNSB_4lessIS6_EEEE10hipError_tT0_T1_T2_jT3_P12ihipStream_tbPNSt15iterator_traitsISH_E10value_typeEPNSN_ISI_E10value_typeEPSJ_NS1_7vsmem_tEENKUlT_SH_SI_SJ_E_clIS9_S9_SD_PlEESG_SW_SH_SI_SJ_EUlSW_E0_NS1_11comp_targetILNS1_3genE9ELNS1_11target_archE1100ELNS1_3gpuE3ELNS1_3repE0EEENS1_38merge_mergepath_config_static_selectorELNS0_4arch9wavefront6targetE1EEEvSI_, .Lfunc_end2017-_ZN7rocprim17ROCPRIM_400000_NS6detail17trampoline_kernelINS0_14default_configENS1_38merge_sort_block_merge_config_selectorIN3c108BFloat16ElEEZZNS1_27merge_sort_block_merge_implIS3_PS6_N6thrust23THRUST_200600_302600_NS10device_ptrIlEEmNSB_4lessIS6_EEEE10hipError_tT0_T1_T2_jT3_P12ihipStream_tbPNSt15iterator_traitsISH_E10value_typeEPNSN_ISI_E10value_typeEPSJ_NS1_7vsmem_tEENKUlT_SH_SI_SJ_E_clIS9_S9_SD_PlEESG_SW_SH_SI_SJ_EUlSW_E0_NS1_11comp_targetILNS1_3genE9ELNS1_11target_archE1100ELNS1_3gpuE3ELNS1_3repE0EEENS1_38merge_mergepath_config_static_selectorELNS0_4arch9wavefront6targetE1EEEvSI_
                                        ; -- End function
	.section	.AMDGPU.csdata,"",@progbits
; Kernel info:
; codeLenInByte = 0
; NumSgprs: 4
; NumVgprs: 0
; NumAgprs: 0
; TotalNumVgprs: 0
; ScratchSize: 0
; MemoryBound: 0
; FloatMode: 240
; IeeeMode: 1
; LDSByteSize: 0 bytes/workgroup (compile time only)
; SGPRBlocks: 0
; VGPRBlocks: 0
; NumSGPRsForWavesPerEU: 4
; NumVGPRsForWavesPerEU: 1
; AccumOffset: 4
; Occupancy: 8
; WaveLimiterHint : 0
; COMPUTE_PGM_RSRC2:SCRATCH_EN: 0
; COMPUTE_PGM_RSRC2:USER_SGPR: 6
; COMPUTE_PGM_RSRC2:TRAP_HANDLER: 0
; COMPUTE_PGM_RSRC2:TGID_X_EN: 1
; COMPUTE_PGM_RSRC2:TGID_Y_EN: 0
; COMPUTE_PGM_RSRC2:TGID_Z_EN: 0
; COMPUTE_PGM_RSRC2:TIDIG_COMP_CNT: 0
; COMPUTE_PGM_RSRC3_GFX90A:ACCUM_OFFSET: 0
; COMPUTE_PGM_RSRC3_GFX90A:TG_SPLIT: 0
	.section	.text._ZN7rocprim17ROCPRIM_400000_NS6detail17trampoline_kernelINS0_14default_configENS1_38merge_sort_block_merge_config_selectorIN3c108BFloat16ElEEZZNS1_27merge_sort_block_merge_implIS3_PS6_N6thrust23THRUST_200600_302600_NS10device_ptrIlEEmNSB_4lessIS6_EEEE10hipError_tT0_T1_T2_jT3_P12ihipStream_tbPNSt15iterator_traitsISH_E10value_typeEPNSN_ISI_E10value_typeEPSJ_NS1_7vsmem_tEENKUlT_SH_SI_SJ_E_clIS9_S9_SD_PlEESG_SW_SH_SI_SJ_EUlSW_E0_NS1_11comp_targetILNS1_3genE8ELNS1_11target_archE1030ELNS1_3gpuE2ELNS1_3repE0EEENS1_38merge_mergepath_config_static_selectorELNS0_4arch9wavefront6targetE1EEEvSI_,"axG",@progbits,_ZN7rocprim17ROCPRIM_400000_NS6detail17trampoline_kernelINS0_14default_configENS1_38merge_sort_block_merge_config_selectorIN3c108BFloat16ElEEZZNS1_27merge_sort_block_merge_implIS3_PS6_N6thrust23THRUST_200600_302600_NS10device_ptrIlEEmNSB_4lessIS6_EEEE10hipError_tT0_T1_T2_jT3_P12ihipStream_tbPNSt15iterator_traitsISH_E10value_typeEPNSN_ISI_E10value_typeEPSJ_NS1_7vsmem_tEENKUlT_SH_SI_SJ_E_clIS9_S9_SD_PlEESG_SW_SH_SI_SJ_EUlSW_E0_NS1_11comp_targetILNS1_3genE8ELNS1_11target_archE1030ELNS1_3gpuE2ELNS1_3repE0EEENS1_38merge_mergepath_config_static_selectorELNS0_4arch9wavefront6targetE1EEEvSI_,comdat
	.protected	_ZN7rocprim17ROCPRIM_400000_NS6detail17trampoline_kernelINS0_14default_configENS1_38merge_sort_block_merge_config_selectorIN3c108BFloat16ElEEZZNS1_27merge_sort_block_merge_implIS3_PS6_N6thrust23THRUST_200600_302600_NS10device_ptrIlEEmNSB_4lessIS6_EEEE10hipError_tT0_T1_T2_jT3_P12ihipStream_tbPNSt15iterator_traitsISH_E10value_typeEPNSN_ISI_E10value_typeEPSJ_NS1_7vsmem_tEENKUlT_SH_SI_SJ_E_clIS9_S9_SD_PlEESG_SW_SH_SI_SJ_EUlSW_E0_NS1_11comp_targetILNS1_3genE8ELNS1_11target_archE1030ELNS1_3gpuE2ELNS1_3repE0EEENS1_38merge_mergepath_config_static_selectorELNS0_4arch9wavefront6targetE1EEEvSI_ ; -- Begin function _ZN7rocprim17ROCPRIM_400000_NS6detail17trampoline_kernelINS0_14default_configENS1_38merge_sort_block_merge_config_selectorIN3c108BFloat16ElEEZZNS1_27merge_sort_block_merge_implIS3_PS6_N6thrust23THRUST_200600_302600_NS10device_ptrIlEEmNSB_4lessIS6_EEEE10hipError_tT0_T1_T2_jT3_P12ihipStream_tbPNSt15iterator_traitsISH_E10value_typeEPNSN_ISI_E10value_typeEPSJ_NS1_7vsmem_tEENKUlT_SH_SI_SJ_E_clIS9_S9_SD_PlEESG_SW_SH_SI_SJ_EUlSW_E0_NS1_11comp_targetILNS1_3genE8ELNS1_11target_archE1030ELNS1_3gpuE2ELNS1_3repE0EEENS1_38merge_mergepath_config_static_selectorELNS0_4arch9wavefront6targetE1EEEvSI_
	.globl	_ZN7rocprim17ROCPRIM_400000_NS6detail17trampoline_kernelINS0_14default_configENS1_38merge_sort_block_merge_config_selectorIN3c108BFloat16ElEEZZNS1_27merge_sort_block_merge_implIS3_PS6_N6thrust23THRUST_200600_302600_NS10device_ptrIlEEmNSB_4lessIS6_EEEE10hipError_tT0_T1_T2_jT3_P12ihipStream_tbPNSt15iterator_traitsISH_E10value_typeEPNSN_ISI_E10value_typeEPSJ_NS1_7vsmem_tEENKUlT_SH_SI_SJ_E_clIS9_S9_SD_PlEESG_SW_SH_SI_SJ_EUlSW_E0_NS1_11comp_targetILNS1_3genE8ELNS1_11target_archE1030ELNS1_3gpuE2ELNS1_3repE0EEENS1_38merge_mergepath_config_static_selectorELNS0_4arch9wavefront6targetE1EEEvSI_
	.p2align	8
	.type	_ZN7rocprim17ROCPRIM_400000_NS6detail17trampoline_kernelINS0_14default_configENS1_38merge_sort_block_merge_config_selectorIN3c108BFloat16ElEEZZNS1_27merge_sort_block_merge_implIS3_PS6_N6thrust23THRUST_200600_302600_NS10device_ptrIlEEmNSB_4lessIS6_EEEE10hipError_tT0_T1_T2_jT3_P12ihipStream_tbPNSt15iterator_traitsISH_E10value_typeEPNSN_ISI_E10value_typeEPSJ_NS1_7vsmem_tEENKUlT_SH_SI_SJ_E_clIS9_S9_SD_PlEESG_SW_SH_SI_SJ_EUlSW_E0_NS1_11comp_targetILNS1_3genE8ELNS1_11target_archE1030ELNS1_3gpuE2ELNS1_3repE0EEENS1_38merge_mergepath_config_static_selectorELNS0_4arch9wavefront6targetE1EEEvSI_,@function
_ZN7rocprim17ROCPRIM_400000_NS6detail17trampoline_kernelINS0_14default_configENS1_38merge_sort_block_merge_config_selectorIN3c108BFloat16ElEEZZNS1_27merge_sort_block_merge_implIS3_PS6_N6thrust23THRUST_200600_302600_NS10device_ptrIlEEmNSB_4lessIS6_EEEE10hipError_tT0_T1_T2_jT3_P12ihipStream_tbPNSt15iterator_traitsISH_E10value_typeEPNSN_ISI_E10value_typeEPSJ_NS1_7vsmem_tEENKUlT_SH_SI_SJ_E_clIS9_S9_SD_PlEESG_SW_SH_SI_SJ_EUlSW_E0_NS1_11comp_targetILNS1_3genE8ELNS1_11target_archE1030ELNS1_3gpuE2ELNS1_3repE0EEENS1_38merge_mergepath_config_static_selectorELNS0_4arch9wavefront6targetE1EEEvSI_: ; @_ZN7rocprim17ROCPRIM_400000_NS6detail17trampoline_kernelINS0_14default_configENS1_38merge_sort_block_merge_config_selectorIN3c108BFloat16ElEEZZNS1_27merge_sort_block_merge_implIS3_PS6_N6thrust23THRUST_200600_302600_NS10device_ptrIlEEmNSB_4lessIS6_EEEE10hipError_tT0_T1_T2_jT3_P12ihipStream_tbPNSt15iterator_traitsISH_E10value_typeEPNSN_ISI_E10value_typeEPSJ_NS1_7vsmem_tEENKUlT_SH_SI_SJ_E_clIS9_S9_SD_PlEESG_SW_SH_SI_SJ_EUlSW_E0_NS1_11comp_targetILNS1_3genE8ELNS1_11target_archE1030ELNS1_3gpuE2ELNS1_3repE0EEENS1_38merge_mergepath_config_static_selectorELNS0_4arch9wavefront6targetE1EEEvSI_
; %bb.0:
	.section	.rodata,"a",@progbits
	.p2align	6, 0x0
	.amdhsa_kernel _ZN7rocprim17ROCPRIM_400000_NS6detail17trampoline_kernelINS0_14default_configENS1_38merge_sort_block_merge_config_selectorIN3c108BFloat16ElEEZZNS1_27merge_sort_block_merge_implIS3_PS6_N6thrust23THRUST_200600_302600_NS10device_ptrIlEEmNSB_4lessIS6_EEEE10hipError_tT0_T1_T2_jT3_P12ihipStream_tbPNSt15iterator_traitsISH_E10value_typeEPNSN_ISI_E10value_typeEPSJ_NS1_7vsmem_tEENKUlT_SH_SI_SJ_E_clIS9_S9_SD_PlEESG_SW_SH_SI_SJ_EUlSW_E0_NS1_11comp_targetILNS1_3genE8ELNS1_11target_archE1030ELNS1_3gpuE2ELNS1_3repE0EEENS1_38merge_mergepath_config_static_selectorELNS0_4arch9wavefront6targetE1EEEvSI_
		.amdhsa_group_segment_fixed_size 0
		.amdhsa_private_segment_fixed_size 0
		.amdhsa_kernarg_size 72
		.amdhsa_user_sgpr_count 6
		.amdhsa_user_sgpr_private_segment_buffer 1
		.amdhsa_user_sgpr_dispatch_ptr 0
		.amdhsa_user_sgpr_queue_ptr 0
		.amdhsa_user_sgpr_kernarg_segment_ptr 1
		.amdhsa_user_sgpr_dispatch_id 0
		.amdhsa_user_sgpr_flat_scratch_init 0
		.amdhsa_user_sgpr_kernarg_preload_length 0
		.amdhsa_user_sgpr_kernarg_preload_offset 0
		.amdhsa_user_sgpr_private_segment_size 0
		.amdhsa_uses_dynamic_stack 0
		.amdhsa_system_sgpr_private_segment_wavefront_offset 0
		.amdhsa_system_sgpr_workgroup_id_x 1
		.amdhsa_system_sgpr_workgroup_id_y 0
		.amdhsa_system_sgpr_workgroup_id_z 0
		.amdhsa_system_sgpr_workgroup_info 0
		.amdhsa_system_vgpr_workitem_id 0
		.amdhsa_next_free_vgpr 1
		.amdhsa_next_free_sgpr 0
		.amdhsa_accum_offset 4
		.amdhsa_reserve_vcc 0
		.amdhsa_reserve_flat_scratch 0
		.amdhsa_float_round_mode_32 0
		.amdhsa_float_round_mode_16_64 0
		.amdhsa_float_denorm_mode_32 3
		.amdhsa_float_denorm_mode_16_64 3
		.amdhsa_dx10_clamp 1
		.amdhsa_ieee_mode 1
		.amdhsa_fp16_overflow 0
		.amdhsa_tg_split 0
		.amdhsa_exception_fp_ieee_invalid_op 0
		.amdhsa_exception_fp_denorm_src 0
		.amdhsa_exception_fp_ieee_div_zero 0
		.amdhsa_exception_fp_ieee_overflow 0
		.amdhsa_exception_fp_ieee_underflow 0
		.amdhsa_exception_fp_ieee_inexact 0
		.amdhsa_exception_int_div_zero 0
	.end_amdhsa_kernel
	.section	.text._ZN7rocprim17ROCPRIM_400000_NS6detail17trampoline_kernelINS0_14default_configENS1_38merge_sort_block_merge_config_selectorIN3c108BFloat16ElEEZZNS1_27merge_sort_block_merge_implIS3_PS6_N6thrust23THRUST_200600_302600_NS10device_ptrIlEEmNSB_4lessIS6_EEEE10hipError_tT0_T1_T2_jT3_P12ihipStream_tbPNSt15iterator_traitsISH_E10value_typeEPNSN_ISI_E10value_typeEPSJ_NS1_7vsmem_tEENKUlT_SH_SI_SJ_E_clIS9_S9_SD_PlEESG_SW_SH_SI_SJ_EUlSW_E0_NS1_11comp_targetILNS1_3genE8ELNS1_11target_archE1030ELNS1_3gpuE2ELNS1_3repE0EEENS1_38merge_mergepath_config_static_selectorELNS0_4arch9wavefront6targetE1EEEvSI_,"axG",@progbits,_ZN7rocprim17ROCPRIM_400000_NS6detail17trampoline_kernelINS0_14default_configENS1_38merge_sort_block_merge_config_selectorIN3c108BFloat16ElEEZZNS1_27merge_sort_block_merge_implIS3_PS6_N6thrust23THRUST_200600_302600_NS10device_ptrIlEEmNSB_4lessIS6_EEEE10hipError_tT0_T1_T2_jT3_P12ihipStream_tbPNSt15iterator_traitsISH_E10value_typeEPNSN_ISI_E10value_typeEPSJ_NS1_7vsmem_tEENKUlT_SH_SI_SJ_E_clIS9_S9_SD_PlEESG_SW_SH_SI_SJ_EUlSW_E0_NS1_11comp_targetILNS1_3genE8ELNS1_11target_archE1030ELNS1_3gpuE2ELNS1_3repE0EEENS1_38merge_mergepath_config_static_selectorELNS0_4arch9wavefront6targetE1EEEvSI_,comdat
.Lfunc_end2018:
	.size	_ZN7rocprim17ROCPRIM_400000_NS6detail17trampoline_kernelINS0_14default_configENS1_38merge_sort_block_merge_config_selectorIN3c108BFloat16ElEEZZNS1_27merge_sort_block_merge_implIS3_PS6_N6thrust23THRUST_200600_302600_NS10device_ptrIlEEmNSB_4lessIS6_EEEE10hipError_tT0_T1_T2_jT3_P12ihipStream_tbPNSt15iterator_traitsISH_E10value_typeEPNSN_ISI_E10value_typeEPSJ_NS1_7vsmem_tEENKUlT_SH_SI_SJ_E_clIS9_S9_SD_PlEESG_SW_SH_SI_SJ_EUlSW_E0_NS1_11comp_targetILNS1_3genE8ELNS1_11target_archE1030ELNS1_3gpuE2ELNS1_3repE0EEENS1_38merge_mergepath_config_static_selectorELNS0_4arch9wavefront6targetE1EEEvSI_, .Lfunc_end2018-_ZN7rocprim17ROCPRIM_400000_NS6detail17trampoline_kernelINS0_14default_configENS1_38merge_sort_block_merge_config_selectorIN3c108BFloat16ElEEZZNS1_27merge_sort_block_merge_implIS3_PS6_N6thrust23THRUST_200600_302600_NS10device_ptrIlEEmNSB_4lessIS6_EEEE10hipError_tT0_T1_T2_jT3_P12ihipStream_tbPNSt15iterator_traitsISH_E10value_typeEPNSN_ISI_E10value_typeEPSJ_NS1_7vsmem_tEENKUlT_SH_SI_SJ_E_clIS9_S9_SD_PlEESG_SW_SH_SI_SJ_EUlSW_E0_NS1_11comp_targetILNS1_3genE8ELNS1_11target_archE1030ELNS1_3gpuE2ELNS1_3repE0EEENS1_38merge_mergepath_config_static_selectorELNS0_4arch9wavefront6targetE1EEEvSI_
                                        ; -- End function
	.section	.AMDGPU.csdata,"",@progbits
; Kernel info:
; codeLenInByte = 0
; NumSgprs: 4
; NumVgprs: 0
; NumAgprs: 0
; TotalNumVgprs: 0
; ScratchSize: 0
; MemoryBound: 0
; FloatMode: 240
; IeeeMode: 1
; LDSByteSize: 0 bytes/workgroup (compile time only)
; SGPRBlocks: 0
; VGPRBlocks: 0
; NumSGPRsForWavesPerEU: 4
; NumVGPRsForWavesPerEU: 1
; AccumOffset: 4
; Occupancy: 8
; WaveLimiterHint : 0
; COMPUTE_PGM_RSRC2:SCRATCH_EN: 0
; COMPUTE_PGM_RSRC2:USER_SGPR: 6
; COMPUTE_PGM_RSRC2:TRAP_HANDLER: 0
; COMPUTE_PGM_RSRC2:TGID_X_EN: 1
; COMPUTE_PGM_RSRC2:TGID_Y_EN: 0
; COMPUTE_PGM_RSRC2:TGID_Z_EN: 0
; COMPUTE_PGM_RSRC2:TIDIG_COMP_CNT: 0
; COMPUTE_PGM_RSRC3_GFX90A:ACCUM_OFFSET: 0
; COMPUTE_PGM_RSRC3_GFX90A:TG_SPLIT: 0
	.section	.text._ZN7rocprim17ROCPRIM_400000_NS6detail17trampoline_kernelINS0_14default_configENS1_38merge_sort_block_merge_config_selectorIN3c108BFloat16ElEEZZNS1_27merge_sort_block_merge_implIS3_PS6_N6thrust23THRUST_200600_302600_NS10device_ptrIlEEmNSB_4lessIS6_EEEE10hipError_tT0_T1_T2_jT3_P12ihipStream_tbPNSt15iterator_traitsISH_E10value_typeEPNSN_ISI_E10value_typeEPSJ_NS1_7vsmem_tEENKUlT_SH_SI_SJ_E_clIS9_S9_SD_PlEESG_SW_SH_SI_SJ_EUlSW_E1_NS1_11comp_targetILNS1_3genE0ELNS1_11target_archE4294967295ELNS1_3gpuE0ELNS1_3repE0EEENS1_36merge_oddeven_config_static_selectorELNS0_4arch9wavefront6targetE1EEEvSI_,"axG",@progbits,_ZN7rocprim17ROCPRIM_400000_NS6detail17trampoline_kernelINS0_14default_configENS1_38merge_sort_block_merge_config_selectorIN3c108BFloat16ElEEZZNS1_27merge_sort_block_merge_implIS3_PS6_N6thrust23THRUST_200600_302600_NS10device_ptrIlEEmNSB_4lessIS6_EEEE10hipError_tT0_T1_T2_jT3_P12ihipStream_tbPNSt15iterator_traitsISH_E10value_typeEPNSN_ISI_E10value_typeEPSJ_NS1_7vsmem_tEENKUlT_SH_SI_SJ_E_clIS9_S9_SD_PlEESG_SW_SH_SI_SJ_EUlSW_E1_NS1_11comp_targetILNS1_3genE0ELNS1_11target_archE4294967295ELNS1_3gpuE0ELNS1_3repE0EEENS1_36merge_oddeven_config_static_selectorELNS0_4arch9wavefront6targetE1EEEvSI_,comdat
	.protected	_ZN7rocprim17ROCPRIM_400000_NS6detail17trampoline_kernelINS0_14default_configENS1_38merge_sort_block_merge_config_selectorIN3c108BFloat16ElEEZZNS1_27merge_sort_block_merge_implIS3_PS6_N6thrust23THRUST_200600_302600_NS10device_ptrIlEEmNSB_4lessIS6_EEEE10hipError_tT0_T1_T2_jT3_P12ihipStream_tbPNSt15iterator_traitsISH_E10value_typeEPNSN_ISI_E10value_typeEPSJ_NS1_7vsmem_tEENKUlT_SH_SI_SJ_E_clIS9_S9_SD_PlEESG_SW_SH_SI_SJ_EUlSW_E1_NS1_11comp_targetILNS1_3genE0ELNS1_11target_archE4294967295ELNS1_3gpuE0ELNS1_3repE0EEENS1_36merge_oddeven_config_static_selectorELNS0_4arch9wavefront6targetE1EEEvSI_ ; -- Begin function _ZN7rocprim17ROCPRIM_400000_NS6detail17trampoline_kernelINS0_14default_configENS1_38merge_sort_block_merge_config_selectorIN3c108BFloat16ElEEZZNS1_27merge_sort_block_merge_implIS3_PS6_N6thrust23THRUST_200600_302600_NS10device_ptrIlEEmNSB_4lessIS6_EEEE10hipError_tT0_T1_T2_jT3_P12ihipStream_tbPNSt15iterator_traitsISH_E10value_typeEPNSN_ISI_E10value_typeEPSJ_NS1_7vsmem_tEENKUlT_SH_SI_SJ_E_clIS9_S9_SD_PlEESG_SW_SH_SI_SJ_EUlSW_E1_NS1_11comp_targetILNS1_3genE0ELNS1_11target_archE4294967295ELNS1_3gpuE0ELNS1_3repE0EEENS1_36merge_oddeven_config_static_selectorELNS0_4arch9wavefront6targetE1EEEvSI_
	.globl	_ZN7rocprim17ROCPRIM_400000_NS6detail17trampoline_kernelINS0_14default_configENS1_38merge_sort_block_merge_config_selectorIN3c108BFloat16ElEEZZNS1_27merge_sort_block_merge_implIS3_PS6_N6thrust23THRUST_200600_302600_NS10device_ptrIlEEmNSB_4lessIS6_EEEE10hipError_tT0_T1_T2_jT3_P12ihipStream_tbPNSt15iterator_traitsISH_E10value_typeEPNSN_ISI_E10value_typeEPSJ_NS1_7vsmem_tEENKUlT_SH_SI_SJ_E_clIS9_S9_SD_PlEESG_SW_SH_SI_SJ_EUlSW_E1_NS1_11comp_targetILNS1_3genE0ELNS1_11target_archE4294967295ELNS1_3gpuE0ELNS1_3repE0EEENS1_36merge_oddeven_config_static_selectorELNS0_4arch9wavefront6targetE1EEEvSI_
	.p2align	8
	.type	_ZN7rocprim17ROCPRIM_400000_NS6detail17trampoline_kernelINS0_14default_configENS1_38merge_sort_block_merge_config_selectorIN3c108BFloat16ElEEZZNS1_27merge_sort_block_merge_implIS3_PS6_N6thrust23THRUST_200600_302600_NS10device_ptrIlEEmNSB_4lessIS6_EEEE10hipError_tT0_T1_T2_jT3_P12ihipStream_tbPNSt15iterator_traitsISH_E10value_typeEPNSN_ISI_E10value_typeEPSJ_NS1_7vsmem_tEENKUlT_SH_SI_SJ_E_clIS9_S9_SD_PlEESG_SW_SH_SI_SJ_EUlSW_E1_NS1_11comp_targetILNS1_3genE0ELNS1_11target_archE4294967295ELNS1_3gpuE0ELNS1_3repE0EEENS1_36merge_oddeven_config_static_selectorELNS0_4arch9wavefront6targetE1EEEvSI_,@function
_ZN7rocprim17ROCPRIM_400000_NS6detail17trampoline_kernelINS0_14default_configENS1_38merge_sort_block_merge_config_selectorIN3c108BFloat16ElEEZZNS1_27merge_sort_block_merge_implIS3_PS6_N6thrust23THRUST_200600_302600_NS10device_ptrIlEEmNSB_4lessIS6_EEEE10hipError_tT0_T1_T2_jT3_P12ihipStream_tbPNSt15iterator_traitsISH_E10value_typeEPNSN_ISI_E10value_typeEPSJ_NS1_7vsmem_tEENKUlT_SH_SI_SJ_E_clIS9_S9_SD_PlEESG_SW_SH_SI_SJ_EUlSW_E1_NS1_11comp_targetILNS1_3genE0ELNS1_11target_archE4294967295ELNS1_3gpuE0ELNS1_3repE0EEENS1_36merge_oddeven_config_static_selectorELNS0_4arch9wavefront6targetE1EEEvSI_: ; @_ZN7rocprim17ROCPRIM_400000_NS6detail17trampoline_kernelINS0_14default_configENS1_38merge_sort_block_merge_config_selectorIN3c108BFloat16ElEEZZNS1_27merge_sort_block_merge_implIS3_PS6_N6thrust23THRUST_200600_302600_NS10device_ptrIlEEmNSB_4lessIS6_EEEE10hipError_tT0_T1_T2_jT3_P12ihipStream_tbPNSt15iterator_traitsISH_E10value_typeEPNSN_ISI_E10value_typeEPSJ_NS1_7vsmem_tEENKUlT_SH_SI_SJ_E_clIS9_S9_SD_PlEESG_SW_SH_SI_SJ_EUlSW_E1_NS1_11comp_targetILNS1_3genE0ELNS1_11target_archE4294967295ELNS1_3gpuE0ELNS1_3repE0EEENS1_36merge_oddeven_config_static_selectorELNS0_4arch9wavefront6targetE1EEEvSI_
; %bb.0:
	.section	.rodata,"a",@progbits
	.p2align	6, 0x0
	.amdhsa_kernel _ZN7rocprim17ROCPRIM_400000_NS6detail17trampoline_kernelINS0_14default_configENS1_38merge_sort_block_merge_config_selectorIN3c108BFloat16ElEEZZNS1_27merge_sort_block_merge_implIS3_PS6_N6thrust23THRUST_200600_302600_NS10device_ptrIlEEmNSB_4lessIS6_EEEE10hipError_tT0_T1_T2_jT3_P12ihipStream_tbPNSt15iterator_traitsISH_E10value_typeEPNSN_ISI_E10value_typeEPSJ_NS1_7vsmem_tEENKUlT_SH_SI_SJ_E_clIS9_S9_SD_PlEESG_SW_SH_SI_SJ_EUlSW_E1_NS1_11comp_targetILNS1_3genE0ELNS1_11target_archE4294967295ELNS1_3gpuE0ELNS1_3repE0EEENS1_36merge_oddeven_config_static_selectorELNS0_4arch9wavefront6targetE1EEEvSI_
		.amdhsa_group_segment_fixed_size 0
		.amdhsa_private_segment_fixed_size 0
		.amdhsa_kernarg_size 56
		.amdhsa_user_sgpr_count 6
		.amdhsa_user_sgpr_private_segment_buffer 1
		.amdhsa_user_sgpr_dispatch_ptr 0
		.amdhsa_user_sgpr_queue_ptr 0
		.amdhsa_user_sgpr_kernarg_segment_ptr 1
		.amdhsa_user_sgpr_dispatch_id 0
		.amdhsa_user_sgpr_flat_scratch_init 0
		.amdhsa_user_sgpr_kernarg_preload_length 0
		.amdhsa_user_sgpr_kernarg_preload_offset 0
		.amdhsa_user_sgpr_private_segment_size 0
		.amdhsa_uses_dynamic_stack 0
		.amdhsa_system_sgpr_private_segment_wavefront_offset 0
		.amdhsa_system_sgpr_workgroup_id_x 1
		.amdhsa_system_sgpr_workgroup_id_y 0
		.amdhsa_system_sgpr_workgroup_id_z 0
		.amdhsa_system_sgpr_workgroup_info 0
		.amdhsa_system_vgpr_workitem_id 0
		.amdhsa_next_free_vgpr 1
		.amdhsa_next_free_sgpr 0
		.amdhsa_accum_offset 4
		.amdhsa_reserve_vcc 0
		.amdhsa_reserve_flat_scratch 0
		.amdhsa_float_round_mode_32 0
		.amdhsa_float_round_mode_16_64 0
		.amdhsa_float_denorm_mode_32 3
		.amdhsa_float_denorm_mode_16_64 3
		.amdhsa_dx10_clamp 1
		.amdhsa_ieee_mode 1
		.amdhsa_fp16_overflow 0
		.amdhsa_tg_split 0
		.amdhsa_exception_fp_ieee_invalid_op 0
		.amdhsa_exception_fp_denorm_src 0
		.amdhsa_exception_fp_ieee_div_zero 0
		.amdhsa_exception_fp_ieee_overflow 0
		.amdhsa_exception_fp_ieee_underflow 0
		.amdhsa_exception_fp_ieee_inexact 0
		.amdhsa_exception_int_div_zero 0
	.end_amdhsa_kernel
	.section	.text._ZN7rocprim17ROCPRIM_400000_NS6detail17trampoline_kernelINS0_14default_configENS1_38merge_sort_block_merge_config_selectorIN3c108BFloat16ElEEZZNS1_27merge_sort_block_merge_implIS3_PS6_N6thrust23THRUST_200600_302600_NS10device_ptrIlEEmNSB_4lessIS6_EEEE10hipError_tT0_T1_T2_jT3_P12ihipStream_tbPNSt15iterator_traitsISH_E10value_typeEPNSN_ISI_E10value_typeEPSJ_NS1_7vsmem_tEENKUlT_SH_SI_SJ_E_clIS9_S9_SD_PlEESG_SW_SH_SI_SJ_EUlSW_E1_NS1_11comp_targetILNS1_3genE0ELNS1_11target_archE4294967295ELNS1_3gpuE0ELNS1_3repE0EEENS1_36merge_oddeven_config_static_selectorELNS0_4arch9wavefront6targetE1EEEvSI_,"axG",@progbits,_ZN7rocprim17ROCPRIM_400000_NS6detail17trampoline_kernelINS0_14default_configENS1_38merge_sort_block_merge_config_selectorIN3c108BFloat16ElEEZZNS1_27merge_sort_block_merge_implIS3_PS6_N6thrust23THRUST_200600_302600_NS10device_ptrIlEEmNSB_4lessIS6_EEEE10hipError_tT0_T1_T2_jT3_P12ihipStream_tbPNSt15iterator_traitsISH_E10value_typeEPNSN_ISI_E10value_typeEPSJ_NS1_7vsmem_tEENKUlT_SH_SI_SJ_E_clIS9_S9_SD_PlEESG_SW_SH_SI_SJ_EUlSW_E1_NS1_11comp_targetILNS1_3genE0ELNS1_11target_archE4294967295ELNS1_3gpuE0ELNS1_3repE0EEENS1_36merge_oddeven_config_static_selectorELNS0_4arch9wavefront6targetE1EEEvSI_,comdat
.Lfunc_end2019:
	.size	_ZN7rocprim17ROCPRIM_400000_NS6detail17trampoline_kernelINS0_14default_configENS1_38merge_sort_block_merge_config_selectorIN3c108BFloat16ElEEZZNS1_27merge_sort_block_merge_implIS3_PS6_N6thrust23THRUST_200600_302600_NS10device_ptrIlEEmNSB_4lessIS6_EEEE10hipError_tT0_T1_T2_jT3_P12ihipStream_tbPNSt15iterator_traitsISH_E10value_typeEPNSN_ISI_E10value_typeEPSJ_NS1_7vsmem_tEENKUlT_SH_SI_SJ_E_clIS9_S9_SD_PlEESG_SW_SH_SI_SJ_EUlSW_E1_NS1_11comp_targetILNS1_3genE0ELNS1_11target_archE4294967295ELNS1_3gpuE0ELNS1_3repE0EEENS1_36merge_oddeven_config_static_selectorELNS0_4arch9wavefront6targetE1EEEvSI_, .Lfunc_end2019-_ZN7rocprim17ROCPRIM_400000_NS6detail17trampoline_kernelINS0_14default_configENS1_38merge_sort_block_merge_config_selectorIN3c108BFloat16ElEEZZNS1_27merge_sort_block_merge_implIS3_PS6_N6thrust23THRUST_200600_302600_NS10device_ptrIlEEmNSB_4lessIS6_EEEE10hipError_tT0_T1_T2_jT3_P12ihipStream_tbPNSt15iterator_traitsISH_E10value_typeEPNSN_ISI_E10value_typeEPSJ_NS1_7vsmem_tEENKUlT_SH_SI_SJ_E_clIS9_S9_SD_PlEESG_SW_SH_SI_SJ_EUlSW_E1_NS1_11comp_targetILNS1_3genE0ELNS1_11target_archE4294967295ELNS1_3gpuE0ELNS1_3repE0EEENS1_36merge_oddeven_config_static_selectorELNS0_4arch9wavefront6targetE1EEEvSI_
                                        ; -- End function
	.section	.AMDGPU.csdata,"",@progbits
; Kernel info:
; codeLenInByte = 0
; NumSgprs: 4
; NumVgprs: 0
; NumAgprs: 0
; TotalNumVgprs: 0
; ScratchSize: 0
; MemoryBound: 0
; FloatMode: 240
; IeeeMode: 1
; LDSByteSize: 0 bytes/workgroup (compile time only)
; SGPRBlocks: 0
; VGPRBlocks: 0
; NumSGPRsForWavesPerEU: 4
; NumVGPRsForWavesPerEU: 1
; AccumOffset: 4
; Occupancy: 8
; WaveLimiterHint : 0
; COMPUTE_PGM_RSRC2:SCRATCH_EN: 0
; COMPUTE_PGM_RSRC2:USER_SGPR: 6
; COMPUTE_PGM_RSRC2:TRAP_HANDLER: 0
; COMPUTE_PGM_RSRC2:TGID_X_EN: 1
; COMPUTE_PGM_RSRC2:TGID_Y_EN: 0
; COMPUTE_PGM_RSRC2:TGID_Z_EN: 0
; COMPUTE_PGM_RSRC2:TIDIG_COMP_CNT: 0
; COMPUTE_PGM_RSRC3_GFX90A:ACCUM_OFFSET: 0
; COMPUTE_PGM_RSRC3_GFX90A:TG_SPLIT: 0
	.section	.text._ZN7rocprim17ROCPRIM_400000_NS6detail17trampoline_kernelINS0_14default_configENS1_38merge_sort_block_merge_config_selectorIN3c108BFloat16ElEEZZNS1_27merge_sort_block_merge_implIS3_PS6_N6thrust23THRUST_200600_302600_NS10device_ptrIlEEmNSB_4lessIS6_EEEE10hipError_tT0_T1_T2_jT3_P12ihipStream_tbPNSt15iterator_traitsISH_E10value_typeEPNSN_ISI_E10value_typeEPSJ_NS1_7vsmem_tEENKUlT_SH_SI_SJ_E_clIS9_S9_SD_PlEESG_SW_SH_SI_SJ_EUlSW_E1_NS1_11comp_targetILNS1_3genE10ELNS1_11target_archE1201ELNS1_3gpuE5ELNS1_3repE0EEENS1_36merge_oddeven_config_static_selectorELNS0_4arch9wavefront6targetE1EEEvSI_,"axG",@progbits,_ZN7rocprim17ROCPRIM_400000_NS6detail17trampoline_kernelINS0_14default_configENS1_38merge_sort_block_merge_config_selectorIN3c108BFloat16ElEEZZNS1_27merge_sort_block_merge_implIS3_PS6_N6thrust23THRUST_200600_302600_NS10device_ptrIlEEmNSB_4lessIS6_EEEE10hipError_tT0_T1_T2_jT3_P12ihipStream_tbPNSt15iterator_traitsISH_E10value_typeEPNSN_ISI_E10value_typeEPSJ_NS1_7vsmem_tEENKUlT_SH_SI_SJ_E_clIS9_S9_SD_PlEESG_SW_SH_SI_SJ_EUlSW_E1_NS1_11comp_targetILNS1_3genE10ELNS1_11target_archE1201ELNS1_3gpuE5ELNS1_3repE0EEENS1_36merge_oddeven_config_static_selectorELNS0_4arch9wavefront6targetE1EEEvSI_,comdat
	.protected	_ZN7rocprim17ROCPRIM_400000_NS6detail17trampoline_kernelINS0_14default_configENS1_38merge_sort_block_merge_config_selectorIN3c108BFloat16ElEEZZNS1_27merge_sort_block_merge_implIS3_PS6_N6thrust23THRUST_200600_302600_NS10device_ptrIlEEmNSB_4lessIS6_EEEE10hipError_tT0_T1_T2_jT3_P12ihipStream_tbPNSt15iterator_traitsISH_E10value_typeEPNSN_ISI_E10value_typeEPSJ_NS1_7vsmem_tEENKUlT_SH_SI_SJ_E_clIS9_S9_SD_PlEESG_SW_SH_SI_SJ_EUlSW_E1_NS1_11comp_targetILNS1_3genE10ELNS1_11target_archE1201ELNS1_3gpuE5ELNS1_3repE0EEENS1_36merge_oddeven_config_static_selectorELNS0_4arch9wavefront6targetE1EEEvSI_ ; -- Begin function _ZN7rocprim17ROCPRIM_400000_NS6detail17trampoline_kernelINS0_14default_configENS1_38merge_sort_block_merge_config_selectorIN3c108BFloat16ElEEZZNS1_27merge_sort_block_merge_implIS3_PS6_N6thrust23THRUST_200600_302600_NS10device_ptrIlEEmNSB_4lessIS6_EEEE10hipError_tT0_T1_T2_jT3_P12ihipStream_tbPNSt15iterator_traitsISH_E10value_typeEPNSN_ISI_E10value_typeEPSJ_NS1_7vsmem_tEENKUlT_SH_SI_SJ_E_clIS9_S9_SD_PlEESG_SW_SH_SI_SJ_EUlSW_E1_NS1_11comp_targetILNS1_3genE10ELNS1_11target_archE1201ELNS1_3gpuE5ELNS1_3repE0EEENS1_36merge_oddeven_config_static_selectorELNS0_4arch9wavefront6targetE1EEEvSI_
	.globl	_ZN7rocprim17ROCPRIM_400000_NS6detail17trampoline_kernelINS0_14default_configENS1_38merge_sort_block_merge_config_selectorIN3c108BFloat16ElEEZZNS1_27merge_sort_block_merge_implIS3_PS6_N6thrust23THRUST_200600_302600_NS10device_ptrIlEEmNSB_4lessIS6_EEEE10hipError_tT0_T1_T2_jT3_P12ihipStream_tbPNSt15iterator_traitsISH_E10value_typeEPNSN_ISI_E10value_typeEPSJ_NS1_7vsmem_tEENKUlT_SH_SI_SJ_E_clIS9_S9_SD_PlEESG_SW_SH_SI_SJ_EUlSW_E1_NS1_11comp_targetILNS1_3genE10ELNS1_11target_archE1201ELNS1_3gpuE5ELNS1_3repE0EEENS1_36merge_oddeven_config_static_selectorELNS0_4arch9wavefront6targetE1EEEvSI_
	.p2align	8
	.type	_ZN7rocprim17ROCPRIM_400000_NS6detail17trampoline_kernelINS0_14default_configENS1_38merge_sort_block_merge_config_selectorIN3c108BFloat16ElEEZZNS1_27merge_sort_block_merge_implIS3_PS6_N6thrust23THRUST_200600_302600_NS10device_ptrIlEEmNSB_4lessIS6_EEEE10hipError_tT0_T1_T2_jT3_P12ihipStream_tbPNSt15iterator_traitsISH_E10value_typeEPNSN_ISI_E10value_typeEPSJ_NS1_7vsmem_tEENKUlT_SH_SI_SJ_E_clIS9_S9_SD_PlEESG_SW_SH_SI_SJ_EUlSW_E1_NS1_11comp_targetILNS1_3genE10ELNS1_11target_archE1201ELNS1_3gpuE5ELNS1_3repE0EEENS1_36merge_oddeven_config_static_selectorELNS0_4arch9wavefront6targetE1EEEvSI_,@function
_ZN7rocprim17ROCPRIM_400000_NS6detail17trampoline_kernelINS0_14default_configENS1_38merge_sort_block_merge_config_selectorIN3c108BFloat16ElEEZZNS1_27merge_sort_block_merge_implIS3_PS6_N6thrust23THRUST_200600_302600_NS10device_ptrIlEEmNSB_4lessIS6_EEEE10hipError_tT0_T1_T2_jT3_P12ihipStream_tbPNSt15iterator_traitsISH_E10value_typeEPNSN_ISI_E10value_typeEPSJ_NS1_7vsmem_tEENKUlT_SH_SI_SJ_E_clIS9_S9_SD_PlEESG_SW_SH_SI_SJ_EUlSW_E1_NS1_11comp_targetILNS1_3genE10ELNS1_11target_archE1201ELNS1_3gpuE5ELNS1_3repE0EEENS1_36merge_oddeven_config_static_selectorELNS0_4arch9wavefront6targetE1EEEvSI_: ; @_ZN7rocprim17ROCPRIM_400000_NS6detail17trampoline_kernelINS0_14default_configENS1_38merge_sort_block_merge_config_selectorIN3c108BFloat16ElEEZZNS1_27merge_sort_block_merge_implIS3_PS6_N6thrust23THRUST_200600_302600_NS10device_ptrIlEEmNSB_4lessIS6_EEEE10hipError_tT0_T1_T2_jT3_P12ihipStream_tbPNSt15iterator_traitsISH_E10value_typeEPNSN_ISI_E10value_typeEPSJ_NS1_7vsmem_tEENKUlT_SH_SI_SJ_E_clIS9_S9_SD_PlEESG_SW_SH_SI_SJ_EUlSW_E1_NS1_11comp_targetILNS1_3genE10ELNS1_11target_archE1201ELNS1_3gpuE5ELNS1_3repE0EEENS1_36merge_oddeven_config_static_selectorELNS0_4arch9wavefront6targetE1EEEvSI_
; %bb.0:
	.section	.rodata,"a",@progbits
	.p2align	6, 0x0
	.amdhsa_kernel _ZN7rocprim17ROCPRIM_400000_NS6detail17trampoline_kernelINS0_14default_configENS1_38merge_sort_block_merge_config_selectorIN3c108BFloat16ElEEZZNS1_27merge_sort_block_merge_implIS3_PS6_N6thrust23THRUST_200600_302600_NS10device_ptrIlEEmNSB_4lessIS6_EEEE10hipError_tT0_T1_T2_jT3_P12ihipStream_tbPNSt15iterator_traitsISH_E10value_typeEPNSN_ISI_E10value_typeEPSJ_NS1_7vsmem_tEENKUlT_SH_SI_SJ_E_clIS9_S9_SD_PlEESG_SW_SH_SI_SJ_EUlSW_E1_NS1_11comp_targetILNS1_3genE10ELNS1_11target_archE1201ELNS1_3gpuE5ELNS1_3repE0EEENS1_36merge_oddeven_config_static_selectorELNS0_4arch9wavefront6targetE1EEEvSI_
		.amdhsa_group_segment_fixed_size 0
		.amdhsa_private_segment_fixed_size 0
		.amdhsa_kernarg_size 56
		.amdhsa_user_sgpr_count 6
		.amdhsa_user_sgpr_private_segment_buffer 1
		.amdhsa_user_sgpr_dispatch_ptr 0
		.amdhsa_user_sgpr_queue_ptr 0
		.amdhsa_user_sgpr_kernarg_segment_ptr 1
		.amdhsa_user_sgpr_dispatch_id 0
		.amdhsa_user_sgpr_flat_scratch_init 0
		.amdhsa_user_sgpr_kernarg_preload_length 0
		.amdhsa_user_sgpr_kernarg_preload_offset 0
		.amdhsa_user_sgpr_private_segment_size 0
		.amdhsa_uses_dynamic_stack 0
		.amdhsa_system_sgpr_private_segment_wavefront_offset 0
		.amdhsa_system_sgpr_workgroup_id_x 1
		.amdhsa_system_sgpr_workgroup_id_y 0
		.amdhsa_system_sgpr_workgroup_id_z 0
		.amdhsa_system_sgpr_workgroup_info 0
		.amdhsa_system_vgpr_workitem_id 0
		.amdhsa_next_free_vgpr 1
		.amdhsa_next_free_sgpr 0
		.amdhsa_accum_offset 4
		.amdhsa_reserve_vcc 0
		.amdhsa_reserve_flat_scratch 0
		.amdhsa_float_round_mode_32 0
		.amdhsa_float_round_mode_16_64 0
		.amdhsa_float_denorm_mode_32 3
		.amdhsa_float_denorm_mode_16_64 3
		.amdhsa_dx10_clamp 1
		.amdhsa_ieee_mode 1
		.amdhsa_fp16_overflow 0
		.amdhsa_tg_split 0
		.amdhsa_exception_fp_ieee_invalid_op 0
		.amdhsa_exception_fp_denorm_src 0
		.amdhsa_exception_fp_ieee_div_zero 0
		.amdhsa_exception_fp_ieee_overflow 0
		.amdhsa_exception_fp_ieee_underflow 0
		.amdhsa_exception_fp_ieee_inexact 0
		.amdhsa_exception_int_div_zero 0
	.end_amdhsa_kernel
	.section	.text._ZN7rocprim17ROCPRIM_400000_NS6detail17trampoline_kernelINS0_14default_configENS1_38merge_sort_block_merge_config_selectorIN3c108BFloat16ElEEZZNS1_27merge_sort_block_merge_implIS3_PS6_N6thrust23THRUST_200600_302600_NS10device_ptrIlEEmNSB_4lessIS6_EEEE10hipError_tT0_T1_T2_jT3_P12ihipStream_tbPNSt15iterator_traitsISH_E10value_typeEPNSN_ISI_E10value_typeEPSJ_NS1_7vsmem_tEENKUlT_SH_SI_SJ_E_clIS9_S9_SD_PlEESG_SW_SH_SI_SJ_EUlSW_E1_NS1_11comp_targetILNS1_3genE10ELNS1_11target_archE1201ELNS1_3gpuE5ELNS1_3repE0EEENS1_36merge_oddeven_config_static_selectorELNS0_4arch9wavefront6targetE1EEEvSI_,"axG",@progbits,_ZN7rocprim17ROCPRIM_400000_NS6detail17trampoline_kernelINS0_14default_configENS1_38merge_sort_block_merge_config_selectorIN3c108BFloat16ElEEZZNS1_27merge_sort_block_merge_implIS3_PS6_N6thrust23THRUST_200600_302600_NS10device_ptrIlEEmNSB_4lessIS6_EEEE10hipError_tT0_T1_T2_jT3_P12ihipStream_tbPNSt15iterator_traitsISH_E10value_typeEPNSN_ISI_E10value_typeEPSJ_NS1_7vsmem_tEENKUlT_SH_SI_SJ_E_clIS9_S9_SD_PlEESG_SW_SH_SI_SJ_EUlSW_E1_NS1_11comp_targetILNS1_3genE10ELNS1_11target_archE1201ELNS1_3gpuE5ELNS1_3repE0EEENS1_36merge_oddeven_config_static_selectorELNS0_4arch9wavefront6targetE1EEEvSI_,comdat
.Lfunc_end2020:
	.size	_ZN7rocprim17ROCPRIM_400000_NS6detail17trampoline_kernelINS0_14default_configENS1_38merge_sort_block_merge_config_selectorIN3c108BFloat16ElEEZZNS1_27merge_sort_block_merge_implIS3_PS6_N6thrust23THRUST_200600_302600_NS10device_ptrIlEEmNSB_4lessIS6_EEEE10hipError_tT0_T1_T2_jT3_P12ihipStream_tbPNSt15iterator_traitsISH_E10value_typeEPNSN_ISI_E10value_typeEPSJ_NS1_7vsmem_tEENKUlT_SH_SI_SJ_E_clIS9_S9_SD_PlEESG_SW_SH_SI_SJ_EUlSW_E1_NS1_11comp_targetILNS1_3genE10ELNS1_11target_archE1201ELNS1_3gpuE5ELNS1_3repE0EEENS1_36merge_oddeven_config_static_selectorELNS0_4arch9wavefront6targetE1EEEvSI_, .Lfunc_end2020-_ZN7rocprim17ROCPRIM_400000_NS6detail17trampoline_kernelINS0_14default_configENS1_38merge_sort_block_merge_config_selectorIN3c108BFloat16ElEEZZNS1_27merge_sort_block_merge_implIS3_PS6_N6thrust23THRUST_200600_302600_NS10device_ptrIlEEmNSB_4lessIS6_EEEE10hipError_tT0_T1_T2_jT3_P12ihipStream_tbPNSt15iterator_traitsISH_E10value_typeEPNSN_ISI_E10value_typeEPSJ_NS1_7vsmem_tEENKUlT_SH_SI_SJ_E_clIS9_S9_SD_PlEESG_SW_SH_SI_SJ_EUlSW_E1_NS1_11comp_targetILNS1_3genE10ELNS1_11target_archE1201ELNS1_3gpuE5ELNS1_3repE0EEENS1_36merge_oddeven_config_static_selectorELNS0_4arch9wavefront6targetE1EEEvSI_
                                        ; -- End function
	.section	.AMDGPU.csdata,"",@progbits
; Kernel info:
; codeLenInByte = 0
; NumSgprs: 4
; NumVgprs: 0
; NumAgprs: 0
; TotalNumVgprs: 0
; ScratchSize: 0
; MemoryBound: 0
; FloatMode: 240
; IeeeMode: 1
; LDSByteSize: 0 bytes/workgroup (compile time only)
; SGPRBlocks: 0
; VGPRBlocks: 0
; NumSGPRsForWavesPerEU: 4
; NumVGPRsForWavesPerEU: 1
; AccumOffset: 4
; Occupancy: 8
; WaveLimiterHint : 0
; COMPUTE_PGM_RSRC2:SCRATCH_EN: 0
; COMPUTE_PGM_RSRC2:USER_SGPR: 6
; COMPUTE_PGM_RSRC2:TRAP_HANDLER: 0
; COMPUTE_PGM_RSRC2:TGID_X_EN: 1
; COMPUTE_PGM_RSRC2:TGID_Y_EN: 0
; COMPUTE_PGM_RSRC2:TGID_Z_EN: 0
; COMPUTE_PGM_RSRC2:TIDIG_COMP_CNT: 0
; COMPUTE_PGM_RSRC3_GFX90A:ACCUM_OFFSET: 0
; COMPUTE_PGM_RSRC3_GFX90A:TG_SPLIT: 0
	.section	.text._ZN7rocprim17ROCPRIM_400000_NS6detail17trampoline_kernelINS0_14default_configENS1_38merge_sort_block_merge_config_selectorIN3c108BFloat16ElEEZZNS1_27merge_sort_block_merge_implIS3_PS6_N6thrust23THRUST_200600_302600_NS10device_ptrIlEEmNSB_4lessIS6_EEEE10hipError_tT0_T1_T2_jT3_P12ihipStream_tbPNSt15iterator_traitsISH_E10value_typeEPNSN_ISI_E10value_typeEPSJ_NS1_7vsmem_tEENKUlT_SH_SI_SJ_E_clIS9_S9_SD_PlEESG_SW_SH_SI_SJ_EUlSW_E1_NS1_11comp_targetILNS1_3genE5ELNS1_11target_archE942ELNS1_3gpuE9ELNS1_3repE0EEENS1_36merge_oddeven_config_static_selectorELNS0_4arch9wavefront6targetE1EEEvSI_,"axG",@progbits,_ZN7rocprim17ROCPRIM_400000_NS6detail17trampoline_kernelINS0_14default_configENS1_38merge_sort_block_merge_config_selectorIN3c108BFloat16ElEEZZNS1_27merge_sort_block_merge_implIS3_PS6_N6thrust23THRUST_200600_302600_NS10device_ptrIlEEmNSB_4lessIS6_EEEE10hipError_tT0_T1_T2_jT3_P12ihipStream_tbPNSt15iterator_traitsISH_E10value_typeEPNSN_ISI_E10value_typeEPSJ_NS1_7vsmem_tEENKUlT_SH_SI_SJ_E_clIS9_S9_SD_PlEESG_SW_SH_SI_SJ_EUlSW_E1_NS1_11comp_targetILNS1_3genE5ELNS1_11target_archE942ELNS1_3gpuE9ELNS1_3repE0EEENS1_36merge_oddeven_config_static_selectorELNS0_4arch9wavefront6targetE1EEEvSI_,comdat
	.protected	_ZN7rocprim17ROCPRIM_400000_NS6detail17trampoline_kernelINS0_14default_configENS1_38merge_sort_block_merge_config_selectorIN3c108BFloat16ElEEZZNS1_27merge_sort_block_merge_implIS3_PS6_N6thrust23THRUST_200600_302600_NS10device_ptrIlEEmNSB_4lessIS6_EEEE10hipError_tT0_T1_T2_jT3_P12ihipStream_tbPNSt15iterator_traitsISH_E10value_typeEPNSN_ISI_E10value_typeEPSJ_NS1_7vsmem_tEENKUlT_SH_SI_SJ_E_clIS9_S9_SD_PlEESG_SW_SH_SI_SJ_EUlSW_E1_NS1_11comp_targetILNS1_3genE5ELNS1_11target_archE942ELNS1_3gpuE9ELNS1_3repE0EEENS1_36merge_oddeven_config_static_selectorELNS0_4arch9wavefront6targetE1EEEvSI_ ; -- Begin function _ZN7rocprim17ROCPRIM_400000_NS6detail17trampoline_kernelINS0_14default_configENS1_38merge_sort_block_merge_config_selectorIN3c108BFloat16ElEEZZNS1_27merge_sort_block_merge_implIS3_PS6_N6thrust23THRUST_200600_302600_NS10device_ptrIlEEmNSB_4lessIS6_EEEE10hipError_tT0_T1_T2_jT3_P12ihipStream_tbPNSt15iterator_traitsISH_E10value_typeEPNSN_ISI_E10value_typeEPSJ_NS1_7vsmem_tEENKUlT_SH_SI_SJ_E_clIS9_S9_SD_PlEESG_SW_SH_SI_SJ_EUlSW_E1_NS1_11comp_targetILNS1_3genE5ELNS1_11target_archE942ELNS1_3gpuE9ELNS1_3repE0EEENS1_36merge_oddeven_config_static_selectorELNS0_4arch9wavefront6targetE1EEEvSI_
	.globl	_ZN7rocprim17ROCPRIM_400000_NS6detail17trampoline_kernelINS0_14default_configENS1_38merge_sort_block_merge_config_selectorIN3c108BFloat16ElEEZZNS1_27merge_sort_block_merge_implIS3_PS6_N6thrust23THRUST_200600_302600_NS10device_ptrIlEEmNSB_4lessIS6_EEEE10hipError_tT0_T1_T2_jT3_P12ihipStream_tbPNSt15iterator_traitsISH_E10value_typeEPNSN_ISI_E10value_typeEPSJ_NS1_7vsmem_tEENKUlT_SH_SI_SJ_E_clIS9_S9_SD_PlEESG_SW_SH_SI_SJ_EUlSW_E1_NS1_11comp_targetILNS1_3genE5ELNS1_11target_archE942ELNS1_3gpuE9ELNS1_3repE0EEENS1_36merge_oddeven_config_static_selectorELNS0_4arch9wavefront6targetE1EEEvSI_
	.p2align	8
	.type	_ZN7rocprim17ROCPRIM_400000_NS6detail17trampoline_kernelINS0_14default_configENS1_38merge_sort_block_merge_config_selectorIN3c108BFloat16ElEEZZNS1_27merge_sort_block_merge_implIS3_PS6_N6thrust23THRUST_200600_302600_NS10device_ptrIlEEmNSB_4lessIS6_EEEE10hipError_tT0_T1_T2_jT3_P12ihipStream_tbPNSt15iterator_traitsISH_E10value_typeEPNSN_ISI_E10value_typeEPSJ_NS1_7vsmem_tEENKUlT_SH_SI_SJ_E_clIS9_S9_SD_PlEESG_SW_SH_SI_SJ_EUlSW_E1_NS1_11comp_targetILNS1_3genE5ELNS1_11target_archE942ELNS1_3gpuE9ELNS1_3repE0EEENS1_36merge_oddeven_config_static_selectorELNS0_4arch9wavefront6targetE1EEEvSI_,@function
_ZN7rocprim17ROCPRIM_400000_NS6detail17trampoline_kernelINS0_14default_configENS1_38merge_sort_block_merge_config_selectorIN3c108BFloat16ElEEZZNS1_27merge_sort_block_merge_implIS3_PS6_N6thrust23THRUST_200600_302600_NS10device_ptrIlEEmNSB_4lessIS6_EEEE10hipError_tT0_T1_T2_jT3_P12ihipStream_tbPNSt15iterator_traitsISH_E10value_typeEPNSN_ISI_E10value_typeEPSJ_NS1_7vsmem_tEENKUlT_SH_SI_SJ_E_clIS9_S9_SD_PlEESG_SW_SH_SI_SJ_EUlSW_E1_NS1_11comp_targetILNS1_3genE5ELNS1_11target_archE942ELNS1_3gpuE9ELNS1_3repE0EEENS1_36merge_oddeven_config_static_selectorELNS0_4arch9wavefront6targetE1EEEvSI_: ; @_ZN7rocprim17ROCPRIM_400000_NS6detail17trampoline_kernelINS0_14default_configENS1_38merge_sort_block_merge_config_selectorIN3c108BFloat16ElEEZZNS1_27merge_sort_block_merge_implIS3_PS6_N6thrust23THRUST_200600_302600_NS10device_ptrIlEEmNSB_4lessIS6_EEEE10hipError_tT0_T1_T2_jT3_P12ihipStream_tbPNSt15iterator_traitsISH_E10value_typeEPNSN_ISI_E10value_typeEPSJ_NS1_7vsmem_tEENKUlT_SH_SI_SJ_E_clIS9_S9_SD_PlEESG_SW_SH_SI_SJ_EUlSW_E1_NS1_11comp_targetILNS1_3genE5ELNS1_11target_archE942ELNS1_3gpuE9ELNS1_3repE0EEENS1_36merge_oddeven_config_static_selectorELNS0_4arch9wavefront6targetE1EEEvSI_
; %bb.0:
	.section	.rodata,"a",@progbits
	.p2align	6, 0x0
	.amdhsa_kernel _ZN7rocprim17ROCPRIM_400000_NS6detail17trampoline_kernelINS0_14default_configENS1_38merge_sort_block_merge_config_selectorIN3c108BFloat16ElEEZZNS1_27merge_sort_block_merge_implIS3_PS6_N6thrust23THRUST_200600_302600_NS10device_ptrIlEEmNSB_4lessIS6_EEEE10hipError_tT0_T1_T2_jT3_P12ihipStream_tbPNSt15iterator_traitsISH_E10value_typeEPNSN_ISI_E10value_typeEPSJ_NS1_7vsmem_tEENKUlT_SH_SI_SJ_E_clIS9_S9_SD_PlEESG_SW_SH_SI_SJ_EUlSW_E1_NS1_11comp_targetILNS1_3genE5ELNS1_11target_archE942ELNS1_3gpuE9ELNS1_3repE0EEENS1_36merge_oddeven_config_static_selectorELNS0_4arch9wavefront6targetE1EEEvSI_
		.amdhsa_group_segment_fixed_size 0
		.amdhsa_private_segment_fixed_size 0
		.amdhsa_kernarg_size 56
		.amdhsa_user_sgpr_count 6
		.amdhsa_user_sgpr_private_segment_buffer 1
		.amdhsa_user_sgpr_dispatch_ptr 0
		.amdhsa_user_sgpr_queue_ptr 0
		.amdhsa_user_sgpr_kernarg_segment_ptr 1
		.amdhsa_user_sgpr_dispatch_id 0
		.amdhsa_user_sgpr_flat_scratch_init 0
		.amdhsa_user_sgpr_kernarg_preload_length 0
		.amdhsa_user_sgpr_kernarg_preload_offset 0
		.amdhsa_user_sgpr_private_segment_size 0
		.amdhsa_uses_dynamic_stack 0
		.amdhsa_system_sgpr_private_segment_wavefront_offset 0
		.amdhsa_system_sgpr_workgroup_id_x 1
		.amdhsa_system_sgpr_workgroup_id_y 0
		.amdhsa_system_sgpr_workgroup_id_z 0
		.amdhsa_system_sgpr_workgroup_info 0
		.amdhsa_system_vgpr_workitem_id 0
		.amdhsa_next_free_vgpr 1
		.amdhsa_next_free_sgpr 0
		.amdhsa_accum_offset 4
		.amdhsa_reserve_vcc 0
		.amdhsa_reserve_flat_scratch 0
		.amdhsa_float_round_mode_32 0
		.amdhsa_float_round_mode_16_64 0
		.amdhsa_float_denorm_mode_32 3
		.amdhsa_float_denorm_mode_16_64 3
		.amdhsa_dx10_clamp 1
		.amdhsa_ieee_mode 1
		.amdhsa_fp16_overflow 0
		.amdhsa_tg_split 0
		.amdhsa_exception_fp_ieee_invalid_op 0
		.amdhsa_exception_fp_denorm_src 0
		.amdhsa_exception_fp_ieee_div_zero 0
		.amdhsa_exception_fp_ieee_overflow 0
		.amdhsa_exception_fp_ieee_underflow 0
		.amdhsa_exception_fp_ieee_inexact 0
		.amdhsa_exception_int_div_zero 0
	.end_amdhsa_kernel
	.section	.text._ZN7rocprim17ROCPRIM_400000_NS6detail17trampoline_kernelINS0_14default_configENS1_38merge_sort_block_merge_config_selectorIN3c108BFloat16ElEEZZNS1_27merge_sort_block_merge_implIS3_PS6_N6thrust23THRUST_200600_302600_NS10device_ptrIlEEmNSB_4lessIS6_EEEE10hipError_tT0_T1_T2_jT3_P12ihipStream_tbPNSt15iterator_traitsISH_E10value_typeEPNSN_ISI_E10value_typeEPSJ_NS1_7vsmem_tEENKUlT_SH_SI_SJ_E_clIS9_S9_SD_PlEESG_SW_SH_SI_SJ_EUlSW_E1_NS1_11comp_targetILNS1_3genE5ELNS1_11target_archE942ELNS1_3gpuE9ELNS1_3repE0EEENS1_36merge_oddeven_config_static_selectorELNS0_4arch9wavefront6targetE1EEEvSI_,"axG",@progbits,_ZN7rocprim17ROCPRIM_400000_NS6detail17trampoline_kernelINS0_14default_configENS1_38merge_sort_block_merge_config_selectorIN3c108BFloat16ElEEZZNS1_27merge_sort_block_merge_implIS3_PS6_N6thrust23THRUST_200600_302600_NS10device_ptrIlEEmNSB_4lessIS6_EEEE10hipError_tT0_T1_T2_jT3_P12ihipStream_tbPNSt15iterator_traitsISH_E10value_typeEPNSN_ISI_E10value_typeEPSJ_NS1_7vsmem_tEENKUlT_SH_SI_SJ_E_clIS9_S9_SD_PlEESG_SW_SH_SI_SJ_EUlSW_E1_NS1_11comp_targetILNS1_3genE5ELNS1_11target_archE942ELNS1_3gpuE9ELNS1_3repE0EEENS1_36merge_oddeven_config_static_selectorELNS0_4arch9wavefront6targetE1EEEvSI_,comdat
.Lfunc_end2021:
	.size	_ZN7rocprim17ROCPRIM_400000_NS6detail17trampoline_kernelINS0_14default_configENS1_38merge_sort_block_merge_config_selectorIN3c108BFloat16ElEEZZNS1_27merge_sort_block_merge_implIS3_PS6_N6thrust23THRUST_200600_302600_NS10device_ptrIlEEmNSB_4lessIS6_EEEE10hipError_tT0_T1_T2_jT3_P12ihipStream_tbPNSt15iterator_traitsISH_E10value_typeEPNSN_ISI_E10value_typeEPSJ_NS1_7vsmem_tEENKUlT_SH_SI_SJ_E_clIS9_S9_SD_PlEESG_SW_SH_SI_SJ_EUlSW_E1_NS1_11comp_targetILNS1_3genE5ELNS1_11target_archE942ELNS1_3gpuE9ELNS1_3repE0EEENS1_36merge_oddeven_config_static_selectorELNS0_4arch9wavefront6targetE1EEEvSI_, .Lfunc_end2021-_ZN7rocprim17ROCPRIM_400000_NS6detail17trampoline_kernelINS0_14default_configENS1_38merge_sort_block_merge_config_selectorIN3c108BFloat16ElEEZZNS1_27merge_sort_block_merge_implIS3_PS6_N6thrust23THRUST_200600_302600_NS10device_ptrIlEEmNSB_4lessIS6_EEEE10hipError_tT0_T1_T2_jT3_P12ihipStream_tbPNSt15iterator_traitsISH_E10value_typeEPNSN_ISI_E10value_typeEPSJ_NS1_7vsmem_tEENKUlT_SH_SI_SJ_E_clIS9_S9_SD_PlEESG_SW_SH_SI_SJ_EUlSW_E1_NS1_11comp_targetILNS1_3genE5ELNS1_11target_archE942ELNS1_3gpuE9ELNS1_3repE0EEENS1_36merge_oddeven_config_static_selectorELNS0_4arch9wavefront6targetE1EEEvSI_
                                        ; -- End function
	.section	.AMDGPU.csdata,"",@progbits
; Kernel info:
; codeLenInByte = 0
; NumSgprs: 4
; NumVgprs: 0
; NumAgprs: 0
; TotalNumVgprs: 0
; ScratchSize: 0
; MemoryBound: 0
; FloatMode: 240
; IeeeMode: 1
; LDSByteSize: 0 bytes/workgroup (compile time only)
; SGPRBlocks: 0
; VGPRBlocks: 0
; NumSGPRsForWavesPerEU: 4
; NumVGPRsForWavesPerEU: 1
; AccumOffset: 4
; Occupancy: 8
; WaveLimiterHint : 0
; COMPUTE_PGM_RSRC2:SCRATCH_EN: 0
; COMPUTE_PGM_RSRC2:USER_SGPR: 6
; COMPUTE_PGM_RSRC2:TRAP_HANDLER: 0
; COMPUTE_PGM_RSRC2:TGID_X_EN: 1
; COMPUTE_PGM_RSRC2:TGID_Y_EN: 0
; COMPUTE_PGM_RSRC2:TGID_Z_EN: 0
; COMPUTE_PGM_RSRC2:TIDIG_COMP_CNT: 0
; COMPUTE_PGM_RSRC3_GFX90A:ACCUM_OFFSET: 0
; COMPUTE_PGM_RSRC3_GFX90A:TG_SPLIT: 0
	.section	.text._ZN7rocprim17ROCPRIM_400000_NS6detail17trampoline_kernelINS0_14default_configENS1_38merge_sort_block_merge_config_selectorIN3c108BFloat16ElEEZZNS1_27merge_sort_block_merge_implIS3_PS6_N6thrust23THRUST_200600_302600_NS10device_ptrIlEEmNSB_4lessIS6_EEEE10hipError_tT0_T1_T2_jT3_P12ihipStream_tbPNSt15iterator_traitsISH_E10value_typeEPNSN_ISI_E10value_typeEPSJ_NS1_7vsmem_tEENKUlT_SH_SI_SJ_E_clIS9_S9_SD_PlEESG_SW_SH_SI_SJ_EUlSW_E1_NS1_11comp_targetILNS1_3genE4ELNS1_11target_archE910ELNS1_3gpuE8ELNS1_3repE0EEENS1_36merge_oddeven_config_static_selectorELNS0_4arch9wavefront6targetE1EEEvSI_,"axG",@progbits,_ZN7rocprim17ROCPRIM_400000_NS6detail17trampoline_kernelINS0_14default_configENS1_38merge_sort_block_merge_config_selectorIN3c108BFloat16ElEEZZNS1_27merge_sort_block_merge_implIS3_PS6_N6thrust23THRUST_200600_302600_NS10device_ptrIlEEmNSB_4lessIS6_EEEE10hipError_tT0_T1_T2_jT3_P12ihipStream_tbPNSt15iterator_traitsISH_E10value_typeEPNSN_ISI_E10value_typeEPSJ_NS1_7vsmem_tEENKUlT_SH_SI_SJ_E_clIS9_S9_SD_PlEESG_SW_SH_SI_SJ_EUlSW_E1_NS1_11comp_targetILNS1_3genE4ELNS1_11target_archE910ELNS1_3gpuE8ELNS1_3repE0EEENS1_36merge_oddeven_config_static_selectorELNS0_4arch9wavefront6targetE1EEEvSI_,comdat
	.protected	_ZN7rocprim17ROCPRIM_400000_NS6detail17trampoline_kernelINS0_14default_configENS1_38merge_sort_block_merge_config_selectorIN3c108BFloat16ElEEZZNS1_27merge_sort_block_merge_implIS3_PS6_N6thrust23THRUST_200600_302600_NS10device_ptrIlEEmNSB_4lessIS6_EEEE10hipError_tT0_T1_T2_jT3_P12ihipStream_tbPNSt15iterator_traitsISH_E10value_typeEPNSN_ISI_E10value_typeEPSJ_NS1_7vsmem_tEENKUlT_SH_SI_SJ_E_clIS9_S9_SD_PlEESG_SW_SH_SI_SJ_EUlSW_E1_NS1_11comp_targetILNS1_3genE4ELNS1_11target_archE910ELNS1_3gpuE8ELNS1_3repE0EEENS1_36merge_oddeven_config_static_selectorELNS0_4arch9wavefront6targetE1EEEvSI_ ; -- Begin function _ZN7rocprim17ROCPRIM_400000_NS6detail17trampoline_kernelINS0_14default_configENS1_38merge_sort_block_merge_config_selectorIN3c108BFloat16ElEEZZNS1_27merge_sort_block_merge_implIS3_PS6_N6thrust23THRUST_200600_302600_NS10device_ptrIlEEmNSB_4lessIS6_EEEE10hipError_tT0_T1_T2_jT3_P12ihipStream_tbPNSt15iterator_traitsISH_E10value_typeEPNSN_ISI_E10value_typeEPSJ_NS1_7vsmem_tEENKUlT_SH_SI_SJ_E_clIS9_S9_SD_PlEESG_SW_SH_SI_SJ_EUlSW_E1_NS1_11comp_targetILNS1_3genE4ELNS1_11target_archE910ELNS1_3gpuE8ELNS1_3repE0EEENS1_36merge_oddeven_config_static_selectorELNS0_4arch9wavefront6targetE1EEEvSI_
	.globl	_ZN7rocprim17ROCPRIM_400000_NS6detail17trampoline_kernelINS0_14default_configENS1_38merge_sort_block_merge_config_selectorIN3c108BFloat16ElEEZZNS1_27merge_sort_block_merge_implIS3_PS6_N6thrust23THRUST_200600_302600_NS10device_ptrIlEEmNSB_4lessIS6_EEEE10hipError_tT0_T1_T2_jT3_P12ihipStream_tbPNSt15iterator_traitsISH_E10value_typeEPNSN_ISI_E10value_typeEPSJ_NS1_7vsmem_tEENKUlT_SH_SI_SJ_E_clIS9_S9_SD_PlEESG_SW_SH_SI_SJ_EUlSW_E1_NS1_11comp_targetILNS1_3genE4ELNS1_11target_archE910ELNS1_3gpuE8ELNS1_3repE0EEENS1_36merge_oddeven_config_static_selectorELNS0_4arch9wavefront6targetE1EEEvSI_
	.p2align	8
	.type	_ZN7rocprim17ROCPRIM_400000_NS6detail17trampoline_kernelINS0_14default_configENS1_38merge_sort_block_merge_config_selectorIN3c108BFloat16ElEEZZNS1_27merge_sort_block_merge_implIS3_PS6_N6thrust23THRUST_200600_302600_NS10device_ptrIlEEmNSB_4lessIS6_EEEE10hipError_tT0_T1_T2_jT3_P12ihipStream_tbPNSt15iterator_traitsISH_E10value_typeEPNSN_ISI_E10value_typeEPSJ_NS1_7vsmem_tEENKUlT_SH_SI_SJ_E_clIS9_S9_SD_PlEESG_SW_SH_SI_SJ_EUlSW_E1_NS1_11comp_targetILNS1_3genE4ELNS1_11target_archE910ELNS1_3gpuE8ELNS1_3repE0EEENS1_36merge_oddeven_config_static_selectorELNS0_4arch9wavefront6targetE1EEEvSI_,@function
_ZN7rocprim17ROCPRIM_400000_NS6detail17trampoline_kernelINS0_14default_configENS1_38merge_sort_block_merge_config_selectorIN3c108BFloat16ElEEZZNS1_27merge_sort_block_merge_implIS3_PS6_N6thrust23THRUST_200600_302600_NS10device_ptrIlEEmNSB_4lessIS6_EEEE10hipError_tT0_T1_T2_jT3_P12ihipStream_tbPNSt15iterator_traitsISH_E10value_typeEPNSN_ISI_E10value_typeEPSJ_NS1_7vsmem_tEENKUlT_SH_SI_SJ_E_clIS9_S9_SD_PlEESG_SW_SH_SI_SJ_EUlSW_E1_NS1_11comp_targetILNS1_3genE4ELNS1_11target_archE910ELNS1_3gpuE8ELNS1_3repE0EEENS1_36merge_oddeven_config_static_selectorELNS0_4arch9wavefront6targetE1EEEvSI_: ; @_ZN7rocprim17ROCPRIM_400000_NS6detail17trampoline_kernelINS0_14default_configENS1_38merge_sort_block_merge_config_selectorIN3c108BFloat16ElEEZZNS1_27merge_sort_block_merge_implIS3_PS6_N6thrust23THRUST_200600_302600_NS10device_ptrIlEEmNSB_4lessIS6_EEEE10hipError_tT0_T1_T2_jT3_P12ihipStream_tbPNSt15iterator_traitsISH_E10value_typeEPNSN_ISI_E10value_typeEPSJ_NS1_7vsmem_tEENKUlT_SH_SI_SJ_E_clIS9_S9_SD_PlEESG_SW_SH_SI_SJ_EUlSW_E1_NS1_11comp_targetILNS1_3genE4ELNS1_11target_archE910ELNS1_3gpuE8ELNS1_3repE0EEENS1_36merge_oddeven_config_static_selectorELNS0_4arch9wavefront6targetE1EEEvSI_
; %bb.0:
	s_load_dwordx4 s[8:11], s[4:5], 0x18
	s_waitcnt lgkmcnt(0)
	s_lshr_b32 s2, s10, 8
	s_cmp_lg_u32 s6, s2
	s_cselect_b64 s[0:1], -1, 0
	s_cmp_eq_u32 s6, s2
	s_cselect_b64 s[16:17], -1, 0
	s_lshl_b32 s18, s6, 8
	s_sub_i32 s2, s10, s18
	v_cmp_gt_u32_e64 s[2:3], s2, v0
	s_or_b64 s[0:1], s[0:1], s[2:3]
	s_and_saveexec_b64 s[12:13], s[0:1]
	s_cbranch_execz .LBB2022_26
; %bb.1:
	s_load_dwordx4 s[12:15], s[4:5], 0x0
	s_load_dwordx2 s[0:1], s[4:5], 0x10
	s_mov_b32 s19, 0
	s_lshl_b64 s[20:21], s[18:19], 1
	v_lshlrev_b32_e32 v4, 3, v0
	s_waitcnt lgkmcnt(0)
	s_add_u32 s20, s12, s20
	s_addc_u32 s21, s13, s21
	s_lshl_b64 s[22:23], s[18:19], 3
	s_add_u32 s0, s0, s22
	s_addc_u32 s1, s1, s23
	v_lshlrev_b32_e32 v1, 1, v0
	global_load_dwordx2 v[2:3], v4, s[0:1]
	global_load_ushort v6, v1, s[20:21]
	s_load_dword s20, s[4:5], 0x28
	v_add_u32_e32 v4, s18, v0
	s_waitcnt lgkmcnt(0)
	s_lshr_b32 s0, s20, 8
	s_sub_i32 s1, 0, s0
	s_and_b32 s1, s6, s1
	s_and_b32 s0, s1, s0
	s_lshl_b32 s21, s1, 8
	s_sub_i32 s6, 0, s20
	s_cmp_eq_u32 s0, 0
	s_cselect_b64 s[0:1], -1, 0
	s_and_b64 s[4:5], s[0:1], exec
	s_cselect_b32 s11, s20, s6
	s_add_i32 s11, s11, s21
	s_cmp_lt_u32 s11, s10
	s_cbranch_scc1 .LBB2022_6
; %bb.2:
	s_and_b64 vcc, exec, s[16:17]
	s_cbranch_vccz .LBB2022_7
; %bb.3:
	v_cmp_gt_u32_e32 vcc, s10, v4
	s_mov_b64 s[6:7], 0
	s_mov_b64 s[4:5], 0
                                        ; implicit-def: $vgpr0_vgpr1
	s_and_saveexec_b64 s[18:19], vcc
	s_cbranch_execz .LBB2022_5
; %bb.4:
	v_mov_b32_e32 v5, 0
	v_lshlrev_b64 v[0:1], 3, v[4:5]
	v_mov_b32_e32 v7, s9
	v_add_co_u32_e32 v0, vcc, s8, v0
	v_addc_co_u32_e32 v1, vcc, v7, v1, vcc
	v_lshlrev_b64 v[8:9], 1, v[4:5]
	v_mov_b32_e32 v5, s15
	v_add_co_u32_e32 v8, vcc, s14, v8
	s_mov_b64 s[4:5], exec
	v_addc_co_u32_e32 v9, vcc, v5, v9, vcc
	s_waitcnt vmcnt(0)
	global_store_short v[8:9], v6, off
.LBB2022_5:
	s_or_b64 exec, exec, s[18:19]
	s_and_b64 vcc, exec, s[6:7]
	s_cbranch_vccnz .LBB2022_8
	s_branch .LBB2022_9
.LBB2022_6:
	s_mov_b64 s[4:5], 0
                                        ; implicit-def: $vgpr0_vgpr1
	s_cbranch_execnz .LBB2022_10
	s_branch .LBB2022_24
.LBB2022_7:
	s_mov_b64 s[4:5], 0
                                        ; implicit-def: $vgpr0_vgpr1
	s_cbranch_execz .LBB2022_9
.LBB2022_8:
	v_mov_b32_e32 v5, 0
	v_lshlrev_b64 v[0:1], 1, v[4:5]
	v_mov_b32_e32 v7, s15
	v_add_co_u32_e32 v0, vcc, s14, v0
	v_addc_co_u32_e32 v1, vcc, v7, v1, vcc
	s_waitcnt vmcnt(0)
	global_store_short v[0:1], v6, off
	v_lshlrev_b64 v[0:1], 3, v[4:5]
	v_mov_b32_e32 v5, s9
	v_add_co_u32_e32 v0, vcc, s8, v0
	v_addc_co_u32_e32 v1, vcc, v5, v1, vcc
	s_or_b64 s[4:5], s[4:5], exec
.LBB2022_9:
	s_branch .LBB2022_24
.LBB2022_10:
	s_min_u32 s18, s11, s10
	s_add_i32 s6, s18, s20
	s_min_u32 s10, s6, s10
	s_min_u32 s6, s21, s18
	s_add_i32 s21, s21, s18
	v_subrev_u32_e32 v0, s21, v4
	v_add_u32_e32 v4, s6, v0
	s_and_b64 vcc, exec, s[16:17]
	s_cbranch_vccz .LBB2022_18
; %bb.11:
                                        ; implicit-def: $vgpr0_vgpr1
	s_and_saveexec_b64 s[6:7], s[2:3]
	s_cbranch_execz .LBB2022_17
; %bb.12:
	s_cmp_ge_u32 s11, s10
	v_mov_b32_e32 v0, s18
	s_cbranch_scc1 .LBB2022_16
; %bb.13:
	s_waitcnt vmcnt(0)
	v_lshlrev_b32_e32 v1, 16, v6
	s_mov_b64 s[2:3], 0
	v_mov_b32_e32 v5, s10
	v_mov_b32_e32 v0, s18
.LBB2022_14:                            ; =>This Inner Loop Header: Depth=1
	v_add_u32_e32 v7, v0, v5
	v_and_b32_e32 v8, -2, v7
	global_load_ushort v8, v8, s[12:13]
	v_lshrrev_b32_e32 v7, 1, v7
	v_add_u32_e32 v9, 1, v7
	s_waitcnt vmcnt(0)
	v_lshlrev_b32_e32 v8, 16, v8
	v_cmp_lt_f32_e32 vcc, v8, v1
	v_cndmask_b32_e64 v10, 0, 1, vcc
	v_cmp_nlt_f32_e32 vcc, v1, v8
	v_cndmask_b32_e64 v8, 0, 1, vcc
	v_cndmask_b32_e64 v8, v8, v10, s[0:1]
	v_and_b32_e32 v8, 1, v8
	v_cmp_eq_u32_e32 vcc, 1, v8
	v_cndmask_b32_e32 v5, v7, v5, vcc
	v_cndmask_b32_e32 v0, v0, v9, vcc
	v_cmp_ge_u32_e32 vcc, v0, v5
	s_or_b64 s[2:3], vcc, s[2:3]
	s_andn2_b64 exec, exec, s[2:3]
	s_cbranch_execnz .LBB2022_14
; %bb.15:
	s_or_b64 exec, exec, s[2:3]
.LBB2022_16:
	v_add_u32_e32 v0, v0, v4
	v_mov_b32_e32 v1, 0
	v_lshlrev_b64 v[8:9], 1, v[0:1]
	v_mov_b32_e32 v5, s15
	v_add_co_u32_e32 v8, vcc, s14, v8
	v_addc_co_u32_e32 v9, vcc, v5, v9, vcc
	v_lshlrev_b64 v[0:1], 3, v[0:1]
	v_mov_b32_e32 v5, s9
	v_add_co_u32_e32 v0, vcc, s8, v0
	s_waitcnt vmcnt(0)
	global_store_short v[8:9], v6, off
	v_addc_co_u32_e32 v1, vcc, v5, v1, vcc
	s_or_b64 s[4:5], s[4:5], exec
.LBB2022_17:
	s_or_b64 exec, exec, s[6:7]
	s_branch .LBB2022_24
.LBB2022_18:
                                        ; implicit-def: $vgpr0_vgpr1
	s_cbranch_execz .LBB2022_24
; %bb.19:
	s_cmp_ge_u32 s11, s10
	v_mov_b32_e32 v0, s18
	s_cbranch_scc1 .LBB2022_23
; %bb.20:
	s_waitcnt vmcnt(0)
	v_lshlrev_b32_e32 v1, 16, v6
	s_mov_b64 s[2:3], 0
	v_mov_b32_e32 v5, s10
	v_mov_b32_e32 v0, s18
.LBB2022_21:                            ; =>This Inner Loop Header: Depth=1
	v_add_u32_e32 v7, v0, v5
	v_and_b32_e32 v8, -2, v7
	global_load_ushort v8, v8, s[12:13]
	v_lshrrev_b32_e32 v7, 1, v7
	v_add_u32_e32 v9, 1, v7
	s_waitcnt vmcnt(0)
	v_lshlrev_b32_e32 v8, 16, v8
	v_cmp_lt_f32_e32 vcc, v8, v1
	v_cndmask_b32_e64 v10, 0, 1, vcc
	v_cmp_nlt_f32_e32 vcc, v1, v8
	v_cndmask_b32_e64 v8, 0, 1, vcc
	v_cndmask_b32_e64 v8, v8, v10, s[0:1]
	v_and_b32_e32 v8, 1, v8
	v_cmp_eq_u32_e32 vcc, 1, v8
	v_cndmask_b32_e32 v5, v7, v5, vcc
	v_cndmask_b32_e32 v0, v0, v9, vcc
	v_cmp_ge_u32_e32 vcc, v0, v5
	s_or_b64 s[2:3], vcc, s[2:3]
	s_andn2_b64 exec, exec, s[2:3]
	s_cbranch_execnz .LBB2022_21
; %bb.22:
	s_or_b64 exec, exec, s[2:3]
.LBB2022_23:
	v_add_u32_e32 v0, v0, v4
	v_mov_b32_e32 v1, 0
	v_lshlrev_b64 v[4:5], 1, v[0:1]
	v_mov_b32_e32 v7, s15
	v_add_co_u32_e32 v4, vcc, s14, v4
	v_addc_co_u32_e32 v5, vcc, v7, v5, vcc
	v_lshlrev_b64 v[0:1], 3, v[0:1]
	s_waitcnt vmcnt(0)
	global_store_short v[4:5], v6, off
	v_mov_b32_e32 v4, s9
	v_add_co_u32_e32 v0, vcc, s8, v0
	v_addc_co_u32_e32 v1, vcc, v4, v1, vcc
	s_mov_b64 s[4:5], -1
.LBB2022_24:
	s_and_b64 exec, exec, s[4:5]
	s_cbranch_execz .LBB2022_26
; %bb.25:
	s_waitcnt vmcnt(1)
	global_store_dwordx2 v[0:1], v[2:3], off
.LBB2022_26:
	s_endpgm
	.section	.rodata,"a",@progbits
	.p2align	6, 0x0
	.amdhsa_kernel _ZN7rocprim17ROCPRIM_400000_NS6detail17trampoline_kernelINS0_14default_configENS1_38merge_sort_block_merge_config_selectorIN3c108BFloat16ElEEZZNS1_27merge_sort_block_merge_implIS3_PS6_N6thrust23THRUST_200600_302600_NS10device_ptrIlEEmNSB_4lessIS6_EEEE10hipError_tT0_T1_T2_jT3_P12ihipStream_tbPNSt15iterator_traitsISH_E10value_typeEPNSN_ISI_E10value_typeEPSJ_NS1_7vsmem_tEENKUlT_SH_SI_SJ_E_clIS9_S9_SD_PlEESG_SW_SH_SI_SJ_EUlSW_E1_NS1_11comp_targetILNS1_3genE4ELNS1_11target_archE910ELNS1_3gpuE8ELNS1_3repE0EEENS1_36merge_oddeven_config_static_selectorELNS0_4arch9wavefront6targetE1EEEvSI_
		.amdhsa_group_segment_fixed_size 0
		.amdhsa_private_segment_fixed_size 0
		.amdhsa_kernarg_size 56
		.amdhsa_user_sgpr_count 6
		.amdhsa_user_sgpr_private_segment_buffer 1
		.amdhsa_user_sgpr_dispatch_ptr 0
		.amdhsa_user_sgpr_queue_ptr 0
		.amdhsa_user_sgpr_kernarg_segment_ptr 1
		.amdhsa_user_sgpr_dispatch_id 0
		.amdhsa_user_sgpr_flat_scratch_init 0
		.amdhsa_user_sgpr_kernarg_preload_length 0
		.amdhsa_user_sgpr_kernarg_preload_offset 0
		.amdhsa_user_sgpr_private_segment_size 0
		.amdhsa_uses_dynamic_stack 0
		.amdhsa_system_sgpr_private_segment_wavefront_offset 0
		.amdhsa_system_sgpr_workgroup_id_x 1
		.amdhsa_system_sgpr_workgroup_id_y 0
		.amdhsa_system_sgpr_workgroup_id_z 0
		.amdhsa_system_sgpr_workgroup_info 0
		.amdhsa_system_vgpr_workitem_id 0
		.amdhsa_next_free_vgpr 11
		.amdhsa_next_free_sgpr 24
		.amdhsa_accum_offset 12
		.amdhsa_reserve_vcc 1
		.amdhsa_reserve_flat_scratch 0
		.amdhsa_float_round_mode_32 0
		.amdhsa_float_round_mode_16_64 0
		.amdhsa_float_denorm_mode_32 3
		.amdhsa_float_denorm_mode_16_64 3
		.amdhsa_dx10_clamp 1
		.amdhsa_ieee_mode 1
		.amdhsa_fp16_overflow 0
		.amdhsa_tg_split 0
		.amdhsa_exception_fp_ieee_invalid_op 0
		.amdhsa_exception_fp_denorm_src 0
		.amdhsa_exception_fp_ieee_div_zero 0
		.amdhsa_exception_fp_ieee_overflow 0
		.amdhsa_exception_fp_ieee_underflow 0
		.amdhsa_exception_fp_ieee_inexact 0
		.amdhsa_exception_int_div_zero 0
	.end_amdhsa_kernel
	.section	.text._ZN7rocprim17ROCPRIM_400000_NS6detail17trampoline_kernelINS0_14default_configENS1_38merge_sort_block_merge_config_selectorIN3c108BFloat16ElEEZZNS1_27merge_sort_block_merge_implIS3_PS6_N6thrust23THRUST_200600_302600_NS10device_ptrIlEEmNSB_4lessIS6_EEEE10hipError_tT0_T1_T2_jT3_P12ihipStream_tbPNSt15iterator_traitsISH_E10value_typeEPNSN_ISI_E10value_typeEPSJ_NS1_7vsmem_tEENKUlT_SH_SI_SJ_E_clIS9_S9_SD_PlEESG_SW_SH_SI_SJ_EUlSW_E1_NS1_11comp_targetILNS1_3genE4ELNS1_11target_archE910ELNS1_3gpuE8ELNS1_3repE0EEENS1_36merge_oddeven_config_static_selectorELNS0_4arch9wavefront6targetE1EEEvSI_,"axG",@progbits,_ZN7rocprim17ROCPRIM_400000_NS6detail17trampoline_kernelINS0_14default_configENS1_38merge_sort_block_merge_config_selectorIN3c108BFloat16ElEEZZNS1_27merge_sort_block_merge_implIS3_PS6_N6thrust23THRUST_200600_302600_NS10device_ptrIlEEmNSB_4lessIS6_EEEE10hipError_tT0_T1_T2_jT3_P12ihipStream_tbPNSt15iterator_traitsISH_E10value_typeEPNSN_ISI_E10value_typeEPSJ_NS1_7vsmem_tEENKUlT_SH_SI_SJ_E_clIS9_S9_SD_PlEESG_SW_SH_SI_SJ_EUlSW_E1_NS1_11comp_targetILNS1_3genE4ELNS1_11target_archE910ELNS1_3gpuE8ELNS1_3repE0EEENS1_36merge_oddeven_config_static_selectorELNS0_4arch9wavefront6targetE1EEEvSI_,comdat
.Lfunc_end2022:
	.size	_ZN7rocprim17ROCPRIM_400000_NS6detail17trampoline_kernelINS0_14default_configENS1_38merge_sort_block_merge_config_selectorIN3c108BFloat16ElEEZZNS1_27merge_sort_block_merge_implIS3_PS6_N6thrust23THRUST_200600_302600_NS10device_ptrIlEEmNSB_4lessIS6_EEEE10hipError_tT0_T1_T2_jT3_P12ihipStream_tbPNSt15iterator_traitsISH_E10value_typeEPNSN_ISI_E10value_typeEPSJ_NS1_7vsmem_tEENKUlT_SH_SI_SJ_E_clIS9_S9_SD_PlEESG_SW_SH_SI_SJ_EUlSW_E1_NS1_11comp_targetILNS1_3genE4ELNS1_11target_archE910ELNS1_3gpuE8ELNS1_3repE0EEENS1_36merge_oddeven_config_static_selectorELNS0_4arch9wavefront6targetE1EEEvSI_, .Lfunc_end2022-_ZN7rocprim17ROCPRIM_400000_NS6detail17trampoline_kernelINS0_14default_configENS1_38merge_sort_block_merge_config_selectorIN3c108BFloat16ElEEZZNS1_27merge_sort_block_merge_implIS3_PS6_N6thrust23THRUST_200600_302600_NS10device_ptrIlEEmNSB_4lessIS6_EEEE10hipError_tT0_T1_T2_jT3_P12ihipStream_tbPNSt15iterator_traitsISH_E10value_typeEPNSN_ISI_E10value_typeEPSJ_NS1_7vsmem_tEENKUlT_SH_SI_SJ_E_clIS9_S9_SD_PlEESG_SW_SH_SI_SJ_EUlSW_E1_NS1_11comp_targetILNS1_3genE4ELNS1_11target_archE910ELNS1_3gpuE8ELNS1_3repE0EEENS1_36merge_oddeven_config_static_selectorELNS0_4arch9wavefront6targetE1EEEvSI_
                                        ; -- End function
	.section	.AMDGPU.csdata,"",@progbits
; Kernel info:
; codeLenInByte = 860
; NumSgprs: 28
; NumVgprs: 11
; NumAgprs: 0
; TotalNumVgprs: 11
; ScratchSize: 0
; MemoryBound: 0
; FloatMode: 240
; IeeeMode: 1
; LDSByteSize: 0 bytes/workgroup (compile time only)
; SGPRBlocks: 3
; VGPRBlocks: 1
; NumSGPRsForWavesPerEU: 28
; NumVGPRsForWavesPerEU: 11
; AccumOffset: 12
; Occupancy: 8
; WaveLimiterHint : 0
; COMPUTE_PGM_RSRC2:SCRATCH_EN: 0
; COMPUTE_PGM_RSRC2:USER_SGPR: 6
; COMPUTE_PGM_RSRC2:TRAP_HANDLER: 0
; COMPUTE_PGM_RSRC2:TGID_X_EN: 1
; COMPUTE_PGM_RSRC2:TGID_Y_EN: 0
; COMPUTE_PGM_RSRC2:TGID_Z_EN: 0
; COMPUTE_PGM_RSRC2:TIDIG_COMP_CNT: 0
; COMPUTE_PGM_RSRC3_GFX90A:ACCUM_OFFSET: 2
; COMPUTE_PGM_RSRC3_GFX90A:TG_SPLIT: 0
	.section	.text._ZN7rocprim17ROCPRIM_400000_NS6detail17trampoline_kernelINS0_14default_configENS1_38merge_sort_block_merge_config_selectorIN3c108BFloat16ElEEZZNS1_27merge_sort_block_merge_implIS3_PS6_N6thrust23THRUST_200600_302600_NS10device_ptrIlEEmNSB_4lessIS6_EEEE10hipError_tT0_T1_T2_jT3_P12ihipStream_tbPNSt15iterator_traitsISH_E10value_typeEPNSN_ISI_E10value_typeEPSJ_NS1_7vsmem_tEENKUlT_SH_SI_SJ_E_clIS9_S9_SD_PlEESG_SW_SH_SI_SJ_EUlSW_E1_NS1_11comp_targetILNS1_3genE3ELNS1_11target_archE908ELNS1_3gpuE7ELNS1_3repE0EEENS1_36merge_oddeven_config_static_selectorELNS0_4arch9wavefront6targetE1EEEvSI_,"axG",@progbits,_ZN7rocprim17ROCPRIM_400000_NS6detail17trampoline_kernelINS0_14default_configENS1_38merge_sort_block_merge_config_selectorIN3c108BFloat16ElEEZZNS1_27merge_sort_block_merge_implIS3_PS6_N6thrust23THRUST_200600_302600_NS10device_ptrIlEEmNSB_4lessIS6_EEEE10hipError_tT0_T1_T2_jT3_P12ihipStream_tbPNSt15iterator_traitsISH_E10value_typeEPNSN_ISI_E10value_typeEPSJ_NS1_7vsmem_tEENKUlT_SH_SI_SJ_E_clIS9_S9_SD_PlEESG_SW_SH_SI_SJ_EUlSW_E1_NS1_11comp_targetILNS1_3genE3ELNS1_11target_archE908ELNS1_3gpuE7ELNS1_3repE0EEENS1_36merge_oddeven_config_static_selectorELNS0_4arch9wavefront6targetE1EEEvSI_,comdat
	.protected	_ZN7rocprim17ROCPRIM_400000_NS6detail17trampoline_kernelINS0_14default_configENS1_38merge_sort_block_merge_config_selectorIN3c108BFloat16ElEEZZNS1_27merge_sort_block_merge_implIS3_PS6_N6thrust23THRUST_200600_302600_NS10device_ptrIlEEmNSB_4lessIS6_EEEE10hipError_tT0_T1_T2_jT3_P12ihipStream_tbPNSt15iterator_traitsISH_E10value_typeEPNSN_ISI_E10value_typeEPSJ_NS1_7vsmem_tEENKUlT_SH_SI_SJ_E_clIS9_S9_SD_PlEESG_SW_SH_SI_SJ_EUlSW_E1_NS1_11comp_targetILNS1_3genE3ELNS1_11target_archE908ELNS1_3gpuE7ELNS1_3repE0EEENS1_36merge_oddeven_config_static_selectorELNS0_4arch9wavefront6targetE1EEEvSI_ ; -- Begin function _ZN7rocprim17ROCPRIM_400000_NS6detail17trampoline_kernelINS0_14default_configENS1_38merge_sort_block_merge_config_selectorIN3c108BFloat16ElEEZZNS1_27merge_sort_block_merge_implIS3_PS6_N6thrust23THRUST_200600_302600_NS10device_ptrIlEEmNSB_4lessIS6_EEEE10hipError_tT0_T1_T2_jT3_P12ihipStream_tbPNSt15iterator_traitsISH_E10value_typeEPNSN_ISI_E10value_typeEPSJ_NS1_7vsmem_tEENKUlT_SH_SI_SJ_E_clIS9_S9_SD_PlEESG_SW_SH_SI_SJ_EUlSW_E1_NS1_11comp_targetILNS1_3genE3ELNS1_11target_archE908ELNS1_3gpuE7ELNS1_3repE0EEENS1_36merge_oddeven_config_static_selectorELNS0_4arch9wavefront6targetE1EEEvSI_
	.globl	_ZN7rocprim17ROCPRIM_400000_NS6detail17trampoline_kernelINS0_14default_configENS1_38merge_sort_block_merge_config_selectorIN3c108BFloat16ElEEZZNS1_27merge_sort_block_merge_implIS3_PS6_N6thrust23THRUST_200600_302600_NS10device_ptrIlEEmNSB_4lessIS6_EEEE10hipError_tT0_T1_T2_jT3_P12ihipStream_tbPNSt15iterator_traitsISH_E10value_typeEPNSN_ISI_E10value_typeEPSJ_NS1_7vsmem_tEENKUlT_SH_SI_SJ_E_clIS9_S9_SD_PlEESG_SW_SH_SI_SJ_EUlSW_E1_NS1_11comp_targetILNS1_3genE3ELNS1_11target_archE908ELNS1_3gpuE7ELNS1_3repE0EEENS1_36merge_oddeven_config_static_selectorELNS0_4arch9wavefront6targetE1EEEvSI_
	.p2align	8
	.type	_ZN7rocprim17ROCPRIM_400000_NS6detail17trampoline_kernelINS0_14default_configENS1_38merge_sort_block_merge_config_selectorIN3c108BFloat16ElEEZZNS1_27merge_sort_block_merge_implIS3_PS6_N6thrust23THRUST_200600_302600_NS10device_ptrIlEEmNSB_4lessIS6_EEEE10hipError_tT0_T1_T2_jT3_P12ihipStream_tbPNSt15iterator_traitsISH_E10value_typeEPNSN_ISI_E10value_typeEPSJ_NS1_7vsmem_tEENKUlT_SH_SI_SJ_E_clIS9_S9_SD_PlEESG_SW_SH_SI_SJ_EUlSW_E1_NS1_11comp_targetILNS1_3genE3ELNS1_11target_archE908ELNS1_3gpuE7ELNS1_3repE0EEENS1_36merge_oddeven_config_static_selectorELNS0_4arch9wavefront6targetE1EEEvSI_,@function
_ZN7rocprim17ROCPRIM_400000_NS6detail17trampoline_kernelINS0_14default_configENS1_38merge_sort_block_merge_config_selectorIN3c108BFloat16ElEEZZNS1_27merge_sort_block_merge_implIS3_PS6_N6thrust23THRUST_200600_302600_NS10device_ptrIlEEmNSB_4lessIS6_EEEE10hipError_tT0_T1_T2_jT3_P12ihipStream_tbPNSt15iterator_traitsISH_E10value_typeEPNSN_ISI_E10value_typeEPSJ_NS1_7vsmem_tEENKUlT_SH_SI_SJ_E_clIS9_S9_SD_PlEESG_SW_SH_SI_SJ_EUlSW_E1_NS1_11comp_targetILNS1_3genE3ELNS1_11target_archE908ELNS1_3gpuE7ELNS1_3repE0EEENS1_36merge_oddeven_config_static_selectorELNS0_4arch9wavefront6targetE1EEEvSI_: ; @_ZN7rocprim17ROCPRIM_400000_NS6detail17trampoline_kernelINS0_14default_configENS1_38merge_sort_block_merge_config_selectorIN3c108BFloat16ElEEZZNS1_27merge_sort_block_merge_implIS3_PS6_N6thrust23THRUST_200600_302600_NS10device_ptrIlEEmNSB_4lessIS6_EEEE10hipError_tT0_T1_T2_jT3_P12ihipStream_tbPNSt15iterator_traitsISH_E10value_typeEPNSN_ISI_E10value_typeEPSJ_NS1_7vsmem_tEENKUlT_SH_SI_SJ_E_clIS9_S9_SD_PlEESG_SW_SH_SI_SJ_EUlSW_E1_NS1_11comp_targetILNS1_3genE3ELNS1_11target_archE908ELNS1_3gpuE7ELNS1_3repE0EEENS1_36merge_oddeven_config_static_selectorELNS0_4arch9wavefront6targetE1EEEvSI_
; %bb.0:
	.section	.rodata,"a",@progbits
	.p2align	6, 0x0
	.amdhsa_kernel _ZN7rocprim17ROCPRIM_400000_NS6detail17trampoline_kernelINS0_14default_configENS1_38merge_sort_block_merge_config_selectorIN3c108BFloat16ElEEZZNS1_27merge_sort_block_merge_implIS3_PS6_N6thrust23THRUST_200600_302600_NS10device_ptrIlEEmNSB_4lessIS6_EEEE10hipError_tT0_T1_T2_jT3_P12ihipStream_tbPNSt15iterator_traitsISH_E10value_typeEPNSN_ISI_E10value_typeEPSJ_NS1_7vsmem_tEENKUlT_SH_SI_SJ_E_clIS9_S9_SD_PlEESG_SW_SH_SI_SJ_EUlSW_E1_NS1_11comp_targetILNS1_3genE3ELNS1_11target_archE908ELNS1_3gpuE7ELNS1_3repE0EEENS1_36merge_oddeven_config_static_selectorELNS0_4arch9wavefront6targetE1EEEvSI_
		.amdhsa_group_segment_fixed_size 0
		.amdhsa_private_segment_fixed_size 0
		.amdhsa_kernarg_size 56
		.amdhsa_user_sgpr_count 6
		.amdhsa_user_sgpr_private_segment_buffer 1
		.amdhsa_user_sgpr_dispatch_ptr 0
		.amdhsa_user_sgpr_queue_ptr 0
		.amdhsa_user_sgpr_kernarg_segment_ptr 1
		.amdhsa_user_sgpr_dispatch_id 0
		.amdhsa_user_sgpr_flat_scratch_init 0
		.amdhsa_user_sgpr_kernarg_preload_length 0
		.amdhsa_user_sgpr_kernarg_preload_offset 0
		.amdhsa_user_sgpr_private_segment_size 0
		.amdhsa_uses_dynamic_stack 0
		.amdhsa_system_sgpr_private_segment_wavefront_offset 0
		.amdhsa_system_sgpr_workgroup_id_x 1
		.amdhsa_system_sgpr_workgroup_id_y 0
		.amdhsa_system_sgpr_workgroup_id_z 0
		.amdhsa_system_sgpr_workgroup_info 0
		.amdhsa_system_vgpr_workitem_id 0
		.amdhsa_next_free_vgpr 1
		.amdhsa_next_free_sgpr 0
		.amdhsa_accum_offset 4
		.amdhsa_reserve_vcc 0
		.amdhsa_reserve_flat_scratch 0
		.amdhsa_float_round_mode_32 0
		.amdhsa_float_round_mode_16_64 0
		.amdhsa_float_denorm_mode_32 3
		.amdhsa_float_denorm_mode_16_64 3
		.amdhsa_dx10_clamp 1
		.amdhsa_ieee_mode 1
		.amdhsa_fp16_overflow 0
		.amdhsa_tg_split 0
		.amdhsa_exception_fp_ieee_invalid_op 0
		.amdhsa_exception_fp_denorm_src 0
		.amdhsa_exception_fp_ieee_div_zero 0
		.amdhsa_exception_fp_ieee_overflow 0
		.amdhsa_exception_fp_ieee_underflow 0
		.amdhsa_exception_fp_ieee_inexact 0
		.amdhsa_exception_int_div_zero 0
	.end_amdhsa_kernel
	.section	.text._ZN7rocprim17ROCPRIM_400000_NS6detail17trampoline_kernelINS0_14default_configENS1_38merge_sort_block_merge_config_selectorIN3c108BFloat16ElEEZZNS1_27merge_sort_block_merge_implIS3_PS6_N6thrust23THRUST_200600_302600_NS10device_ptrIlEEmNSB_4lessIS6_EEEE10hipError_tT0_T1_T2_jT3_P12ihipStream_tbPNSt15iterator_traitsISH_E10value_typeEPNSN_ISI_E10value_typeEPSJ_NS1_7vsmem_tEENKUlT_SH_SI_SJ_E_clIS9_S9_SD_PlEESG_SW_SH_SI_SJ_EUlSW_E1_NS1_11comp_targetILNS1_3genE3ELNS1_11target_archE908ELNS1_3gpuE7ELNS1_3repE0EEENS1_36merge_oddeven_config_static_selectorELNS0_4arch9wavefront6targetE1EEEvSI_,"axG",@progbits,_ZN7rocprim17ROCPRIM_400000_NS6detail17trampoline_kernelINS0_14default_configENS1_38merge_sort_block_merge_config_selectorIN3c108BFloat16ElEEZZNS1_27merge_sort_block_merge_implIS3_PS6_N6thrust23THRUST_200600_302600_NS10device_ptrIlEEmNSB_4lessIS6_EEEE10hipError_tT0_T1_T2_jT3_P12ihipStream_tbPNSt15iterator_traitsISH_E10value_typeEPNSN_ISI_E10value_typeEPSJ_NS1_7vsmem_tEENKUlT_SH_SI_SJ_E_clIS9_S9_SD_PlEESG_SW_SH_SI_SJ_EUlSW_E1_NS1_11comp_targetILNS1_3genE3ELNS1_11target_archE908ELNS1_3gpuE7ELNS1_3repE0EEENS1_36merge_oddeven_config_static_selectorELNS0_4arch9wavefront6targetE1EEEvSI_,comdat
.Lfunc_end2023:
	.size	_ZN7rocprim17ROCPRIM_400000_NS6detail17trampoline_kernelINS0_14default_configENS1_38merge_sort_block_merge_config_selectorIN3c108BFloat16ElEEZZNS1_27merge_sort_block_merge_implIS3_PS6_N6thrust23THRUST_200600_302600_NS10device_ptrIlEEmNSB_4lessIS6_EEEE10hipError_tT0_T1_T2_jT3_P12ihipStream_tbPNSt15iterator_traitsISH_E10value_typeEPNSN_ISI_E10value_typeEPSJ_NS1_7vsmem_tEENKUlT_SH_SI_SJ_E_clIS9_S9_SD_PlEESG_SW_SH_SI_SJ_EUlSW_E1_NS1_11comp_targetILNS1_3genE3ELNS1_11target_archE908ELNS1_3gpuE7ELNS1_3repE0EEENS1_36merge_oddeven_config_static_selectorELNS0_4arch9wavefront6targetE1EEEvSI_, .Lfunc_end2023-_ZN7rocprim17ROCPRIM_400000_NS6detail17trampoline_kernelINS0_14default_configENS1_38merge_sort_block_merge_config_selectorIN3c108BFloat16ElEEZZNS1_27merge_sort_block_merge_implIS3_PS6_N6thrust23THRUST_200600_302600_NS10device_ptrIlEEmNSB_4lessIS6_EEEE10hipError_tT0_T1_T2_jT3_P12ihipStream_tbPNSt15iterator_traitsISH_E10value_typeEPNSN_ISI_E10value_typeEPSJ_NS1_7vsmem_tEENKUlT_SH_SI_SJ_E_clIS9_S9_SD_PlEESG_SW_SH_SI_SJ_EUlSW_E1_NS1_11comp_targetILNS1_3genE3ELNS1_11target_archE908ELNS1_3gpuE7ELNS1_3repE0EEENS1_36merge_oddeven_config_static_selectorELNS0_4arch9wavefront6targetE1EEEvSI_
                                        ; -- End function
	.section	.AMDGPU.csdata,"",@progbits
; Kernel info:
; codeLenInByte = 0
; NumSgprs: 4
; NumVgprs: 0
; NumAgprs: 0
; TotalNumVgprs: 0
; ScratchSize: 0
; MemoryBound: 0
; FloatMode: 240
; IeeeMode: 1
; LDSByteSize: 0 bytes/workgroup (compile time only)
; SGPRBlocks: 0
; VGPRBlocks: 0
; NumSGPRsForWavesPerEU: 4
; NumVGPRsForWavesPerEU: 1
; AccumOffset: 4
; Occupancy: 8
; WaveLimiterHint : 0
; COMPUTE_PGM_RSRC2:SCRATCH_EN: 0
; COMPUTE_PGM_RSRC2:USER_SGPR: 6
; COMPUTE_PGM_RSRC2:TRAP_HANDLER: 0
; COMPUTE_PGM_RSRC2:TGID_X_EN: 1
; COMPUTE_PGM_RSRC2:TGID_Y_EN: 0
; COMPUTE_PGM_RSRC2:TGID_Z_EN: 0
; COMPUTE_PGM_RSRC2:TIDIG_COMP_CNT: 0
; COMPUTE_PGM_RSRC3_GFX90A:ACCUM_OFFSET: 0
; COMPUTE_PGM_RSRC3_GFX90A:TG_SPLIT: 0
	.section	.text._ZN7rocprim17ROCPRIM_400000_NS6detail17trampoline_kernelINS0_14default_configENS1_38merge_sort_block_merge_config_selectorIN3c108BFloat16ElEEZZNS1_27merge_sort_block_merge_implIS3_PS6_N6thrust23THRUST_200600_302600_NS10device_ptrIlEEmNSB_4lessIS6_EEEE10hipError_tT0_T1_T2_jT3_P12ihipStream_tbPNSt15iterator_traitsISH_E10value_typeEPNSN_ISI_E10value_typeEPSJ_NS1_7vsmem_tEENKUlT_SH_SI_SJ_E_clIS9_S9_SD_PlEESG_SW_SH_SI_SJ_EUlSW_E1_NS1_11comp_targetILNS1_3genE2ELNS1_11target_archE906ELNS1_3gpuE6ELNS1_3repE0EEENS1_36merge_oddeven_config_static_selectorELNS0_4arch9wavefront6targetE1EEEvSI_,"axG",@progbits,_ZN7rocprim17ROCPRIM_400000_NS6detail17trampoline_kernelINS0_14default_configENS1_38merge_sort_block_merge_config_selectorIN3c108BFloat16ElEEZZNS1_27merge_sort_block_merge_implIS3_PS6_N6thrust23THRUST_200600_302600_NS10device_ptrIlEEmNSB_4lessIS6_EEEE10hipError_tT0_T1_T2_jT3_P12ihipStream_tbPNSt15iterator_traitsISH_E10value_typeEPNSN_ISI_E10value_typeEPSJ_NS1_7vsmem_tEENKUlT_SH_SI_SJ_E_clIS9_S9_SD_PlEESG_SW_SH_SI_SJ_EUlSW_E1_NS1_11comp_targetILNS1_3genE2ELNS1_11target_archE906ELNS1_3gpuE6ELNS1_3repE0EEENS1_36merge_oddeven_config_static_selectorELNS0_4arch9wavefront6targetE1EEEvSI_,comdat
	.protected	_ZN7rocprim17ROCPRIM_400000_NS6detail17trampoline_kernelINS0_14default_configENS1_38merge_sort_block_merge_config_selectorIN3c108BFloat16ElEEZZNS1_27merge_sort_block_merge_implIS3_PS6_N6thrust23THRUST_200600_302600_NS10device_ptrIlEEmNSB_4lessIS6_EEEE10hipError_tT0_T1_T2_jT3_P12ihipStream_tbPNSt15iterator_traitsISH_E10value_typeEPNSN_ISI_E10value_typeEPSJ_NS1_7vsmem_tEENKUlT_SH_SI_SJ_E_clIS9_S9_SD_PlEESG_SW_SH_SI_SJ_EUlSW_E1_NS1_11comp_targetILNS1_3genE2ELNS1_11target_archE906ELNS1_3gpuE6ELNS1_3repE0EEENS1_36merge_oddeven_config_static_selectorELNS0_4arch9wavefront6targetE1EEEvSI_ ; -- Begin function _ZN7rocprim17ROCPRIM_400000_NS6detail17trampoline_kernelINS0_14default_configENS1_38merge_sort_block_merge_config_selectorIN3c108BFloat16ElEEZZNS1_27merge_sort_block_merge_implIS3_PS6_N6thrust23THRUST_200600_302600_NS10device_ptrIlEEmNSB_4lessIS6_EEEE10hipError_tT0_T1_T2_jT3_P12ihipStream_tbPNSt15iterator_traitsISH_E10value_typeEPNSN_ISI_E10value_typeEPSJ_NS1_7vsmem_tEENKUlT_SH_SI_SJ_E_clIS9_S9_SD_PlEESG_SW_SH_SI_SJ_EUlSW_E1_NS1_11comp_targetILNS1_3genE2ELNS1_11target_archE906ELNS1_3gpuE6ELNS1_3repE0EEENS1_36merge_oddeven_config_static_selectorELNS0_4arch9wavefront6targetE1EEEvSI_
	.globl	_ZN7rocprim17ROCPRIM_400000_NS6detail17trampoline_kernelINS0_14default_configENS1_38merge_sort_block_merge_config_selectorIN3c108BFloat16ElEEZZNS1_27merge_sort_block_merge_implIS3_PS6_N6thrust23THRUST_200600_302600_NS10device_ptrIlEEmNSB_4lessIS6_EEEE10hipError_tT0_T1_T2_jT3_P12ihipStream_tbPNSt15iterator_traitsISH_E10value_typeEPNSN_ISI_E10value_typeEPSJ_NS1_7vsmem_tEENKUlT_SH_SI_SJ_E_clIS9_S9_SD_PlEESG_SW_SH_SI_SJ_EUlSW_E1_NS1_11comp_targetILNS1_3genE2ELNS1_11target_archE906ELNS1_3gpuE6ELNS1_3repE0EEENS1_36merge_oddeven_config_static_selectorELNS0_4arch9wavefront6targetE1EEEvSI_
	.p2align	8
	.type	_ZN7rocprim17ROCPRIM_400000_NS6detail17trampoline_kernelINS0_14default_configENS1_38merge_sort_block_merge_config_selectorIN3c108BFloat16ElEEZZNS1_27merge_sort_block_merge_implIS3_PS6_N6thrust23THRUST_200600_302600_NS10device_ptrIlEEmNSB_4lessIS6_EEEE10hipError_tT0_T1_T2_jT3_P12ihipStream_tbPNSt15iterator_traitsISH_E10value_typeEPNSN_ISI_E10value_typeEPSJ_NS1_7vsmem_tEENKUlT_SH_SI_SJ_E_clIS9_S9_SD_PlEESG_SW_SH_SI_SJ_EUlSW_E1_NS1_11comp_targetILNS1_3genE2ELNS1_11target_archE906ELNS1_3gpuE6ELNS1_3repE0EEENS1_36merge_oddeven_config_static_selectorELNS0_4arch9wavefront6targetE1EEEvSI_,@function
_ZN7rocprim17ROCPRIM_400000_NS6detail17trampoline_kernelINS0_14default_configENS1_38merge_sort_block_merge_config_selectorIN3c108BFloat16ElEEZZNS1_27merge_sort_block_merge_implIS3_PS6_N6thrust23THRUST_200600_302600_NS10device_ptrIlEEmNSB_4lessIS6_EEEE10hipError_tT0_T1_T2_jT3_P12ihipStream_tbPNSt15iterator_traitsISH_E10value_typeEPNSN_ISI_E10value_typeEPSJ_NS1_7vsmem_tEENKUlT_SH_SI_SJ_E_clIS9_S9_SD_PlEESG_SW_SH_SI_SJ_EUlSW_E1_NS1_11comp_targetILNS1_3genE2ELNS1_11target_archE906ELNS1_3gpuE6ELNS1_3repE0EEENS1_36merge_oddeven_config_static_selectorELNS0_4arch9wavefront6targetE1EEEvSI_: ; @_ZN7rocprim17ROCPRIM_400000_NS6detail17trampoline_kernelINS0_14default_configENS1_38merge_sort_block_merge_config_selectorIN3c108BFloat16ElEEZZNS1_27merge_sort_block_merge_implIS3_PS6_N6thrust23THRUST_200600_302600_NS10device_ptrIlEEmNSB_4lessIS6_EEEE10hipError_tT0_T1_T2_jT3_P12ihipStream_tbPNSt15iterator_traitsISH_E10value_typeEPNSN_ISI_E10value_typeEPSJ_NS1_7vsmem_tEENKUlT_SH_SI_SJ_E_clIS9_S9_SD_PlEESG_SW_SH_SI_SJ_EUlSW_E1_NS1_11comp_targetILNS1_3genE2ELNS1_11target_archE906ELNS1_3gpuE6ELNS1_3repE0EEENS1_36merge_oddeven_config_static_selectorELNS0_4arch9wavefront6targetE1EEEvSI_
; %bb.0:
	.section	.rodata,"a",@progbits
	.p2align	6, 0x0
	.amdhsa_kernel _ZN7rocprim17ROCPRIM_400000_NS6detail17trampoline_kernelINS0_14default_configENS1_38merge_sort_block_merge_config_selectorIN3c108BFloat16ElEEZZNS1_27merge_sort_block_merge_implIS3_PS6_N6thrust23THRUST_200600_302600_NS10device_ptrIlEEmNSB_4lessIS6_EEEE10hipError_tT0_T1_T2_jT3_P12ihipStream_tbPNSt15iterator_traitsISH_E10value_typeEPNSN_ISI_E10value_typeEPSJ_NS1_7vsmem_tEENKUlT_SH_SI_SJ_E_clIS9_S9_SD_PlEESG_SW_SH_SI_SJ_EUlSW_E1_NS1_11comp_targetILNS1_3genE2ELNS1_11target_archE906ELNS1_3gpuE6ELNS1_3repE0EEENS1_36merge_oddeven_config_static_selectorELNS0_4arch9wavefront6targetE1EEEvSI_
		.amdhsa_group_segment_fixed_size 0
		.amdhsa_private_segment_fixed_size 0
		.amdhsa_kernarg_size 56
		.amdhsa_user_sgpr_count 6
		.amdhsa_user_sgpr_private_segment_buffer 1
		.amdhsa_user_sgpr_dispatch_ptr 0
		.amdhsa_user_sgpr_queue_ptr 0
		.amdhsa_user_sgpr_kernarg_segment_ptr 1
		.amdhsa_user_sgpr_dispatch_id 0
		.amdhsa_user_sgpr_flat_scratch_init 0
		.amdhsa_user_sgpr_kernarg_preload_length 0
		.amdhsa_user_sgpr_kernarg_preload_offset 0
		.amdhsa_user_sgpr_private_segment_size 0
		.amdhsa_uses_dynamic_stack 0
		.amdhsa_system_sgpr_private_segment_wavefront_offset 0
		.amdhsa_system_sgpr_workgroup_id_x 1
		.amdhsa_system_sgpr_workgroup_id_y 0
		.amdhsa_system_sgpr_workgroup_id_z 0
		.amdhsa_system_sgpr_workgroup_info 0
		.amdhsa_system_vgpr_workitem_id 0
		.amdhsa_next_free_vgpr 1
		.amdhsa_next_free_sgpr 0
		.amdhsa_accum_offset 4
		.amdhsa_reserve_vcc 0
		.amdhsa_reserve_flat_scratch 0
		.amdhsa_float_round_mode_32 0
		.amdhsa_float_round_mode_16_64 0
		.amdhsa_float_denorm_mode_32 3
		.amdhsa_float_denorm_mode_16_64 3
		.amdhsa_dx10_clamp 1
		.amdhsa_ieee_mode 1
		.amdhsa_fp16_overflow 0
		.amdhsa_tg_split 0
		.amdhsa_exception_fp_ieee_invalid_op 0
		.amdhsa_exception_fp_denorm_src 0
		.amdhsa_exception_fp_ieee_div_zero 0
		.amdhsa_exception_fp_ieee_overflow 0
		.amdhsa_exception_fp_ieee_underflow 0
		.amdhsa_exception_fp_ieee_inexact 0
		.amdhsa_exception_int_div_zero 0
	.end_amdhsa_kernel
	.section	.text._ZN7rocprim17ROCPRIM_400000_NS6detail17trampoline_kernelINS0_14default_configENS1_38merge_sort_block_merge_config_selectorIN3c108BFloat16ElEEZZNS1_27merge_sort_block_merge_implIS3_PS6_N6thrust23THRUST_200600_302600_NS10device_ptrIlEEmNSB_4lessIS6_EEEE10hipError_tT0_T1_T2_jT3_P12ihipStream_tbPNSt15iterator_traitsISH_E10value_typeEPNSN_ISI_E10value_typeEPSJ_NS1_7vsmem_tEENKUlT_SH_SI_SJ_E_clIS9_S9_SD_PlEESG_SW_SH_SI_SJ_EUlSW_E1_NS1_11comp_targetILNS1_3genE2ELNS1_11target_archE906ELNS1_3gpuE6ELNS1_3repE0EEENS1_36merge_oddeven_config_static_selectorELNS0_4arch9wavefront6targetE1EEEvSI_,"axG",@progbits,_ZN7rocprim17ROCPRIM_400000_NS6detail17trampoline_kernelINS0_14default_configENS1_38merge_sort_block_merge_config_selectorIN3c108BFloat16ElEEZZNS1_27merge_sort_block_merge_implIS3_PS6_N6thrust23THRUST_200600_302600_NS10device_ptrIlEEmNSB_4lessIS6_EEEE10hipError_tT0_T1_T2_jT3_P12ihipStream_tbPNSt15iterator_traitsISH_E10value_typeEPNSN_ISI_E10value_typeEPSJ_NS1_7vsmem_tEENKUlT_SH_SI_SJ_E_clIS9_S9_SD_PlEESG_SW_SH_SI_SJ_EUlSW_E1_NS1_11comp_targetILNS1_3genE2ELNS1_11target_archE906ELNS1_3gpuE6ELNS1_3repE0EEENS1_36merge_oddeven_config_static_selectorELNS0_4arch9wavefront6targetE1EEEvSI_,comdat
.Lfunc_end2024:
	.size	_ZN7rocprim17ROCPRIM_400000_NS6detail17trampoline_kernelINS0_14default_configENS1_38merge_sort_block_merge_config_selectorIN3c108BFloat16ElEEZZNS1_27merge_sort_block_merge_implIS3_PS6_N6thrust23THRUST_200600_302600_NS10device_ptrIlEEmNSB_4lessIS6_EEEE10hipError_tT0_T1_T2_jT3_P12ihipStream_tbPNSt15iterator_traitsISH_E10value_typeEPNSN_ISI_E10value_typeEPSJ_NS1_7vsmem_tEENKUlT_SH_SI_SJ_E_clIS9_S9_SD_PlEESG_SW_SH_SI_SJ_EUlSW_E1_NS1_11comp_targetILNS1_3genE2ELNS1_11target_archE906ELNS1_3gpuE6ELNS1_3repE0EEENS1_36merge_oddeven_config_static_selectorELNS0_4arch9wavefront6targetE1EEEvSI_, .Lfunc_end2024-_ZN7rocprim17ROCPRIM_400000_NS6detail17trampoline_kernelINS0_14default_configENS1_38merge_sort_block_merge_config_selectorIN3c108BFloat16ElEEZZNS1_27merge_sort_block_merge_implIS3_PS6_N6thrust23THRUST_200600_302600_NS10device_ptrIlEEmNSB_4lessIS6_EEEE10hipError_tT0_T1_T2_jT3_P12ihipStream_tbPNSt15iterator_traitsISH_E10value_typeEPNSN_ISI_E10value_typeEPSJ_NS1_7vsmem_tEENKUlT_SH_SI_SJ_E_clIS9_S9_SD_PlEESG_SW_SH_SI_SJ_EUlSW_E1_NS1_11comp_targetILNS1_3genE2ELNS1_11target_archE906ELNS1_3gpuE6ELNS1_3repE0EEENS1_36merge_oddeven_config_static_selectorELNS0_4arch9wavefront6targetE1EEEvSI_
                                        ; -- End function
	.section	.AMDGPU.csdata,"",@progbits
; Kernel info:
; codeLenInByte = 0
; NumSgprs: 4
; NumVgprs: 0
; NumAgprs: 0
; TotalNumVgprs: 0
; ScratchSize: 0
; MemoryBound: 0
; FloatMode: 240
; IeeeMode: 1
; LDSByteSize: 0 bytes/workgroup (compile time only)
; SGPRBlocks: 0
; VGPRBlocks: 0
; NumSGPRsForWavesPerEU: 4
; NumVGPRsForWavesPerEU: 1
; AccumOffset: 4
; Occupancy: 8
; WaveLimiterHint : 0
; COMPUTE_PGM_RSRC2:SCRATCH_EN: 0
; COMPUTE_PGM_RSRC2:USER_SGPR: 6
; COMPUTE_PGM_RSRC2:TRAP_HANDLER: 0
; COMPUTE_PGM_RSRC2:TGID_X_EN: 1
; COMPUTE_PGM_RSRC2:TGID_Y_EN: 0
; COMPUTE_PGM_RSRC2:TGID_Z_EN: 0
; COMPUTE_PGM_RSRC2:TIDIG_COMP_CNT: 0
; COMPUTE_PGM_RSRC3_GFX90A:ACCUM_OFFSET: 0
; COMPUTE_PGM_RSRC3_GFX90A:TG_SPLIT: 0
	.section	.text._ZN7rocprim17ROCPRIM_400000_NS6detail17trampoline_kernelINS0_14default_configENS1_38merge_sort_block_merge_config_selectorIN3c108BFloat16ElEEZZNS1_27merge_sort_block_merge_implIS3_PS6_N6thrust23THRUST_200600_302600_NS10device_ptrIlEEmNSB_4lessIS6_EEEE10hipError_tT0_T1_T2_jT3_P12ihipStream_tbPNSt15iterator_traitsISH_E10value_typeEPNSN_ISI_E10value_typeEPSJ_NS1_7vsmem_tEENKUlT_SH_SI_SJ_E_clIS9_S9_SD_PlEESG_SW_SH_SI_SJ_EUlSW_E1_NS1_11comp_targetILNS1_3genE9ELNS1_11target_archE1100ELNS1_3gpuE3ELNS1_3repE0EEENS1_36merge_oddeven_config_static_selectorELNS0_4arch9wavefront6targetE1EEEvSI_,"axG",@progbits,_ZN7rocprim17ROCPRIM_400000_NS6detail17trampoline_kernelINS0_14default_configENS1_38merge_sort_block_merge_config_selectorIN3c108BFloat16ElEEZZNS1_27merge_sort_block_merge_implIS3_PS6_N6thrust23THRUST_200600_302600_NS10device_ptrIlEEmNSB_4lessIS6_EEEE10hipError_tT0_T1_T2_jT3_P12ihipStream_tbPNSt15iterator_traitsISH_E10value_typeEPNSN_ISI_E10value_typeEPSJ_NS1_7vsmem_tEENKUlT_SH_SI_SJ_E_clIS9_S9_SD_PlEESG_SW_SH_SI_SJ_EUlSW_E1_NS1_11comp_targetILNS1_3genE9ELNS1_11target_archE1100ELNS1_3gpuE3ELNS1_3repE0EEENS1_36merge_oddeven_config_static_selectorELNS0_4arch9wavefront6targetE1EEEvSI_,comdat
	.protected	_ZN7rocprim17ROCPRIM_400000_NS6detail17trampoline_kernelINS0_14default_configENS1_38merge_sort_block_merge_config_selectorIN3c108BFloat16ElEEZZNS1_27merge_sort_block_merge_implIS3_PS6_N6thrust23THRUST_200600_302600_NS10device_ptrIlEEmNSB_4lessIS6_EEEE10hipError_tT0_T1_T2_jT3_P12ihipStream_tbPNSt15iterator_traitsISH_E10value_typeEPNSN_ISI_E10value_typeEPSJ_NS1_7vsmem_tEENKUlT_SH_SI_SJ_E_clIS9_S9_SD_PlEESG_SW_SH_SI_SJ_EUlSW_E1_NS1_11comp_targetILNS1_3genE9ELNS1_11target_archE1100ELNS1_3gpuE3ELNS1_3repE0EEENS1_36merge_oddeven_config_static_selectorELNS0_4arch9wavefront6targetE1EEEvSI_ ; -- Begin function _ZN7rocprim17ROCPRIM_400000_NS6detail17trampoline_kernelINS0_14default_configENS1_38merge_sort_block_merge_config_selectorIN3c108BFloat16ElEEZZNS1_27merge_sort_block_merge_implIS3_PS6_N6thrust23THRUST_200600_302600_NS10device_ptrIlEEmNSB_4lessIS6_EEEE10hipError_tT0_T1_T2_jT3_P12ihipStream_tbPNSt15iterator_traitsISH_E10value_typeEPNSN_ISI_E10value_typeEPSJ_NS1_7vsmem_tEENKUlT_SH_SI_SJ_E_clIS9_S9_SD_PlEESG_SW_SH_SI_SJ_EUlSW_E1_NS1_11comp_targetILNS1_3genE9ELNS1_11target_archE1100ELNS1_3gpuE3ELNS1_3repE0EEENS1_36merge_oddeven_config_static_selectorELNS0_4arch9wavefront6targetE1EEEvSI_
	.globl	_ZN7rocprim17ROCPRIM_400000_NS6detail17trampoline_kernelINS0_14default_configENS1_38merge_sort_block_merge_config_selectorIN3c108BFloat16ElEEZZNS1_27merge_sort_block_merge_implIS3_PS6_N6thrust23THRUST_200600_302600_NS10device_ptrIlEEmNSB_4lessIS6_EEEE10hipError_tT0_T1_T2_jT3_P12ihipStream_tbPNSt15iterator_traitsISH_E10value_typeEPNSN_ISI_E10value_typeEPSJ_NS1_7vsmem_tEENKUlT_SH_SI_SJ_E_clIS9_S9_SD_PlEESG_SW_SH_SI_SJ_EUlSW_E1_NS1_11comp_targetILNS1_3genE9ELNS1_11target_archE1100ELNS1_3gpuE3ELNS1_3repE0EEENS1_36merge_oddeven_config_static_selectorELNS0_4arch9wavefront6targetE1EEEvSI_
	.p2align	8
	.type	_ZN7rocprim17ROCPRIM_400000_NS6detail17trampoline_kernelINS0_14default_configENS1_38merge_sort_block_merge_config_selectorIN3c108BFloat16ElEEZZNS1_27merge_sort_block_merge_implIS3_PS6_N6thrust23THRUST_200600_302600_NS10device_ptrIlEEmNSB_4lessIS6_EEEE10hipError_tT0_T1_T2_jT3_P12ihipStream_tbPNSt15iterator_traitsISH_E10value_typeEPNSN_ISI_E10value_typeEPSJ_NS1_7vsmem_tEENKUlT_SH_SI_SJ_E_clIS9_S9_SD_PlEESG_SW_SH_SI_SJ_EUlSW_E1_NS1_11comp_targetILNS1_3genE9ELNS1_11target_archE1100ELNS1_3gpuE3ELNS1_3repE0EEENS1_36merge_oddeven_config_static_selectorELNS0_4arch9wavefront6targetE1EEEvSI_,@function
_ZN7rocprim17ROCPRIM_400000_NS6detail17trampoline_kernelINS0_14default_configENS1_38merge_sort_block_merge_config_selectorIN3c108BFloat16ElEEZZNS1_27merge_sort_block_merge_implIS3_PS6_N6thrust23THRUST_200600_302600_NS10device_ptrIlEEmNSB_4lessIS6_EEEE10hipError_tT0_T1_T2_jT3_P12ihipStream_tbPNSt15iterator_traitsISH_E10value_typeEPNSN_ISI_E10value_typeEPSJ_NS1_7vsmem_tEENKUlT_SH_SI_SJ_E_clIS9_S9_SD_PlEESG_SW_SH_SI_SJ_EUlSW_E1_NS1_11comp_targetILNS1_3genE9ELNS1_11target_archE1100ELNS1_3gpuE3ELNS1_3repE0EEENS1_36merge_oddeven_config_static_selectorELNS0_4arch9wavefront6targetE1EEEvSI_: ; @_ZN7rocprim17ROCPRIM_400000_NS6detail17trampoline_kernelINS0_14default_configENS1_38merge_sort_block_merge_config_selectorIN3c108BFloat16ElEEZZNS1_27merge_sort_block_merge_implIS3_PS6_N6thrust23THRUST_200600_302600_NS10device_ptrIlEEmNSB_4lessIS6_EEEE10hipError_tT0_T1_T2_jT3_P12ihipStream_tbPNSt15iterator_traitsISH_E10value_typeEPNSN_ISI_E10value_typeEPSJ_NS1_7vsmem_tEENKUlT_SH_SI_SJ_E_clIS9_S9_SD_PlEESG_SW_SH_SI_SJ_EUlSW_E1_NS1_11comp_targetILNS1_3genE9ELNS1_11target_archE1100ELNS1_3gpuE3ELNS1_3repE0EEENS1_36merge_oddeven_config_static_selectorELNS0_4arch9wavefront6targetE1EEEvSI_
; %bb.0:
	.section	.rodata,"a",@progbits
	.p2align	6, 0x0
	.amdhsa_kernel _ZN7rocprim17ROCPRIM_400000_NS6detail17trampoline_kernelINS0_14default_configENS1_38merge_sort_block_merge_config_selectorIN3c108BFloat16ElEEZZNS1_27merge_sort_block_merge_implIS3_PS6_N6thrust23THRUST_200600_302600_NS10device_ptrIlEEmNSB_4lessIS6_EEEE10hipError_tT0_T1_T2_jT3_P12ihipStream_tbPNSt15iterator_traitsISH_E10value_typeEPNSN_ISI_E10value_typeEPSJ_NS1_7vsmem_tEENKUlT_SH_SI_SJ_E_clIS9_S9_SD_PlEESG_SW_SH_SI_SJ_EUlSW_E1_NS1_11comp_targetILNS1_3genE9ELNS1_11target_archE1100ELNS1_3gpuE3ELNS1_3repE0EEENS1_36merge_oddeven_config_static_selectorELNS0_4arch9wavefront6targetE1EEEvSI_
		.amdhsa_group_segment_fixed_size 0
		.amdhsa_private_segment_fixed_size 0
		.amdhsa_kernarg_size 56
		.amdhsa_user_sgpr_count 6
		.amdhsa_user_sgpr_private_segment_buffer 1
		.amdhsa_user_sgpr_dispatch_ptr 0
		.amdhsa_user_sgpr_queue_ptr 0
		.amdhsa_user_sgpr_kernarg_segment_ptr 1
		.amdhsa_user_sgpr_dispatch_id 0
		.amdhsa_user_sgpr_flat_scratch_init 0
		.amdhsa_user_sgpr_kernarg_preload_length 0
		.amdhsa_user_sgpr_kernarg_preload_offset 0
		.amdhsa_user_sgpr_private_segment_size 0
		.amdhsa_uses_dynamic_stack 0
		.amdhsa_system_sgpr_private_segment_wavefront_offset 0
		.amdhsa_system_sgpr_workgroup_id_x 1
		.amdhsa_system_sgpr_workgroup_id_y 0
		.amdhsa_system_sgpr_workgroup_id_z 0
		.amdhsa_system_sgpr_workgroup_info 0
		.amdhsa_system_vgpr_workitem_id 0
		.amdhsa_next_free_vgpr 1
		.amdhsa_next_free_sgpr 0
		.amdhsa_accum_offset 4
		.amdhsa_reserve_vcc 0
		.amdhsa_reserve_flat_scratch 0
		.amdhsa_float_round_mode_32 0
		.amdhsa_float_round_mode_16_64 0
		.amdhsa_float_denorm_mode_32 3
		.amdhsa_float_denorm_mode_16_64 3
		.amdhsa_dx10_clamp 1
		.amdhsa_ieee_mode 1
		.amdhsa_fp16_overflow 0
		.amdhsa_tg_split 0
		.amdhsa_exception_fp_ieee_invalid_op 0
		.amdhsa_exception_fp_denorm_src 0
		.amdhsa_exception_fp_ieee_div_zero 0
		.amdhsa_exception_fp_ieee_overflow 0
		.amdhsa_exception_fp_ieee_underflow 0
		.amdhsa_exception_fp_ieee_inexact 0
		.amdhsa_exception_int_div_zero 0
	.end_amdhsa_kernel
	.section	.text._ZN7rocprim17ROCPRIM_400000_NS6detail17trampoline_kernelINS0_14default_configENS1_38merge_sort_block_merge_config_selectorIN3c108BFloat16ElEEZZNS1_27merge_sort_block_merge_implIS3_PS6_N6thrust23THRUST_200600_302600_NS10device_ptrIlEEmNSB_4lessIS6_EEEE10hipError_tT0_T1_T2_jT3_P12ihipStream_tbPNSt15iterator_traitsISH_E10value_typeEPNSN_ISI_E10value_typeEPSJ_NS1_7vsmem_tEENKUlT_SH_SI_SJ_E_clIS9_S9_SD_PlEESG_SW_SH_SI_SJ_EUlSW_E1_NS1_11comp_targetILNS1_3genE9ELNS1_11target_archE1100ELNS1_3gpuE3ELNS1_3repE0EEENS1_36merge_oddeven_config_static_selectorELNS0_4arch9wavefront6targetE1EEEvSI_,"axG",@progbits,_ZN7rocprim17ROCPRIM_400000_NS6detail17trampoline_kernelINS0_14default_configENS1_38merge_sort_block_merge_config_selectorIN3c108BFloat16ElEEZZNS1_27merge_sort_block_merge_implIS3_PS6_N6thrust23THRUST_200600_302600_NS10device_ptrIlEEmNSB_4lessIS6_EEEE10hipError_tT0_T1_T2_jT3_P12ihipStream_tbPNSt15iterator_traitsISH_E10value_typeEPNSN_ISI_E10value_typeEPSJ_NS1_7vsmem_tEENKUlT_SH_SI_SJ_E_clIS9_S9_SD_PlEESG_SW_SH_SI_SJ_EUlSW_E1_NS1_11comp_targetILNS1_3genE9ELNS1_11target_archE1100ELNS1_3gpuE3ELNS1_3repE0EEENS1_36merge_oddeven_config_static_selectorELNS0_4arch9wavefront6targetE1EEEvSI_,comdat
.Lfunc_end2025:
	.size	_ZN7rocprim17ROCPRIM_400000_NS6detail17trampoline_kernelINS0_14default_configENS1_38merge_sort_block_merge_config_selectorIN3c108BFloat16ElEEZZNS1_27merge_sort_block_merge_implIS3_PS6_N6thrust23THRUST_200600_302600_NS10device_ptrIlEEmNSB_4lessIS6_EEEE10hipError_tT0_T1_T2_jT3_P12ihipStream_tbPNSt15iterator_traitsISH_E10value_typeEPNSN_ISI_E10value_typeEPSJ_NS1_7vsmem_tEENKUlT_SH_SI_SJ_E_clIS9_S9_SD_PlEESG_SW_SH_SI_SJ_EUlSW_E1_NS1_11comp_targetILNS1_3genE9ELNS1_11target_archE1100ELNS1_3gpuE3ELNS1_3repE0EEENS1_36merge_oddeven_config_static_selectorELNS0_4arch9wavefront6targetE1EEEvSI_, .Lfunc_end2025-_ZN7rocprim17ROCPRIM_400000_NS6detail17trampoline_kernelINS0_14default_configENS1_38merge_sort_block_merge_config_selectorIN3c108BFloat16ElEEZZNS1_27merge_sort_block_merge_implIS3_PS6_N6thrust23THRUST_200600_302600_NS10device_ptrIlEEmNSB_4lessIS6_EEEE10hipError_tT0_T1_T2_jT3_P12ihipStream_tbPNSt15iterator_traitsISH_E10value_typeEPNSN_ISI_E10value_typeEPSJ_NS1_7vsmem_tEENKUlT_SH_SI_SJ_E_clIS9_S9_SD_PlEESG_SW_SH_SI_SJ_EUlSW_E1_NS1_11comp_targetILNS1_3genE9ELNS1_11target_archE1100ELNS1_3gpuE3ELNS1_3repE0EEENS1_36merge_oddeven_config_static_selectorELNS0_4arch9wavefront6targetE1EEEvSI_
                                        ; -- End function
	.section	.AMDGPU.csdata,"",@progbits
; Kernel info:
; codeLenInByte = 0
; NumSgprs: 4
; NumVgprs: 0
; NumAgprs: 0
; TotalNumVgprs: 0
; ScratchSize: 0
; MemoryBound: 0
; FloatMode: 240
; IeeeMode: 1
; LDSByteSize: 0 bytes/workgroup (compile time only)
; SGPRBlocks: 0
; VGPRBlocks: 0
; NumSGPRsForWavesPerEU: 4
; NumVGPRsForWavesPerEU: 1
; AccumOffset: 4
; Occupancy: 8
; WaveLimiterHint : 0
; COMPUTE_PGM_RSRC2:SCRATCH_EN: 0
; COMPUTE_PGM_RSRC2:USER_SGPR: 6
; COMPUTE_PGM_RSRC2:TRAP_HANDLER: 0
; COMPUTE_PGM_RSRC2:TGID_X_EN: 1
; COMPUTE_PGM_RSRC2:TGID_Y_EN: 0
; COMPUTE_PGM_RSRC2:TGID_Z_EN: 0
; COMPUTE_PGM_RSRC2:TIDIG_COMP_CNT: 0
; COMPUTE_PGM_RSRC3_GFX90A:ACCUM_OFFSET: 0
; COMPUTE_PGM_RSRC3_GFX90A:TG_SPLIT: 0
	.section	.text._ZN7rocprim17ROCPRIM_400000_NS6detail17trampoline_kernelINS0_14default_configENS1_38merge_sort_block_merge_config_selectorIN3c108BFloat16ElEEZZNS1_27merge_sort_block_merge_implIS3_PS6_N6thrust23THRUST_200600_302600_NS10device_ptrIlEEmNSB_4lessIS6_EEEE10hipError_tT0_T1_T2_jT3_P12ihipStream_tbPNSt15iterator_traitsISH_E10value_typeEPNSN_ISI_E10value_typeEPSJ_NS1_7vsmem_tEENKUlT_SH_SI_SJ_E_clIS9_S9_SD_PlEESG_SW_SH_SI_SJ_EUlSW_E1_NS1_11comp_targetILNS1_3genE8ELNS1_11target_archE1030ELNS1_3gpuE2ELNS1_3repE0EEENS1_36merge_oddeven_config_static_selectorELNS0_4arch9wavefront6targetE1EEEvSI_,"axG",@progbits,_ZN7rocprim17ROCPRIM_400000_NS6detail17trampoline_kernelINS0_14default_configENS1_38merge_sort_block_merge_config_selectorIN3c108BFloat16ElEEZZNS1_27merge_sort_block_merge_implIS3_PS6_N6thrust23THRUST_200600_302600_NS10device_ptrIlEEmNSB_4lessIS6_EEEE10hipError_tT0_T1_T2_jT3_P12ihipStream_tbPNSt15iterator_traitsISH_E10value_typeEPNSN_ISI_E10value_typeEPSJ_NS1_7vsmem_tEENKUlT_SH_SI_SJ_E_clIS9_S9_SD_PlEESG_SW_SH_SI_SJ_EUlSW_E1_NS1_11comp_targetILNS1_3genE8ELNS1_11target_archE1030ELNS1_3gpuE2ELNS1_3repE0EEENS1_36merge_oddeven_config_static_selectorELNS0_4arch9wavefront6targetE1EEEvSI_,comdat
	.protected	_ZN7rocprim17ROCPRIM_400000_NS6detail17trampoline_kernelINS0_14default_configENS1_38merge_sort_block_merge_config_selectorIN3c108BFloat16ElEEZZNS1_27merge_sort_block_merge_implIS3_PS6_N6thrust23THRUST_200600_302600_NS10device_ptrIlEEmNSB_4lessIS6_EEEE10hipError_tT0_T1_T2_jT3_P12ihipStream_tbPNSt15iterator_traitsISH_E10value_typeEPNSN_ISI_E10value_typeEPSJ_NS1_7vsmem_tEENKUlT_SH_SI_SJ_E_clIS9_S9_SD_PlEESG_SW_SH_SI_SJ_EUlSW_E1_NS1_11comp_targetILNS1_3genE8ELNS1_11target_archE1030ELNS1_3gpuE2ELNS1_3repE0EEENS1_36merge_oddeven_config_static_selectorELNS0_4arch9wavefront6targetE1EEEvSI_ ; -- Begin function _ZN7rocprim17ROCPRIM_400000_NS6detail17trampoline_kernelINS0_14default_configENS1_38merge_sort_block_merge_config_selectorIN3c108BFloat16ElEEZZNS1_27merge_sort_block_merge_implIS3_PS6_N6thrust23THRUST_200600_302600_NS10device_ptrIlEEmNSB_4lessIS6_EEEE10hipError_tT0_T1_T2_jT3_P12ihipStream_tbPNSt15iterator_traitsISH_E10value_typeEPNSN_ISI_E10value_typeEPSJ_NS1_7vsmem_tEENKUlT_SH_SI_SJ_E_clIS9_S9_SD_PlEESG_SW_SH_SI_SJ_EUlSW_E1_NS1_11comp_targetILNS1_3genE8ELNS1_11target_archE1030ELNS1_3gpuE2ELNS1_3repE0EEENS1_36merge_oddeven_config_static_selectorELNS0_4arch9wavefront6targetE1EEEvSI_
	.globl	_ZN7rocprim17ROCPRIM_400000_NS6detail17trampoline_kernelINS0_14default_configENS1_38merge_sort_block_merge_config_selectorIN3c108BFloat16ElEEZZNS1_27merge_sort_block_merge_implIS3_PS6_N6thrust23THRUST_200600_302600_NS10device_ptrIlEEmNSB_4lessIS6_EEEE10hipError_tT0_T1_T2_jT3_P12ihipStream_tbPNSt15iterator_traitsISH_E10value_typeEPNSN_ISI_E10value_typeEPSJ_NS1_7vsmem_tEENKUlT_SH_SI_SJ_E_clIS9_S9_SD_PlEESG_SW_SH_SI_SJ_EUlSW_E1_NS1_11comp_targetILNS1_3genE8ELNS1_11target_archE1030ELNS1_3gpuE2ELNS1_3repE0EEENS1_36merge_oddeven_config_static_selectorELNS0_4arch9wavefront6targetE1EEEvSI_
	.p2align	8
	.type	_ZN7rocprim17ROCPRIM_400000_NS6detail17trampoline_kernelINS0_14default_configENS1_38merge_sort_block_merge_config_selectorIN3c108BFloat16ElEEZZNS1_27merge_sort_block_merge_implIS3_PS6_N6thrust23THRUST_200600_302600_NS10device_ptrIlEEmNSB_4lessIS6_EEEE10hipError_tT0_T1_T2_jT3_P12ihipStream_tbPNSt15iterator_traitsISH_E10value_typeEPNSN_ISI_E10value_typeEPSJ_NS1_7vsmem_tEENKUlT_SH_SI_SJ_E_clIS9_S9_SD_PlEESG_SW_SH_SI_SJ_EUlSW_E1_NS1_11comp_targetILNS1_3genE8ELNS1_11target_archE1030ELNS1_3gpuE2ELNS1_3repE0EEENS1_36merge_oddeven_config_static_selectorELNS0_4arch9wavefront6targetE1EEEvSI_,@function
_ZN7rocprim17ROCPRIM_400000_NS6detail17trampoline_kernelINS0_14default_configENS1_38merge_sort_block_merge_config_selectorIN3c108BFloat16ElEEZZNS1_27merge_sort_block_merge_implIS3_PS6_N6thrust23THRUST_200600_302600_NS10device_ptrIlEEmNSB_4lessIS6_EEEE10hipError_tT0_T1_T2_jT3_P12ihipStream_tbPNSt15iterator_traitsISH_E10value_typeEPNSN_ISI_E10value_typeEPSJ_NS1_7vsmem_tEENKUlT_SH_SI_SJ_E_clIS9_S9_SD_PlEESG_SW_SH_SI_SJ_EUlSW_E1_NS1_11comp_targetILNS1_3genE8ELNS1_11target_archE1030ELNS1_3gpuE2ELNS1_3repE0EEENS1_36merge_oddeven_config_static_selectorELNS0_4arch9wavefront6targetE1EEEvSI_: ; @_ZN7rocprim17ROCPRIM_400000_NS6detail17trampoline_kernelINS0_14default_configENS1_38merge_sort_block_merge_config_selectorIN3c108BFloat16ElEEZZNS1_27merge_sort_block_merge_implIS3_PS6_N6thrust23THRUST_200600_302600_NS10device_ptrIlEEmNSB_4lessIS6_EEEE10hipError_tT0_T1_T2_jT3_P12ihipStream_tbPNSt15iterator_traitsISH_E10value_typeEPNSN_ISI_E10value_typeEPSJ_NS1_7vsmem_tEENKUlT_SH_SI_SJ_E_clIS9_S9_SD_PlEESG_SW_SH_SI_SJ_EUlSW_E1_NS1_11comp_targetILNS1_3genE8ELNS1_11target_archE1030ELNS1_3gpuE2ELNS1_3repE0EEENS1_36merge_oddeven_config_static_selectorELNS0_4arch9wavefront6targetE1EEEvSI_
; %bb.0:
	.section	.rodata,"a",@progbits
	.p2align	6, 0x0
	.amdhsa_kernel _ZN7rocprim17ROCPRIM_400000_NS6detail17trampoline_kernelINS0_14default_configENS1_38merge_sort_block_merge_config_selectorIN3c108BFloat16ElEEZZNS1_27merge_sort_block_merge_implIS3_PS6_N6thrust23THRUST_200600_302600_NS10device_ptrIlEEmNSB_4lessIS6_EEEE10hipError_tT0_T1_T2_jT3_P12ihipStream_tbPNSt15iterator_traitsISH_E10value_typeEPNSN_ISI_E10value_typeEPSJ_NS1_7vsmem_tEENKUlT_SH_SI_SJ_E_clIS9_S9_SD_PlEESG_SW_SH_SI_SJ_EUlSW_E1_NS1_11comp_targetILNS1_3genE8ELNS1_11target_archE1030ELNS1_3gpuE2ELNS1_3repE0EEENS1_36merge_oddeven_config_static_selectorELNS0_4arch9wavefront6targetE1EEEvSI_
		.amdhsa_group_segment_fixed_size 0
		.amdhsa_private_segment_fixed_size 0
		.amdhsa_kernarg_size 56
		.amdhsa_user_sgpr_count 6
		.amdhsa_user_sgpr_private_segment_buffer 1
		.amdhsa_user_sgpr_dispatch_ptr 0
		.amdhsa_user_sgpr_queue_ptr 0
		.amdhsa_user_sgpr_kernarg_segment_ptr 1
		.amdhsa_user_sgpr_dispatch_id 0
		.amdhsa_user_sgpr_flat_scratch_init 0
		.amdhsa_user_sgpr_kernarg_preload_length 0
		.amdhsa_user_sgpr_kernarg_preload_offset 0
		.amdhsa_user_sgpr_private_segment_size 0
		.amdhsa_uses_dynamic_stack 0
		.amdhsa_system_sgpr_private_segment_wavefront_offset 0
		.amdhsa_system_sgpr_workgroup_id_x 1
		.amdhsa_system_sgpr_workgroup_id_y 0
		.amdhsa_system_sgpr_workgroup_id_z 0
		.amdhsa_system_sgpr_workgroup_info 0
		.amdhsa_system_vgpr_workitem_id 0
		.amdhsa_next_free_vgpr 1
		.amdhsa_next_free_sgpr 0
		.amdhsa_accum_offset 4
		.amdhsa_reserve_vcc 0
		.amdhsa_reserve_flat_scratch 0
		.amdhsa_float_round_mode_32 0
		.amdhsa_float_round_mode_16_64 0
		.amdhsa_float_denorm_mode_32 3
		.amdhsa_float_denorm_mode_16_64 3
		.amdhsa_dx10_clamp 1
		.amdhsa_ieee_mode 1
		.amdhsa_fp16_overflow 0
		.amdhsa_tg_split 0
		.amdhsa_exception_fp_ieee_invalid_op 0
		.amdhsa_exception_fp_denorm_src 0
		.amdhsa_exception_fp_ieee_div_zero 0
		.amdhsa_exception_fp_ieee_overflow 0
		.amdhsa_exception_fp_ieee_underflow 0
		.amdhsa_exception_fp_ieee_inexact 0
		.amdhsa_exception_int_div_zero 0
	.end_amdhsa_kernel
	.section	.text._ZN7rocprim17ROCPRIM_400000_NS6detail17trampoline_kernelINS0_14default_configENS1_38merge_sort_block_merge_config_selectorIN3c108BFloat16ElEEZZNS1_27merge_sort_block_merge_implIS3_PS6_N6thrust23THRUST_200600_302600_NS10device_ptrIlEEmNSB_4lessIS6_EEEE10hipError_tT0_T1_T2_jT3_P12ihipStream_tbPNSt15iterator_traitsISH_E10value_typeEPNSN_ISI_E10value_typeEPSJ_NS1_7vsmem_tEENKUlT_SH_SI_SJ_E_clIS9_S9_SD_PlEESG_SW_SH_SI_SJ_EUlSW_E1_NS1_11comp_targetILNS1_3genE8ELNS1_11target_archE1030ELNS1_3gpuE2ELNS1_3repE0EEENS1_36merge_oddeven_config_static_selectorELNS0_4arch9wavefront6targetE1EEEvSI_,"axG",@progbits,_ZN7rocprim17ROCPRIM_400000_NS6detail17trampoline_kernelINS0_14default_configENS1_38merge_sort_block_merge_config_selectorIN3c108BFloat16ElEEZZNS1_27merge_sort_block_merge_implIS3_PS6_N6thrust23THRUST_200600_302600_NS10device_ptrIlEEmNSB_4lessIS6_EEEE10hipError_tT0_T1_T2_jT3_P12ihipStream_tbPNSt15iterator_traitsISH_E10value_typeEPNSN_ISI_E10value_typeEPSJ_NS1_7vsmem_tEENKUlT_SH_SI_SJ_E_clIS9_S9_SD_PlEESG_SW_SH_SI_SJ_EUlSW_E1_NS1_11comp_targetILNS1_3genE8ELNS1_11target_archE1030ELNS1_3gpuE2ELNS1_3repE0EEENS1_36merge_oddeven_config_static_selectorELNS0_4arch9wavefront6targetE1EEEvSI_,comdat
.Lfunc_end2026:
	.size	_ZN7rocprim17ROCPRIM_400000_NS6detail17trampoline_kernelINS0_14default_configENS1_38merge_sort_block_merge_config_selectorIN3c108BFloat16ElEEZZNS1_27merge_sort_block_merge_implIS3_PS6_N6thrust23THRUST_200600_302600_NS10device_ptrIlEEmNSB_4lessIS6_EEEE10hipError_tT0_T1_T2_jT3_P12ihipStream_tbPNSt15iterator_traitsISH_E10value_typeEPNSN_ISI_E10value_typeEPSJ_NS1_7vsmem_tEENKUlT_SH_SI_SJ_E_clIS9_S9_SD_PlEESG_SW_SH_SI_SJ_EUlSW_E1_NS1_11comp_targetILNS1_3genE8ELNS1_11target_archE1030ELNS1_3gpuE2ELNS1_3repE0EEENS1_36merge_oddeven_config_static_selectorELNS0_4arch9wavefront6targetE1EEEvSI_, .Lfunc_end2026-_ZN7rocprim17ROCPRIM_400000_NS6detail17trampoline_kernelINS0_14default_configENS1_38merge_sort_block_merge_config_selectorIN3c108BFloat16ElEEZZNS1_27merge_sort_block_merge_implIS3_PS6_N6thrust23THRUST_200600_302600_NS10device_ptrIlEEmNSB_4lessIS6_EEEE10hipError_tT0_T1_T2_jT3_P12ihipStream_tbPNSt15iterator_traitsISH_E10value_typeEPNSN_ISI_E10value_typeEPSJ_NS1_7vsmem_tEENKUlT_SH_SI_SJ_E_clIS9_S9_SD_PlEESG_SW_SH_SI_SJ_EUlSW_E1_NS1_11comp_targetILNS1_3genE8ELNS1_11target_archE1030ELNS1_3gpuE2ELNS1_3repE0EEENS1_36merge_oddeven_config_static_selectorELNS0_4arch9wavefront6targetE1EEEvSI_
                                        ; -- End function
	.section	.AMDGPU.csdata,"",@progbits
; Kernel info:
; codeLenInByte = 0
; NumSgprs: 4
; NumVgprs: 0
; NumAgprs: 0
; TotalNumVgprs: 0
; ScratchSize: 0
; MemoryBound: 0
; FloatMode: 240
; IeeeMode: 1
; LDSByteSize: 0 bytes/workgroup (compile time only)
; SGPRBlocks: 0
; VGPRBlocks: 0
; NumSGPRsForWavesPerEU: 4
; NumVGPRsForWavesPerEU: 1
; AccumOffset: 4
; Occupancy: 8
; WaveLimiterHint : 0
; COMPUTE_PGM_RSRC2:SCRATCH_EN: 0
; COMPUTE_PGM_RSRC2:USER_SGPR: 6
; COMPUTE_PGM_RSRC2:TRAP_HANDLER: 0
; COMPUTE_PGM_RSRC2:TGID_X_EN: 1
; COMPUTE_PGM_RSRC2:TGID_Y_EN: 0
; COMPUTE_PGM_RSRC2:TGID_Z_EN: 0
; COMPUTE_PGM_RSRC2:TIDIG_COMP_CNT: 0
; COMPUTE_PGM_RSRC3_GFX90A:ACCUM_OFFSET: 0
; COMPUTE_PGM_RSRC3_GFX90A:TG_SPLIT: 0
	.section	.text._ZN7rocprim17ROCPRIM_400000_NS6detail17trampoline_kernelINS0_14default_configENS1_25transform_config_selectorIN3c108BFloat16ELb1EEEZNS1_14transform_implILb1ES3_S7_PS6_S9_NS0_8identityIS6_EEEE10hipError_tT2_T3_mT4_P12ihipStream_tbEUlT_E_NS1_11comp_targetILNS1_3genE0ELNS1_11target_archE4294967295ELNS1_3gpuE0ELNS1_3repE0EEENS1_30default_config_static_selectorELNS0_4arch9wavefront6targetE1EEEvT1_,"axG",@progbits,_ZN7rocprim17ROCPRIM_400000_NS6detail17trampoline_kernelINS0_14default_configENS1_25transform_config_selectorIN3c108BFloat16ELb1EEEZNS1_14transform_implILb1ES3_S7_PS6_S9_NS0_8identityIS6_EEEE10hipError_tT2_T3_mT4_P12ihipStream_tbEUlT_E_NS1_11comp_targetILNS1_3genE0ELNS1_11target_archE4294967295ELNS1_3gpuE0ELNS1_3repE0EEENS1_30default_config_static_selectorELNS0_4arch9wavefront6targetE1EEEvT1_,comdat
	.protected	_ZN7rocprim17ROCPRIM_400000_NS6detail17trampoline_kernelINS0_14default_configENS1_25transform_config_selectorIN3c108BFloat16ELb1EEEZNS1_14transform_implILb1ES3_S7_PS6_S9_NS0_8identityIS6_EEEE10hipError_tT2_T3_mT4_P12ihipStream_tbEUlT_E_NS1_11comp_targetILNS1_3genE0ELNS1_11target_archE4294967295ELNS1_3gpuE0ELNS1_3repE0EEENS1_30default_config_static_selectorELNS0_4arch9wavefront6targetE1EEEvT1_ ; -- Begin function _ZN7rocprim17ROCPRIM_400000_NS6detail17trampoline_kernelINS0_14default_configENS1_25transform_config_selectorIN3c108BFloat16ELb1EEEZNS1_14transform_implILb1ES3_S7_PS6_S9_NS0_8identityIS6_EEEE10hipError_tT2_T3_mT4_P12ihipStream_tbEUlT_E_NS1_11comp_targetILNS1_3genE0ELNS1_11target_archE4294967295ELNS1_3gpuE0ELNS1_3repE0EEENS1_30default_config_static_selectorELNS0_4arch9wavefront6targetE1EEEvT1_
	.globl	_ZN7rocprim17ROCPRIM_400000_NS6detail17trampoline_kernelINS0_14default_configENS1_25transform_config_selectorIN3c108BFloat16ELb1EEEZNS1_14transform_implILb1ES3_S7_PS6_S9_NS0_8identityIS6_EEEE10hipError_tT2_T3_mT4_P12ihipStream_tbEUlT_E_NS1_11comp_targetILNS1_3genE0ELNS1_11target_archE4294967295ELNS1_3gpuE0ELNS1_3repE0EEENS1_30default_config_static_selectorELNS0_4arch9wavefront6targetE1EEEvT1_
	.p2align	8
	.type	_ZN7rocprim17ROCPRIM_400000_NS6detail17trampoline_kernelINS0_14default_configENS1_25transform_config_selectorIN3c108BFloat16ELb1EEEZNS1_14transform_implILb1ES3_S7_PS6_S9_NS0_8identityIS6_EEEE10hipError_tT2_T3_mT4_P12ihipStream_tbEUlT_E_NS1_11comp_targetILNS1_3genE0ELNS1_11target_archE4294967295ELNS1_3gpuE0ELNS1_3repE0EEENS1_30default_config_static_selectorELNS0_4arch9wavefront6targetE1EEEvT1_,@function
_ZN7rocprim17ROCPRIM_400000_NS6detail17trampoline_kernelINS0_14default_configENS1_25transform_config_selectorIN3c108BFloat16ELb1EEEZNS1_14transform_implILb1ES3_S7_PS6_S9_NS0_8identityIS6_EEEE10hipError_tT2_T3_mT4_P12ihipStream_tbEUlT_E_NS1_11comp_targetILNS1_3genE0ELNS1_11target_archE4294967295ELNS1_3gpuE0ELNS1_3repE0EEENS1_30default_config_static_selectorELNS0_4arch9wavefront6targetE1EEEvT1_: ; @_ZN7rocprim17ROCPRIM_400000_NS6detail17trampoline_kernelINS0_14default_configENS1_25transform_config_selectorIN3c108BFloat16ELb1EEEZNS1_14transform_implILb1ES3_S7_PS6_S9_NS0_8identityIS6_EEEE10hipError_tT2_T3_mT4_P12ihipStream_tbEUlT_E_NS1_11comp_targetILNS1_3genE0ELNS1_11target_archE4294967295ELNS1_3gpuE0ELNS1_3repE0EEENS1_30default_config_static_selectorELNS0_4arch9wavefront6targetE1EEEvT1_
; %bb.0:
	.section	.rodata,"a",@progbits
	.p2align	6, 0x0
	.amdhsa_kernel _ZN7rocprim17ROCPRIM_400000_NS6detail17trampoline_kernelINS0_14default_configENS1_25transform_config_selectorIN3c108BFloat16ELb1EEEZNS1_14transform_implILb1ES3_S7_PS6_S9_NS0_8identityIS6_EEEE10hipError_tT2_T3_mT4_P12ihipStream_tbEUlT_E_NS1_11comp_targetILNS1_3genE0ELNS1_11target_archE4294967295ELNS1_3gpuE0ELNS1_3repE0EEENS1_30default_config_static_selectorELNS0_4arch9wavefront6targetE1EEEvT1_
		.amdhsa_group_segment_fixed_size 0
		.amdhsa_private_segment_fixed_size 0
		.amdhsa_kernarg_size 40
		.amdhsa_user_sgpr_count 6
		.amdhsa_user_sgpr_private_segment_buffer 1
		.amdhsa_user_sgpr_dispatch_ptr 0
		.amdhsa_user_sgpr_queue_ptr 0
		.amdhsa_user_sgpr_kernarg_segment_ptr 1
		.amdhsa_user_sgpr_dispatch_id 0
		.amdhsa_user_sgpr_flat_scratch_init 0
		.amdhsa_user_sgpr_kernarg_preload_length 0
		.amdhsa_user_sgpr_kernarg_preload_offset 0
		.amdhsa_user_sgpr_private_segment_size 0
		.amdhsa_uses_dynamic_stack 0
		.amdhsa_system_sgpr_private_segment_wavefront_offset 0
		.amdhsa_system_sgpr_workgroup_id_x 1
		.amdhsa_system_sgpr_workgroup_id_y 0
		.amdhsa_system_sgpr_workgroup_id_z 0
		.amdhsa_system_sgpr_workgroup_info 0
		.amdhsa_system_vgpr_workitem_id 0
		.amdhsa_next_free_vgpr 1
		.amdhsa_next_free_sgpr 0
		.amdhsa_accum_offset 4
		.amdhsa_reserve_vcc 0
		.amdhsa_reserve_flat_scratch 0
		.amdhsa_float_round_mode_32 0
		.amdhsa_float_round_mode_16_64 0
		.amdhsa_float_denorm_mode_32 3
		.amdhsa_float_denorm_mode_16_64 3
		.amdhsa_dx10_clamp 1
		.amdhsa_ieee_mode 1
		.amdhsa_fp16_overflow 0
		.amdhsa_tg_split 0
		.amdhsa_exception_fp_ieee_invalid_op 0
		.amdhsa_exception_fp_denorm_src 0
		.amdhsa_exception_fp_ieee_div_zero 0
		.amdhsa_exception_fp_ieee_overflow 0
		.amdhsa_exception_fp_ieee_underflow 0
		.amdhsa_exception_fp_ieee_inexact 0
		.amdhsa_exception_int_div_zero 0
	.end_amdhsa_kernel
	.section	.text._ZN7rocprim17ROCPRIM_400000_NS6detail17trampoline_kernelINS0_14default_configENS1_25transform_config_selectorIN3c108BFloat16ELb1EEEZNS1_14transform_implILb1ES3_S7_PS6_S9_NS0_8identityIS6_EEEE10hipError_tT2_T3_mT4_P12ihipStream_tbEUlT_E_NS1_11comp_targetILNS1_3genE0ELNS1_11target_archE4294967295ELNS1_3gpuE0ELNS1_3repE0EEENS1_30default_config_static_selectorELNS0_4arch9wavefront6targetE1EEEvT1_,"axG",@progbits,_ZN7rocprim17ROCPRIM_400000_NS6detail17trampoline_kernelINS0_14default_configENS1_25transform_config_selectorIN3c108BFloat16ELb1EEEZNS1_14transform_implILb1ES3_S7_PS6_S9_NS0_8identityIS6_EEEE10hipError_tT2_T3_mT4_P12ihipStream_tbEUlT_E_NS1_11comp_targetILNS1_3genE0ELNS1_11target_archE4294967295ELNS1_3gpuE0ELNS1_3repE0EEENS1_30default_config_static_selectorELNS0_4arch9wavefront6targetE1EEEvT1_,comdat
.Lfunc_end2027:
	.size	_ZN7rocprim17ROCPRIM_400000_NS6detail17trampoline_kernelINS0_14default_configENS1_25transform_config_selectorIN3c108BFloat16ELb1EEEZNS1_14transform_implILb1ES3_S7_PS6_S9_NS0_8identityIS6_EEEE10hipError_tT2_T3_mT4_P12ihipStream_tbEUlT_E_NS1_11comp_targetILNS1_3genE0ELNS1_11target_archE4294967295ELNS1_3gpuE0ELNS1_3repE0EEENS1_30default_config_static_selectorELNS0_4arch9wavefront6targetE1EEEvT1_, .Lfunc_end2027-_ZN7rocprim17ROCPRIM_400000_NS6detail17trampoline_kernelINS0_14default_configENS1_25transform_config_selectorIN3c108BFloat16ELb1EEEZNS1_14transform_implILb1ES3_S7_PS6_S9_NS0_8identityIS6_EEEE10hipError_tT2_T3_mT4_P12ihipStream_tbEUlT_E_NS1_11comp_targetILNS1_3genE0ELNS1_11target_archE4294967295ELNS1_3gpuE0ELNS1_3repE0EEENS1_30default_config_static_selectorELNS0_4arch9wavefront6targetE1EEEvT1_
                                        ; -- End function
	.section	.AMDGPU.csdata,"",@progbits
; Kernel info:
; codeLenInByte = 0
; NumSgprs: 4
; NumVgprs: 0
; NumAgprs: 0
; TotalNumVgprs: 0
; ScratchSize: 0
; MemoryBound: 0
; FloatMode: 240
; IeeeMode: 1
; LDSByteSize: 0 bytes/workgroup (compile time only)
; SGPRBlocks: 0
; VGPRBlocks: 0
; NumSGPRsForWavesPerEU: 4
; NumVGPRsForWavesPerEU: 1
; AccumOffset: 4
; Occupancy: 8
; WaveLimiterHint : 0
; COMPUTE_PGM_RSRC2:SCRATCH_EN: 0
; COMPUTE_PGM_RSRC2:USER_SGPR: 6
; COMPUTE_PGM_RSRC2:TRAP_HANDLER: 0
; COMPUTE_PGM_RSRC2:TGID_X_EN: 1
; COMPUTE_PGM_RSRC2:TGID_Y_EN: 0
; COMPUTE_PGM_RSRC2:TGID_Z_EN: 0
; COMPUTE_PGM_RSRC2:TIDIG_COMP_CNT: 0
; COMPUTE_PGM_RSRC3_GFX90A:ACCUM_OFFSET: 0
; COMPUTE_PGM_RSRC3_GFX90A:TG_SPLIT: 0
	.section	.text._ZN7rocprim17ROCPRIM_400000_NS6detail17trampoline_kernelINS0_14default_configENS1_25transform_config_selectorIN3c108BFloat16ELb1EEEZNS1_14transform_implILb1ES3_S7_PS6_S9_NS0_8identityIS6_EEEE10hipError_tT2_T3_mT4_P12ihipStream_tbEUlT_E_NS1_11comp_targetILNS1_3genE10ELNS1_11target_archE1201ELNS1_3gpuE5ELNS1_3repE0EEENS1_30default_config_static_selectorELNS0_4arch9wavefront6targetE1EEEvT1_,"axG",@progbits,_ZN7rocprim17ROCPRIM_400000_NS6detail17trampoline_kernelINS0_14default_configENS1_25transform_config_selectorIN3c108BFloat16ELb1EEEZNS1_14transform_implILb1ES3_S7_PS6_S9_NS0_8identityIS6_EEEE10hipError_tT2_T3_mT4_P12ihipStream_tbEUlT_E_NS1_11comp_targetILNS1_3genE10ELNS1_11target_archE1201ELNS1_3gpuE5ELNS1_3repE0EEENS1_30default_config_static_selectorELNS0_4arch9wavefront6targetE1EEEvT1_,comdat
	.protected	_ZN7rocprim17ROCPRIM_400000_NS6detail17trampoline_kernelINS0_14default_configENS1_25transform_config_selectorIN3c108BFloat16ELb1EEEZNS1_14transform_implILb1ES3_S7_PS6_S9_NS0_8identityIS6_EEEE10hipError_tT2_T3_mT4_P12ihipStream_tbEUlT_E_NS1_11comp_targetILNS1_3genE10ELNS1_11target_archE1201ELNS1_3gpuE5ELNS1_3repE0EEENS1_30default_config_static_selectorELNS0_4arch9wavefront6targetE1EEEvT1_ ; -- Begin function _ZN7rocprim17ROCPRIM_400000_NS6detail17trampoline_kernelINS0_14default_configENS1_25transform_config_selectorIN3c108BFloat16ELb1EEEZNS1_14transform_implILb1ES3_S7_PS6_S9_NS0_8identityIS6_EEEE10hipError_tT2_T3_mT4_P12ihipStream_tbEUlT_E_NS1_11comp_targetILNS1_3genE10ELNS1_11target_archE1201ELNS1_3gpuE5ELNS1_3repE0EEENS1_30default_config_static_selectorELNS0_4arch9wavefront6targetE1EEEvT1_
	.globl	_ZN7rocprim17ROCPRIM_400000_NS6detail17trampoline_kernelINS0_14default_configENS1_25transform_config_selectorIN3c108BFloat16ELb1EEEZNS1_14transform_implILb1ES3_S7_PS6_S9_NS0_8identityIS6_EEEE10hipError_tT2_T3_mT4_P12ihipStream_tbEUlT_E_NS1_11comp_targetILNS1_3genE10ELNS1_11target_archE1201ELNS1_3gpuE5ELNS1_3repE0EEENS1_30default_config_static_selectorELNS0_4arch9wavefront6targetE1EEEvT1_
	.p2align	8
	.type	_ZN7rocprim17ROCPRIM_400000_NS6detail17trampoline_kernelINS0_14default_configENS1_25transform_config_selectorIN3c108BFloat16ELb1EEEZNS1_14transform_implILb1ES3_S7_PS6_S9_NS0_8identityIS6_EEEE10hipError_tT2_T3_mT4_P12ihipStream_tbEUlT_E_NS1_11comp_targetILNS1_3genE10ELNS1_11target_archE1201ELNS1_3gpuE5ELNS1_3repE0EEENS1_30default_config_static_selectorELNS0_4arch9wavefront6targetE1EEEvT1_,@function
_ZN7rocprim17ROCPRIM_400000_NS6detail17trampoline_kernelINS0_14default_configENS1_25transform_config_selectorIN3c108BFloat16ELb1EEEZNS1_14transform_implILb1ES3_S7_PS6_S9_NS0_8identityIS6_EEEE10hipError_tT2_T3_mT4_P12ihipStream_tbEUlT_E_NS1_11comp_targetILNS1_3genE10ELNS1_11target_archE1201ELNS1_3gpuE5ELNS1_3repE0EEENS1_30default_config_static_selectorELNS0_4arch9wavefront6targetE1EEEvT1_: ; @_ZN7rocprim17ROCPRIM_400000_NS6detail17trampoline_kernelINS0_14default_configENS1_25transform_config_selectorIN3c108BFloat16ELb1EEEZNS1_14transform_implILb1ES3_S7_PS6_S9_NS0_8identityIS6_EEEE10hipError_tT2_T3_mT4_P12ihipStream_tbEUlT_E_NS1_11comp_targetILNS1_3genE10ELNS1_11target_archE1201ELNS1_3gpuE5ELNS1_3repE0EEENS1_30default_config_static_selectorELNS0_4arch9wavefront6targetE1EEEvT1_
; %bb.0:
	.section	.rodata,"a",@progbits
	.p2align	6, 0x0
	.amdhsa_kernel _ZN7rocprim17ROCPRIM_400000_NS6detail17trampoline_kernelINS0_14default_configENS1_25transform_config_selectorIN3c108BFloat16ELb1EEEZNS1_14transform_implILb1ES3_S7_PS6_S9_NS0_8identityIS6_EEEE10hipError_tT2_T3_mT4_P12ihipStream_tbEUlT_E_NS1_11comp_targetILNS1_3genE10ELNS1_11target_archE1201ELNS1_3gpuE5ELNS1_3repE0EEENS1_30default_config_static_selectorELNS0_4arch9wavefront6targetE1EEEvT1_
		.amdhsa_group_segment_fixed_size 0
		.amdhsa_private_segment_fixed_size 0
		.amdhsa_kernarg_size 40
		.amdhsa_user_sgpr_count 6
		.amdhsa_user_sgpr_private_segment_buffer 1
		.amdhsa_user_sgpr_dispatch_ptr 0
		.amdhsa_user_sgpr_queue_ptr 0
		.amdhsa_user_sgpr_kernarg_segment_ptr 1
		.amdhsa_user_sgpr_dispatch_id 0
		.amdhsa_user_sgpr_flat_scratch_init 0
		.amdhsa_user_sgpr_kernarg_preload_length 0
		.amdhsa_user_sgpr_kernarg_preload_offset 0
		.amdhsa_user_sgpr_private_segment_size 0
		.amdhsa_uses_dynamic_stack 0
		.amdhsa_system_sgpr_private_segment_wavefront_offset 0
		.amdhsa_system_sgpr_workgroup_id_x 1
		.amdhsa_system_sgpr_workgroup_id_y 0
		.amdhsa_system_sgpr_workgroup_id_z 0
		.amdhsa_system_sgpr_workgroup_info 0
		.amdhsa_system_vgpr_workitem_id 0
		.amdhsa_next_free_vgpr 1
		.amdhsa_next_free_sgpr 0
		.amdhsa_accum_offset 4
		.amdhsa_reserve_vcc 0
		.amdhsa_reserve_flat_scratch 0
		.amdhsa_float_round_mode_32 0
		.amdhsa_float_round_mode_16_64 0
		.amdhsa_float_denorm_mode_32 3
		.amdhsa_float_denorm_mode_16_64 3
		.amdhsa_dx10_clamp 1
		.amdhsa_ieee_mode 1
		.amdhsa_fp16_overflow 0
		.amdhsa_tg_split 0
		.amdhsa_exception_fp_ieee_invalid_op 0
		.amdhsa_exception_fp_denorm_src 0
		.amdhsa_exception_fp_ieee_div_zero 0
		.amdhsa_exception_fp_ieee_overflow 0
		.amdhsa_exception_fp_ieee_underflow 0
		.amdhsa_exception_fp_ieee_inexact 0
		.amdhsa_exception_int_div_zero 0
	.end_amdhsa_kernel
	.section	.text._ZN7rocprim17ROCPRIM_400000_NS6detail17trampoline_kernelINS0_14default_configENS1_25transform_config_selectorIN3c108BFloat16ELb1EEEZNS1_14transform_implILb1ES3_S7_PS6_S9_NS0_8identityIS6_EEEE10hipError_tT2_T3_mT4_P12ihipStream_tbEUlT_E_NS1_11comp_targetILNS1_3genE10ELNS1_11target_archE1201ELNS1_3gpuE5ELNS1_3repE0EEENS1_30default_config_static_selectorELNS0_4arch9wavefront6targetE1EEEvT1_,"axG",@progbits,_ZN7rocprim17ROCPRIM_400000_NS6detail17trampoline_kernelINS0_14default_configENS1_25transform_config_selectorIN3c108BFloat16ELb1EEEZNS1_14transform_implILb1ES3_S7_PS6_S9_NS0_8identityIS6_EEEE10hipError_tT2_T3_mT4_P12ihipStream_tbEUlT_E_NS1_11comp_targetILNS1_3genE10ELNS1_11target_archE1201ELNS1_3gpuE5ELNS1_3repE0EEENS1_30default_config_static_selectorELNS0_4arch9wavefront6targetE1EEEvT1_,comdat
.Lfunc_end2028:
	.size	_ZN7rocprim17ROCPRIM_400000_NS6detail17trampoline_kernelINS0_14default_configENS1_25transform_config_selectorIN3c108BFloat16ELb1EEEZNS1_14transform_implILb1ES3_S7_PS6_S9_NS0_8identityIS6_EEEE10hipError_tT2_T3_mT4_P12ihipStream_tbEUlT_E_NS1_11comp_targetILNS1_3genE10ELNS1_11target_archE1201ELNS1_3gpuE5ELNS1_3repE0EEENS1_30default_config_static_selectorELNS0_4arch9wavefront6targetE1EEEvT1_, .Lfunc_end2028-_ZN7rocprim17ROCPRIM_400000_NS6detail17trampoline_kernelINS0_14default_configENS1_25transform_config_selectorIN3c108BFloat16ELb1EEEZNS1_14transform_implILb1ES3_S7_PS6_S9_NS0_8identityIS6_EEEE10hipError_tT2_T3_mT4_P12ihipStream_tbEUlT_E_NS1_11comp_targetILNS1_3genE10ELNS1_11target_archE1201ELNS1_3gpuE5ELNS1_3repE0EEENS1_30default_config_static_selectorELNS0_4arch9wavefront6targetE1EEEvT1_
                                        ; -- End function
	.section	.AMDGPU.csdata,"",@progbits
; Kernel info:
; codeLenInByte = 0
; NumSgprs: 4
; NumVgprs: 0
; NumAgprs: 0
; TotalNumVgprs: 0
; ScratchSize: 0
; MemoryBound: 0
; FloatMode: 240
; IeeeMode: 1
; LDSByteSize: 0 bytes/workgroup (compile time only)
; SGPRBlocks: 0
; VGPRBlocks: 0
; NumSGPRsForWavesPerEU: 4
; NumVGPRsForWavesPerEU: 1
; AccumOffset: 4
; Occupancy: 8
; WaveLimiterHint : 0
; COMPUTE_PGM_RSRC2:SCRATCH_EN: 0
; COMPUTE_PGM_RSRC2:USER_SGPR: 6
; COMPUTE_PGM_RSRC2:TRAP_HANDLER: 0
; COMPUTE_PGM_RSRC2:TGID_X_EN: 1
; COMPUTE_PGM_RSRC2:TGID_Y_EN: 0
; COMPUTE_PGM_RSRC2:TGID_Z_EN: 0
; COMPUTE_PGM_RSRC2:TIDIG_COMP_CNT: 0
; COMPUTE_PGM_RSRC3_GFX90A:ACCUM_OFFSET: 0
; COMPUTE_PGM_RSRC3_GFX90A:TG_SPLIT: 0
	.section	.text._ZN7rocprim17ROCPRIM_400000_NS6detail17trampoline_kernelINS0_14default_configENS1_25transform_config_selectorIN3c108BFloat16ELb1EEEZNS1_14transform_implILb1ES3_S7_PS6_S9_NS0_8identityIS6_EEEE10hipError_tT2_T3_mT4_P12ihipStream_tbEUlT_E_NS1_11comp_targetILNS1_3genE5ELNS1_11target_archE942ELNS1_3gpuE9ELNS1_3repE0EEENS1_30default_config_static_selectorELNS0_4arch9wavefront6targetE1EEEvT1_,"axG",@progbits,_ZN7rocprim17ROCPRIM_400000_NS6detail17trampoline_kernelINS0_14default_configENS1_25transform_config_selectorIN3c108BFloat16ELb1EEEZNS1_14transform_implILb1ES3_S7_PS6_S9_NS0_8identityIS6_EEEE10hipError_tT2_T3_mT4_P12ihipStream_tbEUlT_E_NS1_11comp_targetILNS1_3genE5ELNS1_11target_archE942ELNS1_3gpuE9ELNS1_3repE0EEENS1_30default_config_static_selectorELNS0_4arch9wavefront6targetE1EEEvT1_,comdat
	.protected	_ZN7rocprim17ROCPRIM_400000_NS6detail17trampoline_kernelINS0_14default_configENS1_25transform_config_selectorIN3c108BFloat16ELb1EEEZNS1_14transform_implILb1ES3_S7_PS6_S9_NS0_8identityIS6_EEEE10hipError_tT2_T3_mT4_P12ihipStream_tbEUlT_E_NS1_11comp_targetILNS1_3genE5ELNS1_11target_archE942ELNS1_3gpuE9ELNS1_3repE0EEENS1_30default_config_static_selectorELNS0_4arch9wavefront6targetE1EEEvT1_ ; -- Begin function _ZN7rocprim17ROCPRIM_400000_NS6detail17trampoline_kernelINS0_14default_configENS1_25transform_config_selectorIN3c108BFloat16ELb1EEEZNS1_14transform_implILb1ES3_S7_PS6_S9_NS0_8identityIS6_EEEE10hipError_tT2_T3_mT4_P12ihipStream_tbEUlT_E_NS1_11comp_targetILNS1_3genE5ELNS1_11target_archE942ELNS1_3gpuE9ELNS1_3repE0EEENS1_30default_config_static_selectorELNS0_4arch9wavefront6targetE1EEEvT1_
	.globl	_ZN7rocprim17ROCPRIM_400000_NS6detail17trampoline_kernelINS0_14default_configENS1_25transform_config_selectorIN3c108BFloat16ELb1EEEZNS1_14transform_implILb1ES3_S7_PS6_S9_NS0_8identityIS6_EEEE10hipError_tT2_T3_mT4_P12ihipStream_tbEUlT_E_NS1_11comp_targetILNS1_3genE5ELNS1_11target_archE942ELNS1_3gpuE9ELNS1_3repE0EEENS1_30default_config_static_selectorELNS0_4arch9wavefront6targetE1EEEvT1_
	.p2align	8
	.type	_ZN7rocprim17ROCPRIM_400000_NS6detail17trampoline_kernelINS0_14default_configENS1_25transform_config_selectorIN3c108BFloat16ELb1EEEZNS1_14transform_implILb1ES3_S7_PS6_S9_NS0_8identityIS6_EEEE10hipError_tT2_T3_mT4_P12ihipStream_tbEUlT_E_NS1_11comp_targetILNS1_3genE5ELNS1_11target_archE942ELNS1_3gpuE9ELNS1_3repE0EEENS1_30default_config_static_selectorELNS0_4arch9wavefront6targetE1EEEvT1_,@function
_ZN7rocprim17ROCPRIM_400000_NS6detail17trampoline_kernelINS0_14default_configENS1_25transform_config_selectorIN3c108BFloat16ELb1EEEZNS1_14transform_implILb1ES3_S7_PS6_S9_NS0_8identityIS6_EEEE10hipError_tT2_T3_mT4_P12ihipStream_tbEUlT_E_NS1_11comp_targetILNS1_3genE5ELNS1_11target_archE942ELNS1_3gpuE9ELNS1_3repE0EEENS1_30default_config_static_selectorELNS0_4arch9wavefront6targetE1EEEvT1_: ; @_ZN7rocprim17ROCPRIM_400000_NS6detail17trampoline_kernelINS0_14default_configENS1_25transform_config_selectorIN3c108BFloat16ELb1EEEZNS1_14transform_implILb1ES3_S7_PS6_S9_NS0_8identityIS6_EEEE10hipError_tT2_T3_mT4_P12ihipStream_tbEUlT_E_NS1_11comp_targetILNS1_3genE5ELNS1_11target_archE942ELNS1_3gpuE9ELNS1_3repE0EEENS1_30default_config_static_selectorELNS0_4arch9wavefront6targetE1EEEvT1_
; %bb.0:
	.section	.rodata,"a",@progbits
	.p2align	6, 0x0
	.amdhsa_kernel _ZN7rocprim17ROCPRIM_400000_NS6detail17trampoline_kernelINS0_14default_configENS1_25transform_config_selectorIN3c108BFloat16ELb1EEEZNS1_14transform_implILb1ES3_S7_PS6_S9_NS0_8identityIS6_EEEE10hipError_tT2_T3_mT4_P12ihipStream_tbEUlT_E_NS1_11comp_targetILNS1_3genE5ELNS1_11target_archE942ELNS1_3gpuE9ELNS1_3repE0EEENS1_30default_config_static_selectorELNS0_4arch9wavefront6targetE1EEEvT1_
		.amdhsa_group_segment_fixed_size 0
		.amdhsa_private_segment_fixed_size 0
		.amdhsa_kernarg_size 40
		.amdhsa_user_sgpr_count 6
		.amdhsa_user_sgpr_private_segment_buffer 1
		.amdhsa_user_sgpr_dispatch_ptr 0
		.amdhsa_user_sgpr_queue_ptr 0
		.amdhsa_user_sgpr_kernarg_segment_ptr 1
		.amdhsa_user_sgpr_dispatch_id 0
		.amdhsa_user_sgpr_flat_scratch_init 0
		.amdhsa_user_sgpr_kernarg_preload_length 0
		.amdhsa_user_sgpr_kernarg_preload_offset 0
		.amdhsa_user_sgpr_private_segment_size 0
		.amdhsa_uses_dynamic_stack 0
		.amdhsa_system_sgpr_private_segment_wavefront_offset 0
		.amdhsa_system_sgpr_workgroup_id_x 1
		.amdhsa_system_sgpr_workgroup_id_y 0
		.amdhsa_system_sgpr_workgroup_id_z 0
		.amdhsa_system_sgpr_workgroup_info 0
		.amdhsa_system_vgpr_workitem_id 0
		.amdhsa_next_free_vgpr 1
		.amdhsa_next_free_sgpr 0
		.amdhsa_accum_offset 4
		.amdhsa_reserve_vcc 0
		.amdhsa_reserve_flat_scratch 0
		.amdhsa_float_round_mode_32 0
		.amdhsa_float_round_mode_16_64 0
		.amdhsa_float_denorm_mode_32 3
		.amdhsa_float_denorm_mode_16_64 3
		.amdhsa_dx10_clamp 1
		.amdhsa_ieee_mode 1
		.amdhsa_fp16_overflow 0
		.amdhsa_tg_split 0
		.amdhsa_exception_fp_ieee_invalid_op 0
		.amdhsa_exception_fp_denorm_src 0
		.amdhsa_exception_fp_ieee_div_zero 0
		.amdhsa_exception_fp_ieee_overflow 0
		.amdhsa_exception_fp_ieee_underflow 0
		.amdhsa_exception_fp_ieee_inexact 0
		.amdhsa_exception_int_div_zero 0
	.end_amdhsa_kernel
	.section	.text._ZN7rocprim17ROCPRIM_400000_NS6detail17trampoline_kernelINS0_14default_configENS1_25transform_config_selectorIN3c108BFloat16ELb1EEEZNS1_14transform_implILb1ES3_S7_PS6_S9_NS0_8identityIS6_EEEE10hipError_tT2_T3_mT4_P12ihipStream_tbEUlT_E_NS1_11comp_targetILNS1_3genE5ELNS1_11target_archE942ELNS1_3gpuE9ELNS1_3repE0EEENS1_30default_config_static_selectorELNS0_4arch9wavefront6targetE1EEEvT1_,"axG",@progbits,_ZN7rocprim17ROCPRIM_400000_NS6detail17trampoline_kernelINS0_14default_configENS1_25transform_config_selectorIN3c108BFloat16ELb1EEEZNS1_14transform_implILb1ES3_S7_PS6_S9_NS0_8identityIS6_EEEE10hipError_tT2_T3_mT4_P12ihipStream_tbEUlT_E_NS1_11comp_targetILNS1_3genE5ELNS1_11target_archE942ELNS1_3gpuE9ELNS1_3repE0EEENS1_30default_config_static_selectorELNS0_4arch9wavefront6targetE1EEEvT1_,comdat
.Lfunc_end2029:
	.size	_ZN7rocprim17ROCPRIM_400000_NS6detail17trampoline_kernelINS0_14default_configENS1_25transform_config_selectorIN3c108BFloat16ELb1EEEZNS1_14transform_implILb1ES3_S7_PS6_S9_NS0_8identityIS6_EEEE10hipError_tT2_T3_mT4_P12ihipStream_tbEUlT_E_NS1_11comp_targetILNS1_3genE5ELNS1_11target_archE942ELNS1_3gpuE9ELNS1_3repE0EEENS1_30default_config_static_selectorELNS0_4arch9wavefront6targetE1EEEvT1_, .Lfunc_end2029-_ZN7rocprim17ROCPRIM_400000_NS6detail17trampoline_kernelINS0_14default_configENS1_25transform_config_selectorIN3c108BFloat16ELb1EEEZNS1_14transform_implILb1ES3_S7_PS6_S9_NS0_8identityIS6_EEEE10hipError_tT2_T3_mT4_P12ihipStream_tbEUlT_E_NS1_11comp_targetILNS1_3genE5ELNS1_11target_archE942ELNS1_3gpuE9ELNS1_3repE0EEENS1_30default_config_static_selectorELNS0_4arch9wavefront6targetE1EEEvT1_
                                        ; -- End function
	.section	.AMDGPU.csdata,"",@progbits
; Kernel info:
; codeLenInByte = 0
; NumSgprs: 4
; NumVgprs: 0
; NumAgprs: 0
; TotalNumVgprs: 0
; ScratchSize: 0
; MemoryBound: 0
; FloatMode: 240
; IeeeMode: 1
; LDSByteSize: 0 bytes/workgroup (compile time only)
; SGPRBlocks: 0
; VGPRBlocks: 0
; NumSGPRsForWavesPerEU: 4
; NumVGPRsForWavesPerEU: 1
; AccumOffset: 4
; Occupancy: 8
; WaveLimiterHint : 0
; COMPUTE_PGM_RSRC2:SCRATCH_EN: 0
; COMPUTE_PGM_RSRC2:USER_SGPR: 6
; COMPUTE_PGM_RSRC2:TRAP_HANDLER: 0
; COMPUTE_PGM_RSRC2:TGID_X_EN: 1
; COMPUTE_PGM_RSRC2:TGID_Y_EN: 0
; COMPUTE_PGM_RSRC2:TGID_Z_EN: 0
; COMPUTE_PGM_RSRC2:TIDIG_COMP_CNT: 0
; COMPUTE_PGM_RSRC3_GFX90A:ACCUM_OFFSET: 0
; COMPUTE_PGM_RSRC3_GFX90A:TG_SPLIT: 0
	.section	.text._ZN7rocprim17ROCPRIM_400000_NS6detail17trampoline_kernelINS0_14default_configENS1_25transform_config_selectorIN3c108BFloat16ELb1EEEZNS1_14transform_implILb1ES3_S7_PS6_S9_NS0_8identityIS6_EEEE10hipError_tT2_T3_mT4_P12ihipStream_tbEUlT_E_NS1_11comp_targetILNS1_3genE4ELNS1_11target_archE910ELNS1_3gpuE8ELNS1_3repE0EEENS1_30default_config_static_selectorELNS0_4arch9wavefront6targetE1EEEvT1_,"axG",@progbits,_ZN7rocprim17ROCPRIM_400000_NS6detail17trampoline_kernelINS0_14default_configENS1_25transform_config_selectorIN3c108BFloat16ELb1EEEZNS1_14transform_implILb1ES3_S7_PS6_S9_NS0_8identityIS6_EEEE10hipError_tT2_T3_mT4_P12ihipStream_tbEUlT_E_NS1_11comp_targetILNS1_3genE4ELNS1_11target_archE910ELNS1_3gpuE8ELNS1_3repE0EEENS1_30default_config_static_selectorELNS0_4arch9wavefront6targetE1EEEvT1_,comdat
	.protected	_ZN7rocprim17ROCPRIM_400000_NS6detail17trampoline_kernelINS0_14default_configENS1_25transform_config_selectorIN3c108BFloat16ELb1EEEZNS1_14transform_implILb1ES3_S7_PS6_S9_NS0_8identityIS6_EEEE10hipError_tT2_T3_mT4_P12ihipStream_tbEUlT_E_NS1_11comp_targetILNS1_3genE4ELNS1_11target_archE910ELNS1_3gpuE8ELNS1_3repE0EEENS1_30default_config_static_selectorELNS0_4arch9wavefront6targetE1EEEvT1_ ; -- Begin function _ZN7rocprim17ROCPRIM_400000_NS6detail17trampoline_kernelINS0_14default_configENS1_25transform_config_selectorIN3c108BFloat16ELb1EEEZNS1_14transform_implILb1ES3_S7_PS6_S9_NS0_8identityIS6_EEEE10hipError_tT2_T3_mT4_P12ihipStream_tbEUlT_E_NS1_11comp_targetILNS1_3genE4ELNS1_11target_archE910ELNS1_3gpuE8ELNS1_3repE0EEENS1_30default_config_static_selectorELNS0_4arch9wavefront6targetE1EEEvT1_
	.globl	_ZN7rocprim17ROCPRIM_400000_NS6detail17trampoline_kernelINS0_14default_configENS1_25transform_config_selectorIN3c108BFloat16ELb1EEEZNS1_14transform_implILb1ES3_S7_PS6_S9_NS0_8identityIS6_EEEE10hipError_tT2_T3_mT4_P12ihipStream_tbEUlT_E_NS1_11comp_targetILNS1_3genE4ELNS1_11target_archE910ELNS1_3gpuE8ELNS1_3repE0EEENS1_30default_config_static_selectorELNS0_4arch9wavefront6targetE1EEEvT1_
	.p2align	8
	.type	_ZN7rocprim17ROCPRIM_400000_NS6detail17trampoline_kernelINS0_14default_configENS1_25transform_config_selectorIN3c108BFloat16ELb1EEEZNS1_14transform_implILb1ES3_S7_PS6_S9_NS0_8identityIS6_EEEE10hipError_tT2_T3_mT4_P12ihipStream_tbEUlT_E_NS1_11comp_targetILNS1_3genE4ELNS1_11target_archE910ELNS1_3gpuE8ELNS1_3repE0EEENS1_30default_config_static_selectorELNS0_4arch9wavefront6targetE1EEEvT1_,@function
_ZN7rocprim17ROCPRIM_400000_NS6detail17trampoline_kernelINS0_14default_configENS1_25transform_config_selectorIN3c108BFloat16ELb1EEEZNS1_14transform_implILb1ES3_S7_PS6_S9_NS0_8identityIS6_EEEE10hipError_tT2_T3_mT4_P12ihipStream_tbEUlT_E_NS1_11comp_targetILNS1_3genE4ELNS1_11target_archE910ELNS1_3gpuE8ELNS1_3repE0EEENS1_30default_config_static_selectorELNS0_4arch9wavefront6targetE1EEEvT1_: ; @_ZN7rocprim17ROCPRIM_400000_NS6detail17trampoline_kernelINS0_14default_configENS1_25transform_config_selectorIN3c108BFloat16ELb1EEEZNS1_14transform_implILb1ES3_S7_PS6_S9_NS0_8identityIS6_EEEE10hipError_tT2_T3_mT4_P12ihipStream_tbEUlT_E_NS1_11comp_targetILNS1_3genE4ELNS1_11target_archE910ELNS1_3gpuE8ELNS1_3repE0EEENS1_30default_config_static_selectorELNS0_4arch9wavefront6targetE1EEEvT1_
; %bb.0:
	s_load_dwordx8 s[8:15], s[4:5], 0x0
	s_load_dword s2, s[4:5], 0x28
	s_waitcnt lgkmcnt(0)
	s_lshl_b64 s[0:1], s[10:11], 1
	s_add_u32 s3, s8, s0
	s_addc_u32 s4, s9, s1
	s_add_u32 s20, s14, s0
	s_addc_u32 s21, s15, s1
	s_lshl_b32 s0, s6, 13
	s_mov_b32 s1, 0
	s_add_i32 s2, s2, -1
	s_lshl_b64 s[14:15], s[0:1], 1
	s_add_u32 s16, s3, s14
	s_addc_u32 s17, s4, s15
	s_cmp_lg_u32 s6, s2
	s_mov_b64 s[2:3], -1
	s_cbranch_scc0 .LBB2030_2
; %bb.1:
	v_lshlrev_b32_e32 v1, 4, v0
	global_load_dwordx4 v[2:5], v1, s[16:17]
	s_add_u32 s2, s20, s14
	s_addc_u32 s3, s21, s15
	s_waitcnt vmcnt(0)
	global_store_dwordx4 v1, v[2:5], s[2:3]
	s_mov_b64 s[2:3], 0
.LBB2030_2:
	s_andn2_b64 vcc, exec, s[2:3]
	s_cbranch_vccnz .LBB2030_28
; %bb.3:
	s_sub_i32 s18, s12, s0
	v_cmp_gt_u32_e32 vcc, s18, v0
	v_lshlrev_b32_e32 v1, 1, v0
                                        ; implicit-def: $vgpr2
	s_and_saveexec_b64 s[0:1], vcc
	s_cbranch_execz .LBB2030_5
; %bb.4:
	global_load_ushort v2, v1, s[16:17]
.LBB2030_5:
	s_or_b64 exec, exec, s[0:1]
	v_or_b32_e32 v3, 0x400, v0
	v_cmp_gt_u32_e64 s[0:1], s18, v3
                                        ; implicit-def: $vgpr3
	s_and_saveexec_b64 s[2:3], s[0:1]
	s_cbranch_execz .LBB2030_7
; %bb.6:
	global_load_ushort v3, v1, s[16:17] offset:2048
.LBB2030_7:
	s_or_b64 exec, exec, s[2:3]
	v_or_b32_e32 v5, 0x800, v0
	v_cmp_gt_u32_e64 s[2:3], s18, v5
                                        ; implicit-def: $vgpr4
	s_and_saveexec_b64 s[4:5], s[2:3]
	s_cbranch_execz .LBB2030_9
; %bb.8:
	v_lshlrev_b32_e32 v4, 1, v5
	global_load_ushort v4, v4, s[16:17]
.LBB2030_9:
	s_or_b64 exec, exec, s[4:5]
	v_or_b32_e32 v6, 0xc00, v0
	v_cmp_gt_u32_e64 s[4:5], s18, v6
                                        ; implicit-def: $vgpr5
	s_and_saveexec_b64 s[6:7], s[4:5]
	s_cbranch_execz .LBB2030_11
; %bb.10:
	v_lshlrev_b32_e32 v5, 1, v6
	global_load_ushort v5, v5, s[16:17]
.LBB2030_11:
	s_or_b64 exec, exec, s[6:7]
	v_or_b32_e32 v7, 0x1000, v0
	v_cmp_gt_u32_e64 s[6:7], s18, v7
                                        ; implicit-def: $vgpr6
	s_and_saveexec_b64 s[8:9], s[6:7]
	s_cbranch_execz .LBB2030_13
; %bb.12:
	v_lshlrev_b32_e32 v6, 1, v7
	global_load_ushort v6, v6, s[16:17]
.LBB2030_13:
	s_or_b64 exec, exec, s[8:9]
	v_or_b32_e32 v8, 0x1400, v0
	v_cmp_gt_u32_e64 s[8:9], s18, v8
                                        ; implicit-def: $vgpr7
	s_and_saveexec_b64 s[10:11], s[8:9]
	s_cbranch_execz .LBB2030_15
; %bb.14:
	v_lshlrev_b32_e32 v7, 1, v8
	global_load_ushort v7, v7, s[16:17]
.LBB2030_15:
	s_or_b64 exec, exec, s[10:11]
	v_or_b32_e32 v9, 0x1800, v0
	v_cmp_gt_u32_e64 s[10:11], s18, v9
                                        ; implicit-def: $vgpr8
	s_and_saveexec_b64 s[12:13], s[10:11]
	s_cbranch_execz .LBB2030_17
; %bb.16:
	v_lshlrev_b32_e32 v8, 1, v9
	global_load_ushort v8, v8, s[16:17]
.LBB2030_17:
	s_or_b64 exec, exec, s[12:13]
	v_or_b32_e32 v0, 0x1c00, v0
	v_cmp_gt_u32_e64 s[12:13], s18, v0
                                        ; implicit-def: $vgpr9
	s_and_saveexec_b64 s[18:19], s[12:13]
	s_cbranch_execz .LBB2030_19
; %bb.18:
	v_lshlrev_b32_e32 v0, 1, v0
	global_load_ushort v9, v0, s[16:17]
.LBB2030_19:
	s_or_b64 exec, exec, s[18:19]
	s_add_u32 s14, s20, s14
	s_addc_u32 s15, s21, s15
	v_mov_b32_e32 v10, s15
	v_add_co_u32_e64 v0, s[14:15], s14, v1
	v_addc_co_u32_e64 v1, s[14:15], 0, v10, s[14:15]
	s_and_saveexec_b64 s[14:15], vcc
	s_xor_b64 s[14:15], exec, s[14:15]
	s_cbranch_execnz .LBB2030_29
; %bb.20:
	s_or_b64 exec, exec, s[14:15]
	s_and_saveexec_b64 s[14:15], s[0:1]
	s_cbranch_execnz .LBB2030_30
.LBB2030_21:
	s_or_b64 exec, exec, s[14:15]
	s_and_saveexec_b64 s[0:1], s[2:3]
	s_cbranch_execnz .LBB2030_31
.LBB2030_22:
	s_or_b64 exec, exec, s[0:1]
	s_and_saveexec_b64 s[0:1], s[4:5]
	s_cbranch_execnz .LBB2030_32
.LBB2030_23:
	s_or_b64 exec, exec, s[0:1]
	s_and_saveexec_b64 s[0:1], s[6:7]
	s_cbranch_execnz .LBB2030_33
.LBB2030_24:
	s_or_b64 exec, exec, s[0:1]
	s_and_saveexec_b64 s[0:1], s[8:9]
	s_cbranch_execnz .LBB2030_34
.LBB2030_25:
	s_or_b64 exec, exec, s[0:1]
	s_and_saveexec_b64 s[0:1], s[10:11]
	s_cbranch_execnz .LBB2030_35
.LBB2030_26:
	s_or_b64 exec, exec, s[0:1]
	s_and_saveexec_b64 s[0:1], s[12:13]
	s_cbranch_execz .LBB2030_28
.LBB2030_27:
	v_add_co_u32_e32 v0, vcc, 0x3000, v0
	v_addc_co_u32_e32 v1, vcc, 0, v1, vcc
	s_waitcnt vmcnt(0)
	global_store_short v[0:1], v9, off offset:2048
.LBB2030_28:
	s_endpgm
.LBB2030_29:
	s_waitcnt vmcnt(0)
	global_store_short v[0:1], v2, off
	s_or_b64 exec, exec, s[14:15]
	s_and_saveexec_b64 s[14:15], s[0:1]
	s_cbranch_execz .LBB2030_21
.LBB2030_30:
	s_waitcnt vmcnt(0)
	global_store_short v[0:1], v3, off offset:2048
	s_or_b64 exec, exec, s[14:15]
	s_and_saveexec_b64 s[0:1], s[2:3]
	s_cbranch_execz .LBB2030_22
.LBB2030_31:
	s_waitcnt vmcnt(0)
	v_add_co_u32_e32 v2, vcc, 0x1000, v0
	v_addc_co_u32_e32 v3, vcc, 0, v1, vcc
	global_store_short v[2:3], v4, off
	s_or_b64 exec, exec, s[0:1]
	s_and_saveexec_b64 s[0:1], s[4:5]
	s_cbranch_execz .LBB2030_23
.LBB2030_32:
	s_waitcnt vmcnt(0)
	v_add_co_u32_e32 v2, vcc, 0x1000, v0
	v_addc_co_u32_e32 v3, vcc, 0, v1, vcc
	global_store_short v[2:3], v5, off offset:2048
	s_or_b64 exec, exec, s[0:1]
	s_and_saveexec_b64 s[0:1], s[6:7]
	s_cbranch_execz .LBB2030_24
.LBB2030_33:
	s_waitcnt vmcnt(0)
	v_add_co_u32_e32 v2, vcc, 0x2000, v0
	v_addc_co_u32_e32 v3, vcc, 0, v1, vcc
	global_store_short v[2:3], v6, off
	s_or_b64 exec, exec, s[0:1]
	s_and_saveexec_b64 s[0:1], s[8:9]
	s_cbranch_execz .LBB2030_25
.LBB2030_34:
	s_waitcnt vmcnt(0)
	v_add_co_u32_e32 v2, vcc, 0x2000, v0
	v_addc_co_u32_e32 v3, vcc, 0, v1, vcc
	global_store_short v[2:3], v7, off offset:2048
	s_or_b64 exec, exec, s[0:1]
	s_and_saveexec_b64 s[0:1], s[10:11]
	s_cbranch_execz .LBB2030_26
.LBB2030_35:
	s_waitcnt vmcnt(0)
	v_add_co_u32_e32 v2, vcc, 0x3000, v0
	v_addc_co_u32_e32 v3, vcc, 0, v1, vcc
	global_store_short v[2:3], v8, off
	s_or_b64 exec, exec, s[0:1]
	s_and_saveexec_b64 s[0:1], s[12:13]
	s_cbranch_execnz .LBB2030_27
	s_branch .LBB2030_28
	.section	.rodata,"a",@progbits
	.p2align	6, 0x0
	.amdhsa_kernel _ZN7rocprim17ROCPRIM_400000_NS6detail17trampoline_kernelINS0_14default_configENS1_25transform_config_selectorIN3c108BFloat16ELb1EEEZNS1_14transform_implILb1ES3_S7_PS6_S9_NS0_8identityIS6_EEEE10hipError_tT2_T3_mT4_P12ihipStream_tbEUlT_E_NS1_11comp_targetILNS1_3genE4ELNS1_11target_archE910ELNS1_3gpuE8ELNS1_3repE0EEENS1_30default_config_static_selectorELNS0_4arch9wavefront6targetE1EEEvT1_
		.amdhsa_group_segment_fixed_size 0
		.amdhsa_private_segment_fixed_size 0
		.amdhsa_kernarg_size 296
		.amdhsa_user_sgpr_count 6
		.amdhsa_user_sgpr_private_segment_buffer 1
		.amdhsa_user_sgpr_dispatch_ptr 0
		.amdhsa_user_sgpr_queue_ptr 0
		.amdhsa_user_sgpr_kernarg_segment_ptr 1
		.amdhsa_user_sgpr_dispatch_id 0
		.amdhsa_user_sgpr_flat_scratch_init 0
		.amdhsa_user_sgpr_kernarg_preload_length 0
		.amdhsa_user_sgpr_kernarg_preload_offset 0
		.amdhsa_user_sgpr_private_segment_size 0
		.amdhsa_uses_dynamic_stack 0
		.amdhsa_system_sgpr_private_segment_wavefront_offset 0
		.amdhsa_system_sgpr_workgroup_id_x 1
		.amdhsa_system_sgpr_workgroup_id_y 0
		.amdhsa_system_sgpr_workgroup_id_z 0
		.amdhsa_system_sgpr_workgroup_info 0
		.amdhsa_system_vgpr_workitem_id 0
		.amdhsa_next_free_vgpr 11
		.amdhsa_next_free_sgpr 22
		.amdhsa_accum_offset 12
		.amdhsa_reserve_vcc 1
		.amdhsa_reserve_flat_scratch 0
		.amdhsa_float_round_mode_32 0
		.amdhsa_float_round_mode_16_64 0
		.amdhsa_float_denorm_mode_32 3
		.amdhsa_float_denorm_mode_16_64 3
		.amdhsa_dx10_clamp 1
		.amdhsa_ieee_mode 1
		.amdhsa_fp16_overflow 0
		.amdhsa_tg_split 0
		.amdhsa_exception_fp_ieee_invalid_op 0
		.amdhsa_exception_fp_denorm_src 0
		.amdhsa_exception_fp_ieee_div_zero 0
		.amdhsa_exception_fp_ieee_overflow 0
		.amdhsa_exception_fp_ieee_underflow 0
		.amdhsa_exception_fp_ieee_inexact 0
		.amdhsa_exception_int_div_zero 0
	.end_amdhsa_kernel
	.section	.text._ZN7rocprim17ROCPRIM_400000_NS6detail17trampoline_kernelINS0_14default_configENS1_25transform_config_selectorIN3c108BFloat16ELb1EEEZNS1_14transform_implILb1ES3_S7_PS6_S9_NS0_8identityIS6_EEEE10hipError_tT2_T3_mT4_P12ihipStream_tbEUlT_E_NS1_11comp_targetILNS1_3genE4ELNS1_11target_archE910ELNS1_3gpuE8ELNS1_3repE0EEENS1_30default_config_static_selectorELNS0_4arch9wavefront6targetE1EEEvT1_,"axG",@progbits,_ZN7rocprim17ROCPRIM_400000_NS6detail17trampoline_kernelINS0_14default_configENS1_25transform_config_selectorIN3c108BFloat16ELb1EEEZNS1_14transform_implILb1ES3_S7_PS6_S9_NS0_8identityIS6_EEEE10hipError_tT2_T3_mT4_P12ihipStream_tbEUlT_E_NS1_11comp_targetILNS1_3genE4ELNS1_11target_archE910ELNS1_3gpuE8ELNS1_3repE0EEENS1_30default_config_static_selectorELNS0_4arch9wavefront6targetE1EEEvT1_,comdat
.Lfunc_end2030:
	.size	_ZN7rocprim17ROCPRIM_400000_NS6detail17trampoline_kernelINS0_14default_configENS1_25transform_config_selectorIN3c108BFloat16ELb1EEEZNS1_14transform_implILb1ES3_S7_PS6_S9_NS0_8identityIS6_EEEE10hipError_tT2_T3_mT4_P12ihipStream_tbEUlT_E_NS1_11comp_targetILNS1_3genE4ELNS1_11target_archE910ELNS1_3gpuE8ELNS1_3repE0EEENS1_30default_config_static_selectorELNS0_4arch9wavefront6targetE1EEEvT1_, .Lfunc_end2030-_ZN7rocprim17ROCPRIM_400000_NS6detail17trampoline_kernelINS0_14default_configENS1_25transform_config_selectorIN3c108BFloat16ELb1EEEZNS1_14transform_implILb1ES3_S7_PS6_S9_NS0_8identityIS6_EEEE10hipError_tT2_T3_mT4_P12ihipStream_tbEUlT_E_NS1_11comp_targetILNS1_3genE4ELNS1_11target_archE910ELNS1_3gpuE8ELNS1_3repE0EEENS1_30default_config_static_selectorELNS0_4arch9wavefront6targetE1EEEvT1_
                                        ; -- End function
	.section	.AMDGPU.csdata,"",@progbits
; Kernel info:
; codeLenInByte = 812
; NumSgprs: 26
; NumVgprs: 11
; NumAgprs: 0
; TotalNumVgprs: 11
; ScratchSize: 0
; MemoryBound: 1
; FloatMode: 240
; IeeeMode: 1
; LDSByteSize: 0 bytes/workgroup (compile time only)
; SGPRBlocks: 3
; VGPRBlocks: 1
; NumSGPRsForWavesPerEU: 26
; NumVGPRsForWavesPerEU: 11
; AccumOffset: 12
; Occupancy: 8
; WaveLimiterHint : 0
; COMPUTE_PGM_RSRC2:SCRATCH_EN: 0
; COMPUTE_PGM_RSRC2:USER_SGPR: 6
; COMPUTE_PGM_RSRC2:TRAP_HANDLER: 0
; COMPUTE_PGM_RSRC2:TGID_X_EN: 1
; COMPUTE_PGM_RSRC2:TGID_Y_EN: 0
; COMPUTE_PGM_RSRC2:TGID_Z_EN: 0
; COMPUTE_PGM_RSRC2:TIDIG_COMP_CNT: 0
; COMPUTE_PGM_RSRC3_GFX90A:ACCUM_OFFSET: 2
; COMPUTE_PGM_RSRC3_GFX90A:TG_SPLIT: 0
	.section	.text._ZN7rocprim17ROCPRIM_400000_NS6detail17trampoline_kernelINS0_14default_configENS1_25transform_config_selectorIN3c108BFloat16ELb1EEEZNS1_14transform_implILb1ES3_S7_PS6_S9_NS0_8identityIS6_EEEE10hipError_tT2_T3_mT4_P12ihipStream_tbEUlT_E_NS1_11comp_targetILNS1_3genE3ELNS1_11target_archE908ELNS1_3gpuE7ELNS1_3repE0EEENS1_30default_config_static_selectorELNS0_4arch9wavefront6targetE1EEEvT1_,"axG",@progbits,_ZN7rocprim17ROCPRIM_400000_NS6detail17trampoline_kernelINS0_14default_configENS1_25transform_config_selectorIN3c108BFloat16ELb1EEEZNS1_14transform_implILb1ES3_S7_PS6_S9_NS0_8identityIS6_EEEE10hipError_tT2_T3_mT4_P12ihipStream_tbEUlT_E_NS1_11comp_targetILNS1_3genE3ELNS1_11target_archE908ELNS1_3gpuE7ELNS1_3repE0EEENS1_30default_config_static_selectorELNS0_4arch9wavefront6targetE1EEEvT1_,comdat
	.protected	_ZN7rocprim17ROCPRIM_400000_NS6detail17trampoline_kernelINS0_14default_configENS1_25transform_config_selectorIN3c108BFloat16ELb1EEEZNS1_14transform_implILb1ES3_S7_PS6_S9_NS0_8identityIS6_EEEE10hipError_tT2_T3_mT4_P12ihipStream_tbEUlT_E_NS1_11comp_targetILNS1_3genE3ELNS1_11target_archE908ELNS1_3gpuE7ELNS1_3repE0EEENS1_30default_config_static_selectorELNS0_4arch9wavefront6targetE1EEEvT1_ ; -- Begin function _ZN7rocprim17ROCPRIM_400000_NS6detail17trampoline_kernelINS0_14default_configENS1_25transform_config_selectorIN3c108BFloat16ELb1EEEZNS1_14transform_implILb1ES3_S7_PS6_S9_NS0_8identityIS6_EEEE10hipError_tT2_T3_mT4_P12ihipStream_tbEUlT_E_NS1_11comp_targetILNS1_3genE3ELNS1_11target_archE908ELNS1_3gpuE7ELNS1_3repE0EEENS1_30default_config_static_selectorELNS0_4arch9wavefront6targetE1EEEvT1_
	.globl	_ZN7rocprim17ROCPRIM_400000_NS6detail17trampoline_kernelINS0_14default_configENS1_25transform_config_selectorIN3c108BFloat16ELb1EEEZNS1_14transform_implILb1ES3_S7_PS6_S9_NS0_8identityIS6_EEEE10hipError_tT2_T3_mT4_P12ihipStream_tbEUlT_E_NS1_11comp_targetILNS1_3genE3ELNS1_11target_archE908ELNS1_3gpuE7ELNS1_3repE0EEENS1_30default_config_static_selectorELNS0_4arch9wavefront6targetE1EEEvT1_
	.p2align	8
	.type	_ZN7rocprim17ROCPRIM_400000_NS6detail17trampoline_kernelINS0_14default_configENS1_25transform_config_selectorIN3c108BFloat16ELb1EEEZNS1_14transform_implILb1ES3_S7_PS6_S9_NS0_8identityIS6_EEEE10hipError_tT2_T3_mT4_P12ihipStream_tbEUlT_E_NS1_11comp_targetILNS1_3genE3ELNS1_11target_archE908ELNS1_3gpuE7ELNS1_3repE0EEENS1_30default_config_static_selectorELNS0_4arch9wavefront6targetE1EEEvT1_,@function
_ZN7rocprim17ROCPRIM_400000_NS6detail17trampoline_kernelINS0_14default_configENS1_25transform_config_selectorIN3c108BFloat16ELb1EEEZNS1_14transform_implILb1ES3_S7_PS6_S9_NS0_8identityIS6_EEEE10hipError_tT2_T3_mT4_P12ihipStream_tbEUlT_E_NS1_11comp_targetILNS1_3genE3ELNS1_11target_archE908ELNS1_3gpuE7ELNS1_3repE0EEENS1_30default_config_static_selectorELNS0_4arch9wavefront6targetE1EEEvT1_: ; @_ZN7rocprim17ROCPRIM_400000_NS6detail17trampoline_kernelINS0_14default_configENS1_25transform_config_selectorIN3c108BFloat16ELb1EEEZNS1_14transform_implILb1ES3_S7_PS6_S9_NS0_8identityIS6_EEEE10hipError_tT2_T3_mT4_P12ihipStream_tbEUlT_E_NS1_11comp_targetILNS1_3genE3ELNS1_11target_archE908ELNS1_3gpuE7ELNS1_3repE0EEENS1_30default_config_static_selectorELNS0_4arch9wavefront6targetE1EEEvT1_
; %bb.0:
	.section	.rodata,"a",@progbits
	.p2align	6, 0x0
	.amdhsa_kernel _ZN7rocprim17ROCPRIM_400000_NS6detail17trampoline_kernelINS0_14default_configENS1_25transform_config_selectorIN3c108BFloat16ELb1EEEZNS1_14transform_implILb1ES3_S7_PS6_S9_NS0_8identityIS6_EEEE10hipError_tT2_T3_mT4_P12ihipStream_tbEUlT_E_NS1_11comp_targetILNS1_3genE3ELNS1_11target_archE908ELNS1_3gpuE7ELNS1_3repE0EEENS1_30default_config_static_selectorELNS0_4arch9wavefront6targetE1EEEvT1_
		.amdhsa_group_segment_fixed_size 0
		.amdhsa_private_segment_fixed_size 0
		.amdhsa_kernarg_size 40
		.amdhsa_user_sgpr_count 6
		.amdhsa_user_sgpr_private_segment_buffer 1
		.amdhsa_user_sgpr_dispatch_ptr 0
		.amdhsa_user_sgpr_queue_ptr 0
		.amdhsa_user_sgpr_kernarg_segment_ptr 1
		.amdhsa_user_sgpr_dispatch_id 0
		.amdhsa_user_sgpr_flat_scratch_init 0
		.amdhsa_user_sgpr_kernarg_preload_length 0
		.amdhsa_user_sgpr_kernarg_preload_offset 0
		.amdhsa_user_sgpr_private_segment_size 0
		.amdhsa_uses_dynamic_stack 0
		.amdhsa_system_sgpr_private_segment_wavefront_offset 0
		.amdhsa_system_sgpr_workgroup_id_x 1
		.amdhsa_system_sgpr_workgroup_id_y 0
		.amdhsa_system_sgpr_workgroup_id_z 0
		.amdhsa_system_sgpr_workgroup_info 0
		.amdhsa_system_vgpr_workitem_id 0
		.amdhsa_next_free_vgpr 1
		.amdhsa_next_free_sgpr 0
		.amdhsa_accum_offset 4
		.amdhsa_reserve_vcc 0
		.amdhsa_reserve_flat_scratch 0
		.amdhsa_float_round_mode_32 0
		.amdhsa_float_round_mode_16_64 0
		.amdhsa_float_denorm_mode_32 3
		.amdhsa_float_denorm_mode_16_64 3
		.amdhsa_dx10_clamp 1
		.amdhsa_ieee_mode 1
		.amdhsa_fp16_overflow 0
		.amdhsa_tg_split 0
		.amdhsa_exception_fp_ieee_invalid_op 0
		.amdhsa_exception_fp_denorm_src 0
		.amdhsa_exception_fp_ieee_div_zero 0
		.amdhsa_exception_fp_ieee_overflow 0
		.amdhsa_exception_fp_ieee_underflow 0
		.amdhsa_exception_fp_ieee_inexact 0
		.amdhsa_exception_int_div_zero 0
	.end_amdhsa_kernel
	.section	.text._ZN7rocprim17ROCPRIM_400000_NS6detail17trampoline_kernelINS0_14default_configENS1_25transform_config_selectorIN3c108BFloat16ELb1EEEZNS1_14transform_implILb1ES3_S7_PS6_S9_NS0_8identityIS6_EEEE10hipError_tT2_T3_mT4_P12ihipStream_tbEUlT_E_NS1_11comp_targetILNS1_3genE3ELNS1_11target_archE908ELNS1_3gpuE7ELNS1_3repE0EEENS1_30default_config_static_selectorELNS0_4arch9wavefront6targetE1EEEvT1_,"axG",@progbits,_ZN7rocprim17ROCPRIM_400000_NS6detail17trampoline_kernelINS0_14default_configENS1_25transform_config_selectorIN3c108BFloat16ELb1EEEZNS1_14transform_implILb1ES3_S7_PS6_S9_NS0_8identityIS6_EEEE10hipError_tT2_T3_mT4_P12ihipStream_tbEUlT_E_NS1_11comp_targetILNS1_3genE3ELNS1_11target_archE908ELNS1_3gpuE7ELNS1_3repE0EEENS1_30default_config_static_selectorELNS0_4arch9wavefront6targetE1EEEvT1_,comdat
.Lfunc_end2031:
	.size	_ZN7rocprim17ROCPRIM_400000_NS6detail17trampoline_kernelINS0_14default_configENS1_25transform_config_selectorIN3c108BFloat16ELb1EEEZNS1_14transform_implILb1ES3_S7_PS6_S9_NS0_8identityIS6_EEEE10hipError_tT2_T3_mT4_P12ihipStream_tbEUlT_E_NS1_11comp_targetILNS1_3genE3ELNS1_11target_archE908ELNS1_3gpuE7ELNS1_3repE0EEENS1_30default_config_static_selectorELNS0_4arch9wavefront6targetE1EEEvT1_, .Lfunc_end2031-_ZN7rocprim17ROCPRIM_400000_NS6detail17trampoline_kernelINS0_14default_configENS1_25transform_config_selectorIN3c108BFloat16ELb1EEEZNS1_14transform_implILb1ES3_S7_PS6_S9_NS0_8identityIS6_EEEE10hipError_tT2_T3_mT4_P12ihipStream_tbEUlT_E_NS1_11comp_targetILNS1_3genE3ELNS1_11target_archE908ELNS1_3gpuE7ELNS1_3repE0EEENS1_30default_config_static_selectorELNS0_4arch9wavefront6targetE1EEEvT1_
                                        ; -- End function
	.section	.AMDGPU.csdata,"",@progbits
; Kernel info:
; codeLenInByte = 0
; NumSgprs: 4
; NumVgprs: 0
; NumAgprs: 0
; TotalNumVgprs: 0
; ScratchSize: 0
; MemoryBound: 0
; FloatMode: 240
; IeeeMode: 1
; LDSByteSize: 0 bytes/workgroup (compile time only)
; SGPRBlocks: 0
; VGPRBlocks: 0
; NumSGPRsForWavesPerEU: 4
; NumVGPRsForWavesPerEU: 1
; AccumOffset: 4
; Occupancy: 8
; WaveLimiterHint : 0
; COMPUTE_PGM_RSRC2:SCRATCH_EN: 0
; COMPUTE_PGM_RSRC2:USER_SGPR: 6
; COMPUTE_PGM_RSRC2:TRAP_HANDLER: 0
; COMPUTE_PGM_RSRC2:TGID_X_EN: 1
; COMPUTE_PGM_RSRC2:TGID_Y_EN: 0
; COMPUTE_PGM_RSRC2:TGID_Z_EN: 0
; COMPUTE_PGM_RSRC2:TIDIG_COMP_CNT: 0
; COMPUTE_PGM_RSRC3_GFX90A:ACCUM_OFFSET: 0
; COMPUTE_PGM_RSRC3_GFX90A:TG_SPLIT: 0
	.section	.text._ZN7rocprim17ROCPRIM_400000_NS6detail17trampoline_kernelINS0_14default_configENS1_25transform_config_selectorIN3c108BFloat16ELb1EEEZNS1_14transform_implILb1ES3_S7_PS6_S9_NS0_8identityIS6_EEEE10hipError_tT2_T3_mT4_P12ihipStream_tbEUlT_E_NS1_11comp_targetILNS1_3genE2ELNS1_11target_archE906ELNS1_3gpuE6ELNS1_3repE0EEENS1_30default_config_static_selectorELNS0_4arch9wavefront6targetE1EEEvT1_,"axG",@progbits,_ZN7rocprim17ROCPRIM_400000_NS6detail17trampoline_kernelINS0_14default_configENS1_25transform_config_selectorIN3c108BFloat16ELb1EEEZNS1_14transform_implILb1ES3_S7_PS6_S9_NS0_8identityIS6_EEEE10hipError_tT2_T3_mT4_P12ihipStream_tbEUlT_E_NS1_11comp_targetILNS1_3genE2ELNS1_11target_archE906ELNS1_3gpuE6ELNS1_3repE0EEENS1_30default_config_static_selectorELNS0_4arch9wavefront6targetE1EEEvT1_,comdat
	.protected	_ZN7rocprim17ROCPRIM_400000_NS6detail17trampoline_kernelINS0_14default_configENS1_25transform_config_selectorIN3c108BFloat16ELb1EEEZNS1_14transform_implILb1ES3_S7_PS6_S9_NS0_8identityIS6_EEEE10hipError_tT2_T3_mT4_P12ihipStream_tbEUlT_E_NS1_11comp_targetILNS1_3genE2ELNS1_11target_archE906ELNS1_3gpuE6ELNS1_3repE0EEENS1_30default_config_static_selectorELNS0_4arch9wavefront6targetE1EEEvT1_ ; -- Begin function _ZN7rocprim17ROCPRIM_400000_NS6detail17trampoline_kernelINS0_14default_configENS1_25transform_config_selectorIN3c108BFloat16ELb1EEEZNS1_14transform_implILb1ES3_S7_PS6_S9_NS0_8identityIS6_EEEE10hipError_tT2_T3_mT4_P12ihipStream_tbEUlT_E_NS1_11comp_targetILNS1_3genE2ELNS1_11target_archE906ELNS1_3gpuE6ELNS1_3repE0EEENS1_30default_config_static_selectorELNS0_4arch9wavefront6targetE1EEEvT1_
	.globl	_ZN7rocprim17ROCPRIM_400000_NS6detail17trampoline_kernelINS0_14default_configENS1_25transform_config_selectorIN3c108BFloat16ELb1EEEZNS1_14transform_implILb1ES3_S7_PS6_S9_NS0_8identityIS6_EEEE10hipError_tT2_T3_mT4_P12ihipStream_tbEUlT_E_NS1_11comp_targetILNS1_3genE2ELNS1_11target_archE906ELNS1_3gpuE6ELNS1_3repE0EEENS1_30default_config_static_selectorELNS0_4arch9wavefront6targetE1EEEvT1_
	.p2align	8
	.type	_ZN7rocprim17ROCPRIM_400000_NS6detail17trampoline_kernelINS0_14default_configENS1_25transform_config_selectorIN3c108BFloat16ELb1EEEZNS1_14transform_implILb1ES3_S7_PS6_S9_NS0_8identityIS6_EEEE10hipError_tT2_T3_mT4_P12ihipStream_tbEUlT_E_NS1_11comp_targetILNS1_3genE2ELNS1_11target_archE906ELNS1_3gpuE6ELNS1_3repE0EEENS1_30default_config_static_selectorELNS0_4arch9wavefront6targetE1EEEvT1_,@function
_ZN7rocprim17ROCPRIM_400000_NS6detail17trampoline_kernelINS0_14default_configENS1_25transform_config_selectorIN3c108BFloat16ELb1EEEZNS1_14transform_implILb1ES3_S7_PS6_S9_NS0_8identityIS6_EEEE10hipError_tT2_T3_mT4_P12ihipStream_tbEUlT_E_NS1_11comp_targetILNS1_3genE2ELNS1_11target_archE906ELNS1_3gpuE6ELNS1_3repE0EEENS1_30default_config_static_selectorELNS0_4arch9wavefront6targetE1EEEvT1_: ; @_ZN7rocprim17ROCPRIM_400000_NS6detail17trampoline_kernelINS0_14default_configENS1_25transform_config_selectorIN3c108BFloat16ELb1EEEZNS1_14transform_implILb1ES3_S7_PS6_S9_NS0_8identityIS6_EEEE10hipError_tT2_T3_mT4_P12ihipStream_tbEUlT_E_NS1_11comp_targetILNS1_3genE2ELNS1_11target_archE906ELNS1_3gpuE6ELNS1_3repE0EEENS1_30default_config_static_selectorELNS0_4arch9wavefront6targetE1EEEvT1_
; %bb.0:
	.section	.rodata,"a",@progbits
	.p2align	6, 0x0
	.amdhsa_kernel _ZN7rocprim17ROCPRIM_400000_NS6detail17trampoline_kernelINS0_14default_configENS1_25transform_config_selectorIN3c108BFloat16ELb1EEEZNS1_14transform_implILb1ES3_S7_PS6_S9_NS0_8identityIS6_EEEE10hipError_tT2_T3_mT4_P12ihipStream_tbEUlT_E_NS1_11comp_targetILNS1_3genE2ELNS1_11target_archE906ELNS1_3gpuE6ELNS1_3repE0EEENS1_30default_config_static_selectorELNS0_4arch9wavefront6targetE1EEEvT1_
		.amdhsa_group_segment_fixed_size 0
		.amdhsa_private_segment_fixed_size 0
		.amdhsa_kernarg_size 40
		.amdhsa_user_sgpr_count 6
		.amdhsa_user_sgpr_private_segment_buffer 1
		.amdhsa_user_sgpr_dispatch_ptr 0
		.amdhsa_user_sgpr_queue_ptr 0
		.amdhsa_user_sgpr_kernarg_segment_ptr 1
		.amdhsa_user_sgpr_dispatch_id 0
		.amdhsa_user_sgpr_flat_scratch_init 0
		.amdhsa_user_sgpr_kernarg_preload_length 0
		.amdhsa_user_sgpr_kernarg_preload_offset 0
		.amdhsa_user_sgpr_private_segment_size 0
		.amdhsa_uses_dynamic_stack 0
		.amdhsa_system_sgpr_private_segment_wavefront_offset 0
		.amdhsa_system_sgpr_workgroup_id_x 1
		.amdhsa_system_sgpr_workgroup_id_y 0
		.amdhsa_system_sgpr_workgroup_id_z 0
		.amdhsa_system_sgpr_workgroup_info 0
		.amdhsa_system_vgpr_workitem_id 0
		.amdhsa_next_free_vgpr 1
		.amdhsa_next_free_sgpr 0
		.amdhsa_accum_offset 4
		.amdhsa_reserve_vcc 0
		.amdhsa_reserve_flat_scratch 0
		.amdhsa_float_round_mode_32 0
		.amdhsa_float_round_mode_16_64 0
		.amdhsa_float_denorm_mode_32 3
		.amdhsa_float_denorm_mode_16_64 3
		.amdhsa_dx10_clamp 1
		.amdhsa_ieee_mode 1
		.amdhsa_fp16_overflow 0
		.amdhsa_tg_split 0
		.amdhsa_exception_fp_ieee_invalid_op 0
		.amdhsa_exception_fp_denorm_src 0
		.amdhsa_exception_fp_ieee_div_zero 0
		.amdhsa_exception_fp_ieee_overflow 0
		.amdhsa_exception_fp_ieee_underflow 0
		.amdhsa_exception_fp_ieee_inexact 0
		.amdhsa_exception_int_div_zero 0
	.end_amdhsa_kernel
	.section	.text._ZN7rocprim17ROCPRIM_400000_NS6detail17trampoline_kernelINS0_14default_configENS1_25transform_config_selectorIN3c108BFloat16ELb1EEEZNS1_14transform_implILb1ES3_S7_PS6_S9_NS0_8identityIS6_EEEE10hipError_tT2_T3_mT4_P12ihipStream_tbEUlT_E_NS1_11comp_targetILNS1_3genE2ELNS1_11target_archE906ELNS1_3gpuE6ELNS1_3repE0EEENS1_30default_config_static_selectorELNS0_4arch9wavefront6targetE1EEEvT1_,"axG",@progbits,_ZN7rocprim17ROCPRIM_400000_NS6detail17trampoline_kernelINS0_14default_configENS1_25transform_config_selectorIN3c108BFloat16ELb1EEEZNS1_14transform_implILb1ES3_S7_PS6_S9_NS0_8identityIS6_EEEE10hipError_tT2_T3_mT4_P12ihipStream_tbEUlT_E_NS1_11comp_targetILNS1_3genE2ELNS1_11target_archE906ELNS1_3gpuE6ELNS1_3repE0EEENS1_30default_config_static_selectorELNS0_4arch9wavefront6targetE1EEEvT1_,comdat
.Lfunc_end2032:
	.size	_ZN7rocprim17ROCPRIM_400000_NS6detail17trampoline_kernelINS0_14default_configENS1_25transform_config_selectorIN3c108BFloat16ELb1EEEZNS1_14transform_implILb1ES3_S7_PS6_S9_NS0_8identityIS6_EEEE10hipError_tT2_T3_mT4_P12ihipStream_tbEUlT_E_NS1_11comp_targetILNS1_3genE2ELNS1_11target_archE906ELNS1_3gpuE6ELNS1_3repE0EEENS1_30default_config_static_selectorELNS0_4arch9wavefront6targetE1EEEvT1_, .Lfunc_end2032-_ZN7rocprim17ROCPRIM_400000_NS6detail17trampoline_kernelINS0_14default_configENS1_25transform_config_selectorIN3c108BFloat16ELb1EEEZNS1_14transform_implILb1ES3_S7_PS6_S9_NS0_8identityIS6_EEEE10hipError_tT2_T3_mT4_P12ihipStream_tbEUlT_E_NS1_11comp_targetILNS1_3genE2ELNS1_11target_archE906ELNS1_3gpuE6ELNS1_3repE0EEENS1_30default_config_static_selectorELNS0_4arch9wavefront6targetE1EEEvT1_
                                        ; -- End function
	.section	.AMDGPU.csdata,"",@progbits
; Kernel info:
; codeLenInByte = 0
; NumSgprs: 4
; NumVgprs: 0
; NumAgprs: 0
; TotalNumVgprs: 0
; ScratchSize: 0
; MemoryBound: 0
; FloatMode: 240
; IeeeMode: 1
; LDSByteSize: 0 bytes/workgroup (compile time only)
; SGPRBlocks: 0
; VGPRBlocks: 0
; NumSGPRsForWavesPerEU: 4
; NumVGPRsForWavesPerEU: 1
; AccumOffset: 4
; Occupancy: 8
; WaveLimiterHint : 0
; COMPUTE_PGM_RSRC2:SCRATCH_EN: 0
; COMPUTE_PGM_RSRC2:USER_SGPR: 6
; COMPUTE_PGM_RSRC2:TRAP_HANDLER: 0
; COMPUTE_PGM_RSRC2:TGID_X_EN: 1
; COMPUTE_PGM_RSRC2:TGID_Y_EN: 0
; COMPUTE_PGM_RSRC2:TGID_Z_EN: 0
; COMPUTE_PGM_RSRC2:TIDIG_COMP_CNT: 0
; COMPUTE_PGM_RSRC3_GFX90A:ACCUM_OFFSET: 0
; COMPUTE_PGM_RSRC3_GFX90A:TG_SPLIT: 0
	.section	.text._ZN7rocprim17ROCPRIM_400000_NS6detail17trampoline_kernelINS0_14default_configENS1_25transform_config_selectorIN3c108BFloat16ELb1EEEZNS1_14transform_implILb1ES3_S7_PS6_S9_NS0_8identityIS6_EEEE10hipError_tT2_T3_mT4_P12ihipStream_tbEUlT_E_NS1_11comp_targetILNS1_3genE9ELNS1_11target_archE1100ELNS1_3gpuE3ELNS1_3repE0EEENS1_30default_config_static_selectorELNS0_4arch9wavefront6targetE1EEEvT1_,"axG",@progbits,_ZN7rocprim17ROCPRIM_400000_NS6detail17trampoline_kernelINS0_14default_configENS1_25transform_config_selectorIN3c108BFloat16ELb1EEEZNS1_14transform_implILb1ES3_S7_PS6_S9_NS0_8identityIS6_EEEE10hipError_tT2_T3_mT4_P12ihipStream_tbEUlT_E_NS1_11comp_targetILNS1_3genE9ELNS1_11target_archE1100ELNS1_3gpuE3ELNS1_3repE0EEENS1_30default_config_static_selectorELNS0_4arch9wavefront6targetE1EEEvT1_,comdat
	.protected	_ZN7rocprim17ROCPRIM_400000_NS6detail17trampoline_kernelINS0_14default_configENS1_25transform_config_selectorIN3c108BFloat16ELb1EEEZNS1_14transform_implILb1ES3_S7_PS6_S9_NS0_8identityIS6_EEEE10hipError_tT2_T3_mT4_P12ihipStream_tbEUlT_E_NS1_11comp_targetILNS1_3genE9ELNS1_11target_archE1100ELNS1_3gpuE3ELNS1_3repE0EEENS1_30default_config_static_selectorELNS0_4arch9wavefront6targetE1EEEvT1_ ; -- Begin function _ZN7rocprim17ROCPRIM_400000_NS6detail17trampoline_kernelINS0_14default_configENS1_25transform_config_selectorIN3c108BFloat16ELb1EEEZNS1_14transform_implILb1ES3_S7_PS6_S9_NS0_8identityIS6_EEEE10hipError_tT2_T3_mT4_P12ihipStream_tbEUlT_E_NS1_11comp_targetILNS1_3genE9ELNS1_11target_archE1100ELNS1_3gpuE3ELNS1_3repE0EEENS1_30default_config_static_selectorELNS0_4arch9wavefront6targetE1EEEvT1_
	.globl	_ZN7rocprim17ROCPRIM_400000_NS6detail17trampoline_kernelINS0_14default_configENS1_25transform_config_selectorIN3c108BFloat16ELb1EEEZNS1_14transform_implILb1ES3_S7_PS6_S9_NS0_8identityIS6_EEEE10hipError_tT2_T3_mT4_P12ihipStream_tbEUlT_E_NS1_11comp_targetILNS1_3genE9ELNS1_11target_archE1100ELNS1_3gpuE3ELNS1_3repE0EEENS1_30default_config_static_selectorELNS0_4arch9wavefront6targetE1EEEvT1_
	.p2align	8
	.type	_ZN7rocprim17ROCPRIM_400000_NS6detail17trampoline_kernelINS0_14default_configENS1_25transform_config_selectorIN3c108BFloat16ELb1EEEZNS1_14transform_implILb1ES3_S7_PS6_S9_NS0_8identityIS6_EEEE10hipError_tT2_T3_mT4_P12ihipStream_tbEUlT_E_NS1_11comp_targetILNS1_3genE9ELNS1_11target_archE1100ELNS1_3gpuE3ELNS1_3repE0EEENS1_30default_config_static_selectorELNS0_4arch9wavefront6targetE1EEEvT1_,@function
_ZN7rocprim17ROCPRIM_400000_NS6detail17trampoline_kernelINS0_14default_configENS1_25transform_config_selectorIN3c108BFloat16ELb1EEEZNS1_14transform_implILb1ES3_S7_PS6_S9_NS0_8identityIS6_EEEE10hipError_tT2_T3_mT4_P12ihipStream_tbEUlT_E_NS1_11comp_targetILNS1_3genE9ELNS1_11target_archE1100ELNS1_3gpuE3ELNS1_3repE0EEENS1_30default_config_static_selectorELNS0_4arch9wavefront6targetE1EEEvT1_: ; @_ZN7rocprim17ROCPRIM_400000_NS6detail17trampoline_kernelINS0_14default_configENS1_25transform_config_selectorIN3c108BFloat16ELb1EEEZNS1_14transform_implILb1ES3_S7_PS6_S9_NS0_8identityIS6_EEEE10hipError_tT2_T3_mT4_P12ihipStream_tbEUlT_E_NS1_11comp_targetILNS1_3genE9ELNS1_11target_archE1100ELNS1_3gpuE3ELNS1_3repE0EEENS1_30default_config_static_selectorELNS0_4arch9wavefront6targetE1EEEvT1_
; %bb.0:
	.section	.rodata,"a",@progbits
	.p2align	6, 0x0
	.amdhsa_kernel _ZN7rocprim17ROCPRIM_400000_NS6detail17trampoline_kernelINS0_14default_configENS1_25transform_config_selectorIN3c108BFloat16ELb1EEEZNS1_14transform_implILb1ES3_S7_PS6_S9_NS0_8identityIS6_EEEE10hipError_tT2_T3_mT4_P12ihipStream_tbEUlT_E_NS1_11comp_targetILNS1_3genE9ELNS1_11target_archE1100ELNS1_3gpuE3ELNS1_3repE0EEENS1_30default_config_static_selectorELNS0_4arch9wavefront6targetE1EEEvT1_
		.amdhsa_group_segment_fixed_size 0
		.amdhsa_private_segment_fixed_size 0
		.amdhsa_kernarg_size 40
		.amdhsa_user_sgpr_count 6
		.amdhsa_user_sgpr_private_segment_buffer 1
		.amdhsa_user_sgpr_dispatch_ptr 0
		.amdhsa_user_sgpr_queue_ptr 0
		.amdhsa_user_sgpr_kernarg_segment_ptr 1
		.amdhsa_user_sgpr_dispatch_id 0
		.amdhsa_user_sgpr_flat_scratch_init 0
		.amdhsa_user_sgpr_kernarg_preload_length 0
		.amdhsa_user_sgpr_kernarg_preload_offset 0
		.amdhsa_user_sgpr_private_segment_size 0
		.amdhsa_uses_dynamic_stack 0
		.amdhsa_system_sgpr_private_segment_wavefront_offset 0
		.amdhsa_system_sgpr_workgroup_id_x 1
		.amdhsa_system_sgpr_workgroup_id_y 0
		.amdhsa_system_sgpr_workgroup_id_z 0
		.amdhsa_system_sgpr_workgroup_info 0
		.amdhsa_system_vgpr_workitem_id 0
		.amdhsa_next_free_vgpr 1
		.amdhsa_next_free_sgpr 0
		.amdhsa_accum_offset 4
		.amdhsa_reserve_vcc 0
		.amdhsa_reserve_flat_scratch 0
		.amdhsa_float_round_mode_32 0
		.amdhsa_float_round_mode_16_64 0
		.amdhsa_float_denorm_mode_32 3
		.amdhsa_float_denorm_mode_16_64 3
		.amdhsa_dx10_clamp 1
		.amdhsa_ieee_mode 1
		.amdhsa_fp16_overflow 0
		.amdhsa_tg_split 0
		.amdhsa_exception_fp_ieee_invalid_op 0
		.amdhsa_exception_fp_denorm_src 0
		.amdhsa_exception_fp_ieee_div_zero 0
		.amdhsa_exception_fp_ieee_overflow 0
		.amdhsa_exception_fp_ieee_underflow 0
		.amdhsa_exception_fp_ieee_inexact 0
		.amdhsa_exception_int_div_zero 0
	.end_amdhsa_kernel
	.section	.text._ZN7rocprim17ROCPRIM_400000_NS6detail17trampoline_kernelINS0_14default_configENS1_25transform_config_selectorIN3c108BFloat16ELb1EEEZNS1_14transform_implILb1ES3_S7_PS6_S9_NS0_8identityIS6_EEEE10hipError_tT2_T3_mT4_P12ihipStream_tbEUlT_E_NS1_11comp_targetILNS1_3genE9ELNS1_11target_archE1100ELNS1_3gpuE3ELNS1_3repE0EEENS1_30default_config_static_selectorELNS0_4arch9wavefront6targetE1EEEvT1_,"axG",@progbits,_ZN7rocprim17ROCPRIM_400000_NS6detail17trampoline_kernelINS0_14default_configENS1_25transform_config_selectorIN3c108BFloat16ELb1EEEZNS1_14transform_implILb1ES3_S7_PS6_S9_NS0_8identityIS6_EEEE10hipError_tT2_T3_mT4_P12ihipStream_tbEUlT_E_NS1_11comp_targetILNS1_3genE9ELNS1_11target_archE1100ELNS1_3gpuE3ELNS1_3repE0EEENS1_30default_config_static_selectorELNS0_4arch9wavefront6targetE1EEEvT1_,comdat
.Lfunc_end2033:
	.size	_ZN7rocprim17ROCPRIM_400000_NS6detail17trampoline_kernelINS0_14default_configENS1_25transform_config_selectorIN3c108BFloat16ELb1EEEZNS1_14transform_implILb1ES3_S7_PS6_S9_NS0_8identityIS6_EEEE10hipError_tT2_T3_mT4_P12ihipStream_tbEUlT_E_NS1_11comp_targetILNS1_3genE9ELNS1_11target_archE1100ELNS1_3gpuE3ELNS1_3repE0EEENS1_30default_config_static_selectorELNS0_4arch9wavefront6targetE1EEEvT1_, .Lfunc_end2033-_ZN7rocprim17ROCPRIM_400000_NS6detail17trampoline_kernelINS0_14default_configENS1_25transform_config_selectorIN3c108BFloat16ELb1EEEZNS1_14transform_implILb1ES3_S7_PS6_S9_NS0_8identityIS6_EEEE10hipError_tT2_T3_mT4_P12ihipStream_tbEUlT_E_NS1_11comp_targetILNS1_3genE9ELNS1_11target_archE1100ELNS1_3gpuE3ELNS1_3repE0EEENS1_30default_config_static_selectorELNS0_4arch9wavefront6targetE1EEEvT1_
                                        ; -- End function
	.section	.AMDGPU.csdata,"",@progbits
; Kernel info:
; codeLenInByte = 0
; NumSgprs: 4
; NumVgprs: 0
; NumAgprs: 0
; TotalNumVgprs: 0
; ScratchSize: 0
; MemoryBound: 0
; FloatMode: 240
; IeeeMode: 1
; LDSByteSize: 0 bytes/workgroup (compile time only)
; SGPRBlocks: 0
; VGPRBlocks: 0
; NumSGPRsForWavesPerEU: 4
; NumVGPRsForWavesPerEU: 1
; AccumOffset: 4
; Occupancy: 8
; WaveLimiterHint : 0
; COMPUTE_PGM_RSRC2:SCRATCH_EN: 0
; COMPUTE_PGM_RSRC2:USER_SGPR: 6
; COMPUTE_PGM_RSRC2:TRAP_HANDLER: 0
; COMPUTE_PGM_RSRC2:TGID_X_EN: 1
; COMPUTE_PGM_RSRC2:TGID_Y_EN: 0
; COMPUTE_PGM_RSRC2:TGID_Z_EN: 0
; COMPUTE_PGM_RSRC2:TIDIG_COMP_CNT: 0
; COMPUTE_PGM_RSRC3_GFX90A:ACCUM_OFFSET: 0
; COMPUTE_PGM_RSRC3_GFX90A:TG_SPLIT: 0
	.section	.text._ZN7rocprim17ROCPRIM_400000_NS6detail17trampoline_kernelINS0_14default_configENS1_25transform_config_selectorIN3c108BFloat16ELb1EEEZNS1_14transform_implILb1ES3_S7_PS6_S9_NS0_8identityIS6_EEEE10hipError_tT2_T3_mT4_P12ihipStream_tbEUlT_E_NS1_11comp_targetILNS1_3genE8ELNS1_11target_archE1030ELNS1_3gpuE2ELNS1_3repE0EEENS1_30default_config_static_selectorELNS0_4arch9wavefront6targetE1EEEvT1_,"axG",@progbits,_ZN7rocprim17ROCPRIM_400000_NS6detail17trampoline_kernelINS0_14default_configENS1_25transform_config_selectorIN3c108BFloat16ELb1EEEZNS1_14transform_implILb1ES3_S7_PS6_S9_NS0_8identityIS6_EEEE10hipError_tT2_T3_mT4_P12ihipStream_tbEUlT_E_NS1_11comp_targetILNS1_3genE8ELNS1_11target_archE1030ELNS1_3gpuE2ELNS1_3repE0EEENS1_30default_config_static_selectorELNS0_4arch9wavefront6targetE1EEEvT1_,comdat
	.protected	_ZN7rocprim17ROCPRIM_400000_NS6detail17trampoline_kernelINS0_14default_configENS1_25transform_config_selectorIN3c108BFloat16ELb1EEEZNS1_14transform_implILb1ES3_S7_PS6_S9_NS0_8identityIS6_EEEE10hipError_tT2_T3_mT4_P12ihipStream_tbEUlT_E_NS1_11comp_targetILNS1_3genE8ELNS1_11target_archE1030ELNS1_3gpuE2ELNS1_3repE0EEENS1_30default_config_static_selectorELNS0_4arch9wavefront6targetE1EEEvT1_ ; -- Begin function _ZN7rocprim17ROCPRIM_400000_NS6detail17trampoline_kernelINS0_14default_configENS1_25transform_config_selectorIN3c108BFloat16ELb1EEEZNS1_14transform_implILb1ES3_S7_PS6_S9_NS0_8identityIS6_EEEE10hipError_tT2_T3_mT4_P12ihipStream_tbEUlT_E_NS1_11comp_targetILNS1_3genE8ELNS1_11target_archE1030ELNS1_3gpuE2ELNS1_3repE0EEENS1_30default_config_static_selectorELNS0_4arch9wavefront6targetE1EEEvT1_
	.globl	_ZN7rocprim17ROCPRIM_400000_NS6detail17trampoline_kernelINS0_14default_configENS1_25transform_config_selectorIN3c108BFloat16ELb1EEEZNS1_14transform_implILb1ES3_S7_PS6_S9_NS0_8identityIS6_EEEE10hipError_tT2_T3_mT4_P12ihipStream_tbEUlT_E_NS1_11comp_targetILNS1_3genE8ELNS1_11target_archE1030ELNS1_3gpuE2ELNS1_3repE0EEENS1_30default_config_static_selectorELNS0_4arch9wavefront6targetE1EEEvT1_
	.p2align	8
	.type	_ZN7rocprim17ROCPRIM_400000_NS6detail17trampoline_kernelINS0_14default_configENS1_25transform_config_selectorIN3c108BFloat16ELb1EEEZNS1_14transform_implILb1ES3_S7_PS6_S9_NS0_8identityIS6_EEEE10hipError_tT2_T3_mT4_P12ihipStream_tbEUlT_E_NS1_11comp_targetILNS1_3genE8ELNS1_11target_archE1030ELNS1_3gpuE2ELNS1_3repE0EEENS1_30default_config_static_selectorELNS0_4arch9wavefront6targetE1EEEvT1_,@function
_ZN7rocprim17ROCPRIM_400000_NS6detail17trampoline_kernelINS0_14default_configENS1_25transform_config_selectorIN3c108BFloat16ELb1EEEZNS1_14transform_implILb1ES3_S7_PS6_S9_NS0_8identityIS6_EEEE10hipError_tT2_T3_mT4_P12ihipStream_tbEUlT_E_NS1_11comp_targetILNS1_3genE8ELNS1_11target_archE1030ELNS1_3gpuE2ELNS1_3repE0EEENS1_30default_config_static_selectorELNS0_4arch9wavefront6targetE1EEEvT1_: ; @_ZN7rocprim17ROCPRIM_400000_NS6detail17trampoline_kernelINS0_14default_configENS1_25transform_config_selectorIN3c108BFloat16ELb1EEEZNS1_14transform_implILb1ES3_S7_PS6_S9_NS0_8identityIS6_EEEE10hipError_tT2_T3_mT4_P12ihipStream_tbEUlT_E_NS1_11comp_targetILNS1_3genE8ELNS1_11target_archE1030ELNS1_3gpuE2ELNS1_3repE0EEENS1_30default_config_static_selectorELNS0_4arch9wavefront6targetE1EEEvT1_
; %bb.0:
	.section	.rodata,"a",@progbits
	.p2align	6, 0x0
	.amdhsa_kernel _ZN7rocprim17ROCPRIM_400000_NS6detail17trampoline_kernelINS0_14default_configENS1_25transform_config_selectorIN3c108BFloat16ELb1EEEZNS1_14transform_implILb1ES3_S7_PS6_S9_NS0_8identityIS6_EEEE10hipError_tT2_T3_mT4_P12ihipStream_tbEUlT_E_NS1_11comp_targetILNS1_3genE8ELNS1_11target_archE1030ELNS1_3gpuE2ELNS1_3repE0EEENS1_30default_config_static_selectorELNS0_4arch9wavefront6targetE1EEEvT1_
		.amdhsa_group_segment_fixed_size 0
		.amdhsa_private_segment_fixed_size 0
		.amdhsa_kernarg_size 40
		.amdhsa_user_sgpr_count 6
		.amdhsa_user_sgpr_private_segment_buffer 1
		.amdhsa_user_sgpr_dispatch_ptr 0
		.amdhsa_user_sgpr_queue_ptr 0
		.amdhsa_user_sgpr_kernarg_segment_ptr 1
		.amdhsa_user_sgpr_dispatch_id 0
		.amdhsa_user_sgpr_flat_scratch_init 0
		.amdhsa_user_sgpr_kernarg_preload_length 0
		.amdhsa_user_sgpr_kernarg_preload_offset 0
		.amdhsa_user_sgpr_private_segment_size 0
		.amdhsa_uses_dynamic_stack 0
		.amdhsa_system_sgpr_private_segment_wavefront_offset 0
		.amdhsa_system_sgpr_workgroup_id_x 1
		.amdhsa_system_sgpr_workgroup_id_y 0
		.amdhsa_system_sgpr_workgroup_id_z 0
		.amdhsa_system_sgpr_workgroup_info 0
		.amdhsa_system_vgpr_workitem_id 0
		.amdhsa_next_free_vgpr 1
		.amdhsa_next_free_sgpr 0
		.amdhsa_accum_offset 4
		.amdhsa_reserve_vcc 0
		.amdhsa_reserve_flat_scratch 0
		.amdhsa_float_round_mode_32 0
		.amdhsa_float_round_mode_16_64 0
		.amdhsa_float_denorm_mode_32 3
		.amdhsa_float_denorm_mode_16_64 3
		.amdhsa_dx10_clamp 1
		.amdhsa_ieee_mode 1
		.amdhsa_fp16_overflow 0
		.amdhsa_tg_split 0
		.amdhsa_exception_fp_ieee_invalid_op 0
		.amdhsa_exception_fp_denorm_src 0
		.amdhsa_exception_fp_ieee_div_zero 0
		.amdhsa_exception_fp_ieee_overflow 0
		.amdhsa_exception_fp_ieee_underflow 0
		.amdhsa_exception_fp_ieee_inexact 0
		.amdhsa_exception_int_div_zero 0
	.end_amdhsa_kernel
	.section	.text._ZN7rocprim17ROCPRIM_400000_NS6detail17trampoline_kernelINS0_14default_configENS1_25transform_config_selectorIN3c108BFloat16ELb1EEEZNS1_14transform_implILb1ES3_S7_PS6_S9_NS0_8identityIS6_EEEE10hipError_tT2_T3_mT4_P12ihipStream_tbEUlT_E_NS1_11comp_targetILNS1_3genE8ELNS1_11target_archE1030ELNS1_3gpuE2ELNS1_3repE0EEENS1_30default_config_static_selectorELNS0_4arch9wavefront6targetE1EEEvT1_,"axG",@progbits,_ZN7rocprim17ROCPRIM_400000_NS6detail17trampoline_kernelINS0_14default_configENS1_25transform_config_selectorIN3c108BFloat16ELb1EEEZNS1_14transform_implILb1ES3_S7_PS6_S9_NS0_8identityIS6_EEEE10hipError_tT2_T3_mT4_P12ihipStream_tbEUlT_E_NS1_11comp_targetILNS1_3genE8ELNS1_11target_archE1030ELNS1_3gpuE2ELNS1_3repE0EEENS1_30default_config_static_selectorELNS0_4arch9wavefront6targetE1EEEvT1_,comdat
.Lfunc_end2034:
	.size	_ZN7rocprim17ROCPRIM_400000_NS6detail17trampoline_kernelINS0_14default_configENS1_25transform_config_selectorIN3c108BFloat16ELb1EEEZNS1_14transform_implILb1ES3_S7_PS6_S9_NS0_8identityIS6_EEEE10hipError_tT2_T3_mT4_P12ihipStream_tbEUlT_E_NS1_11comp_targetILNS1_3genE8ELNS1_11target_archE1030ELNS1_3gpuE2ELNS1_3repE0EEENS1_30default_config_static_selectorELNS0_4arch9wavefront6targetE1EEEvT1_, .Lfunc_end2034-_ZN7rocprim17ROCPRIM_400000_NS6detail17trampoline_kernelINS0_14default_configENS1_25transform_config_selectorIN3c108BFloat16ELb1EEEZNS1_14transform_implILb1ES3_S7_PS6_S9_NS0_8identityIS6_EEEE10hipError_tT2_T3_mT4_P12ihipStream_tbEUlT_E_NS1_11comp_targetILNS1_3genE8ELNS1_11target_archE1030ELNS1_3gpuE2ELNS1_3repE0EEENS1_30default_config_static_selectorELNS0_4arch9wavefront6targetE1EEEvT1_
                                        ; -- End function
	.section	.AMDGPU.csdata,"",@progbits
; Kernel info:
; codeLenInByte = 0
; NumSgprs: 4
; NumVgprs: 0
; NumAgprs: 0
; TotalNumVgprs: 0
; ScratchSize: 0
; MemoryBound: 0
; FloatMode: 240
; IeeeMode: 1
; LDSByteSize: 0 bytes/workgroup (compile time only)
; SGPRBlocks: 0
; VGPRBlocks: 0
; NumSGPRsForWavesPerEU: 4
; NumVGPRsForWavesPerEU: 1
; AccumOffset: 4
; Occupancy: 8
; WaveLimiterHint : 0
; COMPUTE_PGM_RSRC2:SCRATCH_EN: 0
; COMPUTE_PGM_RSRC2:USER_SGPR: 6
; COMPUTE_PGM_RSRC2:TRAP_HANDLER: 0
; COMPUTE_PGM_RSRC2:TGID_X_EN: 1
; COMPUTE_PGM_RSRC2:TGID_Y_EN: 0
; COMPUTE_PGM_RSRC2:TGID_Z_EN: 0
; COMPUTE_PGM_RSRC2:TIDIG_COMP_CNT: 0
; COMPUTE_PGM_RSRC3_GFX90A:ACCUM_OFFSET: 0
; COMPUTE_PGM_RSRC3_GFX90A:TG_SPLIT: 0
	.section	.text._ZN7rocprim17ROCPRIM_400000_NS6detail17trampoline_kernelINS0_14default_configENS1_22reduce_config_selectorIiEEZNS1_11reduce_implILb1ES3_N6thrust23THRUST_200600_302600_NS11hip_rocprim35transform_pair_of_input_iterators_tIiPN3c108BFloat16ESD_NS8_12not_equal_toISC_EEEEPiiNS8_4plusIiEEEE10hipError_tPvRmT1_T2_T3_mT4_P12ihipStream_tbEUlT_E0_NS1_11comp_targetILNS1_3genE0ELNS1_11target_archE4294967295ELNS1_3gpuE0ELNS1_3repE0EEENS1_30default_config_static_selectorELNS0_4arch9wavefront6targetE1EEEvSN_,"axG",@progbits,_ZN7rocprim17ROCPRIM_400000_NS6detail17trampoline_kernelINS0_14default_configENS1_22reduce_config_selectorIiEEZNS1_11reduce_implILb1ES3_N6thrust23THRUST_200600_302600_NS11hip_rocprim35transform_pair_of_input_iterators_tIiPN3c108BFloat16ESD_NS8_12not_equal_toISC_EEEEPiiNS8_4plusIiEEEE10hipError_tPvRmT1_T2_T3_mT4_P12ihipStream_tbEUlT_E0_NS1_11comp_targetILNS1_3genE0ELNS1_11target_archE4294967295ELNS1_3gpuE0ELNS1_3repE0EEENS1_30default_config_static_selectorELNS0_4arch9wavefront6targetE1EEEvSN_,comdat
	.protected	_ZN7rocprim17ROCPRIM_400000_NS6detail17trampoline_kernelINS0_14default_configENS1_22reduce_config_selectorIiEEZNS1_11reduce_implILb1ES3_N6thrust23THRUST_200600_302600_NS11hip_rocprim35transform_pair_of_input_iterators_tIiPN3c108BFloat16ESD_NS8_12not_equal_toISC_EEEEPiiNS8_4plusIiEEEE10hipError_tPvRmT1_T2_T3_mT4_P12ihipStream_tbEUlT_E0_NS1_11comp_targetILNS1_3genE0ELNS1_11target_archE4294967295ELNS1_3gpuE0ELNS1_3repE0EEENS1_30default_config_static_selectorELNS0_4arch9wavefront6targetE1EEEvSN_ ; -- Begin function _ZN7rocprim17ROCPRIM_400000_NS6detail17trampoline_kernelINS0_14default_configENS1_22reduce_config_selectorIiEEZNS1_11reduce_implILb1ES3_N6thrust23THRUST_200600_302600_NS11hip_rocprim35transform_pair_of_input_iterators_tIiPN3c108BFloat16ESD_NS8_12not_equal_toISC_EEEEPiiNS8_4plusIiEEEE10hipError_tPvRmT1_T2_T3_mT4_P12ihipStream_tbEUlT_E0_NS1_11comp_targetILNS1_3genE0ELNS1_11target_archE4294967295ELNS1_3gpuE0ELNS1_3repE0EEENS1_30default_config_static_selectorELNS0_4arch9wavefront6targetE1EEEvSN_
	.globl	_ZN7rocprim17ROCPRIM_400000_NS6detail17trampoline_kernelINS0_14default_configENS1_22reduce_config_selectorIiEEZNS1_11reduce_implILb1ES3_N6thrust23THRUST_200600_302600_NS11hip_rocprim35transform_pair_of_input_iterators_tIiPN3c108BFloat16ESD_NS8_12not_equal_toISC_EEEEPiiNS8_4plusIiEEEE10hipError_tPvRmT1_T2_T3_mT4_P12ihipStream_tbEUlT_E0_NS1_11comp_targetILNS1_3genE0ELNS1_11target_archE4294967295ELNS1_3gpuE0ELNS1_3repE0EEENS1_30default_config_static_selectorELNS0_4arch9wavefront6targetE1EEEvSN_
	.p2align	8
	.type	_ZN7rocprim17ROCPRIM_400000_NS6detail17trampoline_kernelINS0_14default_configENS1_22reduce_config_selectorIiEEZNS1_11reduce_implILb1ES3_N6thrust23THRUST_200600_302600_NS11hip_rocprim35transform_pair_of_input_iterators_tIiPN3c108BFloat16ESD_NS8_12not_equal_toISC_EEEEPiiNS8_4plusIiEEEE10hipError_tPvRmT1_T2_T3_mT4_P12ihipStream_tbEUlT_E0_NS1_11comp_targetILNS1_3genE0ELNS1_11target_archE4294967295ELNS1_3gpuE0ELNS1_3repE0EEENS1_30default_config_static_selectorELNS0_4arch9wavefront6targetE1EEEvSN_,@function
_ZN7rocprim17ROCPRIM_400000_NS6detail17trampoline_kernelINS0_14default_configENS1_22reduce_config_selectorIiEEZNS1_11reduce_implILb1ES3_N6thrust23THRUST_200600_302600_NS11hip_rocprim35transform_pair_of_input_iterators_tIiPN3c108BFloat16ESD_NS8_12not_equal_toISC_EEEEPiiNS8_4plusIiEEEE10hipError_tPvRmT1_T2_T3_mT4_P12ihipStream_tbEUlT_E0_NS1_11comp_targetILNS1_3genE0ELNS1_11target_archE4294967295ELNS1_3gpuE0ELNS1_3repE0EEENS1_30default_config_static_selectorELNS0_4arch9wavefront6targetE1EEEvSN_: ; @_ZN7rocprim17ROCPRIM_400000_NS6detail17trampoline_kernelINS0_14default_configENS1_22reduce_config_selectorIiEEZNS1_11reduce_implILb1ES3_N6thrust23THRUST_200600_302600_NS11hip_rocprim35transform_pair_of_input_iterators_tIiPN3c108BFloat16ESD_NS8_12not_equal_toISC_EEEEPiiNS8_4plusIiEEEE10hipError_tPvRmT1_T2_T3_mT4_P12ihipStream_tbEUlT_E0_NS1_11comp_targetILNS1_3genE0ELNS1_11target_archE4294967295ELNS1_3gpuE0ELNS1_3repE0EEENS1_30default_config_static_selectorELNS0_4arch9wavefront6targetE1EEEvSN_
; %bb.0:
	.section	.rodata,"a",@progbits
	.p2align	6, 0x0
	.amdhsa_kernel _ZN7rocprim17ROCPRIM_400000_NS6detail17trampoline_kernelINS0_14default_configENS1_22reduce_config_selectorIiEEZNS1_11reduce_implILb1ES3_N6thrust23THRUST_200600_302600_NS11hip_rocprim35transform_pair_of_input_iterators_tIiPN3c108BFloat16ESD_NS8_12not_equal_toISC_EEEEPiiNS8_4plusIiEEEE10hipError_tPvRmT1_T2_T3_mT4_P12ihipStream_tbEUlT_E0_NS1_11comp_targetILNS1_3genE0ELNS1_11target_archE4294967295ELNS1_3gpuE0ELNS1_3repE0EEENS1_30default_config_static_selectorELNS0_4arch9wavefront6targetE1EEEvSN_
		.amdhsa_group_segment_fixed_size 0
		.amdhsa_private_segment_fixed_size 0
		.amdhsa_kernarg_size 72
		.amdhsa_user_sgpr_count 6
		.amdhsa_user_sgpr_private_segment_buffer 1
		.amdhsa_user_sgpr_dispatch_ptr 0
		.amdhsa_user_sgpr_queue_ptr 0
		.amdhsa_user_sgpr_kernarg_segment_ptr 1
		.amdhsa_user_sgpr_dispatch_id 0
		.amdhsa_user_sgpr_flat_scratch_init 0
		.amdhsa_user_sgpr_kernarg_preload_length 0
		.amdhsa_user_sgpr_kernarg_preload_offset 0
		.amdhsa_user_sgpr_private_segment_size 0
		.amdhsa_uses_dynamic_stack 0
		.amdhsa_system_sgpr_private_segment_wavefront_offset 0
		.amdhsa_system_sgpr_workgroup_id_x 1
		.amdhsa_system_sgpr_workgroup_id_y 0
		.amdhsa_system_sgpr_workgroup_id_z 0
		.amdhsa_system_sgpr_workgroup_info 0
		.amdhsa_system_vgpr_workitem_id 0
		.amdhsa_next_free_vgpr 1
		.amdhsa_next_free_sgpr 0
		.amdhsa_accum_offset 4
		.amdhsa_reserve_vcc 0
		.amdhsa_reserve_flat_scratch 0
		.amdhsa_float_round_mode_32 0
		.amdhsa_float_round_mode_16_64 0
		.amdhsa_float_denorm_mode_32 3
		.amdhsa_float_denorm_mode_16_64 3
		.amdhsa_dx10_clamp 1
		.amdhsa_ieee_mode 1
		.amdhsa_fp16_overflow 0
		.amdhsa_tg_split 0
		.amdhsa_exception_fp_ieee_invalid_op 0
		.amdhsa_exception_fp_denorm_src 0
		.amdhsa_exception_fp_ieee_div_zero 0
		.amdhsa_exception_fp_ieee_overflow 0
		.amdhsa_exception_fp_ieee_underflow 0
		.amdhsa_exception_fp_ieee_inexact 0
		.amdhsa_exception_int_div_zero 0
	.end_amdhsa_kernel
	.section	.text._ZN7rocprim17ROCPRIM_400000_NS6detail17trampoline_kernelINS0_14default_configENS1_22reduce_config_selectorIiEEZNS1_11reduce_implILb1ES3_N6thrust23THRUST_200600_302600_NS11hip_rocprim35transform_pair_of_input_iterators_tIiPN3c108BFloat16ESD_NS8_12not_equal_toISC_EEEEPiiNS8_4plusIiEEEE10hipError_tPvRmT1_T2_T3_mT4_P12ihipStream_tbEUlT_E0_NS1_11comp_targetILNS1_3genE0ELNS1_11target_archE4294967295ELNS1_3gpuE0ELNS1_3repE0EEENS1_30default_config_static_selectorELNS0_4arch9wavefront6targetE1EEEvSN_,"axG",@progbits,_ZN7rocprim17ROCPRIM_400000_NS6detail17trampoline_kernelINS0_14default_configENS1_22reduce_config_selectorIiEEZNS1_11reduce_implILb1ES3_N6thrust23THRUST_200600_302600_NS11hip_rocprim35transform_pair_of_input_iterators_tIiPN3c108BFloat16ESD_NS8_12not_equal_toISC_EEEEPiiNS8_4plusIiEEEE10hipError_tPvRmT1_T2_T3_mT4_P12ihipStream_tbEUlT_E0_NS1_11comp_targetILNS1_3genE0ELNS1_11target_archE4294967295ELNS1_3gpuE0ELNS1_3repE0EEENS1_30default_config_static_selectorELNS0_4arch9wavefront6targetE1EEEvSN_,comdat
.Lfunc_end2035:
	.size	_ZN7rocprim17ROCPRIM_400000_NS6detail17trampoline_kernelINS0_14default_configENS1_22reduce_config_selectorIiEEZNS1_11reduce_implILb1ES3_N6thrust23THRUST_200600_302600_NS11hip_rocprim35transform_pair_of_input_iterators_tIiPN3c108BFloat16ESD_NS8_12not_equal_toISC_EEEEPiiNS8_4plusIiEEEE10hipError_tPvRmT1_T2_T3_mT4_P12ihipStream_tbEUlT_E0_NS1_11comp_targetILNS1_3genE0ELNS1_11target_archE4294967295ELNS1_3gpuE0ELNS1_3repE0EEENS1_30default_config_static_selectorELNS0_4arch9wavefront6targetE1EEEvSN_, .Lfunc_end2035-_ZN7rocprim17ROCPRIM_400000_NS6detail17trampoline_kernelINS0_14default_configENS1_22reduce_config_selectorIiEEZNS1_11reduce_implILb1ES3_N6thrust23THRUST_200600_302600_NS11hip_rocprim35transform_pair_of_input_iterators_tIiPN3c108BFloat16ESD_NS8_12not_equal_toISC_EEEEPiiNS8_4plusIiEEEE10hipError_tPvRmT1_T2_T3_mT4_P12ihipStream_tbEUlT_E0_NS1_11comp_targetILNS1_3genE0ELNS1_11target_archE4294967295ELNS1_3gpuE0ELNS1_3repE0EEENS1_30default_config_static_selectorELNS0_4arch9wavefront6targetE1EEEvSN_
                                        ; -- End function
	.section	.AMDGPU.csdata,"",@progbits
; Kernel info:
; codeLenInByte = 0
; NumSgprs: 4
; NumVgprs: 0
; NumAgprs: 0
; TotalNumVgprs: 0
; ScratchSize: 0
; MemoryBound: 0
; FloatMode: 240
; IeeeMode: 1
; LDSByteSize: 0 bytes/workgroup (compile time only)
; SGPRBlocks: 0
; VGPRBlocks: 0
; NumSGPRsForWavesPerEU: 4
; NumVGPRsForWavesPerEU: 1
; AccumOffset: 4
; Occupancy: 8
; WaveLimiterHint : 0
; COMPUTE_PGM_RSRC2:SCRATCH_EN: 0
; COMPUTE_PGM_RSRC2:USER_SGPR: 6
; COMPUTE_PGM_RSRC2:TRAP_HANDLER: 0
; COMPUTE_PGM_RSRC2:TGID_X_EN: 1
; COMPUTE_PGM_RSRC2:TGID_Y_EN: 0
; COMPUTE_PGM_RSRC2:TGID_Z_EN: 0
; COMPUTE_PGM_RSRC2:TIDIG_COMP_CNT: 0
; COMPUTE_PGM_RSRC3_GFX90A:ACCUM_OFFSET: 0
; COMPUTE_PGM_RSRC3_GFX90A:TG_SPLIT: 0
	.section	.text._ZN7rocprim17ROCPRIM_400000_NS6detail17trampoline_kernelINS0_14default_configENS1_22reduce_config_selectorIiEEZNS1_11reduce_implILb1ES3_N6thrust23THRUST_200600_302600_NS11hip_rocprim35transform_pair_of_input_iterators_tIiPN3c108BFloat16ESD_NS8_12not_equal_toISC_EEEEPiiNS8_4plusIiEEEE10hipError_tPvRmT1_T2_T3_mT4_P12ihipStream_tbEUlT_E0_NS1_11comp_targetILNS1_3genE5ELNS1_11target_archE942ELNS1_3gpuE9ELNS1_3repE0EEENS1_30default_config_static_selectorELNS0_4arch9wavefront6targetE1EEEvSN_,"axG",@progbits,_ZN7rocprim17ROCPRIM_400000_NS6detail17trampoline_kernelINS0_14default_configENS1_22reduce_config_selectorIiEEZNS1_11reduce_implILb1ES3_N6thrust23THRUST_200600_302600_NS11hip_rocprim35transform_pair_of_input_iterators_tIiPN3c108BFloat16ESD_NS8_12not_equal_toISC_EEEEPiiNS8_4plusIiEEEE10hipError_tPvRmT1_T2_T3_mT4_P12ihipStream_tbEUlT_E0_NS1_11comp_targetILNS1_3genE5ELNS1_11target_archE942ELNS1_3gpuE9ELNS1_3repE0EEENS1_30default_config_static_selectorELNS0_4arch9wavefront6targetE1EEEvSN_,comdat
	.protected	_ZN7rocprim17ROCPRIM_400000_NS6detail17trampoline_kernelINS0_14default_configENS1_22reduce_config_selectorIiEEZNS1_11reduce_implILb1ES3_N6thrust23THRUST_200600_302600_NS11hip_rocprim35transform_pair_of_input_iterators_tIiPN3c108BFloat16ESD_NS8_12not_equal_toISC_EEEEPiiNS8_4plusIiEEEE10hipError_tPvRmT1_T2_T3_mT4_P12ihipStream_tbEUlT_E0_NS1_11comp_targetILNS1_3genE5ELNS1_11target_archE942ELNS1_3gpuE9ELNS1_3repE0EEENS1_30default_config_static_selectorELNS0_4arch9wavefront6targetE1EEEvSN_ ; -- Begin function _ZN7rocprim17ROCPRIM_400000_NS6detail17trampoline_kernelINS0_14default_configENS1_22reduce_config_selectorIiEEZNS1_11reduce_implILb1ES3_N6thrust23THRUST_200600_302600_NS11hip_rocprim35transform_pair_of_input_iterators_tIiPN3c108BFloat16ESD_NS8_12not_equal_toISC_EEEEPiiNS8_4plusIiEEEE10hipError_tPvRmT1_T2_T3_mT4_P12ihipStream_tbEUlT_E0_NS1_11comp_targetILNS1_3genE5ELNS1_11target_archE942ELNS1_3gpuE9ELNS1_3repE0EEENS1_30default_config_static_selectorELNS0_4arch9wavefront6targetE1EEEvSN_
	.globl	_ZN7rocprim17ROCPRIM_400000_NS6detail17trampoline_kernelINS0_14default_configENS1_22reduce_config_selectorIiEEZNS1_11reduce_implILb1ES3_N6thrust23THRUST_200600_302600_NS11hip_rocprim35transform_pair_of_input_iterators_tIiPN3c108BFloat16ESD_NS8_12not_equal_toISC_EEEEPiiNS8_4plusIiEEEE10hipError_tPvRmT1_T2_T3_mT4_P12ihipStream_tbEUlT_E0_NS1_11comp_targetILNS1_3genE5ELNS1_11target_archE942ELNS1_3gpuE9ELNS1_3repE0EEENS1_30default_config_static_selectorELNS0_4arch9wavefront6targetE1EEEvSN_
	.p2align	8
	.type	_ZN7rocprim17ROCPRIM_400000_NS6detail17trampoline_kernelINS0_14default_configENS1_22reduce_config_selectorIiEEZNS1_11reduce_implILb1ES3_N6thrust23THRUST_200600_302600_NS11hip_rocprim35transform_pair_of_input_iterators_tIiPN3c108BFloat16ESD_NS8_12not_equal_toISC_EEEEPiiNS8_4plusIiEEEE10hipError_tPvRmT1_T2_T3_mT4_P12ihipStream_tbEUlT_E0_NS1_11comp_targetILNS1_3genE5ELNS1_11target_archE942ELNS1_3gpuE9ELNS1_3repE0EEENS1_30default_config_static_selectorELNS0_4arch9wavefront6targetE1EEEvSN_,@function
_ZN7rocprim17ROCPRIM_400000_NS6detail17trampoline_kernelINS0_14default_configENS1_22reduce_config_selectorIiEEZNS1_11reduce_implILb1ES3_N6thrust23THRUST_200600_302600_NS11hip_rocprim35transform_pair_of_input_iterators_tIiPN3c108BFloat16ESD_NS8_12not_equal_toISC_EEEEPiiNS8_4plusIiEEEE10hipError_tPvRmT1_T2_T3_mT4_P12ihipStream_tbEUlT_E0_NS1_11comp_targetILNS1_3genE5ELNS1_11target_archE942ELNS1_3gpuE9ELNS1_3repE0EEENS1_30default_config_static_selectorELNS0_4arch9wavefront6targetE1EEEvSN_: ; @_ZN7rocprim17ROCPRIM_400000_NS6detail17trampoline_kernelINS0_14default_configENS1_22reduce_config_selectorIiEEZNS1_11reduce_implILb1ES3_N6thrust23THRUST_200600_302600_NS11hip_rocprim35transform_pair_of_input_iterators_tIiPN3c108BFloat16ESD_NS8_12not_equal_toISC_EEEEPiiNS8_4plusIiEEEE10hipError_tPvRmT1_T2_T3_mT4_P12ihipStream_tbEUlT_E0_NS1_11comp_targetILNS1_3genE5ELNS1_11target_archE942ELNS1_3gpuE9ELNS1_3repE0EEENS1_30default_config_static_selectorELNS0_4arch9wavefront6targetE1EEEvSN_
; %bb.0:
	.section	.rodata,"a",@progbits
	.p2align	6, 0x0
	.amdhsa_kernel _ZN7rocprim17ROCPRIM_400000_NS6detail17trampoline_kernelINS0_14default_configENS1_22reduce_config_selectorIiEEZNS1_11reduce_implILb1ES3_N6thrust23THRUST_200600_302600_NS11hip_rocprim35transform_pair_of_input_iterators_tIiPN3c108BFloat16ESD_NS8_12not_equal_toISC_EEEEPiiNS8_4plusIiEEEE10hipError_tPvRmT1_T2_T3_mT4_P12ihipStream_tbEUlT_E0_NS1_11comp_targetILNS1_3genE5ELNS1_11target_archE942ELNS1_3gpuE9ELNS1_3repE0EEENS1_30default_config_static_selectorELNS0_4arch9wavefront6targetE1EEEvSN_
		.amdhsa_group_segment_fixed_size 0
		.amdhsa_private_segment_fixed_size 0
		.amdhsa_kernarg_size 72
		.amdhsa_user_sgpr_count 6
		.amdhsa_user_sgpr_private_segment_buffer 1
		.amdhsa_user_sgpr_dispatch_ptr 0
		.amdhsa_user_sgpr_queue_ptr 0
		.amdhsa_user_sgpr_kernarg_segment_ptr 1
		.amdhsa_user_sgpr_dispatch_id 0
		.amdhsa_user_sgpr_flat_scratch_init 0
		.amdhsa_user_sgpr_kernarg_preload_length 0
		.amdhsa_user_sgpr_kernarg_preload_offset 0
		.amdhsa_user_sgpr_private_segment_size 0
		.amdhsa_uses_dynamic_stack 0
		.amdhsa_system_sgpr_private_segment_wavefront_offset 0
		.amdhsa_system_sgpr_workgroup_id_x 1
		.amdhsa_system_sgpr_workgroup_id_y 0
		.amdhsa_system_sgpr_workgroup_id_z 0
		.amdhsa_system_sgpr_workgroup_info 0
		.amdhsa_system_vgpr_workitem_id 0
		.amdhsa_next_free_vgpr 1
		.amdhsa_next_free_sgpr 0
		.amdhsa_accum_offset 4
		.amdhsa_reserve_vcc 0
		.amdhsa_reserve_flat_scratch 0
		.amdhsa_float_round_mode_32 0
		.amdhsa_float_round_mode_16_64 0
		.amdhsa_float_denorm_mode_32 3
		.amdhsa_float_denorm_mode_16_64 3
		.amdhsa_dx10_clamp 1
		.amdhsa_ieee_mode 1
		.amdhsa_fp16_overflow 0
		.amdhsa_tg_split 0
		.amdhsa_exception_fp_ieee_invalid_op 0
		.amdhsa_exception_fp_denorm_src 0
		.amdhsa_exception_fp_ieee_div_zero 0
		.amdhsa_exception_fp_ieee_overflow 0
		.amdhsa_exception_fp_ieee_underflow 0
		.amdhsa_exception_fp_ieee_inexact 0
		.amdhsa_exception_int_div_zero 0
	.end_amdhsa_kernel
	.section	.text._ZN7rocprim17ROCPRIM_400000_NS6detail17trampoline_kernelINS0_14default_configENS1_22reduce_config_selectorIiEEZNS1_11reduce_implILb1ES3_N6thrust23THRUST_200600_302600_NS11hip_rocprim35transform_pair_of_input_iterators_tIiPN3c108BFloat16ESD_NS8_12not_equal_toISC_EEEEPiiNS8_4plusIiEEEE10hipError_tPvRmT1_T2_T3_mT4_P12ihipStream_tbEUlT_E0_NS1_11comp_targetILNS1_3genE5ELNS1_11target_archE942ELNS1_3gpuE9ELNS1_3repE0EEENS1_30default_config_static_selectorELNS0_4arch9wavefront6targetE1EEEvSN_,"axG",@progbits,_ZN7rocprim17ROCPRIM_400000_NS6detail17trampoline_kernelINS0_14default_configENS1_22reduce_config_selectorIiEEZNS1_11reduce_implILb1ES3_N6thrust23THRUST_200600_302600_NS11hip_rocprim35transform_pair_of_input_iterators_tIiPN3c108BFloat16ESD_NS8_12not_equal_toISC_EEEEPiiNS8_4plusIiEEEE10hipError_tPvRmT1_T2_T3_mT4_P12ihipStream_tbEUlT_E0_NS1_11comp_targetILNS1_3genE5ELNS1_11target_archE942ELNS1_3gpuE9ELNS1_3repE0EEENS1_30default_config_static_selectorELNS0_4arch9wavefront6targetE1EEEvSN_,comdat
.Lfunc_end2036:
	.size	_ZN7rocprim17ROCPRIM_400000_NS6detail17trampoline_kernelINS0_14default_configENS1_22reduce_config_selectorIiEEZNS1_11reduce_implILb1ES3_N6thrust23THRUST_200600_302600_NS11hip_rocprim35transform_pair_of_input_iterators_tIiPN3c108BFloat16ESD_NS8_12not_equal_toISC_EEEEPiiNS8_4plusIiEEEE10hipError_tPvRmT1_T2_T3_mT4_P12ihipStream_tbEUlT_E0_NS1_11comp_targetILNS1_3genE5ELNS1_11target_archE942ELNS1_3gpuE9ELNS1_3repE0EEENS1_30default_config_static_selectorELNS0_4arch9wavefront6targetE1EEEvSN_, .Lfunc_end2036-_ZN7rocprim17ROCPRIM_400000_NS6detail17trampoline_kernelINS0_14default_configENS1_22reduce_config_selectorIiEEZNS1_11reduce_implILb1ES3_N6thrust23THRUST_200600_302600_NS11hip_rocprim35transform_pair_of_input_iterators_tIiPN3c108BFloat16ESD_NS8_12not_equal_toISC_EEEEPiiNS8_4plusIiEEEE10hipError_tPvRmT1_T2_T3_mT4_P12ihipStream_tbEUlT_E0_NS1_11comp_targetILNS1_3genE5ELNS1_11target_archE942ELNS1_3gpuE9ELNS1_3repE0EEENS1_30default_config_static_selectorELNS0_4arch9wavefront6targetE1EEEvSN_
                                        ; -- End function
	.section	.AMDGPU.csdata,"",@progbits
; Kernel info:
; codeLenInByte = 0
; NumSgprs: 4
; NumVgprs: 0
; NumAgprs: 0
; TotalNumVgprs: 0
; ScratchSize: 0
; MemoryBound: 0
; FloatMode: 240
; IeeeMode: 1
; LDSByteSize: 0 bytes/workgroup (compile time only)
; SGPRBlocks: 0
; VGPRBlocks: 0
; NumSGPRsForWavesPerEU: 4
; NumVGPRsForWavesPerEU: 1
; AccumOffset: 4
; Occupancy: 8
; WaveLimiterHint : 0
; COMPUTE_PGM_RSRC2:SCRATCH_EN: 0
; COMPUTE_PGM_RSRC2:USER_SGPR: 6
; COMPUTE_PGM_RSRC2:TRAP_HANDLER: 0
; COMPUTE_PGM_RSRC2:TGID_X_EN: 1
; COMPUTE_PGM_RSRC2:TGID_Y_EN: 0
; COMPUTE_PGM_RSRC2:TGID_Z_EN: 0
; COMPUTE_PGM_RSRC2:TIDIG_COMP_CNT: 0
; COMPUTE_PGM_RSRC3_GFX90A:ACCUM_OFFSET: 0
; COMPUTE_PGM_RSRC3_GFX90A:TG_SPLIT: 0
	.section	.text._ZN7rocprim17ROCPRIM_400000_NS6detail17trampoline_kernelINS0_14default_configENS1_22reduce_config_selectorIiEEZNS1_11reduce_implILb1ES3_N6thrust23THRUST_200600_302600_NS11hip_rocprim35transform_pair_of_input_iterators_tIiPN3c108BFloat16ESD_NS8_12not_equal_toISC_EEEEPiiNS8_4plusIiEEEE10hipError_tPvRmT1_T2_T3_mT4_P12ihipStream_tbEUlT_E0_NS1_11comp_targetILNS1_3genE4ELNS1_11target_archE910ELNS1_3gpuE8ELNS1_3repE0EEENS1_30default_config_static_selectorELNS0_4arch9wavefront6targetE1EEEvSN_,"axG",@progbits,_ZN7rocprim17ROCPRIM_400000_NS6detail17trampoline_kernelINS0_14default_configENS1_22reduce_config_selectorIiEEZNS1_11reduce_implILb1ES3_N6thrust23THRUST_200600_302600_NS11hip_rocprim35transform_pair_of_input_iterators_tIiPN3c108BFloat16ESD_NS8_12not_equal_toISC_EEEEPiiNS8_4plusIiEEEE10hipError_tPvRmT1_T2_T3_mT4_P12ihipStream_tbEUlT_E0_NS1_11comp_targetILNS1_3genE4ELNS1_11target_archE910ELNS1_3gpuE8ELNS1_3repE0EEENS1_30default_config_static_selectorELNS0_4arch9wavefront6targetE1EEEvSN_,comdat
	.protected	_ZN7rocprim17ROCPRIM_400000_NS6detail17trampoline_kernelINS0_14default_configENS1_22reduce_config_selectorIiEEZNS1_11reduce_implILb1ES3_N6thrust23THRUST_200600_302600_NS11hip_rocprim35transform_pair_of_input_iterators_tIiPN3c108BFloat16ESD_NS8_12not_equal_toISC_EEEEPiiNS8_4plusIiEEEE10hipError_tPvRmT1_T2_T3_mT4_P12ihipStream_tbEUlT_E0_NS1_11comp_targetILNS1_3genE4ELNS1_11target_archE910ELNS1_3gpuE8ELNS1_3repE0EEENS1_30default_config_static_selectorELNS0_4arch9wavefront6targetE1EEEvSN_ ; -- Begin function _ZN7rocprim17ROCPRIM_400000_NS6detail17trampoline_kernelINS0_14default_configENS1_22reduce_config_selectorIiEEZNS1_11reduce_implILb1ES3_N6thrust23THRUST_200600_302600_NS11hip_rocprim35transform_pair_of_input_iterators_tIiPN3c108BFloat16ESD_NS8_12not_equal_toISC_EEEEPiiNS8_4plusIiEEEE10hipError_tPvRmT1_T2_T3_mT4_P12ihipStream_tbEUlT_E0_NS1_11comp_targetILNS1_3genE4ELNS1_11target_archE910ELNS1_3gpuE8ELNS1_3repE0EEENS1_30default_config_static_selectorELNS0_4arch9wavefront6targetE1EEEvSN_
	.globl	_ZN7rocprim17ROCPRIM_400000_NS6detail17trampoline_kernelINS0_14default_configENS1_22reduce_config_selectorIiEEZNS1_11reduce_implILb1ES3_N6thrust23THRUST_200600_302600_NS11hip_rocprim35transform_pair_of_input_iterators_tIiPN3c108BFloat16ESD_NS8_12not_equal_toISC_EEEEPiiNS8_4plusIiEEEE10hipError_tPvRmT1_T2_T3_mT4_P12ihipStream_tbEUlT_E0_NS1_11comp_targetILNS1_3genE4ELNS1_11target_archE910ELNS1_3gpuE8ELNS1_3repE0EEENS1_30default_config_static_selectorELNS0_4arch9wavefront6targetE1EEEvSN_
	.p2align	8
	.type	_ZN7rocprim17ROCPRIM_400000_NS6detail17trampoline_kernelINS0_14default_configENS1_22reduce_config_selectorIiEEZNS1_11reduce_implILb1ES3_N6thrust23THRUST_200600_302600_NS11hip_rocprim35transform_pair_of_input_iterators_tIiPN3c108BFloat16ESD_NS8_12not_equal_toISC_EEEEPiiNS8_4plusIiEEEE10hipError_tPvRmT1_T2_T3_mT4_P12ihipStream_tbEUlT_E0_NS1_11comp_targetILNS1_3genE4ELNS1_11target_archE910ELNS1_3gpuE8ELNS1_3repE0EEENS1_30default_config_static_selectorELNS0_4arch9wavefront6targetE1EEEvSN_,@function
_ZN7rocprim17ROCPRIM_400000_NS6detail17trampoline_kernelINS0_14default_configENS1_22reduce_config_selectorIiEEZNS1_11reduce_implILb1ES3_N6thrust23THRUST_200600_302600_NS11hip_rocprim35transform_pair_of_input_iterators_tIiPN3c108BFloat16ESD_NS8_12not_equal_toISC_EEEEPiiNS8_4plusIiEEEE10hipError_tPvRmT1_T2_T3_mT4_P12ihipStream_tbEUlT_E0_NS1_11comp_targetILNS1_3genE4ELNS1_11target_archE910ELNS1_3gpuE8ELNS1_3repE0EEENS1_30default_config_static_selectorELNS0_4arch9wavefront6targetE1EEEvSN_: ; @_ZN7rocprim17ROCPRIM_400000_NS6detail17trampoline_kernelINS0_14default_configENS1_22reduce_config_selectorIiEEZNS1_11reduce_implILb1ES3_N6thrust23THRUST_200600_302600_NS11hip_rocprim35transform_pair_of_input_iterators_tIiPN3c108BFloat16ESD_NS8_12not_equal_toISC_EEEEPiiNS8_4plusIiEEEE10hipError_tPvRmT1_T2_T3_mT4_P12ihipStream_tbEUlT_E0_NS1_11comp_targetILNS1_3genE4ELNS1_11target_archE910ELNS1_3gpuE8ELNS1_3repE0EEENS1_30default_config_static_selectorELNS0_4arch9wavefront6targetE1EEEvSN_
; %bb.0:
	s_load_dwordx8 s[16:23], s[4:5], 0x18
	s_load_dwordx4 s[0:3], s[4:5], 0x0
	s_load_dwordx2 s[24:25], s[4:5], 0x38
	v_lshlrev_b32_e32 v10, 1, v0
	v_mbcnt_lo_u32_b32 v1, -1, 0
	s_waitcnt lgkmcnt(0)
	s_lshl_b64 s[8:9], s[16:17], 1
	s_add_u32 s10, s0, s8
	s_addc_u32 s11, s1, s9
	s_add_u32 s12, s2, s8
	s_addc_u32 s13, s3, s9
	s_lshl_b32 s0, s6, 10
	s_mov_b32 s1, 0
	s_lshr_b64 s[2:3], s[18:19], 10
	s_lshl_b64 s[8:9], s[0:1], 1
	s_add_u32 s14, s10, s8
	s_addc_u32 s15, s11, s9
	s_add_u32 s16, s12, s8
	s_mov_b32 s7, s1
	s_addc_u32 s17, s13, s9
	s_cmp_lg_u64 s[2:3], s[6:7]
	s_cbranch_scc0 .LBB2037_6
; %bb.1:
	global_load_ushort v2, v10, s[16:17]
	global_load_ushort v5, v10, s[14:15]
	global_load_ushort v6, v10, s[16:17] offset:256
	global_load_ushort v7, v10, s[14:15] offset:256
	;; [unrolled: 1-line block ×14, first 2 shown]
	v_mbcnt_hi_u32_b32 v3, -1, v1
	v_lshlrev_b32_e32 v4, 2, v3
	s_waitcnt vmcnt(15)
	v_lshlrev_b32_e32 v2, 16, v2
	s_waitcnt vmcnt(14)
	v_lshlrev_b32_e32 v5, 16, v5
	v_cmp_neq_f32_e32 vcc, v5, v2
	v_cndmask_b32_e64 v2, 0, 1, vcc
	s_waitcnt vmcnt(11)
	v_lshlrev_b32_e32 v8, 16, v8
	s_waitcnt vmcnt(10)
	v_lshlrev_b32_e32 v9, 16, v9
	v_cmp_neq_f32_e32 vcc, v9, v8
	v_cndmask_b32_e64 v5, 0, 1, vcc
	s_waitcnt vmcnt(7)
	v_lshlrev_b32_e32 v13, 16, v13
	s_waitcnt vmcnt(6)
	v_lshlrev_b32_e32 v14, 16, v14
	v_cmp_neq_f32_e32 vcc, v14, v13
	v_lshlrev_b32_e32 v6, 16, v6
	s_waitcnt vmcnt(3)
	v_lshlrev_b32_e32 v17, 16, v17
	s_waitcnt vmcnt(2)
	v_lshlrev_b32_e32 v18, 16, v18
	v_lshlrev_b32_e32 v7, 16, v7
	v_cndmask_b32_e64 v8, 0, 1, vcc
	v_cmp_neq_f32_e32 vcc, v18, v17
	v_cndmask_b32_e64 v9, 0, 1, vcc
	v_cmp_neq_f32_e32 vcc, v7, v6
	v_lshlrev_b32_e32 v11, 16, v11
	v_lshlrev_b32_e32 v12, 16, v12
	v_addc_co_u32_e32 v2, vcc, 0, v2, vcc
	v_cmp_neq_f32_e32 vcc, v12, v11
	v_lshlrev_b32_e32 v15, 16, v15
	v_lshlrev_b32_e32 v16, 16, v16
	v_addc_co_u32_e32 v2, vcc, v2, v5, vcc
	v_cmp_neq_f32_e32 vcc, v16, v15
	s_waitcnt vmcnt(1)
	v_lshlrev_b32_e32 v19, 16, v19
	s_waitcnt vmcnt(0)
	v_lshlrev_b32_e32 v20, 16, v20
	v_addc_co_u32_e32 v2, vcc, v2, v8, vcc
	v_cmp_neq_f32_e32 vcc, v20, v19
	v_addc_co_u32_e32 v2, vcc, v2, v9, vcc
	v_or_b32_e32 v5, 0xfc, v4
	s_nop 0
	v_add_u32_dpp v2, v2, v2 quad_perm:[1,0,3,2] row_mask:0xf bank_mask:0xf bound_ctrl:1
	v_cmp_eq_u32_e32 vcc, 0, v3
	s_nop 0
	v_add_u32_dpp v2, v2, v2 quad_perm:[2,3,0,1] row_mask:0xf bank_mask:0xf bound_ctrl:1
	s_nop 1
	v_add_u32_dpp v2, v2, v2 row_ror:4 row_mask:0xf bank_mask:0xf bound_ctrl:1
	s_nop 1
	v_add_u32_dpp v2, v2, v2 row_ror:8 row_mask:0xf bank_mask:0xf bound_ctrl:1
	s_nop 1
	v_add_u32_dpp v2, v2, v2 row_bcast:15 row_mask:0xf bank_mask:0xf bound_ctrl:1
	s_nop 1
	v_add_u32_dpp v2, v2, v2 row_bcast:31 row_mask:0xf bank_mask:0xf bound_ctrl:1
	ds_bpermute_b32 v2, v5, v2
	s_and_saveexec_b64 s[2:3], vcc
	s_cbranch_execz .LBB2037_3
; %bb.2:
	v_lshrrev_b32_e32 v5, 4, v0
	v_and_b32_e32 v5, 4, v5
	s_waitcnt lgkmcnt(0)
	ds_write_b32 v5, v2
.LBB2037_3:
	s_or_b64 exec, exec, s[2:3]
	v_cmp_gt_u32_e32 vcc, 64, v0
	s_waitcnt lgkmcnt(0)
	s_barrier
	s_and_saveexec_b64 s[2:3], vcc
	s_cbranch_execz .LBB2037_5
; %bb.4:
	v_and_b32_e32 v2, 1, v3
	v_lshlrev_b32_e32 v2, 2, v2
	ds_read_b32 v2, v2
	v_or_b32_e32 v3, 4, v4
	s_waitcnt lgkmcnt(0)
	ds_bpermute_b32 v3, v3, v2
	s_waitcnt lgkmcnt(0)
	v_add_u32_e32 v2, v3, v2
.LBB2037_5:
	s_or_b64 exec, exec, s[2:3]
	s_load_dword s28, s[4:5], 0x40
	s_branch .LBB2037_28
.LBB2037_6:
                                        ; implicit-def: $vgpr2
	s_load_dword s28, s[4:5], 0x40
	s_cbranch_execz .LBB2037_28
; %bb.7:
	s_sub_i32 s29, s18, s0
	v_cmp_gt_u32_e32 vcc, s29, v0
                                        ; implicit-def: $vgpr2_vgpr3_vgpr4_vgpr5_vgpr6_vgpr7_vgpr8_vgpr9
	s_and_saveexec_b64 s[0:1], vcc
	s_cbranch_execz .LBB2037_9
; %bb.8:
	global_load_ushort v2, v10, s[16:17]
	global_load_ushort v3, v10, s[14:15]
	s_waitcnt vmcnt(1)
	v_lshlrev_b32_e32 v2, 16, v2
	s_waitcnt vmcnt(0)
	v_lshlrev_b32_e32 v3, 16, v3
	v_cmp_neq_f32_e32 vcc, v3, v2
	v_cndmask_b32_e64 v2, 0, 1, vcc
.LBB2037_9:
	s_or_b64 exec, exec, s[0:1]
	v_or_b32_e32 v11, 0x80, v0
	v_cmp_gt_u32_e32 vcc, s29, v11
	s_and_saveexec_b64 s[2:3], vcc
	s_cbranch_execz .LBB2037_11
; %bb.10:
	global_load_ushort v3, v10, s[16:17] offset:256
	global_load_ushort v11, v10, s[14:15] offset:256
	s_waitcnt vmcnt(1)
	v_lshlrev_b32_e32 v3, 16, v3
	s_waitcnt vmcnt(0)
	v_lshlrev_b32_e32 v11, 16, v11
	v_cmp_neq_f32_e64 s[0:1], v11, v3
	v_cndmask_b32_e64 v3, 0, 1, s[0:1]
.LBB2037_11:
	s_or_b64 exec, exec, s[2:3]
	v_or_b32_e32 v11, 0x100, v0
	v_cmp_gt_u32_e64 s[0:1], s29, v11
	s_and_saveexec_b64 s[4:5], s[0:1]
	s_cbranch_execz .LBB2037_13
; %bb.12:
	global_load_ushort v4, v10, s[16:17] offset:512
	global_load_ushort v11, v10, s[14:15] offset:512
	s_waitcnt vmcnt(1)
	v_lshlrev_b32_e32 v4, 16, v4
	s_waitcnt vmcnt(0)
	v_lshlrev_b32_e32 v11, 16, v11
	v_cmp_neq_f32_e64 s[2:3], v11, v4
	v_cndmask_b32_e64 v4, 0, 1, s[2:3]
.LBB2037_13:
	s_or_b64 exec, exec, s[4:5]
	v_or_b32_e32 v11, 0x180, v0
	v_cmp_gt_u32_e64 s[2:3], s29, v11
	s_and_saveexec_b64 s[8:9], s[2:3]
	;; [unrolled: 15-line block ×6, first 2 shown]
	s_cbranch_execz .LBB2037_23
; %bb.22:
	global_load_ushort v9, v10, s[16:17] offset:1792
	global_load_ushort v11, v10, s[14:15] offset:1792
	s_waitcnt vmcnt(1)
	v_lshlrev_b32_e32 v9, 16, v9
	s_waitcnt vmcnt(0)
	v_lshlrev_b32_e32 v10, 16, v11
	v_cmp_neq_f32_e64 s[14:15], v10, v9
	v_cndmask_b32_e64 v9, 0, 1, s[14:15]
.LBB2037_23:
	s_or_b64 exec, exec, s[26:27]
	v_cndmask_b32_e32 v3, 0, v3, vcc
	v_add_u32_e32 v2, v3, v2
	v_cndmask_b32_e64 v3, 0, v4, s[0:1]
	v_cndmask_b32_e64 v4, 0, v5, s[2:3]
	v_add3_u32 v2, v2, v3, v4
	v_cndmask_b32_e64 v3, 0, v6, s[4:5]
	v_cndmask_b32_e64 v4, 0, v7, s[8:9]
	v_add3_u32 v2, v2, v3, v4
	v_cndmask_b32_e64 v3, 0, v8, s[10:11]
	v_cndmask_b32_e64 v4, 0, v9, s[12:13]
	v_mbcnt_hi_u32_b32 v1, -1, v1
	v_add3_u32 v2, v2, v3, v4
	v_and_b32_e32 v3, 63, v1
	v_cmp_ne_u32_e32 vcc, 63, v3
	v_addc_co_u32_e32 v4, vcc, 0, v1, vcc
	v_lshlrev_b32_e32 v4, 2, v4
	ds_bpermute_b32 v4, v4, v2
	s_min_u32 s2, s29, 0x80
	v_and_b32_e32 v5, 64, v0
	v_sub_u32_e64 v5, s2, v5 clamp
	v_add_u32_e32 v6, 1, v3
	v_cmp_lt_u32_e32 vcc, v6, v5
	s_waitcnt lgkmcnt(0)
	v_cndmask_b32_e32 v4, 0, v4, vcc
	v_cmp_gt_u32_e32 vcc, 62, v3
	v_add_u32_e32 v2, v2, v4
	v_cndmask_b32_e64 v4, 0, 1, vcc
	v_lshlrev_b32_e32 v4, 1, v4
	v_add_lshl_u32 v4, v4, v1, 2
	ds_bpermute_b32 v4, v4, v2
	v_add_u32_e32 v6, 2, v3
	v_cmp_lt_u32_e32 vcc, v6, v5
	v_add_u32_e32 v6, 4, v3
	s_waitcnt lgkmcnt(0)
	v_cndmask_b32_e32 v4, 0, v4, vcc
	v_cmp_gt_u32_e32 vcc, 60, v3
	v_add_u32_e32 v2, v2, v4
	v_cndmask_b32_e64 v4, 0, 1, vcc
	v_lshlrev_b32_e32 v4, 2, v4
	v_add_lshl_u32 v4, v4, v1, 2
	ds_bpermute_b32 v4, v4, v2
	v_cmp_lt_u32_e32 vcc, v6, v5
	v_add_u32_e32 v6, 8, v3
	s_waitcnt lgkmcnt(0)
	v_cndmask_b32_e32 v4, 0, v4, vcc
	v_cmp_gt_u32_e32 vcc, 56, v3
	v_add_u32_e32 v2, v2, v4
	v_cndmask_b32_e64 v4, 0, 1, vcc
	v_lshlrev_b32_e32 v4, 3, v4
	v_add_lshl_u32 v4, v4, v1, 2
	ds_bpermute_b32 v4, v4, v2
	;; [unrolled: 10-line block ×3, first 2 shown]
	v_cmp_lt_u32_e32 vcc, v6, v5
	s_waitcnt lgkmcnt(0)
	v_cndmask_b32_e32 v4, 0, v4, vcc
	v_cmp_gt_u32_e32 vcc, 32, v3
	v_add_u32_e32 v2, v2, v4
	v_cndmask_b32_e64 v4, 0, 1, vcc
	v_lshlrev_b32_e32 v4, 5, v4
	v_add_lshl_u32 v4, v4, v1, 2
	ds_bpermute_b32 v4, v4, v2
	v_add_u32_e32 v3, 32, v3
	v_cmp_lt_u32_e32 vcc, v3, v5
	s_waitcnt lgkmcnt(0)
	v_cndmask_b32_e32 v3, 0, v4, vcc
	v_add_u32_e32 v2, v2, v3
	v_cmp_eq_u32_e32 vcc, 0, v1
	s_and_saveexec_b64 s[0:1], vcc
	s_cbranch_execz .LBB2037_25
; %bb.24:
	v_lshrrev_b32_e32 v3, 4, v0
	v_and_b32_e32 v3, 4, v3
	ds_write_b32 v3, v2 offset:8
.LBB2037_25:
	s_or_b64 exec, exec, s[0:1]
	v_cmp_gt_u32_e32 vcc, 2, v0
	s_waitcnt lgkmcnt(0)
	s_barrier
	s_and_saveexec_b64 s[0:1], vcc
	s_cbranch_execz .LBB2037_27
; %bb.26:
	v_lshlrev_b32_e32 v2, 2, v1
	ds_read_b32 v3, v2 offset:8
	v_or_b32_e32 v2, 4, v2
	s_add_i32 s2, s2, 63
	v_and_b32_e32 v1, 1, v1
	s_lshr_b32 s2, s2, 6
	s_waitcnt lgkmcnt(0)
	ds_bpermute_b32 v2, v2, v3
	v_add_u32_e32 v1, 1, v1
	v_cmp_gt_u32_e32 vcc, s2, v1
	s_waitcnt lgkmcnt(0)
	v_cndmask_b32_e32 v1, 0, v2, vcc
	v_add_u32_e32 v2, v1, v3
.LBB2037_27:
	s_or_b64 exec, exec, s[0:1]
.LBB2037_28:
	v_cmp_eq_u32_e32 vcc, 0, v0
	s_and_saveexec_b64 s[0:1], vcc
	s_cbranch_execnz .LBB2037_30
; %bb.29:
	s_endpgm
.LBB2037_30:
	s_mul_i32 s0, s24, s23
	s_mul_hi_u32 s1, s24, s22
	s_add_i32 s0, s1, s0
	s_mul_i32 s1, s25, s22
	s_add_i32 s1, s0, s1
	s_mul_i32 s0, s24, s22
	s_lshl_b64 s[0:1], s[0:1], 2
	s_add_u32 s2, s20, s0
	s_addc_u32 s3, s21, s1
	s_cmp_eq_u64 s[18:19], 0
	s_cselect_b64 vcc, -1, 0
	s_lshl_b64 s[0:1], s[6:7], 2
	s_waitcnt lgkmcnt(0)
	v_mov_b32_e32 v0, s28
	s_add_u32 s0, s2, s0
	v_cndmask_b32_e32 v0, v2, v0, vcc
	s_addc_u32 s1, s3, s1
	v_mov_b32_e32 v1, 0
	global_store_dword v1, v0, s[0:1]
	s_endpgm
	.section	.rodata,"a",@progbits
	.p2align	6, 0x0
	.amdhsa_kernel _ZN7rocprim17ROCPRIM_400000_NS6detail17trampoline_kernelINS0_14default_configENS1_22reduce_config_selectorIiEEZNS1_11reduce_implILb1ES3_N6thrust23THRUST_200600_302600_NS11hip_rocprim35transform_pair_of_input_iterators_tIiPN3c108BFloat16ESD_NS8_12not_equal_toISC_EEEEPiiNS8_4plusIiEEEE10hipError_tPvRmT1_T2_T3_mT4_P12ihipStream_tbEUlT_E0_NS1_11comp_targetILNS1_3genE4ELNS1_11target_archE910ELNS1_3gpuE8ELNS1_3repE0EEENS1_30default_config_static_selectorELNS0_4arch9wavefront6targetE1EEEvSN_
		.amdhsa_group_segment_fixed_size 16
		.amdhsa_private_segment_fixed_size 0
		.amdhsa_kernarg_size 72
		.amdhsa_user_sgpr_count 6
		.amdhsa_user_sgpr_private_segment_buffer 1
		.amdhsa_user_sgpr_dispatch_ptr 0
		.amdhsa_user_sgpr_queue_ptr 0
		.amdhsa_user_sgpr_kernarg_segment_ptr 1
		.amdhsa_user_sgpr_dispatch_id 0
		.amdhsa_user_sgpr_flat_scratch_init 0
		.amdhsa_user_sgpr_kernarg_preload_length 0
		.amdhsa_user_sgpr_kernarg_preload_offset 0
		.amdhsa_user_sgpr_private_segment_size 0
		.amdhsa_uses_dynamic_stack 0
		.amdhsa_system_sgpr_private_segment_wavefront_offset 0
		.amdhsa_system_sgpr_workgroup_id_x 1
		.amdhsa_system_sgpr_workgroup_id_y 0
		.amdhsa_system_sgpr_workgroup_id_z 0
		.amdhsa_system_sgpr_workgroup_info 0
		.amdhsa_system_vgpr_workitem_id 0
		.amdhsa_next_free_vgpr 21
		.amdhsa_next_free_sgpr 30
		.amdhsa_accum_offset 24
		.amdhsa_reserve_vcc 1
		.amdhsa_reserve_flat_scratch 0
		.amdhsa_float_round_mode_32 0
		.amdhsa_float_round_mode_16_64 0
		.amdhsa_float_denorm_mode_32 3
		.amdhsa_float_denorm_mode_16_64 3
		.amdhsa_dx10_clamp 1
		.amdhsa_ieee_mode 1
		.amdhsa_fp16_overflow 0
		.amdhsa_tg_split 0
		.amdhsa_exception_fp_ieee_invalid_op 0
		.amdhsa_exception_fp_denorm_src 0
		.amdhsa_exception_fp_ieee_div_zero 0
		.amdhsa_exception_fp_ieee_overflow 0
		.amdhsa_exception_fp_ieee_underflow 0
		.amdhsa_exception_fp_ieee_inexact 0
		.amdhsa_exception_int_div_zero 0
	.end_amdhsa_kernel
	.section	.text._ZN7rocprim17ROCPRIM_400000_NS6detail17trampoline_kernelINS0_14default_configENS1_22reduce_config_selectorIiEEZNS1_11reduce_implILb1ES3_N6thrust23THRUST_200600_302600_NS11hip_rocprim35transform_pair_of_input_iterators_tIiPN3c108BFloat16ESD_NS8_12not_equal_toISC_EEEEPiiNS8_4plusIiEEEE10hipError_tPvRmT1_T2_T3_mT4_P12ihipStream_tbEUlT_E0_NS1_11comp_targetILNS1_3genE4ELNS1_11target_archE910ELNS1_3gpuE8ELNS1_3repE0EEENS1_30default_config_static_selectorELNS0_4arch9wavefront6targetE1EEEvSN_,"axG",@progbits,_ZN7rocprim17ROCPRIM_400000_NS6detail17trampoline_kernelINS0_14default_configENS1_22reduce_config_selectorIiEEZNS1_11reduce_implILb1ES3_N6thrust23THRUST_200600_302600_NS11hip_rocprim35transform_pair_of_input_iterators_tIiPN3c108BFloat16ESD_NS8_12not_equal_toISC_EEEEPiiNS8_4plusIiEEEE10hipError_tPvRmT1_T2_T3_mT4_P12ihipStream_tbEUlT_E0_NS1_11comp_targetILNS1_3genE4ELNS1_11target_archE910ELNS1_3gpuE8ELNS1_3repE0EEENS1_30default_config_static_selectorELNS0_4arch9wavefront6targetE1EEEvSN_,comdat
.Lfunc_end2037:
	.size	_ZN7rocprim17ROCPRIM_400000_NS6detail17trampoline_kernelINS0_14default_configENS1_22reduce_config_selectorIiEEZNS1_11reduce_implILb1ES3_N6thrust23THRUST_200600_302600_NS11hip_rocprim35transform_pair_of_input_iterators_tIiPN3c108BFloat16ESD_NS8_12not_equal_toISC_EEEEPiiNS8_4plusIiEEEE10hipError_tPvRmT1_T2_T3_mT4_P12ihipStream_tbEUlT_E0_NS1_11comp_targetILNS1_3genE4ELNS1_11target_archE910ELNS1_3gpuE8ELNS1_3repE0EEENS1_30default_config_static_selectorELNS0_4arch9wavefront6targetE1EEEvSN_, .Lfunc_end2037-_ZN7rocprim17ROCPRIM_400000_NS6detail17trampoline_kernelINS0_14default_configENS1_22reduce_config_selectorIiEEZNS1_11reduce_implILb1ES3_N6thrust23THRUST_200600_302600_NS11hip_rocprim35transform_pair_of_input_iterators_tIiPN3c108BFloat16ESD_NS8_12not_equal_toISC_EEEEPiiNS8_4plusIiEEEE10hipError_tPvRmT1_T2_T3_mT4_P12ihipStream_tbEUlT_E0_NS1_11comp_targetILNS1_3genE4ELNS1_11target_archE910ELNS1_3gpuE8ELNS1_3repE0EEENS1_30default_config_static_selectorELNS0_4arch9wavefront6targetE1EEEvSN_
                                        ; -- End function
	.section	.AMDGPU.csdata,"",@progbits
; Kernel info:
; codeLenInByte = 1860
; NumSgprs: 34
; NumVgprs: 21
; NumAgprs: 0
; TotalNumVgprs: 21
; ScratchSize: 0
; MemoryBound: 0
; FloatMode: 240
; IeeeMode: 1
; LDSByteSize: 16 bytes/workgroup (compile time only)
; SGPRBlocks: 4
; VGPRBlocks: 2
; NumSGPRsForWavesPerEU: 34
; NumVGPRsForWavesPerEU: 21
; AccumOffset: 24
; Occupancy: 8
; WaveLimiterHint : 0
; COMPUTE_PGM_RSRC2:SCRATCH_EN: 0
; COMPUTE_PGM_RSRC2:USER_SGPR: 6
; COMPUTE_PGM_RSRC2:TRAP_HANDLER: 0
; COMPUTE_PGM_RSRC2:TGID_X_EN: 1
; COMPUTE_PGM_RSRC2:TGID_Y_EN: 0
; COMPUTE_PGM_RSRC2:TGID_Z_EN: 0
; COMPUTE_PGM_RSRC2:TIDIG_COMP_CNT: 0
; COMPUTE_PGM_RSRC3_GFX90A:ACCUM_OFFSET: 5
; COMPUTE_PGM_RSRC3_GFX90A:TG_SPLIT: 0
	.section	.text._ZN7rocprim17ROCPRIM_400000_NS6detail17trampoline_kernelINS0_14default_configENS1_22reduce_config_selectorIiEEZNS1_11reduce_implILb1ES3_N6thrust23THRUST_200600_302600_NS11hip_rocprim35transform_pair_of_input_iterators_tIiPN3c108BFloat16ESD_NS8_12not_equal_toISC_EEEEPiiNS8_4plusIiEEEE10hipError_tPvRmT1_T2_T3_mT4_P12ihipStream_tbEUlT_E0_NS1_11comp_targetILNS1_3genE3ELNS1_11target_archE908ELNS1_3gpuE7ELNS1_3repE0EEENS1_30default_config_static_selectorELNS0_4arch9wavefront6targetE1EEEvSN_,"axG",@progbits,_ZN7rocprim17ROCPRIM_400000_NS6detail17trampoline_kernelINS0_14default_configENS1_22reduce_config_selectorIiEEZNS1_11reduce_implILb1ES3_N6thrust23THRUST_200600_302600_NS11hip_rocprim35transform_pair_of_input_iterators_tIiPN3c108BFloat16ESD_NS8_12not_equal_toISC_EEEEPiiNS8_4plusIiEEEE10hipError_tPvRmT1_T2_T3_mT4_P12ihipStream_tbEUlT_E0_NS1_11comp_targetILNS1_3genE3ELNS1_11target_archE908ELNS1_3gpuE7ELNS1_3repE0EEENS1_30default_config_static_selectorELNS0_4arch9wavefront6targetE1EEEvSN_,comdat
	.protected	_ZN7rocprim17ROCPRIM_400000_NS6detail17trampoline_kernelINS0_14default_configENS1_22reduce_config_selectorIiEEZNS1_11reduce_implILb1ES3_N6thrust23THRUST_200600_302600_NS11hip_rocprim35transform_pair_of_input_iterators_tIiPN3c108BFloat16ESD_NS8_12not_equal_toISC_EEEEPiiNS8_4plusIiEEEE10hipError_tPvRmT1_T2_T3_mT4_P12ihipStream_tbEUlT_E0_NS1_11comp_targetILNS1_3genE3ELNS1_11target_archE908ELNS1_3gpuE7ELNS1_3repE0EEENS1_30default_config_static_selectorELNS0_4arch9wavefront6targetE1EEEvSN_ ; -- Begin function _ZN7rocprim17ROCPRIM_400000_NS6detail17trampoline_kernelINS0_14default_configENS1_22reduce_config_selectorIiEEZNS1_11reduce_implILb1ES3_N6thrust23THRUST_200600_302600_NS11hip_rocprim35transform_pair_of_input_iterators_tIiPN3c108BFloat16ESD_NS8_12not_equal_toISC_EEEEPiiNS8_4plusIiEEEE10hipError_tPvRmT1_T2_T3_mT4_P12ihipStream_tbEUlT_E0_NS1_11comp_targetILNS1_3genE3ELNS1_11target_archE908ELNS1_3gpuE7ELNS1_3repE0EEENS1_30default_config_static_selectorELNS0_4arch9wavefront6targetE1EEEvSN_
	.globl	_ZN7rocprim17ROCPRIM_400000_NS6detail17trampoline_kernelINS0_14default_configENS1_22reduce_config_selectorIiEEZNS1_11reduce_implILb1ES3_N6thrust23THRUST_200600_302600_NS11hip_rocprim35transform_pair_of_input_iterators_tIiPN3c108BFloat16ESD_NS8_12not_equal_toISC_EEEEPiiNS8_4plusIiEEEE10hipError_tPvRmT1_T2_T3_mT4_P12ihipStream_tbEUlT_E0_NS1_11comp_targetILNS1_3genE3ELNS1_11target_archE908ELNS1_3gpuE7ELNS1_3repE0EEENS1_30default_config_static_selectorELNS0_4arch9wavefront6targetE1EEEvSN_
	.p2align	8
	.type	_ZN7rocprim17ROCPRIM_400000_NS6detail17trampoline_kernelINS0_14default_configENS1_22reduce_config_selectorIiEEZNS1_11reduce_implILb1ES3_N6thrust23THRUST_200600_302600_NS11hip_rocprim35transform_pair_of_input_iterators_tIiPN3c108BFloat16ESD_NS8_12not_equal_toISC_EEEEPiiNS8_4plusIiEEEE10hipError_tPvRmT1_T2_T3_mT4_P12ihipStream_tbEUlT_E0_NS1_11comp_targetILNS1_3genE3ELNS1_11target_archE908ELNS1_3gpuE7ELNS1_3repE0EEENS1_30default_config_static_selectorELNS0_4arch9wavefront6targetE1EEEvSN_,@function
_ZN7rocprim17ROCPRIM_400000_NS6detail17trampoline_kernelINS0_14default_configENS1_22reduce_config_selectorIiEEZNS1_11reduce_implILb1ES3_N6thrust23THRUST_200600_302600_NS11hip_rocprim35transform_pair_of_input_iterators_tIiPN3c108BFloat16ESD_NS8_12not_equal_toISC_EEEEPiiNS8_4plusIiEEEE10hipError_tPvRmT1_T2_T3_mT4_P12ihipStream_tbEUlT_E0_NS1_11comp_targetILNS1_3genE3ELNS1_11target_archE908ELNS1_3gpuE7ELNS1_3repE0EEENS1_30default_config_static_selectorELNS0_4arch9wavefront6targetE1EEEvSN_: ; @_ZN7rocprim17ROCPRIM_400000_NS6detail17trampoline_kernelINS0_14default_configENS1_22reduce_config_selectorIiEEZNS1_11reduce_implILb1ES3_N6thrust23THRUST_200600_302600_NS11hip_rocprim35transform_pair_of_input_iterators_tIiPN3c108BFloat16ESD_NS8_12not_equal_toISC_EEEEPiiNS8_4plusIiEEEE10hipError_tPvRmT1_T2_T3_mT4_P12ihipStream_tbEUlT_E0_NS1_11comp_targetILNS1_3genE3ELNS1_11target_archE908ELNS1_3gpuE7ELNS1_3repE0EEENS1_30default_config_static_selectorELNS0_4arch9wavefront6targetE1EEEvSN_
; %bb.0:
	.section	.rodata,"a",@progbits
	.p2align	6, 0x0
	.amdhsa_kernel _ZN7rocprim17ROCPRIM_400000_NS6detail17trampoline_kernelINS0_14default_configENS1_22reduce_config_selectorIiEEZNS1_11reduce_implILb1ES3_N6thrust23THRUST_200600_302600_NS11hip_rocprim35transform_pair_of_input_iterators_tIiPN3c108BFloat16ESD_NS8_12not_equal_toISC_EEEEPiiNS8_4plusIiEEEE10hipError_tPvRmT1_T2_T3_mT4_P12ihipStream_tbEUlT_E0_NS1_11comp_targetILNS1_3genE3ELNS1_11target_archE908ELNS1_3gpuE7ELNS1_3repE0EEENS1_30default_config_static_selectorELNS0_4arch9wavefront6targetE1EEEvSN_
		.amdhsa_group_segment_fixed_size 0
		.amdhsa_private_segment_fixed_size 0
		.amdhsa_kernarg_size 72
		.amdhsa_user_sgpr_count 6
		.amdhsa_user_sgpr_private_segment_buffer 1
		.amdhsa_user_sgpr_dispatch_ptr 0
		.amdhsa_user_sgpr_queue_ptr 0
		.amdhsa_user_sgpr_kernarg_segment_ptr 1
		.amdhsa_user_sgpr_dispatch_id 0
		.amdhsa_user_sgpr_flat_scratch_init 0
		.amdhsa_user_sgpr_kernarg_preload_length 0
		.amdhsa_user_sgpr_kernarg_preload_offset 0
		.amdhsa_user_sgpr_private_segment_size 0
		.amdhsa_uses_dynamic_stack 0
		.amdhsa_system_sgpr_private_segment_wavefront_offset 0
		.amdhsa_system_sgpr_workgroup_id_x 1
		.amdhsa_system_sgpr_workgroup_id_y 0
		.amdhsa_system_sgpr_workgroup_id_z 0
		.amdhsa_system_sgpr_workgroup_info 0
		.amdhsa_system_vgpr_workitem_id 0
		.amdhsa_next_free_vgpr 1
		.amdhsa_next_free_sgpr 0
		.amdhsa_accum_offset 4
		.amdhsa_reserve_vcc 0
		.amdhsa_reserve_flat_scratch 0
		.amdhsa_float_round_mode_32 0
		.amdhsa_float_round_mode_16_64 0
		.amdhsa_float_denorm_mode_32 3
		.amdhsa_float_denorm_mode_16_64 3
		.amdhsa_dx10_clamp 1
		.amdhsa_ieee_mode 1
		.amdhsa_fp16_overflow 0
		.amdhsa_tg_split 0
		.amdhsa_exception_fp_ieee_invalid_op 0
		.amdhsa_exception_fp_denorm_src 0
		.amdhsa_exception_fp_ieee_div_zero 0
		.amdhsa_exception_fp_ieee_overflow 0
		.amdhsa_exception_fp_ieee_underflow 0
		.amdhsa_exception_fp_ieee_inexact 0
		.amdhsa_exception_int_div_zero 0
	.end_amdhsa_kernel
	.section	.text._ZN7rocprim17ROCPRIM_400000_NS6detail17trampoline_kernelINS0_14default_configENS1_22reduce_config_selectorIiEEZNS1_11reduce_implILb1ES3_N6thrust23THRUST_200600_302600_NS11hip_rocprim35transform_pair_of_input_iterators_tIiPN3c108BFloat16ESD_NS8_12not_equal_toISC_EEEEPiiNS8_4plusIiEEEE10hipError_tPvRmT1_T2_T3_mT4_P12ihipStream_tbEUlT_E0_NS1_11comp_targetILNS1_3genE3ELNS1_11target_archE908ELNS1_3gpuE7ELNS1_3repE0EEENS1_30default_config_static_selectorELNS0_4arch9wavefront6targetE1EEEvSN_,"axG",@progbits,_ZN7rocprim17ROCPRIM_400000_NS6detail17trampoline_kernelINS0_14default_configENS1_22reduce_config_selectorIiEEZNS1_11reduce_implILb1ES3_N6thrust23THRUST_200600_302600_NS11hip_rocprim35transform_pair_of_input_iterators_tIiPN3c108BFloat16ESD_NS8_12not_equal_toISC_EEEEPiiNS8_4plusIiEEEE10hipError_tPvRmT1_T2_T3_mT4_P12ihipStream_tbEUlT_E0_NS1_11comp_targetILNS1_3genE3ELNS1_11target_archE908ELNS1_3gpuE7ELNS1_3repE0EEENS1_30default_config_static_selectorELNS0_4arch9wavefront6targetE1EEEvSN_,comdat
.Lfunc_end2038:
	.size	_ZN7rocprim17ROCPRIM_400000_NS6detail17trampoline_kernelINS0_14default_configENS1_22reduce_config_selectorIiEEZNS1_11reduce_implILb1ES3_N6thrust23THRUST_200600_302600_NS11hip_rocprim35transform_pair_of_input_iterators_tIiPN3c108BFloat16ESD_NS8_12not_equal_toISC_EEEEPiiNS8_4plusIiEEEE10hipError_tPvRmT1_T2_T3_mT4_P12ihipStream_tbEUlT_E0_NS1_11comp_targetILNS1_3genE3ELNS1_11target_archE908ELNS1_3gpuE7ELNS1_3repE0EEENS1_30default_config_static_selectorELNS0_4arch9wavefront6targetE1EEEvSN_, .Lfunc_end2038-_ZN7rocprim17ROCPRIM_400000_NS6detail17trampoline_kernelINS0_14default_configENS1_22reduce_config_selectorIiEEZNS1_11reduce_implILb1ES3_N6thrust23THRUST_200600_302600_NS11hip_rocprim35transform_pair_of_input_iterators_tIiPN3c108BFloat16ESD_NS8_12not_equal_toISC_EEEEPiiNS8_4plusIiEEEE10hipError_tPvRmT1_T2_T3_mT4_P12ihipStream_tbEUlT_E0_NS1_11comp_targetILNS1_3genE3ELNS1_11target_archE908ELNS1_3gpuE7ELNS1_3repE0EEENS1_30default_config_static_selectorELNS0_4arch9wavefront6targetE1EEEvSN_
                                        ; -- End function
	.section	.AMDGPU.csdata,"",@progbits
; Kernel info:
; codeLenInByte = 0
; NumSgprs: 4
; NumVgprs: 0
; NumAgprs: 0
; TotalNumVgprs: 0
; ScratchSize: 0
; MemoryBound: 0
; FloatMode: 240
; IeeeMode: 1
; LDSByteSize: 0 bytes/workgroup (compile time only)
; SGPRBlocks: 0
; VGPRBlocks: 0
; NumSGPRsForWavesPerEU: 4
; NumVGPRsForWavesPerEU: 1
; AccumOffset: 4
; Occupancy: 8
; WaveLimiterHint : 0
; COMPUTE_PGM_RSRC2:SCRATCH_EN: 0
; COMPUTE_PGM_RSRC2:USER_SGPR: 6
; COMPUTE_PGM_RSRC2:TRAP_HANDLER: 0
; COMPUTE_PGM_RSRC2:TGID_X_EN: 1
; COMPUTE_PGM_RSRC2:TGID_Y_EN: 0
; COMPUTE_PGM_RSRC2:TGID_Z_EN: 0
; COMPUTE_PGM_RSRC2:TIDIG_COMP_CNT: 0
; COMPUTE_PGM_RSRC3_GFX90A:ACCUM_OFFSET: 0
; COMPUTE_PGM_RSRC3_GFX90A:TG_SPLIT: 0
	.section	.text._ZN7rocprim17ROCPRIM_400000_NS6detail17trampoline_kernelINS0_14default_configENS1_22reduce_config_selectorIiEEZNS1_11reduce_implILb1ES3_N6thrust23THRUST_200600_302600_NS11hip_rocprim35transform_pair_of_input_iterators_tIiPN3c108BFloat16ESD_NS8_12not_equal_toISC_EEEEPiiNS8_4plusIiEEEE10hipError_tPvRmT1_T2_T3_mT4_P12ihipStream_tbEUlT_E0_NS1_11comp_targetILNS1_3genE2ELNS1_11target_archE906ELNS1_3gpuE6ELNS1_3repE0EEENS1_30default_config_static_selectorELNS0_4arch9wavefront6targetE1EEEvSN_,"axG",@progbits,_ZN7rocprim17ROCPRIM_400000_NS6detail17trampoline_kernelINS0_14default_configENS1_22reduce_config_selectorIiEEZNS1_11reduce_implILb1ES3_N6thrust23THRUST_200600_302600_NS11hip_rocprim35transform_pair_of_input_iterators_tIiPN3c108BFloat16ESD_NS8_12not_equal_toISC_EEEEPiiNS8_4plusIiEEEE10hipError_tPvRmT1_T2_T3_mT4_P12ihipStream_tbEUlT_E0_NS1_11comp_targetILNS1_3genE2ELNS1_11target_archE906ELNS1_3gpuE6ELNS1_3repE0EEENS1_30default_config_static_selectorELNS0_4arch9wavefront6targetE1EEEvSN_,comdat
	.protected	_ZN7rocprim17ROCPRIM_400000_NS6detail17trampoline_kernelINS0_14default_configENS1_22reduce_config_selectorIiEEZNS1_11reduce_implILb1ES3_N6thrust23THRUST_200600_302600_NS11hip_rocprim35transform_pair_of_input_iterators_tIiPN3c108BFloat16ESD_NS8_12not_equal_toISC_EEEEPiiNS8_4plusIiEEEE10hipError_tPvRmT1_T2_T3_mT4_P12ihipStream_tbEUlT_E0_NS1_11comp_targetILNS1_3genE2ELNS1_11target_archE906ELNS1_3gpuE6ELNS1_3repE0EEENS1_30default_config_static_selectorELNS0_4arch9wavefront6targetE1EEEvSN_ ; -- Begin function _ZN7rocprim17ROCPRIM_400000_NS6detail17trampoline_kernelINS0_14default_configENS1_22reduce_config_selectorIiEEZNS1_11reduce_implILb1ES3_N6thrust23THRUST_200600_302600_NS11hip_rocprim35transform_pair_of_input_iterators_tIiPN3c108BFloat16ESD_NS8_12not_equal_toISC_EEEEPiiNS8_4plusIiEEEE10hipError_tPvRmT1_T2_T3_mT4_P12ihipStream_tbEUlT_E0_NS1_11comp_targetILNS1_3genE2ELNS1_11target_archE906ELNS1_3gpuE6ELNS1_3repE0EEENS1_30default_config_static_selectorELNS0_4arch9wavefront6targetE1EEEvSN_
	.globl	_ZN7rocprim17ROCPRIM_400000_NS6detail17trampoline_kernelINS0_14default_configENS1_22reduce_config_selectorIiEEZNS1_11reduce_implILb1ES3_N6thrust23THRUST_200600_302600_NS11hip_rocprim35transform_pair_of_input_iterators_tIiPN3c108BFloat16ESD_NS8_12not_equal_toISC_EEEEPiiNS8_4plusIiEEEE10hipError_tPvRmT1_T2_T3_mT4_P12ihipStream_tbEUlT_E0_NS1_11comp_targetILNS1_3genE2ELNS1_11target_archE906ELNS1_3gpuE6ELNS1_3repE0EEENS1_30default_config_static_selectorELNS0_4arch9wavefront6targetE1EEEvSN_
	.p2align	8
	.type	_ZN7rocprim17ROCPRIM_400000_NS6detail17trampoline_kernelINS0_14default_configENS1_22reduce_config_selectorIiEEZNS1_11reduce_implILb1ES3_N6thrust23THRUST_200600_302600_NS11hip_rocprim35transform_pair_of_input_iterators_tIiPN3c108BFloat16ESD_NS8_12not_equal_toISC_EEEEPiiNS8_4plusIiEEEE10hipError_tPvRmT1_T2_T3_mT4_P12ihipStream_tbEUlT_E0_NS1_11comp_targetILNS1_3genE2ELNS1_11target_archE906ELNS1_3gpuE6ELNS1_3repE0EEENS1_30default_config_static_selectorELNS0_4arch9wavefront6targetE1EEEvSN_,@function
_ZN7rocprim17ROCPRIM_400000_NS6detail17trampoline_kernelINS0_14default_configENS1_22reduce_config_selectorIiEEZNS1_11reduce_implILb1ES3_N6thrust23THRUST_200600_302600_NS11hip_rocprim35transform_pair_of_input_iterators_tIiPN3c108BFloat16ESD_NS8_12not_equal_toISC_EEEEPiiNS8_4plusIiEEEE10hipError_tPvRmT1_T2_T3_mT4_P12ihipStream_tbEUlT_E0_NS1_11comp_targetILNS1_3genE2ELNS1_11target_archE906ELNS1_3gpuE6ELNS1_3repE0EEENS1_30default_config_static_selectorELNS0_4arch9wavefront6targetE1EEEvSN_: ; @_ZN7rocprim17ROCPRIM_400000_NS6detail17trampoline_kernelINS0_14default_configENS1_22reduce_config_selectorIiEEZNS1_11reduce_implILb1ES3_N6thrust23THRUST_200600_302600_NS11hip_rocprim35transform_pair_of_input_iterators_tIiPN3c108BFloat16ESD_NS8_12not_equal_toISC_EEEEPiiNS8_4plusIiEEEE10hipError_tPvRmT1_T2_T3_mT4_P12ihipStream_tbEUlT_E0_NS1_11comp_targetILNS1_3genE2ELNS1_11target_archE906ELNS1_3gpuE6ELNS1_3repE0EEENS1_30default_config_static_selectorELNS0_4arch9wavefront6targetE1EEEvSN_
; %bb.0:
	.section	.rodata,"a",@progbits
	.p2align	6, 0x0
	.amdhsa_kernel _ZN7rocprim17ROCPRIM_400000_NS6detail17trampoline_kernelINS0_14default_configENS1_22reduce_config_selectorIiEEZNS1_11reduce_implILb1ES3_N6thrust23THRUST_200600_302600_NS11hip_rocprim35transform_pair_of_input_iterators_tIiPN3c108BFloat16ESD_NS8_12not_equal_toISC_EEEEPiiNS8_4plusIiEEEE10hipError_tPvRmT1_T2_T3_mT4_P12ihipStream_tbEUlT_E0_NS1_11comp_targetILNS1_3genE2ELNS1_11target_archE906ELNS1_3gpuE6ELNS1_3repE0EEENS1_30default_config_static_selectorELNS0_4arch9wavefront6targetE1EEEvSN_
		.amdhsa_group_segment_fixed_size 0
		.amdhsa_private_segment_fixed_size 0
		.amdhsa_kernarg_size 72
		.amdhsa_user_sgpr_count 6
		.amdhsa_user_sgpr_private_segment_buffer 1
		.amdhsa_user_sgpr_dispatch_ptr 0
		.amdhsa_user_sgpr_queue_ptr 0
		.amdhsa_user_sgpr_kernarg_segment_ptr 1
		.amdhsa_user_sgpr_dispatch_id 0
		.amdhsa_user_sgpr_flat_scratch_init 0
		.amdhsa_user_sgpr_kernarg_preload_length 0
		.amdhsa_user_sgpr_kernarg_preload_offset 0
		.amdhsa_user_sgpr_private_segment_size 0
		.amdhsa_uses_dynamic_stack 0
		.amdhsa_system_sgpr_private_segment_wavefront_offset 0
		.amdhsa_system_sgpr_workgroup_id_x 1
		.amdhsa_system_sgpr_workgroup_id_y 0
		.amdhsa_system_sgpr_workgroup_id_z 0
		.amdhsa_system_sgpr_workgroup_info 0
		.amdhsa_system_vgpr_workitem_id 0
		.amdhsa_next_free_vgpr 1
		.amdhsa_next_free_sgpr 0
		.amdhsa_accum_offset 4
		.amdhsa_reserve_vcc 0
		.amdhsa_reserve_flat_scratch 0
		.amdhsa_float_round_mode_32 0
		.amdhsa_float_round_mode_16_64 0
		.amdhsa_float_denorm_mode_32 3
		.amdhsa_float_denorm_mode_16_64 3
		.amdhsa_dx10_clamp 1
		.amdhsa_ieee_mode 1
		.amdhsa_fp16_overflow 0
		.amdhsa_tg_split 0
		.amdhsa_exception_fp_ieee_invalid_op 0
		.amdhsa_exception_fp_denorm_src 0
		.amdhsa_exception_fp_ieee_div_zero 0
		.amdhsa_exception_fp_ieee_overflow 0
		.amdhsa_exception_fp_ieee_underflow 0
		.amdhsa_exception_fp_ieee_inexact 0
		.amdhsa_exception_int_div_zero 0
	.end_amdhsa_kernel
	.section	.text._ZN7rocprim17ROCPRIM_400000_NS6detail17trampoline_kernelINS0_14default_configENS1_22reduce_config_selectorIiEEZNS1_11reduce_implILb1ES3_N6thrust23THRUST_200600_302600_NS11hip_rocprim35transform_pair_of_input_iterators_tIiPN3c108BFloat16ESD_NS8_12not_equal_toISC_EEEEPiiNS8_4plusIiEEEE10hipError_tPvRmT1_T2_T3_mT4_P12ihipStream_tbEUlT_E0_NS1_11comp_targetILNS1_3genE2ELNS1_11target_archE906ELNS1_3gpuE6ELNS1_3repE0EEENS1_30default_config_static_selectorELNS0_4arch9wavefront6targetE1EEEvSN_,"axG",@progbits,_ZN7rocprim17ROCPRIM_400000_NS6detail17trampoline_kernelINS0_14default_configENS1_22reduce_config_selectorIiEEZNS1_11reduce_implILb1ES3_N6thrust23THRUST_200600_302600_NS11hip_rocprim35transform_pair_of_input_iterators_tIiPN3c108BFloat16ESD_NS8_12not_equal_toISC_EEEEPiiNS8_4plusIiEEEE10hipError_tPvRmT1_T2_T3_mT4_P12ihipStream_tbEUlT_E0_NS1_11comp_targetILNS1_3genE2ELNS1_11target_archE906ELNS1_3gpuE6ELNS1_3repE0EEENS1_30default_config_static_selectorELNS0_4arch9wavefront6targetE1EEEvSN_,comdat
.Lfunc_end2039:
	.size	_ZN7rocprim17ROCPRIM_400000_NS6detail17trampoline_kernelINS0_14default_configENS1_22reduce_config_selectorIiEEZNS1_11reduce_implILb1ES3_N6thrust23THRUST_200600_302600_NS11hip_rocprim35transform_pair_of_input_iterators_tIiPN3c108BFloat16ESD_NS8_12not_equal_toISC_EEEEPiiNS8_4plusIiEEEE10hipError_tPvRmT1_T2_T3_mT4_P12ihipStream_tbEUlT_E0_NS1_11comp_targetILNS1_3genE2ELNS1_11target_archE906ELNS1_3gpuE6ELNS1_3repE0EEENS1_30default_config_static_selectorELNS0_4arch9wavefront6targetE1EEEvSN_, .Lfunc_end2039-_ZN7rocprim17ROCPRIM_400000_NS6detail17trampoline_kernelINS0_14default_configENS1_22reduce_config_selectorIiEEZNS1_11reduce_implILb1ES3_N6thrust23THRUST_200600_302600_NS11hip_rocprim35transform_pair_of_input_iterators_tIiPN3c108BFloat16ESD_NS8_12not_equal_toISC_EEEEPiiNS8_4plusIiEEEE10hipError_tPvRmT1_T2_T3_mT4_P12ihipStream_tbEUlT_E0_NS1_11comp_targetILNS1_3genE2ELNS1_11target_archE906ELNS1_3gpuE6ELNS1_3repE0EEENS1_30default_config_static_selectorELNS0_4arch9wavefront6targetE1EEEvSN_
                                        ; -- End function
	.section	.AMDGPU.csdata,"",@progbits
; Kernel info:
; codeLenInByte = 0
; NumSgprs: 4
; NumVgprs: 0
; NumAgprs: 0
; TotalNumVgprs: 0
; ScratchSize: 0
; MemoryBound: 0
; FloatMode: 240
; IeeeMode: 1
; LDSByteSize: 0 bytes/workgroup (compile time only)
; SGPRBlocks: 0
; VGPRBlocks: 0
; NumSGPRsForWavesPerEU: 4
; NumVGPRsForWavesPerEU: 1
; AccumOffset: 4
; Occupancy: 8
; WaveLimiterHint : 0
; COMPUTE_PGM_RSRC2:SCRATCH_EN: 0
; COMPUTE_PGM_RSRC2:USER_SGPR: 6
; COMPUTE_PGM_RSRC2:TRAP_HANDLER: 0
; COMPUTE_PGM_RSRC2:TGID_X_EN: 1
; COMPUTE_PGM_RSRC2:TGID_Y_EN: 0
; COMPUTE_PGM_RSRC2:TGID_Z_EN: 0
; COMPUTE_PGM_RSRC2:TIDIG_COMP_CNT: 0
; COMPUTE_PGM_RSRC3_GFX90A:ACCUM_OFFSET: 0
; COMPUTE_PGM_RSRC3_GFX90A:TG_SPLIT: 0
	.section	.text._ZN7rocprim17ROCPRIM_400000_NS6detail17trampoline_kernelINS0_14default_configENS1_22reduce_config_selectorIiEEZNS1_11reduce_implILb1ES3_N6thrust23THRUST_200600_302600_NS11hip_rocprim35transform_pair_of_input_iterators_tIiPN3c108BFloat16ESD_NS8_12not_equal_toISC_EEEEPiiNS8_4plusIiEEEE10hipError_tPvRmT1_T2_T3_mT4_P12ihipStream_tbEUlT_E0_NS1_11comp_targetILNS1_3genE10ELNS1_11target_archE1201ELNS1_3gpuE5ELNS1_3repE0EEENS1_30default_config_static_selectorELNS0_4arch9wavefront6targetE1EEEvSN_,"axG",@progbits,_ZN7rocprim17ROCPRIM_400000_NS6detail17trampoline_kernelINS0_14default_configENS1_22reduce_config_selectorIiEEZNS1_11reduce_implILb1ES3_N6thrust23THRUST_200600_302600_NS11hip_rocprim35transform_pair_of_input_iterators_tIiPN3c108BFloat16ESD_NS8_12not_equal_toISC_EEEEPiiNS8_4plusIiEEEE10hipError_tPvRmT1_T2_T3_mT4_P12ihipStream_tbEUlT_E0_NS1_11comp_targetILNS1_3genE10ELNS1_11target_archE1201ELNS1_3gpuE5ELNS1_3repE0EEENS1_30default_config_static_selectorELNS0_4arch9wavefront6targetE1EEEvSN_,comdat
	.protected	_ZN7rocprim17ROCPRIM_400000_NS6detail17trampoline_kernelINS0_14default_configENS1_22reduce_config_selectorIiEEZNS1_11reduce_implILb1ES3_N6thrust23THRUST_200600_302600_NS11hip_rocprim35transform_pair_of_input_iterators_tIiPN3c108BFloat16ESD_NS8_12not_equal_toISC_EEEEPiiNS8_4plusIiEEEE10hipError_tPvRmT1_T2_T3_mT4_P12ihipStream_tbEUlT_E0_NS1_11comp_targetILNS1_3genE10ELNS1_11target_archE1201ELNS1_3gpuE5ELNS1_3repE0EEENS1_30default_config_static_selectorELNS0_4arch9wavefront6targetE1EEEvSN_ ; -- Begin function _ZN7rocprim17ROCPRIM_400000_NS6detail17trampoline_kernelINS0_14default_configENS1_22reduce_config_selectorIiEEZNS1_11reduce_implILb1ES3_N6thrust23THRUST_200600_302600_NS11hip_rocprim35transform_pair_of_input_iterators_tIiPN3c108BFloat16ESD_NS8_12not_equal_toISC_EEEEPiiNS8_4plusIiEEEE10hipError_tPvRmT1_T2_T3_mT4_P12ihipStream_tbEUlT_E0_NS1_11comp_targetILNS1_3genE10ELNS1_11target_archE1201ELNS1_3gpuE5ELNS1_3repE0EEENS1_30default_config_static_selectorELNS0_4arch9wavefront6targetE1EEEvSN_
	.globl	_ZN7rocprim17ROCPRIM_400000_NS6detail17trampoline_kernelINS0_14default_configENS1_22reduce_config_selectorIiEEZNS1_11reduce_implILb1ES3_N6thrust23THRUST_200600_302600_NS11hip_rocprim35transform_pair_of_input_iterators_tIiPN3c108BFloat16ESD_NS8_12not_equal_toISC_EEEEPiiNS8_4plusIiEEEE10hipError_tPvRmT1_T2_T3_mT4_P12ihipStream_tbEUlT_E0_NS1_11comp_targetILNS1_3genE10ELNS1_11target_archE1201ELNS1_3gpuE5ELNS1_3repE0EEENS1_30default_config_static_selectorELNS0_4arch9wavefront6targetE1EEEvSN_
	.p2align	8
	.type	_ZN7rocprim17ROCPRIM_400000_NS6detail17trampoline_kernelINS0_14default_configENS1_22reduce_config_selectorIiEEZNS1_11reduce_implILb1ES3_N6thrust23THRUST_200600_302600_NS11hip_rocprim35transform_pair_of_input_iterators_tIiPN3c108BFloat16ESD_NS8_12not_equal_toISC_EEEEPiiNS8_4plusIiEEEE10hipError_tPvRmT1_T2_T3_mT4_P12ihipStream_tbEUlT_E0_NS1_11comp_targetILNS1_3genE10ELNS1_11target_archE1201ELNS1_3gpuE5ELNS1_3repE0EEENS1_30default_config_static_selectorELNS0_4arch9wavefront6targetE1EEEvSN_,@function
_ZN7rocprim17ROCPRIM_400000_NS6detail17trampoline_kernelINS0_14default_configENS1_22reduce_config_selectorIiEEZNS1_11reduce_implILb1ES3_N6thrust23THRUST_200600_302600_NS11hip_rocprim35transform_pair_of_input_iterators_tIiPN3c108BFloat16ESD_NS8_12not_equal_toISC_EEEEPiiNS8_4plusIiEEEE10hipError_tPvRmT1_T2_T3_mT4_P12ihipStream_tbEUlT_E0_NS1_11comp_targetILNS1_3genE10ELNS1_11target_archE1201ELNS1_3gpuE5ELNS1_3repE0EEENS1_30default_config_static_selectorELNS0_4arch9wavefront6targetE1EEEvSN_: ; @_ZN7rocprim17ROCPRIM_400000_NS6detail17trampoline_kernelINS0_14default_configENS1_22reduce_config_selectorIiEEZNS1_11reduce_implILb1ES3_N6thrust23THRUST_200600_302600_NS11hip_rocprim35transform_pair_of_input_iterators_tIiPN3c108BFloat16ESD_NS8_12not_equal_toISC_EEEEPiiNS8_4plusIiEEEE10hipError_tPvRmT1_T2_T3_mT4_P12ihipStream_tbEUlT_E0_NS1_11comp_targetILNS1_3genE10ELNS1_11target_archE1201ELNS1_3gpuE5ELNS1_3repE0EEENS1_30default_config_static_selectorELNS0_4arch9wavefront6targetE1EEEvSN_
; %bb.0:
	.section	.rodata,"a",@progbits
	.p2align	6, 0x0
	.amdhsa_kernel _ZN7rocprim17ROCPRIM_400000_NS6detail17trampoline_kernelINS0_14default_configENS1_22reduce_config_selectorIiEEZNS1_11reduce_implILb1ES3_N6thrust23THRUST_200600_302600_NS11hip_rocprim35transform_pair_of_input_iterators_tIiPN3c108BFloat16ESD_NS8_12not_equal_toISC_EEEEPiiNS8_4plusIiEEEE10hipError_tPvRmT1_T2_T3_mT4_P12ihipStream_tbEUlT_E0_NS1_11comp_targetILNS1_3genE10ELNS1_11target_archE1201ELNS1_3gpuE5ELNS1_3repE0EEENS1_30default_config_static_selectorELNS0_4arch9wavefront6targetE1EEEvSN_
		.amdhsa_group_segment_fixed_size 0
		.amdhsa_private_segment_fixed_size 0
		.amdhsa_kernarg_size 72
		.amdhsa_user_sgpr_count 6
		.amdhsa_user_sgpr_private_segment_buffer 1
		.amdhsa_user_sgpr_dispatch_ptr 0
		.amdhsa_user_sgpr_queue_ptr 0
		.amdhsa_user_sgpr_kernarg_segment_ptr 1
		.amdhsa_user_sgpr_dispatch_id 0
		.amdhsa_user_sgpr_flat_scratch_init 0
		.amdhsa_user_sgpr_kernarg_preload_length 0
		.amdhsa_user_sgpr_kernarg_preload_offset 0
		.amdhsa_user_sgpr_private_segment_size 0
		.amdhsa_uses_dynamic_stack 0
		.amdhsa_system_sgpr_private_segment_wavefront_offset 0
		.amdhsa_system_sgpr_workgroup_id_x 1
		.amdhsa_system_sgpr_workgroup_id_y 0
		.amdhsa_system_sgpr_workgroup_id_z 0
		.amdhsa_system_sgpr_workgroup_info 0
		.amdhsa_system_vgpr_workitem_id 0
		.amdhsa_next_free_vgpr 1
		.amdhsa_next_free_sgpr 0
		.amdhsa_accum_offset 4
		.amdhsa_reserve_vcc 0
		.amdhsa_reserve_flat_scratch 0
		.amdhsa_float_round_mode_32 0
		.amdhsa_float_round_mode_16_64 0
		.amdhsa_float_denorm_mode_32 3
		.amdhsa_float_denorm_mode_16_64 3
		.amdhsa_dx10_clamp 1
		.amdhsa_ieee_mode 1
		.amdhsa_fp16_overflow 0
		.amdhsa_tg_split 0
		.amdhsa_exception_fp_ieee_invalid_op 0
		.amdhsa_exception_fp_denorm_src 0
		.amdhsa_exception_fp_ieee_div_zero 0
		.amdhsa_exception_fp_ieee_overflow 0
		.amdhsa_exception_fp_ieee_underflow 0
		.amdhsa_exception_fp_ieee_inexact 0
		.amdhsa_exception_int_div_zero 0
	.end_amdhsa_kernel
	.section	.text._ZN7rocprim17ROCPRIM_400000_NS6detail17trampoline_kernelINS0_14default_configENS1_22reduce_config_selectorIiEEZNS1_11reduce_implILb1ES3_N6thrust23THRUST_200600_302600_NS11hip_rocprim35transform_pair_of_input_iterators_tIiPN3c108BFloat16ESD_NS8_12not_equal_toISC_EEEEPiiNS8_4plusIiEEEE10hipError_tPvRmT1_T2_T3_mT4_P12ihipStream_tbEUlT_E0_NS1_11comp_targetILNS1_3genE10ELNS1_11target_archE1201ELNS1_3gpuE5ELNS1_3repE0EEENS1_30default_config_static_selectorELNS0_4arch9wavefront6targetE1EEEvSN_,"axG",@progbits,_ZN7rocprim17ROCPRIM_400000_NS6detail17trampoline_kernelINS0_14default_configENS1_22reduce_config_selectorIiEEZNS1_11reduce_implILb1ES3_N6thrust23THRUST_200600_302600_NS11hip_rocprim35transform_pair_of_input_iterators_tIiPN3c108BFloat16ESD_NS8_12not_equal_toISC_EEEEPiiNS8_4plusIiEEEE10hipError_tPvRmT1_T2_T3_mT4_P12ihipStream_tbEUlT_E0_NS1_11comp_targetILNS1_3genE10ELNS1_11target_archE1201ELNS1_3gpuE5ELNS1_3repE0EEENS1_30default_config_static_selectorELNS0_4arch9wavefront6targetE1EEEvSN_,comdat
.Lfunc_end2040:
	.size	_ZN7rocprim17ROCPRIM_400000_NS6detail17trampoline_kernelINS0_14default_configENS1_22reduce_config_selectorIiEEZNS1_11reduce_implILb1ES3_N6thrust23THRUST_200600_302600_NS11hip_rocprim35transform_pair_of_input_iterators_tIiPN3c108BFloat16ESD_NS8_12not_equal_toISC_EEEEPiiNS8_4plusIiEEEE10hipError_tPvRmT1_T2_T3_mT4_P12ihipStream_tbEUlT_E0_NS1_11comp_targetILNS1_3genE10ELNS1_11target_archE1201ELNS1_3gpuE5ELNS1_3repE0EEENS1_30default_config_static_selectorELNS0_4arch9wavefront6targetE1EEEvSN_, .Lfunc_end2040-_ZN7rocprim17ROCPRIM_400000_NS6detail17trampoline_kernelINS0_14default_configENS1_22reduce_config_selectorIiEEZNS1_11reduce_implILb1ES3_N6thrust23THRUST_200600_302600_NS11hip_rocprim35transform_pair_of_input_iterators_tIiPN3c108BFloat16ESD_NS8_12not_equal_toISC_EEEEPiiNS8_4plusIiEEEE10hipError_tPvRmT1_T2_T3_mT4_P12ihipStream_tbEUlT_E0_NS1_11comp_targetILNS1_3genE10ELNS1_11target_archE1201ELNS1_3gpuE5ELNS1_3repE0EEENS1_30default_config_static_selectorELNS0_4arch9wavefront6targetE1EEEvSN_
                                        ; -- End function
	.section	.AMDGPU.csdata,"",@progbits
; Kernel info:
; codeLenInByte = 0
; NumSgprs: 4
; NumVgprs: 0
; NumAgprs: 0
; TotalNumVgprs: 0
; ScratchSize: 0
; MemoryBound: 0
; FloatMode: 240
; IeeeMode: 1
; LDSByteSize: 0 bytes/workgroup (compile time only)
; SGPRBlocks: 0
; VGPRBlocks: 0
; NumSGPRsForWavesPerEU: 4
; NumVGPRsForWavesPerEU: 1
; AccumOffset: 4
; Occupancy: 8
; WaveLimiterHint : 0
; COMPUTE_PGM_RSRC2:SCRATCH_EN: 0
; COMPUTE_PGM_RSRC2:USER_SGPR: 6
; COMPUTE_PGM_RSRC2:TRAP_HANDLER: 0
; COMPUTE_PGM_RSRC2:TGID_X_EN: 1
; COMPUTE_PGM_RSRC2:TGID_Y_EN: 0
; COMPUTE_PGM_RSRC2:TGID_Z_EN: 0
; COMPUTE_PGM_RSRC2:TIDIG_COMP_CNT: 0
; COMPUTE_PGM_RSRC3_GFX90A:ACCUM_OFFSET: 0
; COMPUTE_PGM_RSRC3_GFX90A:TG_SPLIT: 0
	.section	.text._ZN7rocprim17ROCPRIM_400000_NS6detail17trampoline_kernelINS0_14default_configENS1_22reduce_config_selectorIiEEZNS1_11reduce_implILb1ES3_N6thrust23THRUST_200600_302600_NS11hip_rocprim35transform_pair_of_input_iterators_tIiPN3c108BFloat16ESD_NS8_12not_equal_toISC_EEEEPiiNS8_4plusIiEEEE10hipError_tPvRmT1_T2_T3_mT4_P12ihipStream_tbEUlT_E0_NS1_11comp_targetILNS1_3genE10ELNS1_11target_archE1200ELNS1_3gpuE4ELNS1_3repE0EEENS1_30default_config_static_selectorELNS0_4arch9wavefront6targetE1EEEvSN_,"axG",@progbits,_ZN7rocprim17ROCPRIM_400000_NS6detail17trampoline_kernelINS0_14default_configENS1_22reduce_config_selectorIiEEZNS1_11reduce_implILb1ES3_N6thrust23THRUST_200600_302600_NS11hip_rocprim35transform_pair_of_input_iterators_tIiPN3c108BFloat16ESD_NS8_12not_equal_toISC_EEEEPiiNS8_4plusIiEEEE10hipError_tPvRmT1_T2_T3_mT4_P12ihipStream_tbEUlT_E0_NS1_11comp_targetILNS1_3genE10ELNS1_11target_archE1200ELNS1_3gpuE4ELNS1_3repE0EEENS1_30default_config_static_selectorELNS0_4arch9wavefront6targetE1EEEvSN_,comdat
	.protected	_ZN7rocprim17ROCPRIM_400000_NS6detail17trampoline_kernelINS0_14default_configENS1_22reduce_config_selectorIiEEZNS1_11reduce_implILb1ES3_N6thrust23THRUST_200600_302600_NS11hip_rocprim35transform_pair_of_input_iterators_tIiPN3c108BFloat16ESD_NS8_12not_equal_toISC_EEEEPiiNS8_4plusIiEEEE10hipError_tPvRmT1_T2_T3_mT4_P12ihipStream_tbEUlT_E0_NS1_11comp_targetILNS1_3genE10ELNS1_11target_archE1200ELNS1_3gpuE4ELNS1_3repE0EEENS1_30default_config_static_selectorELNS0_4arch9wavefront6targetE1EEEvSN_ ; -- Begin function _ZN7rocprim17ROCPRIM_400000_NS6detail17trampoline_kernelINS0_14default_configENS1_22reduce_config_selectorIiEEZNS1_11reduce_implILb1ES3_N6thrust23THRUST_200600_302600_NS11hip_rocprim35transform_pair_of_input_iterators_tIiPN3c108BFloat16ESD_NS8_12not_equal_toISC_EEEEPiiNS8_4plusIiEEEE10hipError_tPvRmT1_T2_T3_mT4_P12ihipStream_tbEUlT_E0_NS1_11comp_targetILNS1_3genE10ELNS1_11target_archE1200ELNS1_3gpuE4ELNS1_3repE0EEENS1_30default_config_static_selectorELNS0_4arch9wavefront6targetE1EEEvSN_
	.globl	_ZN7rocprim17ROCPRIM_400000_NS6detail17trampoline_kernelINS0_14default_configENS1_22reduce_config_selectorIiEEZNS1_11reduce_implILb1ES3_N6thrust23THRUST_200600_302600_NS11hip_rocprim35transform_pair_of_input_iterators_tIiPN3c108BFloat16ESD_NS8_12not_equal_toISC_EEEEPiiNS8_4plusIiEEEE10hipError_tPvRmT1_T2_T3_mT4_P12ihipStream_tbEUlT_E0_NS1_11comp_targetILNS1_3genE10ELNS1_11target_archE1200ELNS1_3gpuE4ELNS1_3repE0EEENS1_30default_config_static_selectorELNS0_4arch9wavefront6targetE1EEEvSN_
	.p2align	8
	.type	_ZN7rocprim17ROCPRIM_400000_NS6detail17trampoline_kernelINS0_14default_configENS1_22reduce_config_selectorIiEEZNS1_11reduce_implILb1ES3_N6thrust23THRUST_200600_302600_NS11hip_rocprim35transform_pair_of_input_iterators_tIiPN3c108BFloat16ESD_NS8_12not_equal_toISC_EEEEPiiNS8_4plusIiEEEE10hipError_tPvRmT1_T2_T3_mT4_P12ihipStream_tbEUlT_E0_NS1_11comp_targetILNS1_3genE10ELNS1_11target_archE1200ELNS1_3gpuE4ELNS1_3repE0EEENS1_30default_config_static_selectorELNS0_4arch9wavefront6targetE1EEEvSN_,@function
_ZN7rocprim17ROCPRIM_400000_NS6detail17trampoline_kernelINS0_14default_configENS1_22reduce_config_selectorIiEEZNS1_11reduce_implILb1ES3_N6thrust23THRUST_200600_302600_NS11hip_rocprim35transform_pair_of_input_iterators_tIiPN3c108BFloat16ESD_NS8_12not_equal_toISC_EEEEPiiNS8_4plusIiEEEE10hipError_tPvRmT1_T2_T3_mT4_P12ihipStream_tbEUlT_E0_NS1_11comp_targetILNS1_3genE10ELNS1_11target_archE1200ELNS1_3gpuE4ELNS1_3repE0EEENS1_30default_config_static_selectorELNS0_4arch9wavefront6targetE1EEEvSN_: ; @_ZN7rocprim17ROCPRIM_400000_NS6detail17trampoline_kernelINS0_14default_configENS1_22reduce_config_selectorIiEEZNS1_11reduce_implILb1ES3_N6thrust23THRUST_200600_302600_NS11hip_rocprim35transform_pair_of_input_iterators_tIiPN3c108BFloat16ESD_NS8_12not_equal_toISC_EEEEPiiNS8_4plusIiEEEE10hipError_tPvRmT1_T2_T3_mT4_P12ihipStream_tbEUlT_E0_NS1_11comp_targetILNS1_3genE10ELNS1_11target_archE1200ELNS1_3gpuE4ELNS1_3repE0EEENS1_30default_config_static_selectorELNS0_4arch9wavefront6targetE1EEEvSN_
; %bb.0:
	.section	.rodata,"a",@progbits
	.p2align	6, 0x0
	.amdhsa_kernel _ZN7rocprim17ROCPRIM_400000_NS6detail17trampoline_kernelINS0_14default_configENS1_22reduce_config_selectorIiEEZNS1_11reduce_implILb1ES3_N6thrust23THRUST_200600_302600_NS11hip_rocprim35transform_pair_of_input_iterators_tIiPN3c108BFloat16ESD_NS8_12not_equal_toISC_EEEEPiiNS8_4plusIiEEEE10hipError_tPvRmT1_T2_T3_mT4_P12ihipStream_tbEUlT_E0_NS1_11comp_targetILNS1_3genE10ELNS1_11target_archE1200ELNS1_3gpuE4ELNS1_3repE0EEENS1_30default_config_static_selectorELNS0_4arch9wavefront6targetE1EEEvSN_
		.amdhsa_group_segment_fixed_size 0
		.amdhsa_private_segment_fixed_size 0
		.amdhsa_kernarg_size 72
		.amdhsa_user_sgpr_count 6
		.amdhsa_user_sgpr_private_segment_buffer 1
		.amdhsa_user_sgpr_dispatch_ptr 0
		.amdhsa_user_sgpr_queue_ptr 0
		.amdhsa_user_sgpr_kernarg_segment_ptr 1
		.amdhsa_user_sgpr_dispatch_id 0
		.amdhsa_user_sgpr_flat_scratch_init 0
		.amdhsa_user_sgpr_kernarg_preload_length 0
		.amdhsa_user_sgpr_kernarg_preload_offset 0
		.amdhsa_user_sgpr_private_segment_size 0
		.amdhsa_uses_dynamic_stack 0
		.amdhsa_system_sgpr_private_segment_wavefront_offset 0
		.amdhsa_system_sgpr_workgroup_id_x 1
		.amdhsa_system_sgpr_workgroup_id_y 0
		.amdhsa_system_sgpr_workgroup_id_z 0
		.amdhsa_system_sgpr_workgroup_info 0
		.amdhsa_system_vgpr_workitem_id 0
		.amdhsa_next_free_vgpr 1
		.amdhsa_next_free_sgpr 0
		.amdhsa_accum_offset 4
		.amdhsa_reserve_vcc 0
		.amdhsa_reserve_flat_scratch 0
		.amdhsa_float_round_mode_32 0
		.amdhsa_float_round_mode_16_64 0
		.amdhsa_float_denorm_mode_32 3
		.amdhsa_float_denorm_mode_16_64 3
		.amdhsa_dx10_clamp 1
		.amdhsa_ieee_mode 1
		.amdhsa_fp16_overflow 0
		.amdhsa_tg_split 0
		.amdhsa_exception_fp_ieee_invalid_op 0
		.amdhsa_exception_fp_denorm_src 0
		.amdhsa_exception_fp_ieee_div_zero 0
		.amdhsa_exception_fp_ieee_overflow 0
		.amdhsa_exception_fp_ieee_underflow 0
		.amdhsa_exception_fp_ieee_inexact 0
		.amdhsa_exception_int_div_zero 0
	.end_amdhsa_kernel
	.section	.text._ZN7rocprim17ROCPRIM_400000_NS6detail17trampoline_kernelINS0_14default_configENS1_22reduce_config_selectorIiEEZNS1_11reduce_implILb1ES3_N6thrust23THRUST_200600_302600_NS11hip_rocprim35transform_pair_of_input_iterators_tIiPN3c108BFloat16ESD_NS8_12not_equal_toISC_EEEEPiiNS8_4plusIiEEEE10hipError_tPvRmT1_T2_T3_mT4_P12ihipStream_tbEUlT_E0_NS1_11comp_targetILNS1_3genE10ELNS1_11target_archE1200ELNS1_3gpuE4ELNS1_3repE0EEENS1_30default_config_static_selectorELNS0_4arch9wavefront6targetE1EEEvSN_,"axG",@progbits,_ZN7rocprim17ROCPRIM_400000_NS6detail17trampoline_kernelINS0_14default_configENS1_22reduce_config_selectorIiEEZNS1_11reduce_implILb1ES3_N6thrust23THRUST_200600_302600_NS11hip_rocprim35transform_pair_of_input_iterators_tIiPN3c108BFloat16ESD_NS8_12not_equal_toISC_EEEEPiiNS8_4plusIiEEEE10hipError_tPvRmT1_T2_T3_mT4_P12ihipStream_tbEUlT_E0_NS1_11comp_targetILNS1_3genE10ELNS1_11target_archE1200ELNS1_3gpuE4ELNS1_3repE0EEENS1_30default_config_static_selectorELNS0_4arch9wavefront6targetE1EEEvSN_,comdat
.Lfunc_end2041:
	.size	_ZN7rocprim17ROCPRIM_400000_NS6detail17trampoline_kernelINS0_14default_configENS1_22reduce_config_selectorIiEEZNS1_11reduce_implILb1ES3_N6thrust23THRUST_200600_302600_NS11hip_rocprim35transform_pair_of_input_iterators_tIiPN3c108BFloat16ESD_NS8_12not_equal_toISC_EEEEPiiNS8_4plusIiEEEE10hipError_tPvRmT1_T2_T3_mT4_P12ihipStream_tbEUlT_E0_NS1_11comp_targetILNS1_3genE10ELNS1_11target_archE1200ELNS1_3gpuE4ELNS1_3repE0EEENS1_30default_config_static_selectorELNS0_4arch9wavefront6targetE1EEEvSN_, .Lfunc_end2041-_ZN7rocprim17ROCPRIM_400000_NS6detail17trampoline_kernelINS0_14default_configENS1_22reduce_config_selectorIiEEZNS1_11reduce_implILb1ES3_N6thrust23THRUST_200600_302600_NS11hip_rocprim35transform_pair_of_input_iterators_tIiPN3c108BFloat16ESD_NS8_12not_equal_toISC_EEEEPiiNS8_4plusIiEEEE10hipError_tPvRmT1_T2_T3_mT4_P12ihipStream_tbEUlT_E0_NS1_11comp_targetILNS1_3genE10ELNS1_11target_archE1200ELNS1_3gpuE4ELNS1_3repE0EEENS1_30default_config_static_selectorELNS0_4arch9wavefront6targetE1EEEvSN_
                                        ; -- End function
	.section	.AMDGPU.csdata,"",@progbits
; Kernel info:
; codeLenInByte = 0
; NumSgprs: 4
; NumVgprs: 0
; NumAgprs: 0
; TotalNumVgprs: 0
; ScratchSize: 0
; MemoryBound: 0
; FloatMode: 240
; IeeeMode: 1
; LDSByteSize: 0 bytes/workgroup (compile time only)
; SGPRBlocks: 0
; VGPRBlocks: 0
; NumSGPRsForWavesPerEU: 4
; NumVGPRsForWavesPerEU: 1
; AccumOffset: 4
; Occupancy: 8
; WaveLimiterHint : 0
; COMPUTE_PGM_RSRC2:SCRATCH_EN: 0
; COMPUTE_PGM_RSRC2:USER_SGPR: 6
; COMPUTE_PGM_RSRC2:TRAP_HANDLER: 0
; COMPUTE_PGM_RSRC2:TGID_X_EN: 1
; COMPUTE_PGM_RSRC2:TGID_Y_EN: 0
; COMPUTE_PGM_RSRC2:TGID_Z_EN: 0
; COMPUTE_PGM_RSRC2:TIDIG_COMP_CNT: 0
; COMPUTE_PGM_RSRC3_GFX90A:ACCUM_OFFSET: 0
; COMPUTE_PGM_RSRC3_GFX90A:TG_SPLIT: 0
	.section	.text._ZN7rocprim17ROCPRIM_400000_NS6detail17trampoline_kernelINS0_14default_configENS1_22reduce_config_selectorIiEEZNS1_11reduce_implILb1ES3_N6thrust23THRUST_200600_302600_NS11hip_rocprim35transform_pair_of_input_iterators_tIiPN3c108BFloat16ESD_NS8_12not_equal_toISC_EEEEPiiNS8_4plusIiEEEE10hipError_tPvRmT1_T2_T3_mT4_P12ihipStream_tbEUlT_E0_NS1_11comp_targetILNS1_3genE9ELNS1_11target_archE1100ELNS1_3gpuE3ELNS1_3repE0EEENS1_30default_config_static_selectorELNS0_4arch9wavefront6targetE1EEEvSN_,"axG",@progbits,_ZN7rocprim17ROCPRIM_400000_NS6detail17trampoline_kernelINS0_14default_configENS1_22reduce_config_selectorIiEEZNS1_11reduce_implILb1ES3_N6thrust23THRUST_200600_302600_NS11hip_rocprim35transform_pair_of_input_iterators_tIiPN3c108BFloat16ESD_NS8_12not_equal_toISC_EEEEPiiNS8_4plusIiEEEE10hipError_tPvRmT1_T2_T3_mT4_P12ihipStream_tbEUlT_E0_NS1_11comp_targetILNS1_3genE9ELNS1_11target_archE1100ELNS1_3gpuE3ELNS1_3repE0EEENS1_30default_config_static_selectorELNS0_4arch9wavefront6targetE1EEEvSN_,comdat
	.protected	_ZN7rocprim17ROCPRIM_400000_NS6detail17trampoline_kernelINS0_14default_configENS1_22reduce_config_selectorIiEEZNS1_11reduce_implILb1ES3_N6thrust23THRUST_200600_302600_NS11hip_rocprim35transform_pair_of_input_iterators_tIiPN3c108BFloat16ESD_NS8_12not_equal_toISC_EEEEPiiNS8_4plusIiEEEE10hipError_tPvRmT1_T2_T3_mT4_P12ihipStream_tbEUlT_E0_NS1_11comp_targetILNS1_3genE9ELNS1_11target_archE1100ELNS1_3gpuE3ELNS1_3repE0EEENS1_30default_config_static_selectorELNS0_4arch9wavefront6targetE1EEEvSN_ ; -- Begin function _ZN7rocprim17ROCPRIM_400000_NS6detail17trampoline_kernelINS0_14default_configENS1_22reduce_config_selectorIiEEZNS1_11reduce_implILb1ES3_N6thrust23THRUST_200600_302600_NS11hip_rocprim35transform_pair_of_input_iterators_tIiPN3c108BFloat16ESD_NS8_12not_equal_toISC_EEEEPiiNS8_4plusIiEEEE10hipError_tPvRmT1_T2_T3_mT4_P12ihipStream_tbEUlT_E0_NS1_11comp_targetILNS1_3genE9ELNS1_11target_archE1100ELNS1_3gpuE3ELNS1_3repE0EEENS1_30default_config_static_selectorELNS0_4arch9wavefront6targetE1EEEvSN_
	.globl	_ZN7rocprim17ROCPRIM_400000_NS6detail17trampoline_kernelINS0_14default_configENS1_22reduce_config_selectorIiEEZNS1_11reduce_implILb1ES3_N6thrust23THRUST_200600_302600_NS11hip_rocprim35transform_pair_of_input_iterators_tIiPN3c108BFloat16ESD_NS8_12not_equal_toISC_EEEEPiiNS8_4plusIiEEEE10hipError_tPvRmT1_T2_T3_mT4_P12ihipStream_tbEUlT_E0_NS1_11comp_targetILNS1_3genE9ELNS1_11target_archE1100ELNS1_3gpuE3ELNS1_3repE0EEENS1_30default_config_static_selectorELNS0_4arch9wavefront6targetE1EEEvSN_
	.p2align	8
	.type	_ZN7rocprim17ROCPRIM_400000_NS6detail17trampoline_kernelINS0_14default_configENS1_22reduce_config_selectorIiEEZNS1_11reduce_implILb1ES3_N6thrust23THRUST_200600_302600_NS11hip_rocprim35transform_pair_of_input_iterators_tIiPN3c108BFloat16ESD_NS8_12not_equal_toISC_EEEEPiiNS8_4plusIiEEEE10hipError_tPvRmT1_T2_T3_mT4_P12ihipStream_tbEUlT_E0_NS1_11comp_targetILNS1_3genE9ELNS1_11target_archE1100ELNS1_3gpuE3ELNS1_3repE0EEENS1_30default_config_static_selectorELNS0_4arch9wavefront6targetE1EEEvSN_,@function
_ZN7rocprim17ROCPRIM_400000_NS6detail17trampoline_kernelINS0_14default_configENS1_22reduce_config_selectorIiEEZNS1_11reduce_implILb1ES3_N6thrust23THRUST_200600_302600_NS11hip_rocprim35transform_pair_of_input_iterators_tIiPN3c108BFloat16ESD_NS8_12not_equal_toISC_EEEEPiiNS8_4plusIiEEEE10hipError_tPvRmT1_T2_T3_mT4_P12ihipStream_tbEUlT_E0_NS1_11comp_targetILNS1_3genE9ELNS1_11target_archE1100ELNS1_3gpuE3ELNS1_3repE0EEENS1_30default_config_static_selectorELNS0_4arch9wavefront6targetE1EEEvSN_: ; @_ZN7rocprim17ROCPRIM_400000_NS6detail17trampoline_kernelINS0_14default_configENS1_22reduce_config_selectorIiEEZNS1_11reduce_implILb1ES3_N6thrust23THRUST_200600_302600_NS11hip_rocprim35transform_pair_of_input_iterators_tIiPN3c108BFloat16ESD_NS8_12not_equal_toISC_EEEEPiiNS8_4plusIiEEEE10hipError_tPvRmT1_T2_T3_mT4_P12ihipStream_tbEUlT_E0_NS1_11comp_targetILNS1_3genE9ELNS1_11target_archE1100ELNS1_3gpuE3ELNS1_3repE0EEENS1_30default_config_static_selectorELNS0_4arch9wavefront6targetE1EEEvSN_
; %bb.0:
	.section	.rodata,"a",@progbits
	.p2align	6, 0x0
	.amdhsa_kernel _ZN7rocprim17ROCPRIM_400000_NS6detail17trampoline_kernelINS0_14default_configENS1_22reduce_config_selectorIiEEZNS1_11reduce_implILb1ES3_N6thrust23THRUST_200600_302600_NS11hip_rocprim35transform_pair_of_input_iterators_tIiPN3c108BFloat16ESD_NS8_12not_equal_toISC_EEEEPiiNS8_4plusIiEEEE10hipError_tPvRmT1_T2_T3_mT4_P12ihipStream_tbEUlT_E0_NS1_11comp_targetILNS1_3genE9ELNS1_11target_archE1100ELNS1_3gpuE3ELNS1_3repE0EEENS1_30default_config_static_selectorELNS0_4arch9wavefront6targetE1EEEvSN_
		.amdhsa_group_segment_fixed_size 0
		.amdhsa_private_segment_fixed_size 0
		.amdhsa_kernarg_size 72
		.amdhsa_user_sgpr_count 6
		.amdhsa_user_sgpr_private_segment_buffer 1
		.amdhsa_user_sgpr_dispatch_ptr 0
		.amdhsa_user_sgpr_queue_ptr 0
		.amdhsa_user_sgpr_kernarg_segment_ptr 1
		.amdhsa_user_sgpr_dispatch_id 0
		.amdhsa_user_sgpr_flat_scratch_init 0
		.amdhsa_user_sgpr_kernarg_preload_length 0
		.amdhsa_user_sgpr_kernarg_preload_offset 0
		.amdhsa_user_sgpr_private_segment_size 0
		.amdhsa_uses_dynamic_stack 0
		.amdhsa_system_sgpr_private_segment_wavefront_offset 0
		.amdhsa_system_sgpr_workgroup_id_x 1
		.amdhsa_system_sgpr_workgroup_id_y 0
		.amdhsa_system_sgpr_workgroup_id_z 0
		.amdhsa_system_sgpr_workgroup_info 0
		.amdhsa_system_vgpr_workitem_id 0
		.amdhsa_next_free_vgpr 1
		.amdhsa_next_free_sgpr 0
		.amdhsa_accum_offset 4
		.amdhsa_reserve_vcc 0
		.amdhsa_reserve_flat_scratch 0
		.amdhsa_float_round_mode_32 0
		.amdhsa_float_round_mode_16_64 0
		.amdhsa_float_denorm_mode_32 3
		.amdhsa_float_denorm_mode_16_64 3
		.amdhsa_dx10_clamp 1
		.amdhsa_ieee_mode 1
		.amdhsa_fp16_overflow 0
		.amdhsa_tg_split 0
		.amdhsa_exception_fp_ieee_invalid_op 0
		.amdhsa_exception_fp_denorm_src 0
		.amdhsa_exception_fp_ieee_div_zero 0
		.amdhsa_exception_fp_ieee_overflow 0
		.amdhsa_exception_fp_ieee_underflow 0
		.amdhsa_exception_fp_ieee_inexact 0
		.amdhsa_exception_int_div_zero 0
	.end_amdhsa_kernel
	.section	.text._ZN7rocprim17ROCPRIM_400000_NS6detail17trampoline_kernelINS0_14default_configENS1_22reduce_config_selectorIiEEZNS1_11reduce_implILb1ES3_N6thrust23THRUST_200600_302600_NS11hip_rocprim35transform_pair_of_input_iterators_tIiPN3c108BFloat16ESD_NS8_12not_equal_toISC_EEEEPiiNS8_4plusIiEEEE10hipError_tPvRmT1_T2_T3_mT4_P12ihipStream_tbEUlT_E0_NS1_11comp_targetILNS1_3genE9ELNS1_11target_archE1100ELNS1_3gpuE3ELNS1_3repE0EEENS1_30default_config_static_selectorELNS0_4arch9wavefront6targetE1EEEvSN_,"axG",@progbits,_ZN7rocprim17ROCPRIM_400000_NS6detail17trampoline_kernelINS0_14default_configENS1_22reduce_config_selectorIiEEZNS1_11reduce_implILb1ES3_N6thrust23THRUST_200600_302600_NS11hip_rocprim35transform_pair_of_input_iterators_tIiPN3c108BFloat16ESD_NS8_12not_equal_toISC_EEEEPiiNS8_4plusIiEEEE10hipError_tPvRmT1_T2_T3_mT4_P12ihipStream_tbEUlT_E0_NS1_11comp_targetILNS1_3genE9ELNS1_11target_archE1100ELNS1_3gpuE3ELNS1_3repE0EEENS1_30default_config_static_selectorELNS0_4arch9wavefront6targetE1EEEvSN_,comdat
.Lfunc_end2042:
	.size	_ZN7rocprim17ROCPRIM_400000_NS6detail17trampoline_kernelINS0_14default_configENS1_22reduce_config_selectorIiEEZNS1_11reduce_implILb1ES3_N6thrust23THRUST_200600_302600_NS11hip_rocprim35transform_pair_of_input_iterators_tIiPN3c108BFloat16ESD_NS8_12not_equal_toISC_EEEEPiiNS8_4plusIiEEEE10hipError_tPvRmT1_T2_T3_mT4_P12ihipStream_tbEUlT_E0_NS1_11comp_targetILNS1_3genE9ELNS1_11target_archE1100ELNS1_3gpuE3ELNS1_3repE0EEENS1_30default_config_static_selectorELNS0_4arch9wavefront6targetE1EEEvSN_, .Lfunc_end2042-_ZN7rocprim17ROCPRIM_400000_NS6detail17trampoline_kernelINS0_14default_configENS1_22reduce_config_selectorIiEEZNS1_11reduce_implILb1ES3_N6thrust23THRUST_200600_302600_NS11hip_rocprim35transform_pair_of_input_iterators_tIiPN3c108BFloat16ESD_NS8_12not_equal_toISC_EEEEPiiNS8_4plusIiEEEE10hipError_tPvRmT1_T2_T3_mT4_P12ihipStream_tbEUlT_E0_NS1_11comp_targetILNS1_3genE9ELNS1_11target_archE1100ELNS1_3gpuE3ELNS1_3repE0EEENS1_30default_config_static_selectorELNS0_4arch9wavefront6targetE1EEEvSN_
                                        ; -- End function
	.section	.AMDGPU.csdata,"",@progbits
; Kernel info:
; codeLenInByte = 0
; NumSgprs: 4
; NumVgprs: 0
; NumAgprs: 0
; TotalNumVgprs: 0
; ScratchSize: 0
; MemoryBound: 0
; FloatMode: 240
; IeeeMode: 1
; LDSByteSize: 0 bytes/workgroup (compile time only)
; SGPRBlocks: 0
; VGPRBlocks: 0
; NumSGPRsForWavesPerEU: 4
; NumVGPRsForWavesPerEU: 1
; AccumOffset: 4
; Occupancy: 8
; WaveLimiterHint : 0
; COMPUTE_PGM_RSRC2:SCRATCH_EN: 0
; COMPUTE_PGM_RSRC2:USER_SGPR: 6
; COMPUTE_PGM_RSRC2:TRAP_HANDLER: 0
; COMPUTE_PGM_RSRC2:TGID_X_EN: 1
; COMPUTE_PGM_RSRC2:TGID_Y_EN: 0
; COMPUTE_PGM_RSRC2:TGID_Z_EN: 0
; COMPUTE_PGM_RSRC2:TIDIG_COMP_CNT: 0
; COMPUTE_PGM_RSRC3_GFX90A:ACCUM_OFFSET: 0
; COMPUTE_PGM_RSRC3_GFX90A:TG_SPLIT: 0
	.section	.text._ZN7rocprim17ROCPRIM_400000_NS6detail17trampoline_kernelINS0_14default_configENS1_22reduce_config_selectorIiEEZNS1_11reduce_implILb1ES3_N6thrust23THRUST_200600_302600_NS11hip_rocprim35transform_pair_of_input_iterators_tIiPN3c108BFloat16ESD_NS8_12not_equal_toISC_EEEEPiiNS8_4plusIiEEEE10hipError_tPvRmT1_T2_T3_mT4_P12ihipStream_tbEUlT_E0_NS1_11comp_targetILNS1_3genE8ELNS1_11target_archE1030ELNS1_3gpuE2ELNS1_3repE0EEENS1_30default_config_static_selectorELNS0_4arch9wavefront6targetE1EEEvSN_,"axG",@progbits,_ZN7rocprim17ROCPRIM_400000_NS6detail17trampoline_kernelINS0_14default_configENS1_22reduce_config_selectorIiEEZNS1_11reduce_implILb1ES3_N6thrust23THRUST_200600_302600_NS11hip_rocprim35transform_pair_of_input_iterators_tIiPN3c108BFloat16ESD_NS8_12not_equal_toISC_EEEEPiiNS8_4plusIiEEEE10hipError_tPvRmT1_T2_T3_mT4_P12ihipStream_tbEUlT_E0_NS1_11comp_targetILNS1_3genE8ELNS1_11target_archE1030ELNS1_3gpuE2ELNS1_3repE0EEENS1_30default_config_static_selectorELNS0_4arch9wavefront6targetE1EEEvSN_,comdat
	.protected	_ZN7rocprim17ROCPRIM_400000_NS6detail17trampoline_kernelINS0_14default_configENS1_22reduce_config_selectorIiEEZNS1_11reduce_implILb1ES3_N6thrust23THRUST_200600_302600_NS11hip_rocprim35transform_pair_of_input_iterators_tIiPN3c108BFloat16ESD_NS8_12not_equal_toISC_EEEEPiiNS8_4plusIiEEEE10hipError_tPvRmT1_T2_T3_mT4_P12ihipStream_tbEUlT_E0_NS1_11comp_targetILNS1_3genE8ELNS1_11target_archE1030ELNS1_3gpuE2ELNS1_3repE0EEENS1_30default_config_static_selectorELNS0_4arch9wavefront6targetE1EEEvSN_ ; -- Begin function _ZN7rocprim17ROCPRIM_400000_NS6detail17trampoline_kernelINS0_14default_configENS1_22reduce_config_selectorIiEEZNS1_11reduce_implILb1ES3_N6thrust23THRUST_200600_302600_NS11hip_rocprim35transform_pair_of_input_iterators_tIiPN3c108BFloat16ESD_NS8_12not_equal_toISC_EEEEPiiNS8_4plusIiEEEE10hipError_tPvRmT1_T2_T3_mT4_P12ihipStream_tbEUlT_E0_NS1_11comp_targetILNS1_3genE8ELNS1_11target_archE1030ELNS1_3gpuE2ELNS1_3repE0EEENS1_30default_config_static_selectorELNS0_4arch9wavefront6targetE1EEEvSN_
	.globl	_ZN7rocprim17ROCPRIM_400000_NS6detail17trampoline_kernelINS0_14default_configENS1_22reduce_config_selectorIiEEZNS1_11reduce_implILb1ES3_N6thrust23THRUST_200600_302600_NS11hip_rocprim35transform_pair_of_input_iterators_tIiPN3c108BFloat16ESD_NS8_12not_equal_toISC_EEEEPiiNS8_4plusIiEEEE10hipError_tPvRmT1_T2_T3_mT4_P12ihipStream_tbEUlT_E0_NS1_11comp_targetILNS1_3genE8ELNS1_11target_archE1030ELNS1_3gpuE2ELNS1_3repE0EEENS1_30default_config_static_selectorELNS0_4arch9wavefront6targetE1EEEvSN_
	.p2align	8
	.type	_ZN7rocprim17ROCPRIM_400000_NS6detail17trampoline_kernelINS0_14default_configENS1_22reduce_config_selectorIiEEZNS1_11reduce_implILb1ES3_N6thrust23THRUST_200600_302600_NS11hip_rocprim35transform_pair_of_input_iterators_tIiPN3c108BFloat16ESD_NS8_12not_equal_toISC_EEEEPiiNS8_4plusIiEEEE10hipError_tPvRmT1_T2_T3_mT4_P12ihipStream_tbEUlT_E0_NS1_11comp_targetILNS1_3genE8ELNS1_11target_archE1030ELNS1_3gpuE2ELNS1_3repE0EEENS1_30default_config_static_selectorELNS0_4arch9wavefront6targetE1EEEvSN_,@function
_ZN7rocprim17ROCPRIM_400000_NS6detail17trampoline_kernelINS0_14default_configENS1_22reduce_config_selectorIiEEZNS1_11reduce_implILb1ES3_N6thrust23THRUST_200600_302600_NS11hip_rocprim35transform_pair_of_input_iterators_tIiPN3c108BFloat16ESD_NS8_12not_equal_toISC_EEEEPiiNS8_4plusIiEEEE10hipError_tPvRmT1_T2_T3_mT4_P12ihipStream_tbEUlT_E0_NS1_11comp_targetILNS1_3genE8ELNS1_11target_archE1030ELNS1_3gpuE2ELNS1_3repE0EEENS1_30default_config_static_selectorELNS0_4arch9wavefront6targetE1EEEvSN_: ; @_ZN7rocprim17ROCPRIM_400000_NS6detail17trampoline_kernelINS0_14default_configENS1_22reduce_config_selectorIiEEZNS1_11reduce_implILb1ES3_N6thrust23THRUST_200600_302600_NS11hip_rocprim35transform_pair_of_input_iterators_tIiPN3c108BFloat16ESD_NS8_12not_equal_toISC_EEEEPiiNS8_4plusIiEEEE10hipError_tPvRmT1_T2_T3_mT4_P12ihipStream_tbEUlT_E0_NS1_11comp_targetILNS1_3genE8ELNS1_11target_archE1030ELNS1_3gpuE2ELNS1_3repE0EEENS1_30default_config_static_selectorELNS0_4arch9wavefront6targetE1EEEvSN_
; %bb.0:
	.section	.rodata,"a",@progbits
	.p2align	6, 0x0
	.amdhsa_kernel _ZN7rocprim17ROCPRIM_400000_NS6detail17trampoline_kernelINS0_14default_configENS1_22reduce_config_selectorIiEEZNS1_11reduce_implILb1ES3_N6thrust23THRUST_200600_302600_NS11hip_rocprim35transform_pair_of_input_iterators_tIiPN3c108BFloat16ESD_NS8_12not_equal_toISC_EEEEPiiNS8_4plusIiEEEE10hipError_tPvRmT1_T2_T3_mT4_P12ihipStream_tbEUlT_E0_NS1_11comp_targetILNS1_3genE8ELNS1_11target_archE1030ELNS1_3gpuE2ELNS1_3repE0EEENS1_30default_config_static_selectorELNS0_4arch9wavefront6targetE1EEEvSN_
		.amdhsa_group_segment_fixed_size 0
		.amdhsa_private_segment_fixed_size 0
		.amdhsa_kernarg_size 72
		.amdhsa_user_sgpr_count 6
		.amdhsa_user_sgpr_private_segment_buffer 1
		.amdhsa_user_sgpr_dispatch_ptr 0
		.amdhsa_user_sgpr_queue_ptr 0
		.amdhsa_user_sgpr_kernarg_segment_ptr 1
		.amdhsa_user_sgpr_dispatch_id 0
		.amdhsa_user_sgpr_flat_scratch_init 0
		.amdhsa_user_sgpr_kernarg_preload_length 0
		.amdhsa_user_sgpr_kernarg_preload_offset 0
		.amdhsa_user_sgpr_private_segment_size 0
		.amdhsa_uses_dynamic_stack 0
		.amdhsa_system_sgpr_private_segment_wavefront_offset 0
		.amdhsa_system_sgpr_workgroup_id_x 1
		.amdhsa_system_sgpr_workgroup_id_y 0
		.amdhsa_system_sgpr_workgroup_id_z 0
		.amdhsa_system_sgpr_workgroup_info 0
		.amdhsa_system_vgpr_workitem_id 0
		.amdhsa_next_free_vgpr 1
		.amdhsa_next_free_sgpr 0
		.amdhsa_accum_offset 4
		.amdhsa_reserve_vcc 0
		.amdhsa_reserve_flat_scratch 0
		.amdhsa_float_round_mode_32 0
		.amdhsa_float_round_mode_16_64 0
		.amdhsa_float_denorm_mode_32 3
		.amdhsa_float_denorm_mode_16_64 3
		.amdhsa_dx10_clamp 1
		.amdhsa_ieee_mode 1
		.amdhsa_fp16_overflow 0
		.amdhsa_tg_split 0
		.amdhsa_exception_fp_ieee_invalid_op 0
		.amdhsa_exception_fp_denorm_src 0
		.amdhsa_exception_fp_ieee_div_zero 0
		.amdhsa_exception_fp_ieee_overflow 0
		.amdhsa_exception_fp_ieee_underflow 0
		.amdhsa_exception_fp_ieee_inexact 0
		.amdhsa_exception_int_div_zero 0
	.end_amdhsa_kernel
	.section	.text._ZN7rocprim17ROCPRIM_400000_NS6detail17trampoline_kernelINS0_14default_configENS1_22reduce_config_selectorIiEEZNS1_11reduce_implILb1ES3_N6thrust23THRUST_200600_302600_NS11hip_rocprim35transform_pair_of_input_iterators_tIiPN3c108BFloat16ESD_NS8_12not_equal_toISC_EEEEPiiNS8_4plusIiEEEE10hipError_tPvRmT1_T2_T3_mT4_P12ihipStream_tbEUlT_E0_NS1_11comp_targetILNS1_3genE8ELNS1_11target_archE1030ELNS1_3gpuE2ELNS1_3repE0EEENS1_30default_config_static_selectorELNS0_4arch9wavefront6targetE1EEEvSN_,"axG",@progbits,_ZN7rocprim17ROCPRIM_400000_NS6detail17trampoline_kernelINS0_14default_configENS1_22reduce_config_selectorIiEEZNS1_11reduce_implILb1ES3_N6thrust23THRUST_200600_302600_NS11hip_rocprim35transform_pair_of_input_iterators_tIiPN3c108BFloat16ESD_NS8_12not_equal_toISC_EEEEPiiNS8_4plusIiEEEE10hipError_tPvRmT1_T2_T3_mT4_P12ihipStream_tbEUlT_E0_NS1_11comp_targetILNS1_3genE8ELNS1_11target_archE1030ELNS1_3gpuE2ELNS1_3repE0EEENS1_30default_config_static_selectorELNS0_4arch9wavefront6targetE1EEEvSN_,comdat
.Lfunc_end2043:
	.size	_ZN7rocprim17ROCPRIM_400000_NS6detail17trampoline_kernelINS0_14default_configENS1_22reduce_config_selectorIiEEZNS1_11reduce_implILb1ES3_N6thrust23THRUST_200600_302600_NS11hip_rocprim35transform_pair_of_input_iterators_tIiPN3c108BFloat16ESD_NS8_12not_equal_toISC_EEEEPiiNS8_4plusIiEEEE10hipError_tPvRmT1_T2_T3_mT4_P12ihipStream_tbEUlT_E0_NS1_11comp_targetILNS1_3genE8ELNS1_11target_archE1030ELNS1_3gpuE2ELNS1_3repE0EEENS1_30default_config_static_selectorELNS0_4arch9wavefront6targetE1EEEvSN_, .Lfunc_end2043-_ZN7rocprim17ROCPRIM_400000_NS6detail17trampoline_kernelINS0_14default_configENS1_22reduce_config_selectorIiEEZNS1_11reduce_implILb1ES3_N6thrust23THRUST_200600_302600_NS11hip_rocprim35transform_pair_of_input_iterators_tIiPN3c108BFloat16ESD_NS8_12not_equal_toISC_EEEEPiiNS8_4plusIiEEEE10hipError_tPvRmT1_T2_T3_mT4_P12ihipStream_tbEUlT_E0_NS1_11comp_targetILNS1_3genE8ELNS1_11target_archE1030ELNS1_3gpuE2ELNS1_3repE0EEENS1_30default_config_static_selectorELNS0_4arch9wavefront6targetE1EEEvSN_
                                        ; -- End function
	.section	.AMDGPU.csdata,"",@progbits
; Kernel info:
; codeLenInByte = 0
; NumSgprs: 4
; NumVgprs: 0
; NumAgprs: 0
; TotalNumVgprs: 0
; ScratchSize: 0
; MemoryBound: 0
; FloatMode: 240
; IeeeMode: 1
; LDSByteSize: 0 bytes/workgroup (compile time only)
; SGPRBlocks: 0
; VGPRBlocks: 0
; NumSGPRsForWavesPerEU: 4
; NumVGPRsForWavesPerEU: 1
; AccumOffset: 4
; Occupancy: 8
; WaveLimiterHint : 0
; COMPUTE_PGM_RSRC2:SCRATCH_EN: 0
; COMPUTE_PGM_RSRC2:USER_SGPR: 6
; COMPUTE_PGM_RSRC2:TRAP_HANDLER: 0
; COMPUTE_PGM_RSRC2:TGID_X_EN: 1
; COMPUTE_PGM_RSRC2:TGID_Y_EN: 0
; COMPUTE_PGM_RSRC2:TGID_Z_EN: 0
; COMPUTE_PGM_RSRC2:TIDIG_COMP_CNT: 0
; COMPUTE_PGM_RSRC3_GFX90A:ACCUM_OFFSET: 0
; COMPUTE_PGM_RSRC3_GFX90A:TG_SPLIT: 0
	.section	.text._ZN7rocprim17ROCPRIM_400000_NS6detail17trampoline_kernelINS0_14default_configENS1_22reduce_config_selectorIiEEZNS1_11reduce_implILb1ES3_N6thrust23THRUST_200600_302600_NS11hip_rocprim35transform_pair_of_input_iterators_tIiPN3c108BFloat16ESD_NS8_12not_equal_toISC_EEEEPiiNS8_4plusIiEEEE10hipError_tPvRmT1_T2_T3_mT4_P12ihipStream_tbEUlT_E1_NS1_11comp_targetILNS1_3genE0ELNS1_11target_archE4294967295ELNS1_3gpuE0ELNS1_3repE0EEENS1_30default_config_static_selectorELNS0_4arch9wavefront6targetE1EEEvSN_,"axG",@progbits,_ZN7rocprim17ROCPRIM_400000_NS6detail17trampoline_kernelINS0_14default_configENS1_22reduce_config_selectorIiEEZNS1_11reduce_implILb1ES3_N6thrust23THRUST_200600_302600_NS11hip_rocprim35transform_pair_of_input_iterators_tIiPN3c108BFloat16ESD_NS8_12not_equal_toISC_EEEEPiiNS8_4plusIiEEEE10hipError_tPvRmT1_T2_T3_mT4_P12ihipStream_tbEUlT_E1_NS1_11comp_targetILNS1_3genE0ELNS1_11target_archE4294967295ELNS1_3gpuE0ELNS1_3repE0EEENS1_30default_config_static_selectorELNS0_4arch9wavefront6targetE1EEEvSN_,comdat
	.protected	_ZN7rocprim17ROCPRIM_400000_NS6detail17trampoline_kernelINS0_14default_configENS1_22reduce_config_selectorIiEEZNS1_11reduce_implILb1ES3_N6thrust23THRUST_200600_302600_NS11hip_rocprim35transform_pair_of_input_iterators_tIiPN3c108BFloat16ESD_NS8_12not_equal_toISC_EEEEPiiNS8_4plusIiEEEE10hipError_tPvRmT1_T2_T3_mT4_P12ihipStream_tbEUlT_E1_NS1_11comp_targetILNS1_3genE0ELNS1_11target_archE4294967295ELNS1_3gpuE0ELNS1_3repE0EEENS1_30default_config_static_selectorELNS0_4arch9wavefront6targetE1EEEvSN_ ; -- Begin function _ZN7rocprim17ROCPRIM_400000_NS6detail17trampoline_kernelINS0_14default_configENS1_22reduce_config_selectorIiEEZNS1_11reduce_implILb1ES3_N6thrust23THRUST_200600_302600_NS11hip_rocprim35transform_pair_of_input_iterators_tIiPN3c108BFloat16ESD_NS8_12not_equal_toISC_EEEEPiiNS8_4plusIiEEEE10hipError_tPvRmT1_T2_T3_mT4_P12ihipStream_tbEUlT_E1_NS1_11comp_targetILNS1_3genE0ELNS1_11target_archE4294967295ELNS1_3gpuE0ELNS1_3repE0EEENS1_30default_config_static_selectorELNS0_4arch9wavefront6targetE1EEEvSN_
	.globl	_ZN7rocprim17ROCPRIM_400000_NS6detail17trampoline_kernelINS0_14default_configENS1_22reduce_config_selectorIiEEZNS1_11reduce_implILb1ES3_N6thrust23THRUST_200600_302600_NS11hip_rocprim35transform_pair_of_input_iterators_tIiPN3c108BFloat16ESD_NS8_12not_equal_toISC_EEEEPiiNS8_4plusIiEEEE10hipError_tPvRmT1_T2_T3_mT4_P12ihipStream_tbEUlT_E1_NS1_11comp_targetILNS1_3genE0ELNS1_11target_archE4294967295ELNS1_3gpuE0ELNS1_3repE0EEENS1_30default_config_static_selectorELNS0_4arch9wavefront6targetE1EEEvSN_
	.p2align	8
	.type	_ZN7rocprim17ROCPRIM_400000_NS6detail17trampoline_kernelINS0_14default_configENS1_22reduce_config_selectorIiEEZNS1_11reduce_implILb1ES3_N6thrust23THRUST_200600_302600_NS11hip_rocprim35transform_pair_of_input_iterators_tIiPN3c108BFloat16ESD_NS8_12not_equal_toISC_EEEEPiiNS8_4plusIiEEEE10hipError_tPvRmT1_T2_T3_mT4_P12ihipStream_tbEUlT_E1_NS1_11comp_targetILNS1_3genE0ELNS1_11target_archE4294967295ELNS1_3gpuE0ELNS1_3repE0EEENS1_30default_config_static_selectorELNS0_4arch9wavefront6targetE1EEEvSN_,@function
_ZN7rocprim17ROCPRIM_400000_NS6detail17trampoline_kernelINS0_14default_configENS1_22reduce_config_selectorIiEEZNS1_11reduce_implILb1ES3_N6thrust23THRUST_200600_302600_NS11hip_rocprim35transform_pair_of_input_iterators_tIiPN3c108BFloat16ESD_NS8_12not_equal_toISC_EEEEPiiNS8_4plusIiEEEE10hipError_tPvRmT1_T2_T3_mT4_P12ihipStream_tbEUlT_E1_NS1_11comp_targetILNS1_3genE0ELNS1_11target_archE4294967295ELNS1_3gpuE0ELNS1_3repE0EEENS1_30default_config_static_selectorELNS0_4arch9wavefront6targetE1EEEvSN_: ; @_ZN7rocprim17ROCPRIM_400000_NS6detail17trampoline_kernelINS0_14default_configENS1_22reduce_config_selectorIiEEZNS1_11reduce_implILb1ES3_N6thrust23THRUST_200600_302600_NS11hip_rocprim35transform_pair_of_input_iterators_tIiPN3c108BFloat16ESD_NS8_12not_equal_toISC_EEEEPiiNS8_4plusIiEEEE10hipError_tPvRmT1_T2_T3_mT4_P12ihipStream_tbEUlT_E1_NS1_11comp_targetILNS1_3genE0ELNS1_11target_archE4294967295ELNS1_3gpuE0ELNS1_3repE0EEENS1_30default_config_static_selectorELNS0_4arch9wavefront6targetE1EEEvSN_
; %bb.0:
	.section	.rodata,"a",@progbits
	.p2align	6, 0x0
	.amdhsa_kernel _ZN7rocprim17ROCPRIM_400000_NS6detail17trampoline_kernelINS0_14default_configENS1_22reduce_config_selectorIiEEZNS1_11reduce_implILb1ES3_N6thrust23THRUST_200600_302600_NS11hip_rocprim35transform_pair_of_input_iterators_tIiPN3c108BFloat16ESD_NS8_12not_equal_toISC_EEEEPiiNS8_4plusIiEEEE10hipError_tPvRmT1_T2_T3_mT4_P12ihipStream_tbEUlT_E1_NS1_11comp_targetILNS1_3genE0ELNS1_11target_archE4294967295ELNS1_3gpuE0ELNS1_3repE0EEENS1_30default_config_static_selectorELNS0_4arch9wavefront6targetE1EEEvSN_
		.amdhsa_group_segment_fixed_size 0
		.amdhsa_private_segment_fixed_size 0
		.amdhsa_kernarg_size 56
		.amdhsa_user_sgpr_count 6
		.amdhsa_user_sgpr_private_segment_buffer 1
		.amdhsa_user_sgpr_dispatch_ptr 0
		.amdhsa_user_sgpr_queue_ptr 0
		.amdhsa_user_sgpr_kernarg_segment_ptr 1
		.amdhsa_user_sgpr_dispatch_id 0
		.amdhsa_user_sgpr_flat_scratch_init 0
		.amdhsa_user_sgpr_kernarg_preload_length 0
		.amdhsa_user_sgpr_kernarg_preload_offset 0
		.amdhsa_user_sgpr_private_segment_size 0
		.amdhsa_uses_dynamic_stack 0
		.amdhsa_system_sgpr_private_segment_wavefront_offset 0
		.amdhsa_system_sgpr_workgroup_id_x 1
		.amdhsa_system_sgpr_workgroup_id_y 0
		.amdhsa_system_sgpr_workgroup_id_z 0
		.amdhsa_system_sgpr_workgroup_info 0
		.amdhsa_system_vgpr_workitem_id 0
		.amdhsa_next_free_vgpr 1
		.amdhsa_next_free_sgpr 0
		.amdhsa_accum_offset 4
		.amdhsa_reserve_vcc 0
		.amdhsa_reserve_flat_scratch 0
		.amdhsa_float_round_mode_32 0
		.amdhsa_float_round_mode_16_64 0
		.amdhsa_float_denorm_mode_32 3
		.amdhsa_float_denorm_mode_16_64 3
		.amdhsa_dx10_clamp 1
		.amdhsa_ieee_mode 1
		.amdhsa_fp16_overflow 0
		.amdhsa_tg_split 0
		.amdhsa_exception_fp_ieee_invalid_op 0
		.amdhsa_exception_fp_denorm_src 0
		.amdhsa_exception_fp_ieee_div_zero 0
		.amdhsa_exception_fp_ieee_overflow 0
		.amdhsa_exception_fp_ieee_underflow 0
		.amdhsa_exception_fp_ieee_inexact 0
		.amdhsa_exception_int_div_zero 0
	.end_amdhsa_kernel
	.section	.text._ZN7rocprim17ROCPRIM_400000_NS6detail17trampoline_kernelINS0_14default_configENS1_22reduce_config_selectorIiEEZNS1_11reduce_implILb1ES3_N6thrust23THRUST_200600_302600_NS11hip_rocprim35transform_pair_of_input_iterators_tIiPN3c108BFloat16ESD_NS8_12not_equal_toISC_EEEEPiiNS8_4plusIiEEEE10hipError_tPvRmT1_T2_T3_mT4_P12ihipStream_tbEUlT_E1_NS1_11comp_targetILNS1_3genE0ELNS1_11target_archE4294967295ELNS1_3gpuE0ELNS1_3repE0EEENS1_30default_config_static_selectorELNS0_4arch9wavefront6targetE1EEEvSN_,"axG",@progbits,_ZN7rocprim17ROCPRIM_400000_NS6detail17trampoline_kernelINS0_14default_configENS1_22reduce_config_selectorIiEEZNS1_11reduce_implILb1ES3_N6thrust23THRUST_200600_302600_NS11hip_rocprim35transform_pair_of_input_iterators_tIiPN3c108BFloat16ESD_NS8_12not_equal_toISC_EEEEPiiNS8_4plusIiEEEE10hipError_tPvRmT1_T2_T3_mT4_P12ihipStream_tbEUlT_E1_NS1_11comp_targetILNS1_3genE0ELNS1_11target_archE4294967295ELNS1_3gpuE0ELNS1_3repE0EEENS1_30default_config_static_selectorELNS0_4arch9wavefront6targetE1EEEvSN_,comdat
.Lfunc_end2044:
	.size	_ZN7rocprim17ROCPRIM_400000_NS6detail17trampoline_kernelINS0_14default_configENS1_22reduce_config_selectorIiEEZNS1_11reduce_implILb1ES3_N6thrust23THRUST_200600_302600_NS11hip_rocprim35transform_pair_of_input_iterators_tIiPN3c108BFloat16ESD_NS8_12not_equal_toISC_EEEEPiiNS8_4plusIiEEEE10hipError_tPvRmT1_T2_T3_mT4_P12ihipStream_tbEUlT_E1_NS1_11comp_targetILNS1_3genE0ELNS1_11target_archE4294967295ELNS1_3gpuE0ELNS1_3repE0EEENS1_30default_config_static_selectorELNS0_4arch9wavefront6targetE1EEEvSN_, .Lfunc_end2044-_ZN7rocprim17ROCPRIM_400000_NS6detail17trampoline_kernelINS0_14default_configENS1_22reduce_config_selectorIiEEZNS1_11reduce_implILb1ES3_N6thrust23THRUST_200600_302600_NS11hip_rocprim35transform_pair_of_input_iterators_tIiPN3c108BFloat16ESD_NS8_12not_equal_toISC_EEEEPiiNS8_4plusIiEEEE10hipError_tPvRmT1_T2_T3_mT4_P12ihipStream_tbEUlT_E1_NS1_11comp_targetILNS1_3genE0ELNS1_11target_archE4294967295ELNS1_3gpuE0ELNS1_3repE0EEENS1_30default_config_static_selectorELNS0_4arch9wavefront6targetE1EEEvSN_
                                        ; -- End function
	.section	.AMDGPU.csdata,"",@progbits
; Kernel info:
; codeLenInByte = 0
; NumSgprs: 4
; NumVgprs: 0
; NumAgprs: 0
; TotalNumVgprs: 0
; ScratchSize: 0
; MemoryBound: 0
; FloatMode: 240
; IeeeMode: 1
; LDSByteSize: 0 bytes/workgroup (compile time only)
; SGPRBlocks: 0
; VGPRBlocks: 0
; NumSGPRsForWavesPerEU: 4
; NumVGPRsForWavesPerEU: 1
; AccumOffset: 4
; Occupancy: 8
; WaveLimiterHint : 0
; COMPUTE_PGM_RSRC2:SCRATCH_EN: 0
; COMPUTE_PGM_RSRC2:USER_SGPR: 6
; COMPUTE_PGM_RSRC2:TRAP_HANDLER: 0
; COMPUTE_PGM_RSRC2:TGID_X_EN: 1
; COMPUTE_PGM_RSRC2:TGID_Y_EN: 0
; COMPUTE_PGM_RSRC2:TGID_Z_EN: 0
; COMPUTE_PGM_RSRC2:TIDIG_COMP_CNT: 0
; COMPUTE_PGM_RSRC3_GFX90A:ACCUM_OFFSET: 0
; COMPUTE_PGM_RSRC3_GFX90A:TG_SPLIT: 0
	.section	.text._ZN7rocprim17ROCPRIM_400000_NS6detail17trampoline_kernelINS0_14default_configENS1_22reduce_config_selectorIiEEZNS1_11reduce_implILb1ES3_N6thrust23THRUST_200600_302600_NS11hip_rocprim35transform_pair_of_input_iterators_tIiPN3c108BFloat16ESD_NS8_12not_equal_toISC_EEEEPiiNS8_4plusIiEEEE10hipError_tPvRmT1_T2_T3_mT4_P12ihipStream_tbEUlT_E1_NS1_11comp_targetILNS1_3genE5ELNS1_11target_archE942ELNS1_3gpuE9ELNS1_3repE0EEENS1_30default_config_static_selectorELNS0_4arch9wavefront6targetE1EEEvSN_,"axG",@progbits,_ZN7rocprim17ROCPRIM_400000_NS6detail17trampoline_kernelINS0_14default_configENS1_22reduce_config_selectorIiEEZNS1_11reduce_implILb1ES3_N6thrust23THRUST_200600_302600_NS11hip_rocprim35transform_pair_of_input_iterators_tIiPN3c108BFloat16ESD_NS8_12not_equal_toISC_EEEEPiiNS8_4plusIiEEEE10hipError_tPvRmT1_T2_T3_mT4_P12ihipStream_tbEUlT_E1_NS1_11comp_targetILNS1_3genE5ELNS1_11target_archE942ELNS1_3gpuE9ELNS1_3repE0EEENS1_30default_config_static_selectorELNS0_4arch9wavefront6targetE1EEEvSN_,comdat
	.protected	_ZN7rocprim17ROCPRIM_400000_NS6detail17trampoline_kernelINS0_14default_configENS1_22reduce_config_selectorIiEEZNS1_11reduce_implILb1ES3_N6thrust23THRUST_200600_302600_NS11hip_rocprim35transform_pair_of_input_iterators_tIiPN3c108BFloat16ESD_NS8_12not_equal_toISC_EEEEPiiNS8_4plusIiEEEE10hipError_tPvRmT1_T2_T3_mT4_P12ihipStream_tbEUlT_E1_NS1_11comp_targetILNS1_3genE5ELNS1_11target_archE942ELNS1_3gpuE9ELNS1_3repE0EEENS1_30default_config_static_selectorELNS0_4arch9wavefront6targetE1EEEvSN_ ; -- Begin function _ZN7rocprim17ROCPRIM_400000_NS6detail17trampoline_kernelINS0_14default_configENS1_22reduce_config_selectorIiEEZNS1_11reduce_implILb1ES3_N6thrust23THRUST_200600_302600_NS11hip_rocprim35transform_pair_of_input_iterators_tIiPN3c108BFloat16ESD_NS8_12not_equal_toISC_EEEEPiiNS8_4plusIiEEEE10hipError_tPvRmT1_T2_T3_mT4_P12ihipStream_tbEUlT_E1_NS1_11comp_targetILNS1_3genE5ELNS1_11target_archE942ELNS1_3gpuE9ELNS1_3repE0EEENS1_30default_config_static_selectorELNS0_4arch9wavefront6targetE1EEEvSN_
	.globl	_ZN7rocprim17ROCPRIM_400000_NS6detail17trampoline_kernelINS0_14default_configENS1_22reduce_config_selectorIiEEZNS1_11reduce_implILb1ES3_N6thrust23THRUST_200600_302600_NS11hip_rocprim35transform_pair_of_input_iterators_tIiPN3c108BFloat16ESD_NS8_12not_equal_toISC_EEEEPiiNS8_4plusIiEEEE10hipError_tPvRmT1_T2_T3_mT4_P12ihipStream_tbEUlT_E1_NS1_11comp_targetILNS1_3genE5ELNS1_11target_archE942ELNS1_3gpuE9ELNS1_3repE0EEENS1_30default_config_static_selectorELNS0_4arch9wavefront6targetE1EEEvSN_
	.p2align	8
	.type	_ZN7rocprim17ROCPRIM_400000_NS6detail17trampoline_kernelINS0_14default_configENS1_22reduce_config_selectorIiEEZNS1_11reduce_implILb1ES3_N6thrust23THRUST_200600_302600_NS11hip_rocprim35transform_pair_of_input_iterators_tIiPN3c108BFloat16ESD_NS8_12not_equal_toISC_EEEEPiiNS8_4plusIiEEEE10hipError_tPvRmT1_T2_T3_mT4_P12ihipStream_tbEUlT_E1_NS1_11comp_targetILNS1_3genE5ELNS1_11target_archE942ELNS1_3gpuE9ELNS1_3repE0EEENS1_30default_config_static_selectorELNS0_4arch9wavefront6targetE1EEEvSN_,@function
_ZN7rocprim17ROCPRIM_400000_NS6detail17trampoline_kernelINS0_14default_configENS1_22reduce_config_selectorIiEEZNS1_11reduce_implILb1ES3_N6thrust23THRUST_200600_302600_NS11hip_rocprim35transform_pair_of_input_iterators_tIiPN3c108BFloat16ESD_NS8_12not_equal_toISC_EEEEPiiNS8_4plusIiEEEE10hipError_tPvRmT1_T2_T3_mT4_P12ihipStream_tbEUlT_E1_NS1_11comp_targetILNS1_3genE5ELNS1_11target_archE942ELNS1_3gpuE9ELNS1_3repE0EEENS1_30default_config_static_selectorELNS0_4arch9wavefront6targetE1EEEvSN_: ; @_ZN7rocprim17ROCPRIM_400000_NS6detail17trampoline_kernelINS0_14default_configENS1_22reduce_config_selectorIiEEZNS1_11reduce_implILb1ES3_N6thrust23THRUST_200600_302600_NS11hip_rocprim35transform_pair_of_input_iterators_tIiPN3c108BFloat16ESD_NS8_12not_equal_toISC_EEEEPiiNS8_4plusIiEEEE10hipError_tPvRmT1_T2_T3_mT4_P12ihipStream_tbEUlT_E1_NS1_11comp_targetILNS1_3genE5ELNS1_11target_archE942ELNS1_3gpuE9ELNS1_3repE0EEENS1_30default_config_static_selectorELNS0_4arch9wavefront6targetE1EEEvSN_
; %bb.0:
	.section	.rodata,"a",@progbits
	.p2align	6, 0x0
	.amdhsa_kernel _ZN7rocprim17ROCPRIM_400000_NS6detail17trampoline_kernelINS0_14default_configENS1_22reduce_config_selectorIiEEZNS1_11reduce_implILb1ES3_N6thrust23THRUST_200600_302600_NS11hip_rocprim35transform_pair_of_input_iterators_tIiPN3c108BFloat16ESD_NS8_12not_equal_toISC_EEEEPiiNS8_4plusIiEEEE10hipError_tPvRmT1_T2_T3_mT4_P12ihipStream_tbEUlT_E1_NS1_11comp_targetILNS1_3genE5ELNS1_11target_archE942ELNS1_3gpuE9ELNS1_3repE0EEENS1_30default_config_static_selectorELNS0_4arch9wavefront6targetE1EEEvSN_
		.amdhsa_group_segment_fixed_size 0
		.amdhsa_private_segment_fixed_size 0
		.amdhsa_kernarg_size 56
		.amdhsa_user_sgpr_count 6
		.amdhsa_user_sgpr_private_segment_buffer 1
		.amdhsa_user_sgpr_dispatch_ptr 0
		.amdhsa_user_sgpr_queue_ptr 0
		.amdhsa_user_sgpr_kernarg_segment_ptr 1
		.amdhsa_user_sgpr_dispatch_id 0
		.amdhsa_user_sgpr_flat_scratch_init 0
		.amdhsa_user_sgpr_kernarg_preload_length 0
		.amdhsa_user_sgpr_kernarg_preload_offset 0
		.amdhsa_user_sgpr_private_segment_size 0
		.amdhsa_uses_dynamic_stack 0
		.amdhsa_system_sgpr_private_segment_wavefront_offset 0
		.amdhsa_system_sgpr_workgroup_id_x 1
		.amdhsa_system_sgpr_workgroup_id_y 0
		.amdhsa_system_sgpr_workgroup_id_z 0
		.amdhsa_system_sgpr_workgroup_info 0
		.amdhsa_system_vgpr_workitem_id 0
		.amdhsa_next_free_vgpr 1
		.amdhsa_next_free_sgpr 0
		.amdhsa_accum_offset 4
		.amdhsa_reserve_vcc 0
		.amdhsa_reserve_flat_scratch 0
		.amdhsa_float_round_mode_32 0
		.amdhsa_float_round_mode_16_64 0
		.amdhsa_float_denorm_mode_32 3
		.amdhsa_float_denorm_mode_16_64 3
		.amdhsa_dx10_clamp 1
		.amdhsa_ieee_mode 1
		.amdhsa_fp16_overflow 0
		.amdhsa_tg_split 0
		.amdhsa_exception_fp_ieee_invalid_op 0
		.amdhsa_exception_fp_denorm_src 0
		.amdhsa_exception_fp_ieee_div_zero 0
		.amdhsa_exception_fp_ieee_overflow 0
		.amdhsa_exception_fp_ieee_underflow 0
		.amdhsa_exception_fp_ieee_inexact 0
		.amdhsa_exception_int_div_zero 0
	.end_amdhsa_kernel
	.section	.text._ZN7rocprim17ROCPRIM_400000_NS6detail17trampoline_kernelINS0_14default_configENS1_22reduce_config_selectorIiEEZNS1_11reduce_implILb1ES3_N6thrust23THRUST_200600_302600_NS11hip_rocprim35transform_pair_of_input_iterators_tIiPN3c108BFloat16ESD_NS8_12not_equal_toISC_EEEEPiiNS8_4plusIiEEEE10hipError_tPvRmT1_T2_T3_mT4_P12ihipStream_tbEUlT_E1_NS1_11comp_targetILNS1_3genE5ELNS1_11target_archE942ELNS1_3gpuE9ELNS1_3repE0EEENS1_30default_config_static_selectorELNS0_4arch9wavefront6targetE1EEEvSN_,"axG",@progbits,_ZN7rocprim17ROCPRIM_400000_NS6detail17trampoline_kernelINS0_14default_configENS1_22reduce_config_selectorIiEEZNS1_11reduce_implILb1ES3_N6thrust23THRUST_200600_302600_NS11hip_rocprim35transform_pair_of_input_iterators_tIiPN3c108BFloat16ESD_NS8_12not_equal_toISC_EEEEPiiNS8_4plusIiEEEE10hipError_tPvRmT1_T2_T3_mT4_P12ihipStream_tbEUlT_E1_NS1_11comp_targetILNS1_3genE5ELNS1_11target_archE942ELNS1_3gpuE9ELNS1_3repE0EEENS1_30default_config_static_selectorELNS0_4arch9wavefront6targetE1EEEvSN_,comdat
.Lfunc_end2045:
	.size	_ZN7rocprim17ROCPRIM_400000_NS6detail17trampoline_kernelINS0_14default_configENS1_22reduce_config_selectorIiEEZNS1_11reduce_implILb1ES3_N6thrust23THRUST_200600_302600_NS11hip_rocprim35transform_pair_of_input_iterators_tIiPN3c108BFloat16ESD_NS8_12not_equal_toISC_EEEEPiiNS8_4plusIiEEEE10hipError_tPvRmT1_T2_T3_mT4_P12ihipStream_tbEUlT_E1_NS1_11comp_targetILNS1_3genE5ELNS1_11target_archE942ELNS1_3gpuE9ELNS1_3repE0EEENS1_30default_config_static_selectorELNS0_4arch9wavefront6targetE1EEEvSN_, .Lfunc_end2045-_ZN7rocprim17ROCPRIM_400000_NS6detail17trampoline_kernelINS0_14default_configENS1_22reduce_config_selectorIiEEZNS1_11reduce_implILb1ES3_N6thrust23THRUST_200600_302600_NS11hip_rocprim35transform_pair_of_input_iterators_tIiPN3c108BFloat16ESD_NS8_12not_equal_toISC_EEEEPiiNS8_4plusIiEEEE10hipError_tPvRmT1_T2_T3_mT4_P12ihipStream_tbEUlT_E1_NS1_11comp_targetILNS1_3genE5ELNS1_11target_archE942ELNS1_3gpuE9ELNS1_3repE0EEENS1_30default_config_static_selectorELNS0_4arch9wavefront6targetE1EEEvSN_
                                        ; -- End function
	.section	.AMDGPU.csdata,"",@progbits
; Kernel info:
; codeLenInByte = 0
; NumSgprs: 4
; NumVgprs: 0
; NumAgprs: 0
; TotalNumVgprs: 0
; ScratchSize: 0
; MemoryBound: 0
; FloatMode: 240
; IeeeMode: 1
; LDSByteSize: 0 bytes/workgroup (compile time only)
; SGPRBlocks: 0
; VGPRBlocks: 0
; NumSGPRsForWavesPerEU: 4
; NumVGPRsForWavesPerEU: 1
; AccumOffset: 4
; Occupancy: 8
; WaveLimiterHint : 0
; COMPUTE_PGM_RSRC2:SCRATCH_EN: 0
; COMPUTE_PGM_RSRC2:USER_SGPR: 6
; COMPUTE_PGM_RSRC2:TRAP_HANDLER: 0
; COMPUTE_PGM_RSRC2:TGID_X_EN: 1
; COMPUTE_PGM_RSRC2:TGID_Y_EN: 0
; COMPUTE_PGM_RSRC2:TGID_Z_EN: 0
; COMPUTE_PGM_RSRC2:TIDIG_COMP_CNT: 0
; COMPUTE_PGM_RSRC3_GFX90A:ACCUM_OFFSET: 0
; COMPUTE_PGM_RSRC3_GFX90A:TG_SPLIT: 0
	.section	.text._ZN7rocprim17ROCPRIM_400000_NS6detail17trampoline_kernelINS0_14default_configENS1_22reduce_config_selectorIiEEZNS1_11reduce_implILb1ES3_N6thrust23THRUST_200600_302600_NS11hip_rocprim35transform_pair_of_input_iterators_tIiPN3c108BFloat16ESD_NS8_12not_equal_toISC_EEEEPiiNS8_4plusIiEEEE10hipError_tPvRmT1_T2_T3_mT4_P12ihipStream_tbEUlT_E1_NS1_11comp_targetILNS1_3genE4ELNS1_11target_archE910ELNS1_3gpuE8ELNS1_3repE0EEENS1_30default_config_static_selectorELNS0_4arch9wavefront6targetE1EEEvSN_,"axG",@progbits,_ZN7rocprim17ROCPRIM_400000_NS6detail17trampoline_kernelINS0_14default_configENS1_22reduce_config_selectorIiEEZNS1_11reduce_implILb1ES3_N6thrust23THRUST_200600_302600_NS11hip_rocprim35transform_pair_of_input_iterators_tIiPN3c108BFloat16ESD_NS8_12not_equal_toISC_EEEEPiiNS8_4plusIiEEEE10hipError_tPvRmT1_T2_T3_mT4_P12ihipStream_tbEUlT_E1_NS1_11comp_targetILNS1_3genE4ELNS1_11target_archE910ELNS1_3gpuE8ELNS1_3repE0EEENS1_30default_config_static_selectorELNS0_4arch9wavefront6targetE1EEEvSN_,comdat
	.protected	_ZN7rocprim17ROCPRIM_400000_NS6detail17trampoline_kernelINS0_14default_configENS1_22reduce_config_selectorIiEEZNS1_11reduce_implILb1ES3_N6thrust23THRUST_200600_302600_NS11hip_rocprim35transform_pair_of_input_iterators_tIiPN3c108BFloat16ESD_NS8_12not_equal_toISC_EEEEPiiNS8_4plusIiEEEE10hipError_tPvRmT1_T2_T3_mT4_P12ihipStream_tbEUlT_E1_NS1_11comp_targetILNS1_3genE4ELNS1_11target_archE910ELNS1_3gpuE8ELNS1_3repE0EEENS1_30default_config_static_selectorELNS0_4arch9wavefront6targetE1EEEvSN_ ; -- Begin function _ZN7rocprim17ROCPRIM_400000_NS6detail17trampoline_kernelINS0_14default_configENS1_22reduce_config_selectorIiEEZNS1_11reduce_implILb1ES3_N6thrust23THRUST_200600_302600_NS11hip_rocprim35transform_pair_of_input_iterators_tIiPN3c108BFloat16ESD_NS8_12not_equal_toISC_EEEEPiiNS8_4plusIiEEEE10hipError_tPvRmT1_T2_T3_mT4_P12ihipStream_tbEUlT_E1_NS1_11comp_targetILNS1_3genE4ELNS1_11target_archE910ELNS1_3gpuE8ELNS1_3repE0EEENS1_30default_config_static_selectorELNS0_4arch9wavefront6targetE1EEEvSN_
	.globl	_ZN7rocprim17ROCPRIM_400000_NS6detail17trampoline_kernelINS0_14default_configENS1_22reduce_config_selectorIiEEZNS1_11reduce_implILb1ES3_N6thrust23THRUST_200600_302600_NS11hip_rocprim35transform_pair_of_input_iterators_tIiPN3c108BFloat16ESD_NS8_12not_equal_toISC_EEEEPiiNS8_4plusIiEEEE10hipError_tPvRmT1_T2_T3_mT4_P12ihipStream_tbEUlT_E1_NS1_11comp_targetILNS1_3genE4ELNS1_11target_archE910ELNS1_3gpuE8ELNS1_3repE0EEENS1_30default_config_static_selectorELNS0_4arch9wavefront6targetE1EEEvSN_
	.p2align	8
	.type	_ZN7rocprim17ROCPRIM_400000_NS6detail17trampoline_kernelINS0_14default_configENS1_22reduce_config_selectorIiEEZNS1_11reduce_implILb1ES3_N6thrust23THRUST_200600_302600_NS11hip_rocprim35transform_pair_of_input_iterators_tIiPN3c108BFloat16ESD_NS8_12not_equal_toISC_EEEEPiiNS8_4plusIiEEEE10hipError_tPvRmT1_T2_T3_mT4_P12ihipStream_tbEUlT_E1_NS1_11comp_targetILNS1_3genE4ELNS1_11target_archE910ELNS1_3gpuE8ELNS1_3repE0EEENS1_30default_config_static_selectorELNS0_4arch9wavefront6targetE1EEEvSN_,@function
_ZN7rocprim17ROCPRIM_400000_NS6detail17trampoline_kernelINS0_14default_configENS1_22reduce_config_selectorIiEEZNS1_11reduce_implILb1ES3_N6thrust23THRUST_200600_302600_NS11hip_rocprim35transform_pair_of_input_iterators_tIiPN3c108BFloat16ESD_NS8_12not_equal_toISC_EEEEPiiNS8_4plusIiEEEE10hipError_tPvRmT1_T2_T3_mT4_P12ihipStream_tbEUlT_E1_NS1_11comp_targetILNS1_3genE4ELNS1_11target_archE910ELNS1_3gpuE8ELNS1_3repE0EEENS1_30default_config_static_selectorELNS0_4arch9wavefront6targetE1EEEvSN_: ; @_ZN7rocprim17ROCPRIM_400000_NS6detail17trampoline_kernelINS0_14default_configENS1_22reduce_config_selectorIiEEZNS1_11reduce_implILb1ES3_N6thrust23THRUST_200600_302600_NS11hip_rocprim35transform_pair_of_input_iterators_tIiPN3c108BFloat16ESD_NS8_12not_equal_toISC_EEEEPiiNS8_4plusIiEEEE10hipError_tPvRmT1_T2_T3_mT4_P12ihipStream_tbEUlT_E1_NS1_11comp_targetILNS1_3genE4ELNS1_11target_archE910ELNS1_3gpuE8ELNS1_3repE0EEENS1_30default_config_static_selectorELNS0_4arch9wavefront6targetE1EEEvSN_
; %bb.0:
	s_load_dword s33, s[4:5], 0x4
	s_load_dwordx4 s[40:43], s[4:5], 0x8
	s_load_dwordx4 s[36:39], s[4:5], 0x20
	s_waitcnt lgkmcnt(0)
	s_cmp_lt_i32 s33, 8
	s_cbranch_scc1 .LBB2046_11
; %bb.1:
	s_cmp_gt_i32 s33, 15
	s_cbranch_scc0 .LBB2046_12
; %bb.2:
	s_cmp_gt_i32 s33, 31
	s_cbranch_scc0 .LBB2046_13
; %bb.3:
	s_cmp_eq_u32 s33, 32
	s_mov_b64 s[8:9], 0
	s_cbranch_scc0 .LBB2046_14
; %bb.4:
	s_mov_b32 s7, 0
	s_lshl_b32 s14, s6, 12
	s_mov_b32 s15, s7
	s_lshr_b64 s[0:1], s[36:37], 12
	s_lshl_b64 s[2:3], s[14:15], 1
	s_add_u32 s10, s40, s2
	s_addc_u32 s11, s41, s3
	s_add_u32 s12, s42, s2
	s_addc_u32 s13, s43, s3
	s_cmp_lg_u64 s[0:1], s[6:7]
	s_cbranch_scc0 .LBB2046_23
; %bb.5:
	v_lshlrev_b32_e32 v1, 1, v0
	global_load_ushort v6, v1, s[12:13]
	global_load_ushort v7, v1, s[10:11]
	global_load_ushort v8, v1, s[12:13] offset:256
	global_load_ushort v9, v1, s[12:13] offset:512
	;; [unrolled: 1-line block ×10, first 2 shown]
	v_mov_b32_e32 v2, s11
	v_add_co_u32_e32 v4, vcc, s10, v1
	global_load_ushort v18, v1, s[10:11] offset:1280
	global_load_ushort v19, v1, s[10:11] offset:1536
	;; [unrolled: 1-line block ×4, first 2 shown]
	v_addc_co_u32_e32 v5, vcc, 0, v2, vcc
	v_mov_b32_e32 v3, s13
	v_add_co_u32_e32 v22, vcc, s12, v1
	s_movk_i32 s0, 0x1000
	v_addc_co_u32_e32 v23, vcc, 0, v3, vcc
	global_load_ushort v24, v1, s[10:11] offset:1792
	global_load_ushort v25, v1, s[12:13] offset:1792
	global_load_ushort v26, v1, s[12:13] offset:2304
	global_load_ushort v27, v1, s[12:13] offset:2560
	global_load_ushort v28, v1, s[12:13] offset:2816
	global_load_ushort v29, v1, s[10:11] offset:2304
	global_load_ushort v30, v1, s[10:11] offset:2560
	global_load_ushort v31, v1, s[10:11] offset:2816
	global_load_ushort v32, v1, s[10:11] offset:3072
	global_load_ushort v33, v1, s[10:11] offset:3328
	global_load_ushort v34, v1, s[10:11] offset:3584
	global_load_ushort v35, v1, s[10:11] offset:3840
	global_load_ushort v36, v1, s[12:13] offset:3072
	global_load_ushort v37, v1, s[12:13] offset:3328
	global_load_ushort v38, v1, s[12:13] offset:3584
	s_nop 0
	global_load_ushort v1, v1, s[12:13] offset:3840
	v_add_co_u32_e32 v2, vcc, s0, v4
	v_addc_co_u32_e32 v3, vcc, 0, v5, vcc
	v_add_co_u32_e32 v4, vcc, s0, v22
	v_addc_co_u32_e32 v5, vcc, 0, v23, vcc
	global_load_ushort v22, v[4:5], off
	global_load_ushort v23, v[2:3], off
	global_load_ushort v39, v[4:5], off offset:256
	global_load_ushort v40, v[4:5], off offset:512
	;; [unrolled: 1-line block ×18, first 2 shown]
	s_waitcnt vmcnt(51)
	v_lshlrev_b32_e32 v6, 16, v6
	s_waitcnt vmcnt(50)
	v_lshlrev_b32_e32 v7, 16, v7
	v_cmp_neq_f32_e32 vcc, v7, v6
	s_waitcnt vmcnt(48)
	v_lshlrev_b32_e32 v9, 16, v9
	s_waitcnt vmcnt(47)
	v_lshlrev_b32_e32 v10, 16, v10
	;; [unrolled: 2-line block ×4, first 2 shown]
	v_cndmask_b32_e64 v6, 0, 1, vcc
	global_load_ushort v7, v[2:3], off offset:2304
	v_cmp_neq_f32_e32 vcc, v10, v9
	global_load_ushort v9, v[2:3], off offset:2560
	v_cmp_neq_f32_e64 s[0:1], v12, v11
	s_waitcnt vmcnt(46)
	v_lshlrev_b32_e32 v10, 16, v13
	global_load_ushort v11, v[4:5], off offset:2816
	global_load_ushort v12, v[2:3], off offset:2816
	;; [unrolled: 1-line block ×4, first 2 shown]
	s_waitcnt vmcnt(48)
	v_lshlrev_b32_e32 v15, 16, v15
	v_cmp_neq_f32_e64 s[2:3], v15, v10
	global_load_ushort v10, v[4:5], off offset:3328
	global_load_ushort v15, v[2:3], off offset:3328
	;; [unrolled: 1-line block ×4, first 2 shown]
	s_waitcnt vmcnt(46)
	v_lshlrev_b32_e32 v21, 16, v21
	global_load_ushort v4, v[4:5], off offset:3840
	v_lshlrev_b32_e32 v19, 16, v19
	global_load_ushort v2, v[2:3], off offset:3840
	v_cndmask_b32_e64 v5, 0, 1, vcc
	v_cmp_neq_f32_e32 vcc, v19, v21
	s_waitcnt vmcnt(44)
	v_lshlrev_b32_e32 v27, 16, v27
	s_waitcnt vmcnt(41)
	v_lshlrev_b32_e32 v30, 16, v30
	v_cndmask_b32_e64 v19, 0, 1, vcc
	v_cmp_neq_f32_e32 vcc, v30, v27
	s_waitcnt vmcnt(40)
	v_lshlrev_b32_e32 v30, 16, v31
	s_waitcnt vmcnt(35)
	v_lshlrev_b32_e32 v31, 16, v36
	v_lshlrev_b32_e32 v32, 16, v32
	v_cndmask_b32_e64 v27, 0, 1, vcc
	v_cmp_neq_f32_e32 vcc, v32, v31
	s_waitcnt vmcnt(33)
	v_lshlrev_b32_e32 v36, 16, v38
	v_lshlrev_b32_e32 v34, 16, v34
	v_cndmask_b32_e64 v31, 0, 1, vcc
	v_cmp_neq_f32_e32 vcc, v34, v36
	s_waitcnt vmcnt(31)
	v_lshlrev_b32_e32 v22, 16, v22
	s_waitcnt vmcnt(30)
	v_lshlrev_b32_e32 v23, 16, v23
	v_lshlrev_b32_e32 v32, 16, v37
	v_cndmask_b32_e64 v34, 0, 1, vcc
	v_cmp_neq_f32_e32 vcc, v23, v22
	s_waitcnt vmcnt(28)
	v_lshlrev_b32_e32 v37, 16, v40
	s_waitcnt vmcnt(25)
	v_lshlrev_b32_e32 v38, 16, v43
	v_cndmask_b32_e64 v22, 0, 1, vcc
	v_cmp_neq_f32_e32 vcc, v38, v37
	v_lshlrev_b32_e32 v38, 16, v41
	s_waitcnt vmcnt(19)
	v_lshlrev_b32_e32 v40, 16, v49
	v_lshlrev_b32_e32 v41, 16, v45
	;; [unrolled: 1-line block ×3, first 2 shown]
	v_cndmask_b32_e64 v37, 0, 1, vcc
	v_lshlrev_b32_e32 v39, 16, v44
	v_cmp_neq_f32_e32 vcc, v41, v40
	s_waitcnt vmcnt(17)
	v_lshlrev_b32_e32 v43, 16, v51
	v_lshlrev_b32_e32 v44, 16, v47
	;; [unrolled: 1-line block ×3, first 2 shown]
	v_cndmask_b32_e64 v40, 0, 1, vcc
	v_lshlrev_b32_e32 v42, 16, v46
	v_cmp_neq_f32_e32 vcc, v44, v43
	s_waitcnt vmcnt(14)
	v_lshlrev_b32_e32 v46, 16, v54
	v_lshlrev_b32_e32 v47, 16, v53
	v_cndmask_b32_e64 v43, 0, 1, vcc
	v_lshlrev_b32_e32 v45, 16, v48
	v_cmp_neq_f32_e32 vcc, v47, v46
	s_waitcnt vmcnt(12)
	v_lshlrev_b32_e32 v48, 16, v56
	v_cndmask_b32_e64 v46, 0, 1, vcc
	v_lshlrev_b32_e32 v8, 16, v8
	v_lshlrev_b32_e32 v14, 16, v14
	;; [unrolled: 1-line block ×6, first 2 shown]
	v_cndmask_b32_e64 v17, 0, 1, s[0:1]
	v_lshlrev_b32_e32 v21, 16, v25
	v_lshlrev_b32_e32 v24, 16, v24
	;; [unrolled: 1-line block ×4, first 2 shown]
	v_cndmask_b32_e64 v25, 0, 1, s[2:3]
	v_lshlrev_b32_e32 v28, 16, v28
	v_lshlrev_b32_e32 v33, 16, v33
	;; [unrolled: 1-line block ×7, first 2 shown]
	s_waitcnt vmcnt(11)
	v_lshlrev_b32_e32 v7, 16, v7
	s_waitcnt vmcnt(10)
	v_lshlrev_b32_e32 v9, 16, v9
	v_cmp_neq_f32_e32 vcc, v9, v48
	s_waitcnt vmcnt(7)
	v_lshlrev_b32_e32 v13, 16, v13
	s_waitcnt vmcnt(6)
	v_lshlrev_b32_e32 v48, 16, v57
	v_cndmask_b32_e64 v9, 0, 1, vcc
	v_cmp_neq_f32_e32 vcc, v48, v13
	s_waitcnt vmcnt(3)
	v_lshlrev_b32_e32 v48, 16, v58
	s_waitcnt vmcnt(2)
	v_lshlrev_b32_e32 v49, 16, v59
	v_cndmask_b32_e64 v13, 0, 1, vcc
	v_cmp_neq_f32_e32 vcc, v49, v48
	v_cndmask_b32_e64 v48, 0, 1, vcc
	v_cmp_neq_f32_e32 vcc, v14, v8
	v_addc_co_u32_e32 v6, vcc, 0, v6, vcc
	v_cmp_neq_f32_e32 vcc, v16, v3
	v_addc_co_u32_e32 v3, vcc, v6, v5, vcc
	;; [unrolled: 2-line block ×12, first 2 shown]
	v_cmp_neq_f32_e32 vcc, v7, v47
	v_lshlrev_b32_e32 v11, 16, v11
	v_lshlrev_b32_e32 v12, 16, v12
	v_addc_co_u32_e32 v1, vcc, v1, v46, vcc
	v_cmp_neq_f32_e32 vcc, v12, v11
	v_lshlrev_b32_e32 v10, 16, v10
	v_lshlrev_b32_e32 v15, 16, v15
	v_addc_co_u32_e32 v1, vcc, v1, v9, vcc
	v_cmp_neq_f32_e32 vcc, v15, v10
	s_waitcnt vmcnt(1)
	v_lshlrev_b32_e32 v4, 16, v4
	s_waitcnt vmcnt(0)
	v_lshlrev_b32_e32 v2, 16, v2
	v_addc_co_u32_e32 v1, vcc, v1, v13, vcc
	v_cmp_neq_f32_e32 vcc, v2, v4
	v_addc_co_u32_e32 v1, vcc, v1, v48, vcc
	v_mbcnt_lo_u32_b32 v2, -1, 0
	s_nop 0
	v_add_u32_dpp v1, v1, v1 quad_perm:[1,0,3,2] row_mask:0xf bank_mask:0xf bound_ctrl:1
	v_mbcnt_hi_u32_b32 v2, -1, v2
	v_lshlrev_b32_e32 v3, 2, v2
	v_add_u32_dpp v1, v1, v1 quad_perm:[2,3,0,1] row_mask:0xf bank_mask:0xf bound_ctrl:1
	v_or_b32_e32 v4, 0xfc, v3
	v_cmp_eq_u32_e32 vcc, 0, v2
	v_add_u32_dpp v1, v1, v1 row_ror:4 row_mask:0xf bank_mask:0xf bound_ctrl:1
	s_nop 1
	v_add_u32_dpp v1, v1, v1 row_ror:8 row_mask:0xf bank_mask:0xf bound_ctrl:1
	s_nop 1
	v_add_u32_dpp v1, v1, v1 row_bcast:15 row_mask:0xf bank_mask:0xf bound_ctrl:1
	s_nop 1
	v_add_u32_dpp v1, v1, v1 row_bcast:31 row_mask:0xf bank_mask:0xf bound_ctrl:1
	ds_bpermute_b32 v1, v4, v1
	s_and_saveexec_b64 s[0:1], vcc
	s_cbranch_execz .LBB2046_7
; %bb.6:
	v_lshrrev_b32_e32 v4, 4, v0
	v_and_b32_e32 v4, 4, v4
	s_waitcnt lgkmcnt(0)
	ds_write_b32 v4, v1 offset:24
.LBB2046_7:
	s_or_b64 exec, exec, s[0:1]
	v_cmp_gt_u32_e32 vcc, 64, v0
	s_waitcnt lgkmcnt(0)
	s_barrier
	s_and_saveexec_b64 s[0:1], vcc
	s_cbranch_execz .LBB2046_9
; %bb.8:
	v_and_b32_e32 v1, 1, v2
	v_lshlrev_b32_e32 v1, 2, v1
	ds_read_b32 v1, v1 offset:24
	v_or_b32_e32 v2, 4, v3
	s_waitcnt lgkmcnt(0)
	ds_bpermute_b32 v2, v2, v1
	s_waitcnt lgkmcnt(0)
	v_add_u32_e32 v1, v2, v1
.LBB2046_9:
	s_or_b64 exec, exec, s[0:1]
.LBB2046_10:
	v_cmp_eq_u32_e64 s[0:1], 0, v0
	s_and_b64 vcc, exec, s[8:9]
	s_cbranch_vccnz .LBB2046_15
	s_branch .LBB2046_93
.LBB2046_11:
	s_mov_b64 s[0:1], 0
                                        ; implicit-def: $vgpr1
	s_cbranch_execnz .LBB2046_166
	s_branch .LBB2046_224
.LBB2046_12:
	s_mov_b64 s[0:1], 0
                                        ; implicit-def: $vgpr1
	s_cbranch_execnz .LBB2046_134
	s_branch .LBB2046_142
.LBB2046_13:
	s_mov_b64 s[8:9], -1
.LBB2046_14:
	s_mov_b64 s[0:1], 0
                                        ; implicit-def: $vgpr1
	s_and_b64 vcc, exec, s[8:9]
	s_cbranch_vccz .LBB2046_93
.LBB2046_15:
	s_cmp_eq_u32 s33, 16
	s_cbranch_scc0 .LBB2046_22
; %bb.16:
	s_mov_b32 s7, 0
	s_lshl_b32 s0, s6, 11
	s_mov_b32 s1, s7
	s_lshr_b64 s[2:3], s[36:37], 11
	s_lshl_b64 s[8:9], s[0:1], 1
	s_add_u32 s34, s40, s8
	s_addc_u32 s35, s41, s9
	s_add_u32 s44, s42, s8
	s_addc_u32 s45, s43, s9
	s_cmp_lg_u64 s[2:3], s[6:7]
	s_cbranch_scc0 .LBB2046_94
; %bb.17:
	v_lshlrev_b32_e32 v1, 1, v0
	global_load_ushort v2, v1, s[44:45]
	global_load_ushort v3, v1, s[34:35]
	global_load_ushort v4, v1, s[44:45] offset:256
	global_load_ushort v5, v1, s[34:35] offset:256
	;; [unrolled: 1-line block ×30, first 2 shown]
	s_waitcnt vmcnt(31)
	v_lshlrev_b32_e32 v1, 16, v2
	s_waitcnt vmcnt(30)
	v_lshlrev_b32_e32 v2, 16, v3
	;; [unrolled: 2-line block ×6, first 2 shown]
	v_cmp_neq_f32_e32 vcc, v2, v1
	s_waitcnt vmcnt(25)
	v_lshlrev_b32_e32 v7, 16, v8
	s_waitcnt vmcnt(24)
	v_lshlrev_b32_e32 v8, 16, v9
	s_waitcnt vmcnt(23)
	v_lshlrev_b32_e32 v9, 16, v10
	s_waitcnt vmcnt(22)
	v_lshlrev_b32_e32 v10, 16, v11
	v_cndmask_b32_e64 v1, 0, 1, vcc
	v_cmp_neq_f32_e32 vcc, v6, v5
	s_waitcnt vmcnt(21)
	v_lshlrev_b32_e32 v11, 16, v12
	s_waitcnt vmcnt(20)
	v_lshlrev_b32_e32 v12, 16, v13
	s_waitcnt vmcnt(19)
	v_lshlrev_b32_e32 v13, 16, v14
	s_waitcnt vmcnt(18)
	v_lshlrev_b32_e32 v14, 16, v15
	v_cndmask_b32_e64 v2, 0, 1, vcc
	;; [unrolled: 10-line block ×6, first 2 shown]
	v_cmp_neq_f32_e32 vcc, v26, v25
	v_cndmask_b32_e64 v13, 0, 1, vcc
	v_cmp_neq_f32_e32 vcc, v30, v29
	v_cndmask_b32_e64 v14, 0, 1, vcc
	v_cmp_neq_f32_e32 vcc, v4, v3
	v_addc_co_u32_e32 v1, vcc, 0, v1, vcc
	v_cmp_neq_f32_e32 vcc, v8, v7
	v_addc_co_u32_e32 v1, vcc, v1, v2, vcc
	;; [unrolled: 2-line block ×6, first 2 shown]
	v_cmp_neq_f32_e32 vcc, v28, v27
	s_waitcnt vmcnt(1)
	v_lshlrev_b32_e32 v31, 16, v32
	s_waitcnt vmcnt(0)
	v_lshlrev_b32_e32 v32, 16, v33
	v_addc_co_u32_e32 v1, vcc, v1, v13, vcc
	v_cmp_neq_f32_e32 vcc, v32, v31
	v_addc_co_u32_e32 v1, vcc, v1, v14, vcc
	v_mbcnt_lo_u32_b32 v2, -1, 0
	s_nop 0
	v_add_u32_dpp v1, v1, v1 quad_perm:[1,0,3,2] row_mask:0xf bank_mask:0xf bound_ctrl:1
	v_mbcnt_hi_u32_b32 v2, -1, v2
	v_lshlrev_b32_e32 v3, 2, v2
	v_add_u32_dpp v1, v1, v1 quad_perm:[2,3,0,1] row_mask:0xf bank_mask:0xf bound_ctrl:1
	v_or_b32_e32 v4, 0xfc, v3
	v_cmp_eq_u32_e32 vcc, 0, v2
	v_add_u32_dpp v1, v1, v1 row_ror:4 row_mask:0xf bank_mask:0xf bound_ctrl:1
	s_nop 1
	v_add_u32_dpp v1, v1, v1 row_ror:8 row_mask:0xf bank_mask:0xf bound_ctrl:1
	s_nop 1
	v_add_u32_dpp v1, v1, v1 row_bcast:15 row_mask:0xf bank_mask:0xf bound_ctrl:1
	s_nop 1
	v_add_u32_dpp v1, v1, v1 row_bcast:31 row_mask:0xf bank_mask:0xf bound_ctrl:1
	ds_bpermute_b32 v1, v4, v1
	s_and_saveexec_b64 s[2:3], vcc
	s_cbranch_execz .LBB2046_19
; %bb.18:
	v_lshrrev_b32_e32 v4, 4, v0
	v_and_b32_e32 v4, 4, v4
	s_waitcnt lgkmcnt(0)
	ds_write_b32 v4, v1
.LBB2046_19:
	s_or_b64 exec, exec, s[2:3]
	v_cmp_gt_u32_e32 vcc, 64, v0
	s_waitcnt lgkmcnt(0)
	s_barrier
	s_and_saveexec_b64 s[2:3], vcc
	s_cbranch_execz .LBB2046_21
; %bb.20:
	v_and_b32_e32 v1, 1, v2
	v_lshlrev_b32_e32 v1, 2, v1
	ds_read_b32 v1, v1
	v_or_b32_e32 v2, 4, v3
	s_waitcnt lgkmcnt(0)
	ds_bpermute_b32 v2, v2, v1
	s_waitcnt lgkmcnt(0)
	v_add_u32_e32 v1, v2, v1
.LBB2046_21:
	s_or_b64 exec, exec, s[2:3]
	s_mov_b64 s[2:3], 0
	s_branch .LBB2046_95
.LBB2046_22:
                                        ; implicit-def: $vgpr1
	s_branch .LBB2046_142
.LBB2046_23:
                                        ; implicit-def: $vgpr1
	s_cbranch_execz .LBB2046_10
; %bb.24:
	s_sub_i32 s2, s36, s14
	v_cmp_gt_u32_e32 vcc, s2, v0
                                        ; implicit-def: $vgpr1
	s_and_saveexec_b64 s[0:1], vcc
	s_cbranch_execz .LBB2046_26
; %bb.25:
	v_lshlrev_b32_e32 v1, 1, v0
	global_load_ushort v2, v1, s[12:13]
	global_load_ushort v3, v1, s[10:11]
	s_waitcnt vmcnt(1)
	v_lshlrev_b32_e32 v1, 16, v2
	s_waitcnt vmcnt(0)
	v_lshlrev_b32_e32 v2, 16, v3
	v_cmp_neq_f32_e32 vcc, v2, v1
	v_cndmask_b32_e64 v1, 0, 1, vcc
.LBB2046_26:
	s_or_b64 exec, exec, s[0:1]
	v_or_b32_e32 v2, 0x80, v0
	v_cmp_gt_u32_e32 vcc, s2, v2
	v_mov_b32_e32 v2, 0
	v_mov_b32_e32 v3, 0
	s_and_saveexec_b64 s[0:1], vcc
	s_cbranch_execz .LBB2046_28
; %bb.27:
	v_lshlrev_b32_e32 v3, 1, v0
	global_load_ushort v4, v3, s[12:13] offset:256
	global_load_ushort v5, v3, s[10:11] offset:256
	s_waitcnt vmcnt(1)
	v_lshlrev_b32_e32 v3, 16, v4
	s_waitcnt vmcnt(0)
	v_lshlrev_b32_e32 v4, 16, v5
	v_cmp_neq_f32_e32 vcc, v4, v3
	v_cndmask_b32_e64 v3, 0, 1, vcc
.LBB2046_28:
	s_or_b64 exec, exec, s[0:1]
	v_or_b32_e32 v4, 0x100, v0
	v_cmp_gt_u32_e32 vcc, s2, v4
	s_and_saveexec_b64 s[0:1], vcc
	s_cbranch_execz .LBB2046_30
; %bb.29:
	v_lshlrev_b32_e32 v2, 1, v0
	global_load_ushort v4, v2, s[12:13] offset:512
	global_load_ushort v5, v2, s[10:11] offset:512
	s_waitcnt vmcnt(1)
	v_lshlrev_b32_e32 v2, 16, v4
	s_waitcnt vmcnt(0)
	v_lshlrev_b32_e32 v4, 16, v5
	v_cmp_neq_f32_e32 vcc, v4, v2
	v_cndmask_b32_e64 v2, 0, 1, vcc
.LBB2046_30:
	s_or_b64 exec, exec, s[0:1]
	v_or_b32_e32 v4, 0x180, v0
	v_cmp_gt_u32_e32 vcc, s2, v4
	v_mov_b32_e32 v4, 0
	v_mov_b32_e32 v5, 0
	s_and_saveexec_b64 s[0:1], vcc
	s_cbranch_execz .LBB2046_32
; %bb.31:
	v_lshlrev_b32_e32 v5, 1, v0
	global_load_ushort v6, v5, s[12:13] offset:768
	global_load_ushort v7, v5, s[10:11] offset:768
	s_waitcnt vmcnt(1)
	v_lshlrev_b32_e32 v5, 16, v6
	s_waitcnt vmcnt(0)
	v_lshlrev_b32_e32 v6, 16, v7
	v_cmp_neq_f32_e32 vcc, v6, v5
	v_cndmask_b32_e64 v5, 0, 1, vcc
.LBB2046_32:
	s_or_b64 exec, exec, s[0:1]
	v_or_b32_e32 v6, 0x200, v0
	v_cmp_gt_u32_e32 vcc, s2, v6
	s_and_saveexec_b64 s[0:1], vcc
	s_cbranch_execz .LBB2046_34
; %bb.33:
	v_lshlrev_b32_e32 v4, 1, v0
	global_load_ushort v6, v4, s[12:13] offset:1024
	global_load_ushort v7, v4, s[10:11] offset:1024
	s_waitcnt vmcnt(1)
	v_lshlrev_b32_e32 v4, 16, v6
	s_waitcnt vmcnt(0)
	v_lshlrev_b32_e32 v6, 16, v7
	v_cmp_neq_f32_e32 vcc, v6, v4
	v_cndmask_b32_e64 v4, 0, 1, vcc
.LBB2046_34:
	;; [unrolled: 34-line block ×7, first 2 shown]
	s_or_b64 exec, exec, s[0:1]
	v_or_b32_e32 v16, 0x780, v0
	v_cmp_gt_u32_e32 vcc, s2, v16
	v_mov_b32_e32 v16, 0
	v_mov_b32_e32 v17, 0
	s_and_saveexec_b64 s[0:1], vcc
	s_cbranch_execz .LBB2046_56
; %bb.55:
	v_lshlrev_b32_e32 v17, 1, v0
	global_load_ushort v18, v17, s[12:13] offset:3840
	global_load_ushort v19, v17, s[10:11] offset:3840
	s_waitcnt vmcnt(1)
	v_lshlrev_b32_e32 v17, 16, v18
	s_waitcnt vmcnt(0)
	v_lshlrev_b32_e32 v18, 16, v19
	v_cmp_neq_f32_e32 vcc, v18, v17
	v_cndmask_b32_e64 v17, 0, 1, vcc
.LBB2046_56:
	s_or_b64 exec, exec, s[0:1]
	v_or_b32_e32 v18, 0x800, v0
	v_cmp_gt_u32_e32 vcc, s2, v18
	s_and_saveexec_b64 s[0:1], vcc
	s_cbranch_execz .LBB2046_58
; %bb.57:
	v_lshlrev_b32_e32 v16, 1, v18
	global_load_ushort v18, v16, s[12:13]
	global_load_ushort v19, v16, s[10:11]
	s_waitcnt vmcnt(1)
	v_lshlrev_b32_e32 v16, 16, v18
	s_waitcnt vmcnt(0)
	v_lshlrev_b32_e32 v18, 16, v19
	v_cmp_neq_f32_e32 vcc, v18, v16
	v_cndmask_b32_e64 v16, 0, 1, vcc
.LBB2046_58:
	s_or_b64 exec, exec, s[0:1]
	v_or_b32_e32 v20, 0x880, v0
	v_cmp_gt_u32_e32 vcc, s2, v20
	v_mov_b32_e32 v18, 0
	v_mov_b32_e32 v19, 0
	s_and_saveexec_b64 s[0:1], vcc
	s_cbranch_execz .LBB2046_60
; %bb.59:
	v_lshlrev_b32_e32 v19, 1, v20
	global_load_ushort v20, v19, s[12:13]
	global_load_ushort v21, v19, s[10:11]
	s_waitcnt vmcnt(1)
	v_lshlrev_b32_e32 v19, 16, v20
	s_waitcnt vmcnt(0)
	v_lshlrev_b32_e32 v20, 16, v21
	v_cmp_neq_f32_e32 vcc, v20, v19
	v_cndmask_b32_e64 v19, 0, 1, vcc
.LBB2046_60:
	s_or_b64 exec, exec, s[0:1]
	v_or_b32_e32 v20, 0x900, v0
	v_cmp_gt_u32_e32 vcc, s2, v20
	s_and_saveexec_b64 s[0:1], vcc
	s_cbranch_execz .LBB2046_62
; %bb.61:
	v_lshlrev_b32_e32 v18, 1, v20
	global_load_ushort v20, v18, s[12:13]
	global_load_ushort v21, v18, s[10:11]
	s_waitcnt vmcnt(1)
	v_lshlrev_b32_e32 v18, 16, v20
	s_waitcnt vmcnt(0)
	v_lshlrev_b32_e32 v20, 16, v21
	v_cmp_neq_f32_e32 vcc, v20, v18
	v_cndmask_b32_e64 v18, 0, 1, vcc
.LBB2046_62:
	s_or_b64 exec, exec, s[0:1]
	v_or_b32_e32 v22, 0x980, v0
	v_cmp_gt_u32_e32 vcc, s2, v22
	v_mov_b32_e32 v20, 0
	v_mov_b32_e32 v21, 0
	s_and_saveexec_b64 s[0:1], vcc
	s_cbranch_execz .LBB2046_64
; %bb.63:
	v_lshlrev_b32_e32 v21, 1, v22
	global_load_ushort v22, v21, s[12:13]
	global_load_ushort v23, v21, s[10:11]
	s_waitcnt vmcnt(1)
	v_lshlrev_b32_e32 v21, 16, v22
	s_waitcnt vmcnt(0)
	v_lshlrev_b32_e32 v22, 16, v23
	v_cmp_neq_f32_e32 vcc, v22, v21
	v_cndmask_b32_e64 v21, 0, 1, vcc
.LBB2046_64:
	;; [unrolled: 34-line block ×7, first 2 shown]
	s_or_b64 exec, exec, s[0:1]
	v_or_b32_e32 v32, 0xf00, v0
	v_cmp_gt_u32_e32 vcc, s2, v32
	s_and_saveexec_b64 s[0:1], vcc
	s_cbranch_execz .LBB2046_86
; %bb.85:
	v_lshlrev_b32_e32 v30, 1, v32
	global_load_ushort v32, v30, s[12:13]
	global_load_ushort v33, v30, s[10:11]
	s_waitcnt vmcnt(1)
	v_lshlrev_b32_e32 v30, 16, v32
	s_waitcnt vmcnt(0)
	v_lshlrev_b32_e32 v32, 16, v33
	v_cmp_neq_f32_e32 vcc, v32, v30
	v_cndmask_b32_e64 v30, 0, 1, vcc
.LBB2046_86:
	s_or_b64 exec, exec, s[0:1]
	v_or_b32_e32 v33, 0xf80, v0
	v_cmp_gt_u32_e32 vcc, s2, v33
	v_mov_b32_e32 v32, 0
	s_and_saveexec_b64 s[0:1], vcc
	s_cbranch_execz .LBB2046_88
; %bb.87:
	v_lshlrev_b32_e32 v32, 1, v33
	global_load_ushort v33, v32, s[12:13]
	global_load_ushort v34, v32, s[10:11]
	s_waitcnt vmcnt(1)
	v_lshlrev_b32_e32 v32, 16, v33
	s_waitcnt vmcnt(0)
	v_lshlrev_b32_e32 v33, 16, v34
	v_cmp_neq_f32_e32 vcc, v33, v32
	v_cndmask_b32_e64 v32, 0, 1, vcc
.LBB2046_88:
	s_or_b64 exec, exec, s[0:1]
	v_add_u32_e32 v1, v3, v1
	v_add3_u32 v1, v1, v2, v5
	v_add3_u32 v1, v1, v4, v7
	;; [unrolled: 1-line block ×10, first 2 shown]
	v_mbcnt_lo_u32_b32 v2, -1, 0
	v_add3_u32 v1, v1, v22, v25
	v_mbcnt_hi_u32_b32 v2, -1, v2
	v_add3_u32 v1, v1, v24, v27
	v_and_b32_e32 v3, 63, v2
	v_add3_u32 v1, v1, v26, v29
	v_cmp_ne_u32_e32 vcc, 63, v3
	v_add3_u32 v1, v1, v28, v31
	v_addc_co_u32_e32 v4, vcc, 0, v2, vcc
	v_add3_u32 v1, v1, v30, v32
	v_lshlrev_b32_e32 v4, 2, v4
	ds_bpermute_b32 v4, v4, v1
	s_min_u32 s2, s2, 0x80
	v_and_b32_e32 v5, 64, v0
	v_sub_u32_e64 v5, s2, v5 clamp
	v_add_u32_e32 v6, 1, v3
	v_cmp_lt_u32_e32 vcc, v6, v5
	s_waitcnt lgkmcnt(0)
	v_cndmask_b32_e32 v4, 0, v4, vcc
	v_cmp_gt_u32_e32 vcc, 62, v3
	v_add_u32_e32 v1, v4, v1
	v_cndmask_b32_e64 v4, 0, 1, vcc
	v_lshlrev_b32_e32 v4, 1, v4
	v_add_lshl_u32 v4, v4, v2, 2
	ds_bpermute_b32 v4, v4, v1
	v_add_u32_e32 v6, 2, v3
	v_cmp_lt_u32_e32 vcc, v6, v5
	v_add_u32_e32 v6, 4, v3
	s_waitcnt lgkmcnt(0)
	v_cndmask_b32_e32 v4, 0, v4, vcc
	v_cmp_gt_u32_e32 vcc, 60, v3
	v_add_u32_e32 v1, v1, v4
	v_cndmask_b32_e64 v4, 0, 1, vcc
	v_lshlrev_b32_e32 v4, 2, v4
	v_add_lshl_u32 v4, v4, v2, 2
	ds_bpermute_b32 v4, v4, v1
	v_cmp_lt_u32_e32 vcc, v6, v5
	v_add_u32_e32 v6, 8, v3
	s_waitcnt lgkmcnt(0)
	v_cndmask_b32_e32 v4, 0, v4, vcc
	v_cmp_gt_u32_e32 vcc, 56, v3
	v_add_u32_e32 v1, v1, v4
	v_cndmask_b32_e64 v4, 0, 1, vcc
	v_lshlrev_b32_e32 v4, 3, v4
	v_add_lshl_u32 v4, v4, v2, 2
	ds_bpermute_b32 v4, v4, v1
	;; [unrolled: 10-line block ×3, first 2 shown]
	v_cmp_lt_u32_e32 vcc, v6, v5
	s_waitcnt lgkmcnt(0)
	v_cndmask_b32_e32 v4, 0, v4, vcc
	v_cmp_gt_u32_e32 vcc, 32, v3
	v_add_u32_e32 v1, v1, v4
	v_cndmask_b32_e64 v4, 0, 1, vcc
	v_lshlrev_b32_e32 v4, 5, v4
	v_add_lshl_u32 v4, v4, v2, 2
	ds_bpermute_b32 v4, v4, v1
	v_add_u32_e32 v3, 32, v3
	v_cmp_lt_u32_e32 vcc, v3, v5
	s_waitcnt lgkmcnt(0)
	v_cndmask_b32_e32 v3, 0, v4, vcc
	v_add_u32_e32 v1, v1, v3
	v_cmp_eq_u32_e32 vcc, 0, v2
	s_and_saveexec_b64 s[0:1], vcc
	s_cbranch_execz .LBB2046_90
; %bb.89:
	v_lshrrev_b32_e32 v3, 4, v0
	v_and_b32_e32 v3, 4, v3
	ds_write_b32 v3, v1 offset:48
.LBB2046_90:
	s_or_b64 exec, exec, s[0:1]
	v_cmp_gt_u32_e32 vcc, 2, v0
	s_waitcnt lgkmcnt(0)
	s_barrier
	s_and_saveexec_b64 s[0:1], vcc
	s_cbranch_execz .LBB2046_92
; %bb.91:
	v_lshlrev_b32_e32 v1, 2, v2
	ds_read_b32 v3, v1 offset:48
	v_or_b32_e32 v1, 4, v1
	s_add_i32 s2, s2, 63
	v_and_b32_e32 v2, 1, v2
	s_lshr_b32 s2, s2, 6
	s_waitcnt lgkmcnt(0)
	ds_bpermute_b32 v1, v1, v3
	v_add_u32_e32 v2, 1, v2
	v_cmp_gt_u32_e32 vcc, s2, v2
	s_waitcnt lgkmcnt(0)
	v_cndmask_b32_e32 v1, 0, v1, vcc
	v_add_u32_e32 v1, v1, v3
.LBB2046_92:
	s_or_b64 exec, exec, s[0:1]
	v_cmp_eq_u32_e64 s[0:1], 0, v0
	s_and_b64 vcc, exec, s[8:9]
	s_cbranch_vccnz .LBB2046_15
.LBB2046_93:
	s_branch .LBB2046_142
.LBB2046_94:
	s_mov_b64 s[2:3], -1
                                        ; implicit-def: $vgpr1
.LBB2046_95:
	s_and_b64 vcc, exec, s[2:3]
	s_cbranch_vccz .LBB2046_133
; %bb.96:
	s_sub_i32 s48, s36, s0
	v_cmp_gt_u32_e32 vcc, s48, v0
                                        ; implicit-def: $vgpr2_vgpr3_vgpr4_vgpr5_vgpr6_vgpr7_vgpr8_vgpr9_vgpr10_vgpr11_vgpr12_vgpr13_vgpr14_vgpr15_vgpr16_vgpr17
	s_and_saveexec_b64 s[0:1], vcc
	s_cbranch_execz .LBB2046_98
; %bb.97:
	v_lshlrev_b32_e32 v1, 1, v0
	global_load_ushort v2, v1, s[44:45]
	global_load_ushort v3, v1, s[34:35]
	s_waitcnt vmcnt(1)
	v_lshlrev_b32_e32 v1, 16, v2
	s_waitcnt vmcnt(0)
	v_lshlrev_b32_e32 v2, 16, v3
	v_cmp_neq_f32_e32 vcc, v2, v1
	v_cndmask_b32_e64 v2, 0, 1, vcc
.LBB2046_98:
	s_or_b64 exec, exec, s[0:1]
	v_or_b32_e32 v1, 0x80, v0
	v_cmp_gt_u32_e32 vcc, s48, v1
	s_and_saveexec_b64 s[2:3], vcc
	s_cbranch_execz .LBB2046_100
; %bb.99:
	v_lshlrev_b32_e32 v1, 1, v0
	global_load_ushort v3, v1, s[44:45] offset:256
	global_load_ushort v18, v1, s[34:35] offset:256
	s_waitcnt vmcnt(1)
	v_lshlrev_b32_e32 v1, 16, v3
	s_waitcnt vmcnt(0)
	v_lshlrev_b32_e32 v3, 16, v18
	v_cmp_neq_f32_e64 s[0:1], v3, v1
	v_cndmask_b32_e64 v3, 0, 1, s[0:1]
.LBB2046_100:
	s_or_b64 exec, exec, s[2:3]
	v_or_b32_e32 v1, 0x100, v0
	v_cmp_gt_u32_e64 s[0:1], s48, v1
	s_and_saveexec_b64 s[8:9], s[0:1]
	s_cbranch_execz .LBB2046_102
; %bb.101:
	v_lshlrev_b32_e32 v1, 1, v0
	global_load_ushort v4, v1, s[44:45] offset:512
	global_load_ushort v18, v1, s[34:35] offset:512
	s_waitcnt vmcnt(1)
	v_lshlrev_b32_e32 v1, 16, v4
	s_waitcnt vmcnt(0)
	v_lshlrev_b32_e32 v4, 16, v18
	v_cmp_neq_f32_e64 s[2:3], v4, v1
	v_cndmask_b32_e64 v4, 0, 1, s[2:3]
.LBB2046_102:
	s_or_b64 exec, exec, s[8:9]
	v_or_b32_e32 v1, 0x180, v0
	v_cmp_gt_u32_e64 s[2:3], s48, v1
	s_and_saveexec_b64 s[10:11], s[2:3]
	;; [unrolled: 16-line block ×13, first 2 shown]
	s_cbranch_execz .LBB2046_126
; %bb.125:
	v_lshlrev_b32_e32 v1, 1, v0
	global_load_ushort v16, v1, s[44:45] offset:3584
	s_nop 0
	global_load_ushort v1, v1, s[34:35] offset:3584
	s_waitcnt vmcnt(1)
	v_lshlrev_b32_e32 v16, 16, v16
	s_waitcnt vmcnt(0)
	v_lshlrev_b32_e32 v1, 16, v1
	v_cmp_neq_f32_e64 s[30:31], v1, v16
	v_cndmask_b32_e64 v16, 0, 1, s[30:31]
.LBB2046_126:
	s_or_b64 exec, exec, s[46:47]
	v_or_b32_e32 v1, 0x780, v0
	v_cmp_gt_u32_e64 s[30:31], s48, v1
	s_and_saveexec_b64 s[46:47], s[30:31]
	s_cbranch_execz .LBB2046_128
; %bb.127:
	v_lshlrev_b32_e32 v1, 1, v0
	global_load_ushort v17, v1, s[44:45] offset:3840
	s_nop 0
	global_load_ushort v1, v1, s[34:35] offset:3840
	s_waitcnt vmcnt(1)
	v_lshlrev_b32_e32 v17, 16, v17
	s_waitcnt vmcnt(0)
	v_lshlrev_b32_e32 v1, 16, v1
	v_cmp_neq_f32_e64 s[34:35], v1, v17
	v_cndmask_b32_e64 v17, 0, 1, s[34:35]
.LBB2046_128:
	s_or_b64 exec, exec, s[46:47]
	v_cndmask_b32_e32 v1, 0, v3, vcc
	v_add_u32_e32 v1, v1, v2
	v_cndmask_b32_e64 v2, 0, v4, s[0:1]
	v_cndmask_b32_e64 v3, 0, v5, s[2:3]
	v_add3_u32 v1, v1, v2, v3
	v_cndmask_b32_e64 v2, 0, v6, s[8:9]
	v_cndmask_b32_e64 v3, 0, v7, s[10:11]
	v_add3_u32 v1, v1, v2, v3
	v_cndmask_b32_e64 v2, 0, v8, s[12:13]
	v_cndmask_b32_e64 v3, 0, v9, s[14:15]
	v_add3_u32 v1, v1, v2, v3
	v_cndmask_b32_e64 v2, 0, v10, s[16:17]
	v_cndmask_b32_e64 v3, 0, v11, s[18:19]
	v_add3_u32 v1, v1, v2, v3
	v_cndmask_b32_e64 v2, 0, v12, s[20:21]
	v_cndmask_b32_e64 v3, 0, v13, s[22:23]
	v_add3_u32 v1, v1, v2, v3
	v_cndmask_b32_e64 v2, 0, v14, s[24:25]
	v_cndmask_b32_e64 v3, 0, v15, s[26:27]
	v_add3_u32 v1, v1, v2, v3
	v_cndmask_b32_e64 v2, 0, v16, s[28:29]
	v_cndmask_b32_e64 v3, 0, v17, s[30:31]
	v_add3_u32 v1, v1, v2, v3
	v_mbcnt_lo_u32_b32 v2, -1, 0
	v_mbcnt_hi_u32_b32 v2, -1, v2
	v_and_b32_e32 v3, 63, v2
	v_cmp_ne_u32_e32 vcc, 63, v3
	v_addc_co_u32_e32 v4, vcc, 0, v2, vcc
	v_lshlrev_b32_e32 v4, 2, v4
	ds_bpermute_b32 v4, v4, v1
	s_min_u32 s2, s48, 0x80
	v_and_b32_e32 v5, 64, v0
	v_sub_u32_e64 v5, s2, v5 clamp
	v_add_u32_e32 v6, 1, v3
	v_cmp_lt_u32_e32 vcc, v6, v5
	s_waitcnt lgkmcnt(0)
	v_cndmask_b32_e32 v4, 0, v4, vcc
	v_cmp_gt_u32_e32 vcc, 62, v3
	v_add_u32_e32 v1, v1, v4
	v_cndmask_b32_e64 v4, 0, 1, vcc
	v_lshlrev_b32_e32 v4, 1, v4
	v_add_lshl_u32 v4, v4, v2, 2
	ds_bpermute_b32 v4, v4, v1
	v_add_u32_e32 v6, 2, v3
	v_cmp_lt_u32_e32 vcc, v6, v5
	v_add_u32_e32 v6, 4, v3
	s_waitcnt lgkmcnt(0)
	v_cndmask_b32_e32 v4, 0, v4, vcc
	v_cmp_gt_u32_e32 vcc, 60, v3
	v_add_u32_e32 v1, v1, v4
	v_cndmask_b32_e64 v4, 0, 1, vcc
	v_lshlrev_b32_e32 v4, 2, v4
	v_add_lshl_u32 v4, v4, v2, 2
	ds_bpermute_b32 v4, v4, v1
	v_cmp_lt_u32_e32 vcc, v6, v5
	v_add_u32_e32 v6, 8, v3
	s_waitcnt lgkmcnt(0)
	v_cndmask_b32_e32 v4, 0, v4, vcc
	v_cmp_gt_u32_e32 vcc, 56, v3
	v_add_u32_e32 v1, v1, v4
	v_cndmask_b32_e64 v4, 0, 1, vcc
	v_lshlrev_b32_e32 v4, 3, v4
	v_add_lshl_u32 v4, v4, v2, 2
	ds_bpermute_b32 v4, v4, v1
	;; [unrolled: 10-line block ×3, first 2 shown]
	v_cmp_lt_u32_e32 vcc, v6, v5
	s_waitcnt lgkmcnt(0)
	v_cndmask_b32_e32 v4, 0, v4, vcc
	v_cmp_gt_u32_e32 vcc, 32, v3
	v_add_u32_e32 v1, v1, v4
	v_cndmask_b32_e64 v4, 0, 1, vcc
	v_lshlrev_b32_e32 v4, 5, v4
	v_add_lshl_u32 v4, v4, v2, 2
	ds_bpermute_b32 v4, v4, v1
	v_add_u32_e32 v3, 32, v3
	v_cmp_lt_u32_e32 vcc, v3, v5
	s_waitcnt lgkmcnt(0)
	v_cndmask_b32_e32 v3, 0, v4, vcc
	v_add_u32_e32 v1, v1, v3
	v_cmp_eq_u32_e32 vcc, 0, v2
	s_and_saveexec_b64 s[0:1], vcc
	s_cbranch_execz .LBB2046_130
; %bb.129:
	v_lshrrev_b32_e32 v3, 4, v0
	v_and_b32_e32 v3, 4, v3
	ds_write_b32 v3, v1 offset:48
.LBB2046_130:
	s_or_b64 exec, exec, s[0:1]
	v_cmp_gt_u32_e32 vcc, 2, v0
	s_waitcnt lgkmcnt(0)
	s_barrier
	s_and_saveexec_b64 s[0:1], vcc
	s_cbranch_execz .LBB2046_132
; %bb.131:
	v_lshlrev_b32_e32 v1, 2, v2
	ds_read_b32 v3, v1 offset:48
	v_or_b32_e32 v1, 4, v1
	s_add_i32 s2, s2, 63
	v_and_b32_e32 v2, 1, v2
	s_lshr_b32 s2, s2, 6
	s_waitcnt lgkmcnt(0)
	ds_bpermute_b32 v1, v1, v3
	v_add_u32_e32 v2, 1, v2
	v_cmp_gt_u32_e32 vcc, s2, v2
	s_waitcnt lgkmcnt(0)
	v_cndmask_b32_e32 v1, 0, v1, vcc
	v_add_u32_e32 v1, v1, v3
.LBB2046_132:
	s_or_b64 exec, exec, s[0:1]
.LBB2046_133:
	v_cmp_eq_u32_e64 s[0:1], 0, v0
	s_branch .LBB2046_142
.LBB2046_134:
	s_cmp_eq_u32 s33, 8
	s_cbranch_scc0 .LBB2046_141
; %bb.135:
	s_mov_b32 s7, 0
	s_lshl_b32 s0, s6, 10
	s_mov_b32 s1, s7
	s_lshr_b64 s[2:3], s[36:37], 10
	s_lshl_b64 s[8:9], s[0:1], 1
	s_add_u32 s16, s40, s8
	s_addc_u32 s17, s41, s9
	s_add_u32 s18, s42, s8
	s_addc_u32 s19, s43, s9
	s_cmp_lg_u64 s[2:3], s[6:7]
	s_cbranch_scc0 .LBB2046_143
; %bb.136:
	v_lshlrev_b32_e32 v1, 1, v0
	global_load_ushort v4, v1, s[18:19]
	global_load_ushort v5, v1, s[16:17]
	global_load_ushort v6, v1, s[18:19] offset:256
	global_load_ushort v7, v1, s[16:17] offset:256
	global_load_ushort v8, v1, s[18:19] offset:512
	global_load_ushort v9, v1, s[16:17] offset:512
	global_load_ushort v10, v1, s[18:19] offset:768
	global_load_ushort v11, v1, s[16:17] offset:768
	global_load_ushort v12, v1, s[18:19] offset:1024
	global_load_ushort v13, v1, s[16:17] offset:1024
	global_load_ushort v14, v1, s[18:19] offset:1280
	global_load_ushort v15, v1, s[16:17] offset:1280
	global_load_ushort v16, v1, s[18:19] offset:1536
	global_load_ushort v17, v1, s[16:17] offset:1536
	global_load_ushort v18, v1, s[18:19] offset:1792
	s_nop 0
	global_load_ushort v1, v1, s[16:17] offset:1792
	v_mbcnt_lo_u32_b32 v2, -1, 0
	v_mbcnt_hi_u32_b32 v2, -1, v2
	v_lshlrev_b32_e32 v3, 2, v2
	s_waitcnt vmcnt(15)
	v_lshlrev_b32_e32 v4, 16, v4
	s_waitcnt vmcnt(14)
	v_lshlrev_b32_e32 v5, 16, v5
	v_cmp_neq_f32_e32 vcc, v5, v4
	v_cndmask_b32_e64 v4, 0, 1, vcc
	s_waitcnt vmcnt(11)
	v_lshlrev_b32_e32 v8, 16, v8
	s_waitcnt vmcnt(10)
	v_lshlrev_b32_e32 v9, 16, v9
	v_cmp_neq_f32_e32 vcc, v9, v8
	v_cndmask_b32_e64 v5, 0, 1, vcc
	s_waitcnt vmcnt(7)
	v_lshlrev_b32_e32 v12, 16, v12
	s_waitcnt vmcnt(6)
	v_lshlrev_b32_e32 v13, 16, v13
	v_cmp_neq_f32_e32 vcc, v13, v12
	v_lshlrev_b32_e32 v6, 16, v6
	s_waitcnt vmcnt(3)
	v_lshlrev_b32_e32 v16, 16, v16
	s_waitcnt vmcnt(2)
	v_lshlrev_b32_e32 v17, 16, v17
	v_lshlrev_b32_e32 v7, 16, v7
	v_cndmask_b32_e64 v8, 0, 1, vcc
	v_cmp_neq_f32_e32 vcc, v17, v16
	v_cndmask_b32_e64 v9, 0, 1, vcc
	v_cmp_neq_f32_e32 vcc, v7, v6
	v_lshlrev_b32_e32 v10, 16, v10
	v_lshlrev_b32_e32 v11, 16, v11
	v_addc_co_u32_e32 v4, vcc, 0, v4, vcc
	v_cmp_neq_f32_e32 vcc, v11, v10
	v_lshlrev_b32_e32 v14, 16, v14
	v_lshlrev_b32_e32 v15, 16, v15
	v_addc_co_u32_e32 v4, vcc, v4, v5, vcc
	v_cmp_neq_f32_e32 vcc, v15, v14
	s_waitcnt vmcnt(1)
	v_lshlrev_b32_e32 v18, 16, v18
	s_waitcnt vmcnt(0)
	v_lshlrev_b32_e32 v1, 16, v1
	v_addc_co_u32_e32 v4, vcc, v4, v8, vcc
	v_cmp_neq_f32_e32 vcc, v1, v18
	v_addc_co_u32_e32 v1, vcc, v4, v9, vcc
	v_or_b32_e32 v4, 0xfc, v3
	s_nop 0
	v_add_u32_dpp v1, v1, v1 quad_perm:[1,0,3,2] row_mask:0xf bank_mask:0xf bound_ctrl:1
	v_cmp_eq_u32_e32 vcc, 0, v2
	s_nop 0
	v_add_u32_dpp v1, v1, v1 quad_perm:[2,3,0,1] row_mask:0xf bank_mask:0xf bound_ctrl:1
	s_nop 1
	v_add_u32_dpp v1, v1, v1 row_ror:4 row_mask:0xf bank_mask:0xf bound_ctrl:1
	s_nop 1
	v_add_u32_dpp v1, v1, v1 row_ror:8 row_mask:0xf bank_mask:0xf bound_ctrl:1
	s_nop 1
	v_add_u32_dpp v1, v1, v1 row_bcast:15 row_mask:0xf bank_mask:0xf bound_ctrl:1
	s_nop 1
	v_add_u32_dpp v1, v1, v1 row_bcast:31 row_mask:0xf bank_mask:0xf bound_ctrl:1
	ds_bpermute_b32 v1, v4, v1
	s_and_saveexec_b64 s[2:3], vcc
	s_cbranch_execz .LBB2046_138
; %bb.137:
	v_lshrrev_b32_e32 v4, 4, v0
	v_and_b32_e32 v4, 4, v4
	s_waitcnt lgkmcnt(0)
	ds_write_b32 v4, v1 offset:40
.LBB2046_138:
	s_or_b64 exec, exec, s[2:3]
	v_cmp_gt_u32_e32 vcc, 64, v0
	s_waitcnt lgkmcnt(0)
	s_barrier
	s_and_saveexec_b64 s[2:3], vcc
	s_cbranch_execz .LBB2046_140
; %bb.139:
	v_and_b32_e32 v1, 1, v2
	v_lshlrev_b32_e32 v1, 2, v1
	ds_read_b32 v1, v1 offset:40
	v_or_b32_e32 v2, 4, v3
	s_waitcnt lgkmcnt(0)
	ds_bpermute_b32 v2, v2, v1
	s_waitcnt lgkmcnt(0)
	v_add_u32_e32 v1, v2, v1
.LBB2046_140:
	s_or_b64 exec, exec, s[2:3]
	s_branch .LBB2046_165
.LBB2046_141:
                                        ; implicit-def: $vgpr1
.LBB2046_142:
	s_branch .LBB2046_224
.LBB2046_143:
                                        ; implicit-def: $vgpr1
	s_cbranch_execz .LBB2046_165
; %bb.144:
	s_sub_i32 s22, s36, s0
	v_cmp_gt_u32_e32 vcc, s22, v0
                                        ; implicit-def: $vgpr2_vgpr3_vgpr4_vgpr5_vgpr6_vgpr7_vgpr8_vgpr9
	s_and_saveexec_b64 s[0:1], vcc
	s_cbranch_execz .LBB2046_146
; %bb.145:
	v_lshlrev_b32_e32 v1, 1, v0
	global_load_ushort v2, v1, s[18:19]
	global_load_ushort v3, v1, s[16:17]
	s_waitcnt vmcnt(1)
	v_lshlrev_b32_e32 v1, 16, v2
	s_waitcnt vmcnt(0)
	v_lshlrev_b32_e32 v2, 16, v3
	v_cmp_neq_f32_e32 vcc, v2, v1
	v_cndmask_b32_e64 v2, 0, 1, vcc
.LBB2046_146:
	s_or_b64 exec, exec, s[0:1]
	v_or_b32_e32 v1, 0x80, v0
	v_cmp_gt_u32_e32 vcc, s22, v1
	s_and_saveexec_b64 s[2:3], vcc
	s_cbranch_execz .LBB2046_148
; %bb.147:
	v_lshlrev_b32_e32 v1, 1, v0
	global_load_ushort v3, v1, s[18:19] offset:256
	global_load_ushort v10, v1, s[16:17] offset:256
	s_waitcnt vmcnt(1)
	v_lshlrev_b32_e32 v1, 16, v3
	s_waitcnt vmcnt(0)
	v_lshlrev_b32_e32 v3, 16, v10
	v_cmp_neq_f32_e64 s[0:1], v3, v1
	v_cndmask_b32_e64 v3, 0, 1, s[0:1]
.LBB2046_148:
	s_or_b64 exec, exec, s[2:3]
	v_or_b32_e32 v1, 0x100, v0
	v_cmp_gt_u32_e64 s[0:1], s22, v1
	s_and_saveexec_b64 s[8:9], s[0:1]
	s_cbranch_execz .LBB2046_150
; %bb.149:
	v_lshlrev_b32_e32 v1, 1, v0
	global_load_ushort v4, v1, s[18:19] offset:512
	global_load_ushort v10, v1, s[16:17] offset:512
	s_waitcnt vmcnt(1)
	v_lshlrev_b32_e32 v1, 16, v4
	s_waitcnt vmcnt(0)
	v_lshlrev_b32_e32 v4, 16, v10
	v_cmp_neq_f32_e64 s[2:3], v4, v1
	v_cndmask_b32_e64 v4, 0, 1, s[2:3]
.LBB2046_150:
	s_or_b64 exec, exec, s[8:9]
	v_or_b32_e32 v1, 0x180, v0
	v_cmp_gt_u32_e64 s[2:3], s22, v1
	s_and_saveexec_b64 s[10:11], s[2:3]
	;; [unrolled: 16-line block ×6, first 2 shown]
	s_cbranch_execz .LBB2046_160
; %bb.159:
	v_lshlrev_b32_e32 v1, 1, v0
	global_load_ushort v9, v1, s[18:19] offset:1792
	global_load_ushort v10, v1, s[16:17] offset:1792
	s_waitcnt vmcnt(1)
	v_lshlrev_b32_e32 v1, 16, v9
	s_waitcnt vmcnt(0)
	v_lshlrev_b32_e32 v9, 16, v10
	v_cmp_neq_f32_e64 s[16:17], v9, v1
	v_cndmask_b32_e64 v9, 0, 1, s[16:17]
.LBB2046_160:
	s_or_b64 exec, exec, s[20:21]
	v_cndmask_b32_e32 v1, 0, v3, vcc
	v_add_u32_e32 v1, v1, v2
	v_cndmask_b32_e64 v2, 0, v4, s[0:1]
	v_cndmask_b32_e64 v3, 0, v5, s[2:3]
	v_add3_u32 v1, v1, v2, v3
	v_cndmask_b32_e64 v2, 0, v6, s[8:9]
	v_cndmask_b32_e64 v3, 0, v7, s[10:11]
	v_add3_u32 v1, v1, v2, v3
	;; [unrolled: 3-line block ×3, first 2 shown]
	v_mbcnt_lo_u32_b32 v2, -1, 0
	v_mbcnt_hi_u32_b32 v2, -1, v2
	v_and_b32_e32 v3, 63, v2
	v_cmp_ne_u32_e32 vcc, 63, v3
	v_addc_co_u32_e32 v4, vcc, 0, v2, vcc
	v_lshlrev_b32_e32 v4, 2, v4
	ds_bpermute_b32 v4, v4, v1
	s_min_u32 s2, s22, 0x80
	v_and_b32_e32 v5, 64, v0
	v_sub_u32_e64 v5, s2, v5 clamp
	v_add_u32_e32 v6, 1, v3
	v_cmp_lt_u32_e32 vcc, v6, v5
	s_waitcnt lgkmcnt(0)
	v_cndmask_b32_e32 v4, 0, v4, vcc
	v_cmp_gt_u32_e32 vcc, 62, v3
	v_add_u32_e32 v1, v1, v4
	v_cndmask_b32_e64 v4, 0, 1, vcc
	v_lshlrev_b32_e32 v4, 1, v4
	v_add_lshl_u32 v4, v4, v2, 2
	ds_bpermute_b32 v4, v4, v1
	v_add_u32_e32 v6, 2, v3
	v_cmp_lt_u32_e32 vcc, v6, v5
	v_add_u32_e32 v6, 4, v3
	s_waitcnt lgkmcnt(0)
	v_cndmask_b32_e32 v4, 0, v4, vcc
	v_cmp_gt_u32_e32 vcc, 60, v3
	v_add_u32_e32 v1, v1, v4
	v_cndmask_b32_e64 v4, 0, 1, vcc
	v_lshlrev_b32_e32 v4, 2, v4
	v_add_lshl_u32 v4, v4, v2, 2
	ds_bpermute_b32 v4, v4, v1
	v_cmp_lt_u32_e32 vcc, v6, v5
	v_add_u32_e32 v6, 8, v3
	s_waitcnt lgkmcnt(0)
	v_cndmask_b32_e32 v4, 0, v4, vcc
	v_cmp_gt_u32_e32 vcc, 56, v3
	v_add_u32_e32 v1, v1, v4
	v_cndmask_b32_e64 v4, 0, 1, vcc
	v_lshlrev_b32_e32 v4, 3, v4
	v_add_lshl_u32 v4, v4, v2, 2
	ds_bpermute_b32 v4, v4, v1
	;; [unrolled: 10-line block ×3, first 2 shown]
	v_cmp_lt_u32_e32 vcc, v6, v5
	s_waitcnt lgkmcnt(0)
	v_cndmask_b32_e32 v4, 0, v4, vcc
	v_cmp_gt_u32_e32 vcc, 32, v3
	v_add_u32_e32 v1, v1, v4
	v_cndmask_b32_e64 v4, 0, 1, vcc
	v_lshlrev_b32_e32 v4, 5, v4
	v_add_lshl_u32 v4, v4, v2, 2
	ds_bpermute_b32 v4, v4, v1
	v_add_u32_e32 v3, 32, v3
	v_cmp_lt_u32_e32 vcc, v3, v5
	s_waitcnt lgkmcnt(0)
	v_cndmask_b32_e32 v3, 0, v4, vcc
	v_add_u32_e32 v1, v1, v3
	v_cmp_eq_u32_e32 vcc, 0, v2
	s_and_saveexec_b64 s[0:1], vcc
	s_cbranch_execz .LBB2046_162
; %bb.161:
	v_lshrrev_b32_e32 v3, 4, v0
	v_and_b32_e32 v3, 4, v3
	ds_write_b32 v3, v1 offset:48
.LBB2046_162:
	s_or_b64 exec, exec, s[0:1]
	v_cmp_gt_u32_e32 vcc, 2, v0
	s_waitcnt lgkmcnt(0)
	s_barrier
	s_and_saveexec_b64 s[0:1], vcc
	s_cbranch_execz .LBB2046_164
; %bb.163:
	v_lshlrev_b32_e32 v1, 2, v2
	ds_read_b32 v3, v1 offset:48
	v_or_b32_e32 v1, 4, v1
	s_add_i32 s2, s2, 63
	v_and_b32_e32 v2, 1, v2
	s_lshr_b32 s2, s2, 6
	s_waitcnt lgkmcnt(0)
	ds_bpermute_b32 v1, v1, v3
	v_add_u32_e32 v2, 1, v2
	v_cmp_gt_u32_e32 vcc, s2, v2
	s_waitcnt lgkmcnt(0)
	v_cndmask_b32_e32 v1, 0, v1, vcc
	v_add_u32_e32 v1, v1, v3
.LBB2046_164:
	s_or_b64 exec, exec, s[0:1]
.LBB2046_165:
	v_cmp_eq_u32_e64 s[0:1], 0, v0
	s_branch .LBB2046_224
.LBB2046_166:
	s_cmp_gt_i32 s33, 1
	s_cbranch_scc0 .LBB2046_175
; %bb.167:
	s_cmp_gt_i32 s33, 3
	s_cbranch_scc0 .LBB2046_176
; %bb.168:
	s_cmp_eq_u32 s33, 4
	s_cbranch_scc0 .LBB2046_177
; %bb.169:
	s_mov_b32 s7, 0
	s_lshl_b32 s0, s6, 9
	s_mov_b32 s1, s7
	s_lshr_b64 s[2:3], s[36:37], 9
	s_lshl_b64 s[10:11], s[0:1], 1
	s_add_u32 s8, s40, s10
	s_addc_u32 s9, s41, s11
	s_add_u32 s10, s42, s10
	s_addc_u32 s11, s43, s11
	s_cmp_lg_u64 s[2:3], s[6:7]
	s_cbranch_scc0 .LBB2046_179
; %bb.170:
	v_lshlrev_b32_e32 v1, 1, v0
	global_load_ushort v4, v1, s[10:11]
	global_load_ushort v5, v1, s[8:9]
	global_load_ushort v6, v1, s[10:11] offset:256
	global_load_ushort v7, v1, s[8:9] offset:256
	;; [unrolled: 1-line block ×6, first 2 shown]
	v_mbcnt_lo_u32_b32 v1, -1, 0
	v_mbcnt_hi_u32_b32 v2, -1, v1
	v_lshlrev_b32_e32 v3, 2, v2
	s_waitcnt vmcnt(7)
	v_lshlrev_b32_e32 v1, 16, v4
	s_waitcnt vmcnt(6)
	;; [unrolled: 2-line block ×6, first 2 shown]
	v_lshlrev_b32_e32 v8, 16, v9
	v_cmp_neq_f32_e32 vcc, v4, v1
	v_cndmask_b32_e64 v1, 0, 1, vcc
	v_cmp_neq_f32_e32 vcc, v8, v7
	v_cndmask_b32_e64 v4, 0, 1, vcc
	v_cmp_neq_f32_e32 vcc, v6, v5
	s_waitcnt vmcnt(1)
	v_lshlrev_b32_e32 v9, 16, v10
	s_waitcnt vmcnt(0)
	v_lshlrev_b32_e32 v10, 16, v11
	v_addc_co_u32_e32 v1, vcc, 0, v1, vcc
	v_cmp_neq_f32_e32 vcc, v10, v9
	v_addc_co_u32_e32 v1, vcc, v1, v4, vcc
	v_or_b32_e32 v4, 0xfc, v3
	s_nop 0
	v_add_u32_dpp v1, v1, v1 quad_perm:[1,0,3,2] row_mask:0xf bank_mask:0xf bound_ctrl:1
	v_cmp_eq_u32_e32 vcc, 0, v2
	s_nop 0
	v_add_u32_dpp v1, v1, v1 quad_perm:[2,3,0,1] row_mask:0xf bank_mask:0xf bound_ctrl:1
	s_nop 1
	v_add_u32_dpp v1, v1, v1 row_ror:4 row_mask:0xf bank_mask:0xf bound_ctrl:1
	s_nop 1
	v_add_u32_dpp v1, v1, v1 row_ror:8 row_mask:0xf bank_mask:0xf bound_ctrl:1
	s_nop 1
	v_add_u32_dpp v1, v1, v1 row_bcast:15 row_mask:0xf bank_mask:0xf bound_ctrl:1
	s_nop 1
	v_add_u32_dpp v1, v1, v1 row_bcast:31 row_mask:0xf bank_mask:0xf bound_ctrl:1
	ds_bpermute_b32 v1, v4, v1
	s_and_saveexec_b64 s[2:3], vcc
	s_cbranch_execz .LBB2046_172
; %bb.171:
	v_lshrrev_b32_e32 v4, 4, v0
	v_and_b32_e32 v4, 4, v4
	s_waitcnt lgkmcnt(0)
	ds_write_b32 v4, v1 offset:32
.LBB2046_172:
	s_or_b64 exec, exec, s[2:3]
	v_cmp_gt_u32_e32 vcc, 64, v0
	s_waitcnt lgkmcnt(0)
	s_barrier
	s_and_saveexec_b64 s[2:3], vcc
	s_cbranch_execz .LBB2046_174
; %bb.173:
	v_and_b32_e32 v1, 1, v2
	v_lshlrev_b32_e32 v1, 2, v1
	ds_read_b32 v1, v1 offset:32
	v_or_b32_e32 v2, 4, v3
	s_waitcnt lgkmcnt(0)
	ds_bpermute_b32 v2, v2, v1
	s_waitcnt lgkmcnt(0)
	v_add_u32_e32 v1, v2, v1
.LBB2046_174:
	s_or_b64 exec, exec, s[2:3]
	s_mov_b64 s[2:3], 0
	s_branch .LBB2046_180
.LBB2046_175:
                                        ; implicit-def: $vgpr1
	s_cbranch_execnz .LBB2046_215
	s_branch .LBB2046_224
.LBB2046_176:
                                        ; implicit-def: $vgpr1
	s_cbranch_execz .LBB2046_178
	s_branch .LBB2046_195
.LBB2046_177:
                                        ; implicit-def: $vgpr1
.LBB2046_178:
	s_branch .LBB2046_224
.LBB2046_179:
	s_mov_b64 s[2:3], -1
                                        ; implicit-def: $vgpr1
.LBB2046_180:
	s_and_b64 vcc, exec, s[2:3]
	s_cbranch_vccz .LBB2046_194
; %bb.181:
	s_sub_i32 s14, s36, s0
	v_cmp_gt_u32_e32 vcc, s14, v0
                                        ; implicit-def: $vgpr2_vgpr3_vgpr4_vgpr5
	s_and_saveexec_b64 s[0:1], vcc
	s_cbranch_execz .LBB2046_183
; %bb.182:
	v_lshlrev_b32_e32 v1, 1, v0
	global_load_ushort v2, v1, s[10:11]
	global_load_ushort v3, v1, s[8:9]
	s_waitcnt vmcnt(1)
	v_lshlrev_b32_e32 v1, 16, v2
	s_waitcnt vmcnt(0)
	v_lshlrev_b32_e32 v2, 16, v3
	v_cmp_neq_f32_e32 vcc, v2, v1
	v_cndmask_b32_e64 v2, 0, 1, vcc
.LBB2046_183:
	s_or_b64 exec, exec, s[0:1]
	v_or_b32_e32 v1, 0x80, v0
	v_cmp_gt_u32_e32 vcc, s14, v1
	s_and_saveexec_b64 s[2:3], vcc
	s_cbranch_execz .LBB2046_185
; %bb.184:
	v_lshlrev_b32_e32 v1, 1, v0
	global_load_ushort v3, v1, s[10:11] offset:256
	global_load_ushort v6, v1, s[8:9] offset:256
	s_waitcnt vmcnt(1)
	v_lshlrev_b32_e32 v1, 16, v3
	s_waitcnt vmcnt(0)
	v_lshlrev_b32_e32 v3, 16, v6
	v_cmp_neq_f32_e64 s[0:1], v3, v1
	v_cndmask_b32_e64 v3, 0, 1, s[0:1]
.LBB2046_185:
	s_or_b64 exec, exec, s[2:3]
	v_or_b32_e32 v1, 0x100, v0
	v_cmp_gt_u32_e64 s[0:1], s14, v1
	s_and_saveexec_b64 s[12:13], s[0:1]
	s_cbranch_execz .LBB2046_187
; %bb.186:
	v_lshlrev_b32_e32 v1, 1, v0
	global_load_ushort v4, v1, s[10:11] offset:512
	global_load_ushort v6, v1, s[8:9] offset:512
	s_waitcnt vmcnt(1)
	v_lshlrev_b32_e32 v1, 16, v4
	s_waitcnt vmcnt(0)
	v_lshlrev_b32_e32 v4, 16, v6
	v_cmp_neq_f32_e64 s[2:3], v4, v1
	v_cndmask_b32_e64 v4, 0, 1, s[2:3]
.LBB2046_187:
	s_or_b64 exec, exec, s[12:13]
	v_or_b32_e32 v1, 0x180, v0
	v_cmp_gt_u32_e64 s[2:3], s14, v1
	s_and_saveexec_b64 s[12:13], s[2:3]
	s_cbranch_execz .LBB2046_189
; %bb.188:
	v_lshlrev_b32_e32 v1, 1, v0
	global_load_ushort v5, v1, s[10:11] offset:768
	global_load_ushort v6, v1, s[8:9] offset:768
	s_waitcnt vmcnt(1)
	v_lshlrev_b32_e32 v1, 16, v5
	s_waitcnt vmcnt(0)
	v_lshlrev_b32_e32 v5, 16, v6
	v_cmp_neq_f32_e64 s[8:9], v5, v1
	v_cndmask_b32_e64 v5, 0, 1, s[8:9]
.LBB2046_189:
	s_or_b64 exec, exec, s[12:13]
	v_cndmask_b32_e32 v1, 0, v3, vcc
	v_add_u32_e32 v1, v1, v2
	v_cndmask_b32_e64 v2, 0, v4, s[0:1]
	v_cndmask_b32_e64 v3, 0, v5, s[2:3]
	v_add3_u32 v1, v1, v2, v3
	v_mbcnt_lo_u32_b32 v2, -1, 0
	v_mbcnt_hi_u32_b32 v2, -1, v2
	v_and_b32_e32 v3, 63, v2
	v_cmp_ne_u32_e32 vcc, 63, v3
	v_addc_co_u32_e32 v4, vcc, 0, v2, vcc
	v_lshlrev_b32_e32 v4, 2, v4
	ds_bpermute_b32 v4, v4, v1
	s_min_u32 s2, s14, 0x80
	v_and_b32_e32 v5, 64, v0
	v_sub_u32_e64 v5, s2, v5 clamp
	v_add_u32_e32 v6, 1, v3
	v_cmp_lt_u32_e32 vcc, v6, v5
	s_waitcnt lgkmcnt(0)
	v_cndmask_b32_e32 v4, 0, v4, vcc
	v_cmp_gt_u32_e32 vcc, 62, v3
	v_add_u32_e32 v1, v4, v1
	v_cndmask_b32_e64 v4, 0, 1, vcc
	v_lshlrev_b32_e32 v4, 1, v4
	v_add_lshl_u32 v4, v4, v2, 2
	ds_bpermute_b32 v4, v4, v1
	v_add_u32_e32 v6, 2, v3
	v_cmp_lt_u32_e32 vcc, v6, v5
	v_add_u32_e32 v6, 4, v3
	s_waitcnt lgkmcnt(0)
	v_cndmask_b32_e32 v4, 0, v4, vcc
	v_cmp_gt_u32_e32 vcc, 60, v3
	v_add_u32_e32 v1, v1, v4
	v_cndmask_b32_e64 v4, 0, 1, vcc
	v_lshlrev_b32_e32 v4, 2, v4
	v_add_lshl_u32 v4, v4, v2, 2
	ds_bpermute_b32 v4, v4, v1
	v_cmp_lt_u32_e32 vcc, v6, v5
	v_add_u32_e32 v6, 8, v3
	s_waitcnt lgkmcnt(0)
	v_cndmask_b32_e32 v4, 0, v4, vcc
	v_cmp_gt_u32_e32 vcc, 56, v3
	v_add_u32_e32 v1, v1, v4
	v_cndmask_b32_e64 v4, 0, 1, vcc
	v_lshlrev_b32_e32 v4, 3, v4
	v_add_lshl_u32 v4, v4, v2, 2
	ds_bpermute_b32 v4, v4, v1
	;; [unrolled: 10-line block ×3, first 2 shown]
	v_cmp_lt_u32_e32 vcc, v6, v5
	s_waitcnt lgkmcnt(0)
	v_cndmask_b32_e32 v4, 0, v4, vcc
	v_cmp_gt_u32_e32 vcc, 32, v3
	v_add_u32_e32 v1, v1, v4
	v_cndmask_b32_e64 v4, 0, 1, vcc
	v_lshlrev_b32_e32 v4, 5, v4
	v_add_lshl_u32 v4, v4, v2, 2
	ds_bpermute_b32 v4, v4, v1
	v_add_u32_e32 v3, 32, v3
	v_cmp_lt_u32_e32 vcc, v3, v5
	s_waitcnt lgkmcnt(0)
	v_cndmask_b32_e32 v3, 0, v4, vcc
	v_add_u32_e32 v1, v1, v3
	v_cmp_eq_u32_e32 vcc, 0, v2
	s_and_saveexec_b64 s[0:1], vcc
	s_cbranch_execz .LBB2046_191
; %bb.190:
	v_lshrrev_b32_e32 v3, 4, v0
	v_and_b32_e32 v3, 4, v3
	ds_write_b32 v3, v1 offset:48
.LBB2046_191:
	s_or_b64 exec, exec, s[0:1]
	v_cmp_gt_u32_e32 vcc, 2, v0
	s_waitcnt lgkmcnt(0)
	s_barrier
	s_and_saveexec_b64 s[0:1], vcc
	s_cbranch_execz .LBB2046_193
; %bb.192:
	v_lshlrev_b32_e32 v1, 2, v2
	ds_read_b32 v3, v1 offset:48
	v_or_b32_e32 v1, 4, v1
	s_add_i32 s2, s2, 63
	v_and_b32_e32 v2, 1, v2
	s_lshr_b32 s2, s2, 6
	s_waitcnt lgkmcnt(0)
	ds_bpermute_b32 v1, v1, v3
	v_add_u32_e32 v2, 1, v2
	v_cmp_gt_u32_e32 vcc, s2, v2
	s_waitcnt lgkmcnt(0)
	v_cndmask_b32_e32 v1, 0, v1, vcc
	v_add_u32_e32 v1, v1, v3
.LBB2046_193:
	s_or_b64 exec, exec, s[0:1]
.LBB2046_194:
	v_cmp_eq_u32_e64 s[0:1], 0, v0
	s_branch .LBB2046_178
.LBB2046_195:
	s_cmp_eq_u32 s33, 2
	s_cbranch_scc0 .LBB2046_202
; %bb.196:
	s_mov_b32 s7, 0
	s_lshl_b32 s10, s6, 8
	s_mov_b32 s11, s7
	s_lshr_b64 s[0:1], s[36:37], 8
	s_lshl_b64 s[8:9], s[10:11], 1
	s_add_u32 s2, s40, s8
	s_addc_u32 s3, s41, s9
	s_add_u32 s8, s42, s8
	s_addc_u32 s9, s43, s9
	s_cmp_lg_u64 s[0:1], s[6:7]
	s_cbranch_scc0 .LBB2046_203
; %bb.197:
	v_lshlrev_b32_e32 v1, 1, v0
	global_load_ushort v4, v1, s[8:9]
	global_load_ushort v5, v1, s[2:3]
	global_load_ushort v6, v1, s[8:9] offset:256
	global_load_ushort v7, v1, s[2:3] offset:256
	v_mbcnt_lo_u32_b32 v1, -1, 0
	v_mbcnt_hi_u32_b32 v2, -1, v1
	v_lshlrev_b32_e32 v3, 2, v2
	s_waitcnt vmcnt(3)
	v_lshlrev_b32_e32 v1, 16, v4
	s_waitcnt vmcnt(2)
	;; [unrolled: 2-line block ×4, first 2 shown]
	v_lshlrev_b32_e32 v6, 16, v7
	v_cmp_neq_f32_e32 vcc, v4, v1
	v_cndmask_b32_e64 v1, 0, 1, vcc
	v_cmp_neq_f32_e32 vcc, v6, v5
	v_addc_co_u32_e64 v4, s[0:1], 0, v1, vcc
	s_nop 1
	v_mov_b32_dpp v4, v4 quad_perm:[1,0,3,2] row_mask:0xf bank_mask:0xf bound_ctrl:1
	v_addc_co_u32_e32 v1, vcc, v4, v1, vcc
	v_or_b32_e32 v4, 0xfc, v3
	s_nop 0
	v_add_u32_dpp v1, v1, v1 quad_perm:[2,3,0,1] row_mask:0xf bank_mask:0xf bound_ctrl:1
	v_cmp_eq_u32_e32 vcc, 0, v2
	s_nop 0
	v_add_u32_dpp v1, v1, v1 row_ror:4 row_mask:0xf bank_mask:0xf bound_ctrl:1
	s_nop 1
	v_add_u32_dpp v1, v1, v1 row_ror:8 row_mask:0xf bank_mask:0xf bound_ctrl:1
	s_nop 1
	v_add_u32_dpp v1, v1, v1 row_bcast:15 row_mask:0xf bank_mask:0xf bound_ctrl:1
	s_nop 1
	v_add_u32_dpp v1, v1, v1 row_bcast:31 row_mask:0xf bank_mask:0xf bound_ctrl:1
	ds_bpermute_b32 v1, v4, v1
	s_and_saveexec_b64 s[0:1], vcc
	s_cbranch_execz .LBB2046_199
; %bb.198:
	v_lshrrev_b32_e32 v4, 4, v0
	v_and_b32_e32 v4, 4, v4
	s_waitcnt lgkmcnt(0)
	ds_write_b32 v4, v1 offset:16
.LBB2046_199:
	s_or_b64 exec, exec, s[0:1]
	v_cmp_gt_u32_e32 vcc, 64, v0
	s_waitcnt lgkmcnt(0)
	s_barrier
	s_and_saveexec_b64 s[0:1], vcc
	s_cbranch_execz .LBB2046_201
; %bb.200:
	v_and_b32_e32 v1, 1, v2
	v_lshlrev_b32_e32 v1, 2, v1
	ds_read_b32 v1, v1 offset:16
	v_or_b32_e32 v2, 4, v3
	s_waitcnt lgkmcnt(0)
	ds_bpermute_b32 v2, v2, v1
	s_waitcnt lgkmcnt(0)
	v_add_u32_e32 v1, v2, v1
.LBB2046_201:
	s_or_b64 exec, exec, s[0:1]
	s_mov_b64 s[0:1], 0
	s_branch .LBB2046_204
.LBB2046_202:
                                        ; implicit-def: $vgpr1
	s_branch .LBB2046_224
.LBB2046_203:
	s_mov_b64 s[0:1], -1
                                        ; implicit-def: $vgpr1
.LBB2046_204:
	s_and_b64 vcc, exec, s[0:1]
	s_cbranch_vccz .LBB2046_214
; %bb.205:
	s_sub_i32 s12, s36, s10
	v_cmp_gt_u32_e32 vcc, s12, v0
                                        ; implicit-def: $vgpr2_vgpr3
	s_and_saveexec_b64 s[0:1], vcc
	s_cbranch_execz .LBB2046_207
; %bb.206:
	v_lshlrev_b32_e32 v1, 1, v0
	global_load_ushort v2, v1, s[8:9]
	global_load_ushort v3, v1, s[2:3]
	s_waitcnt vmcnt(1)
	v_lshlrev_b32_e32 v1, 16, v2
	s_waitcnt vmcnt(0)
	v_lshlrev_b32_e32 v2, 16, v3
	v_cmp_neq_f32_e32 vcc, v2, v1
	v_cndmask_b32_e64 v2, 0, 1, vcc
.LBB2046_207:
	s_or_b64 exec, exec, s[0:1]
	v_or_b32_e32 v1, 0x80, v0
	v_cmp_gt_u32_e32 vcc, s12, v1
	s_and_saveexec_b64 s[10:11], vcc
	s_cbranch_execz .LBB2046_209
; %bb.208:
	v_lshlrev_b32_e32 v1, 1, v0
	global_load_ushort v3, v1, s[8:9] offset:256
	global_load_ushort v4, v1, s[2:3] offset:256
	s_waitcnt vmcnt(1)
	v_lshlrev_b32_e32 v1, 16, v3
	s_waitcnt vmcnt(0)
	v_lshlrev_b32_e32 v3, 16, v4
	v_cmp_neq_f32_e64 s[0:1], v3, v1
	v_cndmask_b32_e64 v3, 0, 1, s[0:1]
.LBB2046_209:
	s_or_b64 exec, exec, s[10:11]
	v_cndmask_b32_e32 v1, 0, v3, vcc
	v_add_u32_e32 v1, v1, v2
	v_mbcnt_lo_u32_b32 v2, -1, 0
	v_mbcnt_hi_u32_b32 v2, -1, v2
	v_and_b32_e32 v3, 63, v2
	v_cmp_ne_u32_e32 vcc, 63, v3
	v_addc_co_u32_e32 v4, vcc, 0, v2, vcc
	v_lshlrev_b32_e32 v4, 2, v4
	ds_bpermute_b32 v4, v4, v1
	s_min_u32 s2, s12, 0x80
	v_and_b32_e32 v5, 64, v0
	v_sub_u32_e64 v5, s2, v5 clamp
	v_add_u32_e32 v6, 1, v3
	v_cmp_lt_u32_e32 vcc, v6, v5
	s_waitcnt lgkmcnt(0)
	v_cndmask_b32_e32 v4, 0, v4, vcc
	v_cmp_gt_u32_e32 vcc, 62, v3
	v_add_u32_e32 v1, v4, v1
	v_cndmask_b32_e64 v4, 0, 1, vcc
	v_lshlrev_b32_e32 v4, 1, v4
	v_add_lshl_u32 v4, v4, v2, 2
	ds_bpermute_b32 v4, v4, v1
	v_add_u32_e32 v6, 2, v3
	v_cmp_lt_u32_e32 vcc, v6, v5
	v_add_u32_e32 v6, 4, v3
	s_waitcnt lgkmcnt(0)
	v_cndmask_b32_e32 v4, 0, v4, vcc
	v_cmp_gt_u32_e32 vcc, 60, v3
	v_add_u32_e32 v1, v1, v4
	v_cndmask_b32_e64 v4, 0, 1, vcc
	v_lshlrev_b32_e32 v4, 2, v4
	v_add_lshl_u32 v4, v4, v2, 2
	ds_bpermute_b32 v4, v4, v1
	v_cmp_lt_u32_e32 vcc, v6, v5
	v_add_u32_e32 v6, 8, v3
	s_waitcnt lgkmcnt(0)
	v_cndmask_b32_e32 v4, 0, v4, vcc
	v_cmp_gt_u32_e32 vcc, 56, v3
	v_add_u32_e32 v1, v1, v4
	v_cndmask_b32_e64 v4, 0, 1, vcc
	v_lshlrev_b32_e32 v4, 3, v4
	v_add_lshl_u32 v4, v4, v2, 2
	ds_bpermute_b32 v4, v4, v1
	;; [unrolled: 10-line block ×3, first 2 shown]
	v_cmp_lt_u32_e32 vcc, v6, v5
	s_waitcnt lgkmcnt(0)
	v_cndmask_b32_e32 v4, 0, v4, vcc
	v_cmp_gt_u32_e32 vcc, 32, v3
	v_add_u32_e32 v1, v1, v4
	v_cndmask_b32_e64 v4, 0, 1, vcc
	v_lshlrev_b32_e32 v4, 5, v4
	v_add_lshl_u32 v4, v4, v2, 2
	ds_bpermute_b32 v4, v4, v1
	v_add_u32_e32 v3, 32, v3
	v_cmp_lt_u32_e32 vcc, v3, v5
	s_waitcnt lgkmcnt(0)
	v_cndmask_b32_e32 v3, 0, v4, vcc
	v_add_u32_e32 v1, v1, v3
	v_cmp_eq_u32_e32 vcc, 0, v2
	s_and_saveexec_b64 s[0:1], vcc
	s_cbranch_execz .LBB2046_211
; %bb.210:
	v_lshrrev_b32_e32 v3, 4, v0
	v_and_b32_e32 v3, 4, v3
	ds_write_b32 v3, v1 offset:48
.LBB2046_211:
	s_or_b64 exec, exec, s[0:1]
	v_cmp_gt_u32_e32 vcc, 2, v0
	s_waitcnt lgkmcnt(0)
	s_barrier
	s_and_saveexec_b64 s[0:1], vcc
	s_cbranch_execz .LBB2046_213
; %bb.212:
	v_lshlrev_b32_e32 v1, 2, v2
	ds_read_b32 v3, v1 offset:48
	v_or_b32_e32 v1, 4, v1
	s_add_i32 s2, s2, 63
	v_and_b32_e32 v2, 1, v2
	s_lshr_b32 s2, s2, 6
	s_waitcnt lgkmcnt(0)
	ds_bpermute_b32 v1, v1, v3
	v_add_u32_e32 v2, 1, v2
	v_cmp_gt_u32_e32 vcc, s2, v2
	s_waitcnt lgkmcnt(0)
	v_cndmask_b32_e32 v1, 0, v1, vcc
	v_add_u32_e32 v1, v1, v3
.LBB2046_213:
	s_or_b64 exec, exec, s[0:1]
.LBB2046_214:
	v_cmp_eq_u32_e64 s[0:1], 0, v0
	s_branch .LBB2046_224
.LBB2046_215:
	s_cmp_eq_u32 s33, 1
	s_cbranch_scc0 .LBB2046_223
; %bb.216:
	s_mov_b32 s3, 0
	s_lshl_b32 s2, s6, 7
	s_mov_b32 s7, s3
	s_lshr_b64 s[0:1], s[36:37], 7
	s_cmp_lg_u64 s[0:1], s[6:7]
	v_mbcnt_lo_u32_b32 v2, -1, 0
	s_cbranch_scc0 .LBB2046_227
; %bb.217:
	s_lshl_b64 s[0:1], s[2:3], 1
	s_add_u32 s8, s40, s0
	s_addc_u32 s9, s41, s1
	s_add_u32 s0, s42, s0
	v_lshlrev_b32_e32 v1, 1, v0
	s_addc_u32 s1, s43, s1
	global_load_ushort v5, v1, s[8:9]
	global_load_ushort v6, v1, s[0:1]
	v_mbcnt_hi_u32_b32 v3, -1, v2
	v_lshlrev_b32_e32 v4, 2, v3
	s_waitcnt vmcnt(1)
	v_lshlrev_b32_e32 v1, 16, v5
	s_waitcnt vmcnt(0)
	v_lshlrev_b32_e32 v5, 16, v6
	v_cmp_neq_f32_e32 vcc, v1, v5
	v_cndmask_b32_e64 v1, 0, 1, vcc
	s_nop 1
	v_mov_b32_dpp v1, v1 quad_perm:[1,0,3,2] row_mask:0xf bank_mask:0xf bound_ctrl:1
	v_addc_co_u32_e64 v5, s[0:1], 0, v1, vcc
	s_nop 1
	v_mov_b32_dpp v5, v5 quad_perm:[2,3,0,1] row_mask:0xf bank_mask:0xf bound_ctrl:1
	v_addc_co_u32_e32 v1, vcc, v5, v1, vcc
	v_or_b32_e32 v5, 0xfc, v4
	s_nop 0
	v_add_u32_dpp v1, v1, v1 row_ror:4 row_mask:0xf bank_mask:0xf bound_ctrl:1
	v_cmp_eq_u32_e32 vcc, 0, v3
	s_nop 0
	v_add_u32_dpp v1, v1, v1 row_ror:8 row_mask:0xf bank_mask:0xf bound_ctrl:1
	s_nop 1
	v_add_u32_dpp v1, v1, v1 row_bcast:15 row_mask:0xf bank_mask:0xf bound_ctrl:1
	s_nop 1
	v_add_u32_dpp v1, v1, v1 row_bcast:31 row_mask:0xf bank_mask:0xf bound_ctrl:1
	ds_bpermute_b32 v1, v5, v1
	s_and_saveexec_b64 s[0:1], vcc
	s_cbranch_execz .LBB2046_219
; %bb.218:
	v_lshrrev_b32_e32 v5, 4, v0
	v_and_b32_e32 v5, 4, v5
	s_waitcnt lgkmcnt(0)
	ds_write_b32 v5, v1 offset:8
.LBB2046_219:
	s_or_b64 exec, exec, s[0:1]
	v_cmp_gt_u32_e32 vcc, 64, v0
	s_waitcnt lgkmcnt(0)
	s_barrier
	s_and_saveexec_b64 s[0:1], vcc
	s_cbranch_execz .LBB2046_221
; %bb.220:
	v_and_b32_e32 v1, 1, v3
	v_lshlrev_b32_e32 v1, 2, v1
	ds_read_b32 v1, v1 offset:8
	v_or_b32_e32 v3, 4, v4
	s_waitcnt lgkmcnt(0)
	ds_bpermute_b32 v3, v3, v1
	s_waitcnt lgkmcnt(0)
	v_add_u32_e32 v1, v3, v1
.LBB2046_221:
	s_or_b64 exec, exec, s[0:1]
.LBB2046_222:
	v_cmp_eq_u32_e64 s[0:1], 0, v0
	s_and_saveexec_b64 s[2:3], s[0:1]
	s_cbranch_execnz .LBB2046_225
	s_branch .LBB2046_226
.LBB2046_223:
                                        ; implicit-def: $vgpr1
                                        ; implicit-def: $sgpr6_sgpr7
.LBB2046_224:
	s_and_saveexec_b64 s[2:3], s[0:1]
	s_cbranch_execz .LBB2046_226
.LBB2046_225:
	s_lshl_b64 s[0:1], s[6:7], 2
	s_load_dword s2, s[4:5], 0x30
	s_add_u32 s0, s38, s0
	s_addc_u32 s1, s39, s1
	s_cmp_lg_u64 s[36:37], 0
	s_cselect_b64 vcc, -1, 0
	v_cndmask_b32_e32 v1, 0, v1, vcc
	v_mov_b32_e32 v0, 0
	s_waitcnt lgkmcnt(0)
	v_add_u32_e32 v1, s2, v1
	global_store_dword v0, v1, s[0:1]
.LBB2046_226:
	s_endpgm
.LBB2046_227:
                                        ; implicit-def: $vgpr1
	s_cbranch_execz .LBB2046_222
; %bb.228:
	s_sub_i32 s8, s36, s2
	v_cmp_gt_u32_e32 vcc, s8, v0
                                        ; implicit-def: $vgpr1
	s_and_saveexec_b64 s[0:1], vcc
	s_cbranch_execz .LBB2046_230
; %bb.229:
	s_lshl_b64 s[2:3], s[2:3], 1
	s_add_u32 s10, s42, s2
	s_addc_u32 s11, s43, s3
	s_add_u32 s2, s40, s2
	v_lshlrev_b32_e32 v1, 1, v0
	s_addc_u32 s3, s41, s3
	global_load_ushort v3, v1, s[10:11]
	global_load_ushort v4, v1, s[2:3]
	s_waitcnt vmcnt(1)
	v_lshlrev_b32_e32 v1, 16, v3
	s_waitcnt vmcnt(0)
	v_lshlrev_b32_e32 v3, 16, v4
	v_cmp_neq_f32_e32 vcc, v3, v1
	v_cndmask_b32_e64 v1, 0, 1, vcc
.LBB2046_230:
	s_or_b64 exec, exec, s[0:1]
	v_mbcnt_hi_u32_b32 v2, -1, v2
	v_and_b32_e32 v3, 63, v2
	v_cmp_ne_u32_e32 vcc, 63, v3
	v_addc_co_u32_e32 v4, vcc, 0, v2, vcc
	v_lshlrev_b32_e32 v4, 2, v4
	ds_bpermute_b32 v4, v4, v1
	s_min_u32 s2, s8, 0x80
	v_and_b32_e32 v5, 64, v0
	v_sub_u32_e64 v5, s2, v5 clamp
	v_add_u32_e32 v6, 1, v3
	v_cmp_lt_u32_e32 vcc, v6, v5
	s_waitcnt lgkmcnt(0)
	v_cndmask_b32_e32 v4, 0, v4, vcc
	v_cmp_gt_u32_e32 vcc, 62, v3
	v_add_u32_e32 v1, v4, v1
	v_cndmask_b32_e64 v4, 0, 1, vcc
	v_lshlrev_b32_e32 v4, 1, v4
	v_add_lshl_u32 v4, v4, v2, 2
	ds_bpermute_b32 v4, v4, v1
	v_add_u32_e32 v6, 2, v3
	v_cmp_lt_u32_e32 vcc, v6, v5
	v_add_u32_e32 v6, 4, v3
	s_waitcnt lgkmcnt(0)
	v_cndmask_b32_e32 v4, 0, v4, vcc
	v_cmp_gt_u32_e32 vcc, 60, v3
	v_add_u32_e32 v1, v1, v4
	v_cndmask_b32_e64 v4, 0, 1, vcc
	v_lshlrev_b32_e32 v4, 2, v4
	v_add_lshl_u32 v4, v4, v2, 2
	ds_bpermute_b32 v4, v4, v1
	v_cmp_lt_u32_e32 vcc, v6, v5
	v_add_u32_e32 v6, 8, v3
	s_waitcnt lgkmcnt(0)
	v_cndmask_b32_e32 v4, 0, v4, vcc
	v_cmp_gt_u32_e32 vcc, 56, v3
	v_add_u32_e32 v1, v1, v4
	v_cndmask_b32_e64 v4, 0, 1, vcc
	v_lshlrev_b32_e32 v4, 3, v4
	v_add_lshl_u32 v4, v4, v2, 2
	ds_bpermute_b32 v4, v4, v1
	;; [unrolled: 10-line block ×3, first 2 shown]
	v_cmp_lt_u32_e32 vcc, v6, v5
	s_waitcnt lgkmcnt(0)
	v_cndmask_b32_e32 v4, 0, v4, vcc
	v_cmp_gt_u32_e32 vcc, 32, v3
	v_add_u32_e32 v1, v1, v4
	v_cndmask_b32_e64 v4, 0, 1, vcc
	v_lshlrev_b32_e32 v4, 5, v4
	v_add_lshl_u32 v4, v4, v2, 2
	ds_bpermute_b32 v4, v4, v1
	v_add_u32_e32 v3, 32, v3
	v_cmp_lt_u32_e32 vcc, v3, v5
	s_waitcnt lgkmcnt(0)
	v_cndmask_b32_e32 v3, 0, v4, vcc
	v_add_u32_e32 v1, v1, v3
	v_cmp_eq_u32_e32 vcc, 0, v2
	s_and_saveexec_b64 s[0:1], vcc
	s_cbranch_execz .LBB2046_232
; %bb.231:
	v_lshrrev_b32_e32 v3, 4, v0
	v_and_b32_e32 v3, 4, v3
	ds_write_b32 v3, v1 offset:48
.LBB2046_232:
	s_or_b64 exec, exec, s[0:1]
	v_cmp_gt_u32_e32 vcc, 2, v0
	s_waitcnt lgkmcnt(0)
	s_barrier
	s_and_saveexec_b64 s[0:1], vcc
	s_cbranch_execz .LBB2046_234
; %bb.233:
	v_lshlrev_b32_e32 v1, 2, v2
	ds_read_b32 v3, v1 offset:48
	v_or_b32_e32 v1, 4, v1
	s_add_i32 s2, s2, 63
	v_and_b32_e32 v2, 1, v2
	s_lshr_b32 s2, s2, 6
	s_waitcnt lgkmcnt(0)
	ds_bpermute_b32 v1, v1, v3
	v_add_u32_e32 v2, 1, v2
	v_cmp_gt_u32_e32 vcc, s2, v2
	s_waitcnt lgkmcnt(0)
	v_cndmask_b32_e32 v1, 0, v1, vcc
	v_add_u32_e32 v1, v1, v3
.LBB2046_234:
	s_or_b64 exec, exec, s[0:1]
	v_cmp_eq_u32_e64 s[0:1], 0, v0
	s_and_saveexec_b64 s[2:3], s[0:1]
	s_cbranch_execnz .LBB2046_225
	s_branch .LBB2046_226
	.section	.rodata,"a",@progbits
	.p2align	6, 0x0
	.amdhsa_kernel _ZN7rocprim17ROCPRIM_400000_NS6detail17trampoline_kernelINS0_14default_configENS1_22reduce_config_selectorIiEEZNS1_11reduce_implILb1ES3_N6thrust23THRUST_200600_302600_NS11hip_rocprim35transform_pair_of_input_iterators_tIiPN3c108BFloat16ESD_NS8_12not_equal_toISC_EEEEPiiNS8_4plusIiEEEE10hipError_tPvRmT1_T2_T3_mT4_P12ihipStream_tbEUlT_E1_NS1_11comp_targetILNS1_3genE4ELNS1_11target_archE910ELNS1_3gpuE8ELNS1_3repE0EEENS1_30default_config_static_selectorELNS0_4arch9wavefront6targetE1EEEvSN_
		.amdhsa_group_segment_fixed_size 56
		.amdhsa_private_segment_fixed_size 0
		.amdhsa_kernarg_size 56
		.amdhsa_user_sgpr_count 6
		.amdhsa_user_sgpr_private_segment_buffer 1
		.amdhsa_user_sgpr_dispatch_ptr 0
		.amdhsa_user_sgpr_queue_ptr 0
		.amdhsa_user_sgpr_kernarg_segment_ptr 1
		.amdhsa_user_sgpr_dispatch_id 0
		.amdhsa_user_sgpr_flat_scratch_init 0
		.amdhsa_user_sgpr_kernarg_preload_length 0
		.amdhsa_user_sgpr_kernarg_preload_offset 0
		.amdhsa_user_sgpr_private_segment_size 0
		.amdhsa_uses_dynamic_stack 0
		.amdhsa_system_sgpr_private_segment_wavefront_offset 0
		.amdhsa_system_sgpr_workgroup_id_x 1
		.amdhsa_system_sgpr_workgroup_id_y 0
		.amdhsa_system_sgpr_workgroup_id_z 0
		.amdhsa_system_sgpr_workgroup_info 0
		.amdhsa_system_vgpr_workitem_id 0
		.amdhsa_next_free_vgpr 60
		.amdhsa_next_free_sgpr 49
		.amdhsa_accum_offset 60
		.amdhsa_reserve_vcc 1
		.amdhsa_reserve_flat_scratch 0
		.amdhsa_float_round_mode_32 0
		.amdhsa_float_round_mode_16_64 0
		.amdhsa_float_denorm_mode_32 3
		.amdhsa_float_denorm_mode_16_64 3
		.amdhsa_dx10_clamp 1
		.amdhsa_ieee_mode 1
		.amdhsa_fp16_overflow 0
		.amdhsa_tg_split 0
		.amdhsa_exception_fp_ieee_invalid_op 0
		.amdhsa_exception_fp_denorm_src 0
		.amdhsa_exception_fp_ieee_div_zero 0
		.amdhsa_exception_fp_ieee_overflow 0
		.amdhsa_exception_fp_ieee_underflow 0
		.amdhsa_exception_fp_ieee_inexact 0
		.amdhsa_exception_int_div_zero 0
	.end_amdhsa_kernel
	.section	.text._ZN7rocprim17ROCPRIM_400000_NS6detail17trampoline_kernelINS0_14default_configENS1_22reduce_config_selectorIiEEZNS1_11reduce_implILb1ES3_N6thrust23THRUST_200600_302600_NS11hip_rocprim35transform_pair_of_input_iterators_tIiPN3c108BFloat16ESD_NS8_12not_equal_toISC_EEEEPiiNS8_4plusIiEEEE10hipError_tPvRmT1_T2_T3_mT4_P12ihipStream_tbEUlT_E1_NS1_11comp_targetILNS1_3genE4ELNS1_11target_archE910ELNS1_3gpuE8ELNS1_3repE0EEENS1_30default_config_static_selectorELNS0_4arch9wavefront6targetE1EEEvSN_,"axG",@progbits,_ZN7rocprim17ROCPRIM_400000_NS6detail17trampoline_kernelINS0_14default_configENS1_22reduce_config_selectorIiEEZNS1_11reduce_implILb1ES3_N6thrust23THRUST_200600_302600_NS11hip_rocprim35transform_pair_of_input_iterators_tIiPN3c108BFloat16ESD_NS8_12not_equal_toISC_EEEEPiiNS8_4plusIiEEEE10hipError_tPvRmT1_T2_T3_mT4_P12ihipStream_tbEUlT_E1_NS1_11comp_targetILNS1_3genE4ELNS1_11target_archE910ELNS1_3gpuE8ELNS1_3repE0EEENS1_30default_config_static_selectorELNS0_4arch9wavefront6targetE1EEEvSN_,comdat
.Lfunc_end2046:
	.size	_ZN7rocprim17ROCPRIM_400000_NS6detail17trampoline_kernelINS0_14default_configENS1_22reduce_config_selectorIiEEZNS1_11reduce_implILb1ES3_N6thrust23THRUST_200600_302600_NS11hip_rocprim35transform_pair_of_input_iterators_tIiPN3c108BFloat16ESD_NS8_12not_equal_toISC_EEEEPiiNS8_4plusIiEEEE10hipError_tPvRmT1_T2_T3_mT4_P12ihipStream_tbEUlT_E1_NS1_11comp_targetILNS1_3genE4ELNS1_11target_archE910ELNS1_3gpuE8ELNS1_3repE0EEENS1_30default_config_static_selectorELNS0_4arch9wavefront6targetE1EEEvSN_, .Lfunc_end2046-_ZN7rocprim17ROCPRIM_400000_NS6detail17trampoline_kernelINS0_14default_configENS1_22reduce_config_selectorIiEEZNS1_11reduce_implILb1ES3_N6thrust23THRUST_200600_302600_NS11hip_rocprim35transform_pair_of_input_iterators_tIiPN3c108BFloat16ESD_NS8_12not_equal_toISC_EEEEPiiNS8_4plusIiEEEE10hipError_tPvRmT1_T2_T3_mT4_P12ihipStream_tbEUlT_E1_NS1_11comp_targetILNS1_3genE4ELNS1_11target_archE910ELNS1_3gpuE8ELNS1_3repE0EEENS1_30default_config_static_selectorELNS0_4arch9wavefront6targetE1EEEvSN_
                                        ; -- End function
	.section	.AMDGPU.csdata,"",@progbits
; Kernel info:
; codeLenInByte = 12552
; NumSgprs: 53
; NumVgprs: 60
; NumAgprs: 0
; TotalNumVgprs: 60
; ScratchSize: 0
; MemoryBound: 0
; FloatMode: 240
; IeeeMode: 1
; LDSByteSize: 56 bytes/workgroup (compile time only)
; SGPRBlocks: 6
; VGPRBlocks: 7
; NumSGPRsForWavesPerEU: 53
; NumVGPRsForWavesPerEU: 60
; AccumOffset: 60
; Occupancy: 8
; WaveLimiterHint : 0
; COMPUTE_PGM_RSRC2:SCRATCH_EN: 0
; COMPUTE_PGM_RSRC2:USER_SGPR: 6
; COMPUTE_PGM_RSRC2:TRAP_HANDLER: 0
; COMPUTE_PGM_RSRC2:TGID_X_EN: 1
; COMPUTE_PGM_RSRC2:TGID_Y_EN: 0
; COMPUTE_PGM_RSRC2:TGID_Z_EN: 0
; COMPUTE_PGM_RSRC2:TIDIG_COMP_CNT: 0
; COMPUTE_PGM_RSRC3_GFX90A:ACCUM_OFFSET: 14
; COMPUTE_PGM_RSRC3_GFX90A:TG_SPLIT: 0
	.section	.text._ZN7rocprim17ROCPRIM_400000_NS6detail17trampoline_kernelINS0_14default_configENS1_22reduce_config_selectorIiEEZNS1_11reduce_implILb1ES3_N6thrust23THRUST_200600_302600_NS11hip_rocprim35transform_pair_of_input_iterators_tIiPN3c108BFloat16ESD_NS8_12not_equal_toISC_EEEEPiiNS8_4plusIiEEEE10hipError_tPvRmT1_T2_T3_mT4_P12ihipStream_tbEUlT_E1_NS1_11comp_targetILNS1_3genE3ELNS1_11target_archE908ELNS1_3gpuE7ELNS1_3repE0EEENS1_30default_config_static_selectorELNS0_4arch9wavefront6targetE1EEEvSN_,"axG",@progbits,_ZN7rocprim17ROCPRIM_400000_NS6detail17trampoline_kernelINS0_14default_configENS1_22reduce_config_selectorIiEEZNS1_11reduce_implILb1ES3_N6thrust23THRUST_200600_302600_NS11hip_rocprim35transform_pair_of_input_iterators_tIiPN3c108BFloat16ESD_NS8_12not_equal_toISC_EEEEPiiNS8_4plusIiEEEE10hipError_tPvRmT1_T2_T3_mT4_P12ihipStream_tbEUlT_E1_NS1_11comp_targetILNS1_3genE3ELNS1_11target_archE908ELNS1_3gpuE7ELNS1_3repE0EEENS1_30default_config_static_selectorELNS0_4arch9wavefront6targetE1EEEvSN_,comdat
	.protected	_ZN7rocprim17ROCPRIM_400000_NS6detail17trampoline_kernelINS0_14default_configENS1_22reduce_config_selectorIiEEZNS1_11reduce_implILb1ES3_N6thrust23THRUST_200600_302600_NS11hip_rocprim35transform_pair_of_input_iterators_tIiPN3c108BFloat16ESD_NS8_12not_equal_toISC_EEEEPiiNS8_4plusIiEEEE10hipError_tPvRmT1_T2_T3_mT4_P12ihipStream_tbEUlT_E1_NS1_11comp_targetILNS1_3genE3ELNS1_11target_archE908ELNS1_3gpuE7ELNS1_3repE0EEENS1_30default_config_static_selectorELNS0_4arch9wavefront6targetE1EEEvSN_ ; -- Begin function _ZN7rocprim17ROCPRIM_400000_NS6detail17trampoline_kernelINS0_14default_configENS1_22reduce_config_selectorIiEEZNS1_11reduce_implILb1ES3_N6thrust23THRUST_200600_302600_NS11hip_rocprim35transform_pair_of_input_iterators_tIiPN3c108BFloat16ESD_NS8_12not_equal_toISC_EEEEPiiNS8_4plusIiEEEE10hipError_tPvRmT1_T2_T3_mT4_P12ihipStream_tbEUlT_E1_NS1_11comp_targetILNS1_3genE3ELNS1_11target_archE908ELNS1_3gpuE7ELNS1_3repE0EEENS1_30default_config_static_selectorELNS0_4arch9wavefront6targetE1EEEvSN_
	.globl	_ZN7rocprim17ROCPRIM_400000_NS6detail17trampoline_kernelINS0_14default_configENS1_22reduce_config_selectorIiEEZNS1_11reduce_implILb1ES3_N6thrust23THRUST_200600_302600_NS11hip_rocprim35transform_pair_of_input_iterators_tIiPN3c108BFloat16ESD_NS8_12not_equal_toISC_EEEEPiiNS8_4plusIiEEEE10hipError_tPvRmT1_T2_T3_mT4_P12ihipStream_tbEUlT_E1_NS1_11comp_targetILNS1_3genE3ELNS1_11target_archE908ELNS1_3gpuE7ELNS1_3repE0EEENS1_30default_config_static_selectorELNS0_4arch9wavefront6targetE1EEEvSN_
	.p2align	8
	.type	_ZN7rocprim17ROCPRIM_400000_NS6detail17trampoline_kernelINS0_14default_configENS1_22reduce_config_selectorIiEEZNS1_11reduce_implILb1ES3_N6thrust23THRUST_200600_302600_NS11hip_rocprim35transform_pair_of_input_iterators_tIiPN3c108BFloat16ESD_NS8_12not_equal_toISC_EEEEPiiNS8_4plusIiEEEE10hipError_tPvRmT1_T2_T3_mT4_P12ihipStream_tbEUlT_E1_NS1_11comp_targetILNS1_3genE3ELNS1_11target_archE908ELNS1_3gpuE7ELNS1_3repE0EEENS1_30default_config_static_selectorELNS0_4arch9wavefront6targetE1EEEvSN_,@function
_ZN7rocprim17ROCPRIM_400000_NS6detail17trampoline_kernelINS0_14default_configENS1_22reduce_config_selectorIiEEZNS1_11reduce_implILb1ES3_N6thrust23THRUST_200600_302600_NS11hip_rocprim35transform_pair_of_input_iterators_tIiPN3c108BFloat16ESD_NS8_12not_equal_toISC_EEEEPiiNS8_4plusIiEEEE10hipError_tPvRmT1_T2_T3_mT4_P12ihipStream_tbEUlT_E1_NS1_11comp_targetILNS1_3genE3ELNS1_11target_archE908ELNS1_3gpuE7ELNS1_3repE0EEENS1_30default_config_static_selectorELNS0_4arch9wavefront6targetE1EEEvSN_: ; @_ZN7rocprim17ROCPRIM_400000_NS6detail17trampoline_kernelINS0_14default_configENS1_22reduce_config_selectorIiEEZNS1_11reduce_implILb1ES3_N6thrust23THRUST_200600_302600_NS11hip_rocprim35transform_pair_of_input_iterators_tIiPN3c108BFloat16ESD_NS8_12not_equal_toISC_EEEEPiiNS8_4plusIiEEEE10hipError_tPvRmT1_T2_T3_mT4_P12ihipStream_tbEUlT_E1_NS1_11comp_targetILNS1_3genE3ELNS1_11target_archE908ELNS1_3gpuE7ELNS1_3repE0EEENS1_30default_config_static_selectorELNS0_4arch9wavefront6targetE1EEEvSN_
; %bb.0:
	.section	.rodata,"a",@progbits
	.p2align	6, 0x0
	.amdhsa_kernel _ZN7rocprim17ROCPRIM_400000_NS6detail17trampoline_kernelINS0_14default_configENS1_22reduce_config_selectorIiEEZNS1_11reduce_implILb1ES3_N6thrust23THRUST_200600_302600_NS11hip_rocprim35transform_pair_of_input_iterators_tIiPN3c108BFloat16ESD_NS8_12not_equal_toISC_EEEEPiiNS8_4plusIiEEEE10hipError_tPvRmT1_T2_T3_mT4_P12ihipStream_tbEUlT_E1_NS1_11comp_targetILNS1_3genE3ELNS1_11target_archE908ELNS1_3gpuE7ELNS1_3repE0EEENS1_30default_config_static_selectorELNS0_4arch9wavefront6targetE1EEEvSN_
		.amdhsa_group_segment_fixed_size 0
		.amdhsa_private_segment_fixed_size 0
		.amdhsa_kernarg_size 56
		.amdhsa_user_sgpr_count 6
		.amdhsa_user_sgpr_private_segment_buffer 1
		.amdhsa_user_sgpr_dispatch_ptr 0
		.amdhsa_user_sgpr_queue_ptr 0
		.amdhsa_user_sgpr_kernarg_segment_ptr 1
		.amdhsa_user_sgpr_dispatch_id 0
		.amdhsa_user_sgpr_flat_scratch_init 0
		.amdhsa_user_sgpr_kernarg_preload_length 0
		.amdhsa_user_sgpr_kernarg_preload_offset 0
		.amdhsa_user_sgpr_private_segment_size 0
		.amdhsa_uses_dynamic_stack 0
		.amdhsa_system_sgpr_private_segment_wavefront_offset 0
		.amdhsa_system_sgpr_workgroup_id_x 1
		.amdhsa_system_sgpr_workgroup_id_y 0
		.amdhsa_system_sgpr_workgroup_id_z 0
		.amdhsa_system_sgpr_workgroup_info 0
		.amdhsa_system_vgpr_workitem_id 0
		.amdhsa_next_free_vgpr 1
		.amdhsa_next_free_sgpr 0
		.amdhsa_accum_offset 4
		.amdhsa_reserve_vcc 0
		.amdhsa_reserve_flat_scratch 0
		.amdhsa_float_round_mode_32 0
		.amdhsa_float_round_mode_16_64 0
		.amdhsa_float_denorm_mode_32 3
		.amdhsa_float_denorm_mode_16_64 3
		.amdhsa_dx10_clamp 1
		.amdhsa_ieee_mode 1
		.amdhsa_fp16_overflow 0
		.amdhsa_tg_split 0
		.amdhsa_exception_fp_ieee_invalid_op 0
		.amdhsa_exception_fp_denorm_src 0
		.amdhsa_exception_fp_ieee_div_zero 0
		.amdhsa_exception_fp_ieee_overflow 0
		.amdhsa_exception_fp_ieee_underflow 0
		.amdhsa_exception_fp_ieee_inexact 0
		.amdhsa_exception_int_div_zero 0
	.end_amdhsa_kernel
	.section	.text._ZN7rocprim17ROCPRIM_400000_NS6detail17trampoline_kernelINS0_14default_configENS1_22reduce_config_selectorIiEEZNS1_11reduce_implILb1ES3_N6thrust23THRUST_200600_302600_NS11hip_rocprim35transform_pair_of_input_iterators_tIiPN3c108BFloat16ESD_NS8_12not_equal_toISC_EEEEPiiNS8_4plusIiEEEE10hipError_tPvRmT1_T2_T3_mT4_P12ihipStream_tbEUlT_E1_NS1_11comp_targetILNS1_3genE3ELNS1_11target_archE908ELNS1_3gpuE7ELNS1_3repE0EEENS1_30default_config_static_selectorELNS0_4arch9wavefront6targetE1EEEvSN_,"axG",@progbits,_ZN7rocprim17ROCPRIM_400000_NS6detail17trampoline_kernelINS0_14default_configENS1_22reduce_config_selectorIiEEZNS1_11reduce_implILb1ES3_N6thrust23THRUST_200600_302600_NS11hip_rocprim35transform_pair_of_input_iterators_tIiPN3c108BFloat16ESD_NS8_12not_equal_toISC_EEEEPiiNS8_4plusIiEEEE10hipError_tPvRmT1_T2_T3_mT4_P12ihipStream_tbEUlT_E1_NS1_11comp_targetILNS1_3genE3ELNS1_11target_archE908ELNS1_3gpuE7ELNS1_3repE0EEENS1_30default_config_static_selectorELNS0_4arch9wavefront6targetE1EEEvSN_,comdat
.Lfunc_end2047:
	.size	_ZN7rocprim17ROCPRIM_400000_NS6detail17trampoline_kernelINS0_14default_configENS1_22reduce_config_selectorIiEEZNS1_11reduce_implILb1ES3_N6thrust23THRUST_200600_302600_NS11hip_rocprim35transform_pair_of_input_iterators_tIiPN3c108BFloat16ESD_NS8_12not_equal_toISC_EEEEPiiNS8_4plusIiEEEE10hipError_tPvRmT1_T2_T3_mT4_P12ihipStream_tbEUlT_E1_NS1_11comp_targetILNS1_3genE3ELNS1_11target_archE908ELNS1_3gpuE7ELNS1_3repE0EEENS1_30default_config_static_selectorELNS0_4arch9wavefront6targetE1EEEvSN_, .Lfunc_end2047-_ZN7rocprim17ROCPRIM_400000_NS6detail17trampoline_kernelINS0_14default_configENS1_22reduce_config_selectorIiEEZNS1_11reduce_implILb1ES3_N6thrust23THRUST_200600_302600_NS11hip_rocprim35transform_pair_of_input_iterators_tIiPN3c108BFloat16ESD_NS8_12not_equal_toISC_EEEEPiiNS8_4plusIiEEEE10hipError_tPvRmT1_T2_T3_mT4_P12ihipStream_tbEUlT_E1_NS1_11comp_targetILNS1_3genE3ELNS1_11target_archE908ELNS1_3gpuE7ELNS1_3repE0EEENS1_30default_config_static_selectorELNS0_4arch9wavefront6targetE1EEEvSN_
                                        ; -- End function
	.section	.AMDGPU.csdata,"",@progbits
; Kernel info:
; codeLenInByte = 0
; NumSgprs: 4
; NumVgprs: 0
; NumAgprs: 0
; TotalNumVgprs: 0
; ScratchSize: 0
; MemoryBound: 0
; FloatMode: 240
; IeeeMode: 1
; LDSByteSize: 0 bytes/workgroup (compile time only)
; SGPRBlocks: 0
; VGPRBlocks: 0
; NumSGPRsForWavesPerEU: 4
; NumVGPRsForWavesPerEU: 1
; AccumOffset: 4
; Occupancy: 8
; WaveLimiterHint : 0
; COMPUTE_PGM_RSRC2:SCRATCH_EN: 0
; COMPUTE_PGM_RSRC2:USER_SGPR: 6
; COMPUTE_PGM_RSRC2:TRAP_HANDLER: 0
; COMPUTE_PGM_RSRC2:TGID_X_EN: 1
; COMPUTE_PGM_RSRC2:TGID_Y_EN: 0
; COMPUTE_PGM_RSRC2:TGID_Z_EN: 0
; COMPUTE_PGM_RSRC2:TIDIG_COMP_CNT: 0
; COMPUTE_PGM_RSRC3_GFX90A:ACCUM_OFFSET: 0
; COMPUTE_PGM_RSRC3_GFX90A:TG_SPLIT: 0
	.section	.text._ZN7rocprim17ROCPRIM_400000_NS6detail17trampoline_kernelINS0_14default_configENS1_22reduce_config_selectorIiEEZNS1_11reduce_implILb1ES3_N6thrust23THRUST_200600_302600_NS11hip_rocprim35transform_pair_of_input_iterators_tIiPN3c108BFloat16ESD_NS8_12not_equal_toISC_EEEEPiiNS8_4plusIiEEEE10hipError_tPvRmT1_T2_T3_mT4_P12ihipStream_tbEUlT_E1_NS1_11comp_targetILNS1_3genE2ELNS1_11target_archE906ELNS1_3gpuE6ELNS1_3repE0EEENS1_30default_config_static_selectorELNS0_4arch9wavefront6targetE1EEEvSN_,"axG",@progbits,_ZN7rocprim17ROCPRIM_400000_NS6detail17trampoline_kernelINS0_14default_configENS1_22reduce_config_selectorIiEEZNS1_11reduce_implILb1ES3_N6thrust23THRUST_200600_302600_NS11hip_rocprim35transform_pair_of_input_iterators_tIiPN3c108BFloat16ESD_NS8_12not_equal_toISC_EEEEPiiNS8_4plusIiEEEE10hipError_tPvRmT1_T2_T3_mT4_P12ihipStream_tbEUlT_E1_NS1_11comp_targetILNS1_3genE2ELNS1_11target_archE906ELNS1_3gpuE6ELNS1_3repE0EEENS1_30default_config_static_selectorELNS0_4arch9wavefront6targetE1EEEvSN_,comdat
	.protected	_ZN7rocprim17ROCPRIM_400000_NS6detail17trampoline_kernelINS0_14default_configENS1_22reduce_config_selectorIiEEZNS1_11reduce_implILb1ES3_N6thrust23THRUST_200600_302600_NS11hip_rocprim35transform_pair_of_input_iterators_tIiPN3c108BFloat16ESD_NS8_12not_equal_toISC_EEEEPiiNS8_4plusIiEEEE10hipError_tPvRmT1_T2_T3_mT4_P12ihipStream_tbEUlT_E1_NS1_11comp_targetILNS1_3genE2ELNS1_11target_archE906ELNS1_3gpuE6ELNS1_3repE0EEENS1_30default_config_static_selectorELNS0_4arch9wavefront6targetE1EEEvSN_ ; -- Begin function _ZN7rocprim17ROCPRIM_400000_NS6detail17trampoline_kernelINS0_14default_configENS1_22reduce_config_selectorIiEEZNS1_11reduce_implILb1ES3_N6thrust23THRUST_200600_302600_NS11hip_rocprim35transform_pair_of_input_iterators_tIiPN3c108BFloat16ESD_NS8_12not_equal_toISC_EEEEPiiNS8_4plusIiEEEE10hipError_tPvRmT1_T2_T3_mT4_P12ihipStream_tbEUlT_E1_NS1_11comp_targetILNS1_3genE2ELNS1_11target_archE906ELNS1_3gpuE6ELNS1_3repE0EEENS1_30default_config_static_selectorELNS0_4arch9wavefront6targetE1EEEvSN_
	.globl	_ZN7rocprim17ROCPRIM_400000_NS6detail17trampoline_kernelINS0_14default_configENS1_22reduce_config_selectorIiEEZNS1_11reduce_implILb1ES3_N6thrust23THRUST_200600_302600_NS11hip_rocprim35transform_pair_of_input_iterators_tIiPN3c108BFloat16ESD_NS8_12not_equal_toISC_EEEEPiiNS8_4plusIiEEEE10hipError_tPvRmT1_T2_T3_mT4_P12ihipStream_tbEUlT_E1_NS1_11comp_targetILNS1_3genE2ELNS1_11target_archE906ELNS1_3gpuE6ELNS1_3repE0EEENS1_30default_config_static_selectorELNS0_4arch9wavefront6targetE1EEEvSN_
	.p2align	8
	.type	_ZN7rocprim17ROCPRIM_400000_NS6detail17trampoline_kernelINS0_14default_configENS1_22reduce_config_selectorIiEEZNS1_11reduce_implILb1ES3_N6thrust23THRUST_200600_302600_NS11hip_rocprim35transform_pair_of_input_iterators_tIiPN3c108BFloat16ESD_NS8_12not_equal_toISC_EEEEPiiNS8_4plusIiEEEE10hipError_tPvRmT1_T2_T3_mT4_P12ihipStream_tbEUlT_E1_NS1_11comp_targetILNS1_3genE2ELNS1_11target_archE906ELNS1_3gpuE6ELNS1_3repE0EEENS1_30default_config_static_selectorELNS0_4arch9wavefront6targetE1EEEvSN_,@function
_ZN7rocprim17ROCPRIM_400000_NS6detail17trampoline_kernelINS0_14default_configENS1_22reduce_config_selectorIiEEZNS1_11reduce_implILb1ES3_N6thrust23THRUST_200600_302600_NS11hip_rocprim35transform_pair_of_input_iterators_tIiPN3c108BFloat16ESD_NS8_12not_equal_toISC_EEEEPiiNS8_4plusIiEEEE10hipError_tPvRmT1_T2_T3_mT4_P12ihipStream_tbEUlT_E1_NS1_11comp_targetILNS1_3genE2ELNS1_11target_archE906ELNS1_3gpuE6ELNS1_3repE0EEENS1_30default_config_static_selectorELNS0_4arch9wavefront6targetE1EEEvSN_: ; @_ZN7rocprim17ROCPRIM_400000_NS6detail17trampoline_kernelINS0_14default_configENS1_22reduce_config_selectorIiEEZNS1_11reduce_implILb1ES3_N6thrust23THRUST_200600_302600_NS11hip_rocprim35transform_pair_of_input_iterators_tIiPN3c108BFloat16ESD_NS8_12not_equal_toISC_EEEEPiiNS8_4plusIiEEEE10hipError_tPvRmT1_T2_T3_mT4_P12ihipStream_tbEUlT_E1_NS1_11comp_targetILNS1_3genE2ELNS1_11target_archE906ELNS1_3gpuE6ELNS1_3repE0EEENS1_30default_config_static_selectorELNS0_4arch9wavefront6targetE1EEEvSN_
; %bb.0:
	.section	.rodata,"a",@progbits
	.p2align	6, 0x0
	.amdhsa_kernel _ZN7rocprim17ROCPRIM_400000_NS6detail17trampoline_kernelINS0_14default_configENS1_22reduce_config_selectorIiEEZNS1_11reduce_implILb1ES3_N6thrust23THRUST_200600_302600_NS11hip_rocprim35transform_pair_of_input_iterators_tIiPN3c108BFloat16ESD_NS8_12not_equal_toISC_EEEEPiiNS8_4plusIiEEEE10hipError_tPvRmT1_T2_T3_mT4_P12ihipStream_tbEUlT_E1_NS1_11comp_targetILNS1_3genE2ELNS1_11target_archE906ELNS1_3gpuE6ELNS1_3repE0EEENS1_30default_config_static_selectorELNS0_4arch9wavefront6targetE1EEEvSN_
		.amdhsa_group_segment_fixed_size 0
		.amdhsa_private_segment_fixed_size 0
		.amdhsa_kernarg_size 56
		.amdhsa_user_sgpr_count 6
		.amdhsa_user_sgpr_private_segment_buffer 1
		.amdhsa_user_sgpr_dispatch_ptr 0
		.amdhsa_user_sgpr_queue_ptr 0
		.amdhsa_user_sgpr_kernarg_segment_ptr 1
		.amdhsa_user_sgpr_dispatch_id 0
		.amdhsa_user_sgpr_flat_scratch_init 0
		.amdhsa_user_sgpr_kernarg_preload_length 0
		.amdhsa_user_sgpr_kernarg_preload_offset 0
		.amdhsa_user_sgpr_private_segment_size 0
		.amdhsa_uses_dynamic_stack 0
		.amdhsa_system_sgpr_private_segment_wavefront_offset 0
		.amdhsa_system_sgpr_workgroup_id_x 1
		.amdhsa_system_sgpr_workgroup_id_y 0
		.amdhsa_system_sgpr_workgroup_id_z 0
		.amdhsa_system_sgpr_workgroup_info 0
		.amdhsa_system_vgpr_workitem_id 0
		.amdhsa_next_free_vgpr 1
		.amdhsa_next_free_sgpr 0
		.amdhsa_accum_offset 4
		.amdhsa_reserve_vcc 0
		.amdhsa_reserve_flat_scratch 0
		.amdhsa_float_round_mode_32 0
		.amdhsa_float_round_mode_16_64 0
		.amdhsa_float_denorm_mode_32 3
		.amdhsa_float_denorm_mode_16_64 3
		.amdhsa_dx10_clamp 1
		.amdhsa_ieee_mode 1
		.amdhsa_fp16_overflow 0
		.amdhsa_tg_split 0
		.amdhsa_exception_fp_ieee_invalid_op 0
		.amdhsa_exception_fp_denorm_src 0
		.amdhsa_exception_fp_ieee_div_zero 0
		.amdhsa_exception_fp_ieee_overflow 0
		.amdhsa_exception_fp_ieee_underflow 0
		.amdhsa_exception_fp_ieee_inexact 0
		.amdhsa_exception_int_div_zero 0
	.end_amdhsa_kernel
	.section	.text._ZN7rocprim17ROCPRIM_400000_NS6detail17trampoline_kernelINS0_14default_configENS1_22reduce_config_selectorIiEEZNS1_11reduce_implILb1ES3_N6thrust23THRUST_200600_302600_NS11hip_rocprim35transform_pair_of_input_iterators_tIiPN3c108BFloat16ESD_NS8_12not_equal_toISC_EEEEPiiNS8_4plusIiEEEE10hipError_tPvRmT1_T2_T3_mT4_P12ihipStream_tbEUlT_E1_NS1_11comp_targetILNS1_3genE2ELNS1_11target_archE906ELNS1_3gpuE6ELNS1_3repE0EEENS1_30default_config_static_selectorELNS0_4arch9wavefront6targetE1EEEvSN_,"axG",@progbits,_ZN7rocprim17ROCPRIM_400000_NS6detail17trampoline_kernelINS0_14default_configENS1_22reduce_config_selectorIiEEZNS1_11reduce_implILb1ES3_N6thrust23THRUST_200600_302600_NS11hip_rocprim35transform_pair_of_input_iterators_tIiPN3c108BFloat16ESD_NS8_12not_equal_toISC_EEEEPiiNS8_4plusIiEEEE10hipError_tPvRmT1_T2_T3_mT4_P12ihipStream_tbEUlT_E1_NS1_11comp_targetILNS1_3genE2ELNS1_11target_archE906ELNS1_3gpuE6ELNS1_3repE0EEENS1_30default_config_static_selectorELNS0_4arch9wavefront6targetE1EEEvSN_,comdat
.Lfunc_end2048:
	.size	_ZN7rocprim17ROCPRIM_400000_NS6detail17trampoline_kernelINS0_14default_configENS1_22reduce_config_selectorIiEEZNS1_11reduce_implILb1ES3_N6thrust23THRUST_200600_302600_NS11hip_rocprim35transform_pair_of_input_iterators_tIiPN3c108BFloat16ESD_NS8_12not_equal_toISC_EEEEPiiNS8_4plusIiEEEE10hipError_tPvRmT1_T2_T3_mT4_P12ihipStream_tbEUlT_E1_NS1_11comp_targetILNS1_3genE2ELNS1_11target_archE906ELNS1_3gpuE6ELNS1_3repE0EEENS1_30default_config_static_selectorELNS0_4arch9wavefront6targetE1EEEvSN_, .Lfunc_end2048-_ZN7rocprim17ROCPRIM_400000_NS6detail17trampoline_kernelINS0_14default_configENS1_22reduce_config_selectorIiEEZNS1_11reduce_implILb1ES3_N6thrust23THRUST_200600_302600_NS11hip_rocprim35transform_pair_of_input_iterators_tIiPN3c108BFloat16ESD_NS8_12not_equal_toISC_EEEEPiiNS8_4plusIiEEEE10hipError_tPvRmT1_T2_T3_mT4_P12ihipStream_tbEUlT_E1_NS1_11comp_targetILNS1_3genE2ELNS1_11target_archE906ELNS1_3gpuE6ELNS1_3repE0EEENS1_30default_config_static_selectorELNS0_4arch9wavefront6targetE1EEEvSN_
                                        ; -- End function
	.section	.AMDGPU.csdata,"",@progbits
; Kernel info:
; codeLenInByte = 0
; NumSgprs: 4
; NumVgprs: 0
; NumAgprs: 0
; TotalNumVgprs: 0
; ScratchSize: 0
; MemoryBound: 0
; FloatMode: 240
; IeeeMode: 1
; LDSByteSize: 0 bytes/workgroup (compile time only)
; SGPRBlocks: 0
; VGPRBlocks: 0
; NumSGPRsForWavesPerEU: 4
; NumVGPRsForWavesPerEU: 1
; AccumOffset: 4
; Occupancy: 8
; WaveLimiterHint : 0
; COMPUTE_PGM_RSRC2:SCRATCH_EN: 0
; COMPUTE_PGM_RSRC2:USER_SGPR: 6
; COMPUTE_PGM_RSRC2:TRAP_HANDLER: 0
; COMPUTE_PGM_RSRC2:TGID_X_EN: 1
; COMPUTE_PGM_RSRC2:TGID_Y_EN: 0
; COMPUTE_PGM_RSRC2:TGID_Z_EN: 0
; COMPUTE_PGM_RSRC2:TIDIG_COMP_CNT: 0
; COMPUTE_PGM_RSRC3_GFX90A:ACCUM_OFFSET: 0
; COMPUTE_PGM_RSRC3_GFX90A:TG_SPLIT: 0
	.section	.text._ZN7rocprim17ROCPRIM_400000_NS6detail17trampoline_kernelINS0_14default_configENS1_22reduce_config_selectorIiEEZNS1_11reduce_implILb1ES3_N6thrust23THRUST_200600_302600_NS11hip_rocprim35transform_pair_of_input_iterators_tIiPN3c108BFloat16ESD_NS8_12not_equal_toISC_EEEEPiiNS8_4plusIiEEEE10hipError_tPvRmT1_T2_T3_mT4_P12ihipStream_tbEUlT_E1_NS1_11comp_targetILNS1_3genE10ELNS1_11target_archE1201ELNS1_3gpuE5ELNS1_3repE0EEENS1_30default_config_static_selectorELNS0_4arch9wavefront6targetE1EEEvSN_,"axG",@progbits,_ZN7rocprim17ROCPRIM_400000_NS6detail17trampoline_kernelINS0_14default_configENS1_22reduce_config_selectorIiEEZNS1_11reduce_implILb1ES3_N6thrust23THRUST_200600_302600_NS11hip_rocprim35transform_pair_of_input_iterators_tIiPN3c108BFloat16ESD_NS8_12not_equal_toISC_EEEEPiiNS8_4plusIiEEEE10hipError_tPvRmT1_T2_T3_mT4_P12ihipStream_tbEUlT_E1_NS1_11comp_targetILNS1_3genE10ELNS1_11target_archE1201ELNS1_3gpuE5ELNS1_3repE0EEENS1_30default_config_static_selectorELNS0_4arch9wavefront6targetE1EEEvSN_,comdat
	.protected	_ZN7rocprim17ROCPRIM_400000_NS6detail17trampoline_kernelINS0_14default_configENS1_22reduce_config_selectorIiEEZNS1_11reduce_implILb1ES3_N6thrust23THRUST_200600_302600_NS11hip_rocprim35transform_pair_of_input_iterators_tIiPN3c108BFloat16ESD_NS8_12not_equal_toISC_EEEEPiiNS8_4plusIiEEEE10hipError_tPvRmT1_T2_T3_mT4_P12ihipStream_tbEUlT_E1_NS1_11comp_targetILNS1_3genE10ELNS1_11target_archE1201ELNS1_3gpuE5ELNS1_3repE0EEENS1_30default_config_static_selectorELNS0_4arch9wavefront6targetE1EEEvSN_ ; -- Begin function _ZN7rocprim17ROCPRIM_400000_NS6detail17trampoline_kernelINS0_14default_configENS1_22reduce_config_selectorIiEEZNS1_11reduce_implILb1ES3_N6thrust23THRUST_200600_302600_NS11hip_rocprim35transform_pair_of_input_iterators_tIiPN3c108BFloat16ESD_NS8_12not_equal_toISC_EEEEPiiNS8_4plusIiEEEE10hipError_tPvRmT1_T2_T3_mT4_P12ihipStream_tbEUlT_E1_NS1_11comp_targetILNS1_3genE10ELNS1_11target_archE1201ELNS1_3gpuE5ELNS1_3repE0EEENS1_30default_config_static_selectorELNS0_4arch9wavefront6targetE1EEEvSN_
	.globl	_ZN7rocprim17ROCPRIM_400000_NS6detail17trampoline_kernelINS0_14default_configENS1_22reduce_config_selectorIiEEZNS1_11reduce_implILb1ES3_N6thrust23THRUST_200600_302600_NS11hip_rocprim35transform_pair_of_input_iterators_tIiPN3c108BFloat16ESD_NS8_12not_equal_toISC_EEEEPiiNS8_4plusIiEEEE10hipError_tPvRmT1_T2_T3_mT4_P12ihipStream_tbEUlT_E1_NS1_11comp_targetILNS1_3genE10ELNS1_11target_archE1201ELNS1_3gpuE5ELNS1_3repE0EEENS1_30default_config_static_selectorELNS0_4arch9wavefront6targetE1EEEvSN_
	.p2align	8
	.type	_ZN7rocprim17ROCPRIM_400000_NS6detail17trampoline_kernelINS0_14default_configENS1_22reduce_config_selectorIiEEZNS1_11reduce_implILb1ES3_N6thrust23THRUST_200600_302600_NS11hip_rocprim35transform_pair_of_input_iterators_tIiPN3c108BFloat16ESD_NS8_12not_equal_toISC_EEEEPiiNS8_4plusIiEEEE10hipError_tPvRmT1_T2_T3_mT4_P12ihipStream_tbEUlT_E1_NS1_11comp_targetILNS1_3genE10ELNS1_11target_archE1201ELNS1_3gpuE5ELNS1_3repE0EEENS1_30default_config_static_selectorELNS0_4arch9wavefront6targetE1EEEvSN_,@function
_ZN7rocprim17ROCPRIM_400000_NS6detail17trampoline_kernelINS0_14default_configENS1_22reduce_config_selectorIiEEZNS1_11reduce_implILb1ES3_N6thrust23THRUST_200600_302600_NS11hip_rocprim35transform_pair_of_input_iterators_tIiPN3c108BFloat16ESD_NS8_12not_equal_toISC_EEEEPiiNS8_4plusIiEEEE10hipError_tPvRmT1_T2_T3_mT4_P12ihipStream_tbEUlT_E1_NS1_11comp_targetILNS1_3genE10ELNS1_11target_archE1201ELNS1_3gpuE5ELNS1_3repE0EEENS1_30default_config_static_selectorELNS0_4arch9wavefront6targetE1EEEvSN_: ; @_ZN7rocprim17ROCPRIM_400000_NS6detail17trampoline_kernelINS0_14default_configENS1_22reduce_config_selectorIiEEZNS1_11reduce_implILb1ES3_N6thrust23THRUST_200600_302600_NS11hip_rocprim35transform_pair_of_input_iterators_tIiPN3c108BFloat16ESD_NS8_12not_equal_toISC_EEEEPiiNS8_4plusIiEEEE10hipError_tPvRmT1_T2_T3_mT4_P12ihipStream_tbEUlT_E1_NS1_11comp_targetILNS1_3genE10ELNS1_11target_archE1201ELNS1_3gpuE5ELNS1_3repE0EEENS1_30default_config_static_selectorELNS0_4arch9wavefront6targetE1EEEvSN_
; %bb.0:
	.section	.rodata,"a",@progbits
	.p2align	6, 0x0
	.amdhsa_kernel _ZN7rocprim17ROCPRIM_400000_NS6detail17trampoline_kernelINS0_14default_configENS1_22reduce_config_selectorIiEEZNS1_11reduce_implILb1ES3_N6thrust23THRUST_200600_302600_NS11hip_rocprim35transform_pair_of_input_iterators_tIiPN3c108BFloat16ESD_NS8_12not_equal_toISC_EEEEPiiNS8_4plusIiEEEE10hipError_tPvRmT1_T2_T3_mT4_P12ihipStream_tbEUlT_E1_NS1_11comp_targetILNS1_3genE10ELNS1_11target_archE1201ELNS1_3gpuE5ELNS1_3repE0EEENS1_30default_config_static_selectorELNS0_4arch9wavefront6targetE1EEEvSN_
		.amdhsa_group_segment_fixed_size 0
		.amdhsa_private_segment_fixed_size 0
		.amdhsa_kernarg_size 56
		.amdhsa_user_sgpr_count 6
		.amdhsa_user_sgpr_private_segment_buffer 1
		.amdhsa_user_sgpr_dispatch_ptr 0
		.amdhsa_user_sgpr_queue_ptr 0
		.amdhsa_user_sgpr_kernarg_segment_ptr 1
		.amdhsa_user_sgpr_dispatch_id 0
		.amdhsa_user_sgpr_flat_scratch_init 0
		.amdhsa_user_sgpr_kernarg_preload_length 0
		.amdhsa_user_sgpr_kernarg_preload_offset 0
		.amdhsa_user_sgpr_private_segment_size 0
		.amdhsa_uses_dynamic_stack 0
		.amdhsa_system_sgpr_private_segment_wavefront_offset 0
		.amdhsa_system_sgpr_workgroup_id_x 1
		.amdhsa_system_sgpr_workgroup_id_y 0
		.amdhsa_system_sgpr_workgroup_id_z 0
		.amdhsa_system_sgpr_workgroup_info 0
		.amdhsa_system_vgpr_workitem_id 0
		.amdhsa_next_free_vgpr 1
		.amdhsa_next_free_sgpr 0
		.amdhsa_accum_offset 4
		.amdhsa_reserve_vcc 0
		.amdhsa_reserve_flat_scratch 0
		.amdhsa_float_round_mode_32 0
		.amdhsa_float_round_mode_16_64 0
		.amdhsa_float_denorm_mode_32 3
		.amdhsa_float_denorm_mode_16_64 3
		.amdhsa_dx10_clamp 1
		.amdhsa_ieee_mode 1
		.amdhsa_fp16_overflow 0
		.amdhsa_tg_split 0
		.amdhsa_exception_fp_ieee_invalid_op 0
		.amdhsa_exception_fp_denorm_src 0
		.amdhsa_exception_fp_ieee_div_zero 0
		.amdhsa_exception_fp_ieee_overflow 0
		.amdhsa_exception_fp_ieee_underflow 0
		.amdhsa_exception_fp_ieee_inexact 0
		.amdhsa_exception_int_div_zero 0
	.end_amdhsa_kernel
	.section	.text._ZN7rocprim17ROCPRIM_400000_NS6detail17trampoline_kernelINS0_14default_configENS1_22reduce_config_selectorIiEEZNS1_11reduce_implILb1ES3_N6thrust23THRUST_200600_302600_NS11hip_rocprim35transform_pair_of_input_iterators_tIiPN3c108BFloat16ESD_NS8_12not_equal_toISC_EEEEPiiNS8_4plusIiEEEE10hipError_tPvRmT1_T2_T3_mT4_P12ihipStream_tbEUlT_E1_NS1_11comp_targetILNS1_3genE10ELNS1_11target_archE1201ELNS1_3gpuE5ELNS1_3repE0EEENS1_30default_config_static_selectorELNS0_4arch9wavefront6targetE1EEEvSN_,"axG",@progbits,_ZN7rocprim17ROCPRIM_400000_NS6detail17trampoline_kernelINS0_14default_configENS1_22reduce_config_selectorIiEEZNS1_11reduce_implILb1ES3_N6thrust23THRUST_200600_302600_NS11hip_rocprim35transform_pair_of_input_iterators_tIiPN3c108BFloat16ESD_NS8_12not_equal_toISC_EEEEPiiNS8_4plusIiEEEE10hipError_tPvRmT1_T2_T3_mT4_P12ihipStream_tbEUlT_E1_NS1_11comp_targetILNS1_3genE10ELNS1_11target_archE1201ELNS1_3gpuE5ELNS1_3repE0EEENS1_30default_config_static_selectorELNS0_4arch9wavefront6targetE1EEEvSN_,comdat
.Lfunc_end2049:
	.size	_ZN7rocprim17ROCPRIM_400000_NS6detail17trampoline_kernelINS0_14default_configENS1_22reduce_config_selectorIiEEZNS1_11reduce_implILb1ES3_N6thrust23THRUST_200600_302600_NS11hip_rocprim35transform_pair_of_input_iterators_tIiPN3c108BFloat16ESD_NS8_12not_equal_toISC_EEEEPiiNS8_4plusIiEEEE10hipError_tPvRmT1_T2_T3_mT4_P12ihipStream_tbEUlT_E1_NS1_11comp_targetILNS1_3genE10ELNS1_11target_archE1201ELNS1_3gpuE5ELNS1_3repE0EEENS1_30default_config_static_selectorELNS0_4arch9wavefront6targetE1EEEvSN_, .Lfunc_end2049-_ZN7rocprim17ROCPRIM_400000_NS6detail17trampoline_kernelINS0_14default_configENS1_22reduce_config_selectorIiEEZNS1_11reduce_implILb1ES3_N6thrust23THRUST_200600_302600_NS11hip_rocprim35transform_pair_of_input_iterators_tIiPN3c108BFloat16ESD_NS8_12not_equal_toISC_EEEEPiiNS8_4plusIiEEEE10hipError_tPvRmT1_T2_T3_mT4_P12ihipStream_tbEUlT_E1_NS1_11comp_targetILNS1_3genE10ELNS1_11target_archE1201ELNS1_3gpuE5ELNS1_3repE0EEENS1_30default_config_static_selectorELNS0_4arch9wavefront6targetE1EEEvSN_
                                        ; -- End function
	.section	.AMDGPU.csdata,"",@progbits
; Kernel info:
; codeLenInByte = 0
; NumSgprs: 4
; NumVgprs: 0
; NumAgprs: 0
; TotalNumVgprs: 0
; ScratchSize: 0
; MemoryBound: 0
; FloatMode: 240
; IeeeMode: 1
; LDSByteSize: 0 bytes/workgroup (compile time only)
; SGPRBlocks: 0
; VGPRBlocks: 0
; NumSGPRsForWavesPerEU: 4
; NumVGPRsForWavesPerEU: 1
; AccumOffset: 4
; Occupancy: 8
; WaveLimiterHint : 0
; COMPUTE_PGM_RSRC2:SCRATCH_EN: 0
; COMPUTE_PGM_RSRC2:USER_SGPR: 6
; COMPUTE_PGM_RSRC2:TRAP_HANDLER: 0
; COMPUTE_PGM_RSRC2:TGID_X_EN: 1
; COMPUTE_PGM_RSRC2:TGID_Y_EN: 0
; COMPUTE_PGM_RSRC2:TGID_Z_EN: 0
; COMPUTE_PGM_RSRC2:TIDIG_COMP_CNT: 0
; COMPUTE_PGM_RSRC3_GFX90A:ACCUM_OFFSET: 0
; COMPUTE_PGM_RSRC3_GFX90A:TG_SPLIT: 0
	.section	.text._ZN7rocprim17ROCPRIM_400000_NS6detail17trampoline_kernelINS0_14default_configENS1_22reduce_config_selectorIiEEZNS1_11reduce_implILb1ES3_N6thrust23THRUST_200600_302600_NS11hip_rocprim35transform_pair_of_input_iterators_tIiPN3c108BFloat16ESD_NS8_12not_equal_toISC_EEEEPiiNS8_4plusIiEEEE10hipError_tPvRmT1_T2_T3_mT4_P12ihipStream_tbEUlT_E1_NS1_11comp_targetILNS1_3genE10ELNS1_11target_archE1200ELNS1_3gpuE4ELNS1_3repE0EEENS1_30default_config_static_selectorELNS0_4arch9wavefront6targetE1EEEvSN_,"axG",@progbits,_ZN7rocprim17ROCPRIM_400000_NS6detail17trampoline_kernelINS0_14default_configENS1_22reduce_config_selectorIiEEZNS1_11reduce_implILb1ES3_N6thrust23THRUST_200600_302600_NS11hip_rocprim35transform_pair_of_input_iterators_tIiPN3c108BFloat16ESD_NS8_12not_equal_toISC_EEEEPiiNS8_4plusIiEEEE10hipError_tPvRmT1_T2_T3_mT4_P12ihipStream_tbEUlT_E1_NS1_11comp_targetILNS1_3genE10ELNS1_11target_archE1200ELNS1_3gpuE4ELNS1_3repE0EEENS1_30default_config_static_selectorELNS0_4arch9wavefront6targetE1EEEvSN_,comdat
	.protected	_ZN7rocprim17ROCPRIM_400000_NS6detail17trampoline_kernelINS0_14default_configENS1_22reduce_config_selectorIiEEZNS1_11reduce_implILb1ES3_N6thrust23THRUST_200600_302600_NS11hip_rocprim35transform_pair_of_input_iterators_tIiPN3c108BFloat16ESD_NS8_12not_equal_toISC_EEEEPiiNS8_4plusIiEEEE10hipError_tPvRmT1_T2_T3_mT4_P12ihipStream_tbEUlT_E1_NS1_11comp_targetILNS1_3genE10ELNS1_11target_archE1200ELNS1_3gpuE4ELNS1_3repE0EEENS1_30default_config_static_selectorELNS0_4arch9wavefront6targetE1EEEvSN_ ; -- Begin function _ZN7rocprim17ROCPRIM_400000_NS6detail17trampoline_kernelINS0_14default_configENS1_22reduce_config_selectorIiEEZNS1_11reduce_implILb1ES3_N6thrust23THRUST_200600_302600_NS11hip_rocprim35transform_pair_of_input_iterators_tIiPN3c108BFloat16ESD_NS8_12not_equal_toISC_EEEEPiiNS8_4plusIiEEEE10hipError_tPvRmT1_T2_T3_mT4_P12ihipStream_tbEUlT_E1_NS1_11comp_targetILNS1_3genE10ELNS1_11target_archE1200ELNS1_3gpuE4ELNS1_3repE0EEENS1_30default_config_static_selectorELNS0_4arch9wavefront6targetE1EEEvSN_
	.globl	_ZN7rocprim17ROCPRIM_400000_NS6detail17trampoline_kernelINS0_14default_configENS1_22reduce_config_selectorIiEEZNS1_11reduce_implILb1ES3_N6thrust23THRUST_200600_302600_NS11hip_rocprim35transform_pair_of_input_iterators_tIiPN3c108BFloat16ESD_NS8_12not_equal_toISC_EEEEPiiNS8_4plusIiEEEE10hipError_tPvRmT1_T2_T3_mT4_P12ihipStream_tbEUlT_E1_NS1_11comp_targetILNS1_3genE10ELNS1_11target_archE1200ELNS1_3gpuE4ELNS1_3repE0EEENS1_30default_config_static_selectorELNS0_4arch9wavefront6targetE1EEEvSN_
	.p2align	8
	.type	_ZN7rocprim17ROCPRIM_400000_NS6detail17trampoline_kernelINS0_14default_configENS1_22reduce_config_selectorIiEEZNS1_11reduce_implILb1ES3_N6thrust23THRUST_200600_302600_NS11hip_rocprim35transform_pair_of_input_iterators_tIiPN3c108BFloat16ESD_NS8_12not_equal_toISC_EEEEPiiNS8_4plusIiEEEE10hipError_tPvRmT1_T2_T3_mT4_P12ihipStream_tbEUlT_E1_NS1_11comp_targetILNS1_3genE10ELNS1_11target_archE1200ELNS1_3gpuE4ELNS1_3repE0EEENS1_30default_config_static_selectorELNS0_4arch9wavefront6targetE1EEEvSN_,@function
_ZN7rocprim17ROCPRIM_400000_NS6detail17trampoline_kernelINS0_14default_configENS1_22reduce_config_selectorIiEEZNS1_11reduce_implILb1ES3_N6thrust23THRUST_200600_302600_NS11hip_rocprim35transform_pair_of_input_iterators_tIiPN3c108BFloat16ESD_NS8_12not_equal_toISC_EEEEPiiNS8_4plusIiEEEE10hipError_tPvRmT1_T2_T3_mT4_P12ihipStream_tbEUlT_E1_NS1_11comp_targetILNS1_3genE10ELNS1_11target_archE1200ELNS1_3gpuE4ELNS1_3repE0EEENS1_30default_config_static_selectorELNS0_4arch9wavefront6targetE1EEEvSN_: ; @_ZN7rocprim17ROCPRIM_400000_NS6detail17trampoline_kernelINS0_14default_configENS1_22reduce_config_selectorIiEEZNS1_11reduce_implILb1ES3_N6thrust23THRUST_200600_302600_NS11hip_rocprim35transform_pair_of_input_iterators_tIiPN3c108BFloat16ESD_NS8_12not_equal_toISC_EEEEPiiNS8_4plusIiEEEE10hipError_tPvRmT1_T2_T3_mT4_P12ihipStream_tbEUlT_E1_NS1_11comp_targetILNS1_3genE10ELNS1_11target_archE1200ELNS1_3gpuE4ELNS1_3repE0EEENS1_30default_config_static_selectorELNS0_4arch9wavefront6targetE1EEEvSN_
; %bb.0:
	.section	.rodata,"a",@progbits
	.p2align	6, 0x0
	.amdhsa_kernel _ZN7rocprim17ROCPRIM_400000_NS6detail17trampoline_kernelINS0_14default_configENS1_22reduce_config_selectorIiEEZNS1_11reduce_implILb1ES3_N6thrust23THRUST_200600_302600_NS11hip_rocprim35transform_pair_of_input_iterators_tIiPN3c108BFloat16ESD_NS8_12not_equal_toISC_EEEEPiiNS8_4plusIiEEEE10hipError_tPvRmT1_T2_T3_mT4_P12ihipStream_tbEUlT_E1_NS1_11comp_targetILNS1_3genE10ELNS1_11target_archE1200ELNS1_3gpuE4ELNS1_3repE0EEENS1_30default_config_static_selectorELNS0_4arch9wavefront6targetE1EEEvSN_
		.amdhsa_group_segment_fixed_size 0
		.amdhsa_private_segment_fixed_size 0
		.amdhsa_kernarg_size 56
		.amdhsa_user_sgpr_count 6
		.amdhsa_user_sgpr_private_segment_buffer 1
		.amdhsa_user_sgpr_dispatch_ptr 0
		.amdhsa_user_sgpr_queue_ptr 0
		.amdhsa_user_sgpr_kernarg_segment_ptr 1
		.amdhsa_user_sgpr_dispatch_id 0
		.amdhsa_user_sgpr_flat_scratch_init 0
		.amdhsa_user_sgpr_kernarg_preload_length 0
		.amdhsa_user_sgpr_kernarg_preload_offset 0
		.amdhsa_user_sgpr_private_segment_size 0
		.amdhsa_uses_dynamic_stack 0
		.amdhsa_system_sgpr_private_segment_wavefront_offset 0
		.amdhsa_system_sgpr_workgroup_id_x 1
		.amdhsa_system_sgpr_workgroup_id_y 0
		.amdhsa_system_sgpr_workgroup_id_z 0
		.amdhsa_system_sgpr_workgroup_info 0
		.amdhsa_system_vgpr_workitem_id 0
		.amdhsa_next_free_vgpr 1
		.amdhsa_next_free_sgpr 0
		.amdhsa_accum_offset 4
		.amdhsa_reserve_vcc 0
		.amdhsa_reserve_flat_scratch 0
		.amdhsa_float_round_mode_32 0
		.amdhsa_float_round_mode_16_64 0
		.amdhsa_float_denorm_mode_32 3
		.amdhsa_float_denorm_mode_16_64 3
		.amdhsa_dx10_clamp 1
		.amdhsa_ieee_mode 1
		.amdhsa_fp16_overflow 0
		.amdhsa_tg_split 0
		.amdhsa_exception_fp_ieee_invalid_op 0
		.amdhsa_exception_fp_denorm_src 0
		.amdhsa_exception_fp_ieee_div_zero 0
		.amdhsa_exception_fp_ieee_overflow 0
		.amdhsa_exception_fp_ieee_underflow 0
		.amdhsa_exception_fp_ieee_inexact 0
		.amdhsa_exception_int_div_zero 0
	.end_amdhsa_kernel
	.section	.text._ZN7rocprim17ROCPRIM_400000_NS6detail17trampoline_kernelINS0_14default_configENS1_22reduce_config_selectorIiEEZNS1_11reduce_implILb1ES3_N6thrust23THRUST_200600_302600_NS11hip_rocprim35transform_pair_of_input_iterators_tIiPN3c108BFloat16ESD_NS8_12not_equal_toISC_EEEEPiiNS8_4plusIiEEEE10hipError_tPvRmT1_T2_T3_mT4_P12ihipStream_tbEUlT_E1_NS1_11comp_targetILNS1_3genE10ELNS1_11target_archE1200ELNS1_3gpuE4ELNS1_3repE0EEENS1_30default_config_static_selectorELNS0_4arch9wavefront6targetE1EEEvSN_,"axG",@progbits,_ZN7rocprim17ROCPRIM_400000_NS6detail17trampoline_kernelINS0_14default_configENS1_22reduce_config_selectorIiEEZNS1_11reduce_implILb1ES3_N6thrust23THRUST_200600_302600_NS11hip_rocprim35transform_pair_of_input_iterators_tIiPN3c108BFloat16ESD_NS8_12not_equal_toISC_EEEEPiiNS8_4plusIiEEEE10hipError_tPvRmT1_T2_T3_mT4_P12ihipStream_tbEUlT_E1_NS1_11comp_targetILNS1_3genE10ELNS1_11target_archE1200ELNS1_3gpuE4ELNS1_3repE0EEENS1_30default_config_static_selectorELNS0_4arch9wavefront6targetE1EEEvSN_,comdat
.Lfunc_end2050:
	.size	_ZN7rocprim17ROCPRIM_400000_NS6detail17trampoline_kernelINS0_14default_configENS1_22reduce_config_selectorIiEEZNS1_11reduce_implILb1ES3_N6thrust23THRUST_200600_302600_NS11hip_rocprim35transform_pair_of_input_iterators_tIiPN3c108BFloat16ESD_NS8_12not_equal_toISC_EEEEPiiNS8_4plusIiEEEE10hipError_tPvRmT1_T2_T3_mT4_P12ihipStream_tbEUlT_E1_NS1_11comp_targetILNS1_3genE10ELNS1_11target_archE1200ELNS1_3gpuE4ELNS1_3repE0EEENS1_30default_config_static_selectorELNS0_4arch9wavefront6targetE1EEEvSN_, .Lfunc_end2050-_ZN7rocprim17ROCPRIM_400000_NS6detail17trampoline_kernelINS0_14default_configENS1_22reduce_config_selectorIiEEZNS1_11reduce_implILb1ES3_N6thrust23THRUST_200600_302600_NS11hip_rocprim35transform_pair_of_input_iterators_tIiPN3c108BFloat16ESD_NS8_12not_equal_toISC_EEEEPiiNS8_4plusIiEEEE10hipError_tPvRmT1_T2_T3_mT4_P12ihipStream_tbEUlT_E1_NS1_11comp_targetILNS1_3genE10ELNS1_11target_archE1200ELNS1_3gpuE4ELNS1_3repE0EEENS1_30default_config_static_selectorELNS0_4arch9wavefront6targetE1EEEvSN_
                                        ; -- End function
	.section	.AMDGPU.csdata,"",@progbits
; Kernel info:
; codeLenInByte = 0
; NumSgprs: 4
; NumVgprs: 0
; NumAgprs: 0
; TotalNumVgprs: 0
; ScratchSize: 0
; MemoryBound: 0
; FloatMode: 240
; IeeeMode: 1
; LDSByteSize: 0 bytes/workgroup (compile time only)
; SGPRBlocks: 0
; VGPRBlocks: 0
; NumSGPRsForWavesPerEU: 4
; NumVGPRsForWavesPerEU: 1
; AccumOffset: 4
; Occupancy: 8
; WaveLimiterHint : 0
; COMPUTE_PGM_RSRC2:SCRATCH_EN: 0
; COMPUTE_PGM_RSRC2:USER_SGPR: 6
; COMPUTE_PGM_RSRC2:TRAP_HANDLER: 0
; COMPUTE_PGM_RSRC2:TGID_X_EN: 1
; COMPUTE_PGM_RSRC2:TGID_Y_EN: 0
; COMPUTE_PGM_RSRC2:TGID_Z_EN: 0
; COMPUTE_PGM_RSRC2:TIDIG_COMP_CNT: 0
; COMPUTE_PGM_RSRC3_GFX90A:ACCUM_OFFSET: 0
; COMPUTE_PGM_RSRC3_GFX90A:TG_SPLIT: 0
	.section	.text._ZN7rocprim17ROCPRIM_400000_NS6detail17trampoline_kernelINS0_14default_configENS1_22reduce_config_selectorIiEEZNS1_11reduce_implILb1ES3_N6thrust23THRUST_200600_302600_NS11hip_rocprim35transform_pair_of_input_iterators_tIiPN3c108BFloat16ESD_NS8_12not_equal_toISC_EEEEPiiNS8_4plusIiEEEE10hipError_tPvRmT1_T2_T3_mT4_P12ihipStream_tbEUlT_E1_NS1_11comp_targetILNS1_3genE9ELNS1_11target_archE1100ELNS1_3gpuE3ELNS1_3repE0EEENS1_30default_config_static_selectorELNS0_4arch9wavefront6targetE1EEEvSN_,"axG",@progbits,_ZN7rocprim17ROCPRIM_400000_NS6detail17trampoline_kernelINS0_14default_configENS1_22reduce_config_selectorIiEEZNS1_11reduce_implILb1ES3_N6thrust23THRUST_200600_302600_NS11hip_rocprim35transform_pair_of_input_iterators_tIiPN3c108BFloat16ESD_NS8_12not_equal_toISC_EEEEPiiNS8_4plusIiEEEE10hipError_tPvRmT1_T2_T3_mT4_P12ihipStream_tbEUlT_E1_NS1_11comp_targetILNS1_3genE9ELNS1_11target_archE1100ELNS1_3gpuE3ELNS1_3repE0EEENS1_30default_config_static_selectorELNS0_4arch9wavefront6targetE1EEEvSN_,comdat
	.protected	_ZN7rocprim17ROCPRIM_400000_NS6detail17trampoline_kernelINS0_14default_configENS1_22reduce_config_selectorIiEEZNS1_11reduce_implILb1ES3_N6thrust23THRUST_200600_302600_NS11hip_rocprim35transform_pair_of_input_iterators_tIiPN3c108BFloat16ESD_NS8_12not_equal_toISC_EEEEPiiNS8_4plusIiEEEE10hipError_tPvRmT1_T2_T3_mT4_P12ihipStream_tbEUlT_E1_NS1_11comp_targetILNS1_3genE9ELNS1_11target_archE1100ELNS1_3gpuE3ELNS1_3repE0EEENS1_30default_config_static_selectorELNS0_4arch9wavefront6targetE1EEEvSN_ ; -- Begin function _ZN7rocprim17ROCPRIM_400000_NS6detail17trampoline_kernelINS0_14default_configENS1_22reduce_config_selectorIiEEZNS1_11reduce_implILb1ES3_N6thrust23THRUST_200600_302600_NS11hip_rocprim35transform_pair_of_input_iterators_tIiPN3c108BFloat16ESD_NS8_12not_equal_toISC_EEEEPiiNS8_4plusIiEEEE10hipError_tPvRmT1_T2_T3_mT4_P12ihipStream_tbEUlT_E1_NS1_11comp_targetILNS1_3genE9ELNS1_11target_archE1100ELNS1_3gpuE3ELNS1_3repE0EEENS1_30default_config_static_selectorELNS0_4arch9wavefront6targetE1EEEvSN_
	.globl	_ZN7rocprim17ROCPRIM_400000_NS6detail17trampoline_kernelINS0_14default_configENS1_22reduce_config_selectorIiEEZNS1_11reduce_implILb1ES3_N6thrust23THRUST_200600_302600_NS11hip_rocprim35transform_pair_of_input_iterators_tIiPN3c108BFloat16ESD_NS8_12not_equal_toISC_EEEEPiiNS8_4plusIiEEEE10hipError_tPvRmT1_T2_T3_mT4_P12ihipStream_tbEUlT_E1_NS1_11comp_targetILNS1_3genE9ELNS1_11target_archE1100ELNS1_3gpuE3ELNS1_3repE0EEENS1_30default_config_static_selectorELNS0_4arch9wavefront6targetE1EEEvSN_
	.p2align	8
	.type	_ZN7rocprim17ROCPRIM_400000_NS6detail17trampoline_kernelINS0_14default_configENS1_22reduce_config_selectorIiEEZNS1_11reduce_implILb1ES3_N6thrust23THRUST_200600_302600_NS11hip_rocprim35transform_pair_of_input_iterators_tIiPN3c108BFloat16ESD_NS8_12not_equal_toISC_EEEEPiiNS8_4plusIiEEEE10hipError_tPvRmT1_T2_T3_mT4_P12ihipStream_tbEUlT_E1_NS1_11comp_targetILNS1_3genE9ELNS1_11target_archE1100ELNS1_3gpuE3ELNS1_3repE0EEENS1_30default_config_static_selectorELNS0_4arch9wavefront6targetE1EEEvSN_,@function
_ZN7rocprim17ROCPRIM_400000_NS6detail17trampoline_kernelINS0_14default_configENS1_22reduce_config_selectorIiEEZNS1_11reduce_implILb1ES3_N6thrust23THRUST_200600_302600_NS11hip_rocprim35transform_pair_of_input_iterators_tIiPN3c108BFloat16ESD_NS8_12not_equal_toISC_EEEEPiiNS8_4plusIiEEEE10hipError_tPvRmT1_T2_T3_mT4_P12ihipStream_tbEUlT_E1_NS1_11comp_targetILNS1_3genE9ELNS1_11target_archE1100ELNS1_3gpuE3ELNS1_3repE0EEENS1_30default_config_static_selectorELNS0_4arch9wavefront6targetE1EEEvSN_: ; @_ZN7rocprim17ROCPRIM_400000_NS6detail17trampoline_kernelINS0_14default_configENS1_22reduce_config_selectorIiEEZNS1_11reduce_implILb1ES3_N6thrust23THRUST_200600_302600_NS11hip_rocprim35transform_pair_of_input_iterators_tIiPN3c108BFloat16ESD_NS8_12not_equal_toISC_EEEEPiiNS8_4plusIiEEEE10hipError_tPvRmT1_T2_T3_mT4_P12ihipStream_tbEUlT_E1_NS1_11comp_targetILNS1_3genE9ELNS1_11target_archE1100ELNS1_3gpuE3ELNS1_3repE0EEENS1_30default_config_static_selectorELNS0_4arch9wavefront6targetE1EEEvSN_
; %bb.0:
	.section	.rodata,"a",@progbits
	.p2align	6, 0x0
	.amdhsa_kernel _ZN7rocprim17ROCPRIM_400000_NS6detail17trampoline_kernelINS0_14default_configENS1_22reduce_config_selectorIiEEZNS1_11reduce_implILb1ES3_N6thrust23THRUST_200600_302600_NS11hip_rocprim35transform_pair_of_input_iterators_tIiPN3c108BFloat16ESD_NS8_12not_equal_toISC_EEEEPiiNS8_4plusIiEEEE10hipError_tPvRmT1_T2_T3_mT4_P12ihipStream_tbEUlT_E1_NS1_11comp_targetILNS1_3genE9ELNS1_11target_archE1100ELNS1_3gpuE3ELNS1_3repE0EEENS1_30default_config_static_selectorELNS0_4arch9wavefront6targetE1EEEvSN_
		.amdhsa_group_segment_fixed_size 0
		.amdhsa_private_segment_fixed_size 0
		.amdhsa_kernarg_size 56
		.amdhsa_user_sgpr_count 6
		.amdhsa_user_sgpr_private_segment_buffer 1
		.amdhsa_user_sgpr_dispatch_ptr 0
		.amdhsa_user_sgpr_queue_ptr 0
		.amdhsa_user_sgpr_kernarg_segment_ptr 1
		.amdhsa_user_sgpr_dispatch_id 0
		.amdhsa_user_sgpr_flat_scratch_init 0
		.amdhsa_user_sgpr_kernarg_preload_length 0
		.amdhsa_user_sgpr_kernarg_preload_offset 0
		.amdhsa_user_sgpr_private_segment_size 0
		.amdhsa_uses_dynamic_stack 0
		.amdhsa_system_sgpr_private_segment_wavefront_offset 0
		.amdhsa_system_sgpr_workgroup_id_x 1
		.amdhsa_system_sgpr_workgroup_id_y 0
		.amdhsa_system_sgpr_workgroup_id_z 0
		.amdhsa_system_sgpr_workgroup_info 0
		.amdhsa_system_vgpr_workitem_id 0
		.amdhsa_next_free_vgpr 1
		.amdhsa_next_free_sgpr 0
		.amdhsa_accum_offset 4
		.amdhsa_reserve_vcc 0
		.amdhsa_reserve_flat_scratch 0
		.amdhsa_float_round_mode_32 0
		.amdhsa_float_round_mode_16_64 0
		.amdhsa_float_denorm_mode_32 3
		.amdhsa_float_denorm_mode_16_64 3
		.amdhsa_dx10_clamp 1
		.amdhsa_ieee_mode 1
		.amdhsa_fp16_overflow 0
		.amdhsa_tg_split 0
		.amdhsa_exception_fp_ieee_invalid_op 0
		.amdhsa_exception_fp_denorm_src 0
		.amdhsa_exception_fp_ieee_div_zero 0
		.amdhsa_exception_fp_ieee_overflow 0
		.amdhsa_exception_fp_ieee_underflow 0
		.amdhsa_exception_fp_ieee_inexact 0
		.amdhsa_exception_int_div_zero 0
	.end_amdhsa_kernel
	.section	.text._ZN7rocprim17ROCPRIM_400000_NS6detail17trampoline_kernelINS0_14default_configENS1_22reduce_config_selectorIiEEZNS1_11reduce_implILb1ES3_N6thrust23THRUST_200600_302600_NS11hip_rocprim35transform_pair_of_input_iterators_tIiPN3c108BFloat16ESD_NS8_12not_equal_toISC_EEEEPiiNS8_4plusIiEEEE10hipError_tPvRmT1_T2_T3_mT4_P12ihipStream_tbEUlT_E1_NS1_11comp_targetILNS1_3genE9ELNS1_11target_archE1100ELNS1_3gpuE3ELNS1_3repE0EEENS1_30default_config_static_selectorELNS0_4arch9wavefront6targetE1EEEvSN_,"axG",@progbits,_ZN7rocprim17ROCPRIM_400000_NS6detail17trampoline_kernelINS0_14default_configENS1_22reduce_config_selectorIiEEZNS1_11reduce_implILb1ES3_N6thrust23THRUST_200600_302600_NS11hip_rocprim35transform_pair_of_input_iterators_tIiPN3c108BFloat16ESD_NS8_12not_equal_toISC_EEEEPiiNS8_4plusIiEEEE10hipError_tPvRmT1_T2_T3_mT4_P12ihipStream_tbEUlT_E1_NS1_11comp_targetILNS1_3genE9ELNS1_11target_archE1100ELNS1_3gpuE3ELNS1_3repE0EEENS1_30default_config_static_selectorELNS0_4arch9wavefront6targetE1EEEvSN_,comdat
.Lfunc_end2051:
	.size	_ZN7rocprim17ROCPRIM_400000_NS6detail17trampoline_kernelINS0_14default_configENS1_22reduce_config_selectorIiEEZNS1_11reduce_implILb1ES3_N6thrust23THRUST_200600_302600_NS11hip_rocprim35transform_pair_of_input_iterators_tIiPN3c108BFloat16ESD_NS8_12not_equal_toISC_EEEEPiiNS8_4plusIiEEEE10hipError_tPvRmT1_T2_T3_mT4_P12ihipStream_tbEUlT_E1_NS1_11comp_targetILNS1_3genE9ELNS1_11target_archE1100ELNS1_3gpuE3ELNS1_3repE0EEENS1_30default_config_static_selectorELNS0_4arch9wavefront6targetE1EEEvSN_, .Lfunc_end2051-_ZN7rocprim17ROCPRIM_400000_NS6detail17trampoline_kernelINS0_14default_configENS1_22reduce_config_selectorIiEEZNS1_11reduce_implILb1ES3_N6thrust23THRUST_200600_302600_NS11hip_rocprim35transform_pair_of_input_iterators_tIiPN3c108BFloat16ESD_NS8_12not_equal_toISC_EEEEPiiNS8_4plusIiEEEE10hipError_tPvRmT1_T2_T3_mT4_P12ihipStream_tbEUlT_E1_NS1_11comp_targetILNS1_3genE9ELNS1_11target_archE1100ELNS1_3gpuE3ELNS1_3repE0EEENS1_30default_config_static_selectorELNS0_4arch9wavefront6targetE1EEEvSN_
                                        ; -- End function
	.section	.AMDGPU.csdata,"",@progbits
; Kernel info:
; codeLenInByte = 0
; NumSgprs: 4
; NumVgprs: 0
; NumAgprs: 0
; TotalNumVgprs: 0
; ScratchSize: 0
; MemoryBound: 0
; FloatMode: 240
; IeeeMode: 1
; LDSByteSize: 0 bytes/workgroup (compile time only)
; SGPRBlocks: 0
; VGPRBlocks: 0
; NumSGPRsForWavesPerEU: 4
; NumVGPRsForWavesPerEU: 1
; AccumOffset: 4
; Occupancy: 8
; WaveLimiterHint : 0
; COMPUTE_PGM_RSRC2:SCRATCH_EN: 0
; COMPUTE_PGM_RSRC2:USER_SGPR: 6
; COMPUTE_PGM_RSRC2:TRAP_HANDLER: 0
; COMPUTE_PGM_RSRC2:TGID_X_EN: 1
; COMPUTE_PGM_RSRC2:TGID_Y_EN: 0
; COMPUTE_PGM_RSRC2:TGID_Z_EN: 0
; COMPUTE_PGM_RSRC2:TIDIG_COMP_CNT: 0
; COMPUTE_PGM_RSRC3_GFX90A:ACCUM_OFFSET: 0
; COMPUTE_PGM_RSRC3_GFX90A:TG_SPLIT: 0
	.section	.text._ZN7rocprim17ROCPRIM_400000_NS6detail17trampoline_kernelINS0_14default_configENS1_22reduce_config_selectorIiEEZNS1_11reduce_implILb1ES3_N6thrust23THRUST_200600_302600_NS11hip_rocprim35transform_pair_of_input_iterators_tIiPN3c108BFloat16ESD_NS8_12not_equal_toISC_EEEEPiiNS8_4plusIiEEEE10hipError_tPvRmT1_T2_T3_mT4_P12ihipStream_tbEUlT_E1_NS1_11comp_targetILNS1_3genE8ELNS1_11target_archE1030ELNS1_3gpuE2ELNS1_3repE0EEENS1_30default_config_static_selectorELNS0_4arch9wavefront6targetE1EEEvSN_,"axG",@progbits,_ZN7rocprim17ROCPRIM_400000_NS6detail17trampoline_kernelINS0_14default_configENS1_22reduce_config_selectorIiEEZNS1_11reduce_implILb1ES3_N6thrust23THRUST_200600_302600_NS11hip_rocprim35transform_pair_of_input_iterators_tIiPN3c108BFloat16ESD_NS8_12not_equal_toISC_EEEEPiiNS8_4plusIiEEEE10hipError_tPvRmT1_T2_T3_mT4_P12ihipStream_tbEUlT_E1_NS1_11comp_targetILNS1_3genE8ELNS1_11target_archE1030ELNS1_3gpuE2ELNS1_3repE0EEENS1_30default_config_static_selectorELNS0_4arch9wavefront6targetE1EEEvSN_,comdat
	.protected	_ZN7rocprim17ROCPRIM_400000_NS6detail17trampoline_kernelINS0_14default_configENS1_22reduce_config_selectorIiEEZNS1_11reduce_implILb1ES3_N6thrust23THRUST_200600_302600_NS11hip_rocprim35transform_pair_of_input_iterators_tIiPN3c108BFloat16ESD_NS8_12not_equal_toISC_EEEEPiiNS8_4plusIiEEEE10hipError_tPvRmT1_T2_T3_mT4_P12ihipStream_tbEUlT_E1_NS1_11comp_targetILNS1_3genE8ELNS1_11target_archE1030ELNS1_3gpuE2ELNS1_3repE0EEENS1_30default_config_static_selectorELNS0_4arch9wavefront6targetE1EEEvSN_ ; -- Begin function _ZN7rocprim17ROCPRIM_400000_NS6detail17trampoline_kernelINS0_14default_configENS1_22reduce_config_selectorIiEEZNS1_11reduce_implILb1ES3_N6thrust23THRUST_200600_302600_NS11hip_rocprim35transform_pair_of_input_iterators_tIiPN3c108BFloat16ESD_NS8_12not_equal_toISC_EEEEPiiNS8_4plusIiEEEE10hipError_tPvRmT1_T2_T3_mT4_P12ihipStream_tbEUlT_E1_NS1_11comp_targetILNS1_3genE8ELNS1_11target_archE1030ELNS1_3gpuE2ELNS1_3repE0EEENS1_30default_config_static_selectorELNS0_4arch9wavefront6targetE1EEEvSN_
	.globl	_ZN7rocprim17ROCPRIM_400000_NS6detail17trampoline_kernelINS0_14default_configENS1_22reduce_config_selectorIiEEZNS1_11reduce_implILb1ES3_N6thrust23THRUST_200600_302600_NS11hip_rocprim35transform_pair_of_input_iterators_tIiPN3c108BFloat16ESD_NS8_12not_equal_toISC_EEEEPiiNS8_4plusIiEEEE10hipError_tPvRmT1_T2_T3_mT4_P12ihipStream_tbEUlT_E1_NS1_11comp_targetILNS1_3genE8ELNS1_11target_archE1030ELNS1_3gpuE2ELNS1_3repE0EEENS1_30default_config_static_selectorELNS0_4arch9wavefront6targetE1EEEvSN_
	.p2align	8
	.type	_ZN7rocprim17ROCPRIM_400000_NS6detail17trampoline_kernelINS0_14default_configENS1_22reduce_config_selectorIiEEZNS1_11reduce_implILb1ES3_N6thrust23THRUST_200600_302600_NS11hip_rocprim35transform_pair_of_input_iterators_tIiPN3c108BFloat16ESD_NS8_12not_equal_toISC_EEEEPiiNS8_4plusIiEEEE10hipError_tPvRmT1_T2_T3_mT4_P12ihipStream_tbEUlT_E1_NS1_11comp_targetILNS1_3genE8ELNS1_11target_archE1030ELNS1_3gpuE2ELNS1_3repE0EEENS1_30default_config_static_selectorELNS0_4arch9wavefront6targetE1EEEvSN_,@function
_ZN7rocprim17ROCPRIM_400000_NS6detail17trampoline_kernelINS0_14default_configENS1_22reduce_config_selectorIiEEZNS1_11reduce_implILb1ES3_N6thrust23THRUST_200600_302600_NS11hip_rocprim35transform_pair_of_input_iterators_tIiPN3c108BFloat16ESD_NS8_12not_equal_toISC_EEEEPiiNS8_4plusIiEEEE10hipError_tPvRmT1_T2_T3_mT4_P12ihipStream_tbEUlT_E1_NS1_11comp_targetILNS1_3genE8ELNS1_11target_archE1030ELNS1_3gpuE2ELNS1_3repE0EEENS1_30default_config_static_selectorELNS0_4arch9wavefront6targetE1EEEvSN_: ; @_ZN7rocprim17ROCPRIM_400000_NS6detail17trampoline_kernelINS0_14default_configENS1_22reduce_config_selectorIiEEZNS1_11reduce_implILb1ES3_N6thrust23THRUST_200600_302600_NS11hip_rocprim35transform_pair_of_input_iterators_tIiPN3c108BFloat16ESD_NS8_12not_equal_toISC_EEEEPiiNS8_4plusIiEEEE10hipError_tPvRmT1_T2_T3_mT4_P12ihipStream_tbEUlT_E1_NS1_11comp_targetILNS1_3genE8ELNS1_11target_archE1030ELNS1_3gpuE2ELNS1_3repE0EEENS1_30default_config_static_selectorELNS0_4arch9wavefront6targetE1EEEvSN_
; %bb.0:
	.section	.rodata,"a",@progbits
	.p2align	6, 0x0
	.amdhsa_kernel _ZN7rocprim17ROCPRIM_400000_NS6detail17trampoline_kernelINS0_14default_configENS1_22reduce_config_selectorIiEEZNS1_11reduce_implILb1ES3_N6thrust23THRUST_200600_302600_NS11hip_rocprim35transform_pair_of_input_iterators_tIiPN3c108BFloat16ESD_NS8_12not_equal_toISC_EEEEPiiNS8_4plusIiEEEE10hipError_tPvRmT1_T2_T3_mT4_P12ihipStream_tbEUlT_E1_NS1_11comp_targetILNS1_3genE8ELNS1_11target_archE1030ELNS1_3gpuE2ELNS1_3repE0EEENS1_30default_config_static_selectorELNS0_4arch9wavefront6targetE1EEEvSN_
		.amdhsa_group_segment_fixed_size 0
		.amdhsa_private_segment_fixed_size 0
		.amdhsa_kernarg_size 56
		.amdhsa_user_sgpr_count 6
		.amdhsa_user_sgpr_private_segment_buffer 1
		.amdhsa_user_sgpr_dispatch_ptr 0
		.amdhsa_user_sgpr_queue_ptr 0
		.amdhsa_user_sgpr_kernarg_segment_ptr 1
		.amdhsa_user_sgpr_dispatch_id 0
		.amdhsa_user_sgpr_flat_scratch_init 0
		.amdhsa_user_sgpr_kernarg_preload_length 0
		.amdhsa_user_sgpr_kernarg_preload_offset 0
		.amdhsa_user_sgpr_private_segment_size 0
		.amdhsa_uses_dynamic_stack 0
		.amdhsa_system_sgpr_private_segment_wavefront_offset 0
		.amdhsa_system_sgpr_workgroup_id_x 1
		.amdhsa_system_sgpr_workgroup_id_y 0
		.amdhsa_system_sgpr_workgroup_id_z 0
		.amdhsa_system_sgpr_workgroup_info 0
		.amdhsa_system_vgpr_workitem_id 0
		.amdhsa_next_free_vgpr 1
		.amdhsa_next_free_sgpr 0
		.amdhsa_accum_offset 4
		.amdhsa_reserve_vcc 0
		.amdhsa_reserve_flat_scratch 0
		.amdhsa_float_round_mode_32 0
		.amdhsa_float_round_mode_16_64 0
		.amdhsa_float_denorm_mode_32 3
		.amdhsa_float_denorm_mode_16_64 3
		.amdhsa_dx10_clamp 1
		.amdhsa_ieee_mode 1
		.amdhsa_fp16_overflow 0
		.amdhsa_tg_split 0
		.amdhsa_exception_fp_ieee_invalid_op 0
		.amdhsa_exception_fp_denorm_src 0
		.amdhsa_exception_fp_ieee_div_zero 0
		.amdhsa_exception_fp_ieee_overflow 0
		.amdhsa_exception_fp_ieee_underflow 0
		.amdhsa_exception_fp_ieee_inexact 0
		.amdhsa_exception_int_div_zero 0
	.end_amdhsa_kernel
	.section	.text._ZN7rocprim17ROCPRIM_400000_NS6detail17trampoline_kernelINS0_14default_configENS1_22reduce_config_selectorIiEEZNS1_11reduce_implILb1ES3_N6thrust23THRUST_200600_302600_NS11hip_rocprim35transform_pair_of_input_iterators_tIiPN3c108BFloat16ESD_NS8_12not_equal_toISC_EEEEPiiNS8_4plusIiEEEE10hipError_tPvRmT1_T2_T3_mT4_P12ihipStream_tbEUlT_E1_NS1_11comp_targetILNS1_3genE8ELNS1_11target_archE1030ELNS1_3gpuE2ELNS1_3repE0EEENS1_30default_config_static_selectorELNS0_4arch9wavefront6targetE1EEEvSN_,"axG",@progbits,_ZN7rocprim17ROCPRIM_400000_NS6detail17trampoline_kernelINS0_14default_configENS1_22reduce_config_selectorIiEEZNS1_11reduce_implILb1ES3_N6thrust23THRUST_200600_302600_NS11hip_rocprim35transform_pair_of_input_iterators_tIiPN3c108BFloat16ESD_NS8_12not_equal_toISC_EEEEPiiNS8_4plusIiEEEE10hipError_tPvRmT1_T2_T3_mT4_P12ihipStream_tbEUlT_E1_NS1_11comp_targetILNS1_3genE8ELNS1_11target_archE1030ELNS1_3gpuE2ELNS1_3repE0EEENS1_30default_config_static_selectorELNS0_4arch9wavefront6targetE1EEEvSN_,comdat
.Lfunc_end2052:
	.size	_ZN7rocprim17ROCPRIM_400000_NS6detail17trampoline_kernelINS0_14default_configENS1_22reduce_config_selectorIiEEZNS1_11reduce_implILb1ES3_N6thrust23THRUST_200600_302600_NS11hip_rocprim35transform_pair_of_input_iterators_tIiPN3c108BFloat16ESD_NS8_12not_equal_toISC_EEEEPiiNS8_4plusIiEEEE10hipError_tPvRmT1_T2_T3_mT4_P12ihipStream_tbEUlT_E1_NS1_11comp_targetILNS1_3genE8ELNS1_11target_archE1030ELNS1_3gpuE2ELNS1_3repE0EEENS1_30default_config_static_selectorELNS0_4arch9wavefront6targetE1EEEvSN_, .Lfunc_end2052-_ZN7rocprim17ROCPRIM_400000_NS6detail17trampoline_kernelINS0_14default_configENS1_22reduce_config_selectorIiEEZNS1_11reduce_implILb1ES3_N6thrust23THRUST_200600_302600_NS11hip_rocprim35transform_pair_of_input_iterators_tIiPN3c108BFloat16ESD_NS8_12not_equal_toISC_EEEEPiiNS8_4plusIiEEEE10hipError_tPvRmT1_T2_T3_mT4_P12ihipStream_tbEUlT_E1_NS1_11comp_targetILNS1_3genE8ELNS1_11target_archE1030ELNS1_3gpuE2ELNS1_3repE0EEENS1_30default_config_static_selectorELNS0_4arch9wavefront6targetE1EEEvSN_
                                        ; -- End function
	.section	.AMDGPU.csdata,"",@progbits
; Kernel info:
; codeLenInByte = 0
; NumSgprs: 4
; NumVgprs: 0
; NumAgprs: 0
; TotalNumVgprs: 0
; ScratchSize: 0
; MemoryBound: 0
; FloatMode: 240
; IeeeMode: 1
; LDSByteSize: 0 bytes/workgroup (compile time only)
; SGPRBlocks: 0
; VGPRBlocks: 0
; NumSGPRsForWavesPerEU: 4
; NumVGPRsForWavesPerEU: 1
; AccumOffset: 4
; Occupancy: 8
; WaveLimiterHint : 0
; COMPUTE_PGM_RSRC2:SCRATCH_EN: 0
; COMPUTE_PGM_RSRC2:USER_SGPR: 6
; COMPUTE_PGM_RSRC2:TRAP_HANDLER: 0
; COMPUTE_PGM_RSRC2:TGID_X_EN: 1
; COMPUTE_PGM_RSRC2:TGID_Y_EN: 0
; COMPUTE_PGM_RSRC2:TGID_Z_EN: 0
; COMPUTE_PGM_RSRC2:TIDIG_COMP_CNT: 0
; COMPUTE_PGM_RSRC3_GFX90A:ACCUM_OFFSET: 0
; COMPUTE_PGM_RSRC3_GFX90A:TG_SPLIT: 0
	.section	.text._ZN7rocprim17ROCPRIM_400000_NS6detail17trampoline_kernelINS0_14default_configENS1_29reduce_by_key_config_selectorIN3c108BFloat16ElN6thrust23THRUST_200600_302600_NS4plusIlEEEEZZNS1_33reduce_by_key_impl_wrapped_configILNS1_25lookback_scan_determinismE0ES3_SB_PS6_NS8_17constant_iteratorIiNS8_11use_defaultESG_EENS8_10device_ptrIS6_EENSI_IlEEPmSA_NS8_8equal_toIS6_EEEE10hipError_tPvRmT2_T3_mT4_T5_T6_T7_T8_P12ihipStream_tbENKUlT_T0_E_clISt17integral_constantIbLb0EES15_EEDaS10_S11_EUlS10_E_NS1_11comp_targetILNS1_3genE0ELNS1_11target_archE4294967295ELNS1_3gpuE0ELNS1_3repE0EEENS1_30default_config_static_selectorELNS0_4arch9wavefront6targetE1EEEvT1_,"axG",@progbits,_ZN7rocprim17ROCPRIM_400000_NS6detail17trampoline_kernelINS0_14default_configENS1_29reduce_by_key_config_selectorIN3c108BFloat16ElN6thrust23THRUST_200600_302600_NS4plusIlEEEEZZNS1_33reduce_by_key_impl_wrapped_configILNS1_25lookback_scan_determinismE0ES3_SB_PS6_NS8_17constant_iteratorIiNS8_11use_defaultESG_EENS8_10device_ptrIS6_EENSI_IlEEPmSA_NS8_8equal_toIS6_EEEE10hipError_tPvRmT2_T3_mT4_T5_T6_T7_T8_P12ihipStream_tbENKUlT_T0_E_clISt17integral_constantIbLb0EES15_EEDaS10_S11_EUlS10_E_NS1_11comp_targetILNS1_3genE0ELNS1_11target_archE4294967295ELNS1_3gpuE0ELNS1_3repE0EEENS1_30default_config_static_selectorELNS0_4arch9wavefront6targetE1EEEvT1_,comdat
	.protected	_ZN7rocprim17ROCPRIM_400000_NS6detail17trampoline_kernelINS0_14default_configENS1_29reduce_by_key_config_selectorIN3c108BFloat16ElN6thrust23THRUST_200600_302600_NS4plusIlEEEEZZNS1_33reduce_by_key_impl_wrapped_configILNS1_25lookback_scan_determinismE0ES3_SB_PS6_NS8_17constant_iteratorIiNS8_11use_defaultESG_EENS8_10device_ptrIS6_EENSI_IlEEPmSA_NS8_8equal_toIS6_EEEE10hipError_tPvRmT2_T3_mT4_T5_T6_T7_T8_P12ihipStream_tbENKUlT_T0_E_clISt17integral_constantIbLb0EES15_EEDaS10_S11_EUlS10_E_NS1_11comp_targetILNS1_3genE0ELNS1_11target_archE4294967295ELNS1_3gpuE0ELNS1_3repE0EEENS1_30default_config_static_selectorELNS0_4arch9wavefront6targetE1EEEvT1_ ; -- Begin function _ZN7rocprim17ROCPRIM_400000_NS6detail17trampoline_kernelINS0_14default_configENS1_29reduce_by_key_config_selectorIN3c108BFloat16ElN6thrust23THRUST_200600_302600_NS4plusIlEEEEZZNS1_33reduce_by_key_impl_wrapped_configILNS1_25lookback_scan_determinismE0ES3_SB_PS6_NS8_17constant_iteratorIiNS8_11use_defaultESG_EENS8_10device_ptrIS6_EENSI_IlEEPmSA_NS8_8equal_toIS6_EEEE10hipError_tPvRmT2_T3_mT4_T5_T6_T7_T8_P12ihipStream_tbENKUlT_T0_E_clISt17integral_constantIbLb0EES15_EEDaS10_S11_EUlS10_E_NS1_11comp_targetILNS1_3genE0ELNS1_11target_archE4294967295ELNS1_3gpuE0ELNS1_3repE0EEENS1_30default_config_static_selectorELNS0_4arch9wavefront6targetE1EEEvT1_
	.globl	_ZN7rocprim17ROCPRIM_400000_NS6detail17trampoline_kernelINS0_14default_configENS1_29reduce_by_key_config_selectorIN3c108BFloat16ElN6thrust23THRUST_200600_302600_NS4plusIlEEEEZZNS1_33reduce_by_key_impl_wrapped_configILNS1_25lookback_scan_determinismE0ES3_SB_PS6_NS8_17constant_iteratorIiNS8_11use_defaultESG_EENS8_10device_ptrIS6_EENSI_IlEEPmSA_NS8_8equal_toIS6_EEEE10hipError_tPvRmT2_T3_mT4_T5_T6_T7_T8_P12ihipStream_tbENKUlT_T0_E_clISt17integral_constantIbLb0EES15_EEDaS10_S11_EUlS10_E_NS1_11comp_targetILNS1_3genE0ELNS1_11target_archE4294967295ELNS1_3gpuE0ELNS1_3repE0EEENS1_30default_config_static_selectorELNS0_4arch9wavefront6targetE1EEEvT1_
	.p2align	8
	.type	_ZN7rocprim17ROCPRIM_400000_NS6detail17trampoline_kernelINS0_14default_configENS1_29reduce_by_key_config_selectorIN3c108BFloat16ElN6thrust23THRUST_200600_302600_NS4plusIlEEEEZZNS1_33reduce_by_key_impl_wrapped_configILNS1_25lookback_scan_determinismE0ES3_SB_PS6_NS8_17constant_iteratorIiNS8_11use_defaultESG_EENS8_10device_ptrIS6_EENSI_IlEEPmSA_NS8_8equal_toIS6_EEEE10hipError_tPvRmT2_T3_mT4_T5_T6_T7_T8_P12ihipStream_tbENKUlT_T0_E_clISt17integral_constantIbLb0EES15_EEDaS10_S11_EUlS10_E_NS1_11comp_targetILNS1_3genE0ELNS1_11target_archE4294967295ELNS1_3gpuE0ELNS1_3repE0EEENS1_30default_config_static_selectorELNS0_4arch9wavefront6targetE1EEEvT1_,@function
_ZN7rocprim17ROCPRIM_400000_NS6detail17trampoline_kernelINS0_14default_configENS1_29reduce_by_key_config_selectorIN3c108BFloat16ElN6thrust23THRUST_200600_302600_NS4plusIlEEEEZZNS1_33reduce_by_key_impl_wrapped_configILNS1_25lookback_scan_determinismE0ES3_SB_PS6_NS8_17constant_iteratorIiNS8_11use_defaultESG_EENS8_10device_ptrIS6_EENSI_IlEEPmSA_NS8_8equal_toIS6_EEEE10hipError_tPvRmT2_T3_mT4_T5_T6_T7_T8_P12ihipStream_tbENKUlT_T0_E_clISt17integral_constantIbLb0EES15_EEDaS10_S11_EUlS10_E_NS1_11comp_targetILNS1_3genE0ELNS1_11target_archE4294967295ELNS1_3gpuE0ELNS1_3repE0EEENS1_30default_config_static_selectorELNS0_4arch9wavefront6targetE1EEEvT1_: ; @_ZN7rocprim17ROCPRIM_400000_NS6detail17trampoline_kernelINS0_14default_configENS1_29reduce_by_key_config_selectorIN3c108BFloat16ElN6thrust23THRUST_200600_302600_NS4plusIlEEEEZZNS1_33reduce_by_key_impl_wrapped_configILNS1_25lookback_scan_determinismE0ES3_SB_PS6_NS8_17constant_iteratorIiNS8_11use_defaultESG_EENS8_10device_ptrIS6_EENSI_IlEEPmSA_NS8_8equal_toIS6_EEEE10hipError_tPvRmT2_T3_mT4_T5_T6_T7_T8_P12ihipStream_tbENKUlT_T0_E_clISt17integral_constantIbLb0EES15_EEDaS10_S11_EUlS10_E_NS1_11comp_targetILNS1_3genE0ELNS1_11target_archE4294967295ELNS1_3gpuE0ELNS1_3repE0EEENS1_30default_config_static_selectorELNS0_4arch9wavefront6targetE1EEEvT1_
; %bb.0:
	.section	.rodata,"a",@progbits
	.p2align	6, 0x0
	.amdhsa_kernel _ZN7rocprim17ROCPRIM_400000_NS6detail17trampoline_kernelINS0_14default_configENS1_29reduce_by_key_config_selectorIN3c108BFloat16ElN6thrust23THRUST_200600_302600_NS4plusIlEEEEZZNS1_33reduce_by_key_impl_wrapped_configILNS1_25lookback_scan_determinismE0ES3_SB_PS6_NS8_17constant_iteratorIiNS8_11use_defaultESG_EENS8_10device_ptrIS6_EENSI_IlEEPmSA_NS8_8equal_toIS6_EEEE10hipError_tPvRmT2_T3_mT4_T5_T6_T7_T8_P12ihipStream_tbENKUlT_T0_E_clISt17integral_constantIbLb0EES15_EEDaS10_S11_EUlS10_E_NS1_11comp_targetILNS1_3genE0ELNS1_11target_archE4294967295ELNS1_3gpuE0ELNS1_3repE0EEENS1_30default_config_static_selectorELNS0_4arch9wavefront6targetE1EEEvT1_
		.amdhsa_group_segment_fixed_size 0
		.amdhsa_private_segment_fixed_size 0
		.amdhsa_kernarg_size 144
		.amdhsa_user_sgpr_count 6
		.amdhsa_user_sgpr_private_segment_buffer 1
		.amdhsa_user_sgpr_dispatch_ptr 0
		.amdhsa_user_sgpr_queue_ptr 0
		.amdhsa_user_sgpr_kernarg_segment_ptr 1
		.amdhsa_user_sgpr_dispatch_id 0
		.amdhsa_user_sgpr_flat_scratch_init 0
		.amdhsa_user_sgpr_kernarg_preload_length 0
		.amdhsa_user_sgpr_kernarg_preload_offset 0
		.amdhsa_user_sgpr_private_segment_size 0
		.amdhsa_uses_dynamic_stack 0
		.amdhsa_system_sgpr_private_segment_wavefront_offset 0
		.amdhsa_system_sgpr_workgroup_id_x 1
		.amdhsa_system_sgpr_workgroup_id_y 0
		.amdhsa_system_sgpr_workgroup_id_z 0
		.amdhsa_system_sgpr_workgroup_info 0
		.amdhsa_system_vgpr_workitem_id 0
		.amdhsa_next_free_vgpr 1
		.amdhsa_next_free_sgpr 0
		.amdhsa_accum_offset 4
		.amdhsa_reserve_vcc 0
		.amdhsa_reserve_flat_scratch 0
		.amdhsa_float_round_mode_32 0
		.amdhsa_float_round_mode_16_64 0
		.amdhsa_float_denorm_mode_32 3
		.amdhsa_float_denorm_mode_16_64 3
		.amdhsa_dx10_clamp 1
		.amdhsa_ieee_mode 1
		.amdhsa_fp16_overflow 0
		.amdhsa_tg_split 0
		.amdhsa_exception_fp_ieee_invalid_op 0
		.amdhsa_exception_fp_denorm_src 0
		.amdhsa_exception_fp_ieee_div_zero 0
		.amdhsa_exception_fp_ieee_overflow 0
		.amdhsa_exception_fp_ieee_underflow 0
		.amdhsa_exception_fp_ieee_inexact 0
		.amdhsa_exception_int_div_zero 0
	.end_amdhsa_kernel
	.section	.text._ZN7rocprim17ROCPRIM_400000_NS6detail17trampoline_kernelINS0_14default_configENS1_29reduce_by_key_config_selectorIN3c108BFloat16ElN6thrust23THRUST_200600_302600_NS4plusIlEEEEZZNS1_33reduce_by_key_impl_wrapped_configILNS1_25lookback_scan_determinismE0ES3_SB_PS6_NS8_17constant_iteratorIiNS8_11use_defaultESG_EENS8_10device_ptrIS6_EENSI_IlEEPmSA_NS8_8equal_toIS6_EEEE10hipError_tPvRmT2_T3_mT4_T5_T6_T7_T8_P12ihipStream_tbENKUlT_T0_E_clISt17integral_constantIbLb0EES15_EEDaS10_S11_EUlS10_E_NS1_11comp_targetILNS1_3genE0ELNS1_11target_archE4294967295ELNS1_3gpuE0ELNS1_3repE0EEENS1_30default_config_static_selectorELNS0_4arch9wavefront6targetE1EEEvT1_,"axG",@progbits,_ZN7rocprim17ROCPRIM_400000_NS6detail17trampoline_kernelINS0_14default_configENS1_29reduce_by_key_config_selectorIN3c108BFloat16ElN6thrust23THRUST_200600_302600_NS4plusIlEEEEZZNS1_33reduce_by_key_impl_wrapped_configILNS1_25lookback_scan_determinismE0ES3_SB_PS6_NS8_17constant_iteratorIiNS8_11use_defaultESG_EENS8_10device_ptrIS6_EENSI_IlEEPmSA_NS8_8equal_toIS6_EEEE10hipError_tPvRmT2_T3_mT4_T5_T6_T7_T8_P12ihipStream_tbENKUlT_T0_E_clISt17integral_constantIbLb0EES15_EEDaS10_S11_EUlS10_E_NS1_11comp_targetILNS1_3genE0ELNS1_11target_archE4294967295ELNS1_3gpuE0ELNS1_3repE0EEENS1_30default_config_static_selectorELNS0_4arch9wavefront6targetE1EEEvT1_,comdat
.Lfunc_end2053:
	.size	_ZN7rocprim17ROCPRIM_400000_NS6detail17trampoline_kernelINS0_14default_configENS1_29reduce_by_key_config_selectorIN3c108BFloat16ElN6thrust23THRUST_200600_302600_NS4plusIlEEEEZZNS1_33reduce_by_key_impl_wrapped_configILNS1_25lookback_scan_determinismE0ES3_SB_PS6_NS8_17constant_iteratorIiNS8_11use_defaultESG_EENS8_10device_ptrIS6_EENSI_IlEEPmSA_NS8_8equal_toIS6_EEEE10hipError_tPvRmT2_T3_mT4_T5_T6_T7_T8_P12ihipStream_tbENKUlT_T0_E_clISt17integral_constantIbLb0EES15_EEDaS10_S11_EUlS10_E_NS1_11comp_targetILNS1_3genE0ELNS1_11target_archE4294967295ELNS1_3gpuE0ELNS1_3repE0EEENS1_30default_config_static_selectorELNS0_4arch9wavefront6targetE1EEEvT1_, .Lfunc_end2053-_ZN7rocprim17ROCPRIM_400000_NS6detail17trampoline_kernelINS0_14default_configENS1_29reduce_by_key_config_selectorIN3c108BFloat16ElN6thrust23THRUST_200600_302600_NS4plusIlEEEEZZNS1_33reduce_by_key_impl_wrapped_configILNS1_25lookback_scan_determinismE0ES3_SB_PS6_NS8_17constant_iteratorIiNS8_11use_defaultESG_EENS8_10device_ptrIS6_EENSI_IlEEPmSA_NS8_8equal_toIS6_EEEE10hipError_tPvRmT2_T3_mT4_T5_T6_T7_T8_P12ihipStream_tbENKUlT_T0_E_clISt17integral_constantIbLb0EES15_EEDaS10_S11_EUlS10_E_NS1_11comp_targetILNS1_3genE0ELNS1_11target_archE4294967295ELNS1_3gpuE0ELNS1_3repE0EEENS1_30default_config_static_selectorELNS0_4arch9wavefront6targetE1EEEvT1_
                                        ; -- End function
	.section	.AMDGPU.csdata,"",@progbits
; Kernel info:
; codeLenInByte = 0
; NumSgprs: 4
; NumVgprs: 0
; NumAgprs: 0
; TotalNumVgprs: 0
; ScratchSize: 0
; MemoryBound: 0
; FloatMode: 240
; IeeeMode: 1
; LDSByteSize: 0 bytes/workgroup (compile time only)
; SGPRBlocks: 0
; VGPRBlocks: 0
; NumSGPRsForWavesPerEU: 4
; NumVGPRsForWavesPerEU: 1
; AccumOffset: 4
; Occupancy: 8
; WaveLimiterHint : 0
; COMPUTE_PGM_RSRC2:SCRATCH_EN: 0
; COMPUTE_PGM_RSRC2:USER_SGPR: 6
; COMPUTE_PGM_RSRC2:TRAP_HANDLER: 0
; COMPUTE_PGM_RSRC2:TGID_X_EN: 1
; COMPUTE_PGM_RSRC2:TGID_Y_EN: 0
; COMPUTE_PGM_RSRC2:TGID_Z_EN: 0
; COMPUTE_PGM_RSRC2:TIDIG_COMP_CNT: 0
; COMPUTE_PGM_RSRC3_GFX90A:ACCUM_OFFSET: 0
; COMPUTE_PGM_RSRC3_GFX90A:TG_SPLIT: 0
	.section	.text._ZN7rocprim17ROCPRIM_400000_NS6detail17trampoline_kernelINS0_14default_configENS1_29reduce_by_key_config_selectorIN3c108BFloat16ElN6thrust23THRUST_200600_302600_NS4plusIlEEEEZZNS1_33reduce_by_key_impl_wrapped_configILNS1_25lookback_scan_determinismE0ES3_SB_PS6_NS8_17constant_iteratorIiNS8_11use_defaultESG_EENS8_10device_ptrIS6_EENSI_IlEEPmSA_NS8_8equal_toIS6_EEEE10hipError_tPvRmT2_T3_mT4_T5_T6_T7_T8_P12ihipStream_tbENKUlT_T0_E_clISt17integral_constantIbLb0EES15_EEDaS10_S11_EUlS10_E_NS1_11comp_targetILNS1_3genE5ELNS1_11target_archE942ELNS1_3gpuE9ELNS1_3repE0EEENS1_30default_config_static_selectorELNS0_4arch9wavefront6targetE1EEEvT1_,"axG",@progbits,_ZN7rocprim17ROCPRIM_400000_NS6detail17trampoline_kernelINS0_14default_configENS1_29reduce_by_key_config_selectorIN3c108BFloat16ElN6thrust23THRUST_200600_302600_NS4plusIlEEEEZZNS1_33reduce_by_key_impl_wrapped_configILNS1_25lookback_scan_determinismE0ES3_SB_PS6_NS8_17constant_iteratorIiNS8_11use_defaultESG_EENS8_10device_ptrIS6_EENSI_IlEEPmSA_NS8_8equal_toIS6_EEEE10hipError_tPvRmT2_T3_mT4_T5_T6_T7_T8_P12ihipStream_tbENKUlT_T0_E_clISt17integral_constantIbLb0EES15_EEDaS10_S11_EUlS10_E_NS1_11comp_targetILNS1_3genE5ELNS1_11target_archE942ELNS1_3gpuE9ELNS1_3repE0EEENS1_30default_config_static_selectorELNS0_4arch9wavefront6targetE1EEEvT1_,comdat
	.protected	_ZN7rocprim17ROCPRIM_400000_NS6detail17trampoline_kernelINS0_14default_configENS1_29reduce_by_key_config_selectorIN3c108BFloat16ElN6thrust23THRUST_200600_302600_NS4plusIlEEEEZZNS1_33reduce_by_key_impl_wrapped_configILNS1_25lookback_scan_determinismE0ES3_SB_PS6_NS8_17constant_iteratorIiNS8_11use_defaultESG_EENS8_10device_ptrIS6_EENSI_IlEEPmSA_NS8_8equal_toIS6_EEEE10hipError_tPvRmT2_T3_mT4_T5_T6_T7_T8_P12ihipStream_tbENKUlT_T0_E_clISt17integral_constantIbLb0EES15_EEDaS10_S11_EUlS10_E_NS1_11comp_targetILNS1_3genE5ELNS1_11target_archE942ELNS1_3gpuE9ELNS1_3repE0EEENS1_30default_config_static_selectorELNS0_4arch9wavefront6targetE1EEEvT1_ ; -- Begin function _ZN7rocprim17ROCPRIM_400000_NS6detail17trampoline_kernelINS0_14default_configENS1_29reduce_by_key_config_selectorIN3c108BFloat16ElN6thrust23THRUST_200600_302600_NS4plusIlEEEEZZNS1_33reduce_by_key_impl_wrapped_configILNS1_25lookback_scan_determinismE0ES3_SB_PS6_NS8_17constant_iteratorIiNS8_11use_defaultESG_EENS8_10device_ptrIS6_EENSI_IlEEPmSA_NS8_8equal_toIS6_EEEE10hipError_tPvRmT2_T3_mT4_T5_T6_T7_T8_P12ihipStream_tbENKUlT_T0_E_clISt17integral_constantIbLb0EES15_EEDaS10_S11_EUlS10_E_NS1_11comp_targetILNS1_3genE5ELNS1_11target_archE942ELNS1_3gpuE9ELNS1_3repE0EEENS1_30default_config_static_selectorELNS0_4arch9wavefront6targetE1EEEvT1_
	.globl	_ZN7rocprim17ROCPRIM_400000_NS6detail17trampoline_kernelINS0_14default_configENS1_29reduce_by_key_config_selectorIN3c108BFloat16ElN6thrust23THRUST_200600_302600_NS4plusIlEEEEZZNS1_33reduce_by_key_impl_wrapped_configILNS1_25lookback_scan_determinismE0ES3_SB_PS6_NS8_17constant_iteratorIiNS8_11use_defaultESG_EENS8_10device_ptrIS6_EENSI_IlEEPmSA_NS8_8equal_toIS6_EEEE10hipError_tPvRmT2_T3_mT4_T5_T6_T7_T8_P12ihipStream_tbENKUlT_T0_E_clISt17integral_constantIbLb0EES15_EEDaS10_S11_EUlS10_E_NS1_11comp_targetILNS1_3genE5ELNS1_11target_archE942ELNS1_3gpuE9ELNS1_3repE0EEENS1_30default_config_static_selectorELNS0_4arch9wavefront6targetE1EEEvT1_
	.p2align	8
	.type	_ZN7rocprim17ROCPRIM_400000_NS6detail17trampoline_kernelINS0_14default_configENS1_29reduce_by_key_config_selectorIN3c108BFloat16ElN6thrust23THRUST_200600_302600_NS4plusIlEEEEZZNS1_33reduce_by_key_impl_wrapped_configILNS1_25lookback_scan_determinismE0ES3_SB_PS6_NS8_17constant_iteratorIiNS8_11use_defaultESG_EENS8_10device_ptrIS6_EENSI_IlEEPmSA_NS8_8equal_toIS6_EEEE10hipError_tPvRmT2_T3_mT4_T5_T6_T7_T8_P12ihipStream_tbENKUlT_T0_E_clISt17integral_constantIbLb0EES15_EEDaS10_S11_EUlS10_E_NS1_11comp_targetILNS1_3genE5ELNS1_11target_archE942ELNS1_3gpuE9ELNS1_3repE0EEENS1_30default_config_static_selectorELNS0_4arch9wavefront6targetE1EEEvT1_,@function
_ZN7rocprim17ROCPRIM_400000_NS6detail17trampoline_kernelINS0_14default_configENS1_29reduce_by_key_config_selectorIN3c108BFloat16ElN6thrust23THRUST_200600_302600_NS4plusIlEEEEZZNS1_33reduce_by_key_impl_wrapped_configILNS1_25lookback_scan_determinismE0ES3_SB_PS6_NS8_17constant_iteratorIiNS8_11use_defaultESG_EENS8_10device_ptrIS6_EENSI_IlEEPmSA_NS8_8equal_toIS6_EEEE10hipError_tPvRmT2_T3_mT4_T5_T6_T7_T8_P12ihipStream_tbENKUlT_T0_E_clISt17integral_constantIbLb0EES15_EEDaS10_S11_EUlS10_E_NS1_11comp_targetILNS1_3genE5ELNS1_11target_archE942ELNS1_3gpuE9ELNS1_3repE0EEENS1_30default_config_static_selectorELNS0_4arch9wavefront6targetE1EEEvT1_: ; @_ZN7rocprim17ROCPRIM_400000_NS6detail17trampoline_kernelINS0_14default_configENS1_29reduce_by_key_config_selectorIN3c108BFloat16ElN6thrust23THRUST_200600_302600_NS4plusIlEEEEZZNS1_33reduce_by_key_impl_wrapped_configILNS1_25lookback_scan_determinismE0ES3_SB_PS6_NS8_17constant_iteratorIiNS8_11use_defaultESG_EENS8_10device_ptrIS6_EENSI_IlEEPmSA_NS8_8equal_toIS6_EEEE10hipError_tPvRmT2_T3_mT4_T5_T6_T7_T8_P12ihipStream_tbENKUlT_T0_E_clISt17integral_constantIbLb0EES15_EEDaS10_S11_EUlS10_E_NS1_11comp_targetILNS1_3genE5ELNS1_11target_archE942ELNS1_3gpuE9ELNS1_3repE0EEENS1_30default_config_static_selectorELNS0_4arch9wavefront6targetE1EEEvT1_
; %bb.0:
	.section	.rodata,"a",@progbits
	.p2align	6, 0x0
	.amdhsa_kernel _ZN7rocprim17ROCPRIM_400000_NS6detail17trampoline_kernelINS0_14default_configENS1_29reduce_by_key_config_selectorIN3c108BFloat16ElN6thrust23THRUST_200600_302600_NS4plusIlEEEEZZNS1_33reduce_by_key_impl_wrapped_configILNS1_25lookback_scan_determinismE0ES3_SB_PS6_NS8_17constant_iteratorIiNS8_11use_defaultESG_EENS8_10device_ptrIS6_EENSI_IlEEPmSA_NS8_8equal_toIS6_EEEE10hipError_tPvRmT2_T3_mT4_T5_T6_T7_T8_P12ihipStream_tbENKUlT_T0_E_clISt17integral_constantIbLb0EES15_EEDaS10_S11_EUlS10_E_NS1_11comp_targetILNS1_3genE5ELNS1_11target_archE942ELNS1_3gpuE9ELNS1_3repE0EEENS1_30default_config_static_selectorELNS0_4arch9wavefront6targetE1EEEvT1_
		.amdhsa_group_segment_fixed_size 0
		.amdhsa_private_segment_fixed_size 0
		.amdhsa_kernarg_size 144
		.amdhsa_user_sgpr_count 6
		.amdhsa_user_sgpr_private_segment_buffer 1
		.amdhsa_user_sgpr_dispatch_ptr 0
		.amdhsa_user_sgpr_queue_ptr 0
		.amdhsa_user_sgpr_kernarg_segment_ptr 1
		.amdhsa_user_sgpr_dispatch_id 0
		.amdhsa_user_sgpr_flat_scratch_init 0
		.amdhsa_user_sgpr_kernarg_preload_length 0
		.amdhsa_user_sgpr_kernarg_preload_offset 0
		.amdhsa_user_sgpr_private_segment_size 0
		.amdhsa_uses_dynamic_stack 0
		.amdhsa_system_sgpr_private_segment_wavefront_offset 0
		.amdhsa_system_sgpr_workgroup_id_x 1
		.amdhsa_system_sgpr_workgroup_id_y 0
		.amdhsa_system_sgpr_workgroup_id_z 0
		.amdhsa_system_sgpr_workgroup_info 0
		.amdhsa_system_vgpr_workitem_id 0
		.amdhsa_next_free_vgpr 1
		.amdhsa_next_free_sgpr 0
		.amdhsa_accum_offset 4
		.amdhsa_reserve_vcc 0
		.amdhsa_reserve_flat_scratch 0
		.amdhsa_float_round_mode_32 0
		.amdhsa_float_round_mode_16_64 0
		.amdhsa_float_denorm_mode_32 3
		.amdhsa_float_denorm_mode_16_64 3
		.amdhsa_dx10_clamp 1
		.amdhsa_ieee_mode 1
		.amdhsa_fp16_overflow 0
		.amdhsa_tg_split 0
		.amdhsa_exception_fp_ieee_invalid_op 0
		.amdhsa_exception_fp_denorm_src 0
		.amdhsa_exception_fp_ieee_div_zero 0
		.amdhsa_exception_fp_ieee_overflow 0
		.amdhsa_exception_fp_ieee_underflow 0
		.amdhsa_exception_fp_ieee_inexact 0
		.amdhsa_exception_int_div_zero 0
	.end_amdhsa_kernel
	.section	.text._ZN7rocprim17ROCPRIM_400000_NS6detail17trampoline_kernelINS0_14default_configENS1_29reduce_by_key_config_selectorIN3c108BFloat16ElN6thrust23THRUST_200600_302600_NS4plusIlEEEEZZNS1_33reduce_by_key_impl_wrapped_configILNS1_25lookback_scan_determinismE0ES3_SB_PS6_NS8_17constant_iteratorIiNS8_11use_defaultESG_EENS8_10device_ptrIS6_EENSI_IlEEPmSA_NS8_8equal_toIS6_EEEE10hipError_tPvRmT2_T3_mT4_T5_T6_T7_T8_P12ihipStream_tbENKUlT_T0_E_clISt17integral_constantIbLb0EES15_EEDaS10_S11_EUlS10_E_NS1_11comp_targetILNS1_3genE5ELNS1_11target_archE942ELNS1_3gpuE9ELNS1_3repE0EEENS1_30default_config_static_selectorELNS0_4arch9wavefront6targetE1EEEvT1_,"axG",@progbits,_ZN7rocprim17ROCPRIM_400000_NS6detail17trampoline_kernelINS0_14default_configENS1_29reduce_by_key_config_selectorIN3c108BFloat16ElN6thrust23THRUST_200600_302600_NS4plusIlEEEEZZNS1_33reduce_by_key_impl_wrapped_configILNS1_25lookback_scan_determinismE0ES3_SB_PS6_NS8_17constant_iteratorIiNS8_11use_defaultESG_EENS8_10device_ptrIS6_EENSI_IlEEPmSA_NS8_8equal_toIS6_EEEE10hipError_tPvRmT2_T3_mT4_T5_T6_T7_T8_P12ihipStream_tbENKUlT_T0_E_clISt17integral_constantIbLb0EES15_EEDaS10_S11_EUlS10_E_NS1_11comp_targetILNS1_3genE5ELNS1_11target_archE942ELNS1_3gpuE9ELNS1_3repE0EEENS1_30default_config_static_selectorELNS0_4arch9wavefront6targetE1EEEvT1_,comdat
.Lfunc_end2054:
	.size	_ZN7rocprim17ROCPRIM_400000_NS6detail17trampoline_kernelINS0_14default_configENS1_29reduce_by_key_config_selectorIN3c108BFloat16ElN6thrust23THRUST_200600_302600_NS4plusIlEEEEZZNS1_33reduce_by_key_impl_wrapped_configILNS1_25lookback_scan_determinismE0ES3_SB_PS6_NS8_17constant_iteratorIiNS8_11use_defaultESG_EENS8_10device_ptrIS6_EENSI_IlEEPmSA_NS8_8equal_toIS6_EEEE10hipError_tPvRmT2_T3_mT4_T5_T6_T7_T8_P12ihipStream_tbENKUlT_T0_E_clISt17integral_constantIbLb0EES15_EEDaS10_S11_EUlS10_E_NS1_11comp_targetILNS1_3genE5ELNS1_11target_archE942ELNS1_3gpuE9ELNS1_3repE0EEENS1_30default_config_static_selectorELNS0_4arch9wavefront6targetE1EEEvT1_, .Lfunc_end2054-_ZN7rocprim17ROCPRIM_400000_NS6detail17trampoline_kernelINS0_14default_configENS1_29reduce_by_key_config_selectorIN3c108BFloat16ElN6thrust23THRUST_200600_302600_NS4plusIlEEEEZZNS1_33reduce_by_key_impl_wrapped_configILNS1_25lookback_scan_determinismE0ES3_SB_PS6_NS8_17constant_iteratorIiNS8_11use_defaultESG_EENS8_10device_ptrIS6_EENSI_IlEEPmSA_NS8_8equal_toIS6_EEEE10hipError_tPvRmT2_T3_mT4_T5_T6_T7_T8_P12ihipStream_tbENKUlT_T0_E_clISt17integral_constantIbLb0EES15_EEDaS10_S11_EUlS10_E_NS1_11comp_targetILNS1_3genE5ELNS1_11target_archE942ELNS1_3gpuE9ELNS1_3repE0EEENS1_30default_config_static_selectorELNS0_4arch9wavefront6targetE1EEEvT1_
                                        ; -- End function
	.section	.AMDGPU.csdata,"",@progbits
; Kernel info:
; codeLenInByte = 0
; NumSgprs: 4
; NumVgprs: 0
; NumAgprs: 0
; TotalNumVgprs: 0
; ScratchSize: 0
; MemoryBound: 0
; FloatMode: 240
; IeeeMode: 1
; LDSByteSize: 0 bytes/workgroup (compile time only)
; SGPRBlocks: 0
; VGPRBlocks: 0
; NumSGPRsForWavesPerEU: 4
; NumVGPRsForWavesPerEU: 1
; AccumOffset: 4
; Occupancy: 8
; WaveLimiterHint : 0
; COMPUTE_PGM_RSRC2:SCRATCH_EN: 0
; COMPUTE_PGM_RSRC2:USER_SGPR: 6
; COMPUTE_PGM_RSRC2:TRAP_HANDLER: 0
; COMPUTE_PGM_RSRC2:TGID_X_EN: 1
; COMPUTE_PGM_RSRC2:TGID_Y_EN: 0
; COMPUTE_PGM_RSRC2:TGID_Z_EN: 0
; COMPUTE_PGM_RSRC2:TIDIG_COMP_CNT: 0
; COMPUTE_PGM_RSRC3_GFX90A:ACCUM_OFFSET: 0
; COMPUTE_PGM_RSRC3_GFX90A:TG_SPLIT: 0
	.section	.text._ZN7rocprim17ROCPRIM_400000_NS6detail17trampoline_kernelINS0_14default_configENS1_29reduce_by_key_config_selectorIN3c108BFloat16ElN6thrust23THRUST_200600_302600_NS4plusIlEEEEZZNS1_33reduce_by_key_impl_wrapped_configILNS1_25lookback_scan_determinismE0ES3_SB_PS6_NS8_17constant_iteratorIiNS8_11use_defaultESG_EENS8_10device_ptrIS6_EENSI_IlEEPmSA_NS8_8equal_toIS6_EEEE10hipError_tPvRmT2_T3_mT4_T5_T6_T7_T8_P12ihipStream_tbENKUlT_T0_E_clISt17integral_constantIbLb0EES15_EEDaS10_S11_EUlS10_E_NS1_11comp_targetILNS1_3genE4ELNS1_11target_archE910ELNS1_3gpuE8ELNS1_3repE0EEENS1_30default_config_static_selectorELNS0_4arch9wavefront6targetE1EEEvT1_,"axG",@progbits,_ZN7rocprim17ROCPRIM_400000_NS6detail17trampoline_kernelINS0_14default_configENS1_29reduce_by_key_config_selectorIN3c108BFloat16ElN6thrust23THRUST_200600_302600_NS4plusIlEEEEZZNS1_33reduce_by_key_impl_wrapped_configILNS1_25lookback_scan_determinismE0ES3_SB_PS6_NS8_17constant_iteratorIiNS8_11use_defaultESG_EENS8_10device_ptrIS6_EENSI_IlEEPmSA_NS8_8equal_toIS6_EEEE10hipError_tPvRmT2_T3_mT4_T5_T6_T7_T8_P12ihipStream_tbENKUlT_T0_E_clISt17integral_constantIbLb0EES15_EEDaS10_S11_EUlS10_E_NS1_11comp_targetILNS1_3genE4ELNS1_11target_archE910ELNS1_3gpuE8ELNS1_3repE0EEENS1_30default_config_static_selectorELNS0_4arch9wavefront6targetE1EEEvT1_,comdat
	.protected	_ZN7rocprim17ROCPRIM_400000_NS6detail17trampoline_kernelINS0_14default_configENS1_29reduce_by_key_config_selectorIN3c108BFloat16ElN6thrust23THRUST_200600_302600_NS4plusIlEEEEZZNS1_33reduce_by_key_impl_wrapped_configILNS1_25lookback_scan_determinismE0ES3_SB_PS6_NS8_17constant_iteratorIiNS8_11use_defaultESG_EENS8_10device_ptrIS6_EENSI_IlEEPmSA_NS8_8equal_toIS6_EEEE10hipError_tPvRmT2_T3_mT4_T5_T6_T7_T8_P12ihipStream_tbENKUlT_T0_E_clISt17integral_constantIbLb0EES15_EEDaS10_S11_EUlS10_E_NS1_11comp_targetILNS1_3genE4ELNS1_11target_archE910ELNS1_3gpuE8ELNS1_3repE0EEENS1_30default_config_static_selectorELNS0_4arch9wavefront6targetE1EEEvT1_ ; -- Begin function _ZN7rocprim17ROCPRIM_400000_NS6detail17trampoline_kernelINS0_14default_configENS1_29reduce_by_key_config_selectorIN3c108BFloat16ElN6thrust23THRUST_200600_302600_NS4plusIlEEEEZZNS1_33reduce_by_key_impl_wrapped_configILNS1_25lookback_scan_determinismE0ES3_SB_PS6_NS8_17constant_iteratorIiNS8_11use_defaultESG_EENS8_10device_ptrIS6_EENSI_IlEEPmSA_NS8_8equal_toIS6_EEEE10hipError_tPvRmT2_T3_mT4_T5_T6_T7_T8_P12ihipStream_tbENKUlT_T0_E_clISt17integral_constantIbLb0EES15_EEDaS10_S11_EUlS10_E_NS1_11comp_targetILNS1_3genE4ELNS1_11target_archE910ELNS1_3gpuE8ELNS1_3repE0EEENS1_30default_config_static_selectorELNS0_4arch9wavefront6targetE1EEEvT1_
	.globl	_ZN7rocprim17ROCPRIM_400000_NS6detail17trampoline_kernelINS0_14default_configENS1_29reduce_by_key_config_selectorIN3c108BFloat16ElN6thrust23THRUST_200600_302600_NS4plusIlEEEEZZNS1_33reduce_by_key_impl_wrapped_configILNS1_25lookback_scan_determinismE0ES3_SB_PS6_NS8_17constant_iteratorIiNS8_11use_defaultESG_EENS8_10device_ptrIS6_EENSI_IlEEPmSA_NS8_8equal_toIS6_EEEE10hipError_tPvRmT2_T3_mT4_T5_T6_T7_T8_P12ihipStream_tbENKUlT_T0_E_clISt17integral_constantIbLb0EES15_EEDaS10_S11_EUlS10_E_NS1_11comp_targetILNS1_3genE4ELNS1_11target_archE910ELNS1_3gpuE8ELNS1_3repE0EEENS1_30default_config_static_selectorELNS0_4arch9wavefront6targetE1EEEvT1_
	.p2align	8
	.type	_ZN7rocprim17ROCPRIM_400000_NS6detail17trampoline_kernelINS0_14default_configENS1_29reduce_by_key_config_selectorIN3c108BFloat16ElN6thrust23THRUST_200600_302600_NS4plusIlEEEEZZNS1_33reduce_by_key_impl_wrapped_configILNS1_25lookback_scan_determinismE0ES3_SB_PS6_NS8_17constant_iteratorIiNS8_11use_defaultESG_EENS8_10device_ptrIS6_EENSI_IlEEPmSA_NS8_8equal_toIS6_EEEE10hipError_tPvRmT2_T3_mT4_T5_T6_T7_T8_P12ihipStream_tbENKUlT_T0_E_clISt17integral_constantIbLb0EES15_EEDaS10_S11_EUlS10_E_NS1_11comp_targetILNS1_3genE4ELNS1_11target_archE910ELNS1_3gpuE8ELNS1_3repE0EEENS1_30default_config_static_selectorELNS0_4arch9wavefront6targetE1EEEvT1_,@function
_ZN7rocprim17ROCPRIM_400000_NS6detail17trampoline_kernelINS0_14default_configENS1_29reduce_by_key_config_selectorIN3c108BFloat16ElN6thrust23THRUST_200600_302600_NS4plusIlEEEEZZNS1_33reduce_by_key_impl_wrapped_configILNS1_25lookback_scan_determinismE0ES3_SB_PS6_NS8_17constant_iteratorIiNS8_11use_defaultESG_EENS8_10device_ptrIS6_EENSI_IlEEPmSA_NS8_8equal_toIS6_EEEE10hipError_tPvRmT2_T3_mT4_T5_T6_T7_T8_P12ihipStream_tbENKUlT_T0_E_clISt17integral_constantIbLb0EES15_EEDaS10_S11_EUlS10_E_NS1_11comp_targetILNS1_3genE4ELNS1_11target_archE910ELNS1_3gpuE8ELNS1_3repE0EEENS1_30default_config_static_selectorELNS0_4arch9wavefront6targetE1EEEvT1_: ; @_ZN7rocprim17ROCPRIM_400000_NS6detail17trampoline_kernelINS0_14default_configENS1_29reduce_by_key_config_selectorIN3c108BFloat16ElN6thrust23THRUST_200600_302600_NS4plusIlEEEEZZNS1_33reduce_by_key_impl_wrapped_configILNS1_25lookback_scan_determinismE0ES3_SB_PS6_NS8_17constant_iteratorIiNS8_11use_defaultESG_EENS8_10device_ptrIS6_EENSI_IlEEPmSA_NS8_8equal_toIS6_EEEE10hipError_tPvRmT2_T3_mT4_T5_T6_T7_T8_P12ihipStream_tbENKUlT_T0_E_clISt17integral_constantIbLb0EES15_EEDaS10_S11_EUlS10_E_NS1_11comp_targetILNS1_3genE4ELNS1_11target_archE910ELNS1_3gpuE8ELNS1_3repE0EEENS1_30default_config_static_selectorELNS0_4arch9wavefront6targetE1EEEvT1_
; %bb.0:
	s_load_dwordx16 s[40:55], s[4:5], 0x40
	s_load_dwordx4 s[0:3], s[4:5], 0x0
	s_load_dword s10, s[4:5], 0x18
	s_load_dwordx4 s[56:59], s[4:5], 0x20
	s_load_dwordx2 s[38:39], s[4:5], 0x30
	s_waitcnt lgkmcnt(0)
	s_mul_i32 s7, s48, s47
	s_mul_hi_u32 s8, s48, s46
	s_add_i32 s7, s8, s7
	s_mul_i32 s8, s49, s46
	s_add_i32 s7, s7, s8
	s_lshl_b64 s[2:3], s[2:3], 1
	s_add_u32 s2, s0, s2
	s_addc_u32 s3, s1, s3
	s_mul_i32 s0, s6, 0xf00
	s_mov_b32 s1, 0
	s_lshl_b64 s[0:1], s[0:1], 1
	s_add_u32 s2, s2, s0
	s_mul_i32 s8, s48, s46
	s_addc_u32 s3, s3, s1
	s_add_u32 s0, s8, s6
	s_addc_u32 s1, s7, 0
	s_add_u32 s14, s50, -1
	s_addc_u32 s15, s51, -1
	s_cmp_eq_u64 s[0:1], s[14:15]
	s_cselect_b64 s[48:49], -1, 0
	s_cmp_lg_u64 s[0:1], s[14:15]
	s_mov_b64 s[12:13], -1
	s_cselect_b64 s[8:9], -1, 0
	s_mul_i32 s33, s14, 0xfffff100
	s_and_b64 vcc, exec, s[48:49]
	s_cbranch_vccnz .LBB2055_2
; %bb.1:
	v_lshlrev_b32_e32 v1, 1, v0
	v_mov_b32_e32 v2, s3
	v_add_co_u32_e32 v3, vcc, s2, v1
	v_addc_co_u32_e32 v4, vcc, 0, v2, vcc
	v_add_co_u32_e32 v2, vcc, 0x1000, v3
	v_addc_co_u32_e32 v3, vcc, 0, v4, vcc
	global_load_ushort v6, v1, s[2:3]
	global_load_ushort v7, v1, s[2:3] offset:512
	global_load_ushort v8, v1, s[2:3] offset:1024
	;; [unrolled: 1-line block ×7, first 2 shown]
	global_load_ushort v17, v[2:3], off
	global_load_ushort v18, v[2:3], off offset:512
	global_load_ushort v19, v[2:3], off offset:1024
	;; [unrolled: 1-line block ×6, first 2 shown]
	v_mad_u32_u24 v28, v0, 28, v1
	s_ashr_i32 s11, s10, 31
	s_movk_i32 s7, 0xffea
	v_mul_u32_u24_e32 v2, 15, v0
	v_mad_u32_u24 v10, v0, 15, 2
	v_mad_u32_u24 v5, v0, 15, 4
	;; [unrolled: 1-line block ×7, first 2 shown]
	v_pk_mov_b32 v[12:13], s[10:11], s[10:11] op_sel:[0,1]
	v_mad_i32_i24 v29, v0, s7, v28
	s_waitcnt vmcnt(14)
	ds_write_b16 v1, v6
	s_waitcnt vmcnt(13)
	ds_write_b16 v1, v7 offset:512
	s_waitcnt vmcnt(12)
	ds_write_b16 v1, v8 offset:1024
	;; [unrolled: 2-line block ×14, first 2 shown]
	s_waitcnt lgkmcnt(0)
	s_barrier
	ds_read_b128 v[6:9], v28
	ds_read_b96 v[22:24], v28 offset:16
	ds_read_u16 v1, v28 offset:28
	s_waitcnt lgkmcnt(0)
	s_barrier
	ds_write2st64_b64 v29, v[12:13], v[12:13] offset1:4
	ds_write2st64_b64 v29, v[12:13], v[12:13] offset0:8 offset1:12
	ds_write2st64_b64 v29, v[12:13], v[12:13] offset0:16 offset1:20
	;; [unrolled: 1-line block ×6, first 2 shown]
	ds_write_b64 v29, v[12:13] offset:28672
	s_waitcnt lgkmcnt(0)
	s_barrier
	s_load_dwordx2 s[60:61], s[4:5], 0x80
	s_add_i32 s33, s33, s52
	s_cbranch_execz .LBB2055_3
	s_branch .LBB2055_34
.LBB2055_2:
                                        ; implicit-def: $vgpr24
                                        ; implicit-def: $vgpr9
                                        ; implicit-def: $vgpr25
                                        ; implicit-def: $vgpr26
                                        ; implicit-def: $vgpr27
                                        ; implicit-def: $vgpr3
                                        ; implicit-def: $vgpr4
                                        ; implicit-def: $vgpr5
                                        ; implicit-def: $vgpr10
                                        ; implicit-def: $vgpr2
                                        ; implicit-def: $vgpr1
	s_load_dwordx2 s[60:61], s[4:5], 0x80
	s_andn2_b64 vcc, exec, s[12:13]
	s_add_i32 s33, s33, s52
	s_cbranch_vccnz .LBB2055_34
.LBB2055_3:
	v_cmp_gt_u32_e32 vcc, s33, v0
                                        ; implicit-def: $vgpr1
	s_and_saveexec_b64 s[4:5], vcc
	s_cbranch_execz .LBB2055_5
; %bb.4:
	v_lshlrev_b32_e32 v1, 1, v0
	global_load_ushort v1, v1, s[2:3]
.LBB2055_5:
	s_or_b64 exec, exec, s[4:5]
	v_or_b32_e32 v2, 0x100, v0
	v_cmp_gt_u32_e32 vcc, s33, v2
                                        ; implicit-def: $vgpr2
	s_and_saveexec_b64 s[4:5], vcc
	s_cbranch_execz .LBB2055_7
; %bb.6:
	v_lshlrev_b32_e32 v2, 1, v0
	global_load_ushort v2, v2, s[2:3] offset:512
.LBB2055_7:
	s_or_b64 exec, exec, s[4:5]
	v_or_b32_e32 v3, 0x200, v0
	v_cmp_gt_u32_e32 vcc, s33, v3
                                        ; implicit-def: $vgpr3
	s_and_saveexec_b64 s[4:5], vcc
	s_cbranch_execz .LBB2055_9
; %bb.8:
	v_lshlrev_b32_e32 v3, 1, v0
	global_load_ushort v3, v3, s[2:3] offset:1024
.LBB2055_9:
	s_or_b64 exec, exec, s[4:5]
	v_or_b32_e32 v4, 0x300, v0
	v_cmp_gt_u32_e32 vcc, s33, v4
                                        ; implicit-def: $vgpr4
	s_and_saveexec_b64 s[4:5], vcc
	s_cbranch_execz .LBB2055_11
; %bb.10:
	v_lshlrev_b32_e32 v4, 1, v0
	global_load_ushort v4, v4, s[2:3] offset:1536
.LBB2055_11:
	s_or_b64 exec, exec, s[4:5]
	v_or_b32_e32 v5, 0x400, v0
	v_cmp_gt_u32_e32 vcc, s33, v5
                                        ; implicit-def: $vgpr5
	s_and_saveexec_b64 s[4:5], vcc
	s_cbranch_execz .LBB2055_13
; %bb.12:
	v_lshlrev_b32_e32 v5, 1, v0
	global_load_ushort v5, v5, s[2:3] offset:2048
.LBB2055_13:
	s_or_b64 exec, exec, s[4:5]
	v_or_b32_e32 v6, 0x500, v0
	v_cmp_gt_u32_e32 vcc, s33, v6
                                        ; implicit-def: $vgpr6
	s_and_saveexec_b64 s[4:5], vcc
	s_cbranch_execz .LBB2055_15
; %bb.14:
	v_lshlrev_b32_e32 v6, 1, v0
	global_load_ushort v6, v6, s[2:3] offset:2560
.LBB2055_15:
	s_or_b64 exec, exec, s[4:5]
	v_or_b32_e32 v7, 0x600, v0
	v_cmp_gt_u32_e32 vcc, s33, v7
                                        ; implicit-def: $vgpr7
	s_and_saveexec_b64 s[4:5], vcc
	s_cbranch_execz .LBB2055_17
; %bb.16:
	v_lshlrev_b32_e32 v7, 1, v0
	global_load_ushort v7, v7, s[2:3] offset:3072
.LBB2055_17:
	s_or_b64 exec, exec, s[4:5]
	v_or_b32_e32 v8, 0x700, v0
	v_cmp_gt_u32_e32 vcc, s33, v8
                                        ; implicit-def: $vgpr8
	s_and_saveexec_b64 s[4:5], vcc
	s_cbranch_execz .LBB2055_19
; %bb.18:
	v_lshlrev_b32_e32 v8, 1, v0
	global_load_ushort v8, v8, s[2:3] offset:3584
.LBB2055_19:
	s_or_b64 exec, exec, s[4:5]
	v_or_b32_e32 v10, 0x800, v0
	v_cmp_gt_u32_e32 vcc, s33, v10
                                        ; implicit-def: $vgpr9
	s_and_saveexec_b64 s[4:5], vcc
	s_cbranch_execz .LBB2055_21
; %bb.20:
	v_lshlrev_b32_e32 v9, 1, v10
	global_load_ushort v9, v9, s[2:3]
.LBB2055_21:
	s_or_b64 exec, exec, s[4:5]
	v_or_b32_e32 v11, 0x900, v0
	v_cmp_gt_u32_e32 vcc, s33, v11
                                        ; implicit-def: $vgpr10
	s_and_saveexec_b64 s[4:5], vcc
	s_cbranch_execz .LBB2055_23
; %bb.22:
	v_lshlrev_b32_e32 v10, 1, v11
	global_load_ushort v10, v10, s[2:3]
.LBB2055_23:
	s_or_b64 exec, exec, s[4:5]
	v_or_b32_e32 v12, 0xa00, v0
	v_cmp_gt_u32_e32 vcc, s33, v12
                                        ; implicit-def: $vgpr11
	s_and_saveexec_b64 s[4:5], vcc
	s_cbranch_execz .LBB2055_25
; %bb.24:
	v_lshlrev_b32_e32 v11, 1, v12
	global_load_ushort v11, v11, s[2:3]
.LBB2055_25:
	s_or_b64 exec, exec, s[4:5]
	v_or_b32_e32 v13, 0xb00, v0
	v_cmp_gt_u32_e32 vcc, s33, v13
                                        ; implicit-def: $vgpr12
	s_and_saveexec_b64 s[4:5], vcc
	s_cbranch_execz .LBB2055_27
; %bb.26:
	v_lshlrev_b32_e32 v12, 1, v13
	global_load_ushort v12, v12, s[2:3]
.LBB2055_27:
	s_or_b64 exec, exec, s[4:5]
	v_or_b32_e32 v14, 0xc00, v0
	v_cmp_gt_u32_e32 vcc, s33, v14
                                        ; implicit-def: $vgpr13
	s_and_saveexec_b64 s[4:5], vcc
	s_cbranch_execz .LBB2055_29
; %bb.28:
	v_lshlrev_b32_e32 v13, 1, v14
	global_load_ushort v13, v13, s[2:3]
.LBB2055_29:
	s_or_b64 exec, exec, s[4:5]
	v_or_b32_e32 v15, 0xd00, v0
	v_cmp_gt_u32_e32 vcc, s33, v15
                                        ; implicit-def: $vgpr14
	s_and_saveexec_b64 s[4:5], vcc
	s_cbranch_execz .LBB2055_31
; %bb.30:
	v_lshlrev_b32_e32 v14, 1, v15
	global_load_ushort v14, v14, s[2:3]
.LBB2055_31:
	s_or_b64 exec, exec, s[4:5]
	v_or_b32_e32 v16, 0xe00, v0
	v_cmp_gt_u32_e32 vcc, s33, v16
                                        ; implicit-def: $vgpr15
	s_and_saveexec_b64 s[4:5], vcc
	s_cbranch_execz .LBB2055_33
; %bb.32:
	v_lshlrev_b32_e32 v15, 1, v16
	global_load_ushort v15, v15, s[2:3]
.LBB2055_33:
	s_or_b64 exec, exec, s[4:5]
	v_lshlrev_b32_e32 v16, 1, v0
	s_waitcnt vmcnt(0)
	ds_write_b16 v16, v1
	ds_write_b16 v16, v2 offset:512
	ds_write_b16 v16, v3 offset:1024
	;; [unrolled: 1-line block ×14, first 2 shown]
	v_mad_u32_u24 v11, v0, 28, v16
	s_waitcnt lgkmcnt(0)
	s_barrier
	ds_read_b128 v[6:9], v11
	ds_read_b96 v[22:24], v11 offset:16
	ds_read_u16 v1, v11 offset:28
	s_ashr_i32 s11, s10, 31
	s_movk_i32 s4, 0xffea
	v_mul_u32_u24_e32 v2, 15, v0
	v_mad_u32_u24 v10, v0, 15, 2
	v_mad_u32_u24 v5, v0, 15, 4
	;; [unrolled: 1-line block ×7, first 2 shown]
	v_mad_i32_i24 v11, v0, s4, v11
	v_pk_mov_b32 v[12:13], s[10:11], s[10:11] op_sel:[0,1]
	s_waitcnt lgkmcnt(0)
	s_barrier
	ds_write2st64_b64 v11, v[12:13], v[12:13] offset1:4
	ds_write2st64_b64 v11, v[12:13], v[12:13] offset0:8 offset1:12
	ds_write2st64_b64 v11, v[12:13], v[12:13] offset0:16 offset1:20
	;; [unrolled: 1-line block ×6, first 2 shown]
	ds_write_b64 v11, v[12:13] offset:28672
	s_waitcnt lgkmcnt(0)
	s_barrier
.LBB2055_34:
	v_lshlrev_b32_e32 v2, 3, v2
	v_lshlrev_b32_e32 v10, 3, v10
	;; [unrolled: 1-line block ×5, first 2 shown]
	s_waitcnt lgkmcnt(0)
	ds_read2_b64 v[18:21], v2 offset1:1
	ds_read_b64 v[34:35], v10
	ds_read2_b64 v[14:17], v2 offset0:3 offset1:5
	ds_read2_b64 v[10:13], v2 offset0:7 offset1:9
	v_lshlrev_b32_e32 v27, 3, v27
	ds_read_b64 v[36:37], v5
	ds_read_b64 v[32:33], v4
	;; [unrolled: 1-line block ×4, first 2 shown]
	ds_read2_b64 v[2:5], v2 offset0:11 offset1:13
	v_lshlrev_b32_e32 v26, 3, v26
	v_lshlrev_b32_e32 v25, 3, v25
	ds_read_b64 v[26:27], v26
	ds_read_b64 v[38:39], v25
	s_cmp_eq_u64 s[0:1], 0
	s_cselect_b64 s[50:51], -1, 0
	s_cmp_lg_u64 s[0:1], 0
	s_mov_b64 s[4:5], 0
	s_cselect_b64 s[10:11], -1, 0
	s_and_b64 vcc, exec, s[8:9]
	s_waitcnt lgkmcnt(0)
	s_barrier
	s_cbranch_vccz .LBB2055_40
; %bb.35:
	s_and_b64 vcc, exec, s[10:11]
	s_cbranch_vccz .LBB2055_41
; %bb.36:
	v_mov_b32_e32 v25, 0
	global_load_ushort v40, v25, s[2:3] offset:-2
	v_lshlrev_b32_e32 v25, 1, v0
	v_cmp_ne_u32_e32 vcc, 0, v0
	ds_write_b16 v25, v1
	s_waitcnt lgkmcnt(0)
	s_barrier
	s_and_saveexec_b64 s[4:5], vcc
	s_cbranch_execz .LBB2055_38
; %bb.37:
	v_add_u32_e32 v25, -2, v25
	s_waitcnt vmcnt(0)
	ds_read_u16 v40, v25
.LBB2055_38:
	s_or_b64 exec, exec, s[4:5]
	v_and_b32_e32 v52, 0xffff0000, v6
	v_lshlrev_b32_e32 v53, 16, v6
	v_lshlrev_b32_e32 v54, 16, v7
	v_cmp_neq_f32_e32 vcc, v52, v53
	v_and_b32_e32 v51, 0xffff0000, v7
	v_cndmask_b32_e64 v89, 0, 1, vcc
	v_cmp_neq_f32_e32 vcc, v52, v54
	v_lshlrev_b32_e32 v49, 16, v8
	v_cndmask_b32_e64 v90, 0, 1, vcc
	v_cmp_neq_f32_e32 vcc, v54, v51
	v_and_b32_e32 v48, 0xffff0000, v8
	v_cndmask_b32_e64 v88, 0, 1, vcc
	v_cmp_neq_f32_e32 vcc, v49, v51
	v_lshlrev_b32_e32 v50, 16, v9
	v_cndmask_b32_e64 v85, 0, 1, vcc
	;; [unrolled: 6-line block ×6, first 2 shown]
	v_cmp_neq_f32_e32 vcc, v41, v42
	v_cndmask_b32_e64 v80, 0, 1, vcc
	v_cmp_neq_f32_e32 vcc, v41, v43
	s_waitcnt vmcnt(0) lgkmcnt(0)
	v_lshlrev_b32_e32 v40, 16, v40
	v_cndmask_b32_e64 v81, 0, 1, vcc
	v_cmp_neq_f32_e64 s[8:9], v53, v40
	s_mov_b64 s[4:5], -1
.LBB2055_39:
                                        ; implicit-def: $sgpr7
	s_branch .LBB2055_53
.LBB2055_40:
                                        ; implicit-def: $sgpr8_sgpr9
                                        ; implicit-def: $vgpr81
                                        ; implicit-def: $vgpr80
                                        ; implicit-def: $vgpr25
                                        ; implicit-def: $vgpr83
                                        ; implicit-def: $vgpr84
                                        ; implicit-def: $vgpr78
                                        ; implicit-def: $vgpr79
                                        ; implicit-def: $vgpr86
                                        ; implicit-def: $vgpr87
                                        ; implicit-def: $vgpr82
                                        ; implicit-def: $vgpr85
                                        ; implicit-def: $vgpr88
                                        ; implicit-def: $vgpr90
                                        ; implicit-def: $vgpr89
                                        ; implicit-def: $sgpr7
	s_cbranch_execnz .LBB2055_45
	s_branch .LBB2055_53
.LBB2055_41:
                                        ; implicit-def: $sgpr8_sgpr9
                                        ; implicit-def: $vgpr81
                                        ; implicit-def: $vgpr80
                                        ; implicit-def: $vgpr25
                                        ; implicit-def: $vgpr83
                                        ; implicit-def: $vgpr84
                                        ; implicit-def: $vgpr78
                                        ; implicit-def: $vgpr79
                                        ; implicit-def: $vgpr86
                                        ; implicit-def: $vgpr87
                                        ; implicit-def: $vgpr82
                                        ; implicit-def: $vgpr85
                                        ; implicit-def: $vgpr88
                                        ; implicit-def: $vgpr90
                                        ; implicit-def: $vgpr89
	s_cbranch_execz .LBB2055_39
; %bb.42:
	v_and_b32_e32 v53, 0xffff0000, v6
	v_lshlrev_b32_e32 v41, 16, v6
	v_lshlrev_b32_e32 v54, 16, v7
	v_cmp_neq_f32_e32 vcc, v53, v41
	v_and_b32_e32 v52, 0xffff0000, v7
	v_cndmask_b32_e64 v89, 0, 1, vcc
	v_cmp_neq_f32_e32 vcc, v53, v54
	v_lshlrev_b32_e32 v50, 16, v8
	v_cndmask_b32_e64 v90, 0, 1, vcc
	v_cmp_neq_f32_e32 vcc, v54, v52
	v_and_b32_e32 v49, 0xffff0000, v8
	v_cndmask_b32_e64 v88, 0, 1, vcc
	v_cmp_neq_f32_e32 vcc, v50, v52
	v_lshlrev_b32_e32 v51, 16, v9
	v_cndmask_b32_e64 v85, 0, 1, vcc
	;; [unrolled: 6-line block ×6, first 2 shown]
	v_cmp_neq_f32_e32 vcc, v42, v43
	v_cndmask_b32_e64 v80, 0, 1, vcc
	v_cmp_neq_f32_e32 vcc, v42, v44
	s_mov_b32 s7, 1
	v_lshlrev_b32_e32 v40, 1, v0
	v_cndmask_b32_e64 v81, 0, 1, vcc
	v_cmp_ne_u32_e32 vcc, 0, v0
	ds_write_b16 v40, v1
	s_waitcnt lgkmcnt(0)
	s_barrier
	s_waitcnt lgkmcnt(0)
                                        ; implicit-def: $sgpr8_sgpr9
	s_and_saveexec_b64 s[12:13], vcc
	s_xor_b64 s[12:13], exec, s[12:13]
	s_cbranch_execz .LBB2055_44
; %bb.43:
	v_add_u32_e32 v40, -2, v40
	ds_read_u16 v40, v40
	s_or_b64 s[4:5], s[4:5], exec
	s_waitcnt lgkmcnt(0)
	v_lshlrev_b32_e32 v40, 16, v40
	v_cmp_neq_f32_e32 vcc, v41, v40
	s_and_b64 s[8:9], vcc, exec
.LBB2055_44:
	s_or_b64 exec, exec, s[12:13]
	s_branch .LBB2055_53
.LBB2055_45:
	s_mul_hi_u32 s7, s0, 0xfffff100
	s_mulk_i32 s1, 0xf100
	s_sub_i32 s7, s7, s0
	s_add_i32 s7, s7, s1
	s_mulk_i32 s0, 0xf100
	s_add_u32 s52, s0, s52
	s_addc_u32 s53, s7, s53
	s_and_b64 vcc, exec, s[10:11]
	v_cmp_ne_u32_e64 s[0:1], 0, v0
	s_cbranch_vccz .LBB2055_50
; %bb.46:
	v_mov_b32_e32 v41, 0
	global_load_ushort v44, v41, s[2:3] offset:-2
	v_lshlrev_b32_e32 v25, 1, v0
	v_mul_u32_u24_e32 v42, 15, v0
	ds_write_b16 v25, v1
	s_waitcnt lgkmcnt(0)
	s_barrier
	s_and_saveexec_b64 s[2:3], s[0:1]
	s_cbranch_execz .LBB2055_48
; %bb.47:
	v_add_u32_e32 v25, -2, v25
	s_waitcnt vmcnt(0)
	ds_read_u16 v44, v25
.LBB2055_48:
	s_or_b64 exec, exec, s[2:3]
	s_mov_b32 s0, 0xe000d
	v_pk_add_u16 v40, v42, s0 op_sel_hi:[0,1]
	v_alignbit_b32 v46, 0, v40, 16
	v_and_b32_e32 v40, 0xffff, v40
	v_and_b32_e32 v25, 0xffff0000, v24
	v_cmp_gt_u64_e32 vcc, s[52:53], v[40:41]
	v_lshlrev_b32_e32 v40, 16, v1
	v_lshlrev_b32_e32 v43, 16, v24
	v_cmp_neq_f32_e64 s[2:3], v25, v40
	v_add_u32_e32 v40, 12, v42
	v_and_b32_e32 v49, 0xffff0000, v23
	s_mov_b32 s7, 0xb000a
	v_mov_b32_e32 v47, v41
	v_cmp_gt_u64_e64 s[8:9], s[52:53], v[40:41]
	v_cmp_neq_f32_e64 s[10:11], v49, v43
	v_pk_add_u16 v40, v42, s7 op_sel_hi:[0,1]
	v_cmp_gt_u64_e64 s[0:1], s[52:53], v[46:47]
	s_and_b64 s[8:9], s[8:9], s[10:11]
	v_alignbit_b32 v46, 0, v40, 16
	v_and_b32_e32 v40, 0xffff, v40
	v_cmp_neq_f32_e64 s[4:5], v25, v43
	v_and_b32_e32 v48, 0xffff0000, v22
	v_cndmask_b32_e64 v25, 0, 1, s[8:9]
	v_cmp_gt_u64_e64 s[8:9], s[52:53], v[40:41]
	v_add_u32_e32 v40, 9, v42
	v_lshlrev_b32_e32 v43, 16, v22
	v_lshlrev_b32_e32 v45, 16, v23
	v_cmp_gt_u64_e64 s[16:17], s[52:53], v[40:41]
	v_cmp_neq_f32_e64 s[18:19], v48, v43
	v_cmp_neq_f32_e64 s[14:15], v45, v49
	s_and_b64 s[16:17], s[16:17], s[18:19]
	v_add_u32_e32 v40, 8, v42
	v_and_b32_e32 v49, 0xffff0000, v9
	s_mov_b32 s7, 0x70006
	v_cndmask_b32_e64 v78, 0, 1, s[16:17]
	v_cmp_gt_u64_e64 s[16:17], s[52:53], v[40:41]
	v_cmp_neq_f32_e64 s[18:19], v49, v43
	v_pk_add_u16 v40, v42, s7 op_sel_hi:[0,1]
	v_cmp_gt_u64_e64 s[10:11], s[52:53], v[46:47]
	s_and_b64 s[16:17], s[16:17], s[18:19]
	v_alignbit_b32 v46, 0, v40, 16
	v_and_b32_e32 v40, 0xffff, v40
	v_cmp_neq_f32_e64 s[12:13], v45, v48
	v_and_b32_e32 v48, 0xffff0000, v8
	v_cndmask_b32_e64 v79, 0, 1, s[16:17]
	v_cmp_gt_u64_e64 s[16:17], s[52:53], v[40:41]
	v_add_u32_e32 v40, 5, v42
	v_lshlrev_b32_e32 v43, 16, v8
	v_lshlrev_b32_e32 v45, 16, v9
	v_cmp_gt_u64_e64 s[24:25], s[52:53], v[40:41]
	v_cmp_neq_f32_e64 s[26:27], v48, v43
	v_cmp_neq_f32_e64 s[22:23], v45, v49
	s_and_b64 s[24:25], s[24:25], s[26:27]
	v_add_u32_e32 v40, 4, v42
	v_and_b32_e32 v49, 0xffff0000, v7
	s_mov_b32 s7, 0x30002
	v_cndmask_b32_e64 v82, 0, 1, s[24:25]
	v_cmp_gt_u64_e64 s[24:25], s[52:53], v[40:41]
	v_cmp_neq_f32_e64 s[26:27], v49, v43
	v_pk_add_u16 v40, v42, s7 op_sel_hi:[0,1]
	v_cmp_gt_u64_e64 s[18:19], s[52:53], v[46:47]
	s_and_b64 s[24:25], s[24:25], s[26:27]
	v_alignbit_b32 v46, 0, v40, 16
	v_and_b32_e32 v40, 0xffff, v40
	v_cmp_neq_f32_e64 s[20:21], v45, v48
	v_lshlrev_b32_e32 v45, 16, v7
	v_and_b32_e32 v48, 0xffff0000, v6
	v_cndmask_b32_e64 v85, 0, 1, s[24:25]
	v_cmp_gt_u64_e64 s[24:25], s[52:53], v[40:41]
	v_add_u32_e32 v40, 1, v42
	v_cmp_neq_f32_e64 s[28:29], v45, v48
	v_cmp_gt_u64_e64 s[34:35], s[52:53], v[40:41]
	v_lshlrev_b32_e32 v40, 16, v6
	v_cmp_gt_u64_e64 s[26:27], s[52:53], v[46:47]
	v_cmp_neq_f32_e64 s[30:31], v45, v49
	v_cmp_neq_f32_e64 s[36:37], v48, v40
	s_and_b64 s[24:25], s[24:25], s[28:29]
	s_and_b64 s[16:17], s[16:17], s[20:21]
	;; [unrolled: 1-line block ×4, first 2 shown]
	v_mov_b32_e32 v43, v41
	s_waitcnt vmcnt(0) lgkmcnt(0)
	v_lshlrev_b32_e32 v41, 16, v44
	s_and_b64 s[34:35], s[34:35], s[36:37]
	v_cndmask_b32_e64 v90, 0, 1, s[24:25]
	s_and_b64 s[24:25], s[26:27], s[30:31]
	v_cndmask_b32_e64 v87, 0, 1, s[16:17]
	;; [unrolled: 2-line block ×3, first 2 shown]
	s_and_b64 s[8:9], s[10:11], s[14:15]
	s_and_b64 s[4:5], vcc, s[4:5]
	v_cndmask_b32_e64 v81, 0, 1, s[0:1]
	v_cmp_gt_u64_e32 vcc, s[52:53], v[42:43]
	v_cmp_neq_f32_e64 s[0:1], v41, v40
	v_cndmask_b32_e64 v89, 0, 1, s[34:35]
	v_cndmask_b32_e64 v88, 0, 1, s[24:25]
	;; [unrolled: 1-line block ×5, first 2 shown]
	s_and_b64 s[8:9], vcc, s[0:1]
	s_mov_b64 s[4:5], -1
.LBB2055_49:
                                        ; implicit-def: $sgpr7
	v_mov_b32_e32 v91, s7
	s_and_saveexec_b64 s[0:1], s[4:5]
	s_cbranch_execnz .LBB2055_54
	s_branch .LBB2055_55
.LBB2055_50:
                                        ; implicit-def: $sgpr8_sgpr9
                                        ; implicit-def: $vgpr81
                                        ; implicit-def: $vgpr80
                                        ; implicit-def: $vgpr25
                                        ; implicit-def: $vgpr83
                                        ; implicit-def: $vgpr84
                                        ; implicit-def: $vgpr78
                                        ; implicit-def: $vgpr79
                                        ; implicit-def: $vgpr86
                                        ; implicit-def: $vgpr87
                                        ; implicit-def: $vgpr82
                                        ; implicit-def: $vgpr85
                                        ; implicit-def: $vgpr88
                                        ; implicit-def: $vgpr90
                                        ; implicit-def: $vgpr89
	s_cbranch_execz .LBB2055_49
; %bb.51:
	v_mad_u32_u24 v40, v0, 15, 14
	v_mov_b32_e32 v41, 0
	v_cmp_gt_u64_e32 vcc, s[52:53], v[40:41]
	v_mad_u32_u24 v40, v0, 15, 13
	v_lshlrev_b32_e32 v25, 16, v1
	v_cmp_gt_u64_e64 s[0:1], s[52:53], v[40:41]
	v_and_b32_e32 v40, 0xffff0000, v24
	v_lshlrev_b32_e32 v43, 16, v24
	v_cmp_neq_f32_e64 s[2:3], v40, v25
	s_and_b64 s[2:3], vcc, s[2:3]
	v_cmp_neq_f32_e32 vcc, v43, v40
	v_mad_u32_u24 v40, v0, 15, 12
	s_and_b64 s[0:1], s[0:1], vcc
	v_cmp_gt_u64_e32 vcc, s[52:53], v[40:41]
	v_mad_u32_u24 v40, v0, 15, 11
	v_cndmask_b32_e64 v80, 0, 1, s[0:1]
	v_cmp_gt_u64_e64 s[0:1], s[52:53], v[40:41]
	v_and_b32_e32 v40, 0xffff0000, v23
	v_cndmask_b32_e64 v81, 0, 1, s[2:3]
	v_lshlrev_b32_e32 v44, 16, v23
	v_cmp_neq_f32_e64 s[2:3], v40, v43
	s_and_b64 s[2:3], vcc, s[2:3]
	v_cmp_neq_f32_e32 vcc, v44, v40
	v_mad_u32_u24 v40, v0, 15, 10
	s_and_b64 s[0:1], s[0:1], vcc
	v_cmp_gt_u64_e32 vcc, s[52:53], v[40:41]
	v_mad_u32_u24 v40, v0, 15, 9
	v_cndmask_b32_e64 v83, 0, 1, s[0:1]
	v_cmp_gt_u64_e64 s[0:1], s[52:53], v[40:41]
	v_and_b32_e32 v40, 0xffff0000, v22
	v_cndmask_b32_e64 v25, 0, 1, s[2:3]
	;; [unrolled: 12-line block ×6, first 2 shown]
	v_lshlrev_b32_e32 v43, 16, v6
	v_cmp_neq_f32_e64 s[2:3], v40, v44
	s_and_b64 s[2:3], vcc, s[2:3]
	v_cmp_neq_f32_e32 vcc, v43, v40
	s_and_b64 s[0:1], s[0:1], vcc
	s_mov_b32 s7, 1
	v_lshlrev_b32_e32 v42, 1, v0
	v_cndmask_b32_e64 v90, 0, 1, s[2:3]
	v_cndmask_b32_e64 v89, 0, 1, s[0:1]
	v_cmp_ne_u32_e32 vcc, 0, v0
	ds_write_b16 v42, v1
	s_waitcnt lgkmcnt(0)
	s_barrier
	s_waitcnt lgkmcnt(0)
                                        ; implicit-def: $sgpr8_sgpr9
	s_and_saveexec_b64 s[2:3], vcc
	s_cbranch_execz .LBB2055_202
; %bb.52:
	v_add_u32_e32 v40, -2, v42
	ds_read_u16 v42, v40
	v_mul_u32_u24_e32 v40, 15, v0
	v_cmp_gt_u64_e32 vcc, s[52:53], v[40:41]
	s_or_b64 s[4:5], s[4:5], exec
	s_waitcnt lgkmcnt(0)
	v_lshlrev_b32_e32 v40, 16, v42
	v_cmp_neq_f32_e64 s[0:1], v43, v40
	s_and_b64 s[0:1], vcc, s[0:1]
	s_and_b64 s[8:9], s[0:1], exec
	s_or_b64 exec, exec, s[2:3]
.LBB2055_53:
	v_mov_b32_e32 v91, s7
	s_and_saveexec_b64 s[0:1], s[4:5]
.LBB2055_54:
	v_cndmask_b32_e64 v91, 0, 1, s[8:9]
.LBB2055_55:
	s_or_b64 exec, exec, s[0:1]
	s_cmp_eq_u64 s[46:47], 0
	v_add3_u32 v40, v89, v91, v90
	v_mov_b32_e32 v74, v18
	v_mov_b32_e32 v75, v19
	s_cselect_b64 s[30:31], -1, 0
	s_cmp_lg_u32 s6, 0
	v_cmp_eq_u32_e64 s[24:25], 0, v89
	v_cmp_eq_u32_e64 s[22:23], 0, v90
	;; [unrolled: 1-line block ×3, first 2 shown]
	v_add3_u32 v94, v40, v88, v85
	v_cmp_eq_u32_e64 s[18:19], 0, v85
	v_cmp_eq_u32_e64 s[16:17], 0, v82
	;; [unrolled: 1-line block ×10, first 2 shown]
	v_cmp_eq_u32_e32 vcc, 0, v81
	v_mbcnt_lo_u32_b32 v93, -1, 0
	s_cbranch_scc0 .LBB2055_122
; %bb.56:
	v_cndmask_b32_e64 v41, 0, v18, s[24:25]
	v_cndmask_b32_e64 v40, 0, v19, s[24:25]
	v_add_co_u32_e64 v41, s[26:27], v41, v20
	v_addc_co_u32_e64 v40, s[26:27], v40, v21, s[26:27]
	v_cndmask_b32_e64 v41, 0, v41, s[22:23]
	v_cndmask_b32_e64 v40, 0, v40, s[22:23]
	v_add_co_u32_e64 v41, s[26:27], v41, v34
	v_addc_co_u32_e64 v40, s[26:27], v40, v35, s[26:27]
	;; [unrolled: 4-line block ×11, first 2 shown]
	v_cndmask_b32_e64 v41, 0, v41, s[2:3]
	v_add3_u32 v42, v94, v82, v87
	v_cndmask_b32_e64 v40, 0, v40, s[2:3]
	v_add_co_u32_e64 v41, s[26:27], v41, v26
	v_add3_u32 v42, v42, v86, v79
	v_addc_co_u32_e64 v40, s[26:27], v40, v27, s[26:27]
	v_cndmask_b32_e64 v41, 0, v41, s[0:1]
	v_add3_u32 v42, v42, v78, v84
	v_cndmask_b32_e64 v40, 0, v40, s[0:1]
	v_add_co_u32_e64 v41, s[26:27], v41, v4
	v_add3_u32 v42, v42, v83, v25
	v_addc_co_u32_e64 v40, s[26:27], v40, v5, s[26:27]
	v_cndmask_b32_e32 v41, 0, v41, vcc
	v_add3_u32 v44, v42, v80, v81
	v_cndmask_b32_e32 v40, 0, v40, vcc
	v_add_co_u32_e32 v42, vcc, v41, v38
	v_mbcnt_hi_u32_b32 v45, -1, v93
	v_addc_co_u32_e32 v43, vcc, v40, v39, vcc
	v_and_b32_e32 v40, 15, v45
	v_mov_b32_dpp v46, v44 row_shr:1 row_mask:0xf bank_mask:0xf
	v_mov_b32_dpp v41, v42 row_shr:1 row_mask:0xf bank_mask:0xf
	v_mov_b32_dpp v47, v43 row_shr:1 row_mask:0xf bank_mask:0xf
	v_cmp_ne_u32_e32 vcc, 0, v40
	s_and_saveexec_b64 s[26:27], vcc
; %bb.57:
	v_cmp_eq_u32_e32 vcc, 0, v44
	v_cndmask_b32_e32 v41, 0, v41, vcc
	v_add_u32_e32 v46, v46, v44
	v_cndmask_b32_e32 v44, 0, v47, vcc
	v_add_co_u32_e32 v42, vcc, v41, v42
	v_addc_co_u32_e32 v43, vcc, v44, v43, vcc
	v_mov_b32_e32 v44, v46
; %bb.58:
	s_or_b64 exec, exec, s[26:27]
	s_nop 0
	v_mov_b32_dpp v46, v44 row_shr:2 row_mask:0xf bank_mask:0xf
	v_mov_b32_dpp v41, v42 row_shr:2 row_mask:0xf bank_mask:0xf
	v_mov_b32_dpp v47, v43 row_shr:2 row_mask:0xf bank_mask:0xf
	v_cmp_lt_u32_e32 vcc, 1, v40
	s_and_saveexec_b64 s[26:27], vcc
; %bb.59:
	v_cmp_eq_u32_e32 vcc, 0, v44
	v_cndmask_b32_e32 v41, 0, v41, vcc
	v_add_u32_e32 v46, v46, v44
	v_cndmask_b32_e32 v44, 0, v47, vcc
	v_add_co_u32_e32 v42, vcc, v41, v42
	v_addc_co_u32_e32 v43, vcc, v44, v43, vcc
	v_mov_b32_e32 v44, v46
; %bb.60:
	s_or_b64 exec, exec, s[26:27]
	s_nop 0
	v_mov_b32_dpp v46, v44 row_shr:4 row_mask:0xf bank_mask:0xf
	v_mov_b32_dpp v41, v42 row_shr:4 row_mask:0xf bank_mask:0xf
	v_mov_b32_dpp v47, v43 row_shr:4 row_mask:0xf bank_mask:0xf
	v_cmp_lt_u32_e32 vcc, 3, v40
	;; [unrolled: 16-line block ×3, first 2 shown]
	s_and_saveexec_b64 s[26:27], vcc
; %bb.63:
	v_cmp_eq_u32_e32 vcc, 0, v44
	v_cndmask_b32_e32 v41, 0, v41, vcc
	v_add_u32_e32 v40, v46, v44
	v_cndmask_b32_e32 v44, 0, v47, vcc
	v_add_co_u32_e32 v42, vcc, v41, v42
	v_addc_co_u32_e32 v43, vcc, v44, v43, vcc
	v_mov_b32_e32 v44, v40
; %bb.64:
	s_or_b64 exec, exec, s[26:27]
	v_and_b32_e32 v47, 16, v45
	v_mov_b32_dpp v41, v44 row_bcast:15 row_mask:0xf bank_mask:0xf
	v_mov_b32_dpp v40, v42 row_bcast:15 row_mask:0xf bank_mask:0xf
	v_mov_b32_dpp v46, v43 row_bcast:15 row_mask:0xf bank_mask:0xf
	v_cmp_ne_u32_e32 vcc, 0, v47
	s_and_saveexec_b64 s[26:27], vcc
; %bb.65:
	v_cmp_eq_u32_e32 vcc, 0, v44
	v_cndmask_b32_e32 v40, 0, v40, vcc
	v_add_u32_e32 v41, v41, v44
	v_cndmask_b32_e32 v44, 0, v46, vcc
	v_add_co_u32_e32 v42, vcc, v40, v42
	v_addc_co_u32_e32 v43, vcc, v44, v43, vcc
	v_mov_b32_e32 v44, v41
; %bb.66:
	s_or_b64 exec, exec, s[26:27]
	s_nop 0
	v_mov_b32_dpp v41, v44 row_bcast:31 row_mask:0xf bank_mask:0xf
	v_mov_b32_dpp v40, v42 row_bcast:31 row_mask:0xf bank_mask:0xf
	v_mov_b32_dpp v46, v43 row_bcast:31 row_mask:0xf bank_mask:0xf
	v_cmp_lt_u32_e32 vcc, 31, v45
	s_and_saveexec_b64 s[26:27], vcc
; %bb.67:
	v_cmp_eq_u32_e32 vcc, 0, v44
	v_cndmask_b32_e32 v40, 0, v40, vcc
	v_add_u32_e32 v41, v41, v44
	v_cndmask_b32_e32 v44, 0, v46, vcc
	v_add_co_u32_e32 v42, vcc, v40, v42
	v_addc_co_u32_e32 v43, vcc, v44, v43, vcc
	v_mov_b32_e32 v44, v41
; %bb.68:
	s_or_b64 exec, exec, s[26:27]
	v_lshrrev_b32_e32 v40, 6, v0
	v_or_b32_e32 v41, 63, v0
	v_cmp_eq_u32_e32 vcc, v41, v0
	v_lshlrev_b32_e32 v46, 4, v40
	s_and_saveexec_b64 s[26:27], vcc
	s_cbranch_execz .LBB2055_70
; %bb.69:
	ds_write_b32 v46, v44 offset:1056
	ds_write_b64 v46, v[42:43] offset:1064
.LBB2055_70:
	s_or_b64 exec, exec, s[26:27]
	v_cmp_gt_u32_e32 vcc, 4, v0
	s_waitcnt lgkmcnt(0)
	s_barrier
	s_and_saveexec_b64 s[26:27], vcc
	s_cbranch_execz .LBB2055_76
; %bb.71:
	v_lshlrev_b32_e32 v47, 4, v0
	ds_read_b32 v48, v47 offset:1056
	ds_read_b64 v[40:41], v47 offset:1064
	v_and_b32_e32 v49, 3, v45
	v_cmp_ne_u32_e32 vcc, 0, v49
	s_waitcnt lgkmcnt(1)
	v_mov_b32_dpp v51, v48 row_shr:1 row_mask:0xf bank_mask:0xf
	s_waitcnt lgkmcnt(0)
	v_mov_b32_dpp v50, v40 row_shr:1 row_mask:0xf bank_mask:0xf
	v_mov_b32_dpp v52, v41 row_shr:1 row_mask:0xf bank_mask:0xf
	s_and_saveexec_b64 s[34:35], vcc
; %bb.72:
	v_cmp_eq_u32_e32 vcc, 0, v48
	v_cndmask_b32_e32 v50, 0, v50, vcc
	v_add_u32_e32 v51, v51, v48
	v_cndmask_b32_e32 v48, 0, v52, vcc
	v_add_co_u32_e32 v40, vcc, v50, v40
	v_addc_co_u32_e32 v41, vcc, v48, v41, vcc
	v_mov_b32_e32 v48, v51
; %bb.73:
	s_or_b64 exec, exec, s[34:35]
	s_nop 0
	v_mov_b32_dpp v51, v48 row_shr:2 row_mask:0xf bank_mask:0xf
	v_mov_b32_dpp v50, v40 row_shr:2 row_mask:0xf bank_mask:0xf
	;; [unrolled: 1-line block ×3, first 2 shown]
	v_cmp_lt_u32_e32 vcc, 1, v49
	s_and_saveexec_b64 s[34:35], vcc
; %bb.74:
	v_cmp_eq_u32_e32 vcc, 0, v48
	v_cndmask_b32_e32 v50, 0, v50, vcc
	v_add_u32_e32 v49, v51, v48
	v_cndmask_b32_e32 v48, 0, v52, vcc
	v_add_co_u32_e32 v40, vcc, v50, v40
	v_addc_co_u32_e32 v41, vcc, v48, v41, vcc
	v_mov_b32_e32 v48, v49
; %bb.75:
	s_or_b64 exec, exec, s[34:35]
	ds_write_b32 v47, v48 offset:1056
	ds_write_b64 v47, v[40:41] offset:1064
.LBB2055_76:
	s_or_b64 exec, exec, s[26:27]
	v_cmp_gt_u32_e32 vcc, 64, v0
	v_cmp_lt_u32_e64 s[26:27], 63, v0
	v_pk_mov_b32 v[40:41], 0, 0
	v_mov_b32_e32 v52, 0
	s_waitcnt lgkmcnt(0)
	s_barrier
	s_and_saveexec_b64 s[34:35], s[26:27]
	s_cbranch_execz .LBB2055_78
; %bb.77:
	ds_read_b32 v52, v46 offset:1040
	ds_read_b64 v[40:41], v46 offset:1048
	v_cmp_eq_u32_e64 s[26:27], 0, v44
	s_waitcnt lgkmcnt(1)
	v_add_u32_e32 v46, v52, v44
	s_waitcnt lgkmcnt(0)
	v_cndmask_b32_e64 v47, 0, v40, s[26:27]
	v_cndmask_b32_e64 v44, 0, v41, s[26:27]
	v_add_co_u32_e64 v42, s[26:27], v47, v42
	v_addc_co_u32_e64 v43, s[26:27], v44, v43, s[26:27]
	v_mov_b32_e32 v44, v46
.LBB2055_78:
	s_or_b64 exec, exec, s[34:35]
	v_add_u32_e32 v46, -1, v45
	v_and_b32_e32 v47, 64, v45
	v_cmp_lt_i32_e64 s[26:27], v46, v47
	v_cndmask_b32_e64 v46, v46, v45, s[26:27]
	v_lshlrev_b32_e32 v46, 2, v46
	ds_bpermute_b32 v53, v46, v44
	ds_bpermute_b32 v54, v46, v42
	;; [unrolled: 1-line block ×3, first 2 shown]
	v_cmp_eq_u32_e64 s[26:27], 0, v45
	s_and_saveexec_b64 s[34:35], vcc
	s_cbranch_execz .LBB2055_121
; %bb.79:
	v_mov_b32_e32 v47, 0
	ds_read_b32 v56, v47 offset:1104
	ds_read_b64 v[42:43], v47 offset:1112
	s_and_saveexec_b64 s[36:37], s[26:27]
	s_cbranch_execz .LBB2055_81
; %bb.80:
	s_add_i32 s46, s6, 64
	s_mov_b32 s47, 0
	s_lshl_b64 s[52:53], s[46:47], 4
	s_add_u32 s52, s40, s52
	s_addc_u32 s53, s41, s53
	v_mov_b32_e32 v44, s46
	v_mov_b32_e32 v46, 1
	s_waitcnt lgkmcnt(1)
	global_store_dword v47, v56, s[52:53]
	s_waitcnt lgkmcnt(0)
	global_store_dwordx2 v47, v[42:43], s[52:53] offset:8
	s_waitcnt vmcnt(0)
	buffer_wbinvl1_vol
	global_store_byte v44, v46, s[44:45]
.LBB2055_81:
	s_or_b64 exec, exec, s[36:37]
	v_xad_u32 v44, v45, -1, s6
	v_add_u32_e32 v46, 64, v44
	global_load_ubyte v57, v46, s[44:45] glc
	s_waitcnt vmcnt(0)
	v_cmp_eq_u16_e32 vcc, 0, v57
	s_and_saveexec_b64 s[36:37], vcc
	s_cbranch_execz .LBB2055_85
; %bb.82:
	v_mov_b32_e32 v49, s45
	v_add_co_u32_e32 v48, vcc, s44, v46
	v_addc_co_u32_e32 v49, vcc, 0, v49, vcc
	s_mov_b64 s[46:47], 0
.LBB2055_83:                            ; =>This Inner Loop Header: Depth=1
	global_load_ubyte v57, v[48:49], off glc
	s_waitcnt vmcnt(0)
	v_cmp_ne_u16_e32 vcc, 0, v57
	s_or_b64 s[46:47], vcc, s[46:47]
	s_andn2_b64 exec, exec, s[46:47]
	s_cbranch_execnz .LBB2055_83
; %bb.84:
	s_or_b64 exec, exec, s[46:47]
.LBB2055_85:
	s_or_b64 exec, exec, s[36:37]
	v_mov_b32_e32 v48, s43
	v_mov_b32_e32 v49, s41
	v_cmp_eq_u16_e32 vcc, 1, v57
	v_cndmask_b32_e32 v48, v48, v49, vcc
	v_mov_b32_e32 v49, s42
	v_mov_b32_e32 v50, s40
	v_cndmask_b32_e32 v49, v49, v50, vcc
	v_lshlrev_b64 v[46:47], 4, v[46:47]
	v_add_co_u32_e32 v46, vcc, v49, v46
	v_addc_co_u32_e32 v47, vcc, v48, v47, vcc
	s_waitcnt lgkmcnt(0)
	buffer_wbinvl1_vol
	global_load_dword v72, v[46:47], off
	global_load_dwordx2 v[50:51], v[46:47], off offset:8
	v_cmp_eq_u16_e32 vcc, 2, v57
	v_lshlrev_b64 v[46:47], v45, -1
	v_and_b32_e32 v58, 63, v45
	v_and_b32_e32 v48, vcc_hi, v47
	v_and_b32_e32 v62, vcc_lo, v46
	v_cmp_ne_u32_e32 vcc, 63, v58
	v_addc_co_u32_e32 v49, vcc, 0, v45, vcc
	v_lshlrev_b32_e32 v59, 2, v49
	v_or_b32_e32 v48, 0x80000000, v48
	v_ffbl_b32_e32 v48, v48
	v_add_u32_e32 v48, 32, v48
	v_ffbl_b32_e32 v62, v62
	v_min_u32_e32 v48, v62, v48
	v_cmp_lt_u32_e32 vcc, v58, v48
	s_waitcnt vmcnt(1)
	ds_bpermute_b32 v60, v59, v72
	s_waitcnt vmcnt(0)
	ds_bpermute_b32 v49, v59, v50
	ds_bpermute_b32 v61, v59, v51
	s_and_saveexec_b64 s[36:37], vcc
	s_cbranch_execz .LBB2055_87
; %bb.86:
	v_cmp_eq_u32_e32 vcc, 0, v72
	s_waitcnt lgkmcnt(1)
	v_cndmask_b32_e32 v49, 0, v49, vcc
	v_add_u32_e32 v60, v60, v72
	s_waitcnt lgkmcnt(0)
	v_cndmask_b32_e32 v61, 0, v61, vcc
	v_add_co_u32_e32 v50, vcc, v49, v50
	v_addc_co_u32_e32 v51, vcc, v61, v51, vcc
	v_mov_b32_e32 v72, v60
.LBB2055_87:
	s_or_b64 exec, exec, s[36:37]
	v_cmp_gt_u32_e32 vcc, 62, v58
	s_waitcnt lgkmcnt(1)
	v_cndmask_b32_e64 v49, 0, 1, vcc
	v_lshlrev_b32_e32 v49, 1, v49
	v_add_lshl_u32 v60, v49, v45, 2
	ds_bpermute_b32 v62, v60, v72
	ds_bpermute_b32 v49, v60, v50
	ds_bpermute_b32 v63, v60, v51
	s_waitcnt lgkmcnt(3)
	v_add_u32_e32 v61, 2, v58
	v_cmp_le_u32_e32 vcc, v61, v48
	s_and_saveexec_b64 s[36:37], vcc
	s_cbranch_execz .LBB2055_89
; %bb.88:
	v_cmp_eq_u32_e32 vcc, 0, v72
	s_waitcnt lgkmcnt(1)
	v_cndmask_b32_e32 v49, 0, v49, vcc
	v_add_u32_e32 v62, v62, v72
	s_waitcnt lgkmcnt(0)
	v_cndmask_b32_e32 v63, 0, v63, vcc
	v_add_co_u32_e32 v50, vcc, v49, v50
	v_addc_co_u32_e32 v51, vcc, v63, v51, vcc
	v_mov_b32_e32 v72, v62
.LBB2055_89:
	s_or_b64 exec, exec, s[36:37]
	v_cmp_gt_u32_e32 vcc, 60, v58
	s_waitcnt lgkmcnt(1)
	v_cndmask_b32_e64 v49, 0, 1, vcc
	v_lshlrev_b32_e32 v49, 2, v49
	v_add_lshl_u32 v62, v49, v45, 2
	ds_bpermute_b32 v64, v62, v72
	ds_bpermute_b32 v49, v62, v50
	ds_bpermute_b32 v65, v62, v51
	s_waitcnt lgkmcnt(3)
	v_add_u32_e32 v63, 4, v58
	v_cmp_le_u32_e32 vcc, v63, v48
	;; [unrolled: 25-line block ×4, first 2 shown]
	s_and_saveexec_b64 s[36:37], vcc
	s_cbranch_execz .LBB2055_95
; %bb.94:
	v_cmp_eq_u32_e32 vcc, 0, v72
	s_waitcnt lgkmcnt(1)
	v_cndmask_b32_e32 v49, 0, v49, vcc
	v_add_u32_e32 v68, v68, v72
	s_waitcnt lgkmcnt(0)
	v_cndmask_b32_e32 v69, 0, v69, vcc
	v_add_co_u32_e32 v50, vcc, v49, v50
	v_addc_co_u32_e32 v51, vcc, v69, v51, vcc
	v_mov_b32_e32 v72, v68
.LBB2055_95:
	s_or_b64 exec, exec, s[36:37]
	v_cmp_gt_u32_e32 vcc, 32, v58
	s_waitcnt lgkmcnt(1)
	v_cndmask_b32_e64 v49, 0, 1, vcc
	v_lshlrev_b32_e32 v49, 5, v49
	v_add_lshl_u32 v68, v49, v45, 2
	ds_bpermute_b32 v49, v68, v72
	ds_bpermute_b32 v45, v68, v50
	s_waitcnt lgkmcnt(2)
	ds_bpermute_b32 v69, v68, v51
	v_add_u32_e32 v70, 32, v58
	v_cmp_le_u32_e32 vcc, v70, v48
	s_and_saveexec_b64 s[36:37], vcc
	s_cbranch_execz .LBB2055_97
; %bb.96:
	v_cmp_eq_u32_e32 vcc, 0, v72
	s_waitcnt lgkmcnt(1)
	v_cndmask_b32_e32 v45, 0, v45, vcc
	v_add_u32_e32 v48, v49, v72
	s_waitcnt lgkmcnt(0)
	v_cndmask_b32_e32 v49, 0, v69, vcc
	v_add_co_u32_e32 v50, vcc, v45, v50
	v_addc_co_u32_e32 v51, vcc, v49, v51, vcc
	v_mov_b32_e32 v72, v48
.LBB2055_97:
	s_or_b64 exec, exec, s[36:37]
	s_waitcnt lgkmcnt(1)
	v_mov_b32_e32 v45, 0
	v_mov_b32_e32 v71, 2
	s_branch .LBB2055_99
.LBB2055_98:                            ;   in Loop: Header=BB2055_99 Depth=1
	s_or_b64 exec, exec, s[36:37]
	v_cmp_eq_u32_e32 vcc, 0, v69
	v_cndmask_b32_e32 v50, 0, v50, vcc
	v_cndmask_b32_e32 v51, 0, v51, vcc
	v_add_co_u32_e32 v50, vcc, v50, v48
	v_subrev_u32_e32 v44, 64, v44
	v_add_u32_e32 v72, v73, v69
	v_addc_co_u32_e32 v51, vcc, v51, v49, vcc
.LBB2055_99:                            ; =>This Loop Header: Depth=1
                                        ;     Child Loop BB2055_102 Depth 2
	v_cmp_ne_u16_sdwa s[36:37], v57, v71 src0_sel:BYTE_0 src1_sel:DWORD
	v_pk_mov_b32 v[48:49], v[50:51], v[50:51] op_sel:[0,1]
	v_cndmask_b32_e64 v50, 0, 1, s[36:37]
	;;#ASMSTART
	;;#ASMEND
	v_cmp_ne_u32_e32 vcc, 0, v50
	s_cmp_lg_u64 vcc, exec
	s_waitcnt lgkmcnt(0)
	v_mov_b32_e32 v69, v72
	s_cbranch_scc1 .LBB2055_116
; %bb.100:                              ;   in Loop: Header=BB2055_99 Depth=1
	global_load_ubyte v57, v44, s[44:45] glc
	s_waitcnt vmcnt(0)
	v_cmp_eq_u16_e32 vcc, 0, v57
	s_and_saveexec_b64 s[36:37], vcc
	s_cbranch_execz .LBB2055_104
; %bb.101:                              ;   in Loop: Header=BB2055_99 Depth=1
	v_mov_b32_e32 v51, s45
	v_add_co_u32_e32 v50, vcc, s44, v44
	v_addc_co_u32_e32 v51, vcc, 0, v51, vcc
	s_mov_b64 s[46:47], 0
.LBB2055_102:                           ;   Parent Loop BB2055_99 Depth=1
                                        ; =>  This Inner Loop Header: Depth=2
	global_load_ubyte v57, v[50:51], off glc
	s_waitcnt vmcnt(0)
	v_cmp_ne_u16_e32 vcc, 0, v57
	s_or_b64 s[46:47], vcc, s[46:47]
	s_andn2_b64 exec, exec, s[46:47]
	s_cbranch_execnz .LBB2055_102
; %bb.103:                              ;   in Loop: Header=BB2055_99 Depth=1
	s_or_b64 exec, exec, s[46:47]
.LBB2055_104:                           ;   in Loop: Header=BB2055_99 Depth=1
	s_or_b64 exec, exec, s[36:37]
	v_mov_b32_e32 v50, s43
	v_mov_b32_e32 v51, s41
	v_cmp_eq_u16_e32 vcc, 1, v57
	v_cndmask_b32_e32 v72, v50, v51, vcc
	v_mov_b32_e32 v50, s42
	v_mov_b32_e32 v51, s40
	v_cndmask_b32_e32 v73, v50, v51, vcc
	v_lshlrev_b64 v[50:51], 4, v[44:45]
	v_add_co_u32_e32 v50, vcc, v73, v50
	v_addc_co_u32_e32 v51, vcc, v72, v51, vcc
	buffer_wbinvl1_vol
	global_load_dword v73, v[50:51], off
	s_nop 0
	global_load_dwordx2 v[50:51], v[50:51], off offset:8
	v_cmp_eq_u16_e32 vcc, 2, v57
	v_and_b32_e32 v72, vcc_hi, v47
	v_or_b32_e32 v72, 0x80000000, v72
	v_and_b32_e32 v95, vcc_lo, v46
	v_ffbl_b32_e32 v72, v72
	v_add_u32_e32 v72, 32, v72
	v_ffbl_b32_e32 v95, v95
	v_min_u32_e32 v72, v95, v72
	v_cmp_lt_u32_e32 vcc, v58, v72
	s_waitcnt vmcnt(1)
	ds_bpermute_b32 v77, v59, v73
	s_waitcnt vmcnt(0)
	ds_bpermute_b32 v76, v59, v50
	ds_bpermute_b32 v92, v59, v51
	s_and_saveexec_b64 s[36:37], vcc
	s_cbranch_execz .LBB2055_106
; %bb.105:                              ;   in Loop: Header=BB2055_99 Depth=1
	v_cmp_eq_u32_e32 vcc, 0, v73
	s_waitcnt lgkmcnt(1)
	v_cndmask_b32_e32 v76, 0, v76, vcc
	v_add_u32_e32 v77, v77, v73
	s_waitcnt lgkmcnt(0)
	v_cndmask_b32_e32 v73, 0, v92, vcc
	v_add_co_u32_e32 v50, vcc, v76, v50
	v_addc_co_u32_e32 v51, vcc, v73, v51, vcc
	v_mov_b32_e32 v73, v77
.LBB2055_106:                           ;   in Loop: Header=BB2055_99 Depth=1
	s_or_b64 exec, exec, s[36:37]
	s_waitcnt lgkmcnt(2)
	ds_bpermute_b32 v77, v60, v73
	s_waitcnt lgkmcnt(2)
	ds_bpermute_b32 v76, v60, v50
	s_waitcnt lgkmcnt(2)
	ds_bpermute_b32 v92, v60, v51
	v_cmp_le_u32_e32 vcc, v61, v72
	s_and_saveexec_b64 s[36:37], vcc
	s_cbranch_execz .LBB2055_108
; %bb.107:                              ;   in Loop: Header=BB2055_99 Depth=1
	v_cmp_eq_u32_e32 vcc, 0, v73
	s_waitcnt lgkmcnt(1)
	v_cndmask_b32_e32 v76, 0, v76, vcc
	v_add_u32_e32 v77, v77, v73
	s_waitcnt lgkmcnt(0)
	v_cndmask_b32_e32 v73, 0, v92, vcc
	v_add_co_u32_e32 v50, vcc, v76, v50
	v_addc_co_u32_e32 v51, vcc, v73, v51, vcc
	v_mov_b32_e32 v73, v77
.LBB2055_108:                           ;   in Loop: Header=BB2055_99 Depth=1
	s_or_b64 exec, exec, s[36:37]
	s_waitcnt lgkmcnt(2)
	ds_bpermute_b32 v77, v62, v73
	s_waitcnt lgkmcnt(2)
	ds_bpermute_b32 v76, v62, v50
	s_waitcnt lgkmcnt(2)
	ds_bpermute_b32 v92, v62, v51
	v_cmp_le_u32_e32 vcc, v63, v72
	;; [unrolled: 21-line block ×5, first 2 shown]
	s_and_saveexec_b64 s[36:37], vcc
	s_cbranch_execz .LBB2055_98
; %bb.115:                              ;   in Loop: Header=BB2055_99 Depth=1
	v_cmp_eq_u32_e32 vcc, 0, v73
	s_waitcnt lgkmcnt(1)
	v_cndmask_b32_e32 v76, 0, v76, vcc
	v_add_u32_e32 v72, v77, v73
	s_waitcnt lgkmcnt(0)
	v_cndmask_b32_e32 v73, 0, v92, vcc
	v_add_co_u32_e32 v50, vcc, v76, v50
	v_addc_co_u32_e32 v51, vcc, v73, v51, vcc
	v_mov_b32_e32 v73, v72
	s_branch .LBB2055_98
.LBB2055_116:                           ;   in Loop: Header=BB2055_99 Depth=1
                                        ; implicit-def: $vgpr50_vgpr51
                                        ; implicit-def: $vgpr72
                                        ; implicit-def: $vgpr57
	s_cbranch_execz .LBB2055_99
; %bb.117:
	s_and_saveexec_b64 s[36:37], s[26:27]
	s_cbranch_execz .LBB2055_119
; %bb.118:
	s_mov_b32 s7, 0
	v_cmp_eq_u32_e32 vcc, 0, v56
	s_add_i32 s6, s6, 64
	v_cndmask_b32_e32 v44, 0, v48, vcc
	s_lshl_b64 s[40:41], s[6:7], 4
	v_cndmask_b32_e32 v45, 0, v49, vcc
	v_add_co_u32_e32 v44, vcc, v44, v42
	s_add_u32 s40, s42, s40
	v_add_u32_e32 v46, v69, v56
	v_addc_co_u32_e32 v45, vcc, v45, v43, vcc
	s_addc_u32 s41, s43, s41
	v_mov_b32_e32 v47, 0
	global_store_dword v47, v46, s[40:41]
	global_store_dwordx2 v47, v[44:45], s[40:41] offset:8
	v_mov_b32_e32 v44, s6
	v_mov_b32_e32 v45, 2
	s_waitcnt vmcnt(0) lgkmcnt(0)
	buffer_wbinvl1_vol
	global_store_byte v44, v45, s[44:45]
	ds_write_b32 v47, v56 offset:1024
	ds_write_b64 v47, v[42:43] offset:1032
	ds_write_b32 v47, v69 offset:1040
	ds_write_b64 v47, v[48:49] offset:1048
.LBB2055_119:
	s_or_b64 exec, exec, s[36:37]
	v_cmp_eq_u32_e32 vcc, 0, v0
	s_and_b64 exec, exec, vcc
	s_cbranch_execz .LBB2055_121
; %bb.120:
	v_mov_b32_e32 v42, 0
	ds_write_b32 v42, v69 offset:1104
	ds_write_b64 v42, v[48:49] offset:1112
.LBB2055_121:
	s_or_b64 exec, exec, s[34:35]
	v_mov_b32_e32 v45, 0
	s_waitcnt lgkmcnt(0)
	s_barrier
	ds_read_b32 v44, v45 offset:1104
	ds_read_b64 v[42:43], v45 offset:1112
	v_cndmask_b32_e64 v46, v53, v52, s[26:27]
	v_cmp_eq_u32_e32 vcc, 0, v46
	v_cndmask_b32_e64 v40, v54, v40, s[26:27]
	v_cndmask_b32_e64 v41, v55, v41, s[26:27]
	s_waitcnt lgkmcnt(0)
	v_cndmask_b32_e32 v48, 0, v42, vcc
	v_cndmask_b32_e32 v47, 0, v43, vcc
	v_add_co_u32_e32 v40, vcc, v48, v40
	v_addc_co_u32_e32 v41, vcc, v47, v41, vcc
	v_cmp_eq_u32_e32 vcc, 0, v0
	v_cndmask_b32_e64 v46, v46, 0, vcc
	v_cndmask_b32_e32 v71, v41, v43, vcc
	v_cndmask_b32_e32 v70, v40, v42, vcc
	v_cmp_eq_u32_e32 vcc, 0, v91
	v_cndmask_b32_e32 v41, 0, v70, vcc
	v_add_u32_e32 v92, v44, v46
	v_cndmask_b32_e32 v40, 0, v71, vcc
	v_add_co_u32_e32 v46, vcc, v41, v18
	v_addc_co_u32_e32 v47, vcc, v40, v19, vcc
	v_cndmask_b32_e64 v41, 0, v46, s[24:25]
	v_cndmask_b32_e64 v40, 0, v47, s[24:25]
	v_add_co_u32_e32 v48, vcc, v41, v20
	v_addc_co_u32_e32 v49, vcc, v40, v21, vcc
	v_cndmask_b32_e64 v41, 0, v48, s[22:23]
	v_cndmask_b32_e64 v40, 0, v49, s[22:23]
	;; [unrolled: 4-line block ×11, first 2 shown]
	v_add_co_u32_e32 v68, vcc, v41, v2
	v_addc_co_u32_e32 v69, vcc, v40, v3, vcc
	s_barrier
	ds_read_b32 v40, v45 offset:1024
	ds_read_b64 v[42:43], v45 offset:1032
	ds_read_b32 v44, v45 offset:1040
	ds_read_b64 v[96:97], v45 offset:1048
	v_cndmask_b32_e64 v72, 0, v68, s[2:3]
	v_cndmask_b32_e64 v41, 0, v69, s[2:3]
	v_add_co_u32_e32 v72, vcc, v72, v26
	v_addc_co_u32_e32 v73, vcc, v41, v27, vcc
	s_waitcnt lgkmcnt(3)
	v_cmp_eq_u32_e32 vcc, 0, v40
	s_waitcnt lgkmcnt(0)
	v_cndmask_b32_e32 v45, 0, v96, vcc
	v_cndmask_b32_e32 v41, 0, v97, vcc
	v_add_co_u32_e32 v42, vcc, v45, v42
	v_cndmask_b32_e64 v77, 0, v73, s[0:1]
	v_cndmask_b32_e64 v76, 0, v72, s[0:1]
	v_addc_co_u32_e32 v43, vcc, v41, v43, vcc
	s_branch .LBB2055_150
.LBB2055_122:
                                        ; implicit-def: $vgpr40
                                        ; implicit-def: $vgpr42_vgpr43
                                        ; implicit-def: $vgpr44
                                        ; implicit-def: $vgpr70_vgpr71
                                        ; implicit-def: $vgpr46_vgpr47
                                        ; implicit-def: $vgpr48_vgpr49
                                        ; implicit-def: $vgpr50_vgpr51
                                        ; implicit-def: $vgpr52_vgpr53
                                        ; implicit-def: $vgpr54_vgpr55
                                        ; implicit-def: $vgpr56_vgpr57
                                        ; implicit-def: $vgpr58_vgpr59
                                        ; implicit-def: $vgpr60_vgpr61
                                        ; implicit-def: $vgpr62_vgpr63
                                        ; implicit-def: $vgpr64_vgpr65
                                        ; implicit-def: $vgpr66_vgpr67
                                        ; implicit-def: $vgpr68_vgpr69
                                        ; implicit-def: $vgpr72_vgpr73
                                        ; implicit-def: $vgpr76_vgpr77
                                        ; implicit-def: $vgpr92
	s_cbranch_execz .LBB2055_150
; %bb.123:
	s_and_b64 s[0:1], s[30:31], exec
	s_cselect_b32 s1, 0, s61
	s_cselect_b32 s0, 0, s60
	s_cmp_eq_u64 s[0:1], 0
	s_cbranch_scc1 .LBB2055_125
; %bb.124:
	v_mov_b32_e32 v40, 0
	global_load_dwordx2 v[74:75], v40, s[0:1]
.LBB2055_125:
	v_cmp_eq_u32_e64 s[22:23], 0, v89
	v_cndmask_b32_e64 v41, 0, v18, s[22:23]
	v_cndmask_b32_e64 v40, 0, v19, s[22:23]
	v_add_co_u32_e32 v41, vcc, v41, v20
	v_cmp_eq_u32_e64 s[20:21], 0, v90
	v_addc_co_u32_e32 v40, vcc, v40, v21, vcc
	v_cndmask_b32_e64 v41, 0, v41, s[20:21]
	v_cndmask_b32_e64 v40, 0, v40, s[20:21]
	v_add_co_u32_e32 v41, vcc, v41, v34
	v_cmp_eq_u32_e64 s[18:19], 0, v88
	v_addc_co_u32_e32 v40, vcc, v40, v35, vcc
	;; [unrolled: 5-line block ×11, first 2 shown]
	v_cndmask_b32_e64 v41, 0, v41, s[2:3]
	v_cndmask_b32_e64 v40, 0, v40, s[2:3]
	v_add_co_u32_e32 v41, vcc, v41, v26
	v_addc_co_u32_e32 v40, vcc, v40, v27, vcc
	v_cmp_eq_u32_e32 vcc, 0, v80
	v_cndmask_b32_e32 v41, 0, v41, vcc
	v_add3_u32 v42, v94, v82, v87
	v_cndmask_b32_e32 v40, 0, v40, vcc
	v_add_co_u32_e64 v41, s[24:25], v41, v4
	v_add3_u32 v42, v42, v86, v79
	v_addc_co_u32_e64 v40, s[24:25], v40, v5, s[24:25]
	v_add3_u32 v42, v42, v78, v84
	v_cmp_eq_u32_e64 s[24:25], 0, v81
	v_add3_u32 v42, v42, v83, v25
	v_cndmask_b32_e64 v41, 0, v41, s[24:25]
	v_add3_u32 v43, v42, v80, v81
	v_cndmask_b32_e64 v40, 0, v40, s[24:25]
	v_add_co_u32_e64 v38, s[24:25], v41, v38
	v_mbcnt_hi_u32_b32 v42, -1, v93
	v_addc_co_u32_e64 v39, s[24:25], v40, v39, s[24:25]
	v_and_b32_e32 v40, 15, v42
	v_mov_b32_dpp v44, v43 row_shr:1 row_mask:0xf bank_mask:0xf
	v_mov_b32_dpp v41, v38 row_shr:1 row_mask:0xf bank_mask:0xf
	;; [unrolled: 1-line block ×3, first 2 shown]
	v_cmp_ne_u32_e64 s[24:25], 0, v40
	s_and_saveexec_b64 s[26:27], s[24:25]
; %bb.126:
	v_cmp_eq_u32_e64 s[24:25], 0, v43
	v_cndmask_b32_e64 v41, 0, v41, s[24:25]
	v_add_u32_e32 v44, v44, v43
	v_cndmask_b32_e64 v43, 0, v45, s[24:25]
	v_add_co_u32_e64 v38, s[24:25], v41, v38
	v_addc_co_u32_e64 v39, s[24:25], v43, v39, s[24:25]
	v_mov_b32_e32 v43, v44
; %bb.127:
	s_or_b64 exec, exec, s[26:27]
	s_nop 0
	v_mov_b32_dpp v44, v43 row_shr:2 row_mask:0xf bank_mask:0xf
	v_mov_b32_dpp v41, v38 row_shr:2 row_mask:0xf bank_mask:0xf
	v_mov_b32_dpp v45, v39 row_shr:2 row_mask:0xf bank_mask:0xf
	v_cmp_lt_u32_e64 s[24:25], 1, v40
	s_and_saveexec_b64 s[26:27], s[24:25]
; %bb.128:
	v_cmp_eq_u32_e64 s[24:25], 0, v43
	v_cndmask_b32_e64 v41, 0, v41, s[24:25]
	v_add_u32_e32 v44, v44, v43
	v_cndmask_b32_e64 v43, 0, v45, s[24:25]
	v_add_co_u32_e64 v38, s[24:25], v41, v38
	v_addc_co_u32_e64 v39, s[24:25], v43, v39, s[24:25]
	v_mov_b32_e32 v43, v44
; %bb.129:
	s_or_b64 exec, exec, s[26:27]
	s_nop 0
	v_mov_b32_dpp v44, v43 row_shr:4 row_mask:0xf bank_mask:0xf
	v_mov_b32_dpp v41, v38 row_shr:4 row_mask:0xf bank_mask:0xf
	v_mov_b32_dpp v45, v39 row_shr:4 row_mask:0xf bank_mask:0xf
	v_cmp_lt_u32_e64 s[24:25], 3, v40
	;; [unrolled: 16-line block ×3, first 2 shown]
	s_and_saveexec_b64 s[26:27], s[24:25]
; %bb.132:
	v_cmp_eq_u32_e64 s[24:25], 0, v43
	v_cndmask_b32_e64 v41, 0, v41, s[24:25]
	v_add_u32_e32 v40, v44, v43
	v_cndmask_b32_e64 v43, 0, v45, s[24:25]
	v_add_co_u32_e64 v38, s[24:25], v41, v38
	v_addc_co_u32_e64 v39, s[24:25], v43, v39, s[24:25]
	v_mov_b32_e32 v43, v40
; %bb.133:
	s_or_b64 exec, exec, s[26:27]
	v_and_b32_e32 v45, 16, v42
	v_mov_b32_dpp v41, v43 row_bcast:15 row_mask:0xf bank_mask:0xf
	v_mov_b32_dpp v40, v38 row_bcast:15 row_mask:0xf bank_mask:0xf
	v_mov_b32_dpp v44, v39 row_bcast:15 row_mask:0xf bank_mask:0xf
	v_cmp_ne_u32_e64 s[24:25], 0, v45
	s_and_saveexec_b64 s[26:27], s[24:25]
; %bb.134:
	v_cmp_eq_u32_e64 s[24:25], 0, v43
	v_cndmask_b32_e64 v40, 0, v40, s[24:25]
	v_add_u32_e32 v41, v41, v43
	v_cndmask_b32_e64 v43, 0, v44, s[24:25]
	v_add_co_u32_e64 v38, s[24:25], v40, v38
	v_addc_co_u32_e64 v39, s[24:25], v43, v39, s[24:25]
	v_mov_b32_e32 v43, v41
; %bb.135:
	s_or_b64 exec, exec, s[26:27]
	s_nop 0
	v_mov_b32_dpp v41, v43 row_bcast:31 row_mask:0xf bank_mask:0xf
	v_mov_b32_dpp v40, v38 row_bcast:31 row_mask:0xf bank_mask:0xf
	;; [unrolled: 1-line block ×3, first 2 shown]
	v_cmp_lt_u32_e64 s[24:25], 31, v42
	s_and_saveexec_b64 s[26:27], s[24:25]
; %bb.136:
	v_cmp_eq_u32_e64 s[24:25], 0, v43
	v_cndmask_b32_e64 v40, 0, v40, s[24:25]
	v_add_u32_e32 v41, v41, v43
	v_cndmask_b32_e64 v43, 0, v44, s[24:25]
	v_add_co_u32_e64 v38, s[24:25], v40, v38
	v_addc_co_u32_e64 v39, s[24:25], v43, v39, s[24:25]
	v_mov_b32_e32 v43, v41
; %bb.137:
	s_or_b64 exec, exec, s[26:27]
	v_lshrrev_b32_e32 v40, 6, v0
	v_or_b32_e32 v41, 63, v0
	v_cmp_eq_u32_e64 s[24:25], v41, v0
	v_lshlrev_b32_e32 v45, 4, v40
	s_and_saveexec_b64 s[26:27], s[24:25]
	s_cbranch_execz .LBB2055_139
; %bb.138:
	ds_write_b32 v45, v43 offset:1056
	ds_write_b64 v45, v[38:39] offset:1064
.LBB2055_139:
	s_or_b64 exec, exec, s[26:27]
	v_cmp_gt_u32_e64 s[24:25], 4, v0
	s_waitcnt lgkmcnt(0)
	s_barrier
	s_and_saveexec_b64 s[26:27], s[24:25]
	s_cbranch_execz .LBB2055_145
; %bb.140:
	v_lshlrev_b32_e32 v44, 4, v0
	ds_read_b32 v46, v44 offset:1056
	ds_read_b64 v[40:41], v44 offset:1064
	v_and_b32_e32 v47, 3, v42
	v_cmp_ne_u32_e64 s[24:25], 0, v47
	s_waitcnt lgkmcnt(1)
	v_mov_b32_dpp v49, v46 row_shr:1 row_mask:0xf bank_mask:0xf
	s_waitcnt lgkmcnt(0)
	v_mov_b32_dpp v48, v40 row_shr:1 row_mask:0xf bank_mask:0xf
	v_mov_b32_dpp v50, v41 row_shr:1 row_mask:0xf bank_mask:0xf
	s_and_saveexec_b64 s[28:29], s[24:25]
; %bb.141:
	v_cmp_eq_u32_e64 s[24:25], 0, v46
	v_cndmask_b32_e64 v48, 0, v48, s[24:25]
	v_add_u32_e32 v49, v49, v46
	v_cndmask_b32_e64 v46, 0, v50, s[24:25]
	v_add_co_u32_e64 v40, s[24:25], v48, v40
	v_addc_co_u32_e64 v41, s[24:25], v46, v41, s[24:25]
	v_mov_b32_e32 v46, v49
; %bb.142:
	s_or_b64 exec, exec, s[28:29]
	s_nop 0
	v_mov_b32_dpp v49, v46 row_shr:2 row_mask:0xf bank_mask:0xf
	v_mov_b32_dpp v48, v40 row_shr:2 row_mask:0xf bank_mask:0xf
	;; [unrolled: 1-line block ×3, first 2 shown]
	v_cmp_lt_u32_e64 s[24:25], 1, v47
	s_and_saveexec_b64 s[28:29], s[24:25]
; %bb.143:
	v_cmp_eq_u32_e64 s[24:25], 0, v46
	v_cndmask_b32_e64 v48, 0, v48, s[24:25]
	v_add_u32_e32 v47, v49, v46
	v_cndmask_b32_e64 v46, 0, v50, s[24:25]
	v_add_co_u32_e64 v40, s[24:25], v48, v40
	v_addc_co_u32_e64 v41, s[24:25], v46, v41, s[24:25]
	v_mov_b32_e32 v46, v47
; %bb.144:
	s_or_b64 exec, exec, s[28:29]
	ds_write_b32 v44, v46 offset:1056
	ds_write_b64 v44, v[40:41] offset:1064
.LBB2055_145:
	s_or_b64 exec, exec, s[26:27]
	v_cmp_lt_u32_e64 s[24:25], 63, v0
	v_mov_b32_e32 v44, 0
	v_mov_b32_e32 v46, 0
	s_waitcnt vmcnt(0)
	v_pk_mov_b32 v[40:41], v[74:75], v[74:75] op_sel:[0,1]
	s_waitcnt lgkmcnt(0)
	s_barrier
	s_and_saveexec_b64 s[26:27], s[24:25]
	s_cbranch_execz .LBB2055_147
; %bb.146:
	ds_read_b32 v46, v45 offset:1040
	ds_read_b64 v[40:41], v45 offset:1048
	s_waitcnt lgkmcnt(1)
	v_cmp_eq_u32_e64 s[24:25], 0, v46
	v_cndmask_b32_e64 v47, 0, v74, s[24:25]
	v_cndmask_b32_e64 v45, 0, v75, s[24:25]
	s_waitcnt lgkmcnt(0)
	v_add_co_u32_e64 v40, s[24:25], v47, v40
	v_addc_co_u32_e64 v41, s[24:25], v45, v41, s[24:25]
.LBB2055_147:
	s_or_b64 exec, exec, s[26:27]
	v_cmp_eq_u32_e64 s[24:25], 0, v43
	v_cndmask_b32_e64 v47, 0, v40, s[24:25]
	v_add_u32_e32 v45, v46, v43
	v_cndmask_b32_e64 v43, 0, v41, s[24:25]
	v_add_co_u32_e64 v38, s[24:25], v47, v38
	v_addc_co_u32_e64 v39, s[24:25], v43, v39, s[24:25]
	v_add_u32_e32 v43, -1, v42
	v_and_b32_e32 v47, 64, v42
	v_cmp_lt_i32_e64 s[24:25], v43, v47
	v_cndmask_b32_e64 v43, v43, v42, s[24:25]
	v_lshlrev_b32_e32 v43, 2, v43
	ds_bpermute_b32 v45, v43, v45
	ds_bpermute_b32 v39, v43, v39
	;; [unrolled: 1-line block ×3, first 2 shown]
	v_cmp_eq_u32_e64 s[24:25], 0, v42
	v_cmp_eq_u32_e64 s[26:27], 0, v91
	s_waitcnt lgkmcnt(2)
	v_cndmask_b32_e64 v92, v45, v46, s[24:25]
	s_waitcnt lgkmcnt(1)
	v_cndmask_b32_e64 v71, v39, v41, s[24:25]
	;; [unrolled: 2-line block ×3, first 2 shown]
	v_cmp_eq_u32_e64 s[24:25], 0, v0
	v_cndmask_b32_e64 v38, v70, v74, s[24:25]
	v_cndmask_b32_e64 v39, v71, v75, s[24:25]
	;; [unrolled: 1-line block ×4, first 2 shown]
	v_add_co_u32_e64 v46, s[26:27], v38, v18
	v_addc_co_u32_e64 v47, s[26:27], v39, v19, s[26:27]
	v_cndmask_b32_e64 v19, 0, v46, s[22:23]
	v_cndmask_b32_e64 v18, 0, v47, s[22:23]
	v_add_co_u32_e64 v48, s[22:23], v19, v20
	v_addc_co_u32_e64 v49, s[22:23], v18, v21, s[22:23]
	v_cndmask_b32_e64 v19, 0, v48, s[20:21]
	v_cndmask_b32_e64 v18, 0, v49, s[20:21]
	;; [unrolled: 4-line block ×11, first 2 shown]
	v_add_co_u32_e64 v68, s[0:1], v11, v2
	v_addc_co_u32_e64 v69, s[0:1], v10, v3, s[0:1]
	v_cndmask_b32_e64 v3, 0, v68, s[2:3]
	ds_read_b32 v40, v44 offset:1104
	v_cndmask_b32_e64 v2, 0, v69, s[2:3]
	v_add_co_u32_e64 v72, s[0:1], v3, v26
	v_addc_co_u32_e64 v73, s[0:1], v2, v27, s[0:1]
	ds_read_b64 v[2:3], v44 offset:1112
	v_cndmask_b32_e32 v77, 0, v73, vcc
	v_cndmask_b32_e32 v76, 0, v72, vcc
	s_waitcnt lgkmcnt(1)
	v_cmp_eq_u32_e32 vcc, 0, v40
	v_cndmask_b32_e32 v11, 0, v74, vcc
	v_cndmask_b32_e32 v10, 0, v75, vcc
	s_waitcnt lgkmcnt(0)
	v_add_co_u32_e32 v42, vcc, v11, v2
	v_addc_co_u32_e32 v43, vcc, v10, v3, vcc
	s_and_saveexec_b64 s[0:1], s[24:25]
	s_cbranch_execz .LBB2055_149
; %bb.148:
	v_mov_b32_e32 v92, 0
	v_mov_b32_e32 v2, 2
	v_pk_mov_b32 v[70:71], v[74:75], v[74:75] op_sel:[0,1]
	global_store_dword v92, v40, s[42:43] offset:1024
	global_store_dwordx2 v92, v[42:43], s[42:43] offset:1032
	s_waitcnt vmcnt(0)
	buffer_wbinvl1_vol
	global_store_byte v92, v2, s[44:45] offset:64
.LBB2055_149:
	s_or_b64 exec, exec, s[0:1]
	v_mov_b32_e32 v44, 0
.LBB2055_150:
	s_and_b64 s[0:1], s[30:31], exec
	s_cselect_b32 s1, 0, s55
	s_cselect_b32 s0, 0, s54
	s_cmp_eq_u64 s[0:1], 0
	v_pk_mov_b32 v[10:11], 0, 0
	s_barrier
	s_cbranch_scc1 .LBB2055_152
; %bb.151:
	v_mov_b32_e32 v2, 0
	global_load_dwordx2 v[10:11], v2, s[0:1]
.LBB2055_152:
	s_waitcnt vmcnt(0)
	v_lshlrev_b64 v[2:3], 1, v[10:11]
	v_mov_b32_e32 v12, s57
	v_add_co_u32_e32 v13, vcc, s56, v2
	v_mov_b32_e32 v45, 0
	v_addc_co_u32_e32 v12, vcc, v12, v3, vcc
	v_lshlrev_b64 v[2:3], 1, v[44:45]
	v_add_co_u32_e32 v32, vcc, v13, v2
	v_addc_co_u32_e32 v33, vcc, v12, v3, vcc
	v_cmp_eq_u32_e32 vcc, 0, v91
	v_cndmask_b32_e64 v2, 1, 2, vcc
	v_cmp_eq_u32_e32 vcc, 0, v89
	v_cndmask_b32_e64 v3, 1, 2, vcc
	v_cmp_eq_u32_e32 vcc, 0, v90
	v_and_b32_e32 v2, v3, v2
	v_cndmask_b32_e64 v3, 1, 2, vcc
	v_cmp_eq_u32_e32 vcc, 0, v88
	v_add_u32_e32 v31, v92, v91
	v_and_b32_e32 v2, v2, v3
	v_cndmask_b32_e64 v3, 1, 2, vcc
	v_cmp_eq_u32_e32 vcc, 0, v85
	v_add_u32_e32 v30, v31, v89
	v_and_b32_e32 v2, v2, v3
	v_cndmask_b32_e64 v3, 1, 2, vcc
	v_cmp_eq_u32_e32 vcc, 0, v82
	v_add_u32_e32 v29, v30, v90
	v_and_b32_e32 v2, v2, v3
	v_cndmask_b32_e64 v3, 1, 2, vcc
	v_cmp_eq_u32_e32 vcc, 0, v87
	v_add_u32_e32 v28, v29, v88
	v_and_b32_e32 v2, v2, v3
	v_cndmask_b32_e64 v3, 1, 2, vcc
	v_cmp_eq_u32_e32 vcc, 0, v86
	v_add_u32_e32 v27, v28, v85
	v_and_b32_e32 v2, v2, v3
	v_cndmask_b32_e64 v3, 1, 2, vcc
	v_cmp_eq_u32_e32 vcc, 0, v79
	v_add_u32_e32 v26, v27, v82
	v_and_b32_e32 v2, v2, v3
	v_cndmask_b32_e64 v3, 1, 2, vcc
	v_cmp_eq_u32_e32 vcc, 0, v78
	v_add_u32_e32 v21, v26, v87
	v_and_b32_e32 v2, v2, v3
	v_cndmask_b32_e64 v3, 1, 2, vcc
	v_cmp_eq_u32_e32 vcc, 0, v84
	v_add_u32_e32 v20, v21, v86
	v_and_b32_e32 v2, v2, v3
	v_cndmask_b32_e64 v3, 1, 2, vcc
	v_cmp_eq_u32_e32 vcc, 0, v83
	v_add_u32_e32 v19, v20, v79
	v_and_b32_e32 v2, v2, v3
	v_cndmask_b32_e64 v3, 1, 2, vcc
	v_cmp_eq_u32_e32 vcc, 0, v25
	v_add_u32_e32 v18, v19, v78
	v_and_b32_e32 v2, v2, v3
	v_cndmask_b32_e64 v3, 1, 2, vcc
	v_cmp_eq_u32_e32 vcc, 0, v80
	v_add_u32_e32 v17, v18, v84
	v_and_b32_e32 v2, v2, v3
	v_cndmask_b32_e64 v3, 1, 2, vcc
	v_cmp_eq_u32_e32 vcc, 0, v81
	v_add_u32_e32 v16, v17, v83
	v_and_b32_e32 v2, v2, v3
	v_cndmask_b32_e64 v3, 1, 2, vcc
	s_movk_i32 s30, 0x100
	v_add_u32_e32 v15, v16, v25
	v_and_b32_e32 v2, v2, v3
	v_cmp_gt_u32_e32 vcc, s30, v40
	v_add_u32_e32 v14, v15, v80
	v_cmp_ne_u32_e64 s[28:29], 0, v91
	v_cmp_ne_u32_e64 s[26:27], 0, v89
	;; [unrolled: 1-line block ×15, first 2 shown]
	s_mov_b64 s[34:35], -1
	v_cmp_gt_i16_e64 s[30:31], 2, v2
	s_cbranch_vccz .LBB2055_159
; %bb.153:
	s_and_saveexec_b64 s[34:35], s[30:31]
	s_cbranch_execz .LBB2055_158
; %bb.154:
	v_cmp_ne_u16_e32 vcc, 1, v2
	s_mov_b64 s[36:37], 0
	s_and_saveexec_b64 s[30:31], vcc
	s_xor_b64 s[30:31], exec, s[30:31]
	s_cbranch_execnz .LBB2055_203
; %bb.155:
	s_andn2_saveexec_b64 s[30:31], s[30:31]
	s_cbranch_execnz .LBB2055_219
.LBB2055_156:
	s_or_b64 exec, exec, s[30:31]
	s_and_b64 exec, exec, s[36:37]
	s_cbranch_execz .LBB2055_158
.LBB2055_157:
	v_sub_u32_e32 v12, v14, v44
	v_mov_b32_e32 v13, 0
	v_lshlrev_b64 v[12:13], 1, v[12:13]
	v_add_co_u32_e32 v12, vcc, v32, v12
	v_addc_co_u32_e32 v13, vcc, v33, v13, vcc
	global_store_short v[12:13], v1, off
.LBB2055_158:
	s_or_b64 exec, exec, s[34:35]
	s_mov_b64 s[34:35], 0
.LBB2055_159:
	s_and_b64 vcc, exec, s[34:35]
	s_cbranch_vccz .LBB2055_181
; %bb.160:
	v_cmp_gt_i16_e32 vcc, 2, v2
	s_and_saveexec_b64 s[30:31], vcc
	s_cbranch_execz .LBB2055_165
; %bb.161:
	v_cmp_ne_u16_e32 vcc, 1, v2
	s_mov_b64 s[36:37], 0
	s_and_saveexec_b64 s[34:35], vcc
	s_xor_b64 s[34:35], exec, s[34:35]
	s_cbranch_execnz .LBB2055_220
; %bb.162:
	s_andn2_saveexec_b64 s[0:1], s[34:35]
	s_cbranch_execnz .LBB2055_236
.LBB2055_163:
	s_or_b64 exec, exec, s[0:1]
	s_and_b64 exec, exec, s[36:37]
	s_cbranch_execz .LBB2055_165
.LBB2055_164:
	v_sub_u32_e32 v2, v14, v44
	v_lshlrev_b32_e32 v2, 1, v2
	ds_write_b16 v2, v1
.LBB2055_165:
	s_or_b64 exec, exec, s[30:31]
	v_cmp_lt_u32_e32 vcc, v0, v40
	s_waitcnt lgkmcnt(0)
	s_barrier
	s_and_saveexec_b64 s[2:3], vcc
	s_cbranch_execz .LBB2055_180
; %bb.166:
	v_xad_u32 v1, v0, -1, v40
	s_movk_i32 s0, 0x1700
	v_cmp_gt_u32_e64 s[4:5], s0, v1
	s_movk_i32 s0, 0x16ff
	v_cmp_lt_u32_e32 vcc, s0, v1
	v_mov_b32_e32 v2, v0
	s_and_saveexec_b64 s[6:7], vcc
	s_cbranch_execz .LBB2055_177
; %bb.167:
	v_sub_u32_e32 v2, v0, v40
	v_or_b32_e32 v2, 0xff, v2
	v_cmp_ge_u32_e32 vcc, v2, v0
	s_mov_b64 s[0:1], -1
	v_mov_b32_e32 v2, v0
	s_and_saveexec_b64 s[8:9], vcc
	s_cbranch_execz .LBB2055_176
; %bb.168:
	v_lshrrev_b32_e32 v22, 8, v1
	v_add_u32_e32 v6, -3, v22
	v_or_b32_e32 v3, 0x300, v0
	v_or_b32_e32 v2, 0x200, v0
	v_lshrrev_b32_e32 v7, 2, v6
	v_or_b32_e32 v1, 0x100, v0
	v_add_u32_e32 v24, 1, v7
	v_cmp_lt_u32_e32 vcc, 11, v6
	v_pk_mov_b32 v[8:9], v[2:3], v[2:3] op_sel:[0,1]
	v_mov_b32_e32 v36, 0
	v_lshlrev_b32_e32 v23, 1, v0
	v_pk_mov_b32 v[6:7], v[0:1], v[0:1] op_sel:[0,1]
	s_and_saveexec_b64 s[10:11], vcc
	s_cbranch_execz .LBB2055_172
; %bb.169:
	v_pk_mov_b32 v[8:9], v[2:3], v[2:3] op_sel:[0,1]
	v_and_b32_e32 v34, 0x7ffffffc, v24
	s_mov_b32 s14, 0
	s_mov_b64 s[12:13], 0
	v_mov_b32_e32 v13, 0
	v_mov_b32_e32 v35, v23
	v_pk_mov_b32 v[6:7], v[0:1], v[0:1] op_sel:[0,1]
.LBB2055_170:                           ; =>This Inner Loop Header: Depth=1
	v_mov_b32_e32 v12, v6
	v_lshlrev_b64 v[104:105], 1, v[12:13]
	v_add_u32_e32 v38, 0x400, v7
	v_mov_b32_e32 v39, v13
	v_add_co_u32_e64 v104, s[0:1], v32, v104
	v_lshlrev_b64 v[38:39], 1, v[38:39]
	v_addc_co_u32_e64 v105, s[0:1], v33, v105, s[0:1]
	v_add_u32_e32 v36, 0x400, v8
	v_mov_b32_e32 v37, v13
	v_add_co_u32_e64 v38, s[0:1], v32, v38
	v_lshlrev_b64 v[106:107], 1, v[36:37]
	v_addc_co_u32_e64 v39, s[0:1], v33, v39, s[0:1]
	v_add_u32_e32 v2, 0x400, v9
	v_mov_b32_e32 v3, v13
	v_add_co_u32_e64 v106, s[0:1], v32, v106
	v_add_u32_e32 v34, -4, v34
	v_mov_b32_e32 v12, v7
	v_lshlrev_b64 v[2:3], 1, v[2:3]
	v_addc_co_u32_e64 v107, s[0:1], v33, v107, s[0:1]
	v_add_u32_e32 v96, 0x800, v7
	v_mov_b32_e32 v97, v13
	s_add_i32 s14, s14, 16
	v_cmp_eq_u32_e32 vcc, 0, v34
	v_lshlrev_b64 v[108:109], 1, v[12:13]
	v_add_co_u32_e64 v2, s[0:1], v32, v2
	v_lshlrev_b64 v[96:97], 1, v[96:97]
	v_mov_b32_e32 v12, v8
	v_addc_co_u32_e64 v3, s[0:1], v33, v3, s[0:1]
	s_or_b64 s[12:13], vcc, s[12:13]
	v_add_co_u32_e32 v108, vcc, v32, v108
	v_add_u32_e32 v94, 0x800, v8
	v_mov_b32_e32 v95, v13
	v_add_co_u32_e64 v96, s[0:1], v32, v96
	v_addc_co_u32_e32 v109, vcc, v33, v109, vcc
	v_lshlrev_b64 v[110:111], 1, v[12:13]
	v_lshlrev_b64 v[94:95], 1, v[94:95]
	v_addc_co_u32_e64 v97, s[0:1], v33, v97, s[0:1]
	v_mov_b32_e32 v12, v9
	v_add_co_u32_e32 v110, vcc, v32, v110
	ds_read_u16 v1, v35
	ds_read_u16 v41, v35 offset:512
	ds_read_u16 v93, v35 offset:1024
	;; [unrolled: 1-line block ×7, first 2 shown]
	v_add_u32_e32 v74, 0x800, v9
	v_mov_b32_e32 v75, v13
	v_add_co_u32_e64 v94, s[0:1], v32, v94
	v_addc_co_u32_e32 v111, vcc, v33, v111, vcc
	v_lshlrev_b64 v[112:113], 1, v[12:13]
	v_lshlrev_b64 v[74:75], 1, v[74:75]
	v_addc_co_u32_e64 v95, s[0:1], v33, v95, s[0:1]
	v_add_u32_e32 v12, 0x400, v6
	v_add_co_u32_e32 v112, vcc, v32, v112
	v_add_u32_e32 v102, 0xc00, v7
	v_mov_b32_e32 v103, v13
	ds_read_u16 v119, v35 offset:4096
	ds_read_u16 v120, v35 offset:4608
	;; [unrolled: 1-line block ×8, first 2 shown]
	v_add_co_u32_e64 v74, s[0:1], v32, v74
	v_addc_co_u32_e32 v113, vcc, v33, v113, vcc
	s_waitcnt lgkmcnt(14)
	global_store_short v[104:105], v1, off
	global_store_short v[108:109], v41, off
	s_waitcnt lgkmcnt(13)
	global_store_short v[110:111], v93, off
	v_lshlrev_b64 v[104:105], 1, v[12:13]
	v_lshlrev_b64 v[102:103], 1, v[102:103]
	v_addc_co_u32_e64 v75, s[0:1], v33, v75, s[0:1]
	v_add_u32_e32 v12, 0x800, v6
	v_add_co_u32_e32 v104, vcc, v32, v104
	v_add_u32_e32 v100, 0xc00, v8
	v_mov_b32_e32 v101, v13
	v_add_co_u32_e64 v102, s[0:1], v32, v102
	v_addc_co_u32_e32 v105, vcc, v33, v105, vcc
	v_lshlrev_b64 v[108:109], 1, v[12:13]
	v_lshlrev_b64 v[100:101], 1, v[100:101]
	v_addc_co_u32_e64 v103, s[0:1], v33, v103, s[0:1]
	s_waitcnt lgkmcnt(12)
	global_store_short v[112:113], v114, off
	v_add_u32_e32 v12, 0xc00, v6
	s_waitcnt lgkmcnt(11)
	global_store_short v[104:105], v115, off
	s_waitcnt lgkmcnt(10)
	global_store_short v[38:39], v116, off
	;; [unrolled: 2-line block ×4, first 2 shown]
	v_add_co_u32_e32 v2, vcc, v32, v108
	v_add_u32_e32 v98, 0xc00, v9
	v_mov_b32_e32 v99, v13
	v_add_co_u32_e64 v100, s[0:1], v32, v100
	v_addc_co_u32_e32 v3, vcc, v33, v109, vcc
	v_lshlrev_b64 v[38:39], 1, v[12:13]
	v_lshlrev_b64 v[98:99], 1, v[98:99]
	v_addc_co_u32_e64 v101, s[0:1], v33, v101, s[0:1]
	s_waitcnt lgkmcnt(7)
	global_store_short v[2:3], v119, off
	s_waitcnt lgkmcnt(6)
	global_store_short v[96:97], v120, off
	;; [unrolled: 2-line block ×4, first 2 shown]
	v_add_co_u32_e32 v2, vcc, v32, v38
	v_add_u32_e32 v35, 0x2000, v35
	v_add_u32_e32 v7, 0x1000, v7
	v_mov_b32_e32 v36, s14
	v_add_co_u32_e64 v98, s[0:1], v32, v98
	v_add_u32_e32 v8, 0x1000, v8
	v_add_u32_e32 v9, 0x1000, v9
	;; [unrolled: 1-line block ×3, first 2 shown]
	v_addc_co_u32_e32 v3, vcc, v33, v39, vcc
	v_addc_co_u32_e64 v99, s[0:1], v33, v99, s[0:1]
	s_waitcnt lgkmcnt(3)
	global_store_short v[2:3], v123, off
	s_waitcnt lgkmcnt(2)
	global_store_short v[102:103], v124, off
	;; [unrolled: 2-line block ×4, first 2 shown]
	s_andn2_b64 exec, exec, s[12:13]
	s_cbranch_execnz .LBB2055_170
; %bb.171:
	s_or_b64 exec, exec, s[12:13]
.LBB2055_172:
	s_or_b64 exec, exec, s[10:11]
	v_and_b32_e32 v1, 3, v24
	v_cmp_ne_u32_e32 vcc, 0, v1
	s_and_saveexec_b64 s[10:11], vcc
	s_cbranch_execz .LBB2055_175
; %bb.173:
	v_lshl_or_b32 v12, v36, 9, v23
	s_mov_b64 s[12:13], 0
	v_mov_b32_e32 v3, 0
.LBB2055_174:                           ; =>This Inner Loop Header: Depth=1
	v_mov_b32_e32 v2, v6
	v_add_u32_e32 v1, -1, v1
	v_lshlrev_b64 v[34:35], 1, v[2:3]
	v_mov_b32_e32 v2, v7
	v_cmp_eq_u32_e32 vcc, 0, v1
	v_lshlrev_b64 v[36:37], 1, v[2:3]
	ds_read_u16 v13, v12
	ds_read_u16 v23, v12 offset:512
	ds_read_u16 v24, v12 offset:1024
	;; [unrolled: 1-line block ×3, first 2 shown]
	v_mov_b32_e32 v2, v8
	s_or_b64 s[12:13], vcc, s[12:13]
	v_add_co_u32_e32 v36, vcc, v32, v36
	v_addc_co_u32_e32 v37, vcc, v33, v37, vcc
	v_lshlrev_b64 v[38:39], 1, v[2:3]
	v_mov_b32_e32 v2, v9
	v_add_co_u32_e32 v38, vcc, v32, v38
	v_add_co_u32_e64 v34, s[0:1], v32, v34
	v_addc_co_u32_e32 v39, vcc, v33, v39, vcc
	v_lshlrev_b64 v[74:75], 1, v[2:3]
	v_add_u32_e32 v6, 0x400, v6
	v_add_u32_e32 v12, 0x800, v12
	;; [unrolled: 1-line block ×3, first 2 shown]
	v_addc_co_u32_e64 v35, s[0:1], v33, v35, s[0:1]
	v_add_u32_e32 v8, 0x400, v8
	v_add_u32_e32 v9, 0x400, v9
	v_add_co_u32_e32 v74, vcc, v32, v74
	v_addc_co_u32_e32 v75, vcc, v33, v75, vcc
	s_waitcnt lgkmcnt(3)
	global_store_short v[34:35], v13, off
	s_waitcnt lgkmcnt(2)
	global_store_short v[36:37], v23, off
	;; [unrolled: 2-line block ×4, first 2 shown]
	s_andn2_b64 exec, exec, s[12:13]
	s_cbranch_execnz .LBB2055_174
.LBB2055_175:
	s_or_b64 exec, exec, s[10:11]
	v_add_u32_e32 v1, 1, v22
	v_and_b32_e32 v3, 0x1fffffc, v1
	v_cmp_ne_u32_e32 vcc, v1, v3
	v_lshl_or_b32 v2, v3, 8, v0
	s_orn2_b64 s[0:1], vcc, exec
.LBB2055_176:
	s_or_b64 exec, exec, s[8:9]
	s_andn2_b64 s[4:5], s[4:5], exec
	s_and_b64 s[0:1], s[0:1], exec
	s_or_b64 s[4:5], s[4:5], s[0:1]
.LBB2055_177:
	s_or_b64 exec, exec, s[6:7]
	s_and_b64 exec, exec, s[4:5]
	s_cbranch_execz .LBB2055_180
; %bb.178:
	v_lshlrev_b32_e32 v1, 1, v2
	s_mov_b64 s[0:1], 0
	v_mov_b32_e32 v3, 0
.LBB2055_179:                           ; =>This Inner Loop Header: Depth=1
	v_lshlrev_b64 v[6:7], 1, v[2:3]
	ds_read_u16 v8, v1
	v_add_co_u32_e32 v6, vcc, v32, v6
	v_add_u32_e32 v2, 0x100, v2
	v_addc_co_u32_e32 v7, vcc, v33, v7, vcc
	v_cmp_ge_u32_e32 vcc, v2, v40
	v_add_u32_e32 v1, 0x200, v1
	s_or_b64 s[0:1], vcc, s[0:1]
	s_waitcnt lgkmcnt(0)
	global_store_short v[6:7], v8, off
	s_andn2_b64 exec, exec, s[0:1]
	s_cbranch_execnz .LBB2055_179
.LBB2055_180:
	s_or_b64 exec, exec, s[2:3]
.LBB2055_181:
	v_add_co_u32_e32 v2, vcc, v76, v4
	s_cmpk_lg_i32 s33, 0xf00
	v_addc_co_u32_e32 v3, vcc, v77, v5, vcc
	s_cselect_b64 s[0:1], -1, 0
	v_cndmask_b32_e64 v8, 0, 1, s[50:51]
	s_and_b64 s[0:1], s[48:49], s[0:1]
	v_cmp_eq_u32_e32 vcc, 0, v0
	v_sub_u32_e32 v1, v40, v8
	v_cndmask_b32_e64 v4, 0, 1, s[0:1]
	s_and_b64 s[0:1], vcc, s[50:51]
	v_add_u32_e32 v1, v1, v4
	v_cndmask_b32_e64 v4, v91, 0, s[0:1]
	s_mul_hi_u32 s0, s33, 0x88888889
	s_lshr_b32 s0, s0, 3
	v_mad_i32_i24 v5, v0, -15, s33
	v_cmp_eq_u32_e32 vcc, s0, v0
	v_cmp_ne_u32_e64 s[0:1], 0, v5
	v_cndmask_b32_e64 v6, 1, v4, s[0:1]
	v_cmp_ne_u32_e64 s[0:1], 1, v5
	v_cndmask_b32_e64 v7, 1, v89, s[0:1]
	;; [unrolled: 2-line block ×15, first 2 shown]
	s_and_b64 vcc, s[48:49], vcc
	v_cndmask_b32_e32 v38, v81, v5, vcc
	v_cndmask_b32_e32 v39, v4, v6, vcc
	v_lshlrev_b64 v[4:5], 3, v[10:11]
	v_cndmask_b32_e32 v37, v80, v37, vcc
	v_cndmask_b32_e32 v25, v25, v36, vcc
	;; [unrolled: 1-line block ×13, first 2 shown]
	v_mov_b32_e32 v6, s59
	v_add_co_u32_e32 v7, vcc, s58, v4
	v_addc_co_u32_e32 v6, vcc, v6, v5, vcc
	v_lshlrev_b64 v[4:5], 3, v[44:45]
	v_add_co_u32_e32 v4, vcc, v7, v4
	v_addc_co_u32_e32 v5, vcc, v6, v5, vcc
	v_lshlrev_b32_e32 v6, 3, v8
	v_add_co_u32_e32 v6, vcc, v6, v4
	v_addc_co_u32_e32 v7, vcc, 0, v5, vcc
	v_add_co_u32_e32 v6, vcc, -8, v6
	v_addc_co_u32_e32 v7, vcc, -1, v7, vcc
	v_cmp_eq_u32_e32 vcc, 0, v39
	v_cmp_ne_u32_e64 s[28:29], 0, v39
	v_cndmask_b32_e64 v39, 1, 2, vcc
	v_cmp_eq_u32_e32 vcc, 0, v36
	v_cmp_ne_u32_e64 s[26:27], 0, v36
	v_cndmask_b32_e64 v36, 1, 2, vcc
	v_cmp_eq_u32_e32 vcc, 0, v9
	v_and_b32_e32 v36, v36, v39
	v_cmp_ne_u32_e64 s[24:25], 0, v9
	v_cndmask_b32_e64 v9, 1, 2, vcc
	v_cmp_eq_u32_e32 vcc, 0, v12
	v_and_b32_e32 v9, v36, v9
	;; [unrolled: 4-line block ×3, first 2 shown]
	v_cndmask_b32_e64 v12, 1, 2, vcc
	v_cmp_eq_u32_e32 vcc, 0, v22
	v_and_b32_e32 v9, v9, v12
	v_cndmask_b32_e64 v12, 1, 2, vcc
	v_cmp_eq_u32_e32 vcc, 0, v23
	v_and_b32_e32 v9, v9, v12
	;; [unrolled: 3-line block ×10, first 2 shown]
	v_cndmask_b32_e64 v12, 1, 2, vcc
	s_movk_i32 s30, 0x100
	v_and_b32_e32 v9, v9, v12
	v_cmp_gt_u32_e32 vcc, s30, v1
	v_add_u32_e32 v8, v44, v8
	v_cmp_ne_u32_e64 s[20:21], 0, v13
	v_cmp_ne_u32_e64 s[18:19], 0, v22
	;; [unrolled: 1-line block ×11, first 2 shown]
	s_mov_b64 s[34:35], -1
	v_cmp_gt_i16_e64 s[30:31], 2, v9
	s_barrier
	s_cbranch_vccz .LBB2055_188
; %bb.182:
	s_and_saveexec_b64 s[34:35], s[30:31]
	s_cbranch_execz .LBB2055_187
; %bb.183:
	v_cmp_ne_u16_e32 vcc, 1, v9
	s_mov_b64 s[36:37], 0
	s_and_saveexec_b64 s[30:31], vcc
	s_xor_b64 s[30:31], exec, s[30:31]
	s_cbranch_execnz .LBB2055_237
; %bb.184:
	s_andn2_saveexec_b64 s[30:31], s[30:31]
	s_cbranch_execnz .LBB2055_253
.LBB2055_185:
	s_or_b64 exec, exec, s[30:31]
	s_and_b64 exec, exec, s[36:37]
	s_cbranch_execz .LBB2055_187
.LBB2055_186:
	v_sub_u32_e32 v12, v14, v8
	v_mov_b32_e32 v13, 0
	v_lshlrev_b64 v[12:13], 3, v[12:13]
	v_add_co_u32_e32 v12, vcc, v6, v12
	v_addc_co_u32_e32 v13, vcc, v7, v13, vcc
	global_store_dwordx2 v[12:13], v[2:3], off
.LBB2055_187:
	s_or_b64 exec, exec, s[34:35]
	s_mov_b64 s[34:35], 0
.LBB2055_188:
	s_and_b64 vcc, exec, s[34:35]
	s_cbranch_vccz .LBB2055_198
; %bb.189:
	v_cmp_gt_i16_e32 vcc, 2, v9
	s_and_saveexec_b64 s[30:31], vcc
	s_cbranch_execz .LBB2055_194
; %bb.190:
	v_cmp_ne_u16_e32 vcc, 1, v9
	s_mov_b64 s[36:37], 0
	s_and_saveexec_b64 s[34:35], vcc
	s_xor_b64 s[34:35], exec, s[34:35]
	s_cbranch_execnz .LBB2055_254
; %bb.191:
	s_andn2_saveexec_b64 s[0:1], s[34:35]
	s_cbranch_execnz .LBB2055_270
.LBB2055_192:
	s_or_b64 exec, exec, s[0:1]
	s_and_b64 exec, exec, s[36:37]
	s_cbranch_execz .LBB2055_194
.LBB2055_193:
	v_sub_u32_e32 v8, v14, v8
	v_lshlrev_b32_e32 v8, 3, v8
	ds_write_b64 v8, v[2:3]
.LBB2055_194:
	s_or_b64 exec, exec, s[30:31]
	v_cmp_lt_u32_e32 vcc, v0, v1
	s_waitcnt lgkmcnt(0)
	s_barrier
	s_and_saveexec_b64 s[0:1], vcc
	s_cbranch_execz .LBB2055_197
; %bb.195:
	v_lshlrev_b32_e32 v8, 3, v0
	s_mov_b64 s[2:3], 0
	v_mov_b32_e32 v3, 0
	v_mov_b32_e32 v2, v0
.LBB2055_196:                           ; =>This Inner Loop Header: Depth=1
	v_lshlrev_b64 v[12:13], 3, v[2:3]
	ds_read_b64 v[14:15], v8
	v_add_co_u32_e32 v12, vcc, v6, v12
	v_add_u32_e32 v2, 0x100, v2
	v_addc_co_u32_e32 v13, vcc, v7, v13, vcc
	v_cmp_ge_u32_e32 vcc, v2, v1
	v_add_u32_e32 v8, 0x800, v8
	s_or_b64 s[2:3], vcc, s[2:3]
	s_waitcnt lgkmcnt(0)
	global_store_dwordx2 v[12:13], v[14:15], off
	s_andn2_b64 exec, exec, s[2:3]
	s_cbranch_execnz .LBB2055_196
.LBB2055_197:
	s_or_b64 exec, exec, s[0:1]
.LBB2055_198:
	s_movk_i32 s0, 0xff
	v_cmp_eq_u32_e32 vcc, s0, v0
	s_and_b64 s[0:1], vcc, s[48:49]
	s_and_saveexec_b64 s[2:3], s[0:1]
	s_cbranch_execz .LBB2055_201
; %bb.199:
	v_add_co_u32_e32 v0, vcc, v40, v44
	v_addc_co_u32_e64 v1, s[0:1], 0, 0, vcc
	v_add_co_u32_e32 v0, vcc, v0, v10
	v_mov_b32_e32 v41, 0
	v_addc_co_u32_e32 v1, vcc, v1, v11, vcc
	s_cmpk_lg_i32 s33, 0xf00
	global_store_dwordx2 v41, v[0:1], s[38:39]
	s_cbranch_scc1 .LBB2055_201
; %bb.200:
	v_lshlrev_b64 v[0:1], 3, v[40:41]
	v_add_co_u32_e32 v0, vcc, v4, v0
	v_addc_co_u32_e32 v1, vcc, v5, v1, vcc
	global_store_dwordx2 v[0:1], v[42:43], off offset:-8
.LBB2055_201:
	s_endpgm
.LBB2055_202:
	s_or_b64 exec, exec, s[2:3]
	v_mov_b32_e32 v91, s7
	s_and_saveexec_b64 s[0:1], s[4:5]
	s_cbranch_execnz .LBB2055_54
	s_branch .LBB2055_55
.LBB2055_203:
	s_and_saveexec_b64 s[36:37], s[28:29]
	s_cbranch_execnz .LBB2055_271
; %bb.204:
	s_or_b64 exec, exec, s[36:37]
	s_and_saveexec_b64 s[36:37], s[26:27]
	s_cbranch_execnz .LBB2055_272
.LBB2055_205:
	s_or_b64 exec, exec, s[36:37]
	s_and_saveexec_b64 s[36:37], s[24:25]
	s_cbranch_execnz .LBB2055_273
.LBB2055_206:
	s_or_b64 exec, exec, s[36:37]
	s_and_saveexec_b64 s[36:37], s[22:23]
	s_cbranch_execnz .LBB2055_274
.LBB2055_207:
	s_or_b64 exec, exec, s[36:37]
	s_and_saveexec_b64 s[36:37], s[20:21]
	s_cbranch_execnz .LBB2055_275
.LBB2055_208:
	s_or_b64 exec, exec, s[36:37]
	s_and_saveexec_b64 s[36:37], s[18:19]
	s_cbranch_execnz .LBB2055_276
.LBB2055_209:
	s_or_b64 exec, exec, s[36:37]
	s_and_saveexec_b64 s[36:37], s[16:17]
	s_cbranch_execnz .LBB2055_277
.LBB2055_210:
	s_or_b64 exec, exec, s[36:37]
	s_and_saveexec_b64 s[36:37], s[14:15]
	s_cbranch_execnz .LBB2055_278
.LBB2055_211:
	s_or_b64 exec, exec, s[36:37]
	s_and_saveexec_b64 s[36:37], s[12:13]
	s_cbranch_execnz .LBB2055_279
.LBB2055_212:
	s_or_b64 exec, exec, s[36:37]
	s_and_saveexec_b64 s[36:37], s[10:11]
	s_cbranch_execnz .LBB2055_280
.LBB2055_213:
	s_or_b64 exec, exec, s[36:37]
	s_and_saveexec_b64 s[36:37], s[8:9]
	s_cbranch_execnz .LBB2055_281
.LBB2055_214:
	s_or_b64 exec, exec, s[36:37]
	s_and_saveexec_b64 s[36:37], s[6:7]
	s_cbranch_execnz .LBB2055_282
.LBB2055_215:
	s_or_b64 exec, exec, s[36:37]
	s_and_saveexec_b64 s[36:37], s[4:5]
	s_cbranch_execnz .LBB2055_283
.LBB2055_216:
	s_or_b64 exec, exec, s[36:37]
	s_and_saveexec_b64 s[36:37], s[2:3]
	s_cbranch_execz .LBB2055_218
.LBB2055_217:
	v_sub_u32_e32 v12, v15, v44
	v_mov_b32_e32 v13, 0
	v_lshlrev_b64 v[12:13], 1, v[12:13]
	v_add_co_u32_e32 v12, vcc, v32, v12
	v_addc_co_u32_e32 v13, vcc, v33, v13, vcc
	global_store_short_d16_hi v[12:13], v24, off
.LBB2055_218:
	s_or_b64 exec, exec, s[36:37]
	s_and_b64 s[36:37], s[0:1], exec
	s_andn2_saveexec_b64 s[30:31], s[30:31]
	s_cbranch_execz .LBB2055_156
.LBB2055_219:
	v_sub_u32_e32 v12, v92, v44
	v_mov_b32_e32 v13, 0
	v_lshlrev_b64 v[34:35], 1, v[12:13]
	v_add_co_u32_e32 v34, vcc, v32, v34
	v_addc_co_u32_e32 v35, vcc, v33, v35, vcc
	v_sub_u32_e32 v12, v31, v44
	global_store_short v[34:35], v6, off
	v_lshlrev_b64 v[34:35], 1, v[12:13]
	v_add_co_u32_e32 v34, vcc, v32, v34
	v_addc_co_u32_e32 v35, vcc, v33, v35, vcc
	v_sub_u32_e32 v12, v30, v44
	global_store_short_d16_hi v[34:35], v6, off
	v_lshlrev_b64 v[34:35], 1, v[12:13]
	v_add_co_u32_e32 v34, vcc, v32, v34
	v_addc_co_u32_e32 v35, vcc, v33, v35, vcc
	v_sub_u32_e32 v12, v29, v44
	global_store_short v[34:35], v7, off
	v_lshlrev_b64 v[34:35], 1, v[12:13]
	v_add_co_u32_e32 v34, vcc, v32, v34
	v_addc_co_u32_e32 v35, vcc, v33, v35, vcc
	v_sub_u32_e32 v12, v28, v44
	global_store_short_d16_hi v[34:35], v7, off
	;; [unrolled: 10-line block ×6, first 2 shown]
	v_lshlrev_b64 v[34:35], 1, v[12:13]
	v_add_co_u32_e32 v34, vcc, v32, v34
	v_sub_u32_e32 v12, v15, v44
	v_addc_co_u32_e32 v35, vcc, v33, v35, vcc
	v_lshlrev_b64 v[12:13], 1, v[12:13]
	v_add_co_u32_e32 v12, vcc, v32, v12
	v_addc_co_u32_e32 v13, vcc, v33, v13, vcc
	s_or_b64 s[36:37], s[36:37], exec
	global_store_short v[34:35], v24, off
	global_store_short_d16_hi v[12:13], v24, off
	s_or_b64 exec, exec, s[30:31]
	s_and_b64 exec, exec, s[36:37]
	s_cbranch_execnz .LBB2055_157
	s_branch .LBB2055_158
.LBB2055_220:
	s_and_saveexec_b64 s[36:37], s[28:29]
	s_cbranch_execnz .LBB2055_284
; %bb.221:
	s_or_b64 exec, exec, s[36:37]
	s_and_saveexec_b64 s[28:29], s[26:27]
	s_cbranch_execnz .LBB2055_285
.LBB2055_222:
	s_or_b64 exec, exec, s[28:29]
	s_and_saveexec_b64 s[26:27], s[24:25]
	s_cbranch_execnz .LBB2055_286
.LBB2055_223:
	s_or_b64 exec, exec, s[26:27]
	s_and_saveexec_b64 s[24:25], s[22:23]
	s_cbranch_execnz .LBB2055_287
.LBB2055_224:
	s_or_b64 exec, exec, s[24:25]
	s_and_saveexec_b64 s[22:23], s[20:21]
	s_cbranch_execnz .LBB2055_288
.LBB2055_225:
	s_or_b64 exec, exec, s[22:23]
	s_and_saveexec_b64 s[20:21], s[18:19]
	s_cbranch_execnz .LBB2055_289
.LBB2055_226:
	s_or_b64 exec, exec, s[20:21]
	s_and_saveexec_b64 s[18:19], s[16:17]
	s_cbranch_execnz .LBB2055_290
.LBB2055_227:
	s_or_b64 exec, exec, s[18:19]
	s_and_saveexec_b64 s[16:17], s[14:15]
	s_cbranch_execnz .LBB2055_291
.LBB2055_228:
	s_or_b64 exec, exec, s[16:17]
	s_and_saveexec_b64 s[14:15], s[12:13]
	s_cbranch_execnz .LBB2055_292
.LBB2055_229:
	s_or_b64 exec, exec, s[14:15]
	s_and_saveexec_b64 s[12:13], s[10:11]
	s_cbranch_execnz .LBB2055_293
.LBB2055_230:
	s_or_b64 exec, exec, s[12:13]
	s_and_saveexec_b64 s[10:11], s[8:9]
	s_cbranch_execnz .LBB2055_294
.LBB2055_231:
	s_or_b64 exec, exec, s[10:11]
	s_and_saveexec_b64 s[8:9], s[6:7]
	s_cbranch_execnz .LBB2055_295
.LBB2055_232:
	s_or_b64 exec, exec, s[8:9]
	s_and_saveexec_b64 s[6:7], s[4:5]
	s_cbranch_execnz .LBB2055_296
.LBB2055_233:
	s_or_b64 exec, exec, s[6:7]
	s_and_saveexec_b64 s[4:5], s[2:3]
	s_cbranch_execz .LBB2055_235
.LBB2055_234:
	v_sub_u32_e32 v2, v15, v44
	v_lshlrev_b32_e32 v2, 1, v2
	ds_write_b16_d16_hi v2, v24
.LBB2055_235:
	s_or_b64 exec, exec, s[4:5]
	s_and_b64 s[36:37], s[0:1], exec
                                        ; implicit-def: $vgpr6
                                        ; implicit-def: $vgpr22
	s_andn2_saveexec_b64 s[0:1], s[34:35]
	s_cbranch_execz .LBB2055_163
.LBB2055_236:
	v_sub_u32_e32 v2, v92, v44
	v_lshlrev_b32_e32 v2, 1, v2
	ds_write_b16 v2, v6
	v_sub_u32_e32 v2, v31, v44
	v_lshlrev_b32_e32 v2, 1, v2
	ds_write_b16_d16_hi v2, v6
	v_sub_u32_e32 v2, v30, v44
	v_lshlrev_b32_e32 v2, 1, v2
	ds_write_b16 v2, v7
	v_sub_u32_e32 v2, v29, v44
	v_lshlrev_b32_e32 v2, 1, v2
	ds_write_b16_d16_hi v2, v7
	;; [unrolled: 6-line block ×6, first 2 shown]
	v_sub_u32_e32 v2, v16, v44
	v_lshlrev_b32_e32 v2, 1, v2
	ds_write_b16 v2, v24
	v_sub_u32_e32 v2, v15, v44
	v_lshlrev_b32_e32 v2, 1, v2
	s_or_b64 s[36:37], s[36:37], exec
	ds_write_b16_d16_hi v2, v24
	s_or_b64 exec, exec, s[0:1]
	s_and_b64 exec, exec, s[36:37]
	s_cbranch_execnz .LBB2055_164
	s_branch .LBB2055_165
.LBB2055_237:
	s_and_saveexec_b64 s[36:37], s[28:29]
	s_cbranch_execnz .LBB2055_297
; %bb.238:
	s_or_b64 exec, exec, s[36:37]
	s_and_saveexec_b64 s[36:37], s[26:27]
	s_cbranch_execnz .LBB2055_298
.LBB2055_239:
	s_or_b64 exec, exec, s[36:37]
	s_and_saveexec_b64 s[36:37], s[24:25]
	s_cbranch_execnz .LBB2055_299
.LBB2055_240:
	s_or_b64 exec, exec, s[36:37]
	s_and_saveexec_b64 s[36:37], s[22:23]
	s_cbranch_execnz .LBB2055_300
.LBB2055_241:
	s_or_b64 exec, exec, s[36:37]
	s_and_saveexec_b64 s[36:37], s[20:21]
	s_cbranch_execnz .LBB2055_301
.LBB2055_242:
	s_or_b64 exec, exec, s[36:37]
	s_and_saveexec_b64 s[36:37], s[18:19]
	s_cbranch_execnz .LBB2055_302
.LBB2055_243:
	s_or_b64 exec, exec, s[36:37]
	s_and_saveexec_b64 s[36:37], s[16:17]
	s_cbranch_execnz .LBB2055_303
.LBB2055_244:
	s_or_b64 exec, exec, s[36:37]
	s_and_saveexec_b64 s[36:37], s[14:15]
	s_cbranch_execnz .LBB2055_304
.LBB2055_245:
	s_or_b64 exec, exec, s[36:37]
	s_and_saveexec_b64 s[36:37], s[12:13]
	s_cbranch_execnz .LBB2055_305
.LBB2055_246:
	s_or_b64 exec, exec, s[36:37]
	s_and_saveexec_b64 s[36:37], s[10:11]
	s_cbranch_execnz .LBB2055_306
.LBB2055_247:
	s_or_b64 exec, exec, s[36:37]
	s_and_saveexec_b64 s[36:37], s[8:9]
	s_cbranch_execnz .LBB2055_307
.LBB2055_248:
	s_or_b64 exec, exec, s[36:37]
	s_and_saveexec_b64 s[36:37], s[6:7]
	s_cbranch_execnz .LBB2055_308
.LBB2055_249:
	s_or_b64 exec, exec, s[36:37]
	s_and_saveexec_b64 s[36:37], s[4:5]
	s_cbranch_execnz .LBB2055_309
.LBB2055_250:
	s_or_b64 exec, exec, s[36:37]
	s_and_saveexec_b64 s[36:37], s[2:3]
	s_cbranch_execz .LBB2055_252
.LBB2055_251:
	v_sub_u32_e32 v12, v15, v8
	v_mov_b32_e32 v13, 0
	v_lshlrev_b64 v[12:13], 3, v[12:13]
	v_add_co_u32_e32 v12, vcc, v6, v12
	v_addc_co_u32_e32 v13, vcc, v7, v13, vcc
	global_store_dwordx2 v[12:13], v[72:73], off
.LBB2055_252:
	s_or_b64 exec, exec, s[36:37]
	s_and_b64 s[36:37], s[0:1], exec
	s_andn2_saveexec_b64 s[30:31], s[30:31]
	s_cbranch_execz .LBB2055_185
.LBB2055_253:
	v_sub_u32_e32 v12, v92, v8
	v_mov_b32_e32 v13, 0
	v_lshlrev_b64 v[22:23], 3, v[12:13]
	v_add_co_u32_e32 v22, vcc, v6, v22
	v_addc_co_u32_e32 v23, vcc, v7, v23, vcc
	v_sub_u32_e32 v12, v31, v8
	global_store_dwordx2 v[22:23], v[70:71], off
	v_lshlrev_b64 v[22:23], 3, v[12:13]
	v_add_co_u32_e32 v22, vcc, v6, v22
	v_addc_co_u32_e32 v23, vcc, v7, v23, vcc
	v_sub_u32_e32 v12, v30, v8
	global_store_dwordx2 v[22:23], v[46:47], off
	;; [unrolled: 5-line block ×12, first 2 shown]
	v_lshlrev_b64 v[22:23], 3, v[12:13]
	v_add_co_u32_e32 v22, vcc, v6, v22
	v_sub_u32_e32 v12, v15, v8
	v_addc_co_u32_e32 v23, vcc, v7, v23, vcc
	v_lshlrev_b64 v[12:13], 3, v[12:13]
	v_add_co_u32_e32 v12, vcc, v6, v12
	v_addc_co_u32_e32 v13, vcc, v7, v13, vcc
	s_or_b64 s[36:37], s[36:37], exec
	global_store_dwordx2 v[22:23], v[68:69], off
	global_store_dwordx2 v[12:13], v[72:73], off
	s_or_b64 exec, exec, s[30:31]
	s_and_b64 exec, exec, s[36:37]
	s_cbranch_execnz .LBB2055_186
	s_branch .LBB2055_187
.LBB2055_254:
	s_and_saveexec_b64 s[36:37], s[28:29]
	s_cbranch_execnz .LBB2055_310
; %bb.255:
	s_or_b64 exec, exec, s[36:37]
	s_and_saveexec_b64 s[28:29], s[26:27]
	s_cbranch_execnz .LBB2055_311
.LBB2055_256:
	s_or_b64 exec, exec, s[28:29]
	s_and_saveexec_b64 s[26:27], s[24:25]
	s_cbranch_execnz .LBB2055_312
.LBB2055_257:
	s_or_b64 exec, exec, s[26:27]
	s_and_saveexec_b64 s[24:25], s[22:23]
	s_cbranch_execnz .LBB2055_313
.LBB2055_258:
	s_or_b64 exec, exec, s[24:25]
	s_and_saveexec_b64 s[22:23], s[20:21]
	s_cbranch_execnz .LBB2055_314
.LBB2055_259:
	s_or_b64 exec, exec, s[22:23]
	s_and_saveexec_b64 s[20:21], s[18:19]
	s_cbranch_execnz .LBB2055_315
.LBB2055_260:
	s_or_b64 exec, exec, s[20:21]
	s_and_saveexec_b64 s[18:19], s[16:17]
	s_cbranch_execnz .LBB2055_316
.LBB2055_261:
	s_or_b64 exec, exec, s[18:19]
	s_and_saveexec_b64 s[16:17], s[14:15]
	s_cbranch_execnz .LBB2055_317
.LBB2055_262:
	s_or_b64 exec, exec, s[16:17]
	s_and_saveexec_b64 s[14:15], s[12:13]
	s_cbranch_execnz .LBB2055_318
.LBB2055_263:
	s_or_b64 exec, exec, s[14:15]
	s_and_saveexec_b64 s[12:13], s[10:11]
	s_cbranch_execnz .LBB2055_319
.LBB2055_264:
	s_or_b64 exec, exec, s[12:13]
	s_and_saveexec_b64 s[10:11], s[8:9]
	s_cbranch_execnz .LBB2055_320
.LBB2055_265:
	s_or_b64 exec, exec, s[10:11]
	s_and_saveexec_b64 s[8:9], s[6:7]
	s_cbranch_execnz .LBB2055_321
.LBB2055_266:
	s_or_b64 exec, exec, s[8:9]
	s_and_saveexec_b64 s[6:7], s[4:5]
	s_cbranch_execnz .LBB2055_322
.LBB2055_267:
	s_or_b64 exec, exec, s[6:7]
	s_and_saveexec_b64 s[4:5], s[2:3]
	s_cbranch_execz .LBB2055_269
.LBB2055_268:
	v_sub_u32_e32 v9, v15, v8
	v_lshlrev_b32_e32 v9, 3, v9
	ds_write_b64 v9, v[72:73]
.LBB2055_269:
	s_or_b64 exec, exec, s[4:5]
	s_and_b64 s[36:37], s[0:1], exec
                                        ; implicit-def: $vgpr70_vgpr71
                                        ; implicit-def: $vgpr46_vgpr47
                                        ; implicit-def: $vgpr48_vgpr49
                                        ; implicit-def: $vgpr50_vgpr51
                                        ; implicit-def: $vgpr52_vgpr53
                                        ; implicit-def: $vgpr54_vgpr55
                                        ; implicit-def: $vgpr56_vgpr57
                                        ; implicit-def: $vgpr58_vgpr59
                                        ; implicit-def: $vgpr60_vgpr61
                                        ; implicit-def: $vgpr62_vgpr63
                                        ; implicit-def: $vgpr64_vgpr65
                                        ; implicit-def: $vgpr66_vgpr67
                                        ; implicit-def: $vgpr68_vgpr69
                                        ; implicit-def: $vgpr72_vgpr73
                                        ; implicit-def: $vgpr92
                                        ; implicit-def: $vgpr31
                                        ; implicit-def: $vgpr30
                                        ; implicit-def: $vgpr29
                                        ; implicit-def: $vgpr28
                                        ; implicit-def: $vgpr27
                                        ; implicit-def: $vgpr26
                                        ; implicit-def: $vgpr21
                                        ; implicit-def: $vgpr20
                                        ; implicit-def: $vgpr19
                                        ; implicit-def: $vgpr18
                                        ; implicit-def: $vgpr17
                                        ; implicit-def: $vgpr16
                                        ; implicit-def: $vgpr15
	s_andn2_saveexec_b64 s[0:1], s[34:35]
	s_cbranch_execz .LBB2055_192
.LBB2055_270:
	v_sub_u32_e32 v9, v92, v8
	v_lshlrev_b32_e32 v9, 3, v9
	ds_write_b64 v9, v[70:71]
	v_sub_u32_e32 v9, v31, v8
	v_lshlrev_b32_e32 v9, 3, v9
	ds_write_b64 v9, v[46:47]
	;; [unrolled: 3-line block ×13, first 2 shown]
	v_sub_u32_e32 v9, v15, v8
	v_lshlrev_b32_e32 v9, 3, v9
	s_or_b64 s[36:37], s[36:37], exec
	ds_write_b64 v9, v[72:73]
	s_or_b64 exec, exec, s[0:1]
	s_and_b64 exec, exec, s[36:37]
	s_cbranch_execnz .LBB2055_193
	s_branch .LBB2055_194
.LBB2055_271:
	v_sub_u32_e32 v12, v92, v44
	v_mov_b32_e32 v13, 0
	v_lshlrev_b64 v[12:13], 1, v[12:13]
	v_add_co_u32_e32 v12, vcc, v32, v12
	v_addc_co_u32_e32 v13, vcc, v33, v13, vcc
	global_store_short v[12:13], v6, off
	s_or_b64 exec, exec, s[36:37]
	s_and_saveexec_b64 s[36:37], s[26:27]
	s_cbranch_execz .LBB2055_205
.LBB2055_272:
	v_sub_u32_e32 v12, v31, v44
	v_mov_b32_e32 v13, 0
	v_lshlrev_b64 v[12:13], 1, v[12:13]
	v_add_co_u32_e32 v12, vcc, v32, v12
	v_addc_co_u32_e32 v13, vcc, v33, v13, vcc
	global_store_short_d16_hi v[12:13], v6, off
	s_or_b64 exec, exec, s[36:37]
	s_and_saveexec_b64 s[36:37], s[24:25]
	s_cbranch_execz .LBB2055_206
.LBB2055_273:
	v_sub_u32_e32 v12, v30, v44
	v_mov_b32_e32 v13, 0
	v_lshlrev_b64 v[12:13], 1, v[12:13]
	v_add_co_u32_e32 v12, vcc, v32, v12
	v_addc_co_u32_e32 v13, vcc, v33, v13, vcc
	global_store_short v[12:13], v7, off
	s_or_b64 exec, exec, s[36:37]
	s_and_saveexec_b64 s[36:37], s[22:23]
	s_cbranch_execz .LBB2055_207
.LBB2055_274:
	v_sub_u32_e32 v12, v29, v44
	v_mov_b32_e32 v13, 0
	v_lshlrev_b64 v[12:13], 1, v[12:13]
	v_add_co_u32_e32 v12, vcc, v32, v12
	v_addc_co_u32_e32 v13, vcc, v33, v13, vcc
	global_store_short_d16_hi v[12:13], v7, off
	s_or_b64 exec, exec, s[36:37]
	s_and_saveexec_b64 s[36:37], s[20:21]
	s_cbranch_execz .LBB2055_208
.LBB2055_275:
	v_sub_u32_e32 v12, v28, v44
	v_mov_b32_e32 v13, 0
	v_lshlrev_b64 v[12:13], 1, v[12:13]
	v_add_co_u32_e32 v12, vcc, v32, v12
	v_addc_co_u32_e32 v13, vcc, v33, v13, vcc
	global_store_short v[12:13], v8, off
	s_or_b64 exec, exec, s[36:37]
	s_and_saveexec_b64 s[36:37], s[18:19]
	s_cbranch_execz .LBB2055_209
.LBB2055_276:
	v_sub_u32_e32 v12, v27, v44
	v_mov_b32_e32 v13, 0
	v_lshlrev_b64 v[12:13], 1, v[12:13]
	v_add_co_u32_e32 v12, vcc, v32, v12
	v_addc_co_u32_e32 v13, vcc, v33, v13, vcc
	global_store_short_d16_hi v[12:13], v8, off
	s_or_b64 exec, exec, s[36:37]
	s_and_saveexec_b64 s[36:37], s[16:17]
	s_cbranch_execz .LBB2055_210
.LBB2055_277:
	v_sub_u32_e32 v12, v26, v44
	v_mov_b32_e32 v13, 0
	v_lshlrev_b64 v[12:13], 1, v[12:13]
	v_add_co_u32_e32 v12, vcc, v32, v12
	v_addc_co_u32_e32 v13, vcc, v33, v13, vcc
	global_store_short v[12:13], v9, off
	s_or_b64 exec, exec, s[36:37]
	s_and_saveexec_b64 s[36:37], s[14:15]
	s_cbranch_execz .LBB2055_211
.LBB2055_278:
	v_sub_u32_e32 v12, v21, v44
	v_mov_b32_e32 v13, 0
	v_lshlrev_b64 v[12:13], 1, v[12:13]
	v_add_co_u32_e32 v12, vcc, v32, v12
	v_addc_co_u32_e32 v13, vcc, v33, v13, vcc
	global_store_short_d16_hi v[12:13], v9, off
	s_or_b64 exec, exec, s[36:37]
	s_and_saveexec_b64 s[36:37], s[12:13]
	s_cbranch_execz .LBB2055_212
.LBB2055_279:
	v_sub_u32_e32 v12, v20, v44
	v_mov_b32_e32 v13, 0
	v_lshlrev_b64 v[12:13], 1, v[12:13]
	v_add_co_u32_e32 v12, vcc, v32, v12
	v_addc_co_u32_e32 v13, vcc, v33, v13, vcc
	global_store_short v[12:13], v22, off
	s_or_b64 exec, exec, s[36:37]
	s_and_saveexec_b64 s[36:37], s[10:11]
	s_cbranch_execz .LBB2055_213
.LBB2055_280:
	v_sub_u32_e32 v12, v19, v44
	v_mov_b32_e32 v13, 0
	v_lshlrev_b64 v[12:13], 1, v[12:13]
	v_add_co_u32_e32 v12, vcc, v32, v12
	v_addc_co_u32_e32 v13, vcc, v33, v13, vcc
	global_store_short_d16_hi v[12:13], v22, off
	s_or_b64 exec, exec, s[36:37]
	s_and_saveexec_b64 s[36:37], s[8:9]
	s_cbranch_execz .LBB2055_214
.LBB2055_281:
	v_sub_u32_e32 v12, v18, v44
	v_mov_b32_e32 v13, 0
	v_lshlrev_b64 v[12:13], 1, v[12:13]
	v_add_co_u32_e32 v12, vcc, v32, v12
	v_addc_co_u32_e32 v13, vcc, v33, v13, vcc
	global_store_short v[12:13], v23, off
	s_or_b64 exec, exec, s[36:37]
	s_and_saveexec_b64 s[36:37], s[6:7]
	s_cbranch_execz .LBB2055_215
.LBB2055_282:
	v_sub_u32_e32 v12, v17, v44
	v_mov_b32_e32 v13, 0
	v_lshlrev_b64 v[12:13], 1, v[12:13]
	v_add_co_u32_e32 v12, vcc, v32, v12
	v_addc_co_u32_e32 v13, vcc, v33, v13, vcc
	global_store_short_d16_hi v[12:13], v23, off
	s_or_b64 exec, exec, s[36:37]
	s_and_saveexec_b64 s[36:37], s[4:5]
	s_cbranch_execz .LBB2055_216
.LBB2055_283:
	v_sub_u32_e32 v12, v16, v44
	v_mov_b32_e32 v13, 0
	v_lshlrev_b64 v[12:13], 1, v[12:13]
	v_add_co_u32_e32 v12, vcc, v32, v12
	v_addc_co_u32_e32 v13, vcc, v33, v13, vcc
	global_store_short v[12:13], v24, off
	s_or_b64 exec, exec, s[36:37]
	s_and_saveexec_b64 s[36:37], s[2:3]
	s_cbranch_execnz .LBB2055_217
	s_branch .LBB2055_218
.LBB2055_284:
	v_sub_u32_e32 v2, v92, v44
	v_lshlrev_b32_e32 v2, 1, v2
	ds_write_b16 v2, v6
	s_or_b64 exec, exec, s[36:37]
	s_and_saveexec_b64 s[28:29], s[26:27]
	s_cbranch_execz .LBB2055_222
.LBB2055_285:
	v_sub_u32_e32 v2, v31, v44
	v_lshlrev_b32_e32 v2, 1, v2
	ds_write_b16_d16_hi v2, v6
	s_or_b64 exec, exec, s[28:29]
	s_and_saveexec_b64 s[26:27], s[24:25]
	s_cbranch_execz .LBB2055_223
.LBB2055_286:
	v_sub_u32_e32 v2, v30, v44
	v_lshlrev_b32_e32 v2, 1, v2
	ds_write_b16 v2, v7
	s_or_b64 exec, exec, s[26:27]
	s_and_saveexec_b64 s[24:25], s[22:23]
	s_cbranch_execz .LBB2055_224
.LBB2055_287:
	v_sub_u32_e32 v2, v29, v44
	v_lshlrev_b32_e32 v2, 1, v2
	ds_write_b16_d16_hi v2, v7
	s_or_b64 exec, exec, s[24:25]
	s_and_saveexec_b64 s[22:23], s[20:21]
	s_cbranch_execz .LBB2055_225
.LBB2055_288:
	v_sub_u32_e32 v2, v28, v44
	v_lshlrev_b32_e32 v2, 1, v2
	ds_write_b16 v2, v8
	s_or_b64 exec, exec, s[22:23]
	s_and_saveexec_b64 s[20:21], s[18:19]
	s_cbranch_execz .LBB2055_226
.LBB2055_289:
	v_sub_u32_e32 v2, v27, v44
	v_lshlrev_b32_e32 v2, 1, v2
	ds_write_b16_d16_hi v2, v8
	s_or_b64 exec, exec, s[20:21]
	s_and_saveexec_b64 s[18:19], s[16:17]
	s_cbranch_execz .LBB2055_227
.LBB2055_290:
	v_sub_u32_e32 v2, v26, v44
	v_lshlrev_b32_e32 v2, 1, v2
	ds_write_b16 v2, v9
	s_or_b64 exec, exec, s[18:19]
	s_and_saveexec_b64 s[16:17], s[14:15]
	s_cbranch_execz .LBB2055_228
.LBB2055_291:
	v_sub_u32_e32 v2, v21, v44
	v_lshlrev_b32_e32 v2, 1, v2
	ds_write_b16_d16_hi v2, v9
	s_or_b64 exec, exec, s[16:17]
	s_and_saveexec_b64 s[14:15], s[12:13]
	s_cbranch_execz .LBB2055_229
.LBB2055_292:
	v_sub_u32_e32 v2, v20, v44
	v_lshlrev_b32_e32 v2, 1, v2
	ds_write_b16 v2, v22
	s_or_b64 exec, exec, s[14:15]
	s_and_saveexec_b64 s[12:13], s[10:11]
	s_cbranch_execz .LBB2055_230
.LBB2055_293:
	v_sub_u32_e32 v2, v19, v44
	v_lshlrev_b32_e32 v2, 1, v2
	ds_write_b16_d16_hi v2, v22
	s_or_b64 exec, exec, s[12:13]
	s_and_saveexec_b64 s[10:11], s[8:9]
	s_cbranch_execz .LBB2055_231
.LBB2055_294:
	v_sub_u32_e32 v2, v18, v44
	v_lshlrev_b32_e32 v2, 1, v2
	ds_write_b16 v2, v23
	s_or_b64 exec, exec, s[10:11]
	s_and_saveexec_b64 s[8:9], s[6:7]
	s_cbranch_execz .LBB2055_232
.LBB2055_295:
	v_sub_u32_e32 v2, v17, v44
	v_lshlrev_b32_e32 v2, 1, v2
	ds_write_b16_d16_hi v2, v23
	s_or_b64 exec, exec, s[8:9]
	s_and_saveexec_b64 s[6:7], s[4:5]
	s_cbranch_execz .LBB2055_233
.LBB2055_296:
	v_sub_u32_e32 v2, v16, v44
	v_lshlrev_b32_e32 v2, 1, v2
	ds_write_b16 v2, v24
	s_or_b64 exec, exec, s[6:7]
	s_and_saveexec_b64 s[4:5], s[2:3]
	s_cbranch_execnz .LBB2055_234
	s_branch .LBB2055_235
.LBB2055_297:
	v_sub_u32_e32 v12, v92, v8
	v_mov_b32_e32 v13, 0
	v_lshlrev_b64 v[12:13], 3, v[12:13]
	v_add_co_u32_e32 v12, vcc, v6, v12
	v_addc_co_u32_e32 v13, vcc, v7, v13, vcc
	global_store_dwordx2 v[12:13], v[70:71], off
	s_or_b64 exec, exec, s[36:37]
	s_and_saveexec_b64 s[36:37], s[26:27]
	s_cbranch_execz .LBB2055_239
.LBB2055_298:
	v_sub_u32_e32 v12, v31, v8
	v_mov_b32_e32 v13, 0
	v_lshlrev_b64 v[12:13], 3, v[12:13]
	v_add_co_u32_e32 v12, vcc, v6, v12
	v_addc_co_u32_e32 v13, vcc, v7, v13, vcc
	global_store_dwordx2 v[12:13], v[46:47], off
	s_or_b64 exec, exec, s[36:37]
	s_and_saveexec_b64 s[36:37], s[24:25]
	s_cbranch_execz .LBB2055_240
.LBB2055_299:
	v_sub_u32_e32 v12, v30, v8
	v_mov_b32_e32 v13, 0
	v_lshlrev_b64 v[12:13], 3, v[12:13]
	v_add_co_u32_e32 v12, vcc, v6, v12
	v_addc_co_u32_e32 v13, vcc, v7, v13, vcc
	global_store_dwordx2 v[12:13], v[48:49], off
	s_or_b64 exec, exec, s[36:37]
	s_and_saveexec_b64 s[36:37], s[22:23]
	s_cbranch_execz .LBB2055_241
.LBB2055_300:
	v_sub_u32_e32 v12, v29, v8
	v_mov_b32_e32 v13, 0
	v_lshlrev_b64 v[12:13], 3, v[12:13]
	v_add_co_u32_e32 v12, vcc, v6, v12
	v_addc_co_u32_e32 v13, vcc, v7, v13, vcc
	global_store_dwordx2 v[12:13], v[50:51], off
	s_or_b64 exec, exec, s[36:37]
	s_and_saveexec_b64 s[36:37], s[20:21]
	s_cbranch_execz .LBB2055_242
.LBB2055_301:
	v_sub_u32_e32 v12, v28, v8
	v_mov_b32_e32 v13, 0
	v_lshlrev_b64 v[12:13], 3, v[12:13]
	v_add_co_u32_e32 v12, vcc, v6, v12
	v_addc_co_u32_e32 v13, vcc, v7, v13, vcc
	global_store_dwordx2 v[12:13], v[52:53], off
	s_or_b64 exec, exec, s[36:37]
	s_and_saveexec_b64 s[36:37], s[18:19]
	s_cbranch_execz .LBB2055_243
.LBB2055_302:
	v_sub_u32_e32 v12, v27, v8
	v_mov_b32_e32 v13, 0
	v_lshlrev_b64 v[12:13], 3, v[12:13]
	v_add_co_u32_e32 v12, vcc, v6, v12
	v_addc_co_u32_e32 v13, vcc, v7, v13, vcc
	global_store_dwordx2 v[12:13], v[54:55], off
	s_or_b64 exec, exec, s[36:37]
	s_and_saveexec_b64 s[36:37], s[16:17]
	s_cbranch_execz .LBB2055_244
.LBB2055_303:
	v_sub_u32_e32 v12, v26, v8
	v_mov_b32_e32 v13, 0
	v_lshlrev_b64 v[12:13], 3, v[12:13]
	v_add_co_u32_e32 v12, vcc, v6, v12
	v_addc_co_u32_e32 v13, vcc, v7, v13, vcc
	global_store_dwordx2 v[12:13], v[56:57], off
	s_or_b64 exec, exec, s[36:37]
	s_and_saveexec_b64 s[36:37], s[14:15]
	s_cbranch_execz .LBB2055_245
.LBB2055_304:
	v_sub_u32_e32 v12, v21, v8
	v_mov_b32_e32 v13, 0
	v_lshlrev_b64 v[12:13], 3, v[12:13]
	v_add_co_u32_e32 v12, vcc, v6, v12
	v_addc_co_u32_e32 v13, vcc, v7, v13, vcc
	global_store_dwordx2 v[12:13], v[58:59], off
	s_or_b64 exec, exec, s[36:37]
	s_and_saveexec_b64 s[36:37], s[12:13]
	s_cbranch_execz .LBB2055_246
.LBB2055_305:
	v_sub_u32_e32 v12, v20, v8
	v_mov_b32_e32 v13, 0
	v_lshlrev_b64 v[12:13], 3, v[12:13]
	v_add_co_u32_e32 v12, vcc, v6, v12
	v_addc_co_u32_e32 v13, vcc, v7, v13, vcc
	global_store_dwordx2 v[12:13], v[60:61], off
	s_or_b64 exec, exec, s[36:37]
	s_and_saveexec_b64 s[36:37], s[10:11]
	s_cbranch_execz .LBB2055_247
.LBB2055_306:
	v_sub_u32_e32 v12, v19, v8
	v_mov_b32_e32 v13, 0
	v_lshlrev_b64 v[12:13], 3, v[12:13]
	v_add_co_u32_e32 v12, vcc, v6, v12
	v_addc_co_u32_e32 v13, vcc, v7, v13, vcc
	global_store_dwordx2 v[12:13], v[62:63], off
	s_or_b64 exec, exec, s[36:37]
	s_and_saveexec_b64 s[36:37], s[8:9]
	s_cbranch_execz .LBB2055_248
.LBB2055_307:
	v_sub_u32_e32 v12, v18, v8
	v_mov_b32_e32 v13, 0
	v_lshlrev_b64 v[12:13], 3, v[12:13]
	v_add_co_u32_e32 v12, vcc, v6, v12
	v_addc_co_u32_e32 v13, vcc, v7, v13, vcc
	global_store_dwordx2 v[12:13], v[64:65], off
	s_or_b64 exec, exec, s[36:37]
	s_and_saveexec_b64 s[36:37], s[6:7]
	s_cbranch_execz .LBB2055_249
.LBB2055_308:
	v_sub_u32_e32 v12, v17, v8
	v_mov_b32_e32 v13, 0
	v_lshlrev_b64 v[12:13], 3, v[12:13]
	v_add_co_u32_e32 v12, vcc, v6, v12
	v_addc_co_u32_e32 v13, vcc, v7, v13, vcc
	global_store_dwordx2 v[12:13], v[66:67], off
	s_or_b64 exec, exec, s[36:37]
	s_and_saveexec_b64 s[36:37], s[4:5]
	s_cbranch_execz .LBB2055_250
.LBB2055_309:
	v_sub_u32_e32 v12, v16, v8
	v_mov_b32_e32 v13, 0
	v_lshlrev_b64 v[12:13], 3, v[12:13]
	v_add_co_u32_e32 v12, vcc, v6, v12
	v_addc_co_u32_e32 v13, vcc, v7, v13, vcc
	global_store_dwordx2 v[12:13], v[68:69], off
	s_or_b64 exec, exec, s[36:37]
	s_and_saveexec_b64 s[36:37], s[2:3]
	s_cbranch_execnz .LBB2055_251
	s_branch .LBB2055_252
.LBB2055_310:
	v_sub_u32_e32 v9, v92, v8
	v_lshlrev_b32_e32 v9, 3, v9
	ds_write_b64 v9, v[70:71]
	s_or_b64 exec, exec, s[36:37]
	s_and_saveexec_b64 s[28:29], s[26:27]
	s_cbranch_execz .LBB2055_256
.LBB2055_311:
	v_sub_u32_e32 v9, v31, v8
	v_lshlrev_b32_e32 v9, 3, v9
	ds_write_b64 v9, v[46:47]
	s_or_b64 exec, exec, s[28:29]
	s_and_saveexec_b64 s[26:27], s[24:25]
	s_cbranch_execz .LBB2055_257
.LBB2055_312:
	v_sub_u32_e32 v9, v30, v8
	v_lshlrev_b32_e32 v9, 3, v9
	ds_write_b64 v9, v[48:49]
	s_or_b64 exec, exec, s[26:27]
	s_and_saveexec_b64 s[24:25], s[22:23]
	s_cbranch_execz .LBB2055_258
.LBB2055_313:
	v_sub_u32_e32 v9, v29, v8
	v_lshlrev_b32_e32 v9, 3, v9
	ds_write_b64 v9, v[50:51]
	s_or_b64 exec, exec, s[24:25]
	s_and_saveexec_b64 s[22:23], s[20:21]
	s_cbranch_execz .LBB2055_259
.LBB2055_314:
	v_sub_u32_e32 v9, v28, v8
	v_lshlrev_b32_e32 v9, 3, v9
	ds_write_b64 v9, v[52:53]
	s_or_b64 exec, exec, s[22:23]
	s_and_saveexec_b64 s[20:21], s[18:19]
	s_cbranch_execz .LBB2055_260
.LBB2055_315:
	v_sub_u32_e32 v9, v27, v8
	v_lshlrev_b32_e32 v9, 3, v9
	ds_write_b64 v9, v[54:55]
	s_or_b64 exec, exec, s[20:21]
	s_and_saveexec_b64 s[18:19], s[16:17]
	s_cbranch_execz .LBB2055_261
.LBB2055_316:
	v_sub_u32_e32 v9, v26, v8
	v_lshlrev_b32_e32 v9, 3, v9
	ds_write_b64 v9, v[56:57]
	s_or_b64 exec, exec, s[18:19]
	s_and_saveexec_b64 s[16:17], s[14:15]
	s_cbranch_execz .LBB2055_262
.LBB2055_317:
	v_sub_u32_e32 v9, v21, v8
	v_lshlrev_b32_e32 v9, 3, v9
	ds_write_b64 v9, v[58:59]
	s_or_b64 exec, exec, s[16:17]
	s_and_saveexec_b64 s[14:15], s[12:13]
	s_cbranch_execz .LBB2055_263
.LBB2055_318:
	v_sub_u32_e32 v9, v20, v8
	v_lshlrev_b32_e32 v9, 3, v9
	ds_write_b64 v9, v[60:61]
	s_or_b64 exec, exec, s[14:15]
	s_and_saveexec_b64 s[12:13], s[10:11]
	s_cbranch_execz .LBB2055_264
.LBB2055_319:
	v_sub_u32_e32 v9, v19, v8
	v_lshlrev_b32_e32 v9, 3, v9
	ds_write_b64 v9, v[62:63]
	s_or_b64 exec, exec, s[12:13]
	s_and_saveexec_b64 s[10:11], s[8:9]
	s_cbranch_execz .LBB2055_265
.LBB2055_320:
	v_sub_u32_e32 v9, v18, v8
	v_lshlrev_b32_e32 v9, 3, v9
	ds_write_b64 v9, v[64:65]
	s_or_b64 exec, exec, s[10:11]
	s_and_saveexec_b64 s[8:9], s[6:7]
	s_cbranch_execz .LBB2055_266
.LBB2055_321:
	v_sub_u32_e32 v9, v17, v8
	v_lshlrev_b32_e32 v9, 3, v9
	ds_write_b64 v9, v[66:67]
	s_or_b64 exec, exec, s[8:9]
	s_and_saveexec_b64 s[6:7], s[4:5]
	s_cbranch_execz .LBB2055_267
.LBB2055_322:
	v_sub_u32_e32 v9, v16, v8
	v_lshlrev_b32_e32 v9, 3, v9
	ds_write_b64 v9, v[68:69]
	s_or_b64 exec, exec, s[6:7]
	s_and_saveexec_b64 s[4:5], s[2:3]
	s_cbranch_execnz .LBB2055_268
	s_branch .LBB2055_269
	.section	.rodata,"a",@progbits
	.p2align	6, 0x0
	.amdhsa_kernel _ZN7rocprim17ROCPRIM_400000_NS6detail17trampoline_kernelINS0_14default_configENS1_29reduce_by_key_config_selectorIN3c108BFloat16ElN6thrust23THRUST_200600_302600_NS4plusIlEEEEZZNS1_33reduce_by_key_impl_wrapped_configILNS1_25lookback_scan_determinismE0ES3_SB_PS6_NS8_17constant_iteratorIiNS8_11use_defaultESG_EENS8_10device_ptrIS6_EENSI_IlEEPmSA_NS8_8equal_toIS6_EEEE10hipError_tPvRmT2_T3_mT4_T5_T6_T7_T8_P12ihipStream_tbENKUlT_T0_E_clISt17integral_constantIbLb0EES15_EEDaS10_S11_EUlS10_E_NS1_11comp_targetILNS1_3genE4ELNS1_11target_archE910ELNS1_3gpuE8ELNS1_3repE0EEENS1_30default_config_static_selectorELNS0_4arch9wavefront6targetE1EEEvT1_
		.amdhsa_group_segment_fixed_size 30720
		.amdhsa_private_segment_fixed_size 0
		.amdhsa_kernarg_size 144
		.amdhsa_user_sgpr_count 6
		.amdhsa_user_sgpr_private_segment_buffer 1
		.amdhsa_user_sgpr_dispatch_ptr 0
		.amdhsa_user_sgpr_queue_ptr 0
		.amdhsa_user_sgpr_kernarg_segment_ptr 1
		.amdhsa_user_sgpr_dispatch_id 0
		.amdhsa_user_sgpr_flat_scratch_init 0
		.amdhsa_user_sgpr_kernarg_preload_length 0
		.amdhsa_user_sgpr_kernarg_preload_offset 0
		.amdhsa_user_sgpr_private_segment_size 0
		.amdhsa_uses_dynamic_stack 0
		.amdhsa_system_sgpr_private_segment_wavefront_offset 0
		.amdhsa_system_sgpr_workgroup_id_x 1
		.amdhsa_system_sgpr_workgroup_id_y 0
		.amdhsa_system_sgpr_workgroup_id_z 0
		.amdhsa_system_sgpr_workgroup_info 0
		.amdhsa_system_vgpr_workitem_id 0
		.amdhsa_next_free_vgpr 127
		.amdhsa_next_free_sgpr 62
		.amdhsa_accum_offset 128
		.amdhsa_reserve_vcc 1
		.amdhsa_reserve_flat_scratch 0
		.amdhsa_float_round_mode_32 0
		.amdhsa_float_round_mode_16_64 0
		.amdhsa_float_denorm_mode_32 3
		.amdhsa_float_denorm_mode_16_64 3
		.amdhsa_dx10_clamp 1
		.amdhsa_ieee_mode 1
		.amdhsa_fp16_overflow 0
		.amdhsa_tg_split 0
		.amdhsa_exception_fp_ieee_invalid_op 0
		.amdhsa_exception_fp_denorm_src 0
		.amdhsa_exception_fp_ieee_div_zero 0
		.amdhsa_exception_fp_ieee_overflow 0
		.amdhsa_exception_fp_ieee_underflow 0
		.amdhsa_exception_fp_ieee_inexact 0
		.amdhsa_exception_int_div_zero 0
	.end_amdhsa_kernel
	.section	.text._ZN7rocprim17ROCPRIM_400000_NS6detail17trampoline_kernelINS0_14default_configENS1_29reduce_by_key_config_selectorIN3c108BFloat16ElN6thrust23THRUST_200600_302600_NS4plusIlEEEEZZNS1_33reduce_by_key_impl_wrapped_configILNS1_25lookback_scan_determinismE0ES3_SB_PS6_NS8_17constant_iteratorIiNS8_11use_defaultESG_EENS8_10device_ptrIS6_EENSI_IlEEPmSA_NS8_8equal_toIS6_EEEE10hipError_tPvRmT2_T3_mT4_T5_T6_T7_T8_P12ihipStream_tbENKUlT_T0_E_clISt17integral_constantIbLb0EES15_EEDaS10_S11_EUlS10_E_NS1_11comp_targetILNS1_3genE4ELNS1_11target_archE910ELNS1_3gpuE8ELNS1_3repE0EEENS1_30default_config_static_selectorELNS0_4arch9wavefront6targetE1EEEvT1_,"axG",@progbits,_ZN7rocprim17ROCPRIM_400000_NS6detail17trampoline_kernelINS0_14default_configENS1_29reduce_by_key_config_selectorIN3c108BFloat16ElN6thrust23THRUST_200600_302600_NS4plusIlEEEEZZNS1_33reduce_by_key_impl_wrapped_configILNS1_25lookback_scan_determinismE0ES3_SB_PS6_NS8_17constant_iteratorIiNS8_11use_defaultESG_EENS8_10device_ptrIS6_EENSI_IlEEPmSA_NS8_8equal_toIS6_EEEE10hipError_tPvRmT2_T3_mT4_T5_T6_T7_T8_P12ihipStream_tbENKUlT_T0_E_clISt17integral_constantIbLb0EES15_EEDaS10_S11_EUlS10_E_NS1_11comp_targetILNS1_3genE4ELNS1_11target_archE910ELNS1_3gpuE8ELNS1_3repE0EEENS1_30default_config_static_selectorELNS0_4arch9wavefront6targetE1EEEvT1_,comdat
.Lfunc_end2055:
	.size	_ZN7rocprim17ROCPRIM_400000_NS6detail17trampoline_kernelINS0_14default_configENS1_29reduce_by_key_config_selectorIN3c108BFloat16ElN6thrust23THRUST_200600_302600_NS4plusIlEEEEZZNS1_33reduce_by_key_impl_wrapped_configILNS1_25lookback_scan_determinismE0ES3_SB_PS6_NS8_17constant_iteratorIiNS8_11use_defaultESG_EENS8_10device_ptrIS6_EENSI_IlEEPmSA_NS8_8equal_toIS6_EEEE10hipError_tPvRmT2_T3_mT4_T5_T6_T7_T8_P12ihipStream_tbENKUlT_T0_E_clISt17integral_constantIbLb0EES15_EEDaS10_S11_EUlS10_E_NS1_11comp_targetILNS1_3genE4ELNS1_11target_archE910ELNS1_3gpuE8ELNS1_3repE0EEENS1_30default_config_static_selectorELNS0_4arch9wavefront6targetE1EEEvT1_, .Lfunc_end2055-_ZN7rocprim17ROCPRIM_400000_NS6detail17trampoline_kernelINS0_14default_configENS1_29reduce_by_key_config_selectorIN3c108BFloat16ElN6thrust23THRUST_200600_302600_NS4plusIlEEEEZZNS1_33reduce_by_key_impl_wrapped_configILNS1_25lookback_scan_determinismE0ES3_SB_PS6_NS8_17constant_iteratorIiNS8_11use_defaultESG_EENS8_10device_ptrIS6_EENSI_IlEEPmSA_NS8_8equal_toIS6_EEEE10hipError_tPvRmT2_T3_mT4_T5_T6_T7_T8_P12ihipStream_tbENKUlT_T0_E_clISt17integral_constantIbLb0EES15_EEDaS10_S11_EUlS10_E_NS1_11comp_targetILNS1_3genE4ELNS1_11target_archE910ELNS1_3gpuE8ELNS1_3repE0EEENS1_30default_config_static_selectorELNS0_4arch9wavefront6targetE1EEEvT1_
                                        ; -- End function
	.section	.AMDGPU.csdata,"",@progbits
; Kernel info:
; codeLenInByte = 17448
; NumSgprs: 66
; NumVgprs: 127
; NumAgprs: 0
; TotalNumVgprs: 127
; ScratchSize: 0
; MemoryBound: 0
; FloatMode: 240
; IeeeMode: 1
; LDSByteSize: 30720 bytes/workgroup (compile time only)
; SGPRBlocks: 8
; VGPRBlocks: 15
; NumSGPRsForWavesPerEU: 66
; NumVGPRsForWavesPerEU: 127
; AccumOffset: 128
; Occupancy: 2
; WaveLimiterHint : 1
; COMPUTE_PGM_RSRC2:SCRATCH_EN: 0
; COMPUTE_PGM_RSRC2:USER_SGPR: 6
; COMPUTE_PGM_RSRC2:TRAP_HANDLER: 0
; COMPUTE_PGM_RSRC2:TGID_X_EN: 1
; COMPUTE_PGM_RSRC2:TGID_Y_EN: 0
; COMPUTE_PGM_RSRC2:TGID_Z_EN: 0
; COMPUTE_PGM_RSRC2:TIDIG_COMP_CNT: 0
; COMPUTE_PGM_RSRC3_GFX90A:ACCUM_OFFSET: 31
; COMPUTE_PGM_RSRC3_GFX90A:TG_SPLIT: 0
	.section	.text._ZN7rocprim17ROCPRIM_400000_NS6detail17trampoline_kernelINS0_14default_configENS1_29reduce_by_key_config_selectorIN3c108BFloat16ElN6thrust23THRUST_200600_302600_NS4plusIlEEEEZZNS1_33reduce_by_key_impl_wrapped_configILNS1_25lookback_scan_determinismE0ES3_SB_PS6_NS8_17constant_iteratorIiNS8_11use_defaultESG_EENS8_10device_ptrIS6_EENSI_IlEEPmSA_NS8_8equal_toIS6_EEEE10hipError_tPvRmT2_T3_mT4_T5_T6_T7_T8_P12ihipStream_tbENKUlT_T0_E_clISt17integral_constantIbLb0EES15_EEDaS10_S11_EUlS10_E_NS1_11comp_targetILNS1_3genE3ELNS1_11target_archE908ELNS1_3gpuE7ELNS1_3repE0EEENS1_30default_config_static_selectorELNS0_4arch9wavefront6targetE1EEEvT1_,"axG",@progbits,_ZN7rocprim17ROCPRIM_400000_NS6detail17trampoline_kernelINS0_14default_configENS1_29reduce_by_key_config_selectorIN3c108BFloat16ElN6thrust23THRUST_200600_302600_NS4plusIlEEEEZZNS1_33reduce_by_key_impl_wrapped_configILNS1_25lookback_scan_determinismE0ES3_SB_PS6_NS8_17constant_iteratorIiNS8_11use_defaultESG_EENS8_10device_ptrIS6_EENSI_IlEEPmSA_NS8_8equal_toIS6_EEEE10hipError_tPvRmT2_T3_mT4_T5_T6_T7_T8_P12ihipStream_tbENKUlT_T0_E_clISt17integral_constantIbLb0EES15_EEDaS10_S11_EUlS10_E_NS1_11comp_targetILNS1_3genE3ELNS1_11target_archE908ELNS1_3gpuE7ELNS1_3repE0EEENS1_30default_config_static_selectorELNS0_4arch9wavefront6targetE1EEEvT1_,comdat
	.protected	_ZN7rocprim17ROCPRIM_400000_NS6detail17trampoline_kernelINS0_14default_configENS1_29reduce_by_key_config_selectorIN3c108BFloat16ElN6thrust23THRUST_200600_302600_NS4plusIlEEEEZZNS1_33reduce_by_key_impl_wrapped_configILNS1_25lookback_scan_determinismE0ES3_SB_PS6_NS8_17constant_iteratorIiNS8_11use_defaultESG_EENS8_10device_ptrIS6_EENSI_IlEEPmSA_NS8_8equal_toIS6_EEEE10hipError_tPvRmT2_T3_mT4_T5_T6_T7_T8_P12ihipStream_tbENKUlT_T0_E_clISt17integral_constantIbLb0EES15_EEDaS10_S11_EUlS10_E_NS1_11comp_targetILNS1_3genE3ELNS1_11target_archE908ELNS1_3gpuE7ELNS1_3repE0EEENS1_30default_config_static_selectorELNS0_4arch9wavefront6targetE1EEEvT1_ ; -- Begin function _ZN7rocprim17ROCPRIM_400000_NS6detail17trampoline_kernelINS0_14default_configENS1_29reduce_by_key_config_selectorIN3c108BFloat16ElN6thrust23THRUST_200600_302600_NS4plusIlEEEEZZNS1_33reduce_by_key_impl_wrapped_configILNS1_25lookback_scan_determinismE0ES3_SB_PS6_NS8_17constant_iteratorIiNS8_11use_defaultESG_EENS8_10device_ptrIS6_EENSI_IlEEPmSA_NS8_8equal_toIS6_EEEE10hipError_tPvRmT2_T3_mT4_T5_T6_T7_T8_P12ihipStream_tbENKUlT_T0_E_clISt17integral_constantIbLb0EES15_EEDaS10_S11_EUlS10_E_NS1_11comp_targetILNS1_3genE3ELNS1_11target_archE908ELNS1_3gpuE7ELNS1_3repE0EEENS1_30default_config_static_selectorELNS0_4arch9wavefront6targetE1EEEvT1_
	.globl	_ZN7rocprim17ROCPRIM_400000_NS6detail17trampoline_kernelINS0_14default_configENS1_29reduce_by_key_config_selectorIN3c108BFloat16ElN6thrust23THRUST_200600_302600_NS4plusIlEEEEZZNS1_33reduce_by_key_impl_wrapped_configILNS1_25lookback_scan_determinismE0ES3_SB_PS6_NS8_17constant_iteratorIiNS8_11use_defaultESG_EENS8_10device_ptrIS6_EENSI_IlEEPmSA_NS8_8equal_toIS6_EEEE10hipError_tPvRmT2_T3_mT4_T5_T6_T7_T8_P12ihipStream_tbENKUlT_T0_E_clISt17integral_constantIbLb0EES15_EEDaS10_S11_EUlS10_E_NS1_11comp_targetILNS1_3genE3ELNS1_11target_archE908ELNS1_3gpuE7ELNS1_3repE0EEENS1_30default_config_static_selectorELNS0_4arch9wavefront6targetE1EEEvT1_
	.p2align	8
	.type	_ZN7rocprim17ROCPRIM_400000_NS6detail17trampoline_kernelINS0_14default_configENS1_29reduce_by_key_config_selectorIN3c108BFloat16ElN6thrust23THRUST_200600_302600_NS4plusIlEEEEZZNS1_33reduce_by_key_impl_wrapped_configILNS1_25lookback_scan_determinismE0ES3_SB_PS6_NS8_17constant_iteratorIiNS8_11use_defaultESG_EENS8_10device_ptrIS6_EENSI_IlEEPmSA_NS8_8equal_toIS6_EEEE10hipError_tPvRmT2_T3_mT4_T5_T6_T7_T8_P12ihipStream_tbENKUlT_T0_E_clISt17integral_constantIbLb0EES15_EEDaS10_S11_EUlS10_E_NS1_11comp_targetILNS1_3genE3ELNS1_11target_archE908ELNS1_3gpuE7ELNS1_3repE0EEENS1_30default_config_static_selectorELNS0_4arch9wavefront6targetE1EEEvT1_,@function
_ZN7rocprim17ROCPRIM_400000_NS6detail17trampoline_kernelINS0_14default_configENS1_29reduce_by_key_config_selectorIN3c108BFloat16ElN6thrust23THRUST_200600_302600_NS4plusIlEEEEZZNS1_33reduce_by_key_impl_wrapped_configILNS1_25lookback_scan_determinismE0ES3_SB_PS6_NS8_17constant_iteratorIiNS8_11use_defaultESG_EENS8_10device_ptrIS6_EENSI_IlEEPmSA_NS8_8equal_toIS6_EEEE10hipError_tPvRmT2_T3_mT4_T5_T6_T7_T8_P12ihipStream_tbENKUlT_T0_E_clISt17integral_constantIbLb0EES15_EEDaS10_S11_EUlS10_E_NS1_11comp_targetILNS1_3genE3ELNS1_11target_archE908ELNS1_3gpuE7ELNS1_3repE0EEENS1_30default_config_static_selectorELNS0_4arch9wavefront6targetE1EEEvT1_: ; @_ZN7rocprim17ROCPRIM_400000_NS6detail17trampoline_kernelINS0_14default_configENS1_29reduce_by_key_config_selectorIN3c108BFloat16ElN6thrust23THRUST_200600_302600_NS4plusIlEEEEZZNS1_33reduce_by_key_impl_wrapped_configILNS1_25lookback_scan_determinismE0ES3_SB_PS6_NS8_17constant_iteratorIiNS8_11use_defaultESG_EENS8_10device_ptrIS6_EENSI_IlEEPmSA_NS8_8equal_toIS6_EEEE10hipError_tPvRmT2_T3_mT4_T5_T6_T7_T8_P12ihipStream_tbENKUlT_T0_E_clISt17integral_constantIbLb0EES15_EEDaS10_S11_EUlS10_E_NS1_11comp_targetILNS1_3genE3ELNS1_11target_archE908ELNS1_3gpuE7ELNS1_3repE0EEENS1_30default_config_static_selectorELNS0_4arch9wavefront6targetE1EEEvT1_
; %bb.0:
	.section	.rodata,"a",@progbits
	.p2align	6, 0x0
	.amdhsa_kernel _ZN7rocprim17ROCPRIM_400000_NS6detail17trampoline_kernelINS0_14default_configENS1_29reduce_by_key_config_selectorIN3c108BFloat16ElN6thrust23THRUST_200600_302600_NS4plusIlEEEEZZNS1_33reduce_by_key_impl_wrapped_configILNS1_25lookback_scan_determinismE0ES3_SB_PS6_NS8_17constant_iteratorIiNS8_11use_defaultESG_EENS8_10device_ptrIS6_EENSI_IlEEPmSA_NS8_8equal_toIS6_EEEE10hipError_tPvRmT2_T3_mT4_T5_T6_T7_T8_P12ihipStream_tbENKUlT_T0_E_clISt17integral_constantIbLb0EES15_EEDaS10_S11_EUlS10_E_NS1_11comp_targetILNS1_3genE3ELNS1_11target_archE908ELNS1_3gpuE7ELNS1_3repE0EEENS1_30default_config_static_selectorELNS0_4arch9wavefront6targetE1EEEvT1_
		.amdhsa_group_segment_fixed_size 0
		.amdhsa_private_segment_fixed_size 0
		.amdhsa_kernarg_size 144
		.amdhsa_user_sgpr_count 6
		.amdhsa_user_sgpr_private_segment_buffer 1
		.amdhsa_user_sgpr_dispatch_ptr 0
		.amdhsa_user_sgpr_queue_ptr 0
		.amdhsa_user_sgpr_kernarg_segment_ptr 1
		.amdhsa_user_sgpr_dispatch_id 0
		.amdhsa_user_sgpr_flat_scratch_init 0
		.amdhsa_user_sgpr_kernarg_preload_length 0
		.amdhsa_user_sgpr_kernarg_preload_offset 0
		.amdhsa_user_sgpr_private_segment_size 0
		.amdhsa_uses_dynamic_stack 0
		.amdhsa_system_sgpr_private_segment_wavefront_offset 0
		.amdhsa_system_sgpr_workgroup_id_x 1
		.amdhsa_system_sgpr_workgroup_id_y 0
		.amdhsa_system_sgpr_workgroup_id_z 0
		.amdhsa_system_sgpr_workgroup_info 0
		.amdhsa_system_vgpr_workitem_id 0
		.amdhsa_next_free_vgpr 1
		.amdhsa_next_free_sgpr 0
		.amdhsa_accum_offset 4
		.amdhsa_reserve_vcc 0
		.amdhsa_reserve_flat_scratch 0
		.amdhsa_float_round_mode_32 0
		.amdhsa_float_round_mode_16_64 0
		.amdhsa_float_denorm_mode_32 3
		.amdhsa_float_denorm_mode_16_64 3
		.amdhsa_dx10_clamp 1
		.amdhsa_ieee_mode 1
		.amdhsa_fp16_overflow 0
		.amdhsa_tg_split 0
		.amdhsa_exception_fp_ieee_invalid_op 0
		.amdhsa_exception_fp_denorm_src 0
		.amdhsa_exception_fp_ieee_div_zero 0
		.amdhsa_exception_fp_ieee_overflow 0
		.amdhsa_exception_fp_ieee_underflow 0
		.amdhsa_exception_fp_ieee_inexact 0
		.amdhsa_exception_int_div_zero 0
	.end_amdhsa_kernel
	.section	.text._ZN7rocprim17ROCPRIM_400000_NS6detail17trampoline_kernelINS0_14default_configENS1_29reduce_by_key_config_selectorIN3c108BFloat16ElN6thrust23THRUST_200600_302600_NS4plusIlEEEEZZNS1_33reduce_by_key_impl_wrapped_configILNS1_25lookback_scan_determinismE0ES3_SB_PS6_NS8_17constant_iteratorIiNS8_11use_defaultESG_EENS8_10device_ptrIS6_EENSI_IlEEPmSA_NS8_8equal_toIS6_EEEE10hipError_tPvRmT2_T3_mT4_T5_T6_T7_T8_P12ihipStream_tbENKUlT_T0_E_clISt17integral_constantIbLb0EES15_EEDaS10_S11_EUlS10_E_NS1_11comp_targetILNS1_3genE3ELNS1_11target_archE908ELNS1_3gpuE7ELNS1_3repE0EEENS1_30default_config_static_selectorELNS0_4arch9wavefront6targetE1EEEvT1_,"axG",@progbits,_ZN7rocprim17ROCPRIM_400000_NS6detail17trampoline_kernelINS0_14default_configENS1_29reduce_by_key_config_selectorIN3c108BFloat16ElN6thrust23THRUST_200600_302600_NS4plusIlEEEEZZNS1_33reduce_by_key_impl_wrapped_configILNS1_25lookback_scan_determinismE0ES3_SB_PS6_NS8_17constant_iteratorIiNS8_11use_defaultESG_EENS8_10device_ptrIS6_EENSI_IlEEPmSA_NS8_8equal_toIS6_EEEE10hipError_tPvRmT2_T3_mT4_T5_T6_T7_T8_P12ihipStream_tbENKUlT_T0_E_clISt17integral_constantIbLb0EES15_EEDaS10_S11_EUlS10_E_NS1_11comp_targetILNS1_3genE3ELNS1_11target_archE908ELNS1_3gpuE7ELNS1_3repE0EEENS1_30default_config_static_selectorELNS0_4arch9wavefront6targetE1EEEvT1_,comdat
.Lfunc_end2056:
	.size	_ZN7rocprim17ROCPRIM_400000_NS6detail17trampoline_kernelINS0_14default_configENS1_29reduce_by_key_config_selectorIN3c108BFloat16ElN6thrust23THRUST_200600_302600_NS4plusIlEEEEZZNS1_33reduce_by_key_impl_wrapped_configILNS1_25lookback_scan_determinismE0ES3_SB_PS6_NS8_17constant_iteratorIiNS8_11use_defaultESG_EENS8_10device_ptrIS6_EENSI_IlEEPmSA_NS8_8equal_toIS6_EEEE10hipError_tPvRmT2_T3_mT4_T5_T6_T7_T8_P12ihipStream_tbENKUlT_T0_E_clISt17integral_constantIbLb0EES15_EEDaS10_S11_EUlS10_E_NS1_11comp_targetILNS1_3genE3ELNS1_11target_archE908ELNS1_3gpuE7ELNS1_3repE0EEENS1_30default_config_static_selectorELNS0_4arch9wavefront6targetE1EEEvT1_, .Lfunc_end2056-_ZN7rocprim17ROCPRIM_400000_NS6detail17trampoline_kernelINS0_14default_configENS1_29reduce_by_key_config_selectorIN3c108BFloat16ElN6thrust23THRUST_200600_302600_NS4plusIlEEEEZZNS1_33reduce_by_key_impl_wrapped_configILNS1_25lookback_scan_determinismE0ES3_SB_PS6_NS8_17constant_iteratorIiNS8_11use_defaultESG_EENS8_10device_ptrIS6_EENSI_IlEEPmSA_NS8_8equal_toIS6_EEEE10hipError_tPvRmT2_T3_mT4_T5_T6_T7_T8_P12ihipStream_tbENKUlT_T0_E_clISt17integral_constantIbLb0EES15_EEDaS10_S11_EUlS10_E_NS1_11comp_targetILNS1_3genE3ELNS1_11target_archE908ELNS1_3gpuE7ELNS1_3repE0EEENS1_30default_config_static_selectorELNS0_4arch9wavefront6targetE1EEEvT1_
                                        ; -- End function
	.section	.AMDGPU.csdata,"",@progbits
; Kernel info:
; codeLenInByte = 0
; NumSgprs: 4
; NumVgprs: 0
; NumAgprs: 0
; TotalNumVgprs: 0
; ScratchSize: 0
; MemoryBound: 0
; FloatMode: 240
; IeeeMode: 1
; LDSByteSize: 0 bytes/workgroup (compile time only)
; SGPRBlocks: 0
; VGPRBlocks: 0
; NumSGPRsForWavesPerEU: 4
; NumVGPRsForWavesPerEU: 1
; AccumOffset: 4
; Occupancy: 8
; WaveLimiterHint : 0
; COMPUTE_PGM_RSRC2:SCRATCH_EN: 0
; COMPUTE_PGM_RSRC2:USER_SGPR: 6
; COMPUTE_PGM_RSRC2:TRAP_HANDLER: 0
; COMPUTE_PGM_RSRC2:TGID_X_EN: 1
; COMPUTE_PGM_RSRC2:TGID_Y_EN: 0
; COMPUTE_PGM_RSRC2:TGID_Z_EN: 0
; COMPUTE_PGM_RSRC2:TIDIG_COMP_CNT: 0
; COMPUTE_PGM_RSRC3_GFX90A:ACCUM_OFFSET: 0
; COMPUTE_PGM_RSRC3_GFX90A:TG_SPLIT: 0
	.section	.text._ZN7rocprim17ROCPRIM_400000_NS6detail17trampoline_kernelINS0_14default_configENS1_29reduce_by_key_config_selectorIN3c108BFloat16ElN6thrust23THRUST_200600_302600_NS4plusIlEEEEZZNS1_33reduce_by_key_impl_wrapped_configILNS1_25lookback_scan_determinismE0ES3_SB_PS6_NS8_17constant_iteratorIiNS8_11use_defaultESG_EENS8_10device_ptrIS6_EENSI_IlEEPmSA_NS8_8equal_toIS6_EEEE10hipError_tPvRmT2_T3_mT4_T5_T6_T7_T8_P12ihipStream_tbENKUlT_T0_E_clISt17integral_constantIbLb0EES15_EEDaS10_S11_EUlS10_E_NS1_11comp_targetILNS1_3genE2ELNS1_11target_archE906ELNS1_3gpuE6ELNS1_3repE0EEENS1_30default_config_static_selectorELNS0_4arch9wavefront6targetE1EEEvT1_,"axG",@progbits,_ZN7rocprim17ROCPRIM_400000_NS6detail17trampoline_kernelINS0_14default_configENS1_29reduce_by_key_config_selectorIN3c108BFloat16ElN6thrust23THRUST_200600_302600_NS4plusIlEEEEZZNS1_33reduce_by_key_impl_wrapped_configILNS1_25lookback_scan_determinismE0ES3_SB_PS6_NS8_17constant_iteratorIiNS8_11use_defaultESG_EENS8_10device_ptrIS6_EENSI_IlEEPmSA_NS8_8equal_toIS6_EEEE10hipError_tPvRmT2_T3_mT4_T5_T6_T7_T8_P12ihipStream_tbENKUlT_T0_E_clISt17integral_constantIbLb0EES15_EEDaS10_S11_EUlS10_E_NS1_11comp_targetILNS1_3genE2ELNS1_11target_archE906ELNS1_3gpuE6ELNS1_3repE0EEENS1_30default_config_static_selectorELNS0_4arch9wavefront6targetE1EEEvT1_,comdat
	.protected	_ZN7rocprim17ROCPRIM_400000_NS6detail17trampoline_kernelINS0_14default_configENS1_29reduce_by_key_config_selectorIN3c108BFloat16ElN6thrust23THRUST_200600_302600_NS4plusIlEEEEZZNS1_33reduce_by_key_impl_wrapped_configILNS1_25lookback_scan_determinismE0ES3_SB_PS6_NS8_17constant_iteratorIiNS8_11use_defaultESG_EENS8_10device_ptrIS6_EENSI_IlEEPmSA_NS8_8equal_toIS6_EEEE10hipError_tPvRmT2_T3_mT4_T5_T6_T7_T8_P12ihipStream_tbENKUlT_T0_E_clISt17integral_constantIbLb0EES15_EEDaS10_S11_EUlS10_E_NS1_11comp_targetILNS1_3genE2ELNS1_11target_archE906ELNS1_3gpuE6ELNS1_3repE0EEENS1_30default_config_static_selectorELNS0_4arch9wavefront6targetE1EEEvT1_ ; -- Begin function _ZN7rocprim17ROCPRIM_400000_NS6detail17trampoline_kernelINS0_14default_configENS1_29reduce_by_key_config_selectorIN3c108BFloat16ElN6thrust23THRUST_200600_302600_NS4plusIlEEEEZZNS1_33reduce_by_key_impl_wrapped_configILNS1_25lookback_scan_determinismE0ES3_SB_PS6_NS8_17constant_iteratorIiNS8_11use_defaultESG_EENS8_10device_ptrIS6_EENSI_IlEEPmSA_NS8_8equal_toIS6_EEEE10hipError_tPvRmT2_T3_mT4_T5_T6_T7_T8_P12ihipStream_tbENKUlT_T0_E_clISt17integral_constantIbLb0EES15_EEDaS10_S11_EUlS10_E_NS1_11comp_targetILNS1_3genE2ELNS1_11target_archE906ELNS1_3gpuE6ELNS1_3repE0EEENS1_30default_config_static_selectorELNS0_4arch9wavefront6targetE1EEEvT1_
	.globl	_ZN7rocprim17ROCPRIM_400000_NS6detail17trampoline_kernelINS0_14default_configENS1_29reduce_by_key_config_selectorIN3c108BFloat16ElN6thrust23THRUST_200600_302600_NS4plusIlEEEEZZNS1_33reduce_by_key_impl_wrapped_configILNS1_25lookback_scan_determinismE0ES3_SB_PS6_NS8_17constant_iteratorIiNS8_11use_defaultESG_EENS8_10device_ptrIS6_EENSI_IlEEPmSA_NS8_8equal_toIS6_EEEE10hipError_tPvRmT2_T3_mT4_T5_T6_T7_T8_P12ihipStream_tbENKUlT_T0_E_clISt17integral_constantIbLb0EES15_EEDaS10_S11_EUlS10_E_NS1_11comp_targetILNS1_3genE2ELNS1_11target_archE906ELNS1_3gpuE6ELNS1_3repE0EEENS1_30default_config_static_selectorELNS0_4arch9wavefront6targetE1EEEvT1_
	.p2align	8
	.type	_ZN7rocprim17ROCPRIM_400000_NS6detail17trampoline_kernelINS0_14default_configENS1_29reduce_by_key_config_selectorIN3c108BFloat16ElN6thrust23THRUST_200600_302600_NS4plusIlEEEEZZNS1_33reduce_by_key_impl_wrapped_configILNS1_25lookback_scan_determinismE0ES3_SB_PS6_NS8_17constant_iteratorIiNS8_11use_defaultESG_EENS8_10device_ptrIS6_EENSI_IlEEPmSA_NS8_8equal_toIS6_EEEE10hipError_tPvRmT2_T3_mT4_T5_T6_T7_T8_P12ihipStream_tbENKUlT_T0_E_clISt17integral_constantIbLb0EES15_EEDaS10_S11_EUlS10_E_NS1_11comp_targetILNS1_3genE2ELNS1_11target_archE906ELNS1_3gpuE6ELNS1_3repE0EEENS1_30default_config_static_selectorELNS0_4arch9wavefront6targetE1EEEvT1_,@function
_ZN7rocprim17ROCPRIM_400000_NS6detail17trampoline_kernelINS0_14default_configENS1_29reduce_by_key_config_selectorIN3c108BFloat16ElN6thrust23THRUST_200600_302600_NS4plusIlEEEEZZNS1_33reduce_by_key_impl_wrapped_configILNS1_25lookback_scan_determinismE0ES3_SB_PS6_NS8_17constant_iteratorIiNS8_11use_defaultESG_EENS8_10device_ptrIS6_EENSI_IlEEPmSA_NS8_8equal_toIS6_EEEE10hipError_tPvRmT2_T3_mT4_T5_T6_T7_T8_P12ihipStream_tbENKUlT_T0_E_clISt17integral_constantIbLb0EES15_EEDaS10_S11_EUlS10_E_NS1_11comp_targetILNS1_3genE2ELNS1_11target_archE906ELNS1_3gpuE6ELNS1_3repE0EEENS1_30default_config_static_selectorELNS0_4arch9wavefront6targetE1EEEvT1_: ; @_ZN7rocprim17ROCPRIM_400000_NS6detail17trampoline_kernelINS0_14default_configENS1_29reduce_by_key_config_selectorIN3c108BFloat16ElN6thrust23THRUST_200600_302600_NS4plusIlEEEEZZNS1_33reduce_by_key_impl_wrapped_configILNS1_25lookback_scan_determinismE0ES3_SB_PS6_NS8_17constant_iteratorIiNS8_11use_defaultESG_EENS8_10device_ptrIS6_EENSI_IlEEPmSA_NS8_8equal_toIS6_EEEE10hipError_tPvRmT2_T3_mT4_T5_T6_T7_T8_P12ihipStream_tbENKUlT_T0_E_clISt17integral_constantIbLb0EES15_EEDaS10_S11_EUlS10_E_NS1_11comp_targetILNS1_3genE2ELNS1_11target_archE906ELNS1_3gpuE6ELNS1_3repE0EEENS1_30default_config_static_selectorELNS0_4arch9wavefront6targetE1EEEvT1_
; %bb.0:
	.section	.rodata,"a",@progbits
	.p2align	6, 0x0
	.amdhsa_kernel _ZN7rocprim17ROCPRIM_400000_NS6detail17trampoline_kernelINS0_14default_configENS1_29reduce_by_key_config_selectorIN3c108BFloat16ElN6thrust23THRUST_200600_302600_NS4plusIlEEEEZZNS1_33reduce_by_key_impl_wrapped_configILNS1_25lookback_scan_determinismE0ES3_SB_PS6_NS8_17constant_iteratorIiNS8_11use_defaultESG_EENS8_10device_ptrIS6_EENSI_IlEEPmSA_NS8_8equal_toIS6_EEEE10hipError_tPvRmT2_T3_mT4_T5_T6_T7_T8_P12ihipStream_tbENKUlT_T0_E_clISt17integral_constantIbLb0EES15_EEDaS10_S11_EUlS10_E_NS1_11comp_targetILNS1_3genE2ELNS1_11target_archE906ELNS1_3gpuE6ELNS1_3repE0EEENS1_30default_config_static_selectorELNS0_4arch9wavefront6targetE1EEEvT1_
		.amdhsa_group_segment_fixed_size 0
		.amdhsa_private_segment_fixed_size 0
		.amdhsa_kernarg_size 144
		.amdhsa_user_sgpr_count 6
		.amdhsa_user_sgpr_private_segment_buffer 1
		.amdhsa_user_sgpr_dispatch_ptr 0
		.amdhsa_user_sgpr_queue_ptr 0
		.amdhsa_user_sgpr_kernarg_segment_ptr 1
		.amdhsa_user_sgpr_dispatch_id 0
		.amdhsa_user_sgpr_flat_scratch_init 0
		.amdhsa_user_sgpr_kernarg_preload_length 0
		.amdhsa_user_sgpr_kernarg_preload_offset 0
		.amdhsa_user_sgpr_private_segment_size 0
		.amdhsa_uses_dynamic_stack 0
		.amdhsa_system_sgpr_private_segment_wavefront_offset 0
		.amdhsa_system_sgpr_workgroup_id_x 1
		.amdhsa_system_sgpr_workgroup_id_y 0
		.amdhsa_system_sgpr_workgroup_id_z 0
		.amdhsa_system_sgpr_workgroup_info 0
		.amdhsa_system_vgpr_workitem_id 0
		.amdhsa_next_free_vgpr 1
		.amdhsa_next_free_sgpr 0
		.amdhsa_accum_offset 4
		.amdhsa_reserve_vcc 0
		.amdhsa_reserve_flat_scratch 0
		.amdhsa_float_round_mode_32 0
		.amdhsa_float_round_mode_16_64 0
		.amdhsa_float_denorm_mode_32 3
		.amdhsa_float_denorm_mode_16_64 3
		.amdhsa_dx10_clamp 1
		.amdhsa_ieee_mode 1
		.amdhsa_fp16_overflow 0
		.amdhsa_tg_split 0
		.amdhsa_exception_fp_ieee_invalid_op 0
		.amdhsa_exception_fp_denorm_src 0
		.amdhsa_exception_fp_ieee_div_zero 0
		.amdhsa_exception_fp_ieee_overflow 0
		.amdhsa_exception_fp_ieee_underflow 0
		.amdhsa_exception_fp_ieee_inexact 0
		.amdhsa_exception_int_div_zero 0
	.end_amdhsa_kernel
	.section	.text._ZN7rocprim17ROCPRIM_400000_NS6detail17trampoline_kernelINS0_14default_configENS1_29reduce_by_key_config_selectorIN3c108BFloat16ElN6thrust23THRUST_200600_302600_NS4plusIlEEEEZZNS1_33reduce_by_key_impl_wrapped_configILNS1_25lookback_scan_determinismE0ES3_SB_PS6_NS8_17constant_iteratorIiNS8_11use_defaultESG_EENS8_10device_ptrIS6_EENSI_IlEEPmSA_NS8_8equal_toIS6_EEEE10hipError_tPvRmT2_T3_mT4_T5_T6_T7_T8_P12ihipStream_tbENKUlT_T0_E_clISt17integral_constantIbLb0EES15_EEDaS10_S11_EUlS10_E_NS1_11comp_targetILNS1_3genE2ELNS1_11target_archE906ELNS1_3gpuE6ELNS1_3repE0EEENS1_30default_config_static_selectorELNS0_4arch9wavefront6targetE1EEEvT1_,"axG",@progbits,_ZN7rocprim17ROCPRIM_400000_NS6detail17trampoline_kernelINS0_14default_configENS1_29reduce_by_key_config_selectorIN3c108BFloat16ElN6thrust23THRUST_200600_302600_NS4plusIlEEEEZZNS1_33reduce_by_key_impl_wrapped_configILNS1_25lookback_scan_determinismE0ES3_SB_PS6_NS8_17constant_iteratorIiNS8_11use_defaultESG_EENS8_10device_ptrIS6_EENSI_IlEEPmSA_NS8_8equal_toIS6_EEEE10hipError_tPvRmT2_T3_mT4_T5_T6_T7_T8_P12ihipStream_tbENKUlT_T0_E_clISt17integral_constantIbLb0EES15_EEDaS10_S11_EUlS10_E_NS1_11comp_targetILNS1_3genE2ELNS1_11target_archE906ELNS1_3gpuE6ELNS1_3repE0EEENS1_30default_config_static_selectorELNS0_4arch9wavefront6targetE1EEEvT1_,comdat
.Lfunc_end2057:
	.size	_ZN7rocprim17ROCPRIM_400000_NS6detail17trampoline_kernelINS0_14default_configENS1_29reduce_by_key_config_selectorIN3c108BFloat16ElN6thrust23THRUST_200600_302600_NS4plusIlEEEEZZNS1_33reduce_by_key_impl_wrapped_configILNS1_25lookback_scan_determinismE0ES3_SB_PS6_NS8_17constant_iteratorIiNS8_11use_defaultESG_EENS8_10device_ptrIS6_EENSI_IlEEPmSA_NS8_8equal_toIS6_EEEE10hipError_tPvRmT2_T3_mT4_T5_T6_T7_T8_P12ihipStream_tbENKUlT_T0_E_clISt17integral_constantIbLb0EES15_EEDaS10_S11_EUlS10_E_NS1_11comp_targetILNS1_3genE2ELNS1_11target_archE906ELNS1_3gpuE6ELNS1_3repE0EEENS1_30default_config_static_selectorELNS0_4arch9wavefront6targetE1EEEvT1_, .Lfunc_end2057-_ZN7rocprim17ROCPRIM_400000_NS6detail17trampoline_kernelINS0_14default_configENS1_29reduce_by_key_config_selectorIN3c108BFloat16ElN6thrust23THRUST_200600_302600_NS4plusIlEEEEZZNS1_33reduce_by_key_impl_wrapped_configILNS1_25lookback_scan_determinismE0ES3_SB_PS6_NS8_17constant_iteratorIiNS8_11use_defaultESG_EENS8_10device_ptrIS6_EENSI_IlEEPmSA_NS8_8equal_toIS6_EEEE10hipError_tPvRmT2_T3_mT4_T5_T6_T7_T8_P12ihipStream_tbENKUlT_T0_E_clISt17integral_constantIbLb0EES15_EEDaS10_S11_EUlS10_E_NS1_11comp_targetILNS1_3genE2ELNS1_11target_archE906ELNS1_3gpuE6ELNS1_3repE0EEENS1_30default_config_static_selectorELNS0_4arch9wavefront6targetE1EEEvT1_
                                        ; -- End function
	.section	.AMDGPU.csdata,"",@progbits
; Kernel info:
; codeLenInByte = 0
; NumSgprs: 4
; NumVgprs: 0
; NumAgprs: 0
; TotalNumVgprs: 0
; ScratchSize: 0
; MemoryBound: 0
; FloatMode: 240
; IeeeMode: 1
; LDSByteSize: 0 bytes/workgroup (compile time only)
; SGPRBlocks: 0
; VGPRBlocks: 0
; NumSGPRsForWavesPerEU: 4
; NumVGPRsForWavesPerEU: 1
; AccumOffset: 4
; Occupancy: 8
; WaveLimiterHint : 0
; COMPUTE_PGM_RSRC2:SCRATCH_EN: 0
; COMPUTE_PGM_RSRC2:USER_SGPR: 6
; COMPUTE_PGM_RSRC2:TRAP_HANDLER: 0
; COMPUTE_PGM_RSRC2:TGID_X_EN: 1
; COMPUTE_PGM_RSRC2:TGID_Y_EN: 0
; COMPUTE_PGM_RSRC2:TGID_Z_EN: 0
; COMPUTE_PGM_RSRC2:TIDIG_COMP_CNT: 0
; COMPUTE_PGM_RSRC3_GFX90A:ACCUM_OFFSET: 0
; COMPUTE_PGM_RSRC3_GFX90A:TG_SPLIT: 0
	.section	.text._ZN7rocprim17ROCPRIM_400000_NS6detail17trampoline_kernelINS0_14default_configENS1_29reduce_by_key_config_selectorIN3c108BFloat16ElN6thrust23THRUST_200600_302600_NS4plusIlEEEEZZNS1_33reduce_by_key_impl_wrapped_configILNS1_25lookback_scan_determinismE0ES3_SB_PS6_NS8_17constant_iteratorIiNS8_11use_defaultESG_EENS8_10device_ptrIS6_EENSI_IlEEPmSA_NS8_8equal_toIS6_EEEE10hipError_tPvRmT2_T3_mT4_T5_T6_T7_T8_P12ihipStream_tbENKUlT_T0_E_clISt17integral_constantIbLb0EES15_EEDaS10_S11_EUlS10_E_NS1_11comp_targetILNS1_3genE10ELNS1_11target_archE1201ELNS1_3gpuE5ELNS1_3repE0EEENS1_30default_config_static_selectorELNS0_4arch9wavefront6targetE1EEEvT1_,"axG",@progbits,_ZN7rocprim17ROCPRIM_400000_NS6detail17trampoline_kernelINS0_14default_configENS1_29reduce_by_key_config_selectorIN3c108BFloat16ElN6thrust23THRUST_200600_302600_NS4plusIlEEEEZZNS1_33reduce_by_key_impl_wrapped_configILNS1_25lookback_scan_determinismE0ES3_SB_PS6_NS8_17constant_iteratorIiNS8_11use_defaultESG_EENS8_10device_ptrIS6_EENSI_IlEEPmSA_NS8_8equal_toIS6_EEEE10hipError_tPvRmT2_T3_mT4_T5_T6_T7_T8_P12ihipStream_tbENKUlT_T0_E_clISt17integral_constantIbLb0EES15_EEDaS10_S11_EUlS10_E_NS1_11comp_targetILNS1_3genE10ELNS1_11target_archE1201ELNS1_3gpuE5ELNS1_3repE0EEENS1_30default_config_static_selectorELNS0_4arch9wavefront6targetE1EEEvT1_,comdat
	.protected	_ZN7rocprim17ROCPRIM_400000_NS6detail17trampoline_kernelINS0_14default_configENS1_29reduce_by_key_config_selectorIN3c108BFloat16ElN6thrust23THRUST_200600_302600_NS4plusIlEEEEZZNS1_33reduce_by_key_impl_wrapped_configILNS1_25lookback_scan_determinismE0ES3_SB_PS6_NS8_17constant_iteratorIiNS8_11use_defaultESG_EENS8_10device_ptrIS6_EENSI_IlEEPmSA_NS8_8equal_toIS6_EEEE10hipError_tPvRmT2_T3_mT4_T5_T6_T7_T8_P12ihipStream_tbENKUlT_T0_E_clISt17integral_constantIbLb0EES15_EEDaS10_S11_EUlS10_E_NS1_11comp_targetILNS1_3genE10ELNS1_11target_archE1201ELNS1_3gpuE5ELNS1_3repE0EEENS1_30default_config_static_selectorELNS0_4arch9wavefront6targetE1EEEvT1_ ; -- Begin function _ZN7rocprim17ROCPRIM_400000_NS6detail17trampoline_kernelINS0_14default_configENS1_29reduce_by_key_config_selectorIN3c108BFloat16ElN6thrust23THRUST_200600_302600_NS4plusIlEEEEZZNS1_33reduce_by_key_impl_wrapped_configILNS1_25lookback_scan_determinismE0ES3_SB_PS6_NS8_17constant_iteratorIiNS8_11use_defaultESG_EENS8_10device_ptrIS6_EENSI_IlEEPmSA_NS8_8equal_toIS6_EEEE10hipError_tPvRmT2_T3_mT4_T5_T6_T7_T8_P12ihipStream_tbENKUlT_T0_E_clISt17integral_constantIbLb0EES15_EEDaS10_S11_EUlS10_E_NS1_11comp_targetILNS1_3genE10ELNS1_11target_archE1201ELNS1_3gpuE5ELNS1_3repE0EEENS1_30default_config_static_selectorELNS0_4arch9wavefront6targetE1EEEvT1_
	.globl	_ZN7rocprim17ROCPRIM_400000_NS6detail17trampoline_kernelINS0_14default_configENS1_29reduce_by_key_config_selectorIN3c108BFloat16ElN6thrust23THRUST_200600_302600_NS4plusIlEEEEZZNS1_33reduce_by_key_impl_wrapped_configILNS1_25lookback_scan_determinismE0ES3_SB_PS6_NS8_17constant_iteratorIiNS8_11use_defaultESG_EENS8_10device_ptrIS6_EENSI_IlEEPmSA_NS8_8equal_toIS6_EEEE10hipError_tPvRmT2_T3_mT4_T5_T6_T7_T8_P12ihipStream_tbENKUlT_T0_E_clISt17integral_constantIbLb0EES15_EEDaS10_S11_EUlS10_E_NS1_11comp_targetILNS1_3genE10ELNS1_11target_archE1201ELNS1_3gpuE5ELNS1_3repE0EEENS1_30default_config_static_selectorELNS0_4arch9wavefront6targetE1EEEvT1_
	.p2align	8
	.type	_ZN7rocprim17ROCPRIM_400000_NS6detail17trampoline_kernelINS0_14default_configENS1_29reduce_by_key_config_selectorIN3c108BFloat16ElN6thrust23THRUST_200600_302600_NS4plusIlEEEEZZNS1_33reduce_by_key_impl_wrapped_configILNS1_25lookback_scan_determinismE0ES3_SB_PS6_NS8_17constant_iteratorIiNS8_11use_defaultESG_EENS8_10device_ptrIS6_EENSI_IlEEPmSA_NS8_8equal_toIS6_EEEE10hipError_tPvRmT2_T3_mT4_T5_T6_T7_T8_P12ihipStream_tbENKUlT_T0_E_clISt17integral_constantIbLb0EES15_EEDaS10_S11_EUlS10_E_NS1_11comp_targetILNS1_3genE10ELNS1_11target_archE1201ELNS1_3gpuE5ELNS1_3repE0EEENS1_30default_config_static_selectorELNS0_4arch9wavefront6targetE1EEEvT1_,@function
_ZN7rocprim17ROCPRIM_400000_NS6detail17trampoline_kernelINS0_14default_configENS1_29reduce_by_key_config_selectorIN3c108BFloat16ElN6thrust23THRUST_200600_302600_NS4plusIlEEEEZZNS1_33reduce_by_key_impl_wrapped_configILNS1_25lookback_scan_determinismE0ES3_SB_PS6_NS8_17constant_iteratorIiNS8_11use_defaultESG_EENS8_10device_ptrIS6_EENSI_IlEEPmSA_NS8_8equal_toIS6_EEEE10hipError_tPvRmT2_T3_mT4_T5_T6_T7_T8_P12ihipStream_tbENKUlT_T0_E_clISt17integral_constantIbLb0EES15_EEDaS10_S11_EUlS10_E_NS1_11comp_targetILNS1_3genE10ELNS1_11target_archE1201ELNS1_3gpuE5ELNS1_3repE0EEENS1_30default_config_static_selectorELNS0_4arch9wavefront6targetE1EEEvT1_: ; @_ZN7rocprim17ROCPRIM_400000_NS6detail17trampoline_kernelINS0_14default_configENS1_29reduce_by_key_config_selectorIN3c108BFloat16ElN6thrust23THRUST_200600_302600_NS4plusIlEEEEZZNS1_33reduce_by_key_impl_wrapped_configILNS1_25lookback_scan_determinismE0ES3_SB_PS6_NS8_17constant_iteratorIiNS8_11use_defaultESG_EENS8_10device_ptrIS6_EENSI_IlEEPmSA_NS8_8equal_toIS6_EEEE10hipError_tPvRmT2_T3_mT4_T5_T6_T7_T8_P12ihipStream_tbENKUlT_T0_E_clISt17integral_constantIbLb0EES15_EEDaS10_S11_EUlS10_E_NS1_11comp_targetILNS1_3genE10ELNS1_11target_archE1201ELNS1_3gpuE5ELNS1_3repE0EEENS1_30default_config_static_selectorELNS0_4arch9wavefront6targetE1EEEvT1_
; %bb.0:
	.section	.rodata,"a",@progbits
	.p2align	6, 0x0
	.amdhsa_kernel _ZN7rocprim17ROCPRIM_400000_NS6detail17trampoline_kernelINS0_14default_configENS1_29reduce_by_key_config_selectorIN3c108BFloat16ElN6thrust23THRUST_200600_302600_NS4plusIlEEEEZZNS1_33reduce_by_key_impl_wrapped_configILNS1_25lookback_scan_determinismE0ES3_SB_PS6_NS8_17constant_iteratorIiNS8_11use_defaultESG_EENS8_10device_ptrIS6_EENSI_IlEEPmSA_NS8_8equal_toIS6_EEEE10hipError_tPvRmT2_T3_mT4_T5_T6_T7_T8_P12ihipStream_tbENKUlT_T0_E_clISt17integral_constantIbLb0EES15_EEDaS10_S11_EUlS10_E_NS1_11comp_targetILNS1_3genE10ELNS1_11target_archE1201ELNS1_3gpuE5ELNS1_3repE0EEENS1_30default_config_static_selectorELNS0_4arch9wavefront6targetE1EEEvT1_
		.amdhsa_group_segment_fixed_size 0
		.amdhsa_private_segment_fixed_size 0
		.amdhsa_kernarg_size 144
		.amdhsa_user_sgpr_count 6
		.amdhsa_user_sgpr_private_segment_buffer 1
		.amdhsa_user_sgpr_dispatch_ptr 0
		.amdhsa_user_sgpr_queue_ptr 0
		.amdhsa_user_sgpr_kernarg_segment_ptr 1
		.amdhsa_user_sgpr_dispatch_id 0
		.amdhsa_user_sgpr_flat_scratch_init 0
		.amdhsa_user_sgpr_kernarg_preload_length 0
		.amdhsa_user_sgpr_kernarg_preload_offset 0
		.amdhsa_user_sgpr_private_segment_size 0
		.amdhsa_uses_dynamic_stack 0
		.amdhsa_system_sgpr_private_segment_wavefront_offset 0
		.amdhsa_system_sgpr_workgroup_id_x 1
		.amdhsa_system_sgpr_workgroup_id_y 0
		.amdhsa_system_sgpr_workgroup_id_z 0
		.amdhsa_system_sgpr_workgroup_info 0
		.amdhsa_system_vgpr_workitem_id 0
		.amdhsa_next_free_vgpr 1
		.amdhsa_next_free_sgpr 0
		.amdhsa_accum_offset 4
		.amdhsa_reserve_vcc 0
		.amdhsa_reserve_flat_scratch 0
		.amdhsa_float_round_mode_32 0
		.amdhsa_float_round_mode_16_64 0
		.amdhsa_float_denorm_mode_32 3
		.amdhsa_float_denorm_mode_16_64 3
		.amdhsa_dx10_clamp 1
		.amdhsa_ieee_mode 1
		.amdhsa_fp16_overflow 0
		.amdhsa_tg_split 0
		.amdhsa_exception_fp_ieee_invalid_op 0
		.amdhsa_exception_fp_denorm_src 0
		.amdhsa_exception_fp_ieee_div_zero 0
		.amdhsa_exception_fp_ieee_overflow 0
		.amdhsa_exception_fp_ieee_underflow 0
		.amdhsa_exception_fp_ieee_inexact 0
		.amdhsa_exception_int_div_zero 0
	.end_amdhsa_kernel
	.section	.text._ZN7rocprim17ROCPRIM_400000_NS6detail17trampoline_kernelINS0_14default_configENS1_29reduce_by_key_config_selectorIN3c108BFloat16ElN6thrust23THRUST_200600_302600_NS4plusIlEEEEZZNS1_33reduce_by_key_impl_wrapped_configILNS1_25lookback_scan_determinismE0ES3_SB_PS6_NS8_17constant_iteratorIiNS8_11use_defaultESG_EENS8_10device_ptrIS6_EENSI_IlEEPmSA_NS8_8equal_toIS6_EEEE10hipError_tPvRmT2_T3_mT4_T5_T6_T7_T8_P12ihipStream_tbENKUlT_T0_E_clISt17integral_constantIbLb0EES15_EEDaS10_S11_EUlS10_E_NS1_11comp_targetILNS1_3genE10ELNS1_11target_archE1201ELNS1_3gpuE5ELNS1_3repE0EEENS1_30default_config_static_selectorELNS0_4arch9wavefront6targetE1EEEvT1_,"axG",@progbits,_ZN7rocprim17ROCPRIM_400000_NS6detail17trampoline_kernelINS0_14default_configENS1_29reduce_by_key_config_selectorIN3c108BFloat16ElN6thrust23THRUST_200600_302600_NS4plusIlEEEEZZNS1_33reduce_by_key_impl_wrapped_configILNS1_25lookback_scan_determinismE0ES3_SB_PS6_NS8_17constant_iteratorIiNS8_11use_defaultESG_EENS8_10device_ptrIS6_EENSI_IlEEPmSA_NS8_8equal_toIS6_EEEE10hipError_tPvRmT2_T3_mT4_T5_T6_T7_T8_P12ihipStream_tbENKUlT_T0_E_clISt17integral_constantIbLb0EES15_EEDaS10_S11_EUlS10_E_NS1_11comp_targetILNS1_3genE10ELNS1_11target_archE1201ELNS1_3gpuE5ELNS1_3repE0EEENS1_30default_config_static_selectorELNS0_4arch9wavefront6targetE1EEEvT1_,comdat
.Lfunc_end2058:
	.size	_ZN7rocprim17ROCPRIM_400000_NS6detail17trampoline_kernelINS0_14default_configENS1_29reduce_by_key_config_selectorIN3c108BFloat16ElN6thrust23THRUST_200600_302600_NS4plusIlEEEEZZNS1_33reduce_by_key_impl_wrapped_configILNS1_25lookback_scan_determinismE0ES3_SB_PS6_NS8_17constant_iteratorIiNS8_11use_defaultESG_EENS8_10device_ptrIS6_EENSI_IlEEPmSA_NS8_8equal_toIS6_EEEE10hipError_tPvRmT2_T3_mT4_T5_T6_T7_T8_P12ihipStream_tbENKUlT_T0_E_clISt17integral_constantIbLb0EES15_EEDaS10_S11_EUlS10_E_NS1_11comp_targetILNS1_3genE10ELNS1_11target_archE1201ELNS1_3gpuE5ELNS1_3repE0EEENS1_30default_config_static_selectorELNS0_4arch9wavefront6targetE1EEEvT1_, .Lfunc_end2058-_ZN7rocprim17ROCPRIM_400000_NS6detail17trampoline_kernelINS0_14default_configENS1_29reduce_by_key_config_selectorIN3c108BFloat16ElN6thrust23THRUST_200600_302600_NS4plusIlEEEEZZNS1_33reduce_by_key_impl_wrapped_configILNS1_25lookback_scan_determinismE0ES3_SB_PS6_NS8_17constant_iteratorIiNS8_11use_defaultESG_EENS8_10device_ptrIS6_EENSI_IlEEPmSA_NS8_8equal_toIS6_EEEE10hipError_tPvRmT2_T3_mT4_T5_T6_T7_T8_P12ihipStream_tbENKUlT_T0_E_clISt17integral_constantIbLb0EES15_EEDaS10_S11_EUlS10_E_NS1_11comp_targetILNS1_3genE10ELNS1_11target_archE1201ELNS1_3gpuE5ELNS1_3repE0EEENS1_30default_config_static_selectorELNS0_4arch9wavefront6targetE1EEEvT1_
                                        ; -- End function
	.section	.AMDGPU.csdata,"",@progbits
; Kernel info:
; codeLenInByte = 0
; NumSgprs: 4
; NumVgprs: 0
; NumAgprs: 0
; TotalNumVgprs: 0
; ScratchSize: 0
; MemoryBound: 0
; FloatMode: 240
; IeeeMode: 1
; LDSByteSize: 0 bytes/workgroup (compile time only)
; SGPRBlocks: 0
; VGPRBlocks: 0
; NumSGPRsForWavesPerEU: 4
; NumVGPRsForWavesPerEU: 1
; AccumOffset: 4
; Occupancy: 8
; WaveLimiterHint : 0
; COMPUTE_PGM_RSRC2:SCRATCH_EN: 0
; COMPUTE_PGM_RSRC2:USER_SGPR: 6
; COMPUTE_PGM_RSRC2:TRAP_HANDLER: 0
; COMPUTE_PGM_RSRC2:TGID_X_EN: 1
; COMPUTE_PGM_RSRC2:TGID_Y_EN: 0
; COMPUTE_PGM_RSRC2:TGID_Z_EN: 0
; COMPUTE_PGM_RSRC2:TIDIG_COMP_CNT: 0
; COMPUTE_PGM_RSRC3_GFX90A:ACCUM_OFFSET: 0
; COMPUTE_PGM_RSRC3_GFX90A:TG_SPLIT: 0
	.section	.text._ZN7rocprim17ROCPRIM_400000_NS6detail17trampoline_kernelINS0_14default_configENS1_29reduce_by_key_config_selectorIN3c108BFloat16ElN6thrust23THRUST_200600_302600_NS4plusIlEEEEZZNS1_33reduce_by_key_impl_wrapped_configILNS1_25lookback_scan_determinismE0ES3_SB_PS6_NS8_17constant_iteratorIiNS8_11use_defaultESG_EENS8_10device_ptrIS6_EENSI_IlEEPmSA_NS8_8equal_toIS6_EEEE10hipError_tPvRmT2_T3_mT4_T5_T6_T7_T8_P12ihipStream_tbENKUlT_T0_E_clISt17integral_constantIbLb0EES15_EEDaS10_S11_EUlS10_E_NS1_11comp_targetILNS1_3genE10ELNS1_11target_archE1200ELNS1_3gpuE4ELNS1_3repE0EEENS1_30default_config_static_selectorELNS0_4arch9wavefront6targetE1EEEvT1_,"axG",@progbits,_ZN7rocprim17ROCPRIM_400000_NS6detail17trampoline_kernelINS0_14default_configENS1_29reduce_by_key_config_selectorIN3c108BFloat16ElN6thrust23THRUST_200600_302600_NS4plusIlEEEEZZNS1_33reduce_by_key_impl_wrapped_configILNS1_25lookback_scan_determinismE0ES3_SB_PS6_NS8_17constant_iteratorIiNS8_11use_defaultESG_EENS8_10device_ptrIS6_EENSI_IlEEPmSA_NS8_8equal_toIS6_EEEE10hipError_tPvRmT2_T3_mT4_T5_T6_T7_T8_P12ihipStream_tbENKUlT_T0_E_clISt17integral_constantIbLb0EES15_EEDaS10_S11_EUlS10_E_NS1_11comp_targetILNS1_3genE10ELNS1_11target_archE1200ELNS1_3gpuE4ELNS1_3repE0EEENS1_30default_config_static_selectorELNS0_4arch9wavefront6targetE1EEEvT1_,comdat
	.protected	_ZN7rocprim17ROCPRIM_400000_NS6detail17trampoline_kernelINS0_14default_configENS1_29reduce_by_key_config_selectorIN3c108BFloat16ElN6thrust23THRUST_200600_302600_NS4plusIlEEEEZZNS1_33reduce_by_key_impl_wrapped_configILNS1_25lookback_scan_determinismE0ES3_SB_PS6_NS8_17constant_iteratorIiNS8_11use_defaultESG_EENS8_10device_ptrIS6_EENSI_IlEEPmSA_NS8_8equal_toIS6_EEEE10hipError_tPvRmT2_T3_mT4_T5_T6_T7_T8_P12ihipStream_tbENKUlT_T0_E_clISt17integral_constantIbLb0EES15_EEDaS10_S11_EUlS10_E_NS1_11comp_targetILNS1_3genE10ELNS1_11target_archE1200ELNS1_3gpuE4ELNS1_3repE0EEENS1_30default_config_static_selectorELNS0_4arch9wavefront6targetE1EEEvT1_ ; -- Begin function _ZN7rocprim17ROCPRIM_400000_NS6detail17trampoline_kernelINS0_14default_configENS1_29reduce_by_key_config_selectorIN3c108BFloat16ElN6thrust23THRUST_200600_302600_NS4plusIlEEEEZZNS1_33reduce_by_key_impl_wrapped_configILNS1_25lookback_scan_determinismE0ES3_SB_PS6_NS8_17constant_iteratorIiNS8_11use_defaultESG_EENS8_10device_ptrIS6_EENSI_IlEEPmSA_NS8_8equal_toIS6_EEEE10hipError_tPvRmT2_T3_mT4_T5_T6_T7_T8_P12ihipStream_tbENKUlT_T0_E_clISt17integral_constantIbLb0EES15_EEDaS10_S11_EUlS10_E_NS1_11comp_targetILNS1_3genE10ELNS1_11target_archE1200ELNS1_3gpuE4ELNS1_3repE0EEENS1_30default_config_static_selectorELNS0_4arch9wavefront6targetE1EEEvT1_
	.globl	_ZN7rocprim17ROCPRIM_400000_NS6detail17trampoline_kernelINS0_14default_configENS1_29reduce_by_key_config_selectorIN3c108BFloat16ElN6thrust23THRUST_200600_302600_NS4plusIlEEEEZZNS1_33reduce_by_key_impl_wrapped_configILNS1_25lookback_scan_determinismE0ES3_SB_PS6_NS8_17constant_iteratorIiNS8_11use_defaultESG_EENS8_10device_ptrIS6_EENSI_IlEEPmSA_NS8_8equal_toIS6_EEEE10hipError_tPvRmT2_T3_mT4_T5_T6_T7_T8_P12ihipStream_tbENKUlT_T0_E_clISt17integral_constantIbLb0EES15_EEDaS10_S11_EUlS10_E_NS1_11comp_targetILNS1_3genE10ELNS1_11target_archE1200ELNS1_3gpuE4ELNS1_3repE0EEENS1_30default_config_static_selectorELNS0_4arch9wavefront6targetE1EEEvT1_
	.p2align	8
	.type	_ZN7rocprim17ROCPRIM_400000_NS6detail17trampoline_kernelINS0_14default_configENS1_29reduce_by_key_config_selectorIN3c108BFloat16ElN6thrust23THRUST_200600_302600_NS4plusIlEEEEZZNS1_33reduce_by_key_impl_wrapped_configILNS1_25lookback_scan_determinismE0ES3_SB_PS6_NS8_17constant_iteratorIiNS8_11use_defaultESG_EENS8_10device_ptrIS6_EENSI_IlEEPmSA_NS8_8equal_toIS6_EEEE10hipError_tPvRmT2_T3_mT4_T5_T6_T7_T8_P12ihipStream_tbENKUlT_T0_E_clISt17integral_constantIbLb0EES15_EEDaS10_S11_EUlS10_E_NS1_11comp_targetILNS1_3genE10ELNS1_11target_archE1200ELNS1_3gpuE4ELNS1_3repE0EEENS1_30default_config_static_selectorELNS0_4arch9wavefront6targetE1EEEvT1_,@function
_ZN7rocprim17ROCPRIM_400000_NS6detail17trampoline_kernelINS0_14default_configENS1_29reduce_by_key_config_selectorIN3c108BFloat16ElN6thrust23THRUST_200600_302600_NS4plusIlEEEEZZNS1_33reduce_by_key_impl_wrapped_configILNS1_25lookback_scan_determinismE0ES3_SB_PS6_NS8_17constant_iteratorIiNS8_11use_defaultESG_EENS8_10device_ptrIS6_EENSI_IlEEPmSA_NS8_8equal_toIS6_EEEE10hipError_tPvRmT2_T3_mT4_T5_T6_T7_T8_P12ihipStream_tbENKUlT_T0_E_clISt17integral_constantIbLb0EES15_EEDaS10_S11_EUlS10_E_NS1_11comp_targetILNS1_3genE10ELNS1_11target_archE1200ELNS1_3gpuE4ELNS1_3repE0EEENS1_30default_config_static_selectorELNS0_4arch9wavefront6targetE1EEEvT1_: ; @_ZN7rocprim17ROCPRIM_400000_NS6detail17trampoline_kernelINS0_14default_configENS1_29reduce_by_key_config_selectorIN3c108BFloat16ElN6thrust23THRUST_200600_302600_NS4plusIlEEEEZZNS1_33reduce_by_key_impl_wrapped_configILNS1_25lookback_scan_determinismE0ES3_SB_PS6_NS8_17constant_iteratorIiNS8_11use_defaultESG_EENS8_10device_ptrIS6_EENSI_IlEEPmSA_NS8_8equal_toIS6_EEEE10hipError_tPvRmT2_T3_mT4_T5_T6_T7_T8_P12ihipStream_tbENKUlT_T0_E_clISt17integral_constantIbLb0EES15_EEDaS10_S11_EUlS10_E_NS1_11comp_targetILNS1_3genE10ELNS1_11target_archE1200ELNS1_3gpuE4ELNS1_3repE0EEENS1_30default_config_static_selectorELNS0_4arch9wavefront6targetE1EEEvT1_
; %bb.0:
	.section	.rodata,"a",@progbits
	.p2align	6, 0x0
	.amdhsa_kernel _ZN7rocprim17ROCPRIM_400000_NS6detail17trampoline_kernelINS0_14default_configENS1_29reduce_by_key_config_selectorIN3c108BFloat16ElN6thrust23THRUST_200600_302600_NS4plusIlEEEEZZNS1_33reduce_by_key_impl_wrapped_configILNS1_25lookback_scan_determinismE0ES3_SB_PS6_NS8_17constant_iteratorIiNS8_11use_defaultESG_EENS8_10device_ptrIS6_EENSI_IlEEPmSA_NS8_8equal_toIS6_EEEE10hipError_tPvRmT2_T3_mT4_T5_T6_T7_T8_P12ihipStream_tbENKUlT_T0_E_clISt17integral_constantIbLb0EES15_EEDaS10_S11_EUlS10_E_NS1_11comp_targetILNS1_3genE10ELNS1_11target_archE1200ELNS1_3gpuE4ELNS1_3repE0EEENS1_30default_config_static_selectorELNS0_4arch9wavefront6targetE1EEEvT1_
		.amdhsa_group_segment_fixed_size 0
		.amdhsa_private_segment_fixed_size 0
		.amdhsa_kernarg_size 144
		.amdhsa_user_sgpr_count 6
		.amdhsa_user_sgpr_private_segment_buffer 1
		.amdhsa_user_sgpr_dispatch_ptr 0
		.amdhsa_user_sgpr_queue_ptr 0
		.amdhsa_user_sgpr_kernarg_segment_ptr 1
		.amdhsa_user_sgpr_dispatch_id 0
		.amdhsa_user_sgpr_flat_scratch_init 0
		.amdhsa_user_sgpr_kernarg_preload_length 0
		.amdhsa_user_sgpr_kernarg_preload_offset 0
		.amdhsa_user_sgpr_private_segment_size 0
		.amdhsa_uses_dynamic_stack 0
		.amdhsa_system_sgpr_private_segment_wavefront_offset 0
		.amdhsa_system_sgpr_workgroup_id_x 1
		.amdhsa_system_sgpr_workgroup_id_y 0
		.amdhsa_system_sgpr_workgroup_id_z 0
		.amdhsa_system_sgpr_workgroup_info 0
		.amdhsa_system_vgpr_workitem_id 0
		.amdhsa_next_free_vgpr 1
		.amdhsa_next_free_sgpr 0
		.amdhsa_accum_offset 4
		.amdhsa_reserve_vcc 0
		.amdhsa_reserve_flat_scratch 0
		.amdhsa_float_round_mode_32 0
		.amdhsa_float_round_mode_16_64 0
		.amdhsa_float_denorm_mode_32 3
		.amdhsa_float_denorm_mode_16_64 3
		.amdhsa_dx10_clamp 1
		.amdhsa_ieee_mode 1
		.amdhsa_fp16_overflow 0
		.amdhsa_tg_split 0
		.amdhsa_exception_fp_ieee_invalid_op 0
		.amdhsa_exception_fp_denorm_src 0
		.amdhsa_exception_fp_ieee_div_zero 0
		.amdhsa_exception_fp_ieee_overflow 0
		.amdhsa_exception_fp_ieee_underflow 0
		.amdhsa_exception_fp_ieee_inexact 0
		.amdhsa_exception_int_div_zero 0
	.end_amdhsa_kernel
	.section	.text._ZN7rocprim17ROCPRIM_400000_NS6detail17trampoline_kernelINS0_14default_configENS1_29reduce_by_key_config_selectorIN3c108BFloat16ElN6thrust23THRUST_200600_302600_NS4plusIlEEEEZZNS1_33reduce_by_key_impl_wrapped_configILNS1_25lookback_scan_determinismE0ES3_SB_PS6_NS8_17constant_iteratorIiNS8_11use_defaultESG_EENS8_10device_ptrIS6_EENSI_IlEEPmSA_NS8_8equal_toIS6_EEEE10hipError_tPvRmT2_T3_mT4_T5_T6_T7_T8_P12ihipStream_tbENKUlT_T0_E_clISt17integral_constantIbLb0EES15_EEDaS10_S11_EUlS10_E_NS1_11comp_targetILNS1_3genE10ELNS1_11target_archE1200ELNS1_3gpuE4ELNS1_3repE0EEENS1_30default_config_static_selectorELNS0_4arch9wavefront6targetE1EEEvT1_,"axG",@progbits,_ZN7rocprim17ROCPRIM_400000_NS6detail17trampoline_kernelINS0_14default_configENS1_29reduce_by_key_config_selectorIN3c108BFloat16ElN6thrust23THRUST_200600_302600_NS4plusIlEEEEZZNS1_33reduce_by_key_impl_wrapped_configILNS1_25lookback_scan_determinismE0ES3_SB_PS6_NS8_17constant_iteratorIiNS8_11use_defaultESG_EENS8_10device_ptrIS6_EENSI_IlEEPmSA_NS8_8equal_toIS6_EEEE10hipError_tPvRmT2_T3_mT4_T5_T6_T7_T8_P12ihipStream_tbENKUlT_T0_E_clISt17integral_constantIbLb0EES15_EEDaS10_S11_EUlS10_E_NS1_11comp_targetILNS1_3genE10ELNS1_11target_archE1200ELNS1_3gpuE4ELNS1_3repE0EEENS1_30default_config_static_selectorELNS0_4arch9wavefront6targetE1EEEvT1_,comdat
.Lfunc_end2059:
	.size	_ZN7rocprim17ROCPRIM_400000_NS6detail17trampoline_kernelINS0_14default_configENS1_29reduce_by_key_config_selectorIN3c108BFloat16ElN6thrust23THRUST_200600_302600_NS4plusIlEEEEZZNS1_33reduce_by_key_impl_wrapped_configILNS1_25lookback_scan_determinismE0ES3_SB_PS6_NS8_17constant_iteratorIiNS8_11use_defaultESG_EENS8_10device_ptrIS6_EENSI_IlEEPmSA_NS8_8equal_toIS6_EEEE10hipError_tPvRmT2_T3_mT4_T5_T6_T7_T8_P12ihipStream_tbENKUlT_T0_E_clISt17integral_constantIbLb0EES15_EEDaS10_S11_EUlS10_E_NS1_11comp_targetILNS1_3genE10ELNS1_11target_archE1200ELNS1_3gpuE4ELNS1_3repE0EEENS1_30default_config_static_selectorELNS0_4arch9wavefront6targetE1EEEvT1_, .Lfunc_end2059-_ZN7rocprim17ROCPRIM_400000_NS6detail17trampoline_kernelINS0_14default_configENS1_29reduce_by_key_config_selectorIN3c108BFloat16ElN6thrust23THRUST_200600_302600_NS4plusIlEEEEZZNS1_33reduce_by_key_impl_wrapped_configILNS1_25lookback_scan_determinismE0ES3_SB_PS6_NS8_17constant_iteratorIiNS8_11use_defaultESG_EENS8_10device_ptrIS6_EENSI_IlEEPmSA_NS8_8equal_toIS6_EEEE10hipError_tPvRmT2_T3_mT4_T5_T6_T7_T8_P12ihipStream_tbENKUlT_T0_E_clISt17integral_constantIbLb0EES15_EEDaS10_S11_EUlS10_E_NS1_11comp_targetILNS1_3genE10ELNS1_11target_archE1200ELNS1_3gpuE4ELNS1_3repE0EEENS1_30default_config_static_selectorELNS0_4arch9wavefront6targetE1EEEvT1_
                                        ; -- End function
	.section	.AMDGPU.csdata,"",@progbits
; Kernel info:
; codeLenInByte = 0
; NumSgprs: 4
; NumVgprs: 0
; NumAgprs: 0
; TotalNumVgprs: 0
; ScratchSize: 0
; MemoryBound: 0
; FloatMode: 240
; IeeeMode: 1
; LDSByteSize: 0 bytes/workgroup (compile time only)
; SGPRBlocks: 0
; VGPRBlocks: 0
; NumSGPRsForWavesPerEU: 4
; NumVGPRsForWavesPerEU: 1
; AccumOffset: 4
; Occupancy: 8
; WaveLimiterHint : 0
; COMPUTE_PGM_RSRC2:SCRATCH_EN: 0
; COMPUTE_PGM_RSRC2:USER_SGPR: 6
; COMPUTE_PGM_RSRC2:TRAP_HANDLER: 0
; COMPUTE_PGM_RSRC2:TGID_X_EN: 1
; COMPUTE_PGM_RSRC2:TGID_Y_EN: 0
; COMPUTE_PGM_RSRC2:TGID_Z_EN: 0
; COMPUTE_PGM_RSRC2:TIDIG_COMP_CNT: 0
; COMPUTE_PGM_RSRC3_GFX90A:ACCUM_OFFSET: 0
; COMPUTE_PGM_RSRC3_GFX90A:TG_SPLIT: 0
	.section	.text._ZN7rocprim17ROCPRIM_400000_NS6detail17trampoline_kernelINS0_14default_configENS1_29reduce_by_key_config_selectorIN3c108BFloat16ElN6thrust23THRUST_200600_302600_NS4plusIlEEEEZZNS1_33reduce_by_key_impl_wrapped_configILNS1_25lookback_scan_determinismE0ES3_SB_PS6_NS8_17constant_iteratorIiNS8_11use_defaultESG_EENS8_10device_ptrIS6_EENSI_IlEEPmSA_NS8_8equal_toIS6_EEEE10hipError_tPvRmT2_T3_mT4_T5_T6_T7_T8_P12ihipStream_tbENKUlT_T0_E_clISt17integral_constantIbLb0EES15_EEDaS10_S11_EUlS10_E_NS1_11comp_targetILNS1_3genE9ELNS1_11target_archE1100ELNS1_3gpuE3ELNS1_3repE0EEENS1_30default_config_static_selectorELNS0_4arch9wavefront6targetE1EEEvT1_,"axG",@progbits,_ZN7rocprim17ROCPRIM_400000_NS6detail17trampoline_kernelINS0_14default_configENS1_29reduce_by_key_config_selectorIN3c108BFloat16ElN6thrust23THRUST_200600_302600_NS4plusIlEEEEZZNS1_33reduce_by_key_impl_wrapped_configILNS1_25lookback_scan_determinismE0ES3_SB_PS6_NS8_17constant_iteratorIiNS8_11use_defaultESG_EENS8_10device_ptrIS6_EENSI_IlEEPmSA_NS8_8equal_toIS6_EEEE10hipError_tPvRmT2_T3_mT4_T5_T6_T7_T8_P12ihipStream_tbENKUlT_T0_E_clISt17integral_constantIbLb0EES15_EEDaS10_S11_EUlS10_E_NS1_11comp_targetILNS1_3genE9ELNS1_11target_archE1100ELNS1_3gpuE3ELNS1_3repE0EEENS1_30default_config_static_selectorELNS0_4arch9wavefront6targetE1EEEvT1_,comdat
	.protected	_ZN7rocprim17ROCPRIM_400000_NS6detail17trampoline_kernelINS0_14default_configENS1_29reduce_by_key_config_selectorIN3c108BFloat16ElN6thrust23THRUST_200600_302600_NS4plusIlEEEEZZNS1_33reduce_by_key_impl_wrapped_configILNS1_25lookback_scan_determinismE0ES3_SB_PS6_NS8_17constant_iteratorIiNS8_11use_defaultESG_EENS8_10device_ptrIS6_EENSI_IlEEPmSA_NS8_8equal_toIS6_EEEE10hipError_tPvRmT2_T3_mT4_T5_T6_T7_T8_P12ihipStream_tbENKUlT_T0_E_clISt17integral_constantIbLb0EES15_EEDaS10_S11_EUlS10_E_NS1_11comp_targetILNS1_3genE9ELNS1_11target_archE1100ELNS1_3gpuE3ELNS1_3repE0EEENS1_30default_config_static_selectorELNS0_4arch9wavefront6targetE1EEEvT1_ ; -- Begin function _ZN7rocprim17ROCPRIM_400000_NS6detail17trampoline_kernelINS0_14default_configENS1_29reduce_by_key_config_selectorIN3c108BFloat16ElN6thrust23THRUST_200600_302600_NS4plusIlEEEEZZNS1_33reduce_by_key_impl_wrapped_configILNS1_25lookback_scan_determinismE0ES3_SB_PS6_NS8_17constant_iteratorIiNS8_11use_defaultESG_EENS8_10device_ptrIS6_EENSI_IlEEPmSA_NS8_8equal_toIS6_EEEE10hipError_tPvRmT2_T3_mT4_T5_T6_T7_T8_P12ihipStream_tbENKUlT_T0_E_clISt17integral_constantIbLb0EES15_EEDaS10_S11_EUlS10_E_NS1_11comp_targetILNS1_3genE9ELNS1_11target_archE1100ELNS1_3gpuE3ELNS1_3repE0EEENS1_30default_config_static_selectorELNS0_4arch9wavefront6targetE1EEEvT1_
	.globl	_ZN7rocprim17ROCPRIM_400000_NS6detail17trampoline_kernelINS0_14default_configENS1_29reduce_by_key_config_selectorIN3c108BFloat16ElN6thrust23THRUST_200600_302600_NS4plusIlEEEEZZNS1_33reduce_by_key_impl_wrapped_configILNS1_25lookback_scan_determinismE0ES3_SB_PS6_NS8_17constant_iteratorIiNS8_11use_defaultESG_EENS8_10device_ptrIS6_EENSI_IlEEPmSA_NS8_8equal_toIS6_EEEE10hipError_tPvRmT2_T3_mT4_T5_T6_T7_T8_P12ihipStream_tbENKUlT_T0_E_clISt17integral_constantIbLb0EES15_EEDaS10_S11_EUlS10_E_NS1_11comp_targetILNS1_3genE9ELNS1_11target_archE1100ELNS1_3gpuE3ELNS1_3repE0EEENS1_30default_config_static_selectorELNS0_4arch9wavefront6targetE1EEEvT1_
	.p2align	8
	.type	_ZN7rocprim17ROCPRIM_400000_NS6detail17trampoline_kernelINS0_14default_configENS1_29reduce_by_key_config_selectorIN3c108BFloat16ElN6thrust23THRUST_200600_302600_NS4plusIlEEEEZZNS1_33reduce_by_key_impl_wrapped_configILNS1_25lookback_scan_determinismE0ES3_SB_PS6_NS8_17constant_iteratorIiNS8_11use_defaultESG_EENS8_10device_ptrIS6_EENSI_IlEEPmSA_NS8_8equal_toIS6_EEEE10hipError_tPvRmT2_T3_mT4_T5_T6_T7_T8_P12ihipStream_tbENKUlT_T0_E_clISt17integral_constantIbLb0EES15_EEDaS10_S11_EUlS10_E_NS1_11comp_targetILNS1_3genE9ELNS1_11target_archE1100ELNS1_3gpuE3ELNS1_3repE0EEENS1_30default_config_static_selectorELNS0_4arch9wavefront6targetE1EEEvT1_,@function
_ZN7rocprim17ROCPRIM_400000_NS6detail17trampoline_kernelINS0_14default_configENS1_29reduce_by_key_config_selectorIN3c108BFloat16ElN6thrust23THRUST_200600_302600_NS4plusIlEEEEZZNS1_33reduce_by_key_impl_wrapped_configILNS1_25lookback_scan_determinismE0ES3_SB_PS6_NS8_17constant_iteratorIiNS8_11use_defaultESG_EENS8_10device_ptrIS6_EENSI_IlEEPmSA_NS8_8equal_toIS6_EEEE10hipError_tPvRmT2_T3_mT4_T5_T6_T7_T8_P12ihipStream_tbENKUlT_T0_E_clISt17integral_constantIbLb0EES15_EEDaS10_S11_EUlS10_E_NS1_11comp_targetILNS1_3genE9ELNS1_11target_archE1100ELNS1_3gpuE3ELNS1_3repE0EEENS1_30default_config_static_selectorELNS0_4arch9wavefront6targetE1EEEvT1_: ; @_ZN7rocprim17ROCPRIM_400000_NS6detail17trampoline_kernelINS0_14default_configENS1_29reduce_by_key_config_selectorIN3c108BFloat16ElN6thrust23THRUST_200600_302600_NS4plusIlEEEEZZNS1_33reduce_by_key_impl_wrapped_configILNS1_25lookback_scan_determinismE0ES3_SB_PS6_NS8_17constant_iteratorIiNS8_11use_defaultESG_EENS8_10device_ptrIS6_EENSI_IlEEPmSA_NS8_8equal_toIS6_EEEE10hipError_tPvRmT2_T3_mT4_T5_T6_T7_T8_P12ihipStream_tbENKUlT_T0_E_clISt17integral_constantIbLb0EES15_EEDaS10_S11_EUlS10_E_NS1_11comp_targetILNS1_3genE9ELNS1_11target_archE1100ELNS1_3gpuE3ELNS1_3repE0EEENS1_30default_config_static_selectorELNS0_4arch9wavefront6targetE1EEEvT1_
; %bb.0:
	.section	.rodata,"a",@progbits
	.p2align	6, 0x0
	.amdhsa_kernel _ZN7rocprim17ROCPRIM_400000_NS6detail17trampoline_kernelINS0_14default_configENS1_29reduce_by_key_config_selectorIN3c108BFloat16ElN6thrust23THRUST_200600_302600_NS4plusIlEEEEZZNS1_33reduce_by_key_impl_wrapped_configILNS1_25lookback_scan_determinismE0ES3_SB_PS6_NS8_17constant_iteratorIiNS8_11use_defaultESG_EENS8_10device_ptrIS6_EENSI_IlEEPmSA_NS8_8equal_toIS6_EEEE10hipError_tPvRmT2_T3_mT4_T5_T6_T7_T8_P12ihipStream_tbENKUlT_T0_E_clISt17integral_constantIbLb0EES15_EEDaS10_S11_EUlS10_E_NS1_11comp_targetILNS1_3genE9ELNS1_11target_archE1100ELNS1_3gpuE3ELNS1_3repE0EEENS1_30default_config_static_selectorELNS0_4arch9wavefront6targetE1EEEvT1_
		.amdhsa_group_segment_fixed_size 0
		.amdhsa_private_segment_fixed_size 0
		.amdhsa_kernarg_size 144
		.amdhsa_user_sgpr_count 6
		.amdhsa_user_sgpr_private_segment_buffer 1
		.amdhsa_user_sgpr_dispatch_ptr 0
		.amdhsa_user_sgpr_queue_ptr 0
		.amdhsa_user_sgpr_kernarg_segment_ptr 1
		.amdhsa_user_sgpr_dispatch_id 0
		.amdhsa_user_sgpr_flat_scratch_init 0
		.amdhsa_user_sgpr_kernarg_preload_length 0
		.amdhsa_user_sgpr_kernarg_preload_offset 0
		.amdhsa_user_sgpr_private_segment_size 0
		.amdhsa_uses_dynamic_stack 0
		.amdhsa_system_sgpr_private_segment_wavefront_offset 0
		.amdhsa_system_sgpr_workgroup_id_x 1
		.amdhsa_system_sgpr_workgroup_id_y 0
		.amdhsa_system_sgpr_workgroup_id_z 0
		.amdhsa_system_sgpr_workgroup_info 0
		.amdhsa_system_vgpr_workitem_id 0
		.amdhsa_next_free_vgpr 1
		.amdhsa_next_free_sgpr 0
		.amdhsa_accum_offset 4
		.amdhsa_reserve_vcc 0
		.amdhsa_reserve_flat_scratch 0
		.amdhsa_float_round_mode_32 0
		.amdhsa_float_round_mode_16_64 0
		.amdhsa_float_denorm_mode_32 3
		.amdhsa_float_denorm_mode_16_64 3
		.amdhsa_dx10_clamp 1
		.amdhsa_ieee_mode 1
		.amdhsa_fp16_overflow 0
		.amdhsa_tg_split 0
		.amdhsa_exception_fp_ieee_invalid_op 0
		.amdhsa_exception_fp_denorm_src 0
		.amdhsa_exception_fp_ieee_div_zero 0
		.amdhsa_exception_fp_ieee_overflow 0
		.amdhsa_exception_fp_ieee_underflow 0
		.amdhsa_exception_fp_ieee_inexact 0
		.amdhsa_exception_int_div_zero 0
	.end_amdhsa_kernel
	.section	.text._ZN7rocprim17ROCPRIM_400000_NS6detail17trampoline_kernelINS0_14default_configENS1_29reduce_by_key_config_selectorIN3c108BFloat16ElN6thrust23THRUST_200600_302600_NS4plusIlEEEEZZNS1_33reduce_by_key_impl_wrapped_configILNS1_25lookback_scan_determinismE0ES3_SB_PS6_NS8_17constant_iteratorIiNS8_11use_defaultESG_EENS8_10device_ptrIS6_EENSI_IlEEPmSA_NS8_8equal_toIS6_EEEE10hipError_tPvRmT2_T3_mT4_T5_T6_T7_T8_P12ihipStream_tbENKUlT_T0_E_clISt17integral_constantIbLb0EES15_EEDaS10_S11_EUlS10_E_NS1_11comp_targetILNS1_3genE9ELNS1_11target_archE1100ELNS1_3gpuE3ELNS1_3repE0EEENS1_30default_config_static_selectorELNS0_4arch9wavefront6targetE1EEEvT1_,"axG",@progbits,_ZN7rocprim17ROCPRIM_400000_NS6detail17trampoline_kernelINS0_14default_configENS1_29reduce_by_key_config_selectorIN3c108BFloat16ElN6thrust23THRUST_200600_302600_NS4plusIlEEEEZZNS1_33reduce_by_key_impl_wrapped_configILNS1_25lookback_scan_determinismE0ES3_SB_PS6_NS8_17constant_iteratorIiNS8_11use_defaultESG_EENS8_10device_ptrIS6_EENSI_IlEEPmSA_NS8_8equal_toIS6_EEEE10hipError_tPvRmT2_T3_mT4_T5_T6_T7_T8_P12ihipStream_tbENKUlT_T0_E_clISt17integral_constantIbLb0EES15_EEDaS10_S11_EUlS10_E_NS1_11comp_targetILNS1_3genE9ELNS1_11target_archE1100ELNS1_3gpuE3ELNS1_3repE0EEENS1_30default_config_static_selectorELNS0_4arch9wavefront6targetE1EEEvT1_,comdat
.Lfunc_end2060:
	.size	_ZN7rocprim17ROCPRIM_400000_NS6detail17trampoline_kernelINS0_14default_configENS1_29reduce_by_key_config_selectorIN3c108BFloat16ElN6thrust23THRUST_200600_302600_NS4plusIlEEEEZZNS1_33reduce_by_key_impl_wrapped_configILNS1_25lookback_scan_determinismE0ES3_SB_PS6_NS8_17constant_iteratorIiNS8_11use_defaultESG_EENS8_10device_ptrIS6_EENSI_IlEEPmSA_NS8_8equal_toIS6_EEEE10hipError_tPvRmT2_T3_mT4_T5_T6_T7_T8_P12ihipStream_tbENKUlT_T0_E_clISt17integral_constantIbLb0EES15_EEDaS10_S11_EUlS10_E_NS1_11comp_targetILNS1_3genE9ELNS1_11target_archE1100ELNS1_3gpuE3ELNS1_3repE0EEENS1_30default_config_static_selectorELNS0_4arch9wavefront6targetE1EEEvT1_, .Lfunc_end2060-_ZN7rocprim17ROCPRIM_400000_NS6detail17trampoline_kernelINS0_14default_configENS1_29reduce_by_key_config_selectorIN3c108BFloat16ElN6thrust23THRUST_200600_302600_NS4plusIlEEEEZZNS1_33reduce_by_key_impl_wrapped_configILNS1_25lookback_scan_determinismE0ES3_SB_PS6_NS8_17constant_iteratorIiNS8_11use_defaultESG_EENS8_10device_ptrIS6_EENSI_IlEEPmSA_NS8_8equal_toIS6_EEEE10hipError_tPvRmT2_T3_mT4_T5_T6_T7_T8_P12ihipStream_tbENKUlT_T0_E_clISt17integral_constantIbLb0EES15_EEDaS10_S11_EUlS10_E_NS1_11comp_targetILNS1_3genE9ELNS1_11target_archE1100ELNS1_3gpuE3ELNS1_3repE0EEENS1_30default_config_static_selectorELNS0_4arch9wavefront6targetE1EEEvT1_
                                        ; -- End function
	.section	.AMDGPU.csdata,"",@progbits
; Kernel info:
; codeLenInByte = 0
; NumSgprs: 4
; NumVgprs: 0
; NumAgprs: 0
; TotalNumVgprs: 0
; ScratchSize: 0
; MemoryBound: 0
; FloatMode: 240
; IeeeMode: 1
; LDSByteSize: 0 bytes/workgroup (compile time only)
; SGPRBlocks: 0
; VGPRBlocks: 0
; NumSGPRsForWavesPerEU: 4
; NumVGPRsForWavesPerEU: 1
; AccumOffset: 4
; Occupancy: 8
; WaveLimiterHint : 0
; COMPUTE_PGM_RSRC2:SCRATCH_EN: 0
; COMPUTE_PGM_RSRC2:USER_SGPR: 6
; COMPUTE_PGM_RSRC2:TRAP_HANDLER: 0
; COMPUTE_PGM_RSRC2:TGID_X_EN: 1
; COMPUTE_PGM_RSRC2:TGID_Y_EN: 0
; COMPUTE_PGM_RSRC2:TGID_Z_EN: 0
; COMPUTE_PGM_RSRC2:TIDIG_COMP_CNT: 0
; COMPUTE_PGM_RSRC3_GFX90A:ACCUM_OFFSET: 0
; COMPUTE_PGM_RSRC3_GFX90A:TG_SPLIT: 0
	.section	.text._ZN7rocprim17ROCPRIM_400000_NS6detail17trampoline_kernelINS0_14default_configENS1_29reduce_by_key_config_selectorIN3c108BFloat16ElN6thrust23THRUST_200600_302600_NS4plusIlEEEEZZNS1_33reduce_by_key_impl_wrapped_configILNS1_25lookback_scan_determinismE0ES3_SB_PS6_NS8_17constant_iteratorIiNS8_11use_defaultESG_EENS8_10device_ptrIS6_EENSI_IlEEPmSA_NS8_8equal_toIS6_EEEE10hipError_tPvRmT2_T3_mT4_T5_T6_T7_T8_P12ihipStream_tbENKUlT_T0_E_clISt17integral_constantIbLb0EES15_EEDaS10_S11_EUlS10_E_NS1_11comp_targetILNS1_3genE8ELNS1_11target_archE1030ELNS1_3gpuE2ELNS1_3repE0EEENS1_30default_config_static_selectorELNS0_4arch9wavefront6targetE1EEEvT1_,"axG",@progbits,_ZN7rocprim17ROCPRIM_400000_NS6detail17trampoline_kernelINS0_14default_configENS1_29reduce_by_key_config_selectorIN3c108BFloat16ElN6thrust23THRUST_200600_302600_NS4plusIlEEEEZZNS1_33reduce_by_key_impl_wrapped_configILNS1_25lookback_scan_determinismE0ES3_SB_PS6_NS8_17constant_iteratorIiNS8_11use_defaultESG_EENS8_10device_ptrIS6_EENSI_IlEEPmSA_NS8_8equal_toIS6_EEEE10hipError_tPvRmT2_T3_mT4_T5_T6_T7_T8_P12ihipStream_tbENKUlT_T0_E_clISt17integral_constantIbLb0EES15_EEDaS10_S11_EUlS10_E_NS1_11comp_targetILNS1_3genE8ELNS1_11target_archE1030ELNS1_3gpuE2ELNS1_3repE0EEENS1_30default_config_static_selectorELNS0_4arch9wavefront6targetE1EEEvT1_,comdat
	.protected	_ZN7rocprim17ROCPRIM_400000_NS6detail17trampoline_kernelINS0_14default_configENS1_29reduce_by_key_config_selectorIN3c108BFloat16ElN6thrust23THRUST_200600_302600_NS4plusIlEEEEZZNS1_33reduce_by_key_impl_wrapped_configILNS1_25lookback_scan_determinismE0ES3_SB_PS6_NS8_17constant_iteratorIiNS8_11use_defaultESG_EENS8_10device_ptrIS6_EENSI_IlEEPmSA_NS8_8equal_toIS6_EEEE10hipError_tPvRmT2_T3_mT4_T5_T6_T7_T8_P12ihipStream_tbENKUlT_T0_E_clISt17integral_constantIbLb0EES15_EEDaS10_S11_EUlS10_E_NS1_11comp_targetILNS1_3genE8ELNS1_11target_archE1030ELNS1_3gpuE2ELNS1_3repE0EEENS1_30default_config_static_selectorELNS0_4arch9wavefront6targetE1EEEvT1_ ; -- Begin function _ZN7rocprim17ROCPRIM_400000_NS6detail17trampoline_kernelINS0_14default_configENS1_29reduce_by_key_config_selectorIN3c108BFloat16ElN6thrust23THRUST_200600_302600_NS4plusIlEEEEZZNS1_33reduce_by_key_impl_wrapped_configILNS1_25lookback_scan_determinismE0ES3_SB_PS6_NS8_17constant_iteratorIiNS8_11use_defaultESG_EENS8_10device_ptrIS6_EENSI_IlEEPmSA_NS8_8equal_toIS6_EEEE10hipError_tPvRmT2_T3_mT4_T5_T6_T7_T8_P12ihipStream_tbENKUlT_T0_E_clISt17integral_constantIbLb0EES15_EEDaS10_S11_EUlS10_E_NS1_11comp_targetILNS1_3genE8ELNS1_11target_archE1030ELNS1_3gpuE2ELNS1_3repE0EEENS1_30default_config_static_selectorELNS0_4arch9wavefront6targetE1EEEvT1_
	.globl	_ZN7rocprim17ROCPRIM_400000_NS6detail17trampoline_kernelINS0_14default_configENS1_29reduce_by_key_config_selectorIN3c108BFloat16ElN6thrust23THRUST_200600_302600_NS4plusIlEEEEZZNS1_33reduce_by_key_impl_wrapped_configILNS1_25lookback_scan_determinismE0ES3_SB_PS6_NS8_17constant_iteratorIiNS8_11use_defaultESG_EENS8_10device_ptrIS6_EENSI_IlEEPmSA_NS8_8equal_toIS6_EEEE10hipError_tPvRmT2_T3_mT4_T5_T6_T7_T8_P12ihipStream_tbENKUlT_T0_E_clISt17integral_constantIbLb0EES15_EEDaS10_S11_EUlS10_E_NS1_11comp_targetILNS1_3genE8ELNS1_11target_archE1030ELNS1_3gpuE2ELNS1_3repE0EEENS1_30default_config_static_selectorELNS0_4arch9wavefront6targetE1EEEvT1_
	.p2align	8
	.type	_ZN7rocprim17ROCPRIM_400000_NS6detail17trampoline_kernelINS0_14default_configENS1_29reduce_by_key_config_selectorIN3c108BFloat16ElN6thrust23THRUST_200600_302600_NS4plusIlEEEEZZNS1_33reduce_by_key_impl_wrapped_configILNS1_25lookback_scan_determinismE0ES3_SB_PS6_NS8_17constant_iteratorIiNS8_11use_defaultESG_EENS8_10device_ptrIS6_EENSI_IlEEPmSA_NS8_8equal_toIS6_EEEE10hipError_tPvRmT2_T3_mT4_T5_T6_T7_T8_P12ihipStream_tbENKUlT_T0_E_clISt17integral_constantIbLb0EES15_EEDaS10_S11_EUlS10_E_NS1_11comp_targetILNS1_3genE8ELNS1_11target_archE1030ELNS1_3gpuE2ELNS1_3repE0EEENS1_30default_config_static_selectorELNS0_4arch9wavefront6targetE1EEEvT1_,@function
_ZN7rocprim17ROCPRIM_400000_NS6detail17trampoline_kernelINS0_14default_configENS1_29reduce_by_key_config_selectorIN3c108BFloat16ElN6thrust23THRUST_200600_302600_NS4plusIlEEEEZZNS1_33reduce_by_key_impl_wrapped_configILNS1_25lookback_scan_determinismE0ES3_SB_PS6_NS8_17constant_iteratorIiNS8_11use_defaultESG_EENS8_10device_ptrIS6_EENSI_IlEEPmSA_NS8_8equal_toIS6_EEEE10hipError_tPvRmT2_T3_mT4_T5_T6_T7_T8_P12ihipStream_tbENKUlT_T0_E_clISt17integral_constantIbLb0EES15_EEDaS10_S11_EUlS10_E_NS1_11comp_targetILNS1_3genE8ELNS1_11target_archE1030ELNS1_3gpuE2ELNS1_3repE0EEENS1_30default_config_static_selectorELNS0_4arch9wavefront6targetE1EEEvT1_: ; @_ZN7rocprim17ROCPRIM_400000_NS6detail17trampoline_kernelINS0_14default_configENS1_29reduce_by_key_config_selectorIN3c108BFloat16ElN6thrust23THRUST_200600_302600_NS4plusIlEEEEZZNS1_33reduce_by_key_impl_wrapped_configILNS1_25lookback_scan_determinismE0ES3_SB_PS6_NS8_17constant_iteratorIiNS8_11use_defaultESG_EENS8_10device_ptrIS6_EENSI_IlEEPmSA_NS8_8equal_toIS6_EEEE10hipError_tPvRmT2_T3_mT4_T5_T6_T7_T8_P12ihipStream_tbENKUlT_T0_E_clISt17integral_constantIbLb0EES15_EEDaS10_S11_EUlS10_E_NS1_11comp_targetILNS1_3genE8ELNS1_11target_archE1030ELNS1_3gpuE2ELNS1_3repE0EEENS1_30default_config_static_selectorELNS0_4arch9wavefront6targetE1EEEvT1_
; %bb.0:
	.section	.rodata,"a",@progbits
	.p2align	6, 0x0
	.amdhsa_kernel _ZN7rocprim17ROCPRIM_400000_NS6detail17trampoline_kernelINS0_14default_configENS1_29reduce_by_key_config_selectorIN3c108BFloat16ElN6thrust23THRUST_200600_302600_NS4plusIlEEEEZZNS1_33reduce_by_key_impl_wrapped_configILNS1_25lookback_scan_determinismE0ES3_SB_PS6_NS8_17constant_iteratorIiNS8_11use_defaultESG_EENS8_10device_ptrIS6_EENSI_IlEEPmSA_NS8_8equal_toIS6_EEEE10hipError_tPvRmT2_T3_mT4_T5_T6_T7_T8_P12ihipStream_tbENKUlT_T0_E_clISt17integral_constantIbLb0EES15_EEDaS10_S11_EUlS10_E_NS1_11comp_targetILNS1_3genE8ELNS1_11target_archE1030ELNS1_3gpuE2ELNS1_3repE0EEENS1_30default_config_static_selectorELNS0_4arch9wavefront6targetE1EEEvT1_
		.amdhsa_group_segment_fixed_size 0
		.amdhsa_private_segment_fixed_size 0
		.amdhsa_kernarg_size 144
		.amdhsa_user_sgpr_count 6
		.amdhsa_user_sgpr_private_segment_buffer 1
		.amdhsa_user_sgpr_dispatch_ptr 0
		.amdhsa_user_sgpr_queue_ptr 0
		.amdhsa_user_sgpr_kernarg_segment_ptr 1
		.amdhsa_user_sgpr_dispatch_id 0
		.amdhsa_user_sgpr_flat_scratch_init 0
		.amdhsa_user_sgpr_kernarg_preload_length 0
		.amdhsa_user_sgpr_kernarg_preload_offset 0
		.amdhsa_user_sgpr_private_segment_size 0
		.amdhsa_uses_dynamic_stack 0
		.amdhsa_system_sgpr_private_segment_wavefront_offset 0
		.amdhsa_system_sgpr_workgroup_id_x 1
		.amdhsa_system_sgpr_workgroup_id_y 0
		.amdhsa_system_sgpr_workgroup_id_z 0
		.amdhsa_system_sgpr_workgroup_info 0
		.amdhsa_system_vgpr_workitem_id 0
		.amdhsa_next_free_vgpr 1
		.amdhsa_next_free_sgpr 0
		.amdhsa_accum_offset 4
		.amdhsa_reserve_vcc 0
		.amdhsa_reserve_flat_scratch 0
		.amdhsa_float_round_mode_32 0
		.amdhsa_float_round_mode_16_64 0
		.amdhsa_float_denorm_mode_32 3
		.amdhsa_float_denorm_mode_16_64 3
		.amdhsa_dx10_clamp 1
		.amdhsa_ieee_mode 1
		.amdhsa_fp16_overflow 0
		.amdhsa_tg_split 0
		.amdhsa_exception_fp_ieee_invalid_op 0
		.amdhsa_exception_fp_denorm_src 0
		.amdhsa_exception_fp_ieee_div_zero 0
		.amdhsa_exception_fp_ieee_overflow 0
		.amdhsa_exception_fp_ieee_underflow 0
		.amdhsa_exception_fp_ieee_inexact 0
		.amdhsa_exception_int_div_zero 0
	.end_amdhsa_kernel
	.section	.text._ZN7rocprim17ROCPRIM_400000_NS6detail17trampoline_kernelINS0_14default_configENS1_29reduce_by_key_config_selectorIN3c108BFloat16ElN6thrust23THRUST_200600_302600_NS4plusIlEEEEZZNS1_33reduce_by_key_impl_wrapped_configILNS1_25lookback_scan_determinismE0ES3_SB_PS6_NS8_17constant_iteratorIiNS8_11use_defaultESG_EENS8_10device_ptrIS6_EENSI_IlEEPmSA_NS8_8equal_toIS6_EEEE10hipError_tPvRmT2_T3_mT4_T5_T6_T7_T8_P12ihipStream_tbENKUlT_T0_E_clISt17integral_constantIbLb0EES15_EEDaS10_S11_EUlS10_E_NS1_11comp_targetILNS1_3genE8ELNS1_11target_archE1030ELNS1_3gpuE2ELNS1_3repE0EEENS1_30default_config_static_selectorELNS0_4arch9wavefront6targetE1EEEvT1_,"axG",@progbits,_ZN7rocprim17ROCPRIM_400000_NS6detail17trampoline_kernelINS0_14default_configENS1_29reduce_by_key_config_selectorIN3c108BFloat16ElN6thrust23THRUST_200600_302600_NS4plusIlEEEEZZNS1_33reduce_by_key_impl_wrapped_configILNS1_25lookback_scan_determinismE0ES3_SB_PS6_NS8_17constant_iteratorIiNS8_11use_defaultESG_EENS8_10device_ptrIS6_EENSI_IlEEPmSA_NS8_8equal_toIS6_EEEE10hipError_tPvRmT2_T3_mT4_T5_T6_T7_T8_P12ihipStream_tbENKUlT_T0_E_clISt17integral_constantIbLb0EES15_EEDaS10_S11_EUlS10_E_NS1_11comp_targetILNS1_3genE8ELNS1_11target_archE1030ELNS1_3gpuE2ELNS1_3repE0EEENS1_30default_config_static_selectorELNS0_4arch9wavefront6targetE1EEEvT1_,comdat
.Lfunc_end2061:
	.size	_ZN7rocprim17ROCPRIM_400000_NS6detail17trampoline_kernelINS0_14default_configENS1_29reduce_by_key_config_selectorIN3c108BFloat16ElN6thrust23THRUST_200600_302600_NS4plusIlEEEEZZNS1_33reduce_by_key_impl_wrapped_configILNS1_25lookback_scan_determinismE0ES3_SB_PS6_NS8_17constant_iteratorIiNS8_11use_defaultESG_EENS8_10device_ptrIS6_EENSI_IlEEPmSA_NS8_8equal_toIS6_EEEE10hipError_tPvRmT2_T3_mT4_T5_T6_T7_T8_P12ihipStream_tbENKUlT_T0_E_clISt17integral_constantIbLb0EES15_EEDaS10_S11_EUlS10_E_NS1_11comp_targetILNS1_3genE8ELNS1_11target_archE1030ELNS1_3gpuE2ELNS1_3repE0EEENS1_30default_config_static_selectorELNS0_4arch9wavefront6targetE1EEEvT1_, .Lfunc_end2061-_ZN7rocprim17ROCPRIM_400000_NS6detail17trampoline_kernelINS0_14default_configENS1_29reduce_by_key_config_selectorIN3c108BFloat16ElN6thrust23THRUST_200600_302600_NS4plusIlEEEEZZNS1_33reduce_by_key_impl_wrapped_configILNS1_25lookback_scan_determinismE0ES3_SB_PS6_NS8_17constant_iteratorIiNS8_11use_defaultESG_EENS8_10device_ptrIS6_EENSI_IlEEPmSA_NS8_8equal_toIS6_EEEE10hipError_tPvRmT2_T3_mT4_T5_T6_T7_T8_P12ihipStream_tbENKUlT_T0_E_clISt17integral_constantIbLb0EES15_EEDaS10_S11_EUlS10_E_NS1_11comp_targetILNS1_3genE8ELNS1_11target_archE1030ELNS1_3gpuE2ELNS1_3repE0EEENS1_30default_config_static_selectorELNS0_4arch9wavefront6targetE1EEEvT1_
                                        ; -- End function
	.section	.AMDGPU.csdata,"",@progbits
; Kernel info:
; codeLenInByte = 0
; NumSgprs: 4
; NumVgprs: 0
; NumAgprs: 0
; TotalNumVgprs: 0
; ScratchSize: 0
; MemoryBound: 0
; FloatMode: 240
; IeeeMode: 1
; LDSByteSize: 0 bytes/workgroup (compile time only)
; SGPRBlocks: 0
; VGPRBlocks: 0
; NumSGPRsForWavesPerEU: 4
; NumVGPRsForWavesPerEU: 1
; AccumOffset: 4
; Occupancy: 8
; WaveLimiterHint : 0
; COMPUTE_PGM_RSRC2:SCRATCH_EN: 0
; COMPUTE_PGM_RSRC2:USER_SGPR: 6
; COMPUTE_PGM_RSRC2:TRAP_HANDLER: 0
; COMPUTE_PGM_RSRC2:TGID_X_EN: 1
; COMPUTE_PGM_RSRC2:TGID_Y_EN: 0
; COMPUTE_PGM_RSRC2:TGID_Z_EN: 0
; COMPUTE_PGM_RSRC2:TIDIG_COMP_CNT: 0
; COMPUTE_PGM_RSRC3_GFX90A:ACCUM_OFFSET: 0
; COMPUTE_PGM_RSRC3_GFX90A:TG_SPLIT: 0
	.section	.text._ZN7rocprim17ROCPRIM_400000_NS6detail17trampoline_kernelINS0_14default_configENS1_29reduce_by_key_config_selectorIN3c108BFloat16ElN6thrust23THRUST_200600_302600_NS4plusIlEEEEZZNS1_33reduce_by_key_impl_wrapped_configILNS1_25lookback_scan_determinismE0ES3_SB_PS6_NS8_17constant_iteratorIiNS8_11use_defaultESG_EENS8_10device_ptrIS6_EENSI_IlEEPmSA_NS8_8equal_toIS6_EEEE10hipError_tPvRmT2_T3_mT4_T5_T6_T7_T8_P12ihipStream_tbENKUlT_T0_E_clISt17integral_constantIbLb1EES15_EEDaS10_S11_EUlS10_E_NS1_11comp_targetILNS1_3genE0ELNS1_11target_archE4294967295ELNS1_3gpuE0ELNS1_3repE0EEENS1_30default_config_static_selectorELNS0_4arch9wavefront6targetE1EEEvT1_,"axG",@progbits,_ZN7rocprim17ROCPRIM_400000_NS6detail17trampoline_kernelINS0_14default_configENS1_29reduce_by_key_config_selectorIN3c108BFloat16ElN6thrust23THRUST_200600_302600_NS4plusIlEEEEZZNS1_33reduce_by_key_impl_wrapped_configILNS1_25lookback_scan_determinismE0ES3_SB_PS6_NS8_17constant_iteratorIiNS8_11use_defaultESG_EENS8_10device_ptrIS6_EENSI_IlEEPmSA_NS8_8equal_toIS6_EEEE10hipError_tPvRmT2_T3_mT4_T5_T6_T7_T8_P12ihipStream_tbENKUlT_T0_E_clISt17integral_constantIbLb1EES15_EEDaS10_S11_EUlS10_E_NS1_11comp_targetILNS1_3genE0ELNS1_11target_archE4294967295ELNS1_3gpuE0ELNS1_3repE0EEENS1_30default_config_static_selectorELNS0_4arch9wavefront6targetE1EEEvT1_,comdat
	.protected	_ZN7rocprim17ROCPRIM_400000_NS6detail17trampoline_kernelINS0_14default_configENS1_29reduce_by_key_config_selectorIN3c108BFloat16ElN6thrust23THRUST_200600_302600_NS4plusIlEEEEZZNS1_33reduce_by_key_impl_wrapped_configILNS1_25lookback_scan_determinismE0ES3_SB_PS6_NS8_17constant_iteratorIiNS8_11use_defaultESG_EENS8_10device_ptrIS6_EENSI_IlEEPmSA_NS8_8equal_toIS6_EEEE10hipError_tPvRmT2_T3_mT4_T5_T6_T7_T8_P12ihipStream_tbENKUlT_T0_E_clISt17integral_constantIbLb1EES15_EEDaS10_S11_EUlS10_E_NS1_11comp_targetILNS1_3genE0ELNS1_11target_archE4294967295ELNS1_3gpuE0ELNS1_3repE0EEENS1_30default_config_static_selectorELNS0_4arch9wavefront6targetE1EEEvT1_ ; -- Begin function _ZN7rocprim17ROCPRIM_400000_NS6detail17trampoline_kernelINS0_14default_configENS1_29reduce_by_key_config_selectorIN3c108BFloat16ElN6thrust23THRUST_200600_302600_NS4plusIlEEEEZZNS1_33reduce_by_key_impl_wrapped_configILNS1_25lookback_scan_determinismE0ES3_SB_PS6_NS8_17constant_iteratorIiNS8_11use_defaultESG_EENS8_10device_ptrIS6_EENSI_IlEEPmSA_NS8_8equal_toIS6_EEEE10hipError_tPvRmT2_T3_mT4_T5_T6_T7_T8_P12ihipStream_tbENKUlT_T0_E_clISt17integral_constantIbLb1EES15_EEDaS10_S11_EUlS10_E_NS1_11comp_targetILNS1_3genE0ELNS1_11target_archE4294967295ELNS1_3gpuE0ELNS1_3repE0EEENS1_30default_config_static_selectorELNS0_4arch9wavefront6targetE1EEEvT1_
	.globl	_ZN7rocprim17ROCPRIM_400000_NS6detail17trampoline_kernelINS0_14default_configENS1_29reduce_by_key_config_selectorIN3c108BFloat16ElN6thrust23THRUST_200600_302600_NS4plusIlEEEEZZNS1_33reduce_by_key_impl_wrapped_configILNS1_25lookback_scan_determinismE0ES3_SB_PS6_NS8_17constant_iteratorIiNS8_11use_defaultESG_EENS8_10device_ptrIS6_EENSI_IlEEPmSA_NS8_8equal_toIS6_EEEE10hipError_tPvRmT2_T3_mT4_T5_T6_T7_T8_P12ihipStream_tbENKUlT_T0_E_clISt17integral_constantIbLb1EES15_EEDaS10_S11_EUlS10_E_NS1_11comp_targetILNS1_3genE0ELNS1_11target_archE4294967295ELNS1_3gpuE0ELNS1_3repE0EEENS1_30default_config_static_selectorELNS0_4arch9wavefront6targetE1EEEvT1_
	.p2align	8
	.type	_ZN7rocprim17ROCPRIM_400000_NS6detail17trampoline_kernelINS0_14default_configENS1_29reduce_by_key_config_selectorIN3c108BFloat16ElN6thrust23THRUST_200600_302600_NS4plusIlEEEEZZNS1_33reduce_by_key_impl_wrapped_configILNS1_25lookback_scan_determinismE0ES3_SB_PS6_NS8_17constant_iteratorIiNS8_11use_defaultESG_EENS8_10device_ptrIS6_EENSI_IlEEPmSA_NS8_8equal_toIS6_EEEE10hipError_tPvRmT2_T3_mT4_T5_T6_T7_T8_P12ihipStream_tbENKUlT_T0_E_clISt17integral_constantIbLb1EES15_EEDaS10_S11_EUlS10_E_NS1_11comp_targetILNS1_3genE0ELNS1_11target_archE4294967295ELNS1_3gpuE0ELNS1_3repE0EEENS1_30default_config_static_selectorELNS0_4arch9wavefront6targetE1EEEvT1_,@function
_ZN7rocprim17ROCPRIM_400000_NS6detail17trampoline_kernelINS0_14default_configENS1_29reduce_by_key_config_selectorIN3c108BFloat16ElN6thrust23THRUST_200600_302600_NS4plusIlEEEEZZNS1_33reduce_by_key_impl_wrapped_configILNS1_25lookback_scan_determinismE0ES3_SB_PS6_NS8_17constant_iteratorIiNS8_11use_defaultESG_EENS8_10device_ptrIS6_EENSI_IlEEPmSA_NS8_8equal_toIS6_EEEE10hipError_tPvRmT2_T3_mT4_T5_T6_T7_T8_P12ihipStream_tbENKUlT_T0_E_clISt17integral_constantIbLb1EES15_EEDaS10_S11_EUlS10_E_NS1_11comp_targetILNS1_3genE0ELNS1_11target_archE4294967295ELNS1_3gpuE0ELNS1_3repE0EEENS1_30default_config_static_selectorELNS0_4arch9wavefront6targetE1EEEvT1_: ; @_ZN7rocprim17ROCPRIM_400000_NS6detail17trampoline_kernelINS0_14default_configENS1_29reduce_by_key_config_selectorIN3c108BFloat16ElN6thrust23THRUST_200600_302600_NS4plusIlEEEEZZNS1_33reduce_by_key_impl_wrapped_configILNS1_25lookback_scan_determinismE0ES3_SB_PS6_NS8_17constant_iteratorIiNS8_11use_defaultESG_EENS8_10device_ptrIS6_EENSI_IlEEPmSA_NS8_8equal_toIS6_EEEE10hipError_tPvRmT2_T3_mT4_T5_T6_T7_T8_P12ihipStream_tbENKUlT_T0_E_clISt17integral_constantIbLb1EES15_EEDaS10_S11_EUlS10_E_NS1_11comp_targetILNS1_3genE0ELNS1_11target_archE4294967295ELNS1_3gpuE0ELNS1_3repE0EEENS1_30default_config_static_selectorELNS0_4arch9wavefront6targetE1EEEvT1_
; %bb.0:
	.section	.rodata,"a",@progbits
	.p2align	6, 0x0
	.amdhsa_kernel _ZN7rocprim17ROCPRIM_400000_NS6detail17trampoline_kernelINS0_14default_configENS1_29reduce_by_key_config_selectorIN3c108BFloat16ElN6thrust23THRUST_200600_302600_NS4plusIlEEEEZZNS1_33reduce_by_key_impl_wrapped_configILNS1_25lookback_scan_determinismE0ES3_SB_PS6_NS8_17constant_iteratorIiNS8_11use_defaultESG_EENS8_10device_ptrIS6_EENSI_IlEEPmSA_NS8_8equal_toIS6_EEEE10hipError_tPvRmT2_T3_mT4_T5_T6_T7_T8_P12ihipStream_tbENKUlT_T0_E_clISt17integral_constantIbLb1EES15_EEDaS10_S11_EUlS10_E_NS1_11comp_targetILNS1_3genE0ELNS1_11target_archE4294967295ELNS1_3gpuE0ELNS1_3repE0EEENS1_30default_config_static_selectorELNS0_4arch9wavefront6targetE1EEEvT1_
		.amdhsa_group_segment_fixed_size 0
		.amdhsa_private_segment_fixed_size 0
		.amdhsa_kernarg_size 144
		.amdhsa_user_sgpr_count 6
		.amdhsa_user_sgpr_private_segment_buffer 1
		.amdhsa_user_sgpr_dispatch_ptr 0
		.amdhsa_user_sgpr_queue_ptr 0
		.amdhsa_user_sgpr_kernarg_segment_ptr 1
		.amdhsa_user_sgpr_dispatch_id 0
		.amdhsa_user_sgpr_flat_scratch_init 0
		.amdhsa_user_sgpr_kernarg_preload_length 0
		.amdhsa_user_sgpr_kernarg_preload_offset 0
		.amdhsa_user_sgpr_private_segment_size 0
		.amdhsa_uses_dynamic_stack 0
		.amdhsa_system_sgpr_private_segment_wavefront_offset 0
		.amdhsa_system_sgpr_workgroup_id_x 1
		.amdhsa_system_sgpr_workgroup_id_y 0
		.amdhsa_system_sgpr_workgroup_id_z 0
		.amdhsa_system_sgpr_workgroup_info 0
		.amdhsa_system_vgpr_workitem_id 0
		.amdhsa_next_free_vgpr 1
		.amdhsa_next_free_sgpr 0
		.amdhsa_accum_offset 4
		.amdhsa_reserve_vcc 0
		.amdhsa_reserve_flat_scratch 0
		.amdhsa_float_round_mode_32 0
		.amdhsa_float_round_mode_16_64 0
		.amdhsa_float_denorm_mode_32 3
		.amdhsa_float_denorm_mode_16_64 3
		.amdhsa_dx10_clamp 1
		.amdhsa_ieee_mode 1
		.amdhsa_fp16_overflow 0
		.amdhsa_tg_split 0
		.amdhsa_exception_fp_ieee_invalid_op 0
		.amdhsa_exception_fp_denorm_src 0
		.amdhsa_exception_fp_ieee_div_zero 0
		.amdhsa_exception_fp_ieee_overflow 0
		.amdhsa_exception_fp_ieee_underflow 0
		.amdhsa_exception_fp_ieee_inexact 0
		.amdhsa_exception_int_div_zero 0
	.end_amdhsa_kernel
	.section	.text._ZN7rocprim17ROCPRIM_400000_NS6detail17trampoline_kernelINS0_14default_configENS1_29reduce_by_key_config_selectorIN3c108BFloat16ElN6thrust23THRUST_200600_302600_NS4plusIlEEEEZZNS1_33reduce_by_key_impl_wrapped_configILNS1_25lookback_scan_determinismE0ES3_SB_PS6_NS8_17constant_iteratorIiNS8_11use_defaultESG_EENS8_10device_ptrIS6_EENSI_IlEEPmSA_NS8_8equal_toIS6_EEEE10hipError_tPvRmT2_T3_mT4_T5_T6_T7_T8_P12ihipStream_tbENKUlT_T0_E_clISt17integral_constantIbLb1EES15_EEDaS10_S11_EUlS10_E_NS1_11comp_targetILNS1_3genE0ELNS1_11target_archE4294967295ELNS1_3gpuE0ELNS1_3repE0EEENS1_30default_config_static_selectorELNS0_4arch9wavefront6targetE1EEEvT1_,"axG",@progbits,_ZN7rocprim17ROCPRIM_400000_NS6detail17trampoline_kernelINS0_14default_configENS1_29reduce_by_key_config_selectorIN3c108BFloat16ElN6thrust23THRUST_200600_302600_NS4plusIlEEEEZZNS1_33reduce_by_key_impl_wrapped_configILNS1_25lookback_scan_determinismE0ES3_SB_PS6_NS8_17constant_iteratorIiNS8_11use_defaultESG_EENS8_10device_ptrIS6_EENSI_IlEEPmSA_NS8_8equal_toIS6_EEEE10hipError_tPvRmT2_T3_mT4_T5_T6_T7_T8_P12ihipStream_tbENKUlT_T0_E_clISt17integral_constantIbLb1EES15_EEDaS10_S11_EUlS10_E_NS1_11comp_targetILNS1_3genE0ELNS1_11target_archE4294967295ELNS1_3gpuE0ELNS1_3repE0EEENS1_30default_config_static_selectorELNS0_4arch9wavefront6targetE1EEEvT1_,comdat
.Lfunc_end2062:
	.size	_ZN7rocprim17ROCPRIM_400000_NS6detail17trampoline_kernelINS0_14default_configENS1_29reduce_by_key_config_selectorIN3c108BFloat16ElN6thrust23THRUST_200600_302600_NS4plusIlEEEEZZNS1_33reduce_by_key_impl_wrapped_configILNS1_25lookback_scan_determinismE0ES3_SB_PS6_NS8_17constant_iteratorIiNS8_11use_defaultESG_EENS8_10device_ptrIS6_EENSI_IlEEPmSA_NS8_8equal_toIS6_EEEE10hipError_tPvRmT2_T3_mT4_T5_T6_T7_T8_P12ihipStream_tbENKUlT_T0_E_clISt17integral_constantIbLb1EES15_EEDaS10_S11_EUlS10_E_NS1_11comp_targetILNS1_3genE0ELNS1_11target_archE4294967295ELNS1_3gpuE0ELNS1_3repE0EEENS1_30default_config_static_selectorELNS0_4arch9wavefront6targetE1EEEvT1_, .Lfunc_end2062-_ZN7rocprim17ROCPRIM_400000_NS6detail17trampoline_kernelINS0_14default_configENS1_29reduce_by_key_config_selectorIN3c108BFloat16ElN6thrust23THRUST_200600_302600_NS4plusIlEEEEZZNS1_33reduce_by_key_impl_wrapped_configILNS1_25lookback_scan_determinismE0ES3_SB_PS6_NS8_17constant_iteratorIiNS8_11use_defaultESG_EENS8_10device_ptrIS6_EENSI_IlEEPmSA_NS8_8equal_toIS6_EEEE10hipError_tPvRmT2_T3_mT4_T5_T6_T7_T8_P12ihipStream_tbENKUlT_T0_E_clISt17integral_constantIbLb1EES15_EEDaS10_S11_EUlS10_E_NS1_11comp_targetILNS1_3genE0ELNS1_11target_archE4294967295ELNS1_3gpuE0ELNS1_3repE0EEENS1_30default_config_static_selectorELNS0_4arch9wavefront6targetE1EEEvT1_
                                        ; -- End function
	.section	.AMDGPU.csdata,"",@progbits
; Kernel info:
; codeLenInByte = 0
; NumSgprs: 4
; NumVgprs: 0
; NumAgprs: 0
; TotalNumVgprs: 0
; ScratchSize: 0
; MemoryBound: 0
; FloatMode: 240
; IeeeMode: 1
; LDSByteSize: 0 bytes/workgroup (compile time only)
; SGPRBlocks: 0
; VGPRBlocks: 0
; NumSGPRsForWavesPerEU: 4
; NumVGPRsForWavesPerEU: 1
; AccumOffset: 4
; Occupancy: 8
; WaveLimiterHint : 0
; COMPUTE_PGM_RSRC2:SCRATCH_EN: 0
; COMPUTE_PGM_RSRC2:USER_SGPR: 6
; COMPUTE_PGM_RSRC2:TRAP_HANDLER: 0
; COMPUTE_PGM_RSRC2:TGID_X_EN: 1
; COMPUTE_PGM_RSRC2:TGID_Y_EN: 0
; COMPUTE_PGM_RSRC2:TGID_Z_EN: 0
; COMPUTE_PGM_RSRC2:TIDIG_COMP_CNT: 0
; COMPUTE_PGM_RSRC3_GFX90A:ACCUM_OFFSET: 0
; COMPUTE_PGM_RSRC3_GFX90A:TG_SPLIT: 0
	.section	.text._ZN7rocprim17ROCPRIM_400000_NS6detail17trampoline_kernelINS0_14default_configENS1_29reduce_by_key_config_selectorIN3c108BFloat16ElN6thrust23THRUST_200600_302600_NS4plusIlEEEEZZNS1_33reduce_by_key_impl_wrapped_configILNS1_25lookback_scan_determinismE0ES3_SB_PS6_NS8_17constant_iteratorIiNS8_11use_defaultESG_EENS8_10device_ptrIS6_EENSI_IlEEPmSA_NS8_8equal_toIS6_EEEE10hipError_tPvRmT2_T3_mT4_T5_T6_T7_T8_P12ihipStream_tbENKUlT_T0_E_clISt17integral_constantIbLb1EES15_EEDaS10_S11_EUlS10_E_NS1_11comp_targetILNS1_3genE5ELNS1_11target_archE942ELNS1_3gpuE9ELNS1_3repE0EEENS1_30default_config_static_selectorELNS0_4arch9wavefront6targetE1EEEvT1_,"axG",@progbits,_ZN7rocprim17ROCPRIM_400000_NS6detail17trampoline_kernelINS0_14default_configENS1_29reduce_by_key_config_selectorIN3c108BFloat16ElN6thrust23THRUST_200600_302600_NS4plusIlEEEEZZNS1_33reduce_by_key_impl_wrapped_configILNS1_25lookback_scan_determinismE0ES3_SB_PS6_NS8_17constant_iteratorIiNS8_11use_defaultESG_EENS8_10device_ptrIS6_EENSI_IlEEPmSA_NS8_8equal_toIS6_EEEE10hipError_tPvRmT2_T3_mT4_T5_T6_T7_T8_P12ihipStream_tbENKUlT_T0_E_clISt17integral_constantIbLb1EES15_EEDaS10_S11_EUlS10_E_NS1_11comp_targetILNS1_3genE5ELNS1_11target_archE942ELNS1_3gpuE9ELNS1_3repE0EEENS1_30default_config_static_selectorELNS0_4arch9wavefront6targetE1EEEvT1_,comdat
	.protected	_ZN7rocprim17ROCPRIM_400000_NS6detail17trampoline_kernelINS0_14default_configENS1_29reduce_by_key_config_selectorIN3c108BFloat16ElN6thrust23THRUST_200600_302600_NS4plusIlEEEEZZNS1_33reduce_by_key_impl_wrapped_configILNS1_25lookback_scan_determinismE0ES3_SB_PS6_NS8_17constant_iteratorIiNS8_11use_defaultESG_EENS8_10device_ptrIS6_EENSI_IlEEPmSA_NS8_8equal_toIS6_EEEE10hipError_tPvRmT2_T3_mT4_T5_T6_T7_T8_P12ihipStream_tbENKUlT_T0_E_clISt17integral_constantIbLb1EES15_EEDaS10_S11_EUlS10_E_NS1_11comp_targetILNS1_3genE5ELNS1_11target_archE942ELNS1_3gpuE9ELNS1_3repE0EEENS1_30default_config_static_selectorELNS0_4arch9wavefront6targetE1EEEvT1_ ; -- Begin function _ZN7rocprim17ROCPRIM_400000_NS6detail17trampoline_kernelINS0_14default_configENS1_29reduce_by_key_config_selectorIN3c108BFloat16ElN6thrust23THRUST_200600_302600_NS4plusIlEEEEZZNS1_33reduce_by_key_impl_wrapped_configILNS1_25lookback_scan_determinismE0ES3_SB_PS6_NS8_17constant_iteratorIiNS8_11use_defaultESG_EENS8_10device_ptrIS6_EENSI_IlEEPmSA_NS8_8equal_toIS6_EEEE10hipError_tPvRmT2_T3_mT4_T5_T6_T7_T8_P12ihipStream_tbENKUlT_T0_E_clISt17integral_constantIbLb1EES15_EEDaS10_S11_EUlS10_E_NS1_11comp_targetILNS1_3genE5ELNS1_11target_archE942ELNS1_3gpuE9ELNS1_3repE0EEENS1_30default_config_static_selectorELNS0_4arch9wavefront6targetE1EEEvT1_
	.globl	_ZN7rocprim17ROCPRIM_400000_NS6detail17trampoline_kernelINS0_14default_configENS1_29reduce_by_key_config_selectorIN3c108BFloat16ElN6thrust23THRUST_200600_302600_NS4plusIlEEEEZZNS1_33reduce_by_key_impl_wrapped_configILNS1_25lookback_scan_determinismE0ES3_SB_PS6_NS8_17constant_iteratorIiNS8_11use_defaultESG_EENS8_10device_ptrIS6_EENSI_IlEEPmSA_NS8_8equal_toIS6_EEEE10hipError_tPvRmT2_T3_mT4_T5_T6_T7_T8_P12ihipStream_tbENKUlT_T0_E_clISt17integral_constantIbLb1EES15_EEDaS10_S11_EUlS10_E_NS1_11comp_targetILNS1_3genE5ELNS1_11target_archE942ELNS1_3gpuE9ELNS1_3repE0EEENS1_30default_config_static_selectorELNS0_4arch9wavefront6targetE1EEEvT1_
	.p2align	8
	.type	_ZN7rocprim17ROCPRIM_400000_NS6detail17trampoline_kernelINS0_14default_configENS1_29reduce_by_key_config_selectorIN3c108BFloat16ElN6thrust23THRUST_200600_302600_NS4plusIlEEEEZZNS1_33reduce_by_key_impl_wrapped_configILNS1_25lookback_scan_determinismE0ES3_SB_PS6_NS8_17constant_iteratorIiNS8_11use_defaultESG_EENS8_10device_ptrIS6_EENSI_IlEEPmSA_NS8_8equal_toIS6_EEEE10hipError_tPvRmT2_T3_mT4_T5_T6_T7_T8_P12ihipStream_tbENKUlT_T0_E_clISt17integral_constantIbLb1EES15_EEDaS10_S11_EUlS10_E_NS1_11comp_targetILNS1_3genE5ELNS1_11target_archE942ELNS1_3gpuE9ELNS1_3repE0EEENS1_30default_config_static_selectorELNS0_4arch9wavefront6targetE1EEEvT1_,@function
_ZN7rocprim17ROCPRIM_400000_NS6detail17trampoline_kernelINS0_14default_configENS1_29reduce_by_key_config_selectorIN3c108BFloat16ElN6thrust23THRUST_200600_302600_NS4plusIlEEEEZZNS1_33reduce_by_key_impl_wrapped_configILNS1_25lookback_scan_determinismE0ES3_SB_PS6_NS8_17constant_iteratorIiNS8_11use_defaultESG_EENS8_10device_ptrIS6_EENSI_IlEEPmSA_NS8_8equal_toIS6_EEEE10hipError_tPvRmT2_T3_mT4_T5_T6_T7_T8_P12ihipStream_tbENKUlT_T0_E_clISt17integral_constantIbLb1EES15_EEDaS10_S11_EUlS10_E_NS1_11comp_targetILNS1_3genE5ELNS1_11target_archE942ELNS1_3gpuE9ELNS1_3repE0EEENS1_30default_config_static_selectorELNS0_4arch9wavefront6targetE1EEEvT1_: ; @_ZN7rocprim17ROCPRIM_400000_NS6detail17trampoline_kernelINS0_14default_configENS1_29reduce_by_key_config_selectorIN3c108BFloat16ElN6thrust23THRUST_200600_302600_NS4plusIlEEEEZZNS1_33reduce_by_key_impl_wrapped_configILNS1_25lookback_scan_determinismE0ES3_SB_PS6_NS8_17constant_iteratorIiNS8_11use_defaultESG_EENS8_10device_ptrIS6_EENSI_IlEEPmSA_NS8_8equal_toIS6_EEEE10hipError_tPvRmT2_T3_mT4_T5_T6_T7_T8_P12ihipStream_tbENKUlT_T0_E_clISt17integral_constantIbLb1EES15_EEDaS10_S11_EUlS10_E_NS1_11comp_targetILNS1_3genE5ELNS1_11target_archE942ELNS1_3gpuE9ELNS1_3repE0EEENS1_30default_config_static_selectorELNS0_4arch9wavefront6targetE1EEEvT1_
; %bb.0:
	.section	.rodata,"a",@progbits
	.p2align	6, 0x0
	.amdhsa_kernel _ZN7rocprim17ROCPRIM_400000_NS6detail17trampoline_kernelINS0_14default_configENS1_29reduce_by_key_config_selectorIN3c108BFloat16ElN6thrust23THRUST_200600_302600_NS4plusIlEEEEZZNS1_33reduce_by_key_impl_wrapped_configILNS1_25lookback_scan_determinismE0ES3_SB_PS6_NS8_17constant_iteratorIiNS8_11use_defaultESG_EENS8_10device_ptrIS6_EENSI_IlEEPmSA_NS8_8equal_toIS6_EEEE10hipError_tPvRmT2_T3_mT4_T5_T6_T7_T8_P12ihipStream_tbENKUlT_T0_E_clISt17integral_constantIbLb1EES15_EEDaS10_S11_EUlS10_E_NS1_11comp_targetILNS1_3genE5ELNS1_11target_archE942ELNS1_3gpuE9ELNS1_3repE0EEENS1_30default_config_static_selectorELNS0_4arch9wavefront6targetE1EEEvT1_
		.amdhsa_group_segment_fixed_size 0
		.amdhsa_private_segment_fixed_size 0
		.amdhsa_kernarg_size 144
		.amdhsa_user_sgpr_count 6
		.amdhsa_user_sgpr_private_segment_buffer 1
		.amdhsa_user_sgpr_dispatch_ptr 0
		.amdhsa_user_sgpr_queue_ptr 0
		.amdhsa_user_sgpr_kernarg_segment_ptr 1
		.amdhsa_user_sgpr_dispatch_id 0
		.amdhsa_user_sgpr_flat_scratch_init 0
		.amdhsa_user_sgpr_kernarg_preload_length 0
		.amdhsa_user_sgpr_kernarg_preload_offset 0
		.amdhsa_user_sgpr_private_segment_size 0
		.amdhsa_uses_dynamic_stack 0
		.amdhsa_system_sgpr_private_segment_wavefront_offset 0
		.amdhsa_system_sgpr_workgroup_id_x 1
		.amdhsa_system_sgpr_workgroup_id_y 0
		.amdhsa_system_sgpr_workgroup_id_z 0
		.amdhsa_system_sgpr_workgroup_info 0
		.amdhsa_system_vgpr_workitem_id 0
		.amdhsa_next_free_vgpr 1
		.amdhsa_next_free_sgpr 0
		.amdhsa_accum_offset 4
		.amdhsa_reserve_vcc 0
		.amdhsa_reserve_flat_scratch 0
		.amdhsa_float_round_mode_32 0
		.amdhsa_float_round_mode_16_64 0
		.amdhsa_float_denorm_mode_32 3
		.amdhsa_float_denorm_mode_16_64 3
		.amdhsa_dx10_clamp 1
		.amdhsa_ieee_mode 1
		.amdhsa_fp16_overflow 0
		.amdhsa_tg_split 0
		.amdhsa_exception_fp_ieee_invalid_op 0
		.amdhsa_exception_fp_denorm_src 0
		.amdhsa_exception_fp_ieee_div_zero 0
		.amdhsa_exception_fp_ieee_overflow 0
		.amdhsa_exception_fp_ieee_underflow 0
		.amdhsa_exception_fp_ieee_inexact 0
		.amdhsa_exception_int_div_zero 0
	.end_amdhsa_kernel
	.section	.text._ZN7rocprim17ROCPRIM_400000_NS6detail17trampoline_kernelINS0_14default_configENS1_29reduce_by_key_config_selectorIN3c108BFloat16ElN6thrust23THRUST_200600_302600_NS4plusIlEEEEZZNS1_33reduce_by_key_impl_wrapped_configILNS1_25lookback_scan_determinismE0ES3_SB_PS6_NS8_17constant_iteratorIiNS8_11use_defaultESG_EENS8_10device_ptrIS6_EENSI_IlEEPmSA_NS8_8equal_toIS6_EEEE10hipError_tPvRmT2_T3_mT4_T5_T6_T7_T8_P12ihipStream_tbENKUlT_T0_E_clISt17integral_constantIbLb1EES15_EEDaS10_S11_EUlS10_E_NS1_11comp_targetILNS1_3genE5ELNS1_11target_archE942ELNS1_3gpuE9ELNS1_3repE0EEENS1_30default_config_static_selectorELNS0_4arch9wavefront6targetE1EEEvT1_,"axG",@progbits,_ZN7rocprim17ROCPRIM_400000_NS6detail17trampoline_kernelINS0_14default_configENS1_29reduce_by_key_config_selectorIN3c108BFloat16ElN6thrust23THRUST_200600_302600_NS4plusIlEEEEZZNS1_33reduce_by_key_impl_wrapped_configILNS1_25lookback_scan_determinismE0ES3_SB_PS6_NS8_17constant_iteratorIiNS8_11use_defaultESG_EENS8_10device_ptrIS6_EENSI_IlEEPmSA_NS8_8equal_toIS6_EEEE10hipError_tPvRmT2_T3_mT4_T5_T6_T7_T8_P12ihipStream_tbENKUlT_T0_E_clISt17integral_constantIbLb1EES15_EEDaS10_S11_EUlS10_E_NS1_11comp_targetILNS1_3genE5ELNS1_11target_archE942ELNS1_3gpuE9ELNS1_3repE0EEENS1_30default_config_static_selectorELNS0_4arch9wavefront6targetE1EEEvT1_,comdat
.Lfunc_end2063:
	.size	_ZN7rocprim17ROCPRIM_400000_NS6detail17trampoline_kernelINS0_14default_configENS1_29reduce_by_key_config_selectorIN3c108BFloat16ElN6thrust23THRUST_200600_302600_NS4plusIlEEEEZZNS1_33reduce_by_key_impl_wrapped_configILNS1_25lookback_scan_determinismE0ES3_SB_PS6_NS8_17constant_iteratorIiNS8_11use_defaultESG_EENS8_10device_ptrIS6_EENSI_IlEEPmSA_NS8_8equal_toIS6_EEEE10hipError_tPvRmT2_T3_mT4_T5_T6_T7_T8_P12ihipStream_tbENKUlT_T0_E_clISt17integral_constantIbLb1EES15_EEDaS10_S11_EUlS10_E_NS1_11comp_targetILNS1_3genE5ELNS1_11target_archE942ELNS1_3gpuE9ELNS1_3repE0EEENS1_30default_config_static_selectorELNS0_4arch9wavefront6targetE1EEEvT1_, .Lfunc_end2063-_ZN7rocprim17ROCPRIM_400000_NS6detail17trampoline_kernelINS0_14default_configENS1_29reduce_by_key_config_selectorIN3c108BFloat16ElN6thrust23THRUST_200600_302600_NS4plusIlEEEEZZNS1_33reduce_by_key_impl_wrapped_configILNS1_25lookback_scan_determinismE0ES3_SB_PS6_NS8_17constant_iteratorIiNS8_11use_defaultESG_EENS8_10device_ptrIS6_EENSI_IlEEPmSA_NS8_8equal_toIS6_EEEE10hipError_tPvRmT2_T3_mT4_T5_T6_T7_T8_P12ihipStream_tbENKUlT_T0_E_clISt17integral_constantIbLb1EES15_EEDaS10_S11_EUlS10_E_NS1_11comp_targetILNS1_3genE5ELNS1_11target_archE942ELNS1_3gpuE9ELNS1_3repE0EEENS1_30default_config_static_selectorELNS0_4arch9wavefront6targetE1EEEvT1_
                                        ; -- End function
	.section	.AMDGPU.csdata,"",@progbits
; Kernel info:
; codeLenInByte = 0
; NumSgprs: 4
; NumVgprs: 0
; NumAgprs: 0
; TotalNumVgprs: 0
; ScratchSize: 0
; MemoryBound: 0
; FloatMode: 240
; IeeeMode: 1
; LDSByteSize: 0 bytes/workgroup (compile time only)
; SGPRBlocks: 0
; VGPRBlocks: 0
; NumSGPRsForWavesPerEU: 4
; NumVGPRsForWavesPerEU: 1
; AccumOffset: 4
; Occupancy: 8
; WaveLimiterHint : 0
; COMPUTE_PGM_RSRC2:SCRATCH_EN: 0
; COMPUTE_PGM_RSRC2:USER_SGPR: 6
; COMPUTE_PGM_RSRC2:TRAP_HANDLER: 0
; COMPUTE_PGM_RSRC2:TGID_X_EN: 1
; COMPUTE_PGM_RSRC2:TGID_Y_EN: 0
; COMPUTE_PGM_RSRC2:TGID_Z_EN: 0
; COMPUTE_PGM_RSRC2:TIDIG_COMP_CNT: 0
; COMPUTE_PGM_RSRC3_GFX90A:ACCUM_OFFSET: 0
; COMPUTE_PGM_RSRC3_GFX90A:TG_SPLIT: 0
	.section	.text._ZN7rocprim17ROCPRIM_400000_NS6detail17trampoline_kernelINS0_14default_configENS1_29reduce_by_key_config_selectorIN3c108BFloat16ElN6thrust23THRUST_200600_302600_NS4plusIlEEEEZZNS1_33reduce_by_key_impl_wrapped_configILNS1_25lookback_scan_determinismE0ES3_SB_PS6_NS8_17constant_iteratorIiNS8_11use_defaultESG_EENS8_10device_ptrIS6_EENSI_IlEEPmSA_NS8_8equal_toIS6_EEEE10hipError_tPvRmT2_T3_mT4_T5_T6_T7_T8_P12ihipStream_tbENKUlT_T0_E_clISt17integral_constantIbLb1EES15_EEDaS10_S11_EUlS10_E_NS1_11comp_targetILNS1_3genE4ELNS1_11target_archE910ELNS1_3gpuE8ELNS1_3repE0EEENS1_30default_config_static_selectorELNS0_4arch9wavefront6targetE1EEEvT1_,"axG",@progbits,_ZN7rocprim17ROCPRIM_400000_NS6detail17trampoline_kernelINS0_14default_configENS1_29reduce_by_key_config_selectorIN3c108BFloat16ElN6thrust23THRUST_200600_302600_NS4plusIlEEEEZZNS1_33reduce_by_key_impl_wrapped_configILNS1_25lookback_scan_determinismE0ES3_SB_PS6_NS8_17constant_iteratorIiNS8_11use_defaultESG_EENS8_10device_ptrIS6_EENSI_IlEEPmSA_NS8_8equal_toIS6_EEEE10hipError_tPvRmT2_T3_mT4_T5_T6_T7_T8_P12ihipStream_tbENKUlT_T0_E_clISt17integral_constantIbLb1EES15_EEDaS10_S11_EUlS10_E_NS1_11comp_targetILNS1_3genE4ELNS1_11target_archE910ELNS1_3gpuE8ELNS1_3repE0EEENS1_30default_config_static_selectorELNS0_4arch9wavefront6targetE1EEEvT1_,comdat
	.protected	_ZN7rocprim17ROCPRIM_400000_NS6detail17trampoline_kernelINS0_14default_configENS1_29reduce_by_key_config_selectorIN3c108BFloat16ElN6thrust23THRUST_200600_302600_NS4plusIlEEEEZZNS1_33reduce_by_key_impl_wrapped_configILNS1_25lookback_scan_determinismE0ES3_SB_PS6_NS8_17constant_iteratorIiNS8_11use_defaultESG_EENS8_10device_ptrIS6_EENSI_IlEEPmSA_NS8_8equal_toIS6_EEEE10hipError_tPvRmT2_T3_mT4_T5_T6_T7_T8_P12ihipStream_tbENKUlT_T0_E_clISt17integral_constantIbLb1EES15_EEDaS10_S11_EUlS10_E_NS1_11comp_targetILNS1_3genE4ELNS1_11target_archE910ELNS1_3gpuE8ELNS1_3repE0EEENS1_30default_config_static_selectorELNS0_4arch9wavefront6targetE1EEEvT1_ ; -- Begin function _ZN7rocprim17ROCPRIM_400000_NS6detail17trampoline_kernelINS0_14default_configENS1_29reduce_by_key_config_selectorIN3c108BFloat16ElN6thrust23THRUST_200600_302600_NS4plusIlEEEEZZNS1_33reduce_by_key_impl_wrapped_configILNS1_25lookback_scan_determinismE0ES3_SB_PS6_NS8_17constant_iteratorIiNS8_11use_defaultESG_EENS8_10device_ptrIS6_EENSI_IlEEPmSA_NS8_8equal_toIS6_EEEE10hipError_tPvRmT2_T3_mT4_T5_T6_T7_T8_P12ihipStream_tbENKUlT_T0_E_clISt17integral_constantIbLb1EES15_EEDaS10_S11_EUlS10_E_NS1_11comp_targetILNS1_3genE4ELNS1_11target_archE910ELNS1_3gpuE8ELNS1_3repE0EEENS1_30default_config_static_selectorELNS0_4arch9wavefront6targetE1EEEvT1_
	.globl	_ZN7rocprim17ROCPRIM_400000_NS6detail17trampoline_kernelINS0_14default_configENS1_29reduce_by_key_config_selectorIN3c108BFloat16ElN6thrust23THRUST_200600_302600_NS4plusIlEEEEZZNS1_33reduce_by_key_impl_wrapped_configILNS1_25lookback_scan_determinismE0ES3_SB_PS6_NS8_17constant_iteratorIiNS8_11use_defaultESG_EENS8_10device_ptrIS6_EENSI_IlEEPmSA_NS8_8equal_toIS6_EEEE10hipError_tPvRmT2_T3_mT4_T5_T6_T7_T8_P12ihipStream_tbENKUlT_T0_E_clISt17integral_constantIbLb1EES15_EEDaS10_S11_EUlS10_E_NS1_11comp_targetILNS1_3genE4ELNS1_11target_archE910ELNS1_3gpuE8ELNS1_3repE0EEENS1_30default_config_static_selectorELNS0_4arch9wavefront6targetE1EEEvT1_
	.p2align	8
	.type	_ZN7rocprim17ROCPRIM_400000_NS6detail17trampoline_kernelINS0_14default_configENS1_29reduce_by_key_config_selectorIN3c108BFloat16ElN6thrust23THRUST_200600_302600_NS4plusIlEEEEZZNS1_33reduce_by_key_impl_wrapped_configILNS1_25lookback_scan_determinismE0ES3_SB_PS6_NS8_17constant_iteratorIiNS8_11use_defaultESG_EENS8_10device_ptrIS6_EENSI_IlEEPmSA_NS8_8equal_toIS6_EEEE10hipError_tPvRmT2_T3_mT4_T5_T6_T7_T8_P12ihipStream_tbENKUlT_T0_E_clISt17integral_constantIbLb1EES15_EEDaS10_S11_EUlS10_E_NS1_11comp_targetILNS1_3genE4ELNS1_11target_archE910ELNS1_3gpuE8ELNS1_3repE0EEENS1_30default_config_static_selectorELNS0_4arch9wavefront6targetE1EEEvT1_,@function
_ZN7rocprim17ROCPRIM_400000_NS6detail17trampoline_kernelINS0_14default_configENS1_29reduce_by_key_config_selectorIN3c108BFloat16ElN6thrust23THRUST_200600_302600_NS4plusIlEEEEZZNS1_33reduce_by_key_impl_wrapped_configILNS1_25lookback_scan_determinismE0ES3_SB_PS6_NS8_17constant_iteratorIiNS8_11use_defaultESG_EENS8_10device_ptrIS6_EENSI_IlEEPmSA_NS8_8equal_toIS6_EEEE10hipError_tPvRmT2_T3_mT4_T5_T6_T7_T8_P12ihipStream_tbENKUlT_T0_E_clISt17integral_constantIbLb1EES15_EEDaS10_S11_EUlS10_E_NS1_11comp_targetILNS1_3genE4ELNS1_11target_archE910ELNS1_3gpuE8ELNS1_3repE0EEENS1_30default_config_static_selectorELNS0_4arch9wavefront6targetE1EEEvT1_: ; @_ZN7rocprim17ROCPRIM_400000_NS6detail17trampoline_kernelINS0_14default_configENS1_29reduce_by_key_config_selectorIN3c108BFloat16ElN6thrust23THRUST_200600_302600_NS4plusIlEEEEZZNS1_33reduce_by_key_impl_wrapped_configILNS1_25lookback_scan_determinismE0ES3_SB_PS6_NS8_17constant_iteratorIiNS8_11use_defaultESG_EENS8_10device_ptrIS6_EENSI_IlEEPmSA_NS8_8equal_toIS6_EEEE10hipError_tPvRmT2_T3_mT4_T5_T6_T7_T8_P12ihipStream_tbENKUlT_T0_E_clISt17integral_constantIbLb1EES15_EEDaS10_S11_EUlS10_E_NS1_11comp_targetILNS1_3genE4ELNS1_11target_archE910ELNS1_3gpuE8ELNS1_3repE0EEENS1_30default_config_static_selectorELNS0_4arch9wavefront6targetE1EEEvT1_
; %bb.0:
	s_load_dwordx4 s[56:59], s[4:5], 0x20
	s_load_dwordx2 s[60:61], s[4:5], 0x30
	s_load_dwordx2 s[62:63], s[4:5], 0x80
	v_cmp_ne_u32_e64 s[2:3], 0, v0
	v_cmp_eq_u32_e64 s[0:1], 0, v0
	s_and_saveexec_b64 s[6:7], s[0:1]
	s_cbranch_execz .LBB2064_4
; %bb.1:
	s_mov_b64 s[10:11], exec
	v_mbcnt_lo_u32_b32 v1, s10, 0
	v_mbcnt_hi_u32_b32 v1, s11, v1
	v_cmp_eq_u32_e32 vcc, 0, v1
                                        ; implicit-def: $vgpr2
	s_and_saveexec_b64 s[8:9], vcc
	s_cbranch_execz .LBB2064_3
; %bb.2:
	s_load_dwordx2 s[12:13], s[4:5], 0x88
	s_bcnt1_i32_b64 s10, s[10:11]
	v_mov_b32_e32 v2, 0
	v_mov_b32_e32 v3, s10
	s_waitcnt lgkmcnt(0)
	global_atomic_add v2, v2, v3, s[12:13] glc
.LBB2064_3:
	s_or_b64 exec, exec, s[8:9]
	s_waitcnt vmcnt(0)
	v_readfirstlane_b32 s8, v2
	v_add_u32_e32 v1, s8, v1
	v_mov_b32_e32 v2, 0
	ds_write_b32 v2, v1
.LBB2064_4:
	s_or_b64 exec, exec, s[6:7]
	s_load_dwordx4 s[8:11], s[4:5], 0x0
	s_load_dword s12, s[4:5], 0x18
	s_load_dwordx16 s[40:55], s[4:5], 0x40
	v_mov_b32_e32 v3, 0
	s_waitcnt lgkmcnt(0)
	s_barrier
	ds_read_b32 v1, v3
	s_mul_i32 s4, s48, s47
	s_mul_hi_u32 s5, s48, s46
	s_add_i32 s4, s5, s4
	s_mul_i32 s5, s49, s46
	s_add_i32 s6, s4, s5
	s_lshl_b64 s[4:5], s[10:11], 1
	s_add_u32 s4, s8, s4
	s_movk_i32 s8, 0xf00
	s_waitcnt lgkmcnt(0)
	v_mul_lo_u32 v2, v1, s8
	s_mul_i32 s7, s48, s46
	s_addc_u32 s5, s9, s5
	v_readfirstlane_b32 s64, v1
	v_lshlrev_b64 v[2:3], 1, v[2:3]
	v_add_co_u32_e32 v40, vcc, s4, v2
	s_add_u32 s4, s7, s64
	v_mov_b32_e32 v1, s5
	s_addc_u32 s5, s6, 0
	s_add_u32 s10, s50, -1
	s_addc_u32 s11, s51, -1
	s_cmp_eq_u64 s[4:5], s[10:11]
	v_addc_co_u32_e32 v41, vcc, v1, v3, vcc
	s_cselect_b64 s[48:49], -1, 0
	s_cmp_lg_u64 s[4:5], s[10:11]
	s_mov_b64 s[8:9], -1
	s_cselect_b64 s[6:7], -1, 0
	s_mul_i32 s33, s10, 0xfffff100
	s_and_b64 vcc, exec, s[48:49]
	s_barrier
	s_cbranch_vccnz .LBB2064_6
; %bb.5:
	v_lshlrev_b32_e32 v1, 1, v0
	v_add_co_u32_e32 v2, vcc, v40, v1
	v_addc_co_u32_e32 v3, vcc, 0, v41, vcc
	v_add_co_u32_e32 v2, vcc, 0x1000, v2
	v_readfirstlane_b32 s8, v40
	v_readfirstlane_b32 s9, v41
	v_addc_co_u32_e32 v3, vcc, 0, v3, vcc
	s_nop 3
	global_load_ushort v6, v1, s[8:9]
	global_load_ushort v7, v1, s[8:9] offset:512
	global_load_ushort v8, v1, s[8:9] offset:1024
	;; [unrolled: 1-line block ×7, first 2 shown]
	global_load_ushort v17, v[2:3], off
	global_load_ushort v18, v[2:3], off offset:512
	global_load_ushort v19, v[2:3], off offset:1024
	;; [unrolled: 1-line block ×6, first 2 shown]
	v_mad_u32_u24 v28, v0, 28, v1
	s_ashr_i32 s13, s12, 31
	s_movk_i32 s8, 0xffea
	v_mul_u32_u24_e32 v2, 15, v0
	v_mad_u32_u24 v10, v0, 15, 2
	v_mad_u32_u24 v5, v0, 15, 4
	;; [unrolled: 1-line block ×7, first 2 shown]
	v_pk_mov_b32 v[12:13], s[12:13], s[12:13] op_sel:[0,1]
	v_mad_i32_i24 v29, v0, s8, v28
	s_waitcnt vmcnt(14)
	ds_write_b16 v1, v6
	s_waitcnt vmcnt(13)
	ds_write_b16 v1, v7 offset:512
	s_waitcnt vmcnt(12)
	ds_write_b16 v1, v8 offset:1024
	;; [unrolled: 2-line block ×14, first 2 shown]
	s_waitcnt lgkmcnt(0)
	s_barrier
	ds_read_b128 v[6:9], v28
	ds_read_b96 v[22:24], v28 offset:16
	ds_read_u16 v1, v28 offset:28
	s_waitcnt lgkmcnt(0)
	s_barrier
	ds_write2st64_b64 v29, v[12:13], v[12:13] offset1:4
	ds_write2st64_b64 v29, v[12:13], v[12:13] offset0:8 offset1:12
	ds_write2st64_b64 v29, v[12:13], v[12:13] offset0:16 offset1:20
	;; [unrolled: 1-line block ×6, first 2 shown]
	ds_write_b64 v29, v[12:13] offset:28672
	s_waitcnt lgkmcnt(0)
	s_barrier
	s_add_i32 s33, s33, s52
	s_cbranch_execz .LBB2064_7
	s_branch .LBB2064_38
.LBB2064_6:
                                        ; implicit-def: $vgpr24
                                        ; implicit-def: $vgpr9
                                        ; implicit-def: $vgpr25
                                        ; implicit-def: $vgpr26
                                        ; implicit-def: $vgpr27
                                        ; implicit-def: $vgpr3
                                        ; implicit-def: $vgpr4
                                        ; implicit-def: $vgpr5
                                        ; implicit-def: $vgpr10
                                        ; implicit-def: $vgpr2
                                        ; implicit-def: $vgpr1
	s_andn2_b64 vcc, exec, s[8:9]
	s_add_i32 s33, s33, s52
	s_cbranch_vccnz .LBB2064_38
.LBB2064_7:
	v_cmp_gt_u32_e32 vcc, s33, v0
                                        ; implicit-def: $vgpr1
	s_and_saveexec_b64 s[8:9], vcc
	s_cbranch_execz .LBB2064_9
; %bb.8:
	v_lshlrev_b32_e32 v1, 1, v0
	v_readfirstlane_b32 s10, v40
	v_readfirstlane_b32 s11, v41
	s_nop 4
	global_load_ushort v1, v1, s[10:11]
.LBB2064_9:
	s_or_b64 exec, exec, s[8:9]
	v_or_b32_e32 v2, 0x100, v0
	v_cmp_gt_u32_e32 vcc, s33, v2
                                        ; implicit-def: $vgpr2
	s_and_saveexec_b64 s[8:9], vcc
	s_cbranch_execz .LBB2064_11
; %bb.10:
	v_lshlrev_b32_e32 v2, 1, v0
	v_readfirstlane_b32 s10, v40
	v_readfirstlane_b32 s11, v41
	s_nop 4
	global_load_ushort v2, v2, s[10:11] offset:512
.LBB2064_11:
	s_or_b64 exec, exec, s[8:9]
	v_or_b32_e32 v3, 0x200, v0
	v_cmp_gt_u32_e32 vcc, s33, v3
                                        ; implicit-def: $vgpr3
	s_and_saveexec_b64 s[8:9], vcc
	s_cbranch_execz .LBB2064_13
; %bb.12:
	v_lshlrev_b32_e32 v3, 1, v0
	v_readfirstlane_b32 s10, v40
	v_readfirstlane_b32 s11, v41
	s_nop 4
	global_load_ushort v3, v3, s[10:11] offset:1024
.LBB2064_13:
	s_or_b64 exec, exec, s[8:9]
	v_or_b32_e32 v4, 0x300, v0
	v_cmp_gt_u32_e32 vcc, s33, v4
                                        ; implicit-def: $vgpr4
	s_and_saveexec_b64 s[8:9], vcc
	s_cbranch_execz .LBB2064_15
; %bb.14:
	v_lshlrev_b32_e32 v4, 1, v0
	v_readfirstlane_b32 s10, v40
	v_readfirstlane_b32 s11, v41
	s_nop 4
	global_load_ushort v4, v4, s[10:11] offset:1536
.LBB2064_15:
	s_or_b64 exec, exec, s[8:9]
	v_or_b32_e32 v5, 0x400, v0
	v_cmp_gt_u32_e32 vcc, s33, v5
                                        ; implicit-def: $vgpr5
	s_and_saveexec_b64 s[8:9], vcc
	s_cbranch_execz .LBB2064_17
; %bb.16:
	v_lshlrev_b32_e32 v5, 1, v0
	v_readfirstlane_b32 s10, v40
	v_readfirstlane_b32 s11, v41
	s_nop 4
	global_load_ushort v5, v5, s[10:11] offset:2048
.LBB2064_17:
	s_or_b64 exec, exec, s[8:9]
	v_or_b32_e32 v6, 0x500, v0
	v_cmp_gt_u32_e32 vcc, s33, v6
                                        ; implicit-def: $vgpr6
	s_and_saveexec_b64 s[8:9], vcc
	s_cbranch_execz .LBB2064_19
; %bb.18:
	v_lshlrev_b32_e32 v6, 1, v0
	v_readfirstlane_b32 s10, v40
	v_readfirstlane_b32 s11, v41
	s_nop 4
	global_load_ushort v6, v6, s[10:11] offset:2560
.LBB2064_19:
	s_or_b64 exec, exec, s[8:9]
	v_or_b32_e32 v7, 0x600, v0
	v_cmp_gt_u32_e32 vcc, s33, v7
                                        ; implicit-def: $vgpr7
	s_and_saveexec_b64 s[8:9], vcc
	s_cbranch_execz .LBB2064_21
; %bb.20:
	v_lshlrev_b32_e32 v7, 1, v0
	v_readfirstlane_b32 s10, v40
	v_readfirstlane_b32 s11, v41
	s_nop 4
	global_load_ushort v7, v7, s[10:11] offset:3072
.LBB2064_21:
	s_or_b64 exec, exec, s[8:9]
	v_or_b32_e32 v8, 0x700, v0
	v_cmp_gt_u32_e32 vcc, s33, v8
                                        ; implicit-def: $vgpr8
	s_and_saveexec_b64 s[8:9], vcc
	s_cbranch_execz .LBB2064_23
; %bb.22:
	v_lshlrev_b32_e32 v8, 1, v0
	v_readfirstlane_b32 s10, v40
	v_readfirstlane_b32 s11, v41
	s_nop 4
	global_load_ushort v8, v8, s[10:11] offset:3584
.LBB2064_23:
	s_or_b64 exec, exec, s[8:9]
	v_or_b32_e32 v10, 0x800, v0
	v_cmp_gt_u32_e32 vcc, s33, v10
                                        ; implicit-def: $vgpr9
	s_and_saveexec_b64 s[8:9], vcc
	s_cbranch_execz .LBB2064_25
; %bb.24:
	v_lshlrev_b32_e32 v9, 1, v10
	v_readfirstlane_b32 s10, v40
	v_readfirstlane_b32 s11, v41
	s_nop 4
	global_load_ushort v9, v9, s[10:11]
.LBB2064_25:
	s_or_b64 exec, exec, s[8:9]
	v_or_b32_e32 v11, 0x900, v0
	v_cmp_gt_u32_e32 vcc, s33, v11
                                        ; implicit-def: $vgpr10
	s_and_saveexec_b64 s[8:9], vcc
	s_cbranch_execz .LBB2064_27
; %bb.26:
	v_lshlrev_b32_e32 v10, 1, v11
	v_readfirstlane_b32 s10, v40
	v_readfirstlane_b32 s11, v41
	s_nop 4
	global_load_ushort v10, v10, s[10:11]
.LBB2064_27:
	s_or_b64 exec, exec, s[8:9]
	v_or_b32_e32 v12, 0xa00, v0
	v_cmp_gt_u32_e32 vcc, s33, v12
                                        ; implicit-def: $vgpr11
	s_and_saveexec_b64 s[8:9], vcc
	s_cbranch_execz .LBB2064_29
; %bb.28:
	v_lshlrev_b32_e32 v11, 1, v12
	v_readfirstlane_b32 s10, v40
	v_readfirstlane_b32 s11, v41
	s_nop 4
	global_load_ushort v11, v11, s[10:11]
.LBB2064_29:
	s_or_b64 exec, exec, s[8:9]
	v_or_b32_e32 v13, 0xb00, v0
	v_cmp_gt_u32_e32 vcc, s33, v13
                                        ; implicit-def: $vgpr12
	s_and_saveexec_b64 s[8:9], vcc
	s_cbranch_execz .LBB2064_31
; %bb.30:
	v_lshlrev_b32_e32 v12, 1, v13
	v_readfirstlane_b32 s10, v40
	v_readfirstlane_b32 s11, v41
	s_nop 4
	global_load_ushort v12, v12, s[10:11]
.LBB2064_31:
	s_or_b64 exec, exec, s[8:9]
	v_or_b32_e32 v14, 0xc00, v0
	v_cmp_gt_u32_e32 vcc, s33, v14
                                        ; implicit-def: $vgpr13
	s_and_saveexec_b64 s[8:9], vcc
	s_cbranch_execz .LBB2064_33
; %bb.32:
	v_lshlrev_b32_e32 v13, 1, v14
	v_readfirstlane_b32 s10, v40
	v_readfirstlane_b32 s11, v41
	s_nop 4
	global_load_ushort v13, v13, s[10:11]
.LBB2064_33:
	s_or_b64 exec, exec, s[8:9]
	v_or_b32_e32 v15, 0xd00, v0
	v_cmp_gt_u32_e32 vcc, s33, v15
                                        ; implicit-def: $vgpr14
	s_and_saveexec_b64 s[8:9], vcc
	s_cbranch_execz .LBB2064_35
; %bb.34:
	v_lshlrev_b32_e32 v14, 1, v15
	v_readfirstlane_b32 s10, v40
	v_readfirstlane_b32 s11, v41
	s_nop 4
	global_load_ushort v14, v14, s[10:11]
.LBB2064_35:
	s_or_b64 exec, exec, s[8:9]
	v_or_b32_e32 v16, 0xe00, v0
	v_cmp_gt_u32_e32 vcc, s33, v16
                                        ; implicit-def: $vgpr15
	s_and_saveexec_b64 s[8:9], vcc
	s_cbranch_execz .LBB2064_37
; %bb.36:
	v_lshlrev_b32_e32 v15, 1, v16
	v_readfirstlane_b32 s10, v40
	v_readfirstlane_b32 s11, v41
	s_nop 4
	global_load_ushort v15, v15, s[10:11]
.LBB2064_37:
	s_or_b64 exec, exec, s[8:9]
	v_lshlrev_b32_e32 v16, 1, v0
	s_waitcnt vmcnt(0)
	ds_write_b16 v16, v1
	ds_write_b16 v16, v2 offset:512
	ds_write_b16 v16, v3 offset:1024
	;; [unrolled: 1-line block ×14, first 2 shown]
	v_mad_u32_u24 v11, v0, 28, v16
	s_waitcnt lgkmcnt(0)
	s_barrier
	ds_read_b128 v[6:9], v11
	ds_read_b96 v[22:24], v11 offset:16
	ds_read_u16 v1, v11 offset:28
	s_ashr_i32 s13, s12, 31
	s_movk_i32 s8, 0xffea
	v_mul_u32_u24_e32 v2, 15, v0
	v_mad_u32_u24 v10, v0, 15, 2
	v_mad_u32_u24 v5, v0, 15, 4
	v_mad_u32_u24 v4, v0, 15, 6
	v_mad_u32_u24 v3, v0, 15, 8
	v_mad_u32_u24 v27, v0, 15, 10
	v_mad_u32_u24 v26, v0, 15, 12
	v_mad_u32_u24 v25, v0, 15, 14
	v_mad_i32_i24 v11, v0, s8, v11
	v_pk_mov_b32 v[12:13], s[12:13], s[12:13] op_sel:[0,1]
	s_waitcnt lgkmcnt(0)
	s_barrier
	ds_write2st64_b64 v11, v[12:13], v[12:13] offset1:4
	ds_write2st64_b64 v11, v[12:13], v[12:13] offset0:8 offset1:12
	ds_write2st64_b64 v11, v[12:13], v[12:13] offset0:16 offset1:20
	;; [unrolled: 1-line block ×6, first 2 shown]
	ds_write_b64 v11, v[12:13] offset:28672
	s_waitcnt lgkmcnt(0)
	s_barrier
.LBB2064_38:
	v_lshlrev_b32_e32 v2, 3, v2
	v_lshlrev_b32_e32 v10, 3, v10
	;; [unrolled: 1-line block ×5, first 2 shown]
	ds_read2_b64 v[18:21], v2 offset1:1
	ds_read_b64 v[34:35], v10
	ds_read2_b64 v[14:17], v2 offset0:3 offset1:5
	ds_read2_b64 v[10:13], v2 offset0:7 offset1:9
	v_lshlrev_b32_e32 v27, 3, v27
	ds_read_b64 v[36:37], v5
	ds_read_b64 v[32:33], v4
	;; [unrolled: 1-line block ×4, first 2 shown]
	ds_read2_b64 v[2:5], v2 offset0:11 offset1:13
	v_lshlrev_b32_e32 v26, 3, v26
	v_lshlrev_b32_e32 v25, 3, v25
	ds_read_b64 v[26:27], v26
	ds_read_b64 v[38:39], v25
	s_cmp_eq_u64 s[4:5], 0
	s_cselect_b64 s[50:51], -1, 0
	s_cmp_lg_u64 s[4:5], 0
	s_mov_b64 s[8:9], 0
	s_cselect_b64 s[10:11], -1, 0
	s_and_b64 vcc, exec, s[6:7]
	s_waitcnt lgkmcnt(0)
	s_barrier
	s_cbranch_vccz .LBB2064_44
; %bb.39:
	s_and_b64 vcc, exec, s[10:11]
	s_cbranch_vccz .LBB2064_45
; %bb.40:
	global_load_ushort v42, v[40:41], off offset:-2
	v_lshlrev_b32_e32 v25, 1, v0
	ds_write_b16 v25, v1
	s_waitcnt lgkmcnt(0)
	s_barrier
	s_and_saveexec_b64 s[6:7], s[2:3]
	s_cbranch_execz .LBB2064_42
; %bb.41:
	v_add_u32_e32 v25, -2, v25
	s_waitcnt vmcnt(0)
	ds_read_u16 v42, v25
.LBB2064_42:
	s_or_b64 exec, exec, s[6:7]
	v_and_b32_e32 v54, 0xffff0000, v6
	v_lshlrev_b32_e32 v55, 16, v6
	v_lshlrev_b32_e32 v56, 16, v7
	v_cmp_neq_f32_e32 vcc, v54, v55
	v_and_b32_e32 v53, 0xffff0000, v7
	v_cndmask_b32_e64 v89, 0, 1, vcc
	v_cmp_neq_f32_e32 vcc, v54, v56
	v_lshlrev_b32_e32 v51, 16, v8
	v_cndmask_b32_e64 v90, 0, 1, vcc
	v_cmp_neq_f32_e32 vcc, v56, v53
	v_and_b32_e32 v50, 0xffff0000, v8
	v_cndmask_b32_e64 v88, 0, 1, vcc
	v_cmp_neq_f32_e32 vcc, v51, v53
	v_lshlrev_b32_e32 v52, 16, v9
	v_cndmask_b32_e64 v85, 0, 1, vcc
	;; [unrolled: 6-line block ×6, first 2 shown]
	v_cmp_neq_f32_e32 vcc, v43, v44
	v_cndmask_b32_e64 v80, 0, 1, vcc
	v_cmp_neq_f32_e32 vcc, v43, v45
	s_waitcnt vmcnt(0) lgkmcnt(0)
	v_lshlrev_b32_e32 v42, 16, v42
	v_cndmask_b32_e64 v81, 0, 1, vcc
	v_cmp_neq_f32_e64 s[6:7], v55, v42
	s_mov_b64 s[8:9], -1
.LBB2064_43:
                                        ; implicit-def: $sgpr14
	s_branch .LBB2064_57
.LBB2064_44:
                                        ; implicit-def: $sgpr6_sgpr7
                                        ; implicit-def: $vgpr81
                                        ; implicit-def: $vgpr80
                                        ; implicit-def: $vgpr25
                                        ; implicit-def: $vgpr83
                                        ; implicit-def: $vgpr84
                                        ; implicit-def: $vgpr78
                                        ; implicit-def: $vgpr79
                                        ; implicit-def: $vgpr86
                                        ; implicit-def: $vgpr87
                                        ; implicit-def: $vgpr82
                                        ; implicit-def: $vgpr85
                                        ; implicit-def: $vgpr88
                                        ; implicit-def: $vgpr90
                                        ; implicit-def: $vgpr89
                                        ; implicit-def: $sgpr14
	s_cbranch_execnz .LBB2064_49
	s_branch .LBB2064_57
.LBB2064_45:
                                        ; implicit-def: $sgpr6_sgpr7
                                        ; implicit-def: $vgpr81
                                        ; implicit-def: $vgpr80
                                        ; implicit-def: $vgpr25
                                        ; implicit-def: $vgpr83
                                        ; implicit-def: $vgpr84
                                        ; implicit-def: $vgpr78
                                        ; implicit-def: $vgpr79
                                        ; implicit-def: $vgpr86
                                        ; implicit-def: $vgpr87
                                        ; implicit-def: $vgpr82
                                        ; implicit-def: $vgpr85
                                        ; implicit-def: $vgpr88
                                        ; implicit-def: $vgpr90
                                        ; implicit-def: $vgpr89
	s_cbranch_execz .LBB2064_43
; %bb.46:
	v_and_b32_e32 v55, 0xffff0000, v6
	v_lshlrev_b32_e32 v43, 16, v6
	v_lshlrev_b32_e32 v56, 16, v7
	v_cmp_neq_f32_e32 vcc, v55, v43
	v_and_b32_e32 v54, 0xffff0000, v7
	v_cndmask_b32_e64 v89, 0, 1, vcc
	v_cmp_neq_f32_e32 vcc, v55, v56
	v_lshlrev_b32_e32 v52, 16, v8
	v_cndmask_b32_e64 v90, 0, 1, vcc
	v_cmp_neq_f32_e32 vcc, v56, v54
	v_and_b32_e32 v51, 0xffff0000, v8
	v_cndmask_b32_e64 v88, 0, 1, vcc
	v_cmp_neq_f32_e32 vcc, v52, v54
	v_lshlrev_b32_e32 v53, 16, v9
	v_cndmask_b32_e64 v85, 0, 1, vcc
	;; [unrolled: 6-line block ×6, first 2 shown]
	v_cmp_neq_f32_e32 vcc, v44, v45
	v_cndmask_b32_e64 v80, 0, 1, vcc
	v_cmp_neq_f32_e32 vcc, v44, v46
	s_mov_b32 s14, 1
	v_lshlrev_b32_e32 v42, 1, v0
	v_cndmask_b32_e64 v81, 0, 1, vcc
	ds_write_b16 v42, v1
	s_waitcnt lgkmcnt(0)
	s_barrier
	s_waitcnt lgkmcnt(0)
                                        ; implicit-def: $sgpr6_sgpr7
	s_and_saveexec_b64 s[12:13], s[2:3]
	s_xor_b64 s[12:13], exec, s[12:13]
	s_cbranch_execz .LBB2064_48
; %bb.47:
	v_add_u32_e32 v42, -2, v42
	ds_read_u16 v42, v42
	s_or_b64 s[8:9], s[8:9], exec
	s_waitcnt lgkmcnt(0)
	v_lshlrev_b32_e32 v42, 16, v42
	v_cmp_neq_f32_e32 vcc, v43, v42
	s_and_b64 s[6:7], vcc, exec
.LBB2064_48:
	s_or_b64 exec, exec, s[12:13]
	s_branch .LBB2064_57
.LBB2064_49:
	s_mul_hi_u32 s6, s4, 0xfffff100
	s_mulk_i32 s5, 0xf100
	s_sub_i32 s6, s6, s4
	s_add_i32 s6, s6, s5
	s_mulk_i32 s4, 0xf100
	s_add_u32 s52, s4, s52
	s_addc_u32 s53, s6, s53
	s_and_b64 vcc, exec, s[10:11]
	s_cbranch_vccz .LBB2064_54
; %bb.50:
	global_load_ushort v42, v[40:41], off offset:-2
	v_lshlrev_b32_e32 v25, 1, v0
	v_mul_u32_u24_e32 v40, 15, v0
	ds_write_b16 v25, v1
	s_waitcnt lgkmcnt(0)
	s_barrier
	s_and_saveexec_b64 s[4:5], s[2:3]
	s_cbranch_execz .LBB2064_52
; %bb.51:
	v_add_u32_e32 v25, -2, v25
	s_waitcnt vmcnt(0)
	ds_read_u16 v42, v25
.LBB2064_52:
	s_or_b64 exec, exec, s[4:5]
	s_mov_b32 s4, 0xe000d
	v_pk_add_u16 v41, v40, s4 op_sel_hi:[0,1]
	v_and_b32_e32 v46, 0xffff, v41
	v_mov_b32_e32 v47, 0
	v_cmp_gt_u64_e32 vcc, s[52:53], v[46:47]
	v_lshlrev_b32_e32 v43, 16, v24
	v_add_u32_e32 v46, 12, v40
	v_and_b32_e32 v49, 0xffff0000, v23
	v_cmp_gt_u64_e64 s[10:11], s[52:53], v[46:47]
	v_cmp_neq_f32_e64 s[12:13], v49, v43
	v_and_b32_e32 v25, 0xffff0000, v24
	v_alignbit_b32 v44, 0, v41, 16
	v_lshlrev_b32_e32 v41, 16, v1
	s_and_b64 s[10:11], s[10:11], s[12:13]
	v_cmp_neq_f32_e64 s[8:9], v25, v43
	v_cmp_neq_f32_e64 s[6:7], v25, v41
	v_cndmask_b32_e64 v25, 0, 1, s[10:11]
	s_mov_b32 s10, 0xb000a
	v_pk_add_u16 v43, v40, s10 op_sel_hi:[0,1]
	v_lshlrev_b32_e32 v41, 16, v23
	v_and_b32_e32 v48, 0xffff0000, v22
	v_and_b32_e32 v46, 0xffff, v43
	v_cmp_gt_u64_e64 s[10:11], s[52:53], v[46:47]
	v_cmp_neq_f32_e64 s[14:15], v41, v48
	v_cmp_neq_f32_e64 s[16:17], v41, v49
	v_add_u32_e32 v46, 9, v40
	v_lshlrev_b32_e32 v41, 16, v22
	v_cmp_gt_u64_e64 s[18:19], s[52:53], v[46:47]
	v_cmp_neq_f32_e64 s[20:21], v48, v41
	s_and_b64 s[18:19], s[18:19], s[20:21]
	v_add_u32_e32 v46, 8, v40
	v_and_b32_e32 v49, 0xffff0000, v9
	v_cndmask_b32_e64 v78, 0, 1, s[18:19]
	v_cmp_gt_u64_e64 s[18:19], s[52:53], v[46:47]
	v_cmp_neq_f32_e64 s[20:21], v49, v41
	s_and_b64 s[18:19], s[18:19], s[20:21]
	v_cndmask_b32_e64 v79, 0, 1, s[18:19]
	s_mov_b32 s18, 0x70006
	v_mov_b32_e32 v45, v47
	v_pk_add_u16 v41, v40, s18 op_sel_hi:[0,1]
	v_cmp_gt_u64_e64 s[4:5], s[52:53], v[44:45]
	v_alignbit_b32 v44, 0, v43, 16
	v_and_b32_e32 v46, 0xffff, v41
	v_cmp_gt_u64_e64 s[12:13], s[52:53], v[44:45]
	v_and_b32_e32 v48, 0xffff0000, v8
	v_alignbit_b32 v44, 0, v41, 16
	v_cmp_gt_u64_e64 s[18:19], s[52:53], v[46:47]
	v_add_u32_e32 v46, 5, v40
	v_lshlrev_b32_e32 v41, 16, v8
	v_lshlrev_b32_e32 v43, 16, v9
	v_cmp_gt_u64_e64 s[26:27], s[52:53], v[46:47]
	v_cmp_neq_f32_e64 s[28:29], v48, v41
	v_cmp_neq_f32_e64 s[24:25], v43, v49
	s_and_b64 s[26:27], s[26:27], s[28:29]
	v_add_u32_e32 v46, 4, v40
	v_and_b32_e32 v49, 0xffff0000, v7
	v_cndmask_b32_e64 v82, 0, 1, s[26:27]
	v_cmp_gt_u64_e64 s[26:27], s[52:53], v[46:47]
	v_cmp_neq_f32_e64 s[28:29], v49, v41
	s_and_b64 s[26:27], s[26:27], s[28:29]
	v_cndmask_b32_e64 v85, 0, 1, s[26:27]
	s_mov_b32 s26, 0x30002
	v_pk_add_u16 v41, v40, s26 op_sel_hi:[0,1]
	v_cmp_neq_f32_e64 s[22:23], v43, v48
	v_lshlrev_b32_e32 v43, 16, v7
	v_and_b32_e32 v48, 0xffff0000, v6
	v_and_b32_e32 v46, 0xffff, v41
	v_cmp_gt_u64_e64 s[20:21], s[52:53], v[44:45]
	v_alignbit_b32 v44, 0, v41, 16
	v_cmp_gt_u64_e64 s[26:27], s[52:53], v[46:47]
	v_cmp_neq_f32_e64 s[30:31], v43, v48
	v_cmp_neq_f32_e64 s[34:35], v43, v49
	v_add_u32_e32 v46, 1, v40
	v_lshlrev_b32_e32 v43, 16, v6
	v_mov_b32_e32 v41, v47
	v_cmp_gt_u64_e64 s[28:29], s[52:53], v[44:45]
	v_cmp_gt_u64_e64 s[36:37], s[52:53], v[46:47]
	v_cmp_neq_f32_e64 s[38:39], v48, v43
	s_and_b64 s[26:27], s[26:27], s[30:31]
	s_and_b64 s[18:19], s[18:19], s[22:23]
	s_and_b64 s[10:11], s[10:11], s[14:15]
	s_and_b64 s[8:9], vcc, s[8:9]
	s_and_b64 s[4:5], s[4:5], s[6:7]
	v_cmp_gt_u64_e32 vcc, s[52:53], v[40:41]
	s_waitcnt vmcnt(0) lgkmcnt(0)
	v_lshlrev_b32_e32 v40, 16, v42
	s_and_b64 s[36:37], s[36:37], s[38:39]
	v_cndmask_b32_e64 v90, 0, 1, s[26:27]
	s_and_b64 s[26:27], s[28:29], s[34:35]
	v_cndmask_b32_e64 v87, 0, 1, s[18:19]
	;; [unrolled: 2-line block ×4, first 2 shown]
	v_cmp_neq_f32_e64 s[4:5], v40, v43
	v_cndmask_b32_e64 v89, 0, 1, s[36:37]
	v_cndmask_b32_e64 v88, 0, 1, s[26:27]
	;; [unrolled: 1-line block ×5, first 2 shown]
	s_and_b64 s[6:7], vcc, s[4:5]
	s_mov_b64 s[8:9], -1
.LBB2064_53:
                                        ; implicit-def: $sgpr14
	v_mov_b32_e32 v91, s14
	s_and_saveexec_b64 s[2:3], s[8:9]
	s_cbranch_execnz .LBB2064_58
	s_branch .LBB2064_59
.LBB2064_54:
                                        ; implicit-def: $sgpr6_sgpr7
                                        ; implicit-def: $vgpr81
                                        ; implicit-def: $vgpr80
                                        ; implicit-def: $vgpr25
                                        ; implicit-def: $vgpr83
                                        ; implicit-def: $vgpr84
                                        ; implicit-def: $vgpr78
                                        ; implicit-def: $vgpr79
                                        ; implicit-def: $vgpr86
                                        ; implicit-def: $vgpr87
                                        ; implicit-def: $vgpr82
                                        ; implicit-def: $vgpr85
                                        ; implicit-def: $vgpr88
                                        ; implicit-def: $vgpr90
                                        ; implicit-def: $vgpr89
	s_cbranch_execz .LBB2064_53
; %bb.55:
	v_mad_u32_u24 v40, v0, 15, 14
	v_mov_b32_e32 v41, 0
	v_cmp_gt_u64_e32 vcc, s[52:53], v[40:41]
	v_mad_u32_u24 v40, v0, 15, 13
	v_lshlrev_b32_e32 v25, 16, v1
	v_cmp_gt_u64_e64 s[4:5], s[52:53], v[40:41]
	v_and_b32_e32 v40, 0xffff0000, v24
	v_lshlrev_b32_e32 v43, 16, v24
	v_cmp_neq_f32_e64 s[6:7], v40, v25
	s_and_b64 s[6:7], vcc, s[6:7]
	v_cmp_neq_f32_e32 vcc, v43, v40
	v_mad_u32_u24 v40, v0, 15, 12
	s_and_b64 s[4:5], s[4:5], vcc
	v_cmp_gt_u64_e32 vcc, s[52:53], v[40:41]
	v_mad_u32_u24 v40, v0, 15, 11
	v_cndmask_b32_e64 v80, 0, 1, s[4:5]
	v_cmp_gt_u64_e64 s[4:5], s[52:53], v[40:41]
	v_and_b32_e32 v40, 0xffff0000, v23
	v_cndmask_b32_e64 v81, 0, 1, s[6:7]
	v_lshlrev_b32_e32 v44, 16, v23
	v_cmp_neq_f32_e64 s[6:7], v40, v43
	s_and_b64 s[6:7], vcc, s[6:7]
	v_cmp_neq_f32_e32 vcc, v44, v40
	v_mad_u32_u24 v40, v0, 15, 10
	s_and_b64 s[4:5], s[4:5], vcc
	v_cmp_gt_u64_e32 vcc, s[52:53], v[40:41]
	v_mad_u32_u24 v40, v0, 15, 9
	v_cndmask_b32_e64 v83, 0, 1, s[4:5]
	v_cmp_gt_u64_e64 s[4:5], s[52:53], v[40:41]
	v_and_b32_e32 v40, 0xffff0000, v22
	v_cndmask_b32_e64 v25, 0, 1, s[6:7]
	;; [unrolled: 12-line block ×6, first 2 shown]
	v_lshlrev_b32_e32 v43, 16, v6
	v_cmp_neq_f32_e64 s[6:7], v40, v44
	s_and_b64 s[6:7], vcc, s[6:7]
	v_cmp_neq_f32_e32 vcc, v43, v40
	s_and_b64 s[4:5], s[4:5], vcc
	s_mov_b32 s14, 1
	v_lshlrev_b32_e32 v42, 1, v0
	v_cndmask_b32_e64 v90, 0, 1, s[6:7]
	v_cndmask_b32_e64 v89, 0, 1, s[4:5]
	ds_write_b16 v42, v1
	s_waitcnt lgkmcnt(0)
	s_barrier
	s_waitcnt lgkmcnt(0)
                                        ; implicit-def: $sgpr6_sgpr7
	s_and_saveexec_b64 s[4:5], s[2:3]
	s_cbranch_execz .LBB2064_210
; %bb.56:
	v_add_u32_e32 v40, -2, v42
	ds_read_u16 v42, v40
	v_mul_u32_u24_e32 v40, 15, v0
	v_cmp_gt_u64_e32 vcc, s[52:53], v[40:41]
	s_or_b64 s[8:9], s[8:9], exec
	s_waitcnt lgkmcnt(0)
	v_lshlrev_b32_e32 v40, 16, v42
	v_cmp_neq_f32_e64 s[2:3], v43, v40
	s_and_b64 s[2:3], vcc, s[2:3]
	s_and_b64 s[6:7], s[2:3], exec
	s_or_b64 exec, exec, s[4:5]
.LBB2064_57:
	v_mov_b32_e32 v91, s14
	s_and_saveexec_b64 s[2:3], s[8:9]
.LBB2064_58:
	v_cndmask_b32_e64 v91, 0, 1, s[6:7]
.LBB2064_59:
	s_or_b64 exec, exec, s[2:3]
	s_cmp_eq_u64 s[46:47], 0
	v_add3_u32 v40, v89, v91, v90
	v_mov_b32_e32 v74, v18
	v_mov_b32_e32 v75, v19
	s_cselect_b64 s[30:31], -1, 0
	s_cmp_lg_u32 s64, 0
	v_cmp_eq_u32_e64 s[26:27], 0, v89
	v_cmp_eq_u32_e64 s[24:25], 0, v90
	;; [unrolled: 1-line block ×3, first 2 shown]
	v_add3_u32 v94, v40, v88, v85
	v_cmp_eq_u32_e64 s[20:21], 0, v85
	v_cmp_eq_u32_e64 s[18:19], 0, v82
	;; [unrolled: 1-line block ×10, first 2 shown]
	v_cmp_eq_u32_e32 vcc, 0, v81
	v_mbcnt_lo_u32_b32 v93, -1, 0
	s_cbranch_scc0 .LBB2064_130
; %bb.60:
	v_cndmask_b32_e64 v41, 0, v18, s[26:27]
	v_cndmask_b32_e64 v40, 0, v19, s[26:27]
	v_add_co_u32_e64 v41, s[28:29], v41, v20
	v_addc_co_u32_e64 v40, s[28:29], v40, v21, s[28:29]
	v_cndmask_b32_e64 v41, 0, v41, s[24:25]
	v_cndmask_b32_e64 v40, 0, v40, s[24:25]
	v_add_co_u32_e64 v41, s[28:29], v41, v34
	v_addc_co_u32_e64 v40, s[28:29], v40, v35, s[28:29]
	;; [unrolled: 4-line block ×11, first 2 shown]
	v_cndmask_b32_e64 v41, 0, v41, s[4:5]
	v_add3_u32 v42, v94, v82, v87
	v_cndmask_b32_e64 v40, 0, v40, s[4:5]
	v_add_co_u32_e64 v41, s[28:29], v41, v26
	v_add3_u32 v42, v42, v86, v79
	v_addc_co_u32_e64 v40, s[28:29], v40, v27, s[28:29]
	v_cndmask_b32_e64 v41, 0, v41, s[2:3]
	v_add3_u32 v42, v42, v78, v84
	v_cndmask_b32_e64 v40, 0, v40, s[2:3]
	v_add_co_u32_e64 v41, s[28:29], v41, v4
	v_add3_u32 v42, v42, v83, v25
	v_addc_co_u32_e64 v40, s[28:29], v40, v5, s[28:29]
	v_cndmask_b32_e32 v41, 0, v41, vcc
	v_add3_u32 v44, v42, v80, v81
	v_cndmask_b32_e32 v40, 0, v40, vcc
	v_add_co_u32_e32 v42, vcc, v41, v38
	v_mbcnt_hi_u32_b32 v45, -1, v93
	v_addc_co_u32_e32 v43, vcc, v40, v39, vcc
	v_and_b32_e32 v40, 15, v45
	v_mov_b32_dpp v46, v44 row_shr:1 row_mask:0xf bank_mask:0xf
	v_mov_b32_dpp v41, v42 row_shr:1 row_mask:0xf bank_mask:0xf
	v_mov_b32_dpp v47, v43 row_shr:1 row_mask:0xf bank_mask:0xf
	v_cmp_ne_u32_e32 vcc, 0, v40
	s_and_saveexec_b64 s[28:29], vcc
; %bb.61:
	v_cmp_eq_u32_e32 vcc, 0, v44
	v_cndmask_b32_e32 v41, 0, v41, vcc
	v_add_u32_e32 v46, v46, v44
	v_cndmask_b32_e32 v44, 0, v47, vcc
	v_add_co_u32_e32 v42, vcc, v41, v42
	v_addc_co_u32_e32 v43, vcc, v44, v43, vcc
	v_mov_b32_e32 v44, v46
; %bb.62:
	s_or_b64 exec, exec, s[28:29]
	s_nop 0
	v_mov_b32_dpp v46, v44 row_shr:2 row_mask:0xf bank_mask:0xf
	v_mov_b32_dpp v41, v42 row_shr:2 row_mask:0xf bank_mask:0xf
	v_mov_b32_dpp v47, v43 row_shr:2 row_mask:0xf bank_mask:0xf
	v_cmp_lt_u32_e32 vcc, 1, v40
	s_and_saveexec_b64 s[28:29], vcc
; %bb.63:
	v_cmp_eq_u32_e32 vcc, 0, v44
	v_cndmask_b32_e32 v41, 0, v41, vcc
	v_add_u32_e32 v46, v46, v44
	v_cndmask_b32_e32 v44, 0, v47, vcc
	v_add_co_u32_e32 v42, vcc, v41, v42
	v_addc_co_u32_e32 v43, vcc, v44, v43, vcc
	v_mov_b32_e32 v44, v46
; %bb.64:
	s_or_b64 exec, exec, s[28:29]
	s_nop 0
	v_mov_b32_dpp v46, v44 row_shr:4 row_mask:0xf bank_mask:0xf
	v_mov_b32_dpp v41, v42 row_shr:4 row_mask:0xf bank_mask:0xf
	v_mov_b32_dpp v47, v43 row_shr:4 row_mask:0xf bank_mask:0xf
	v_cmp_lt_u32_e32 vcc, 3, v40
	;; [unrolled: 16-line block ×3, first 2 shown]
	s_and_saveexec_b64 s[28:29], vcc
; %bb.67:
	v_cmp_eq_u32_e32 vcc, 0, v44
	v_cndmask_b32_e32 v41, 0, v41, vcc
	v_add_u32_e32 v40, v46, v44
	v_cndmask_b32_e32 v44, 0, v47, vcc
	v_add_co_u32_e32 v42, vcc, v41, v42
	v_addc_co_u32_e32 v43, vcc, v44, v43, vcc
	v_mov_b32_e32 v44, v40
; %bb.68:
	s_or_b64 exec, exec, s[28:29]
	v_and_b32_e32 v47, 16, v45
	v_mov_b32_dpp v41, v44 row_bcast:15 row_mask:0xf bank_mask:0xf
	v_mov_b32_dpp v40, v42 row_bcast:15 row_mask:0xf bank_mask:0xf
	;; [unrolled: 1-line block ×3, first 2 shown]
	v_cmp_ne_u32_e32 vcc, 0, v47
	s_and_saveexec_b64 s[28:29], vcc
; %bb.69:
	v_cmp_eq_u32_e32 vcc, 0, v44
	v_cndmask_b32_e32 v40, 0, v40, vcc
	v_add_u32_e32 v41, v41, v44
	v_cndmask_b32_e32 v44, 0, v46, vcc
	v_add_co_u32_e32 v42, vcc, v40, v42
	v_addc_co_u32_e32 v43, vcc, v44, v43, vcc
	v_mov_b32_e32 v44, v41
; %bb.70:
	s_or_b64 exec, exec, s[28:29]
	s_nop 0
	v_mov_b32_dpp v41, v44 row_bcast:31 row_mask:0xf bank_mask:0xf
	v_mov_b32_dpp v40, v42 row_bcast:31 row_mask:0xf bank_mask:0xf
	;; [unrolled: 1-line block ×3, first 2 shown]
	v_cmp_lt_u32_e32 vcc, 31, v45
	s_and_saveexec_b64 s[28:29], vcc
; %bb.71:
	v_cmp_eq_u32_e32 vcc, 0, v44
	v_cndmask_b32_e32 v40, 0, v40, vcc
	v_add_u32_e32 v41, v41, v44
	v_cndmask_b32_e32 v44, 0, v46, vcc
	v_add_co_u32_e32 v42, vcc, v40, v42
	v_addc_co_u32_e32 v43, vcc, v44, v43, vcc
	v_mov_b32_e32 v44, v41
; %bb.72:
	s_or_b64 exec, exec, s[28:29]
	v_lshrrev_b32_e32 v40, 6, v0
	v_or_b32_e32 v41, 63, v0
	v_cmp_eq_u32_e32 vcc, v41, v0
	v_lshlrev_b32_e32 v46, 4, v40
	s_and_saveexec_b64 s[28:29], vcc
	s_cbranch_execz .LBB2064_74
; %bb.73:
	ds_write_b32 v46, v44 offset:1056
	ds_write_b64 v46, v[42:43] offset:1064
.LBB2064_74:
	s_or_b64 exec, exec, s[28:29]
	v_cmp_gt_u32_e32 vcc, 4, v0
	s_waitcnt lgkmcnt(0)
	s_barrier
	s_and_saveexec_b64 s[28:29], vcc
	s_cbranch_execz .LBB2064_80
; %bb.75:
	v_lshlrev_b32_e32 v47, 4, v0
	ds_read_b32 v48, v47 offset:1056
	ds_read_b64 v[40:41], v47 offset:1064
	v_and_b32_e32 v49, 3, v45
	v_cmp_ne_u32_e32 vcc, 0, v49
	s_waitcnt lgkmcnt(1)
	v_mov_b32_dpp v51, v48 row_shr:1 row_mask:0xf bank_mask:0xf
	s_waitcnt lgkmcnt(0)
	v_mov_b32_dpp v50, v40 row_shr:1 row_mask:0xf bank_mask:0xf
	v_mov_b32_dpp v52, v41 row_shr:1 row_mask:0xf bank_mask:0xf
	s_and_saveexec_b64 s[34:35], vcc
; %bb.76:
	v_cmp_eq_u32_e32 vcc, 0, v48
	v_cndmask_b32_e32 v50, 0, v50, vcc
	v_add_u32_e32 v51, v51, v48
	v_cndmask_b32_e32 v48, 0, v52, vcc
	v_add_co_u32_e32 v40, vcc, v50, v40
	v_addc_co_u32_e32 v41, vcc, v48, v41, vcc
	v_mov_b32_e32 v48, v51
; %bb.77:
	s_or_b64 exec, exec, s[34:35]
	s_nop 0
	v_mov_b32_dpp v51, v48 row_shr:2 row_mask:0xf bank_mask:0xf
	v_mov_b32_dpp v50, v40 row_shr:2 row_mask:0xf bank_mask:0xf
	;; [unrolled: 1-line block ×3, first 2 shown]
	v_cmp_lt_u32_e32 vcc, 1, v49
	s_and_saveexec_b64 s[34:35], vcc
; %bb.78:
	v_cmp_eq_u32_e32 vcc, 0, v48
	v_cndmask_b32_e32 v50, 0, v50, vcc
	v_add_u32_e32 v49, v51, v48
	v_cndmask_b32_e32 v48, 0, v52, vcc
	v_add_co_u32_e32 v40, vcc, v50, v40
	v_addc_co_u32_e32 v41, vcc, v48, v41, vcc
	v_mov_b32_e32 v48, v49
; %bb.79:
	s_or_b64 exec, exec, s[34:35]
	ds_write_b32 v47, v48 offset:1056
	ds_write_b64 v47, v[40:41] offset:1064
.LBB2064_80:
	s_or_b64 exec, exec, s[28:29]
	v_cmp_gt_u32_e32 vcc, 64, v0
	v_cmp_lt_u32_e64 s[28:29], 63, v0
	v_pk_mov_b32 v[40:41], 0, 0
	v_mov_b32_e32 v52, 0
	s_waitcnt lgkmcnt(0)
	s_barrier
	s_and_saveexec_b64 s[34:35], s[28:29]
	s_cbranch_execz .LBB2064_82
; %bb.81:
	ds_read_b32 v52, v46 offset:1040
	ds_read_b64 v[40:41], v46 offset:1048
	v_cmp_eq_u32_e64 s[28:29], 0, v44
	s_waitcnt lgkmcnt(1)
	v_add_u32_e32 v46, v52, v44
	s_waitcnt lgkmcnt(0)
	v_cndmask_b32_e64 v47, 0, v40, s[28:29]
	v_cndmask_b32_e64 v44, 0, v41, s[28:29]
	v_add_co_u32_e64 v42, s[28:29], v47, v42
	v_addc_co_u32_e64 v43, s[28:29], v44, v43, s[28:29]
	v_mov_b32_e32 v44, v46
.LBB2064_82:
	s_or_b64 exec, exec, s[34:35]
	v_add_u32_e32 v46, -1, v45
	v_and_b32_e32 v47, 64, v45
	v_cmp_lt_i32_e64 s[28:29], v46, v47
	v_cndmask_b32_e64 v46, v46, v45, s[28:29]
	v_lshlrev_b32_e32 v46, 2, v46
	ds_bpermute_b32 v53, v46, v44
	ds_bpermute_b32 v54, v46, v42
	;; [unrolled: 1-line block ×3, first 2 shown]
	v_cmp_eq_u32_e64 s[28:29], 0, v45
	s_and_saveexec_b64 s[34:35], vcc
	s_cbranch_execz .LBB2064_129
; %bb.83:
	v_mov_b32_e32 v47, 0
	ds_read_b32 v56, v47 offset:1104
	ds_read_b64 v[42:43], v47 offset:1112
	s_and_saveexec_b64 s[36:37], s[28:29]
	s_cbranch_execz .LBB2064_85
; %bb.84:
	s_add_i32 s38, s64, 64
	s_mov_b32 s39, 0
	s_lshl_b64 s[46:47], s[38:39], 4
	s_add_u32 s46, s40, s46
	s_addc_u32 s47, s41, s47
	v_mov_b32_e32 v44, s38
	v_mov_b32_e32 v46, 1
	s_waitcnt lgkmcnt(1)
	global_store_dword v47, v56, s[46:47]
	s_waitcnt lgkmcnt(0)
	global_store_dwordx2 v47, v[42:43], s[46:47] offset:8
	s_waitcnt vmcnt(0)
	buffer_wbinvl1_vol
	global_store_byte v44, v46, s[44:45]
.LBB2064_85:
	s_or_b64 exec, exec, s[36:37]
	v_xad_u32 v44, v45, -1, s64
	v_add_u32_e32 v46, 64, v44
	global_load_ubyte v57, v46, s[44:45] glc
	s_waitcnt vmcnt(0)
	v_cmp_eq_u16_e32 vcc, 0, v57
	s_and_saveexec_b64 s[36:37], vcc
	s_cbranch_execz .LBB2064_91
; %bb.86:
	v_mov_b32_e32 v49, s45
	v_add_co_u32_e32 v48, vcc, s44, v46
	v_addc_co_u32_e32 v49, vcc, 0, v49, vcc
	s_mov_b32 s46, 1
	s_mov_b64 s[38:39], 0
.LBB2064_87:                            ; =>This Loop Header: Depth=1
                                        ;     Child Loop BB2064_88 Depth 2
	s_max_u32 s47, s46, 1
.LBB2064_88:                            ;   Parent Loop BB2064_87 Depth=1
                                        ; =>  This Inner Loop Header: Depth=2
	s_add_i32 s47, s47, -1
	s_cmp_eq_u32 s47, 0
	s_sleep 1
	s_cbranch_scc0 .LBB2064_88
; %bb.89:                               ;   in Loop: Header=BB2064_87 Depth=1
	global_load_ubyte v57, v[48:49], off glc
	s_cmp_lt_u32 s46, 32
	s_cselect_b64 s[52:53], -1, 0
	s_cmp_lg_u64 s[52:53], 0
	s_addc_u32 s46, s46, 0
	s_waitcnt vmcnt(0)
	v_cmp_ne_u16_e32 vcc, 0, v57
	s_or_b64 s[38:39], vcc, s[38:39]
	s_andn2_b64 exec, exec, s[38:39]
	s_cbranch_execnz .LBB2064_87
; %bb.90:
	s_or_b64 exec, exec, s[38:39]
.LBB2064_91:
	s_or_b64 exec, exec, s[36:37]
	v_mov_b32_e32 v48, s43
	v_mov_b32_e32 v49, s41
	v_cmp_eq_u16_e32 vcc, 1, v57
	v_cndmask_b32_e32 v48, v48, v49, vcc
	v_mov_b32_e32 v49, s42
	v_mov_b32_e32 v50, s40
	v_cndmask_b32_e32 v49, v49, v50, vcc
	v_lshlrev_b64 v[46:47], 4, v[46:47]
	v_add_co_u32_e32 v46, vcc, v49, v46
	v_addc_co_u32_e32 v47, vcc, v48, v47, vcc
	s_waitcnt lgkmcnt(0)
	buffer_wbinvl1_vol
	global_load_dword v72, v[46:47], off
	global_load_dwordx2 v[50:51], v[46:47], off offset:8
	v_cmp_eq_u16_e32 vcc, 2, v57
	v_lshlrev_b64 v[46:47], v45, -1
	v_and_b32_e32 v58, 63, v45
	v_and_b32_e32 v48, vcc_hi, v47
	v_and_b32_e32 v62, vcc_lo, v46
	v_cmp_ne_u32_e32 vcc, 63, v58
	v_addc_co_u32_e32 v49, vcc, 0, v45, vcc
	v_lshlrev_b32_e32 v59, 2, v49
	v_or_b32_e32 v48, 0x80000000, v48
	v_ffbl_b32_e32 v48, v48
	v_add_u32_e32 v48, 32, v48
	v_ffbl_b32_e32 v62, v62
	v_min_u32_e32 v48, v62, v48
	v_cmp_lt_u32_e32 vcc, v58, v48
	s_waitcnt vmcnt(1)
	ds_bpermute_b32 v60, v59, v72
	s_waitcnt vmcnt(0)
	ds_bpermute_b32 v49, v59, v50
	ds_bpermute_b32 v61, v59, v51
	s_and_saveexec_b64 s[36:37], vcc
	s_cbranch_execz .LBB2064_93
; %bb.92:
	v_cmp_eq_u32_e32 vcc, 0, v72
	s_waitcnt lgkmcnt(1)
	v_cndmask_b32_e32 v49, 0, v49, vcc
	v_add_u32_e32 v60, v60, v72
	s_waitcnt lgkmcnt(0)
	v_cndmask_b32_e32 v61, 0, v61, vcc
	v_add_co_u32_e32 v50, vcc, v49, v50
	v_addc_co_u32_e32 v51, vcc, v61, v51, vcc
	v_mov_b32_e32 v72, v60
.LBB2064_93:
	s_or_b64 exec, exec, s[36:37]
	v_cmp_gt_u32_e32 vcc, 62, v58
	s_waitcnt lgkmcnt(1)
	v_cndmask_b32_e64 v49, 0, 1, vcc
	v_lshlrev_b32_e32 v49, 1, v49
	v_add_lshl_u32 v60, v49, v45, 2
	ds_bpermute_b32 v62, v60, v72
	ds_bpermute_b32 v49, v60, v50
	ds_bpermute_b32 v63, v60, v51
	s_waitcnt lgkmcnt(3)
	v_add_u32_e32 v61, 2, v58
	v_cmp_le_u32_e32 vcc, v61, v48
	s_and_saveexec_b64 s[36:37], vcc
	s_cbranch_execz .LBB2064_95
; %bb.94:
	v_cmp_eq_u32_e32 vcc, 0, v72
	s_waitcnt lgkmcnt(1)
	v_cndmask_b32_e32 v49, 0, v49, vcc
	v_add_u32_e32 v62, v62, v72
	s_waitcnt lgkmcnt(0)
	v_cndmask_b32_e32 v63, 0, v63, vcc
	v_add_co_u32_e32 v50, vcc, v49, v50
	v_addc_co_u32_e32 v51, vcc, v63, v51, vcc
	v_mov_b32_e32 v72, v62
.LBB2064_95:
	s_or_b64 exec, exec, s[36:37]
	v_cmp_gt_u32_e32 vcc, 60, v58
	s_waitcnt lgkmcnt(1)
	v_cndmask_b32_e64 v49, 0, 1, vcc
	v_lshlrev_b32_e32 v49, 2, v49
	v_add_lshl_u32 v62, v49, v45, 2
	ds_bpermute_b32 v64, v62, v72
	ds_bpermute_b32 v49, v62, v50
	ds_bpermute_b32 v65, v62, v51
	s_waitcnt lgkmcnt(3)
	v_add_u32_e32 v63, 4, v58
	v_cmp_le_u32_e32 vcc, v63, v48
	;; [unrolled: 25-line block ×4, first 2 shown]
	s_and_saveexec_b64 s[36:37], vcc
	s_cbranch_execz .LBB2064_101
; %bb.100:
	v_cmp_eq_u32_e32 vcc, 0, v72
	s_waitcnt lgkmcnt(1)
	v_cndmask_b32_e32 v49, 0, v49, vcc
	v_add_u32_e32 v68, v68, v72
	s_waitcnt lgkmcnt(0)
	v_cndmask_b32_e32 v69, 0, v69, vcc
	v_add_co_u32_e32 v50, vcc, v49, v50
	v_addc_co_u32_e32 v51, vcc, v69, v51, vcc
	v_mov_b32_e32 v72, v68
.LBB2064_101:
	s_or_b64 exec, exec, s[36:37]
	v_cmp_gt_u32_e32 vcc, 32, v58
	s_waitcnt lgkmcnt(1)
	v_cndmask_b32_e64 v49, 0, 1, vcc
	v_lshlrev_b32_e32 v49, 5, v49
	v_add_lshl_u32 v68, v49, v45, 2
	ds_bpermute_b32 v49, v68, v72
	ds_bpermute_b32 v45, v68, v50
	s_waitcnt lgkmcnt(2)
	ds_bpermute_b32 v69, v68, v51
	v_add_u32_e32 v70, 32, v58
	v_cmp_le_u32_e32 vcc, v70, v48
	s_and_saveexec_b64 s[36:37], vcc
	s_cbranch_execz .LBB2064_103
; %bb.102:
	v_cmp_eq_u32_e32 vcc, 0, v72
	s_waitcnt lgkmcnt(1)
	v_cndmask_b32_e32 v45, 0, v45, vcc
	v_add_u32_e32 v48, v49, v72
	s_waitcnt lgkmcnt(0)
	v_cndmask_b32_e32 v49, 0, v69, vcc
	v_add_co_u32_e32 v50, vcc, v45, v50
	v_addc_co_u32_e32 v51, vcc, v49, v51, vcc
	v_mov_b32_e32 v72, v48
.LBB2064_103:
	s_or_b64 exec, exec, s[36:37]
	s_waitcnt lgkmcnt(1)
	v_mov_b32_e32 v45, 0
	v_mov_b32_e32 v71, 2
	s_branch .LBB2064_105
.LBB2064_104:                           ;   in Loop: Header=BB2064_105 Depth=1
	s_or_b64 exec, exec, s[36:37]
	v_cmp_eq_u32_e32 vcc, 0, v69
	v_cndmask_b32_e32 v50, 0, v50, vcc
	v_cndmask_b32_e32 v51, 0, v51, vcc
	v_add_co_u32_e32 v50, vcc, v50, v48
	v_subrev_u32_e32 v44, 64, v44
	v_add_u32_e32 v72, v73, v69
	v_addc_co_u32_e32 v51, vcc, v51, v49, vcc
.LBB2064_105:                           ; =>This Loop Header: Depth=1
                                        ;     Child Loop BB2064_108 Depth 2
                                        ;       Child Loop BB2064_109 Depth 3
	v_cmp_ne_u16_sdwa s[36:37], v57, v71 src0_sel:BYTE_0 src1_sel:DWORD
	v_pk_mov_b32 v[48:49], v[50:51], v[50:51] op_sel:[0,1]
	v_cndmask_b32_e64 v50, 0, 1, s[36:37]
	;;#ASMSTART
	;;#ASMEND
	v_cmp_ne_u32_e32 vcc, 0, v50
	s_cmp_lg_u64 vcc, exec
	s_waitcnt lgkmcnt(0)
	v_mov_b32_e32 v69, v72
	s_cbranch_scc1 .LBB2064_124
; %bb.106:                              ;   in Loop: Header=BB2064_105 Depth=1
	global_load_ubyte v57, v44, s[44:45] glc
	s_waitcnt vmcnt(0)
	v_cmp_eq_u16_e32 vcc, 0, v57
	s_and_saveexec_b64 s[36:37], vcc
	s_cbranch_execz .LBB2064_112
; %bb.107:                              ;   in Loop: Header=BB2064_105 Depth=1
	v_mov_b32_e32 v51, s45
	v_add_co_u32_e32 v50, vcc, s44, v44
	v_addc_co_u32_e32 v51, vcc, 0, v51, vcc
	s_mov_b32 s46, 1
	s_mov_b64 s[38:39], 0
.LBB2064_108:                           ;   Parent Loop BB2064_105 Depth=1
                                        ; =>  This Loop Header: Depth=2
                                        ;       Child Loop BB2064_109 Depth 3
	s_max_u32 s47, s46, 1
.LBB2064_109:                           ;   Parent Loop BB2064_105 Depth=1
                                        ;     Parent Loop BB2064_108 Depth=2
                                        ; =>    This Inner Loop Header: Depth=3
	s_add_i32 s47, s47, -1
	s_cmp_eq_u32 s47, 0
	s_sleep 1
	s_cbranch_scc0 .LBB2064_109
; %bb.110:                              ;   in Loop: Header=BB2064_108 Depth=2
	global_load_ubyte v57, v[50:51], off glc
	s_cmp_lt_u32 s46, 32
	s_cselect_b64 s[52:53], -1, 0
	s_cmp_lg_u64 s[52:53], 0
	s_addc_u32 s46, s46, 0
	s_waitcnt vmcnt(0)
	v_cmp_ne_u16_e32 vcc, 0, v57
	s_or_b64 s[38:39], vcc, s[38:39]
	s_andn2_b64 exec, exec, s[38:39]
	s_cbranch_execnz .LBB2064_108
; %bb.111:                              ;   in Loop: Header=BB2064_105 Depth=1
	s_or_b64 exec, exec, s[38:39]
.LBB2064_112:                           ;   in Loop: Header=BB2064_105 Depth=1
	s_or_b64 exec, exec, s[36:37]
	v_mov_b32_e32 v50, s43
	v_mov_b32_e32 v51, s41
	v_cmp_eq_u16_e32 vcc, 1, v57
	v_cndmask_b32_e32 v72, v50, v51, vcc
	v_mov_b32_e32 v50, s42
	v_mov_b32_e32 v51, s40
	v_cndmask_b32_e32 v73, v50, v51, vcc
	v_lshlrev_b64 v[50:51], 4, v[44:45]
	v_add_co_u32_e32 v50, vcc, v73, v50
	v_addc_co_u32_e32 v51, vcc, v72, v51, vcc
	buffer_wbinvl1_vol
	global_load_dword v73, v[50:51], off
	s_nop 0
	global_load_dwordx2 v[50:51], v[50:51], off offset:8
	v_cmp_eq_u16_e32 vcc, 2, v57
	v_and_b32_e32 v72, vcc_hi, v47
	v_or_b32_e32 v72, 0x80000000, v72
	v_and_b32_e32 v95, vcc_lo, v46
	v_ffbl_b32_e32 v72, v72
	v_add_u32_e32 v72, 32, v72
	v_ffbl_b32_e32 v95, v95
	v_min_u32_e32 v72, v95, v72
	v_cmp_lt_u32_e32 vcc, v58, v72
	s_waitcnt vmcnt(1)
	ds_bpermute_b32 v77, v59, v73
	s_waitcnt vmcnt(0)
	ds_bpermute_b32 v76, v59, v50
	ds_bpermute_b32 v92, v59, v51
	s_and_saveexec_b64 s[36:37], vcc
	s_cbranch_execz .LBB2064_114
; %bb.113:                              ;   in Loop: Header=BB2064_105 Depth=1
	v_cmp_eq_u32_e32 vcc, 0, v73
	s_waitcnt lgkmcnt(1)
	v_cndmask_b32_e32 v76, 0, v76, vcc
	v_add_u32_e32 v77, v77, v73
	s_waitcnt lgkmcnt(0)
	v_cndmask_b32_e32 v73, 0, v92, vcc
	v_add_co_u32_e32 v50, vcc, v76, v50
	v_addc_co_u32_e32 v51, vcc, v73, v51, vcc
	v_mov_b32_e32 v73, v77
.LBB2064_114:                           ;   in Loop: Header=BB2064_105 Depth=1
	s_or_b64 exec, exec, s[36:37]
	s_waitcnt lgkmcnt(2)
	ds_bpermute_b32 v77, v60, v73
	s_waitcnt lgkmcnt(2)
	ds_bpermute_b32 v76, v60, v50
	s_waitcnt lgkmcnt(2)
	ds_bpermute_b32 v92, v60, v51
	v_cmp_le_u32_e32 vcc, v61, v72
	s_and_saveexec_b64 s[36:37], vcc
	s_cbranch_execz .LBB2064_116
; %bb.115:                              ;   in Loop: Header=BB2064_105 Depth=1
	v_cmp_eq_u32_e32 vcc, 0, v73
	s_waitcnt lgkmcnt(1)
	v_cndmask_b32_e32 v76, 0, v76, vcc
	v_add_u32_e32 v77, v77, v73
	s_waitcnt lgkmcnt(0)
	v_cndmask_b32_e32 v73, 0, v92, vcc
	v_add_co_u32_e32 v50, vcc, v76, v50
	v_addc_co_u32_e32 v51, vcc, v73, v51, vcc
	v_mov_b32_e32 v73, v77
.LBB2064_116:                           ;   in Loop: Header=BB2064_105 Depth=1
	s_or_b64 exec, exec, s[36:37]
	s_waitcnt lgkmcnt(2)
	ds_bpermute_b32 v77, v62, v73
	s_waitcnt lgkmcnt(2)
	ds_bpermute_b32 v76, v62, v50
	s_waitcnt lgkmcnt(2)
	ds_bpermute_b32 v92, v62, v51
	v_cmp_le_u32_e32 vcc, v63, v72
	;; [unrolled: 21-line block ×5, first 2 shown]
	s_and_saveexec_b64 s[36:37], vcc
	s_cbranch_execz .LBB2064_104
; %bb.123:                              ;   in Loop: Header=BB2064_105 Depth=1
	v_cmp_eq_u32_e32 vcc, 0, v73
	s_waitcnt lgkmcnt(1)
	v_cndmask_b32_e32 v76, 0, v76, vcc
	v_add_u32_e32 v72, v77, v73
	s_waitcnt lgkmcnt(0)
	v_cndmask_b32_e32 v73, 0, v92, vcc
	v_add_co_u32_e32 v50, vcc, v76, v50
	v_addc_co_u32_e32 v51, vcc, v73, v51, vcc
	v_mov_b32_e32 v73, v72
	s_branch .LBB2064_104
.LBB2064_124:                           ;   in Loop: Header=BB2064_105 Depth=1
                                        ; implicit-def: $vgpr50_vgpr51
                                        ; implicit-def: $vgpr72
                                        ; implicit-def: $vgpr57
	s_cbranch_execz .LBB2064_105
; %bb.125:
	s_and_saveexec_b64 s[36:37], s[28:29]
	s_cbranch_execz .LBB2064_127
; %bb.126:
	s_mov_b32 s39, 0
	v_cmp_eq_u32_e32 vcc, 0, v56
	s_add_i32 s38, s64, 64
	v_cndmask_b32_e32 v44, 0, v48, vcc
	s_lshl_b64 s[40:41], s[38:39], 4
	v_cndmask_b32_e32 v45, 0, v49, vcc
	v_add_co_u32_e32 v44, vcc, v44, v42
	s_add_u32 s40, s42, s40
	v_add_u32_e32 v46, v69, v56
	v_addc_co_u32_e32 v45, vcc, v45, v43, vcc
	s_addc_u32 s41, s43, s41
	v_mov_b32_e32 v47, 0
	global_store_dword v47, v46, s[40:41]
	global_store_dwordx2 v47, v[44:45], s[40:41] offset:8
	v_mov_b32_e32 v44, s38
	v_mov_b32_e32 v45, 2
	s_waitcnt vmcnt(0) lgkmcnt(0)
	buffer_wbinvl1_vol
	global_store_byte v44, v45, s[44:45]
	ds_write_b32 v47, v56 offset:1024
	ds_write_b64 v47, v[42:43] offset:1032
	ds_write_b32 v47, v69 offset:1040
	ds_write_b64 v47, v[48:49] offset:1048
.LBB2064_127:
	s_or_b64 exec, exec, s[36:37]
	s_and_b64 exec, exec, s[0:1]
	s_cbranch_execz .LBB2064_129
; %bb.128:
	v_mov_b32_e32 v42, 0
	ds_write_b32 v42, v69 offset:1104
	ds_write_b64 v42, v[48:49] offset:1112
.LBB2064_129:
	s_or_b64 exec, exec, s[34:35]
	v_mov_b32_e32 v45, 0
	s_waitcnt lgkmcnt(0)
	s_barrier
	ds_read_b32 v44, v45 offset:1104
	ds_read_b64 v[42:43], v45 offset:1112
	v_cndmask_b32_e64 v46, v53, v52, s[28:29]
	v_cmp_eq_u32_e32 vcc, 0, v46
	v_cndmask_b32_e64 v40, v54, v40, s[28:29]
	v_cndmask_b32_e64 v41, v55, v41, s[28:29]
	s_waitcnt lgkmcnt(0)
	v_cndmask_b32_e32 v48, 0, v42, vcc
	v_cndmask_b32_e32 v47, 0, v43, vcc
	v_add_co_u32_e32 v40, vcc, v48, v40
	v_addc_co_u32_e32 v41, vcc, v47, v41, vcc
	v_cndmask_b32_e64 v70, v40, v42, s[0:1]
	v_cmp_eq_u32_e32 vcc, 0, v91
	v_cndmask_b32_e64 v46, v46, 0, s[0:1]
	v_cndmask_b32_e64 v71, v41, v43, s[0:1]
	v_cndmask_b32_e32 v41, 0, v70, vcc
	v_add_u32_e32 v92, v44, v46
	v_cndmask_b32_e32 v40, 0, v71, vcc
	v_add_co_u32_e32 v46, vcc, v41, v18
	v_addc_co_u32_e32 v47, vcc, v40, v19, vcc
	v_cndmask_b32_e64 v41, 0, v46, s[26:27]
	v_cndmask_b32_e64 v40, 0, v47, s[26:27]
	v_add_co_u32_e32 v48, vcc, v41, v20
	v_addc_co_u32_e32 v49, vcc, v40, v21, vcc
	v_cndmask_b32_e64 v41, 0, v48, s[24:25]
	v_cndmask_b32_e64 v40, 0, v49, s[24:25]
	;; [unrolled: 4-line block ×11, first 2 shown]
	v_add_co_u32_e32 v68, vcc, v41, v2
	v_addc_co_u32_e32 v69, vcc, v40, v3, vcc
	s_barrier
	ds_read_b32 v40, v45 offset:1024
	ds_read_b64 v[42:43], v45 offset:1032
	ds_read_b32 v44, v45 offset:1040
	ds_read_b64 v[96:97], v45 offset:1048
	v_cndmask_b32_e64 v72, 0, v68, s[4:5]
	v_cndmask_b32_e64 v41, 0, v69, s[4:5]
	v_add_co_u32_e32 v72, vcc, v72, v26
	v_addc_co_u32_e32 v73, vcc, v41, v27, vcc
	s_waitcnt lgkmcnt(3)
	v_cmp_eq_u32_e32 vcc, 0, v40
	s_waitcnt lgkmcnt(0)
	v_cndmask_b32_e32 v45, 0, v96, vcc
	v_cndmask_b32_e32 v41, 0, v97, vcc
	v_add_co_u32_e32 v42, vcc, v45, v42
	v_cndmask_b32_e64 v77, 0, v73, s[2:3]
	v_cndmask_b32_e64 v76, 0, v72, s[2:3]
	v_addc_co_u32_e32 v43, vcc, v41, v43, vcc
	s_branch .LBB2064_158
.LBB2064_130:
                                        ; implicit-def: $vgpr40
                                        ; implicit-def: $vgpr42_vgpr43
                                        ; implicit-def: $vgpr44
                                        ; implicit-def: $vgpr70_vgpr71
                                        ; implicit-def: $vgpr46_vgpr47
                                        ; implicit-def: $vgpr48_vgpr49
                                        ; implicit-def: $vgpr50_vgpr51
                                        ; implicit-def: $vgpr52_vgpr53
                                        ; implicit-def: $vgpr54_vgpr55
                                        ; implicit-def: $vgpr56_vgpr57
                                        ; implicit-def: $vgpr58_vgpr59
                                        ; implicit-def: $vgpr60_vgpr61
                                        ; implicit-def: $vgpr62_vgpr63
                                        ; implicit-def: $vgpr64_vgpr65
                                        ; implicit-def: $vgpr66_vgpr67
                                        ; implicit-def: $vgpr68_vgpr69
                                        ; implicit-def: $vgpr72_vgpr73
                                        ; implicit-def: $vgpr76_vgpr77
                                        ; implicit-def: $vgpr92
	s_cbranch_execz .LBB2064_158
; %bb.131:
	s_and_b64 s[2:3], s[30:31], exec
	s_cselect_b32 s3, 0, s63
	s_cselect_b32 s2, 0, s62
	s_cmp_eq_u64 s[2:3], 0
	s_cbranch_scc1 .LBB2064_133
; %bb.132:
	v_mov_b32_e32 v40, 0
	global_load_dwordx2 v[74:75], v40, s[2:3]
.LBB2064_133:
	v_cmp_eq_u32_e64 s[24:25], 0, v89
	v_cndmask_b32_e64 v41, 0, v18, s[24:25]
	v_cndmask_b32_e64 v40, 0, v19, s[24:25]
	v_add_co_u32_e32 v41, vcc, v41, v20
	v_cmp_eq_u32_e64 s[22:23], 0, v90
	v_addc_co_u32_e32 v40, vcc, v40, v21, vcc
	v_cndmask_b32_e64 v41, 0, v41, s[22:23]
	v_cndmask_b32_e64 v40, 0, v40, s[22:23]
	v_add_co_u32_e32 v41, vcc, v41, v34
	v_cmp_eq_u32_e64 s[20:21], 0, v88
	v_addc_co_u32_e32 v40, vcc, v40, v35, vcc
	;; [unrolled: 5-line block ×11, first 2 shown]
	v_cndmask_b32_e64 v41, 0, v41, s[4:5]
	v_cndmask_b32_e64 v40, 0, v40, s[4:5]
	v_add_co_u32_e32 v41, vcc, v41, v26
	v_addc_co_u32_e32 v40, vcc, v40, v27, vcc
	v_cmp_eq_u32_e32 vcc, 0, v80
	v_cndmask_b32_e32 v41, 0, v41, vcc
	v_add3_u32 v42, v94, v82, v87
	v_cndmask_b32_e32 v40, 0, v40, vcc
	v_add_co_u32_e64 v41, s[26:27], v41, v4
	v_add3_u32 v42, v42, v86, v79
	v_addc_co_u32_e64 v40, s[26:27], v40, v5, s[26:27]
	v_add3_u32 v42, v42, v78, v84
	v_cmp_eq_u32_e64 s[26:27], 0, v81
	v_add3_u32 v42, v42, v83, v25
	v_cndmask_b32_e64 v41, 0, v41, s[26:27]
	v_add3_u32 v43, v42, v80, v81
	v_cndmask_b32_e64 v40, 0, v40, s[26:27]
	v_add_co_u32_e64 v38, s[26:27], v41, v38
	v_mbcnt_hi_u32_b32 v42, -1, v93
	v_addc_co_u32_e64 v39, s[26:27], v40, v39, s[26:27]
	v_and_b32_e32 v40, 15, v42
	v_mov_b32_dpp v44, v43 row_shr:1 row_mask:0xf bank_mask:0xf
	v_mov_b32_dpp v41, v38 row_shr:1 row_mask:0xf bank_mask:0xf
	v_mov_b32_dpp v45, v39 row_shr:1 row_mask:0xf bank_mask:0xf
	v_cmp_ne_u32_e64 s[26:27], 0, v40
	s_and_saveexec_b64 s[28:29], s[26:27]
; %bb.134:
	v_cmp_eq_u32_e64 s[26:27], 0, v43
	v_cndmask_b32_e64 v41, 0, v41, s[26:27]
	v_add_u32_e32 v44, v44, v43
	v_cndmask_b32_e64 v43, 0, v45, s[26:27]
	v_add_co_u32_e64 v38, s[26:27], v41, v38
	v_addc_co_u32_e64 v39, s[26:27], v43, v39, s[26:27]
	v_mov_b32_e32 v43, v44
; %bb.135:
	s_or_b64 exec, exec, s[28:29]
	s_nop 0
	v_mov_b32_dpp v44, v43 row_shr:2 row_mask:0xf bank_mask:0xf
	v_mov_b32_dpp v41, v38 row_shr:2 row_mask:0xf bank_mask:0xf
	v_mov_b32_dpp v45, v39 row_shr:2 row_mask:0xf bank_mask:0xf
	v_cmp_lt_u32_e64 s[26:27], 1, v40
	s_and_saveexec_b64 s[28:29], s[26:27]
; %bb.136:
	v_cmp_eq_u32_e64 s[26:27], 0, v43
	v_cndmask_b32_e64 v41, 0, v41, s[26:27]
	v_add_u32_e32 v44, v44, v43
	v_cndmask_b32_e64 v43, 0, v45, s[26:27]
	v_add_co_u32_e64 v38, s[26:27], v41, v38
	v_addc_co_u32_e64 v39, s[26:27], v43, v39, s[26:27]
	v_mov_b32_e32 v43, v44
; %bb.137:
	s_or_b64 exec, exec, s[28:29]
	s_nop 0
	v_mov_b32_dpp v44, v43 row_shr:4 row_mask:0xf bank_mask:0xf
	v_mov_b32_dpp v41, v38 row_shr:4 row_mask:0xf bank_mask:0xf
	v_mov_b32_dpp v45, v39 row_shr:4 row_mask:0xf bank_mask:0xf
	v_cmp_lt_u32_e64 s[26:27], 3, v40
	;; [unrolled: 16-line block ×3, first 2 shown]
	s_and_saveexec_b64 s[28:29], s[26:27]
; %bb.140:
	v_cmp_eq_u32_e64 s[26:27], 0, v43
	v_cndmask_b32_e64 v41, 0, v41, s[26:27]
	v_add_u32_e32 v40, v44, v43
	v_cndmask_b32_e64 v43, 0, v45, s[26:27]
	v_add_co_u32_e64 v38, s[26:27], v41, v38
	v_addc_co_u32_e64 v39, s[26:27], v43, v39, s[26:27]
	v_mov_b32_e32 v43, v40
; %bb.141:
	s_or_b64 exec, exec, s[28:29]
	v_and_b32_e32 v45, 16, v42
	v_mov_b32_dpp v41, v43 row_bcast:15 row_mask:0xf bank_mask:0xf
	v_mov_b32_dpp v40, v38 row_bcast:15 row_mask:0xf bank_mask:0xf
	;; [unrolled: 1-line block ×3, first 2 shown]
	v_cmp_ne_u32_e64 s[26:27], 0, v45
	s_and_saveexec_b64 s[28:29], s[26:27]
; %bb.142:
	v_cmp_eq_u32_e64 s[26:27], 0, v43
	v_cndmask_b32_e64 v40, 0, v40, s[26:27]
	v_add_u32_e32 v41, v41, v43
	v_cndmask_b32_e64 v43, 0, v44, s[26:27]
	v_add_co_u32_e64 v38, s[26:27], v40, v38
	v_addc_co_u32_e64 v39, s[26:27], v43, v39, s[26:27]
	v_mov_b32_e32 v43, v41
; %bb.143:
	s_or_b64 exec, exec, s[28:29]
	s_nop 0
	v_mov_b32_dpp v41, v43 row_bcast:31 row_mask:0xf bank_mask:0xf
	v_mov_b32_dpp v40, v38 row_bcast:31 row_mask:0xf bank_mask:0xf
	;; [unrolled: 1-line block ×3, first 2 shown]
	v_cmp_lt_u32_e64 s[26:27], 31, v42
	s_and_saveexec_b64 s[28:29], s[26:27]
; %bb.144:
	v_cmp_eq_u32_e64 s[26:27], 0, v43
	v_cndmask_b32_e64 v40, 0, v40, s[26:27]
	v_add_u32_e32 v41, v41, v43
	v_cndmask_b32_e64 v43, 0, v44, s[26:27]
	v_add_co_u32_e64 v38, s[26:27], v40, v38
	v_addc_co_u32_e64 v39, s[26:27], v43, v39, s[26:27]
	v_mov_b32_e32 v43, v41
; %bb.145:
	s_or_b64 exec, exec, s[28:29]
	v_or_b32_e32 v40, 63, v0
	v_lshrrev_b32_e32 v45, 6, v0
	v_cmp_eq_u32_e64 s[26:27], v40, v0
	s_and_saveexec_b64 s[28:29], s[26:27]
	s_cbranch_execz .LBB2064_147
; %bb.146:
	v_lshlrev_b32_e32 v40, 4, v45
	ds_write_b32 v40, v43 offset:1056
	ds_write_b64 v40, v[38:39] offset:1064
.LBB2064_147:
	s_or_b64 exec, exec, s[28:29]
	v_cmp_gt_u32_e64 s[26:27], 4, v0
	s_waitcnt lgkmcnt(0)
	s_barrier
	s_and_saveexec_b64 s[28:29], s[26:27]
	s_cbranch_execz .LBB2064_153
; %bb.148:
	v_lshlrev_b32_e32 v44, 4, v0
	ds_read_b32 v46, v44 offset:1056
	ds_read_b64 v[40:41], v44 offset:1064
	v_and_b32_e32 v47, 3, v42
	v_cmp_ne_u32_e64 s[26:27], 0, v47
	s_waitcnt lgkmcnt(1)
	v_mov_b32_dpp v49, v46 row_shr:1 row_mask:0xf bank_mask:0xf
	s_waitcnt lgkmcnt(0)
	v_mov_b32_dpp v48, v40 row_shr:1 row_mask:0xf bank_mask:0xf
	v_mov_b32_dpp v50, v41 row_shr:1 row_mask:0xf bank_mask:0xf
	s_and_saveexec_b64 s[34:35], s[26:27]
; %bb.149:
	v_cmp_eq_u32_e64 s[26:27], 0, v46
	v_cndmask_b32_e64 v48, 0, v48, s[26:27]
	v_add_u32_e32 v49, v49, v46
	v_cndmask_b32_e64 v46, 0, v50, s[26:27]
	v_add_co_u32_e64 v40, s[26:27], v48, v40
	v_addc_co_u32_e64 v41, s[26:27], v46, v41, s[26:27]
	v_mov_b32_e32 v46, v49
; %bb.150:
	s_or_b64 exec, exec, s[34:35]
	s_nop 0
	v_mov_b32_dpp v49, v46 row_shr:2 row_mask:0xf bank_mask:0xf
	v_mov_b32_dpp v48, v40 row_shr:2 row_mask:0xf bank_mask:0xf
	;; [unrolled: 1-line block ×3, first 2 shown]
	v_cmp_lt_u32_e64 s[26:27], 1, v47
	s_and_saveexec_b64 s[34:35], s[26:27]
; %bb.151:
	v_cmp_eq_u32_e64 s[26:27], 0, v46
	v_cndmask_b32_e64 v48, 0, v48, s[26:27]
	v_add_u32_e32 v47, v49, v46
	v_cndmask_b32_e64 v46, 0, v50, s[26:27]
	v_add_co_u32_e64 v40, s[26:27], v48, v40
	v_addc_co_u32_e64 v41, s[26:27], v46, v41, s[26:27]
	v_mov_b32_e32 v46, v47
; %bb.152:
	s_or_b64 exec, exec, s[34:35]
	ds_write_b32 v44, v46 offset:1056
	ds_write_b64 v44, v[40:41] offset:1064
.LBB2064_153:
	s_or_b64 exec, exec, s[28:29]
	v_cmp_lt_u32_e64 s[26:27], 63, v0
	v_mov_b32_e32 v44, 0
	v_mov_b32_e32 v46, 0
	s_waitcnt vmcnt(0)
	v_pk_mov_b32 v[40:41], v[74:75], v[74:75] op_sel:[0,1]
	s_waitcnt lgkmcnt(0)
	s_barrier
	s_and_saveexec_b64 s[28:29], s[26:27]
	s_cbranch_execz .LBB2064_155
; %bb.154:
	v_lshlrev_b32_e32 v40, 4, v45
	ds_read_b32 v46, v40 offset:1040
	ds_read_b64 v[40:41], v40 offset:1048
	s_waitcnt lgkmcnt(1)
	v_cmp_eq_u32_e64 s[26:27], 0, v46
	v_cndmask_b32_e64 v47, 0, v74, s[26:27]
	v_cndmask_b32_e64 v45, 0, v75, s[26:27]
	s_waitcnt lgkmcnt(0)
	v_add_co_u32_e64 v40, s[26:27], v47, v40
	v_addc_co_u32_e64 v41, s[26:27], v45, v41, s[26:27]
.LBB2064_155:
	s_or_b64 exec, exec, s[28:29]
	v_cmp_eq_u32_e64 s[26:27], 0, v43
	v_cndmask_b32_e64 v47, 0, v40, s[26:27]
	v_add_u32_e32 v45, v46, v43
	v_cndmask_b32_e64 v43, 0, v41, s[26:27]
	v_add_co_u32_e64 v38, s[26:27], v47, v38
	v_addc_co_u32_e64 v39, s[26:27], v43, v39, s[26:27]
	v_add_u32_e32 v43, -1, v42
	v_and_b32_e32 v47, 64, v42
	v_cmp_lt_i32_e64 s[26:27], v43, v47
	v_cndmask_b32_e64 v43, v43, v42, s[26:27]
	v_lshlrev_b32_e32 v43, 2, v43
	ds_bpermute_b32 v38, v43, v38
	ds_bpermute_b32 v45, v43, v45
	;; [unrolled: 1-line block ×3, first 2 shown]
	v_cmp_eq_u32_e64 s[26:27], 0, v42
	s_waitcnt lgkmcnt(2)
	v_cndmask_b32_e64 v70, v38, v40, s[26:27]
	s_waitcnt lgkmcnt(1)
	v_cndmask_b32_e64 v92, v45, v46, s[26:27]
	;; [unrolled: 2-line block ×3, first 2 shown]
	v_cndmask_b32_e64 v38, v70, v74, s[0:1]
	v_cmp_eq_u32_e64 s[26:27], 0, v91
	v_cndmask_b32_e64 v39, v71, v75, s[0:1]
	v_cndmask_b32_e64 v38, 0, v38, s[26:27]
	;; [unrolled: 1-line block ×3, first 2 shown]
	v_add_co_u32_e64 v46, s[26:27], v38, v18
	v_addc_co_u32_e64 v47, s[26:27], v39, v19, s[26:27]
	v_cndmask_b32_e64 v19, 0, v46, s[24:25]
	v_cndmask_b32_e64 v18, 0, v47, s[24:25]
	v_add_co_u32_e64 v48, s[24:25], v19, v20
	v_addc_co_u32_e64 v49, s[24:25], v18, v21, s[24:25]
	v_cndmask_b32_e64 v19, 0, v48, s[22:23]
	v_cndmask_b32_e64 v18, 0, v49, s[22:23]
	v_add_co_u32_e64 v50, s[22:23], v19, v34
	v_addc_co_u32_e64 v51, s[22:23], v18, v35, s[22:23]
	v_cndmask_b32_e64 v19, 0, v50, s[20:21]
	v_cndmask_b32_e64 v18, 0, v51, s[20:21]
	v_add_co_u32_e64 v52, s[20:21], v19, v14
	v_addc_co_u32_e64 v53, s[20:21], v18, v15, s[20:21]
	v_cndmask_b32_e64 v15, 0, v52, s[18:19]
	v_cndmask_b32_e64 v14, 0, v53, s[18:19]
	v_add_co_u32_e64 v54, s[18:19], v15, v36
	v_addc_co_u32_e64 v55, s[18:19], v14, v37, s[18:19]
	v_cndmask_b32_e64 v15, 0, v54, s[14:15]
	v_cndmask_b32_e64 v14, 0, v55, s[14:15]
	v_add_co_u32_e64 v56, s[14:15], v15, v16
	v_addc_co_u32_e64 v57, s[14:15], v14, v17, s[14:15]
	v_cndmask_b32_e64 v15, 0, v56, s[16:17]
	v_cndmask_b32_e64 v14, 0, v57, s[16:17]
	v_add_co_u32_e64 v58, s[14:15], v15, v32
	v_addc_co_u32_e64 v59, s[14:15], v14, v33, s[14:15]
	v_cndmask_b32_e64 v15, 0, v58, s[10:11]
	v_cndmask_b32_e64 v14, 0, v59, s[10:11]
	v_add_co_u32_e64 v60, s[10:11], v15, v10
	v_addc_co_u32_e64 v61, s[10:11], v14, v11, s[10:11]
	v_cndmask_b32_e64 v11, 0, v60, s[12:13]
	v_cndmask_b32_e64 v10, 0, v61, s[12:13]
	v_add_co_u32_e64 v62, s[10:11], v11, v30
	v_addc_co_u32_e64 v63, s[10:11], v10, v31, s[10:11]
	v_cndmask_b32_e64 v11, 0, v62, s[6:7]
	v_cndmask_b32_e64 v10, 0, v63, s[6:7]
	v_add_co_u32_e64 v64, s[6:7], v11, v12
	v_addc_co_u32_e64 v65, s[6:7], v10, v13, s[6:7]
	v_cndmask_b32_e64 v11, 0, v64, s[8:9]
	v_cndmask_b32_e64 v10, 0, v65, s[8:9]
	v_add_co_u32_e64 v66, s[6:7], v11, v28
	v_addc_co_u32_e64 v67, s[6:7], v10, v29, s[6:7]
	v_cndmask_b32_e64 v11, 0, v66, s[2:3]
	v_cndmask_b32_e64 v10, 0, v67, s[2:3]
	v_add_co_u32_e64 v68, s[2:3], v11, v2
	v_addc_co_u32_e64 v69, s[2:3], v10, v3, s[2:3]
	v_cndmask_b32_e64 v3, 0, v68, s[4:5]
	ds_read_b32 v40, v44 offset:1104
	v_cndmask_b32_e64 v2, 0, v69, s[4:5]
	v_add_co_u32_e64 v72, s[2:3], v3, v26
	v_addc_co_u32_e64 v73, s[2:3], v2, v27, s[2:3]
	ds_read_b64 v[2:3], v44 offset:1112
	v_cndmask_b32_e32 v77, 0, v73, vcc
	v_cndmask_b32_e32 v76, 0, v72, vcc
	s_waitcnt lgkmcnt(1)
	v_cmp_eq_u32_e32 vcc, 0, v40
	v_cndmask_b32_e32 v11, 0, v74, vcc
	v_cndmask_b32_e32 v10, 0, v75, vcc
	s_waitcnt lgkmcnt(0)
	v_add_co_u32_e32 v42, vcc, v11, v2
	v_addc_co_u32_e32 v43, vcc, v10, v3, vcc
	s_and_saveexec_b64 s[2:3], s[0:1]
	s_cbranch_execz .LBB2064_157
; %bb.156:
	v_mov_b32_e32 v92, 0
	v_mov_b32_e32 v2, 2
	v_pk_mov_b32 v[70:71], v[74:75], v[74:75] op_sel:[0,1]
	global_store_dword v92, v40, s[42:43] offset:1024
	global_store_dwordx2 v92, v[42:43], s[42:43] offset:1032
	s_waitcnt vmcnt(0)
	buffer_wbinvl1_vol
	global_store_byte v92, v2, s[44:45] offset:64
.LBB2064_157:
	s_or_b64 exec, exec, s[2:3]
	v_mov_b32_e32 v44, 0
.LBB2064_158:
	s_and_b64 s[2:3], s[30:31], exec
	s_cselect_b32 s3, 0, s55
	s_cselect_b32 s2, 0, s54
	s_cmp_eq_u64 s[2:3], 0
	v_pk_mov_b32 v[10:11], 0, 0
	s_barrier
	s_cbranch_scc1 .LBB2064_160
; %bb.159:
	v_mov_b32_e32 v2, 0
	global_load_dwordx2 v[10:11], v2, s[2:3]
.LBB2064_160:
	s_waitcnt vmcnt(0)
	v_lshlrev_b64 v[2:3], 1, v[10:11]
	v_mov_b32_e32 v12, s57
	v_add_co_u32_e32 v13, vcc, s56, v2
	v_mov_b32_e32 v45, 0
	v_addc_co_u32_e32 v12, vcc, v12, v3, vcc
	v_lshlrev_b64 v[2:3], 1, v[44:45]
	v_add_co_u32_e32 v32, vcc, v13, v2
	v_addc_co_u32_e32 v33, vcc, v12, v3, vcc
	v_cmp_eq_u32_e32 vcc, 0, v91
	v_cndmask_b32_e64 v2, 1, 2, vcc
	v_cmp_eq_u32_e32 vcc, 0, v89
	v_cndmask_b32_e64 v3, 1, 2, vcc
	v_cmp_eq_u32_e32 vcc, 0, v90
	v_and_b32_e32 v2, v3, v2
	v_cndmask_b32_e64 v3, 1, 2, vcc
	v_cmp_eq_u32_e32 vcc, 0, v88
	v_add_u32_e32 v31, v92, v91
	v_and_b32_e32 v2, v2, v3
	v_cndmask_b32_e64 v3, 1, 2, vcc
	v_cmp_eq_u32_e32 vcc, 0, v85
	v_add_u32_e32 v30, v31, v89
	;; [unrolled: 4-line block ×12, first 2 shown]
	v_and_b32_e32 v2, v2, v3
	v_cndmask_b32_e64 v3, 1, 2, vcc
	s_movk_i32 s34, 0x100
	v_add_u32_e32 v15, v16, v25
	v_and_b32_e32 v2, v2, v3
	v_cmp_gt_u32_e32 vcc, s34, v40
	v_add_u32_e32 v14, v15, v80
	v_cmp_ne_u32_e64 s[30:31], 0, v91
	v_cmp_ne_u32_e64 s[28:29], 0, v89
	;; [unrolled: 1-line block ×15, first 2 shown]
	s_mov_b64 s[36:37], -1
	v_cmp_gt_i16_e64 s[34:35], 2, v2
	s_cbranch_vccz .LBB2064_167
; %bb.161:
	s_and_saveexec_b64 s[36:37], s[34:35]
	s_cbranch_execz .LBB2064_166
; %bb.162:
	v_cmp_ne_u16_e32 vcc, 1, v2
	s_mov_b64 s[38:39], 0
	s_and_saveexec_b64 s[34:35], vcc
	s_xor_b64 s[34:35], exec, s[34:35]
	s_cbranch_execnz .LBB2064_211
; %bb.163:
	s_andn2_saveexec_b64 s[34:35], s[34:35]
	s_cbranch_execnz .LBB2064_227
.LBB2064_164:
	s_or_b64 exec, exec, s[34:35]
	s_and_b64 exec, exec, s[38:39]
	s_cbranch_execz .LBB2064_166
.LBB2064_165:
	v_sub_u32_e32 v12, v14, v44
	v_mov_b32_e32 v13, 0
	v_lshlrev_b64 v[12:13], 1, v[12:13]
	v_add_co_u32_e32 v12, vcc, v32, v12
	v_addc_co_u32_e32 v13, vcc, v33, v13, vcc
	global_store_short v[12:13], v1, off
.LBB2064_166:
	s_or_b64 exec, exec, s[36:37]
	s_mov_b64 s[36:37], 0
.LBB2064_167:
	s_and_b64 vcc, exec, s[36:37]
	s_cbranch_vccz .LBB2064_189
; %bb.168:
	v_cmp_gt_i16_e32 vcc, 2, v2
	s_and_saveexec_b64 s[34:35], vcc
	s_cbranch_execz .LBB2064_173
; %bb.169:
	v_cmp_ne_u16_e32 vcc, 1, v2
	s_mov_b64 s[38:39], 0
	s_and_saveexec_b64 s[36:37], vcc
	s_xor_b64 s[36:37], exec, s[36:37]
	s_cbranch_execnz .LBB2064_228
; %bb.170:
	s_andn2_saveexec_b64 s[2:3], s[36:37]
	s_cbranch_execnz .LBB2064_244
.LBB2064_171:
	s_or_b64 exec, exec, s[2:3]
	s_and_b64 exec, exec, s[38:39]
	s_cbranch_execz .LBB2064_173
.LBB2064_172:
	v_sub_u32_e32 v2, v14, v44
	v_lshlrev_b32_e32 v2, 1, v2
	ds_write_b16 v2, v1
.LBB2064_173:
	s_or_b64 exec, exec, s[34:35]
	v_cmp_lt_u32_e32 vcc, v0, v40
	s_waitcnt lgkmcnt(0)
	s_barrier
	s_and_saveexec_b64 s[4:5], vcc
	s_cbranch_execz .LBB2064_188
; %bb.174:
	v_xad_u32 v1, v0, -1, v40
	s_movk_i32 s2, 0x1700
	v_cmp_gt_u32_e64 s[6:7], s2, v1
	s_movk_i32 s2, 0x16ff
	v_cmp_lt_u32_e32 vcc, s2, v1
	v_mov_b32_e32 v2, v0
	s_and_saveexec_b64 s[8:9], vcc
	s_cbranch_execz .LBB2064_185
; %bb.175:
	v_sub_u32_e32 v2, v0, v40
	v_or_b32_e32 v2, 0xff, v2
	v_cmp_ge_u32_e32 vcc, v2, v0
	s_mov_b64 s[2:3], -1
	v_mov_b32_e32 v2, v0
	s_and_saveexec_b64 s[10:11], vcc
	s_cbranch_execz .LBB2064_184
; %bb.176:
	v_lshrrev_b32_e32 v22, 8, v1
	v_add_u32_e32 v6, -3, v22
	v_or_b32_e32 v3, 0x300, v0
	v_or_b32_e32 v2, 0x200, v0
	v_lshrrev_b32_e32 v7, 2, v6
	v_or_b32_e32 v1, 0x100, v0
	v_add_u32_e32 v24, 1, v7
	v_cmp_lt_u32_e32 vcc, 11, v6
	v_pk_mov_b32 v[8:9], v[2:3], v[2:3] op_sel:[0,1]
	v_mov_b32_e32 v36, 0
	v_lshlrev_b32_e32 v23, 1, v0
	v_pk_mov_b32 v[6:7], v[0:1], v[0:1] op_sel:[0,1]
	s_and_saveexec_b64 s[12:13], vcc
	s_cbranch_execz .LBB2064_180
; %bb.177:
	v_pk_mov_b32 v[8:9], v[2:3], v[2:3] op_sel:[0,1]
	v_and_b32_e32 v34, 0x7ffffffc, v24
	s_mov_b32 s16, 0
	s_mov_b64 s[14:15], 0
	v_mov_b32_e32 v13, 0
	v_mov_b32_e32 v35, v23
	v_pk_mov_b32 v[6:7], v[0:1], v[0:1] op_sel:[0,1]
.LBB2064_178:                           ; =>This Inner Loop Header: Depth=1
	v_mov_b32_e32 v12, v6
	v_lshlrev_b64 v[104:105], 1, v[12:13]
	v_add_u32_e32 v38, 0x400, v7
	v_mov_b32_e32 v39, v13
	v_add_co_u32_e64 v104, s[2:3], v32, v104
	v_lshlrev_b64 v[38:39], 1, v[38:39]
	v_addc_co_u32_e64 v105, s[2:3], v33, v105, s[2:3]
	v_add_u32_e32 v36, 0x400, v8
	v_mov_b32_e32 v37, v13
	v_add_co_u32_e64 v38, s[2:3], v32, v38
	v_lshlrev_b64 v[106:107], 1, v[36:37]
	v_addc_co_u32_e64 v39, s[2:3], v33, v39, s[2:3]
	v_add_u32_e32 v2, 0x400, v9
	v_mov_b32_e32 v3, v13
	v_add_co_u32_e64 v106, s[2:3], v32, v106
	v_add_u32_e32 v34, -4, v34
	v_mov_b32_e32 v12, v7
	v_lshlrev_b64 v[2:3], 1, v[2:3]
	v_addc_co_u32_e64 v107, s[2:3], v33, v107, s[2:3]
	v_add_u32_e32 v96, 0x800, v7
	v_mov_b32_e32 v97, v13
	s_add_i32 s16, s16, 16
	v_cmp_eq_u32_e32 vcc, 0, v34
	v_lshlrev_b64 v[108:109], 1, v[12:13]
	v_add_co_u32_e64 v2, s[2:3], v32, v2
	v_lshlrev_b64 v[96:97], 1, v[96:97]
	v_mov_b32_e32 v12, v8
	v_addc_co_u32_e64 v3, s[2:3], v33, v3, s[2:3]
	s_or_b64 s[14:15], vcc, s[14:15]
	v_add_co_u32_e32 v108, vcc, v32, v108
	v_add_u32_e32 v94, 0x800, v8
	v_mov_b32_e32 v95, v13
	v_add_co_u32_e64 v96, s[2:3], v32, v96
	v_addc_co_u32_e32 v109, vcc, v33, v109, vcc
	v_lshlrev_b64 v[110:111], 1, v[12:13]
	v_lshlrev_b64 v[94:95], 1, v[94:95]
	v_addc_co_u32_e64 v97, s[2:3], v33, v97, s[2:3]
	v_mov_b32_e32 v12, v9
	v_add_co_u32_e32 v110, vcc, v32, v110
	ds_read_u16 v1, v35
	ds_read_u16 v41, v35 offset:512
	ds_read_u16 v93, v35 offset:1024
	;; [unrolled: 1-line block ×7, first 2 shown]
	v_add_u32_e32 v74, 0x800, v9
	v_mov_b32_e32 v75, v13
	v_add_co_u32_e64 v94, s[2:3], v32, v94
	v_addc_co_u32_e32 v111, vcc, v33, v111, vcc
	v_lshlrev_b64 v[112:113], 1, v[12:13]
	v_lshlrev_b64 v[74:75], 1, v[74:75]
	v_addc_co_u32_e64 v95, s[2:3], v33, v95, s[2:3]
	v_add_u32_e32 v12, 0x400, v6
	v_add_co_u32_e32 v112, vcc, v32, v112
	v_add_u32_e32 v102, 0xc00, v7
	v_mov_b32_e32 v103, v13
	ds_read_u16 v119, v35 offset:4096
	ds_read_u16 v120, v35 offset:4608
	;; [unrolled: 1-line block ×8, first 2 shown]
	v_add_co_u32_e64 v74, s[2:3], v32, v74
	v_addc_co_u32_e32 v113, vcc, v33, v113, vcc
	s_waitcnt lgkmcnt(14)
	global_store_short v[104:105], v1, off
	global_store_short v[108:109], v41, off
	s_waitcnt lgkmcnt(13)
	global_store_short v[110:111], v93, off
	v_lshlrev_b64 v[104:105], 1, v[12:13]
	v_lshlrev_b64 v[102:103], 1, v[102:103]
	v_addc_co_u32_e64 v75, s[2:3], v33, v75, s[2:3]
	v_add_u32_e32 v12, 0x800, v6
	v_add_co_u32_e32 v104, vcc, v32, v104
	v_add_u32_e32 v100, 0xc00, v8
	v_mov_b32_e32 v101, v13
	v_add_co_u32_e64 v102, s[2:3], v32, v102
	v_addc_co_u32_e32 v105, vcc, v33, v105, vcc
	v_lshlrev_b64 v[108:109], 1, v[12:13]
	v_lshlrev_b64 v[100:101], 1, v[100:101]
	v_addc_co_u32_e64 v103, s[2:3], v33, v103, s[2:3]
	s_waitcnt lgkmcnt(12)
	global_store_short v[112:113], v114, off
	v_add_u32_e32 v12, 0xc00, v6
	s_waitcnt lgkmcnt(11)
	global_store_short v[104:105], v115, off
	s_waitcnt lgkmcnt(10)
	global_store_short v[38:39], v116, off
	;; [unrolled: 2-line block ×4, first 2 shown]
	v_add_co_u32_e32 v2, vcc, v32, v108
	v_add_u32_e32 v98, 0xc00, v9
	v_mov_b32_e32 v99, v13
	v_add_co_u32_e64 v100, s[2:3], v32, v100
	v_addc_co_u32_e32 v3, vcc, v33, v109, vcc
	v_lshlrev_b64 v[38:39], 1, v[12:13]
	v_lshlrev_b64 v[98:99], 1, v[98:99]
	v_addc_co_u32_e64 v101, s[2:3], v33, v101, s[2:3]
	s_waitcnt lgkmcnt(7)
	global_store_short v[2:3], v119, off
	s_waitcnt lgkmcnt(6)
	global_store_short v[96:97], v120, off
	;; [unrolled: 2-line block ×4, first 2 shown]
	v_add_co_u32_e32 v2, vcc, v32, v38
	v_add_u32_e32 v35, 0x2000, v35
	v_add_u32_e32 v7, 0x1000, v7
	v_mov_b32_e32 v36, s16
	v_add_co_u32_e64 v98, s[2:3], v32, v98
	v_add_u32_e32 v8, 0x1000, v8
	v_add_u32_e32 v9, 0x1000, v9
	;; [unrolled: 1-line block ×3, first 2 shown]
	v_addc_co_u32_e32 v3, vcc, v33, v39, vcc
	v_addc_co_u32_e64 v99, s[2:3], v33, v99, s[2:3]
	s_waitcnt lgkmcnt(3)
	global_store_short v[2:3], v123, off
	s_waitcnt lgkmcnt(2)
	global_store_short v[102:103], v124, off
	;; [unrolled: 2-line block ×4, first 2 shown]
	s_andn2_b64 exec, exec, s[14:15]
	s_cbranch_execnz .LBB2064_178
; %bb.179:
	s_or_b64 exec, exec, s[14:15]
.LBB2064_180:
	s_or_b64 exec, exec, s[12:13]
	v_and_b32_e32 v1, 3, v24
	v_cmp_ne_u32_e32 vcc, 0, v1
	s_and_saveexec_b64 s[12:13], vcc
	s_cbranch_execz .LBB2064_183
; %bb.181:
	v_lshl_or_b32 v12, v36, 9, v23
	s_mov_b64 s[14:15], 0
	v_mov_b32_e32 v3, 0
.LBB2064_182:                           ; =>This Inner Loop Header: Depth=1
	v_mov_b32_e32 v2, v6
	v_add_u32_e32 v1, -1, v1
	v_lshlrev_b64 v[34:35], 1, v[2:3]
	v_mov_b32_e32 v2, v7
	v_cmp_eq_u32_e32 vcc, 0, v1
	v_lshlrev_b64 v[36:37], 1, v[2:3]
	ds_read_u16 v13, v12
	ds_read_u16 v23, v12 offset:512
	ds_read_u16 v24, v12 offset:1024
	;; [unrolled: 1-line block ×3, first 2 shown]
	v_mov_b32_e32 v2, v8
	s_or_b64 s[14:15], vcc, s[14:15]
	v_add_co_u32_e32 v36, vcc, v32, v36
	v_addc_co_u32_e32 v37, vcc, v33, v37, vcc
	v_lshlrev_b64 v[38:39], 1, v[2:3]
	v_mov_b32_e32 v2, v9
	v_add_co_u32_e32 v38, vcc, v32, v38
	v_add_co_u32_e64 v34, s[2:3], v32, v34
	v_addc_co_u32_e32 v39, vcc, v33, v39, vcc
	v_lshlrev_b64 v[74:75], 1, v[2:3]
	v_add_u32_e32 v6, 0x400, v6
	v_add_u32_e32 v12, 0x800, v12
	;; [unrolled: 1-line block ×3, first 2 shown]
	v_addc_co_u32_e64 v35, s[2:3], v33, v35, s[2:3]
	v_add_u32_e32 v8, 0x400, v8
	v_add_u32_e32 v9, 0x400, v9
	v_add_co_u32_e32 v74, vcc, v32, v74
	v_addc_co_u32_e32 v75, vcc, v33, v75, vcc
	s_waitcnt lgkmcnt(3)
	global_store_short v[34:35], v13, off
	s_waitcnt lgkmcnt(2)
	global_store_short v[36:37], v23, off
	;; [unrolled: 2-line block ×4, first 2 shown]
	s_andn2_b64 exec, exec, s[14:15]
	s_cbranch_execnz .LBB2064_182
.LBB2064_183:
	s_or_b64 exec, exec, s[12:13]
	v_add_u32_e32 v1, 1, v22
	v_and_b32_e32 v3, 0x1fffffc, v1
	v_cmp_ne_u32_e32 vcc, v1, v3
	v_lshl_or_b32 v2, v3, 8, v0
	s_orn2_b64 s[2:3], vcc, exec
.LBB2064_184:
	s_or_b64 exec, exec, s[10:11]
	s_andn2_b64 s[6:7], s[6:7], exec
	s_and_b64 s[2:3], s[2:3], exec
	s_or_b64 s[6:7], s[6:7], s[2:3]
.LBB2064_185:
	s_or_b64 exec, exec, s[8:9]
	s_and_b64 exec, exec, s[6:7]
	s_cbranch_execz .LBB2064_188
; %bb.186:
	v_lshlrev_b32_e32 v1, 1, v2
	s_mov_b64 s[2:3], 0
	v_mov_b32_e32 v3, 0
.LBB2064_187:                           ; =>This Inner Loop Header: Depth=1
	v_lshlrev_b64 v[6:7], 1, v[2:3]
	ds_read_u16 v8, v1
	v_add_co_u32_e32 v6, vcc, v32, v6
	v_add_u32_e32 v2, 0x100, v2
	v_addc_co_u32_e32 v7, vcc, v33, v7, vcc
	v_cmp_ge_u32_e32 vcc, v2, v40
	v_add_u32_e32 v1, 0x200, v1
	s_or_b64 s[2:3], vcc, s[2:3]
	s_waitcnt lgkmcnt(0)
	global_store_short v[6:7], v8, off
	s_andn2_b64 exec, exec, s[2:3]
	s_cbranch_execnz .LBB2064_187
.LBB2064_188:
	s_or_b64 exec, exec, s[4:5]
.LBB2064_189:
	s_cmpk_lg_i32 s33, 0xf00
	s_cselect_b64 s[2:3], -1, 0
	v_cndmask_b32_e64 v8, 0, 1, s[50:51]
	s_and_b64 s[2:3], s[2:3], s[48:49]
	v_add_co_u32_e32 v2, vcc, v76, v4
	v_sub_u32_e32 v1, v40, v8
	v_cndmask_b32_e64 v4, 0, 1, s[2:3]
	s_and_b64 s[0:1], s[0:1], s[50:51]
	v_add_u32_e32 v1, v1, v4
	v_cndmask_b32_e64 v4, v91, 0, s[0:1]
	s_mul_hi_u32 s0, s33, 0x88888889
	v_addc_co_u32_e32 v3, vcc, v77, v5, vcc
	s_lshr_b32 s0, s0, 3
	v_mad_i32_i24 v5, v0, -15, s33
	v_cmp_eq_u32_e32 vcc, s0, v0
	v_cmp_ne_u32_e64 s[0:1], 0, v5
	v_cndmask_b32_e64 v6, 1, v4, s[0:1]
	v_cmp_ne_u32_e64 s[0:1], 1, v5
	v_cndmask_b32_e64 v7, 1, v89, s[0:1]
	;; [unrolled: 2-line block ×15, first 2 shown]
	s_and_b64 vcc, vcc, s[48:49]
	v_cndmask_b32_e32 v38, v81, v5, vcc
	v_cndmask_b32_e32 v39, v4, v6, vcc
	v_lshlrev_b64 v[4:5], 3, v[10:11]
	v_cndmask_b32_e32 v37, v80, v37, vcc
	v_cndmask_b32_e32 v25, v25, v36, vcc
	;; [unrolled: 1-line block ×13, first 2 shown]
	v_mov_b32_e32 v6, s59
	v_add_co_u32_e32 v7, vcc, s58, v4
	v_addc_co_u32_e32 v6, vcc, v6, v5, vcc
	v_lshlrev_b64 v[4:5], 3, v[44:45]
	v_add_co_u32_e32 v4, vcc, v7, v4
	v_addc_co_u32_e32 v5, vcc, v6, v5, vcc
	v_lshlrev_b32_e32 v6, 3, v8
	v_add_co_u32_e32 v6, vcc, v6, v4
	v_addc_co_u32_e32 v7, vcc, 0, v5, vcc
	v_add_co_u32_e32 v6, vcc, -8, v6
	v_addc_co_u32_e32 v7, vcc, -1, v7, vcc
	v_cmp_eq_u32_e32 vcc, 0, v39
	v_cmp_ne_u32_e64 s[28:29], 0, v39
	v_cndmask_b32_e64 v39, 1, 2, vcc
	v_cmp_eq_u32_e32 vcc, 0, v36
	v_cmp_ne_u32_e64 s[26:27], 0, v36
	v_cndmask_b32_e64 v36, 1, 2, vcc
	v_cmp_eq_u32_e32 vcc, 0, v9
	v_and_b32_e32 v36, v36, v39
	v_cmp_ne_u32_e64 s[24:25], 0, v9
	v_cndmask_b32_e64 v9, 1, 2, vcc
	v_cmp_eq_u32_e32 vcc, 0, v12
	v_and_b32_e32 v9, v36, v9
	;; [unrolled: 4-line block ×3, first 2 shown]
	v_cndmask_b32_e64 v12, 1, 2, vcc
	v_cmp_eq_u32_e32 vcc, 0, v22
	v_and_b32_e32 v9, v9, v12
	v_cndmask_b32_e64 v12, 1, 2, vcc
	v_cmp_eq_u32_e32 vcc, 0, v23
	v_and_b32_e32 v9, v9, v12
	;; [unrolled: 3-line block ×10, first 2 shown]
	v_cndmask_b32_e64 v12, 1, 2, vcc
	s_movk_i32 s30, 0x100
	v_and_b32_e32 v9, v9, v12
	v_cmp_gt_u32_e32 vcc, s30, v1
	v_add_u32_e32 v8, v44, v8
	v_cmp_ne_u32_e64 s[20:21], 0, v13
	v_cmp_ne_u32_e64 s[18:19], 0, v22
	;; [unrolled: 1-line block ×11, first 2 shown]
	s_mov_b64 s[34:35], -1
	v_cmp_gt_i16_e64 s[30:31], 2, v9
	s_barrier
	s_cbranch_vccz .LBB2064_196
; %bb.190:
	s_and_saveexec_b64 s[34:35], s[30:31]
	s_cbranch_execz .LBB2064_195
; %bb.191:
	v_cmp_ne_u16_e32 vcc, 1, v9
	s_mov_b64 s[36:37], 0
	s_and_saveexec_b64 s[30:31], vcc
	s_xor_b64 s[30:31], exec, s[30:31]
	s_cbranch_execnz .LBB2064_245
; %bb.192:
	s_andn2_saveexec_b64 s[30:31], s[30:31]
	s_cbranch_execnz .LBB2064_261
.LBB2064_193:
	s_or_b64 exec, exec, s[30:31]
	s_and_b64 exec, exec, s[36:37]
	s_cbranch_execz .LBB2064_195
.LBB2064_194:
	v_sub_u32_e32 v12, v14, v8
	v_mov_b32_e32 v13, 0
	v_lshlrev_b64 v[12:13], 3, v[12:13]
	v_add_co_u32_e32 v12, vcc, v6, v12
	v_addc_co_u32_e32 v13, vcc, v7, v13, vcc
	global_store_dwordx2 v[12:13], v[2:3], off
.LBB2064_195:
	s_or_b64 exec, exec, s[34:35]
	s_mov_b64 s[34:35], 0
.LBB2064_196:
	s_and_b64 vcc, exec, s[34:35]
	s_cbranch_vccz .LBB2064_206
; %bb.197:
	v_cmp_gt_i16_e32 vcc, 2, v9
	s_and_saveexec_b64 s[30:31], vcc
	s_cbranch_execz .LBB2064_202
; %bb.198:
	v_cmp_ne_u16_e32 vcc, 1, v9
	s_mov_b64 s[36:37], 0
	s_and_saveexec_b64 s[34:35], vcc
	s_xor_b64 s[34:35], exec, s[34:35]
	s_cbranch_execnz .LBB2064_262
; %bb.199:
	s_andn2_saveexec_b64 s[0:1], s[34:35]
	s_cbranch_execnz .LBB2064_278
.LBB2064_200:
	s_or_b64 exec, exec, s[0:1]
	s_and_b64 exec, exec, s[36:37]
	s_cbranch_execz .LBB2064_202
.LBB2064_201:
	v_sub_u32_e32 v8, v14, v8
	v_lshlrev_b32_e32 v8, 3, v8
	ds_write_b64 v8, v[2:3]
.LBB2064_202:
	s_or_b64 exec, exec, s[30:31]
	v_cmp_lt_u32_e32 vcc, v0, v1
	s_waitcnt lgkmcnt(0)
	s_barrier
	s_and_saveexec_b64 s[0:1], vcc
	s_cbranch_execz .LBB2064_205
; %bb.203:
	v_lshlrev_b32_e32 v8, 3, v0
	s_mov_b64 s[2:3], 0
	v_mov_b32_e32 v3, 0
	v_mov_b32_e32 v2, v0
.LBB2064_204:                           ; =>This Inner Loop Header: Depth=1
	v_lshlrev_b64 v[12:13], 3, v[2:3]
	ds_read_b64 v[14:15], v8
	v_add_co_u32_e32 v12, vcc, v6, v12
	v_add_u32_e32 v2, 0x100, v2
	v_addc_co_u32_e32 v13, vcc, v7, v13, vcc
	v_cmp_ge_u32_e32 vcc, v2, v1
	v_add_u32_e32 v8, 0x800, v8
	s_or_b64 s[2:3], vcc, s[2:3]
	s_waitcnt lgkmcnt(0)
	global_store_dwordx2 v[12:13], v[14:15], off
	s_andn2_b64 exec, exec, s[2:3]
	s_cbranch_execnz .LBB2064_204
.LBB2064_205:
	s_or_b64 exec, exec, s[0:1]
.LBB2064_206:
	s_movk_i32 s0, 0xff
	v_cmp_eq_u32_e32 vcc, s0, v0
	s_and_b64 s[0:1], vcc, s[48:49]
	s_and_saveexec_b64 s[2:3], s[0:1]
	s_cbranch_execz .LBB2064_209
; %bb.207:
	v_add_co_u32_e32 v0, vcc, v40, v44
	v_addc_co_u32_e64 v1, s[0:1], 0, 0, vcc
	v_add_co_u32_e32 v0, vcc, v0, v10
	v_mov_b32_e32 v41, 0
	v_addc_co_u32_e32 v1, vcc, v1, v11, vcc
	s_cmpk_lg_i32 s33, 0xf00
	global_store_dwordx2 v41, v[0:1], s[60:61]
	s_cbranch_scc1 .LBB2064_209
; %bb.208:
	v_lshlrev_b64 v[0:1], 3, v[40:41]
	v_add_co_u32_e32 v0, vcc, v4, v0
	v_addc_co_u32_e32 v1, vcc, v5, v1, vcc
	global_store_dwordx2 v[0:1], v[42:43], off offset:-8
.LBB2064_209:
	s_endpgm
.LBB2064_210:
	s_or_b64 exec, exec, s[4:5]
	v_mov_b32_e32 v91, s14
	s_and_saveexec_b64 s[2:3], s[8:9]
	s_cbranch_execnz .LBB2064_58
	s_branch .LBB2064_59
.LBB2064_211:
	s_and_saveexec_b64 s[38:39], s[30:31]
	s_cbranch_execnz .LBB2064_279
; %bb.212:
	s_or_b64 exec, exec, s[38:39]
	s_and_saveexec_b64 s[38:39], s[28:29]
	s_cbranch_execnz .LBB2064_280
.LBB2064_213:
	s_or_b64 exec, exec, s[38:39]
	s_and_saveexec_b64 s[38:39], s[26:27]
	s_cbranch_execnz .LBB2064_281
.LBB2064_214:
	s_or_b64 exec, exec, s[38:39]
	s_and_saveexec_b64 s[38:39], s[24:25]
	s_cbranch_execnz .LBB2064_282
.LBB2064_215:
	s_or_b64 exec, exec, s[38:39]
	s_and_saveexec_b64 s[38:39], s[22:23]
	s_cbranch_execnz .LBB2064_283
.LBB2064_216:
	s_or_b64 exec, exec, s[38:39]
	s_and_saveexec_b64 s[38:39], s[20:21]
	s_cbranch_execnz .LBB2064_284
.LBB2064_217:
	s_or_b64 exec, exec, s[38:39]
	s_and_saveexec_b64 s[38:39], s[18:19]
	s_cbranch_execnz .LBB2064_285
.LBB2064_218:
	s_or_b64 exec, exec, s[38:39]
	s_and_saveexec_b64 s[38:39], s[16:17]
	s_cbranch_execnz .LBB2064_286
.LBB2064_219:
	s_or_b64 exec, exec, s[38:39]
	s_and_saveexec_b64 s[38:39], s[14:15]
	s_cbranch_execnz .LBB2064_287
.LBB2064_220:
	s_or_b64 exec, exec, s[38:39]
	s_and_saveexec_b64 s[38:39], s[12:13]
	s_cbranch_execnz .LBB2064_288
.LBB2064_221:
	s_or_b64 exec, exec, s[38:39]
	s_and_saveexec_b64 s[38:39], s[10:11]
	s_cbranch_execnz .LBB2064_289
.LBB2064_222:
	s_or_b64 exec, exec, s[38:39]
	s_and_saveexec_b64 s[38:39], s[8:9]
	s_cbranch_execnz .LBB2064_290
.LBB2064_223:
	s_or_b64 exec, exec, s[38:39]
	s_and_saveexec_b64 s[38:39], s[6:7]
	s_cbranch_execnz .LBB2064_291
.LBB2064_224:
	s_or_b64 exec, exec, s[38:39]
	s_and_saveexec_b64 s[38:39], s[4:5]
	s_cbranch_execz .LBB2064_226
.LBB2064_225:
	v_sub_u32_e32 v12, v15, v44
	v_mov_b32_e32 v13, 0
	v_lshlrev_b64 v[12:13], 1, v[12:13]
	v_add_co_u32_e32 v12, vcc, v32, v12
	v_addc_co_u32_e32 v13, vcc, v33, v13, vcc
	global_store_short_d16_hi v[12:13], v24, off
.LBB2064_226:
	s_or_b64 exec, exec, s[38:39]
	s_and_b64 s[38:39], s[2:3], exec
	s_andn2_saveexec_b64 s[34:35], s[34:35]
	s_cbranch_execz .LBB2064_164
.LBB2064_227:
	v_sub_u32_e32 v12, v92, v44
	v_mov_b32_e32 v13, 0
	v_lshlrev_b64 v[34:35], 1, v[12:13]
	v_add_co_u32_e32 v34, vcc, v32, v34
	v_addc_co_u32_e32 v35, vcc, v33, v35, vcc
	v_sub_u32_e32 v12, v31, v44
	global_store_short v[34:35], v6, off
	v_lshlrev_b64 v[34:35], 1, v[12:13]
	v_add_co_u32_e32 v34, vcc, v32, v34
	v_addc_co_u32_e32 v35, vcc, v33, v35, vcc
	v_sub_u32_e32 v12, v30, v44
	global_store_short_d16_hi v[34:35], v6, off
	v_lshlrev_b64 v[34:35], 1, v[12:13]
	v_add_co_u32_e32 v34, vcc, v32, v34
	v_addc_co_u32_e32 v35, vcc, v33, v35, vcc
	v_sub_u32_e32 v12, v29, v44
	global_store_short v[34:35], v7, off
	v_lshlrev_b64 v[34:35], 1, v[12:13]
	v_add_co_u32_e32 v34, vcc, v32, v34
	v_addc_co_u32_e32 v35, vcc, v33, v35, vcc
	v_sub_u32_e32 v12, v28, v44
	global_store_short_d16_hi v[34:35], v7, off
	;; [unrolled: 10-line block ×6, first 2 shown]
	v_lshlrev_b64 v[34:35], 1, v[12:13]
	v_add_co_u32_e32 v34, vcc, v32, v34
	v_sub_u32_e32 v12, v15, v44
	v_addc_co_u32_e32 v35, vcc, v33, v35, vcc
	v_lshlrev_b64 v[12:13], 1, v[12:13]
	v_add_co_u32_e32 v12, vcc, v32, v12
	v_addc_co_u32_e32 v13, vcc, v33, v13, vcc
	s_or_b64 s[38:39], s[38:39], exec
	global_store_short v[34:35], v24, off
	global_store_short_d16_hi v[12:13], v24, off
	s_or_b64 exec, exec, s[34:35]
	s_and_b64 exec, exec, s[38:39]
	s_cbranch_execnz .LBB2064_165
	s_branch .LBB2064_166
.LBB2064_228:
	s_and_saveexec_b64 s[38:39], s[30:31]
	s_cbranch_execnz .LBB2064_292
; %bb.229:
	s_or_b64 exec, exec, s[38:39]
	s_and_saveexec_b64 s[30:31], s[28:29]
	s_cbranch_execnz .LBB2064_293
.LBB2064_230:
	s_or_b64 exec, exec, s[30:31]
	s_and_saveexec_b64 s[28:29], s[26:27]
	s_cbranch_execnz .LBB2064_294
.LBB2064_231:
	s_or_b64 exec, exec, s[28:29]
	s_and_saveexec_b64 s[26:27], s[24:25]
	s_cbranch_execnz .LBB2064_295
.LBB2064_232:
	s_or_b64 exec, exec, s[26:27]
	s_and_saveexec_b64 s[24:25], s[22:23]
	s_cbranch_execnz .LBB2064_296
.LBB2064_233:
	s_or_b64 exec, exec, s[24:25]
	s_and_saveexec_b64 s[22:23], s[20:21]
	s_cbranch_execnz .LBB2064_297
.LBB2064_234:
	s_or_b64 exec, exec, s[22:23]
	s_and_saveexec_b64 s[20:21], s[18:19]
	s_cbranch_execnz .LBB2064_298
.LBB2064_235:
	s_or_b64 exec, exec, s[20:21]
	s_and_saveexec_b64 s[18:19], s[16:17]
	s_cbranch_execnz .LBB2064_299
.LBB2064_236:
	s_or_b64 exec, exec, s[18:19]
	s_and_saveexec_b64 s[16:17], s[14:15]
	s_cbranch_execnz .LBB2064_300
.LBB2064_237:
	s_or_b64 exec, exec, s[16:17]
	s_and_saveexec_b64 s[14:15], s[12:13]
	s_cbranch_execnz .LBB2064_301
.LBB2064_238:
	s_or_b64 exec, exec, s[14:15]
	s_and_saveexec_b64 s[12:13], s[10:11]
	s_cbranch_execnz .LBB2064_302
.LBB2064_239:
	s_or_b64 exec, exec, s[12:13]
	s_and_saveexec_b64 s[10:11], s[8:9]
	s_cbranch_execnz .LBB2064_303
.LBB2064_240:
	s_or_b64 exec, exec, s[10:11]
	s_and_saveexec_b64 s[8:9], s[6:7]
	s_cbranch_execnz .LBB2064_304
.LBB2064_241:
	s_or_b64 exec, exec, s[8:9]
	s_and_saveexec_b64 s[6:7], s[4:5]
	s_cbranch_execz .LBB2064_243
.LBB2064_242:
	v_sub_u32_e32 v2, v15, v44
	v_lshlrev_b32_e32 v2, 1, v2
	ds_write_b16_d16_hi v2, v24
.LBB2064_243:
	s_or_b64 exec, exec, s[6:7]
	s_and_b64 s[38:39], s[2:3], exec
                                        ; implicit-def: $vgpr6
                                        ; implicit-def: $vgpr22
	s_andn2_saveexec_b64 s[2:3], s[36:37]
	s_cbranch_execz .LBB2064_171
.LBB2064_244:
	v_sub_u32_e32 v2, v92, v44
	v_lshlrev_b32_e32 v2, 1, v2
	ds_write_b16 v2, v6
	v_sub_u32_e32 v2, v31, v44
	v_lshlrev_b32_e32 v2, 1, v2
	ds_write_b16_d16_hi v2, v6
	v_sub_u32_e32 v2, v30, v44
	v_lshlrev_b32_e32 v2, 1, v2
	ds_write_b16 v2, v7
	v_sub_u32_e32 v2, v29, v44
	v_lshlrev_b32_e32 v2, 1, v2
	ds_write_b16_d16_hi v2, v7
	;; [unrolled: 6-line block ×6, first 2 shown]
	v_sub_u32_e32 v2, v16, v44
	v_lshlrev_b32_e32 v2, 1, v2
	ds_write_b16 v2, v24
	v_sub_u32_e32 v2, v15, v44
	v_lshlrev_b32_e32 v2, 1, v2
	s_or_b64 s[38:39], s[38:39], exec
	ds_write_b16_d16_hi v2, v24
	s_or_b64 exec, exec, s[2:3]
	s_and_b64 exec, exec, s[38:39]
	s_cbranch_execnz .LBB2064_172
	s_branch .LBB2064_173
.LBB2064_245:
	s_and_saveexec_b64 s[36:37], s[28:29]
	s_cbranch_execnz .LBB2064_305
; %bb.246:
	s_or_b64 exec, exec, s[36:37]
	s_and_saveexec_b64 s[36:37], s[26:27]
	s_cbranch_execnz .LBB2064_306
.LBB2064_247:
	s_or_b64 exec, exec, s[36:37]
	s_and_saveexec_b64 s[36:37], s[24:25]
	s_cbranch_execnz .LBB2064_307
.LBB2064_248:
	s_or_b64 exec, exec, s[36:37]
	s_and_saveexec_b64 s[36:37], s[22:23]
	s_cbranch_execnz .LBB2064_308
.LBB2064_249:
	s_or_b64 exec, exec, s[36:37]
	s_and_saveexec_b64 s[36:37], s[20:21]
	s_cbranch_execnz .LBB2064_309
.LBB2064_250:
	s_or_b64 exec, exec, s[36:37]
	s_and_saveexec_b64 s[36:37], s[18:19]
	s_cbranch_execnz .LBB2064_310
.LBB2064_251:
	s_or_b64 exec, exec, s[36:37]
	s_and_saveexec_b64 s[36:37], s[16:17]
	s_cbranch_execnz .LBB2064_311
.LBB2064_252:
	s_or_b64 exec, exec, s[36:37]
	s_and_saveexec_b64 s[36:37], s[14:15]
	s_cbranch_execnz .LBB2064_312
.LBB2064_253:
	s_or_b64 exec, exec, s[36:37]
	s_and_saveexec_b64 s[36:37], s[12:13]
	s_cbranch_execnz .LBB2064_313
.LBB2064_254:
	s_or_b64 exec, exec, s[36:37]
	s_and_saveexec_b64 s[36:37], s[10:11]
	s_cbranch_execnz .LBB2064_314
.LBB2064_255:
	s_or_b64 exec, exec, s[36:37]
	s_and_saveexec_b64 s[36:37], s[8:9]
	s_cbranch_execnz .LBB2064_315
.LBB2064_256:
	s_or_b64 exec, exec, s[36:37]
	s_and_saveexec_b64 s[36:37], s[6:7]
	s_cbranch_execnz .LBB2064_316
.LBB2064_257:
	s_or_b64 exec, exec, s[36:37]
	s_and_saveexec_b64 s[36:37], s[4:5]
	s_cbranch_execnz .LBB2064_317
.LBB2064_258:
	s_or_b64 exec, exec, s[36:37]
	s_and_saveexec_b64 s[36:37], s[2:3]
	s_cbranch_execz .LBB2064_260
.LBB2064_259:
	v_sub_u32_e32 v12, v15, v8
	v_mov_b32_e32 v13, 0
	v_lshlrev_b64 v[12:13], 3, v[12:13]
	v_add_co_u32_e32 v12, vcc, v6, v12
	v_addc_co_u32_e32 v13, vcc, v7, v13, vcc
	global_store_dwordx2 v[12:13], v[72:73], off
.LBB2064_260:
	s_or_b64 exec, exec, s[36:37]
	s_and_b64 s[36:37], s[0:1], exec
	s_andn2_saveexec_b64 s[30:31], s[30:31]
	s_cbranch_execz .LBB2064_193
.LBB2064_261:
	v_sub_u32_e32 v12, v92, v8
	v_mov_b32_e32 v13, 0
	v_lshlrev_b64 v[22:23], 3, v[12:13]
	v_add_co_u32_e32 v22, vcc, v6, v22
	v_addc_co_u32_e32 v23, vcc, v7, v23, vcc
	v_sub_u32_e32 v12, v31, v8
	global_store_dwordx2 v[22:23], v[70:71], off
	v_lshlrev_b64 v[22:23], 3, v[12:13]
	v_add_co_u32_e32 v22, vcc, v6, v22
	v_addc_co_u32_e32 v23, vcc, v7, v23, vcc
	v_sub_u32_e32 v12, v30, v8
	global_store_dwordx2 v[22:23], v[46:47], off
	;; [unrolled: 5-line block ×12, first 2 shown]
	v_lshlrev_b64 v[22:23], 3, v[12:13]
	v_add_co_u32_e32 v22, vcc, v6, v22
	v_sub_u32_e32 v12, v15, v8
	v_addc_co_u32_e32 v23, vcc, v7, v23, vcc
	v_lshlrev_b64 v[12:13], 3, v[12:13]
	v_add_co_u32_e32 v12, vcc, v6, v12
	v_addc_co_u32_e32 v13, vcc, v7, v13, vcc
	s_or_b64 s[36:37], s[36:37], exec
	global_store_dwordx2 v[22:23], v[68:69], off
	global_store_dwordx2 v[12:13], v[72:73], off
	s_or_b64 exec, exec, s[30:31]
	s_and_b64 exec, exec, s[36:37]
	s_cbranch_execnz .LBB2064_194
	s_branch .LBB2064_195
.LBB2064_262:
	s_and_saveexec_b64 s[36:37], s[28:29]
	s_cbranch_execnz .LBB2064_318
; %bb.263:
	s_or_b64 exec, exec, s[36:37]
	s_and_saveexec_b64 s[28:29], s[26:27]
	s_cbranch_execnz .LBB2064_319
.LBB2064_264:
	s_or_b64 exec, exec, s[28:29]
	s_and_saveexec_b64 s[26:27], s[24:25]
	s_cbranch_execnz .LBB2064_320
.LBB2064_265:
	s_or_b64 exec, exec, s[26:27]
	s_and_saveexec_b64 s[24:25], s[22:23]
	s_cbranch_execnz .LBB2064_321
.LBB2064_266:
	s_or_b64 exec, exec, s[24:25]
	s_and_saveexec_b64 s[22:23], s[20:21]
	s_cbranch_execnz .LBB2064_322
.LBB2064_267:
	s_or_b64 exec, exec, s[22:23]
	s_and_saveexec_b64 s[20:21], s[18:19]
	s_cbranch_execnz .LBB2064_323
.LBB2064_268:
	s_or_b64 exec, exec, s[20:21]
	s_and_saveexec_b64 s[18:19], s[16:17]
	s_cbranch_execnz .LBB2064_324
.LBB2064_269:
	s_or_b64 exec, exec, s[18:19]
	s_and_saveexec_b64 s[16:17], s[14:15]
	s_cbranch_execnz .LBB2064_325
.LBB2064_270:
	s_or_b64 exec, exec, s[16:17]
	s_and_saveexec_b64 s[14:15], s[12:13]
	s_cbranch_execnz .LBB2064_326
.LBB2064_271:
	s_or_b64 exec, exec, s[14:15]
	s_and_saveexec_b64 s[12:13], s[10:11]
	s_cbranch_execnz .LBB2064_327
.LBB2064_272:
	s_or_b64 exec, exec, s[12:13]
	s_and_saveexec_b64 s[10:11], s[8:9]
	s_cbranch_execnz .LBB2064_328
.LBB2064_273:
	s_or_b64 exec, exec, s[10:11]
	s_and_saveexec_b64 s[8:9], s[6:7]
	s_cbranch_execnz .LBB2064_329
.LBB2064_274:
	s_or_b64 exec, exec, s[8:9]
	s_and_saveexec_b64 s[6:7], s[4:5]
	s_cbranch_execnz .LBB2064_330
.LBB2064_275:
	s_or_b64 exec, exec, s[6:7]
	s_and_saveexec_b64 s[4:5], s[2:3]
	s_cbranch_execz .LBB2064_277
.LBB2064_276:
	v_sub_u32_e32 v9, v15, v8
	v_lshlrev_b32_e32 v9, 3, v9
	ds_write_b64 v9, v[72:73]
.LBB2064_277:
	s_or_b64 exec, exec, s[4:5]
	s_and_b64 s[36:37], s[0:1], exec
                                        ; implicit-def: $vgpr70_vgpr71
                                        ; implicit-def: $vgpr46_vgpr47
                                        ; implicit-def: $vgpr48_vgpr49
                                        ; implicit-def: $vgpr50_vgpr51
                                        ; implicit-def: $vgpr52_vgpr53
                                        ; implicit-def: $vgpr54_vgpr55
                                        ; implicit-def: $vgpr56_vgpr57
                                        ; implicit-def: $vgpr58_vgpr59
                                        ; implicit-def: $vgpr60_vgpr61
                                        ; implicit-def: $vgpr62_vgpr63
                                        ; implicit-def: $vgpr64_vgpr65
                                        ; implicit-def: $vgpr66_vgpr67
                                        ; implicit-def: $vgpr68_vgpr69
                                        ; implicit-def: $vgpr72_vgpr73
                                        ; implicit-def: $vgpr92
                                        ; implicit-def: $vgpr31
                                        ; implicit-def: $vgpr30
                                        ; implicit-def: $vgpr29
                                        ; implicit-def: $vgpr28
                                        ; implicit-def: $vgpr27
                                        ; implicit-def: $vgpr26
                                        ; implicit-def: $vgpr21
                                        ; implicit-def: $vgpr20
                                        ; implicit-def: $vgpr19
                                        ; implicit-def: $vgpr18
                                        ; implicit-def: $vgpr17
                                        ; implicit-def: $vgpr16
                                        ; implicit-def: $vgpr15
	s_andn2_saveexec_b64 s[0:1], s[34:35]
	s_cbranch_execz .LBB2064_200
.LBB2064_278:
	v_sub_u32_e32 v9, v92, v8
	v_lshlrev_b32_e32 v9, 3, v9
	ds_write_b64 v9, v[70:71]
	v_sub_u32_e32 v9, v31, v8
	v_lshlrev_b32_e32 v9, 3, v9
	ds_write_b64 v9, v[46:47]
	;; [unrolled: 3-line block ×13, first 2 shown]
	v_sub_u32_e32 v9, v15, v8
	v_lshlrev_b32_e32 v9, 3, v9
	s_or_b64 s[36:37], s[36:37], exec
	ds_write_b64 v9, v[72:73]
	s_or_b64 exec, exec, s[0:1]
	s_and_b64 exec, exec, s[36:37]
	s_cbranch_execnz .LBB2064_201
	s_branch .LBB2064_202
.LBB2064_279:
	v_sub_u32_e32 v12, v92, v44
	v_mov_b32_e32 v13, 0
	v_lshlrev_b64 v[12:13], 1, v[12:13]
	v_add_co_u32_e32 v12, vcc, v32, v12
	v_addc_co_u32_e32 v13, vcc, v33, v13, vcc
	global_store_short v[12:13], v6, off
	s_or_b64 exec, exec, s[38:39]
	s_and_saveexec_b64 s[38:39], s[28:29]
	s_cbranch_execz .LBB2064_213
.LBB2064_280:
	v_sub_u32_e32 v12, v31, v44
	v_mov_b32_e32 v13, 0
	v_lshlrev_b64 v[12:13], 1, v[12:13]
	v_add_co_u32_e32 v12, vcc, v32, v12
	v_addc_co_u32_e32 v13, vcc, v33, v13, vcc
	global_store_short_d16_hi v[12:13], v6, off
	s_or_b64 exec, exec, s[38:39]
	s_and_saveexec_b64 s[38:39], s[26:27]
	s_cbranch_execz .LBB2064_214
.LBB2064_281:
	v_sub_u32_e32 v12, v30, v44
	v_mov_b32_e32 v13, 0
	v_lshlrev_b64 v[12:13], 1, v[12:13]
	v_add_co_u32_e32 v12, vcc, v32, v12
	v_addc_co_u32_e32 v13, vcc, v33, v13, vcc
	global_store_short v[12:13], v7, off
	s_or_b64 exec, exec, s[38:39]
	s_and_saveexec_b64 s[38:39], s[24:25]
	s_cbranch_execz .LBB2064_215
.LBB2064_282:
	v_sub_u32_e32 v12, v29, v44
	v_mov_b32_e32 v13, 0
	v_lshlrev_b64 v[12:13], 1, v[12:13]
	v_add_co_u32_e32 v12, vcc, v32, v12
	v_addc_co_u32_e32 v13, vcc, v33, v13, vcc
	global_store_short_d16_hi v[12:13], v7, off
	s_or_b64 exec, exec, s[38:39]
	s_and_saveexec_b64 s[38:39], s[22:23]
	s_cbranch_execz .LBB2064_216
.LBB2064_283:
	v_sub_u32_e32 v12, v28, v44
	v_mov_b32_e32 v13, 0
	v_lshlrev_b64 v[12:13], 1, v[12:13]
	v_add_co_u32_e32 v12, vcc, v32, v12
	v_addc_co_u32_e32 v13, vcc, v33, v13, vcc
	global_store_short v[12:13], v8, off
	s_or_b64 exec, exec, s[38:39]
	s_and_saveexec_b64 s[38:39], s[20:21]
	s_cbranch_execz .LBB2064_217
.LBB2064_284:
	v_sub_u32_e32 v12, v27, v44
	v_mov_b32_e32 v13, 0
	v_lshlrev_b64 v[12:13], 1, v[12:13]
	v_add_co_u32_e32 v12, vcc, v32, v12
	v_addc_co_u32_e32 v13, vcc, v33, v13, vcc
	global_store_short_d16_hi v[12:13], v8, off
	s_or_b64 exec, exec, s[38:39]
	s_and_saveexec_b64 s[38:39], s[18:19]
	s_cbranch_execz .LBB2064_218
.LBB2064_285:
	v_sub_u32_e32 v12, v26, v44
	v_mov_b32_e32 v13, 0
	v_lshlrev_b64 v[12:13], 1, v[12:13]
	v_add_co_u32_e32 v12, vcc, v32, v12
	v_addc_co_u32_e32 v13, vcc, v33, v13, vcc
	global_store_short v[12:13], v9, off
	s_or_b64 exec, exec, s[38:39]
	s_and_saveexec_b64 s[38:39], s[16:17]
	s_cbranch_execz .LBB2064_219
.LBB2064_286:
	v_sub_u32_e32 v12, v21, v44
	v_mov_b32_e32 v13, 0
	v_lshlrev_b64 v[12:13], 1, v[12:13]
	v_add_co_u32_e32 v12, vcc, v32, v12
	v_addc_co_u32_e32 v13, vcc, v33, v13, vcc
	global_store_short_d16_hi v[12:13], v9, off
	s_or_b64 exec, exec, s[38:39]
	s_and_saveexec_b64 s[38:39], s[14:15]
	s_cbranch_execz .LBB2064_220
.LBB2064_287:
	v_sub_u32_e32 v12, v20, v44
	v_mov_b32_e32 v13, 0
	v_lshlrev_b64 v[12:13], 1, v[12:13]
	v_add_co_u32_e32 v12, vcc, v32, v12
	v_addc_co_u32_e32 v13, vcc, v33, v13, vcc
	global_store_short v[12:13], v22, off
	s_or_b64 exec, exec, s[38:39]
	s_and_saveexec_b64 s[38:39], s[12:13]
	s_cbranch_execz .LBB2064_221
.LBB2064_288:
	v_sub_u32_e32 v12, v19, v44
	v_mov_b32_e32 v13, 0
	v_lshlrev_b64 v[12:13], 1, v[12:13]
	v_add_co_u32_e32 v12, vcc, v32, v12
	v_addc_co_u32_e32 v13, vcc, v33, v13, vcc
	global_store_short_d16_hi v[12:13], v22, off
	s_or_b64 exec, exec, s[38:39]
	s_and_saveexec_b64 s[38:39], s[10:11]
	s_cbranch_execz .LBB2064_222
.LBB2064_289:
	v_sub_u32_e32 v12, v18, v44
	v_mov_b32_e32 v13, 0
	v_lshlrev_b64 v[12:13], 1, v[12:13]
	v_add_co_u32_e32 v12, vcc, v32, v12
	v_addc_co_u32_e32 v13, vcc, v33, v13, vcc
	global_store_short v[12:13], v23, off
	s_or_b64 exec, exec, s[38:39]
	s_and_saveexec_b64 s[38:39], s[8:9]
	s_cbranch_execz .LBB2064_223
.LBB2064_290:
	v_sub_u32_e32 v12, v17, v44
	v_mov_b32_e32 v13, 0
	v_lshlrev_b64 v[12:13], 1, v[12:13]
	v_add_co_u32_e32 v12, vcc, v32, v12
	v_addc_co_u32_e32 v13, vcc, v33, v13, vcc
	global_store_short_d16_hi v[12:13], v23, off
	s_or_b64 exec, exec, s[38:39]
	s_and_saveexec_b64 s[38:39], s[6:7]
	s_cbranch_execz .LBB2064_224
.LBB2064_291:
	v_sub_u32_e32 v12, v16, v44
	v_mov_b32_e32 v13, 0
	v_lshlrev_b64 v[12:13], 1, v[12:13]
	v_add_co_u32_e32 v12, vcc, v32, v12
	v_addc_co_u32_e32 v13, vcc, v33, v13, vcc
	global_store_short v[12:13], v24, off
	s_or_b64 exec, exec, s[38:39]
	s_and_saveexec_b64 s[38:39], s[4:5]
	s_cbranch_execnz .LBB2064_225
	s_branch .LBB2064_226
.LBB2064_292:
	v_sub_u32_e32 v2, v92, v44
	v_lshlrev_b32_e32 v2, 1, v2
	ds_write_b16 v2, v6
	s_or_b64 exec, exec, s[38:39]
	s_and_saveexec_b64 s[30:31], s[28:29]
	s_cbranch_execz .LBB2064_230
.LBB2064_293:
	v_sub_u32_e32 v2, v31, v44
	v_lshlrev_b32_e32 v2, 1, v2
	ds_write_b16_d16_hi v2, v6
	s_or_b64 exec, exec, s[30:31]
	s_and_saveexec_b64 s[28:29], s[26:27]
	s_cbranch_execz .LBB2064_231
.LBB2064_294:
	v_sub_u32_e32 v2, v30, v44
	v_lshlrev_b32_e32 v2, 1, v2
	ds_write_b16 v2, v7
	s_or_b64 exec, exec, s[28:29]
	s_and_saveexec_b64 s[26:27], s[24:25]
	s_cbranch_execz .LBB2064_232
.LBB2064_295:
	v_sub_u32_e32 v2, v29, v44
	v_lshlrev_b32_e32 v2, 1, v2
	ds_write_b16_d16_hi v2, v7
	s_or_b64 exec, exec, s[26:27]
	s_and_saveexec_b64 s[24:25], s[22:23]
	s_cbranch_execz .LBB2064_233
.LBB2064_296:
	v_sub_u32_e32 v2, v28, v44
	v_lshlrev_b32_e32 v2, 1, v2
	ds_write_b16 v2, v8
	s_or_b64 exec, exec, s[24:25]
	s_and_saveexec_b64 s[22:23], s[20:21]
	s_cbranch_execz .LBB2064_234
.LBB2064_297:
	v_sub_u32_e32 v2, v27, v44
	v_lshlrev_b32_e32 v2, 1, v2
	ds_write_b16_d16_hi v2, v8
	s_or_b64 exec, exec, s[22:23]
	s_and_saveexec_b64 s[20:21], s[18:19]
	s_cbranch_execz .LBB2064_235
.LBB2064_298:
	v_sub_u32_e32 v2, v26, v44
	v_lshlrev_b32_e32 v2, 1, v2
	ds_write_b16 v2, v9
	s_or_b64 exec, exec, s[20:21]
	s_and_saveexec_b64 s[18:19], s[16:17]
	s_cbranch_execz .LBB2064_236
.LBB2064_299:
	v_sub_u32_e32 v2, v21, v44
	v_lshlrev_b32_e32 v2, 1, v2
	ds_write_b16_d16_hi v2, v9
	s_or_b64 exec, exec, s[18:19]
	s_and_saveexec_b64 s[16:17], s[14:15]
	s_cbranch_execz .LBB2064_237
.LBB2064_300:
	v_sub_u32_e32 v2, v20, v44
	v_lshlrev_b32_e32 v2, 1, v2
	ds_write_b16 v2, v22
	s_or_b64 exec, exec, s[16:17]
	s_and_saveexec_b64 s[14:15], s[12:13]
	s_cbranch_execz .LBB2064_238
.LBB2064_301:
	v_sub_u32_e32 v2, v19, v44
	v_lshlrev_b32_e32 v2, 1, v2
	ds_write_b16_d16_hi v2, v22
	s_or_b64 exec, exec, s[14:15]
	s_and_saveexec_b64 s[12:13], s[10:11]
	s_cbranch_execz .LBB2064_239
.LBB2064_302:
	v_sub_u32_e32 v2, v18, v44
	v_lshlrev_b32_e32 v2, 1, v2
	ds_write_b16 v2, v23
	s_or_b64 exec, exec, s[12:13]
	s_and_saveexec_b64 s[10:11], s[8:9]
	s_cbranch_execz .LBB2064_240
.LBB2064_303:
	v_sub_u32_e32 v2, v17, v44
	v_lshlrev_b32_e32 v2, 1, v2
	ds_write_b16_d16_hi v2, v23
	s_or_b64 exec, exec, s[10:11]
	s_and_saveexec_b64 s[8:9], s[6:7]
	s_cbranch_execz .LBB2064_241
.LBB2064_304:
	v_sub_u32_e32 v2, v16, v44
	v_lshlrev_b32_e32 v2, 1, v2
	ds_write_b16 v2, v24
	s_or_b64 exec, exec, s[8:9]
	s_and_saveexec_b64 s[6:7], s[4:5]
	s_cbranch_execnz .LBB2064_242
	s_branch .LBB2064_243
.LBB2064_305:
	v_sub_u32_e32 v12, v92, v8
	v_mov_b32_e32 v13, 0
	v_lshlrev_b64 v[12:13], 3, v[12:13]
	v_add_co_u32_e32 v12, vcc, v6, v12
	v_addc_co_u32_e32 v13, vcc, v7, v13, vcc
	global_store_dwordx2 v[12:13], v[70:71], off
	s_or_b64 exec, exec, s[36:37]
	s_and_saveexec_b64 s[36:37], s[26:27]
	s_cbranch_execz .LBB2064_247
.LBB2064_306:
	v_sub_u32_e32 v12, v31, v8
	v_mov_b32_e32 v13, 0
	v_lshlrev_b64 v[12:13], 3, v[12:13]
	v_add_co_u32_e32 v12, vcc, v6, v12
	v_addc_co_u32_e32 v13, vcc, v7, v13, vcc
	global_store_dwordx2 v[12:13], v[46:47], off
	s_or_b64 exec, exec, s[36:37]
	s_and_saveexec_b64 s[36:37], s[24:25]
	s_cbranch_execz .LBB2064_248
.LBB2064_307:
	v_sub_u32_e32 v12, v30, v8
	v_mov_b32_e32 v13, 0
	v_lshlrev_b64 v[12:13], 3, v[12:13]
	v_add_co_u32_e32 v12, vcc, v6, v12
	v_addc_co_u32_e32 v13, vcc, v7, v13, vcc
	global_store_dwordx2 v[12:13], v[48:49], off
	s_or_b64 exec, exec, s[36:37]
	s_and_saveexec_b64 s[36:37], s[22:23]
	s_cbranch_execz .LBB2064_249
.LBB2064_308:
	v_sub_u32_e32 v12, v29, v8
	v_mov_b32_e32 v13, 0
	v_lshlrev_b64 v[12:13], 3, v[12:13]
	v_add_co_u32_e32 v12, vcc, v6, v12
	v_addc_co_u32_e32 v13, vcc, v7, v13, vcc
	global_store_dwordx2 v[12:13], v[50:51], off
	s_or_b64 exec, exec, s[36:37]
	s_and_saveexec_b64 s[36:37], s[20:21]
	s_cbranch_execz .LBB2064_250
.LBB2064_309:
	v_sub_u32_e32 v12, v28, v8
	v_mov_b32_e32 v13, 0
	v_lshlrev_b64 v[12:13], 3, v[12:13]
	v_add_co_u32_e32 v12, vcc, v6, v12
	v_addc_co_u32_e32 v13, vcc, v7, v13, vcc
	global_store_dwordx2 v[12:13], v[52:53], off
	s_or_b64 exec, exec, s[36:37]
	s_and_saveexec_b64 s[36:37], s[18:19]
	s_cbranch_execz .LBB2064_251
.LBB2064_310:
	v_sub_u32_e32 v12, v27, v8
	v_mov_b32_e32 v13, 0
	v_lshlrev_b64 v[12:13], 3, v[12:13]
	v_add_co_u32_e32 v12, vcc, v6, v12
	v_addc_co_u32_e32 v13, vcc, v7, v13, vcc
	global_store_dwordx2 v[12:13], v[54:55], off
	s_or_b64 exec, exec, s[36:37]
	s_and_saveexec_b64 s[36:37], s[16:17]
	s_cbranch_execz .LBB2064_252
.LBB2064_311:
	v_sub_u32_e32 v12, v26, v8
	v_mov_b32_e32 v13, 0
	v_lshlrev_b64 v[12:13], 3, v[12:13]
	v_add_co_u32_e32 v12, vcc, v6, v12
	v_addc_co_u32_e32 v13, vcc, v7, v13, vcc
	global_store_dwordx2 v[12:13], v[56:57], off
	s_or_b64 exec, exec, s[36:37]
	s_and_saveexec_b64 s[36:37], s[14:15]
	s_cbranch_execz .LBB2064_253
.LBB2064_312:
	v_sub_u32_e32 v12, v21, v8
	v_mov_b32_e32 v13, 0
	v_lshlrev_b64 v[12:13], 3, v[12:13]
	v_add_co_u32_e32 v12, vcc, v6, v12
	v_addc_co_u32_e32 v13, vcc, v7, v13, vcc
	global_store_dwordx2 v[12:13], v[58:59], off
	s_or_b64 exec, exec, s[36:37]
	s_and_saveexec_b64 s[36:37], s[12:13]
	s_cbranch_execz .LBB2064_254
.LBB2064_313:
	v_sub_u32_e32 v12, v20, v8
	v_mov_b32_e32 v13, 0
	v_lshlrev_b64 v[12:13], 3, v[12:13]
	v_add_co_u32_e32 v12, vcc, v6, v12
	v_addc_co_u32_e32 v13, vcc, v7, v13, vcc
	global_store_dwordx2 v[12:13], v[60:61], off
	s_or_b64 exec, exec, s[36:37]
	s_and_saveexec_b64 s[36:37], s[10:11]
	s_cbranch_execz .LBB2064_255
.LBB2064_314:
	v_sub_u32_e32 v12, v19, v8
	v_mov_b32_e32 v13, 0
	v_lshlrev_b64 v[12:13], 3, v[12:13]
	v_add_co_u32_e32 v12, vcc, v6, v12
	v_addc_co_u32_e32 v13, vcc, v7, v13, vcc
	global_store_dwordx2 v[12:13], v[62:63], off
	s_or_b64 exec, exec, s[36:37]
	s_and_saveexec_b64 s[36:37], s[8:9]
	s_cbranch_execz .LBB2064_256
.LBB2064_315:
	v_sub_u32_e32 v12, v18, v8
	v_mov_b32_e32 v13, 0
	v_lshlrev_b64 v[12:13], 3, v[12:13]
	v_add_co_u32_e32 v12, vcc, v6, v12
	v_addc_co_u32_e32 v13, vcc, v7, v13, vcc
	global_store_dwordx2 v[12:13], v[64:65], off
	s_or_b64 exec, exec, s[36:37]
	s_and_saveexec_b64 s[36:37], s[6:7]
	s_cbranch_execz .LBB2064_257
.LBB2064_316:
	v_sub_u32_e32 v12, v17, v8
	v_mov_b32_e32 v13, 0
	v_lshlrev_b64 v[12:13], 3, v[12:13]
	v_add_co_u32_e32 v12, vcc, v6, v12
	v_addc_co_u32_e32 v13, vcc, v7, v13, vcc
	global_store_dwordx2 v[12:13], v[66:67], off
	s_or_b64 exec, exec, s[36:37]
	s_and_saveexec_b64 s[36:37], s[4:5]
	s_cbranch_execz .LBB2064_258
.LBB2064_317:
	v_sub_u32_e32 v12, v16, v8
	v_mov_b32_e32 v13, 0
	v_lshlrev_b64 v[12:13], 3, v[12:13]
	v_add_co_u32_e32 v12, vcc, v6, v12
	v_addc_co_u32_e32 v13, vcc, v7, v13, vcc
	global_store_dwordx2 v[12:13], v[68:69], off
	s_or_b64 exec, exec, s[36:37]
	s_and_saveexec_b64 s[36:37], s[2:3]
	s_cbranch_execnz .LBB2064_259
	s_branch .LBB2064_260
.LBB2064_318:
	v_sub_u32_e32 v9, v92, v8
	v_lshlrev_b32_e32 v9, 3, v9
	ds_write_b64 v9, v[70:71]
	s_or_b64 exec, exec, s[36:37]
	s_and_saveexec_b64 s[28:29], s[26:27]
	s_cbranch_execz .LBB2064_264
.LBB2064_319:
	v_sub_u32_e32 v9, v31, v8
	v_lshlrev_b32_e32 v9, 3, v9
	ds_write_b64 v9, v[46:47]
	s_or_b64 exec, exec, s[28:29]
	s_and_saveexec_b64 s[26:27], s[24:25]
	s_cbranch_execz .LBB2064_265
.LBB2064_320:
	v_sub_u32_e32 v9, v30, v8
	v_lshlrev_b32_e32 v9, 3, v9
	ds_write_b64 v9, v[48:49]
	s_or_b64 exec, exec, s[26:27]
	s_and_saveexec_b64 s[24:25], s[22:23]
	s_cbranch_execz .LBB2064_266
.LBB2064_321:
	v_sub_u32_e32 v9, v29, v8
	v_lshlrev_b32_e32 v9, 3, v9
	ds_write_b64 v9, v[50:51]
	s_or_b64 exec, exec, s[24:25]
	s_and_saveexec_b64 s[22:23], s[20:21]
	s_cbranch_execz .LBB2064_267
.LBB2064_322:
	v_sub_u32_e32 v9, v28, v8
	v_lshlrev_b32_e32 v9, 3, v9
	ds_write_b64 v9, v[52:53]
	s_or_b64 exec, exec, s[22:23]
	s_and_saveexec_b64 s[20:21], s[18:19]
	s_cbranch_execz .LBB2064_268
.LBB2064_323:
	v_sub_u32_e32 v9, v27, v8
	v_lshlrev_b32_e32 v9, 3, v9
	ds_write_b64 v9, v[54:55]
	s_or_b64 exec, exec, s[20:21]
	s_and_saveexec_b64 s[18:19], s[16:17]
	s_cbranch_execz .LBB2064_269
.LBB2064_324:
	v_sub_u32_e32 v9, v26, v8
	v_lshlrev_b32_e32 v9, 3, v9
	ds_write_b64 v9, v[56:57]
	s_or_b64 exec, exec, s[18:19]
	s_and_saveexec_b64 s[16:17], s[14:15]
	s_cbranch_execz .LBB2064_270
.LBB2064_325:
	v_sub_u32_e32 v9, v21, v8
	v_lshlrev_b32_e32 v9, 3, v9
	ds_write_b64 v9, v[58:59]
	s_or_b64 exec, exec, s[16:17]
	s_and_saveexec_b64 s[14:15], s[12:13]
	s_cbranch_execz .LBB2064_271
.LBB2064_326:
	v_sub_u32_e32 v9, v20, v8
	v_lshlrev_b32_e32 v9, 3, v9
	ds_write_b64 v9, v[60:61]
	s_or_b64 exec, exec, s[14:15]
	s_and_saveexec_b64 s[12:13], s[10:11]
	s_cbranch_execz .LBB2064_272
.LBB2064_327:
	v_sub_u32_e32 v9, v19, v8
	v_lshlrev_b32_e32 v9, 3, v9
	ds_write_b64 v9, v[62:63]
	s_or_b64 exec, exec, s[12:13]
	s_and_saveexec_b64 s[10:11], s[8:9]
	s_cbranch_execz .LBB2064_273
.LBB2064_328:
	v_sub_u32_e32 v9, v18, v8
	v_lshlrev_b32_e32 v9, 3, v9
	ds_write_b64 v9, v[64:65]
	s_or_b64 exec, exec, s[10:11]
	s_and_saveexec_b64 s[8:9], s[6:7]
	s_cbranch_execz .LBB2064_274
.LBB2064_329:
	v_sub_u32_e32 v9, v17, v8
	v_lshlrev_b32_e32 v9, 3, v9
	ds_write_b64 v9, v[66:67]
	s_or_b64 exec, exec, s[8:9]
	s_and_saveexec_b64 s[6:7], s[4:5]
	s_cbranch_execz .LBB2064_275
.LBB2064_330:
	v_sub_u32_e32 v9, v16, v8
	v_lshlrev_b32_e32 v9, 3, v9
	ds_write_b64 v9, v[68:69]
	s_or_b64 exec, exec, s[6:7]
	s_and_saveexec_b64 s[4:5], s[2:3]
	s_cbranch_execnz .LBB2064_276
	s_branch .LBB2064_277
	.section	.rodata,"a",@progbits
	.p2align	6, 0x0
	.amdhsa_kernel _ZN7rocprim17ROCPRIM_400000_NS6detail17trampoline_kernelINS0_14default_configENS1_29reduce_by_key_config_selectorIN3c108BFloat16ElN6thrust23THRUST_200600_302600_NS4plusIlEEEEZZNS1_33reduce_by_key_impl_wrapped_configILNS1_25lookback_scan_determinismE0ES3_SB_PS6_NS8_17constant_iteratorIiNS8_11use_defaultESG_EENS8_10device_ptrIS6_EENSI_IlEEPmSA_NS8_8equal_toIS6_EEEE10hipError_tPvRmT2_T3_mT4_T5_T6_T7_T8_P12ihipStream_tbENKUlT_T0_E_clISt17integral_constantIbLb1EES15_EEDaS10_S11_EUlS10_E_NS1_11comp_targetILNS1_3genE4ELNS1_11target_archE910ELNS1_3gpuE8ELNS1_3repE0EEENS1_30default_config_static_selectorELNS0_4arch9wavefront6targetE1EEEvT1_
		.amdhsa_group_segment_fixed_size 30720
		.amdhsa_private_segment_fixed_size 0
		.amdhsa_kernarg_size 144
		.amdhsa_user_sgpr_count 6
		.amdhsa_user_sgpr_private_segment_buffer 1
		.amdhsa_user_sgpr_dispatch_ptr 0
		.amdhsa_user_sgpr_queue_ptr 0
		.amdhsa_user_sgpr_kernarg_segment_ptr 1
		.amdhsa_user_sgpr_dispatch_id 0
		.amdhsa_user_sgpr_flat_scratch_init 0
		.amdhsa_user_sgpr_kernarg_preload_length 0
		.amdhsa_user_sgpr_kernarg_preload_offset 0
		.amdhsa_user_sgpr_private_segment_size 0
		.amdhsa_uses_dynamic_stack 0
		.amdhsa_system_sgpr_private_segment_wavefront_offset 0
		.amdhsa_system_sgpr_workgroup_id_x 1
		.amdhsa_system_sgpr_workgroup_id_y 0
		.amdhsa_system_sgpr_workgroup_id_z 0
		.amdhsa_system_sgpr_workgroup_info 0
		.amdhsa_system_vgpr_workitem_id 0
		.amdhsa_next_free_vgpr 127
		.amdhsa_next_free_sgpr 65
		.amdhsa_accum_offset 128
		.amdhsa_reserve_vcc 1
		.amdhsa_reserve_flat_scratch 0
		.amdhsa_float_round_mode_32 0
		.amdhsa_float_round_mode_16_64 0
		.amdhsa_float_denorm_mode_32 3
		.amdhsa_float_denorm_mode_16_64 3
		.amdhsa_dx10_clamp 1
		.amdhsa_ieee_mode 1
		.amdhsa_fp16_overflow 0
		.amdhsa_tg_split 0
		.amdhsa_exception_fp_ieee_invalid_op 0
		.amdhsa_exception_fp_denorm_src 0
		.amdhsa_exception_fp_ieee_div_zero 0
		.amdhsa_exception_fp_ieee_overflow 0
		.amdhsa_exception_fp_ieee_underflow 0
		.amdhsa_exception_fp_ieee_inexact 0
		.amdhsa_exception_int_div_zero 0
	.end_amdhsa_kernel
	.section	.text._ZN7rocprim17ROCPRIM_400000_NS6detail17trampoline_kernelINS0_14default_configENS1_29reduce_by_key_config_selectorIN3c108BFloat16ElN6thrust23THRUST_200600_302600_NS4plusIlEEEEZZNS1_33reduce_by_key_impl_wrapped_configILNS1_25lookback_scan_determinismE0ES3_SB_PS6_NS8_17constant_iteratorIiNS8_11use_defaultESG_EENS8_10device_ptrIS6_EENSI_IlEEPmSA_NS8_8equal_toIS6_EEEE10hipError_tPvRmT2_T3_mT4_T5_T6_T7_T8_P12ihipStream_tbENKUlT_T0_E_clISt17integral_constantIbLb1EES15_EEDaS10_S11_EUlS10_E_NS1_11comp_targetILNS1_3genE4ELNS1_11target_archE910ELNS1_3gpuE8ELNS1_3repE0EEENS1_30default_config_static_selectorELNS0_4arch9wavefront6targetE1EEEvT1_,"axG",@progbits,_ZN7rocprim17ROCPRIM_400000_NS6detail17trampoline_kernelINS0_14default_configENS1_29reduce_by_key_config_selectorIN3c108BFloat16ElN6thrust23THRUST_200600_302600_NS4plusIlEEEEZZNS1_33reduce_by_key_impl_wrapped_configILNS1_25lookback_scan_determinismE0ES3_SB_PS6_NS8_17constant_iteratorIiNS8_11use_defaultESG_EENS8_10device_ptrIS6_EENSI_IlEEPmSA_NS8_8equal_toIS6_EEEE10hipError_tPvRmT2_T3_mT4_T5_T6_T7_T8_P12ihipStream_tbENKUlT_T0_E_clISt17integral_constantIbLb1EES15_EEDaS10_S11_EUlS10_E_NS1_11comp_targetILNS1_3genE4ELNS1_11target_archE910ELNS1_3gpuE8ELNS1_3repE0EEENS1_30default_config_static_selectorELNS0_4arch9wavefront6targetE1EEEvT1_,comdat
.Lfunc_end2064:
	.size	_ZN7rocprim17ROCPRIM_400000_NS6detail17trampoline_kernelINS0_14default_configENS1_29reduce_by_key_config_selectorIN3c108BFloat16ElN6thrust23THRUST_200600_302600_NS4plusIlEEEEZZNS1_33reduce_by_key_impl_wrapped_configILNS1_25lookback_scan_determinismE0ES3_SB_PS6_NS8_17constant_iteratorIiNS8_11use_defaultESG_EENS8_10device_ptrIS6_EENSI_IlEEPmSA_NS8_8equal_toIS6_EEEE10hipError_tPvRmT2_T3_mT4_T5_T6_T7_T8_P12ihipStream_tbENKUlT_T0_E_clISt17integral_constantIbLb1EES15_EEDaS10_S11_EUlS10_E_NS1_11comp_targetILNS1_3genE4ELNS1_11target_archE910ELNS1_3gpuE8ELNS1_3repE0EEENS1_30default_config_static_selectorELNS0_4arch9wavefront6targetE1EEEvT1_, .Lfunc_end2064-_ZN7rocprim17ROCPRIM_400000_NS6detail17trampoline_kernelINS0_14default_configENS1_29reduce_by_key_config_selectorIN3c108BFloat16ElN6thrust23THRUST_200600_302600_NS4plusIlEEEEZZNS1_33reduce_by_key_impl_wrapped_configILNS1_25lookback_scan_determinismE0ES3_SB_PS6_NS8_17constant_iteratorIiNS8_11use_defaultESG_EENS8_10device_ptrIS6_EENSI_IlEEPmSA_NS8_8equal_toIS6_EEEE10hipError_tPvRmT2_T3_mT4_T5_T6_T7_T8_P12ihipStream_tbENKUlT_T0_E_clISt17integral_constantIbLb1EES15_EEDaS10_S11_EUlS10_E_NS1_11comp_targetILNS1_3genE4ELNS1_11target_archE910ELNS1_3gpuE8ELNS1_3repE0EEENS1_30default_config_static_selectorELNS0_4arch9wavefront6targetE1EEEvT1_
                                        ; -- End function
	.section	.AMDGPU.csdata,"",@progbits
; Kernel info:
; codeLenInByte = 17828
; NumSgprs: 69
; NumVgprs: 127
; NumAgprs: 0
; TotalNumVgprs: 127
; ScratchSize: 0
; MemoryBound: 0
; FloatMode: 240
; IeeeMode: 1
; LDSByteSize: 30720 bytes/workgroup (compile time only)
; SGPRBlocks: 8
; VGPRBlocks: 15
; NumSGPRsForWavesPerEU: 69
; NumVGPRsForWavesPerEU: 127
; AccumOffset: 128
; Occupancy: 2
; WaveLimiterHint : 1
; COMPUTE_PGM_RSRC2:SCRATCH_EN: 0
; COMPUTE_PGM_RSRC2:USER_SGPR: 6
; COMPUTE_PGM_RSRC2:TRAP_HANDLER: 0
; COMPUTE_PGM_RSRC2:TGID_X_EN: 1
; COMPUTE_PGM_RSRC2:TGID_Y_EN: 0
; COMPUTE_PGM_RSRC2:TGID_Z_EN: 0
; COMPUTE_PGM_RSRC2:TIDIG_COMP_CNT: 0
; COMPUTE_PGM_RSRC3_GFX90A:ACCUM_OFFSET: 31
; COMPUTE_PGM_RSRC3_GFX90A:TG_SPLIT: 0
	.section	.text._ZN7rocprim17ROCPRIM_400000_NS6detail17trampoline_kernelINS0_14default_configENS1_29reduce_by_key_config_selectorIN3c108BFloat16ElN6thrust23THRUST_200600_302600_NS4plusIlEEEEZZNS1_33reduce_by_key_impl_wrapped_configILNS1_25lookback_scan_determinismE0ES3_SB_PS6_NS8_17constant_iteratorIiNS8_11use_defaultESG_EENS8_10device_ptrIS6_EENSI_IlEEPmSA_NS8_8equal_toIS6_EEEE10hipError_tPvRmT2_T3_mT4_T5_T6_T7_T8_P12ihipStream_tbENKUlT_T0_E_clISt17integral_constantIbLb1EES15_EEDaS10_S11_EUlS10_E_NS1_11comp_targetILNS1_3genE3ELNS1_11target_archE908ELNS1_3gpuE7ELNS1_3repE0EEENS1_30default_config_static_selectorELNS0_4arch9wavefront6targetE1EEEvT1_,"axG",@progbits,_ZN7rocprim17ROCPRIM_400000_NS6detail17trampoline_kernelINS0_14default_configENS1_29reduce_by_key_config_selectorIN3c108BFloat16ElN6thrust23THRUST_200600_302600_NS4plusIlEEEEZZNS1_33reduce_by_key_impl_wrapped_configILNS1_25lookback_scan_determinismE0ES3_SB_PS6_NS8_17constant_iteratorIiNS8_11use_defaultESG_EENS8_10device_ptrIS6_EENSI_IlEEPmSA_NS8_8equal_toIS6_EEEE10hipError_tPvRmT2_T3_mT4_T5_T6_T7_T8_P12ihipStream_tbENKUlT_T0_E_clISt17integral_constantIbLb1EES15_EEDaS10_S11_EUlS10_E_NS1_11comp_targetILNS1_3genE3ELNS1_11target_archE908ELNS1_3gpuE7ELNS1_3repE0EEENS1_30default_config_static_selectorELNS0_4arch9wavefront6targetE1EEEvT1_,comdat
	.protected	_ZN7rocprim17ROCPRIM_400000_NS6detail17trampoline_kernelINS0_14default_configENS1_29reduce_by_key_config_selectorIN3c108BFloat16ElN6thrust23THRUST_200600_302600_NS4plusIlEEEEZZNS1_33reduce_by_key_impl_wrapped_configILNS1_25lookback_scan_determinismE0ES3_SB_PS6_NS8_17constant_iteratorIiNS8_11use_defaultESG_EENS8_10device_ptrIS6_EENSI_IlEEPmSA_NS8_8equal_toIS6_EEEE10hipError_tPvRmT2_T3_mT4_T5_T6_T7_T8_P12ihipStream_tbENKUlT_T0_E_clISt17integral_constantIbLb1EES15_EEDaS10_S11_EUlS10_E_NS1_11comp_targetILNS1_3genE3ELNS1_11target_archE908ELNS1_3gpuE7ELNS1_3repE0EEENS1_30default_config_static_selectorELNS0_4arch9wavefront6targetE1EEEvT1_ ; -- Begin function _ZN7rocprim17ROCPRIM_400000_NS6detail17trampoline_kernelINS0_14default_configENS1_29reduce_by_key_config_selectorIN3c108BFloat16ElN6thrust23THRUST_200600_302600_NS4plusIlEEEEZZNS1_33reduce_by_key_impl_wrapped_configILNS1_25lookback_scan_determinismE0ES3_SB_PS6_NS8_17constant_iteratorIiNS8_11use_defaultESG_EENS8_10device_ptrIS6_EENSI_IlEEPmSA_NS8_8equal_toIS6_EEEE10hipError_tPvRmT2_T3_mT4_T5_T6_T7_T8_P12ihipStream_tbENKUlT_T0_E_clISt17integral_constantIbLb1EES15_EEDaS10_S11_EUlS10_E_NS1_11comp_targetILNS1_3genE3ELNS1_11target_archE908ELNS1_3gpuE7ELNS1_3repE0EEENS1_30default_config_static_selectorELNS0_4arch9wavefront6targetE1EEEvT1_
	.globl	_ZN7rocprim17ROCPRIM_400000_NS6detail17trampoline_kernelINS0_14default_configENS1_29reduce_by_key_config_selectorIN3c108BFloat16ElN6thrust23THRUST_200600_302600_NS4plusIlEEEEZZNS1_33reduce_by_key_impl_wrapped_configILNS1_25lookback_scan_determinismE0ES3_SB_PS6_NS8_17constant_iteratorIiNS8_11use_defaultESG_EENS8_10device_ptrIS6_EENSI_IlEEPmSA_NS8_8equal_toIS6_EEEE10hipError_tPvRmT2_T3_mT4_T5_T6_T7_T8_P12ihipStream_tbENKUlT_T0_E_clISt17integral_constantIbLb1EES15_EEDaS10_S11_EUlS10_E_NS1_11comp_targetILNS1_3genE3ELNS1_11target_archE908ELNS1_3gpuE7ELNS1_3repE0EEENS1_30default_config_static_selectorELNS0_4arch9wavefront6targetE1EEEvT1_
	.p2align	8
	.type	_ZN7rocprim17ROCPRIM_400000_NS6detail17trampoline_kernelINS0_14default_configENS1_29reduce_by_key_config_selectorIN3c108BFloat16ElN6thrust23THRUST_200600_302600_NS4plusIlEEEEZZNS1_33reduce_by_key_impl_wrapped_configILNS1_25lookback_scan_determinismE0ES3_SB_PS6_NS8_17constant_iteratorIiNS8_11use_defaultESG_EENS8_10device_ptrIS6_EENSI_IlEEPmSA_NS8_8equal_toIS6_EEEE10hipError_tPvRmT2_T3_mT4_T5_T6_T7_T8_P12ihipStream_tbENKUlT_T0_E_clISt17integral_constantIbLb1EES15_EEDaS10_S11_EUlS10_E_NS1_11comp_targetILNS1_3genE3ELNS1_11target_archE908ELNS1_3gpuE7ELNS1_3repE0EEENS1_30default_config_static_selectorELNS0_4arch9wavefront6targetE1EEEvT1_,@function
_ZN7rocprim17ROCPRIM_400000_NS6detail17trampoline_kernelINS0_14default_configENS1_29reduce_by_key_config_selectorIN3c108BFloat16ElN6thrust23THRUST_200600_302600_NS4plusIlEEEEZZNS1_33reduce_by_key_impl_wrapped_configILNS1_25lookback_scan_determinismE0ES3_SB_PS6_NS8_17constant_iteratorIiNS8_11use_defaultESG_EENS8_10device_ptrIS6_EENSI_IlEEPmSA_NS8_8equal_toIS6_EEEE10hipError_tPvRmT2_T3_mT4_T5_T6_T7_T8_P12ihipStream_tbENKUlT_T0_E_clISt17integral_constantIbLb1EES15_EEDaS10_S11_EUlS10_E_NS1_11comp_targetILNS1_3genE3ELNS1_11target_archE908ELNS1_3gpuE7ELNS1_3repE0EEENS1_30default_config_static_selectorELNS0_4arch9wavefront6targetE1EEEvT1_: ; @_ZN7rocprim17ROCPRIM_400000_NS6detail17trampoline_kernelINS0_14default_configENS1_29reduce_by_key_config_selectorIN3c108BFloat16ElN6thrust23THRUST_200600_302600_NS4plusIlEEEEZZNS1_33reduce_by_key_impl_wrapped_configILNS1_25lookback_scan_determinismE0ES3_SB_PS6_NS8_17constant_iteratorIiNS8_11use_defaultESG_EENS8_10device_ptrIS6_EENSI_IlEEPmSA_NS8_8equal_toIS6_EEEE10hipError_tPvRmT2_T3_mT4_T5_T6_T7_T8_P12ihipStream_tbENKUlT_T0_E_clISt17integral_constantIbLb1EES15_EEDaS10_S11_EUlS10_E_NS1_11comp_targetILNS1_3genE3ELNS1_11target_archE908ELNS1_3gpuE7ELNS1_3repE0EEENS1_30default_config_static_selectorELNS0_4arch9wavefront6targetE1EEEvT1_
; %bb.0:
	.section	.rodata,"a",@progbits
	.p2align	6, 0x0
	.amdhsa_kernel _ZN7rocprim17ROCPRIM_400000_NS6detail17trampoline_kernelINS0_14default_configENS1_29reduce_by_key_config_selectorIN3c108BFloat16ElN6thrust23THRUST_200600_302600_NS4plusIlEEEEZZNS1_33reduce_by_key_impl_wrapped_configILNS1_25lookback_scan_determinismE0ES3_SB_PS6_NS8_17constant_iteratorIiNS8_11use_defaultESG_EENS8_10device_ptrIS6_EENSI_IlEEPmSA_NS8_8equal_toIS6_EEEE10hipError_tPvRmT2_T3_mT4_T5_T6_T7_T8_P12ihipStream_tbENKUlT_T0_E_clISt17integral_constantIbLb1EES15_EEDaS10_S11_EUlS10_E_NS1_11comp_targetILNS1_3genE3ELNS1_11target_archE908ELNS1_3gpuE7ELNS1_3repE0EEENS1_30default_config_static_selectorELNS0_4arch9wavefront6targetE1EEEvT1_
		.amdhsa_group_segment_fixed_size 0
		.amdhsa_private_segment_fixed_size 0
		.amdhsa_kernarg_size 144
		.amdhsa_user_sgpr_count 6
		.amdhsa_user_sgpr_private_segment_buffer 1
		.amdhsa_user_sgpr_dispatch_ptr 0
		.amdhsa_user_sgpr_queue_ptr 0
		.amdhsa_user_sgpr_kernarg_segment_ptr 1
		.amdhsa_user_sgpr_dispatch_id 0
		.amdhsa_user_sgpr_flat_scratch_init 0
		.amdhsa_user_sgpr_kernarg_preload_length 0
		.amdhsa_user_sgpr_kernarg_preload_offset 0
		.amdhsa_user_sgpr_private_segment_size 0
		.amdhsa_uses_dynamic_stack 0
		.amdhsa_system_sgpr_private_segment_wavefront_offset 0
		.amdhsa_system_sgpr_workgroup_id_x 1
		.amdhsa_system_sgpr_workgroup_id_y 0
		.amdhsa_system_sgpr_workgroup_id_z 0
		.amdhsa_system_sgpr_workgroup_info 0
		.amdhsa_system_vgpr_workitem_id 0
		.amdhsa_next_free_vgpr 1
		.amdhsa_next_free_sgpr 0
		.amdhsa_accum_offset 4
		.amdhsa_reserve_vcc 0
		.amdhsa_reserve_flat_scratch 0
		.amdhsa_float_round_mode_32 0
		.amdhsa_float_round_mode_16_64 0
		.amdhsa_float_denorm_mode_32 3
		.amdhsa_float_denorm_mode_16_64 3
		.amdhsa_dx10_clamp 1
		.amdhsa_ieee_mode 1
		.amdhsa_fp16_overflow 0
		.amdhsa_tg_split 0
		.amdhsa_exception_fp_ieee_invalid_op 0
		.amdhsa_exception_fp_denorm_src 0
		.amdhsa_exception_fp_ieee_div_zero 0
		.amdhsa_exception_fp_ieee_overflow 0
		.amdhsa_exception_fp_ieee_underflow 0
		.amdhsa_exception_fp_ieee_inexact 0
		.amdhsa_exception_int_div_zero 0
	.end_amdhsa_kernel
	.section	.text._ZN7rocprim17ROCPRIM_400000_NS6detail17trampoline_kernelINS0_14default_configENS1_29reduce_by_key_config_selectorIN3c108BFloat16ElN6thrust23THRUST_200600_302600_NS4plusIlEEEEZZNS1_33reduce_by_key_impl_wrapped_configILNS1_25lookback_scan_determinismE0ES3_SB_PS6_NS8_17constant_iteratorIiNS8_11use_defaultESG_EENS8_10device_ptrIS6_EENSI_IlEEPmSA_NS8_8equal_toIS6_EEEE10hipError_tPvRmT2_T3_mT4_T5_T6_T7_T8_P12ihipStream_tbENKUlT_T0_E_clISt17integral_constantIbLb1EES15_EEDaS10_S11_EUlS10_E_NS1_11comp_targetILNS1_3genE3ELNS1_11target_archE908ELNS1_3gpuE7ELNS1_3repE0EEENS1_30default_config_static_selectorELNS0_4arch9wavefront6targetE1EEEvT1_,"axG",@progbits,_ZN7rocprim17ROCPRIM_400000_NS6detail17trampoline_kernelINS0_14default_configENS1_29reduce_by_key_config_selectorIN3c108BFloat16ElN6thrust23THRUST_200600_302600_NS4plusIlEEEEZZNS1_33reduce_by_key_impl_wrapped_configILNS1_25lookback_scan_determinismE0ES3_SB_PS6_NS8_17constant_iteratorIiNS8_11use_defaultESG_EENS8_10device_ptrIS6_EENSI_IlEEPmSA_NS8_8equal_toIS6_EEEE10hipError_tPvRmT2_T3_mT4_T5_T6_T7_T8_P12ihipStream_tbENKUlT_T0_E_clISt17integral_constantIbLb1EES15_EEDaS10_S11_EUlS10_E_NS1_11comp_targetILNS1_3genE3ELNS1_11target_archE908ELNS1_3gpuE7ELNS1_3repE0EEENS1_30default_config_static_selectorELNS0_4arch9wavefront6targetE1EEEvT1_,comdat
.Lfunc_end2065:
	.size	_ZN7rocprim17ROCPRIM_400000_NS6detail17trampoline_kernelINS0_14default_configENS1_29reduce_by_key_config_selectorIN3c108BFloat16ElN6thrust23THRUST_200600_302600_NS4plusIlEEEEZZNS1_33reduce_by_key_impl_wrapped_configILNS1_25lookback_scan_determinismE0ES3_SB_PS6_NS8_17constant_iteratorIiNS8_11use_defaultESG_EENS8_10device_ptrIS6_EENSI_IlEEPmSA_NS8_8equal_toIS6_EEEE10hipError_tPvRmT2_T3_mT4_T5_T6_T7_T8_P12ihipStream_tbENKUlT_T0_E_clISt17integral_constantIbLb1EES15_EEDaS10_S11_EUlS10_E_NS1_11comp_targetILNS1_3genE3ELNS1_11target_archE908ELNS1_3gpuE7ELNS1_3repE0EEENS1_30default_config_static_selectorELNS0_4arch9wavefront6targetE1EEEvT1_, .Lfunc_end2065-_ZN7rocprim17ROCPRIM_400000_NS6detail17trampoline_kernelINS0_14default_configENS1_29reduce_by_key_config_selectorIN3c108BFloat16ElN6thrust23THRUST_200600_302600_NS4plusIlEEEEZZNS1_33reduce_by_key_impl_wrapped_configILNS1_25lookback_scan_determinismE0ES3_SB_PS6_NS8_17constant_iteratorIiNS8_11use_defaultESG_EENS8_10device_ptrIS6_EENSI_IlEEPmSA_NS8_8equal_toIS6_EEEE10hipError_tPvRmT2_T3_mT4_T5_T6_T7_T8_P12ihipStream_tbENKUlT_T0_E_clISt17integral_constantIbLb1EES15_EEDaS10_S11_EUlS10_E_NS1_11comp_targetILNS1_3genE3ELNS1_11target_archE908ELNS1_3gpuE7ELNS1_3repE0EEENS1_30default_config_static_selectorELNS0_4arch9wavefront6targetE1EEEvT1_
                                        ; -- End function
	.section	.AMDGPU.csdata,"",@progbits
; Kernel info:
; codeLenInByte = 0
; NumSgprs: 4
; NumVgprs: 0
; NumAgprs: 0
; TotalNumVgprs: 0
; ScratchSize: 0
; MemoryBound: 0
; FloatMode: 240
; IeeeMode: 1
; LDSByteSize: 0 bytes/workgroup (compile time only)
; SGPRBlocks: 0
; VGPRBlocks: 0
; NumSGPRsForWavesPerEU: 4
; NumVGPRsForWavesPerEU: 1
; AccumOffset: 4
; Occupancy: 8
; WaveLimiterHint : 0
; COMPUTE_PGM_RSRC2:SCRATCH_EN: 0
; COMPUTE_PGM_RSRC2:USER_SGPR: 6
; COMPUTE_PGM_RSRC2:TRAP_HANDLER: 0
; COMPUTE_PGM_RSRC2:TGID_X_EN: 1
; COMPUTE_PGM_RSRC2:TGID_Y_EN: 0
; COMPUTE_PGM_RSRC2:TGID_Z_EN: 0
; COMPUTE_PGM_RSRC2:TIDIG_COMP_CNT: 0
; COMPUTE_PGM_RSRC3_GFX90A:ACCUM_OFFSET: 0
; COMPUTE_PGM_RSRC3_GFX90A:TG_SPLIT: 0
	.section	.text._ZN7rocprim17ROCPRIM_400000_NS6detail17trampoline_kernelINS0_14default_configENS1_29reduce_by_key_config_selectorIN3c108BFloat16ElN6thrust23THRUST_200600_302600_NS4plusIlEEEEZZNS1_33reduce_by_key_impl_wrapped_configILNS1_25lookback_scan_determinismE0ES3_SB_PS6_NS8_17constant_iteratorIiNS8_11use_defaultESG_EENS8_10device_ptrIS6_EENSI_IlEEPmSA_NS8_8equal_toIS6_EEEE10hipError_tPvRmT2_T3_mT4_T5_T6_T7_T8_P12ihipStream_tbENKUlT_T0_E_clISt17integral_constantIbLb1EES15_EEDaS10_S11_EUlS10_E_NS1_11comp_targetILNS1_3genE2ELNS1_11target_archE906ELNS1_3gpuE6ELNS1_3repE0EEENS1_30default_config_static_selectorELNS0_4arch9wavefront6targetE1EEEvT1_,"axG",@progbits,_ZN7rocprim17ROCPRIM_400000_NS6detail17trampoline_kernelINS0_14default_configENS1_29reduce_by_key_config_selectorIN3c108BFloat16ElN6thrust23THRUST_200600_302600_NS4plusIlEEEEZZNS1_33reduce_by_key_impl_wrapped_configILNS1_25lookback_scan_determinismE0ES3_SB_PS6_NS8_17constant_iteratorIiNS8_11use_defaultESG_EENS8_10device_ptrIS6_EENSI_IlEEPmSA_NS8_8equal_toIS6_EEEE10hipError_tPvRmT2_T3_mT4_T5_T6_T7_T8_P12ihipStream_tbENKUlT_T0_E_clISt17integral_constantIbLb1EES15_EEDaS10_S11_EUlS10_E_NS1_11comp_targetILNS1_3genE2ELNS1_11target_archE906ELNS1_3gpuE6ELNS1_3repE0EEENS1_30default_config_static_selectorELNS0_4arch9wavefront6targetE1EEEvT1_,comdat
	.protected	_ZN7rocprim17ROCPRIM_400000_NS6detail17trampoline_kernelINS0_14default_configENS1_29reduce_by_key_config_selectorIN3c108BFloat16ElN6thrust23THRUST_200600_302600_NS4plusIlEEEEZZNS1_33reduce_by_key_impl_wrapped_configILNS1_25lookback_scan_determinismE0ES3_SB_PS6_NS8_17constant_iteratorIiNS8_11use_defaultESG_EENS8_10device_ptrIS6_EENSI_IlEEPmSA_NS8_8equal_toIS6_EEEE10hipError_tPvRmT2_T3_mT4_T5_T6_T7_T8_P12ihipStream_tbENKUlT_T0_E_clISt17integral_constantIbLb1EES15_EEDaS10_S11_EUlS10_E_NS1_11comp_targetILNS1_3genE2ELNS1_11target_archE906ELNS1_3gpuE6ELNS1_3repE0EEENS1_30default_config_static_selectorELNS0_4arch9wavefront6targetE1EEEvT1_ ; -- Begin function _ZN7rocprim17ROCPRIM_400000_NS6detail17trampoline_kernelINS0_14default_configENS1_29reduce_by_key_config_selectorIN3c108BFloat16ElN6thrust23THRUST_200600_302600_NS4plusIlEEEEZZNS1_33reduce_by_key_impl_wrapped_configILNS1_25lookback_scan_determinismE0ES3_SB_PS6_NS8_17constant_iteratorIiNS8_11use_defaultESG_EENS8_10device_ptrIS6_EENSI_IlEEPmSA_NS8_8equal_toIS6_EEEE10hipError_tPvRmT2_T3_mT4_T5_T6_T7_T8_P12ihipStream_tbENKUlT_T0_E_clISt17integral_constantIbLb1EES15_EEDaS10_S11_EUlS10_E_NS1_11comp_targetILNS1_3genE2ELNS1_11target_archE906ELNS1_3gpuE6ELNS1_3repE0EEENS1_30default_config_static_selectorELNS0_4arch9wavefront6targetE1EEEvT1_
	.globl	_ZN7rocprim17ROCPRIM_400000_NS6detail17trampoline_kernelINS0_14default_configENS1_29reduce_by_key_config_selectorIN3c108BFloat16ElN6thrust23THRUST_200600_302600_NS4plusIlEEEEZZNS1_33reduce_by_key_impl_wrapped_configILNS1_25lookback_scan_determinismE0ES3_SB_PS6_NS8_17constant_iteratorIiNS8_11use_defaultESG_EENS8_10device_ptrIS6_EENSI_IlEEPmSA_NS8_8equal_toIS6_EEEE10hipError_tPvRmT2_T3_mT4_T5_T6_T7_T8_P12ihipStream_tbENKUlT_T0_E_clISt17integral_constantIbLb1EES15_EEDaS10_S11_EUlS10_E_NS1_11comp_targetILNS1_3genE2ELNS1_11target_archE906ELNS1_3gpuE6ELNS1_3repE0EEENS1_30default_config_static_selectorELNS0_4arch9wavefront6targetE1EEEvT1_
	.p2align	8
	.type	_ZN7rocprim17ROCPRIM_400000_NS6detail17trampoline_kernelINS0_14default_configENS1_29reduce_by_key_config_selectorIN3c108BFloat16ElN6thrust23THRUST_200600_302600_NS4plusIlEEEEZZNS1_33reduce_by_key_impl_wrapped_configILNS1_25lookback_scan_determinismE0ES3_SB_PS6_NS8_17constant_iteratorIiNS8_11use_defaultESG_EENS8_10device_ptrIS6_EENSI_IlEEPmSA_NS8_8equal_toIS6_EEEE10hipError_tPvRmT2_T3_mT4_T5_T6_T7_T8_P12ihipStream_tbENKUlT_T0_E_clISt17integral_constantIbLb1EES15_EEDaS10_S11_EUlS10_E_NS1_11comp_targetILNS1_3genE2ELNS1_11target_archE906ELNS1_3gpuE6ELNS1_3repE0EEENS1_30default_config_static_selectorELNS0_4arch9wavefront6targetE1EEEvT1_,@function
_ZN7rocprim17ROCPRIM_400000_NS6detail17trampoline_kernelINS0_14default_configENS1_29reduce_by_key_config_selectorIN3c108BFloat16ElN6thrust23THRUST_200600_302600_NS4plusIlEEEEZZNS1_33reduce_by_key_impl_wrapped_configILNS1_25lookback_scan_determinismE0ES3_SB_PS6_NS8_17constant_iteratorIiNS8_11use_defaultESG_EENS8_10device_ptrIS6_EENSI_IlEEPmSA_NS8_8equal_toIS6_EEEE10hipError_tPvRmT2_T3_mT4_T5_T6_T7_T8_P12ihipStream_tbENKUlT_T0_E_clISt17integral_constantIbLb1EES15_EEDaS10_S11_EUlS10_E_NS1_11comp_targetILNS1_3genE2ELNS1_11target_archE906ELNS1_3gpuE6ELNS1_3repE0EEENS1_30default_config_static_selectorELNS0_4arch9wavefront6targetE1EEEvT1_: ; @_ZN7rocprim17ROCPRIM_400000_NS6detail17trampoline_kernelINS0_14default_configENS1_29reduce_by_key_config_selectorIN3c108BFloat16ElN6thrust23THRUST_200600_302600_NS4plusIlEEEEZZNS1_33reduce_by_key_impl_wrapped_configILNS1_25lookback_scan_determinismE0ES3_SB_PS6_NS8_17constant_iteratorIiNS8_11use_defaultESG_EENS8_10device_ptrIS6_EENSI_IlEEPmSA_NS8_8equal_toIS6_EEEE10hipError_tPvRmT2_T3_mT4_T5_T6_T7_T8_P12ihipStream_tbENKUlT_T0_E_clISt17integral_constantIbLb1EES15_EEDaS10_S11_EUlS10_E_NS1_11comp_targetILNS1_3genE2ELNS1_11target_archE906ELNS1_3gpuE6ELNS1_3repE0EEENS1_30default_config_static_selectorELNS0_4arch9wavefront6targetE1EEEvT1_
; %bb.0:
	.section	.rodata,"a",@progbits
	.p2align	6, 0x0
	.amdhsa_kernel _ZN7rocprim17ROCPRIM_400000_NS6detail17trampoline_kernelINS0_14default_configENS1_29reduce_by_key_config_selectorIN3c108BFloat16ElN6thrust23THRUST_200600_302600_NS4plusIlEEEEZZNS1_33reduce_by_key_impl_wrapped_configILNS1_25lookback_scan_determinismE0ES3_SB_PS6_NS8_17constant_iteratorIiNS8_11use_defaultESG_EENS8_10device_ptrIS6_EENSI_IlEEPmSA_NS8_8equal_toIS6_EEEE10hipError_tPvRmT2_T3_mT4_T5_T6_T7_T8_P12ihipStream_tbENKUlT_T0_E_clISt17integral_constantIbLb1EES15_EEDaS10_S11_EUlS10_E_NS1_11comp_targetILNS1_3genE2ELNS1_11target_archE906ELNS1_3gpuE6ELNS1_3repE0EEENS1_30default_config_static_selectorELNS0_4arch9wavefront6targetE1EEEvT1_
		.amdhsa_group_segment_fixed_size 0
		.amdhsa_private_segment_fixed_size 0
		.amdhsa_kernarg_size 144
		.amdhsa_user_sgpr_count 6
		.amdhsa_user_sgpr_private_segment_buffer 1
		.amdhsa_user_sgpr_dispatch_ptr 0
		.amdhsa_user_sgpr_queue_ptr 0
		.amdhsa_user_sgpr_kernarg_segment_ptr 1
		.amdhsa_user_sgpr_dispatch_id 0
		.amdhsa_user_sgpr_flat_scratch_init 0
		.amdhsa_user_sgpr_kernarg_preload_length 0
		.amdhsa_user_sgpr_kernarg_preload_offset 0
		.amdhsa_user_sgpr_private_segment_size 0
		.amdhsa_uses_dynamic_stack 0
		.amdhsa_system_sgpr_private_segment_wavefront_offset 0
		.amdhsa_system_sgpr_workgroup_id_x 1
		.amdhsa_system_sgpr_workgroup_id_y 0
		.amdhsa_system_sgpr_workgroup_id_z 0
		.amdhsa_system_sgpr_workgroup_info 0
		.amdhsa_system_vgpr_workitem_id 0
		.amdhsa_next_free_vgpr 1
		.amdhsa_next_free_sgpr 0
		.amdhsa_accum_offset 4
		.amdhsa_reserve_vcc 0
		.amdhsa_reserve_flat_scratch 0
		.amdhsa_float_round_mode_32 0
		.amdhsa_float_round_mode_16_64 0
		.amdhsa_float_denorm_mode_32 3
		.amdhsa_float_denorm_mode_16_64 3
		.amdhsa_dx10_clamp 1
		.amdhsa_ieee_mode 1
		.amdhsa_fp16_overflow 0
		.amdhsa_tg_split 0
		.amdhsa_exception_fp_ieee_invalid_op 0
		.amdhsa_exception_fp_denorm_src 0
		.amdhsa_exception_fp_ieee_div_zero 0
		.amdhsa_exception_fp_ieee_overflow 0
		.amdhsa_exception_fp_ieee_underflow 0
		.amdhsa_exception_fp_ieee_inexact 0
		.amdhsa_exception_int_div_zero 0
	.end_amdhsa_kernel
	.section	.text._ZN7rocprim17ROCPRIM_400000_NS6detail17trampoline_kernelINS0_14default_configENS1_29reduce_by_key_config_selectorIN3c108BFloat16ElN6thrust23THRUST_200600_302600_NS4plusIlEEEEZZNS1_33reduce_by_key_impl_wrapped_configILNS1_25lookback_scan_determinismE0ES3_SB_PS6_NS8_17constant_iteratorIiNS8_11use_defaultESG_EENS8_10device_ptrIS6_EENSI_IlEEPmSA_NS8_8equal_toIS6_EEEE10hipError_tPvRmT2_T3_mT4_T5_T6_T7_T8_P12ihipStream_tbENKUlT_T0_E_clISt17integral_constantIbLb1EES15_EEDaS10_S11_EUlS10_E_NS1_11comp_targetILNS1_3genE2ELNS1_11target_archE906ELNS1_3gpuE6ELNS1_3repE0EEENS1_30default_config_static_selectorELNS0_4arch9wavefront6targetE1EEEvT1_,"axG",@progbits,_ZN7rocprim17ROCPRIM_400000_NS6detail17trampoline_kernelINS0_14default_configENS1_29reduce_by_key_config_selectorIN3c108BFloat16ElN6thrust23THRUST_200600_302600_NS4plusIlEEEEZZNS1_33reduce_by_key_impl_wrapped_configILNS1_25lookback_scan_determinismE0ES3_SB_PS6_NS8_17constant_iteratorIiNS8_11use_defaultESG_EENS8_10device_ptrIS6_EENSI_IlEEPmSA_NS8_8equal_toIS6_EEEE10hipError_tPvRmT2_T3_mT4_T5_T6_T7_T8_P12ihipStream_tbENKUlT_T0_E_clISt17integral_constantIbLb1EES15_EEDaS10_S11_EUlS10_E_NS1_11comp_targetILNS1_3genE2ELNS1_11target_archE906ELNS1_3gpuE6ELNS1_3repE0EEENS1_30default_config_static_selectorELNS0_4arch9wavefront6targetE1EEEvT1_,comdat
.Lfunc_end2066:
	.size	_ZN7rocprim17ROCPRIM_400000_NS6detail17trampoline_kernelINS0_14default_configENS1_29reduce_by_key_config_selectorIN3c108BFloat16ElN6thrust23THRUST_200600_302600_NS4plusIlEEEEZZNS1_33reduce_by_key_impl_wrapped_configILNS1_25lookback_scan_determinismE0ES3_SB_PS6_NS8_17constant_iteratorIiNS8_11use_defaultESG_EENS8_10device_ptrIS6_EENSI_IlEEPmSA_NS8_8equal_toIS6_EEEE10hipError_tPvRmT2_T3_mT4_T5_T6_T7_T8_P12ihipStream_tbENKUlT_T0_E_clISt17integral_constantIbLb1EES15_EEDaS10_S11_EUlS10_E_NS1_11comp_targetILNS1_3genE2ELNS1_11target_archE906ELNS1_3gpuE6ELNS1_3repE0EEENS1_30default_config_static_selectorELNS0_4arch9wavefront6targetE1EEEvT1_, .Lfunc_end2066-_ZN7rocprim17ROCPRIM_400000_NS6detail17trampoline_kernelINS0_14default_configENS1_29reduce_by_key_config_selectorIN3c108BFloat16ElN6thrust23THRUST_200600_302600_NS4plusIlEEEEZZNS1_33reduce_by_key_impl_wrapped_configILNS1_25lookback_scan_determinismE0ES3_SB_PS6_NS8_17constant_iteratorIiNS8_11use_defaultESG_EENS8_10device_ptrIS6_EENSI_IlEEPmSA_NS8_8equal_toIS6_EEEE10hipError_tPvRmT2_T3_mT4_T5_T6_T7_T8_P12ihipStream_tbENKUlT_T0_E_clISt17integral_constantIbLb1EES15_EEDaS10_S11_EUlS10_E_NS1_11comp_targetILNS1_3genE2ELNS1_11target_archE906ELNS1_3gpuE6ELNS1_3repE0EEENS1_30default_config_static_selectorELNS0_4arch9wavefront6targetE1EEEvT1_
                                        ; -- End function
	.section	.AMDGPU.csdata,"",@progbits
; Kernel info:
; codeLenInByte = 0
; NumSgprs: 4
; NumVgprs: 0
; NumAgprs: 0
; TotalNumVgprs: 0
; ScratchSize: 0
; MemoryBound: 0
; FloatMode: 240
; IeeeMode: 1
; LDSByteSize: 0 bytes/workgroup (compile time only)
; SGPRBlocks: 0
; VGPRBlocks: 0
; NumSGPRsForWavesPerEU: 4
; NumVGPRsForWavesPerEU: 1
; AccumOffset: 4
; Occupancy: 8
; WaveLimiterHint : 0
; COMPUTE_PGM_RSRC2:SCRATCH_EN: 0
; COMPUTE_PGM_RSRC2:USER_SGPR: 6
; COMPUTE_PGM_RSRC2:TRAP_HANDLER: 0
; COMPUTE_PGM_RSRC2:TGID_X_EN: 1
; COMPUTE_PGM_RSRC2:TGID_Y_EN: 0
; COMPUTE_PGM_RSRC2:TGID_Z_EN: 0
; COMPUTE_PGM_RSRC2:TIDIG_COMP_CNT: 0
; COMPUTE_PGM_RSRC3_GFX90A:ACCUM_OFFSET: 0
; COMPUTE_PGM_RSRC3_GFX90A:TG_SPLIT: 0
	.section	.text._ZN7rocprim17ROCPRIM_400000_NS6detail17trampoline_kernelINS0_14default_configENS1_29reduce_by_key_config_selectorIN3c108BFloat16ElN6thrust23THRUST_200600_302600_NS4plusIlEEEEZZNS1_33reduce_by_key_impl_wrapped_configILNS1_25lookback_scan_determinismE0ES3_SB_PS6_NS8_17constant_iteratorIiNS8_11use_defaultESG_EENS8_10device_ptrIS6_EENSI_IlEEPmSA_NS8_8equal_toIS6_EEEE10hipError_tPvRmT2_T3_mT4_T5_T6_T7_T8_P12ihipStream_tbENKUlT_T0_E_clISt17integral_constantIbLb1EES15_EEDaS10_S11_EUlS10_E_NS1_11comp_targetILNS1_3genE10ELNS1_11target_archE1201ELNS1_3gpuE5ELNS1_3repE0EEENS1_30default_config_static_selectorELNS0_4arch9wavefront6targetE1EEEvT1_,"axG",@progbits,_ZN7rocprim17ROCPRIM_400000_NS6detail17trampoline_kernelINS0_14default_configENS1_29reduce_by_key_config_selectorIN3c108BFloat16ElN6thrust23THRUST_200600_302600_NS4plusIlEEEEZZNS1_33reduce_by_key_impl_wrapped_configILNS1_25lookback_scan_determinismE0ES3_SB_PS6_NS8_17constant_iteratorIiNS8_11use_defaultESG_EENS8_10device_ptrIS6_EENSI_IlEEPmSA_NS8_8equal_toIS6_EEEE10hipError_tPvRmT2_T3_mT4_T5_T6_T7_T8_P12ihipStream_tbENKUlT_T0_E_clISt17integral_constantIbLb1EES15_EEDaS10_S11_EUlS10_E_NS1_11comp_targetILNS1_3genE10ELNS1_11target_archE1201ELNS1_3gpuE5ELNS1_3repE0EEENS1_30default_config_static_selectorELNS0_4arch9wavefront6targetE1EEEvT1_,comdat
	.protected	_ZN7rocprim17ROCPRIM_400000_NS6detail17trampoline_kernelINS0_14default_configENS1_29reduce_by_key_config_selectorIN3c108BFloat16ElN6thrust23THRUST_200600_302600_NS4plusIlEEEEZZNS1_33reduce_by_key_impl_wrapped_configILNS1_25lookback_scan_determinismE0ES3_SB_PS6_NS8_17constant_iteratorIiNS8_11use_defaultESG_EENS8_10device_ptrIS6_EENSI_IlEEPmSA_NS8_8equal_toIS6_EEEE10hipError_tPvRmT2_T3_mT4_T5_T6_T7_T8_P12ihipStream_tbENKUlT_T0_E_clISt17integral_constantIbLb1EES15_EEDaS10_S11_EUlS10_E_NS1_11comp_targetILNS1_3genE10ELNS1_11target_archE1201ELNS1_3gpuE5ELNS1_3repE0EEENS1_30default_config_static_selectorELNS0_4arch9wavefront6targetE1EEEvT1_ ; -- Begin function _ZN7rocprim17ROCPRIM_400000_NS6detail17trampoline_kernelINS0_14default_configENS1_29reduce_by_key_config_selectorIN3c108BFloat16ElN6thrust23THRUST_200600_302600_NS4plusIlEEEEZZNS1_33reduce_by_key_impl_wrapped_configILNS1_25lookback_scan_determinismE0ES3_SB_PS6_NS8_17constant_iteratorIiNS8_11use_defaultESG_EENS8_10device_ptrIS6_EENSI_IlEEPmSA_NS8_8equal_toIS6_EEEE10hipError_tPvRmT2_T3_mT4_T5_T6_T7_T8_P12ihipStream_tbENKUlT_T0_E_clISt17integral_constantIbLb1EES15_EEDaS10_S11_EUlS10_E_NS1_11comp_targetILNS1_3genE10ELNS1_11target_archE1201ELNS1_3gpuE5ELNS1_3repE0EEENS1_30default_config_static_selectorELNS0_4arch9wavefront6targetE1EEEvT1_
	.globl	_ZN7rocprim17ROCPRIM_400000_NS6detail17trampoline_kernelINS0_14default_configENS1_29reduce_by_key_config_selectorIN3c108BFloat16ElN6thrust23THRUST_200600_302600_NS4plusIlEEEEZZNS1_33reduce_by_key_impl_wrapped_configILNS1_25lookback_scan_determinismE0ES3_SB_PS6_NS8_17constant_iteratorIiNS8_11use_defaultESG_EENS8_10device_ptrIS6_EENSI_IlEEPmSA_NS8_8equal_toIS6_EEEE10hipError_tPvRmT2_T3_mT4_T5_T6_T7_T8_P12ihipStream_tbENKUlT_T0_E_clISt17integral_constantIbLb1EES15_EEDaS10_S11_EUlS10_E_NS1_11comp_targetILNS1_3genE10ELNS1_11target_archE1201ELNS1_3gpuE5ELNS1_3repE0EEENS1_30default_config_static_selectorELNS0_4arch9wavefront6targetE1EEEvT1_
	.p2align	8
	.type	_ZN7rocprim17ROCPRIM_400000_NS6detail17trampoline_kernelINS0_14default_configENS1_29reduce_by_key_config_selectorIN3c108BFloat16ElN6thrust23THRUST_200600_302600_NS4plusIlEEEEZZNS1_33reduce_by_key_impl_wrapped_configILNS1_25lookback_scan_determinismE0ES3_SB_PS6_NS8_17constant_iteratorIiNS8_11use_defaultESG_EENS8_10device_ptrIS6_EENSI_IlEEPmSA_NS8_8equal_toIS6_EEEE10hipError_tPvRmT2_T3_mT4_T5_T6_T7_T8_P12ihipStream_tbENKUlT_T0_E_clISt17integral_constantIbLb1EES15_EEDaS10_S11_EUlS10_E_NS1_11comp_targetILNS1_3genE10ELNS1_11target_archE1201ELNS1_3gpuE5ELNS1_3repE0EEENS1_30default_config_static_selectorELNS0_4arch9wavefront6targetE1EEEvT1_,@function
_ZN7rocprim17ROCPRIM_400000_NS6detail17trampoline_kernelINS0_14default_configENS1_29reduce_by_key_config_selectorIN3c108BFloat16ElN6thrust23THRUST_200600_302600_NS4plusIlEEEEZZNS1_33reduce_by_key_impl_wrapped_configILNS1_25lookback_scan_determinismE0ES3_SB_PS6_NS8_17constant_iteratorIiNS8_11use_defaultESG_EENS8_10device_ptrIS6_EENSI_IlEEPmSA_NS8_8equal_toIS6_EEEE10hipError_tPvRmT2_T3_mT4_T5_T6_T7_T8_P12ihipStream_tbENKUlT_T0_E_clISt17integral_constantIbLb1EES15_EEDaS10_S11_EUlS10_E_NS1_11comp_targetILNS1_3genE10ELNS1_11target_archE1201ELNS1_3gpuE5ELNS1_3repE0EEENS1_30default_config_static_selectorELNS0_4arch9wavefront6targetE1EEEvT1_: ; @_ZN7rocprim17ROCPRIM_400000_NS6detail17trampoline_kernelINS0_14default_configENS1_29reduce_by_key_config_selectorIN3c108BFloat16ElN6thrust23THRUST_200600_302600_NS4plusIlEEEEZZNS1_33reduce_by_key_impl_wrapped_configILNS1_25lookback_scan_determinismE0ES3_SB_PS6_NS8_17constant_iteratorIiNS8_11use_defaultESG_EENS8_10device_ptrIS6_EENSI_IlEEPmSA_NS8_8equal_toIS6_EEEE10hipError_tPvRmT2_T3_mT4_T5_T6_T7_T8_P12ihipStream_tbENKUlT_T0_E_clISt17integral_constantIbLb1EES15_EEDaS10_S11_EUlS10_E_NS1_11comp_targetILNS1_3genE10ELNS1_11target_archE1201ELNS1_3gpuE5ELNS1_3repE0EEENS1_30default_config_static_selectorELNS0_4arch9wavefront6targetE1EEEvT1_
; %bb.0:
	.section	.rodata,"a",@progbits
	.p2align	6, 0x0
	.amdhsa_kernel _ZN7rocprim17ROCPRIM_400000_NS6detail17trampoline_kernelINS0_14default_configENS1_29reduce_by_key_config_selectorIN3c108BFloat16ElN6thrust23THRUST_200600_302600_NS4plusIlEEEEZZNS1_33reduce_by_key_impl_wrapped_configILNS1_25lookback_scan_determinismE0ES3_SB_PS6_NS8_17constant_iteratorIiNS8_11use_defaultESG_EENS8_10device_ptrIS6_EENSI_IlEEPmSA_NS8_8equal_toIS6_EEEE10hipError_tPvRmT2_T3_mT4_T5_T6_T7_T8_P12ihipStream_tbENKUlT_T0_E_clISt17integral_constantIbLb1EES15_EEDaS10_S11_EUlS10_E_NS1_11comp_targetILNS1_3genE10ELNS1_11target_archE1201ELNS1_3gpuE5ELNS1_3repE0EEENS1_30default_config_static_selectorELNS0_4arch9wavefront6targetE1EEEvT1_
		.amdhsa_group_segment_fixed_size 0
		.amdhsa_private_segment_fixed_size 0
		.amdhsa_kernarg_size 144
		.amdhsa_user_sgpr_count 6
		.amdhsa_user_sgpr_private_segment_buffer 1
		.amdhsa_user_sgpr_dispatch_ptr 0
		.amdhsa_user_sgpr_queue_ptr 0
		.amdhsa_user_sgpr_kernarg_segment_ptr 1
		.amdhsa_user_sgpr_dispatch_id 0
		.amdhsa_user_sgpr_flat_scratch_init 0
		.amdhsa_user_sgpr_kernarg_preload_length 0
		.amdhsa_user_sgpr_kernarg_preload_offset 0
		.amdhsa_user_sgpr_private_segment_size 0
		.amdhsa_uses_dynamic_stack 0
		.amdhsa_system_sgpr_private_segment_wavefront_offset 0
		.amdhsa_system_sgpr_workgroup_id_x 1
		.amdhsa_system_sgpr_workgroup_id_y 0
		.amdhsa_system_sgpr_workgroup_id_z 0
		.amdhsa_system_sgpr_workgroup_info 0
		.amdhsa_system_vgpr_workitem_id 0
		.amdhsa_next_free_vgpr 1
		.amdhsa_next_free_sgpr 0
		.amdhsa_accum_offset 4
		.amdhsa_reserve_vcc 0
		.amdhsa_reserve_flat_scratch 0
		.amdhsa_float_round_mode_32 0
		.amdhsa_float_round_mode_16_64 0
		.amdhsa_float_denorm_mode_32 3
		.amdhsa_float_denorm_mode_16_64 3
		.amdhsa_dx10_clamp 1
		.amdhsa_ieee_mode 1
		.amdhsa_fp16_overflow 0
		.amdhsa_tg_split 0
		.amdhsa_exception_fp_ieee_invalid_op 0
		.amdhsa_exception_fp_denorm_src 0
		.amdhsa_exception_fp_ieee_div_zero 0
		.amdhsa_exception_fp_ieee_overflow 0
		.amdhsa_exception_fp_ieee_underflow 0
		.amdhsa_exception_fp_ieee_inexact 0
		.amdhsa_exception_int_div_zero 0
	.end_amdhsa_kernel
	.section	.text._ZN7rocprim17ROCPRIM_400000_NS6detail17trampoline_kernelINS0_14default_configENS1_29reduce_by_key_config_selectorIN3c108BFloat16ElN6thrust23THRUST_200600_302600_NS4plusIlEEEEZZNS1_33reduce_by_key_impl_wrapped_configILNS1_25lookback_scan_determinismE0ES3_SB_PS6_NS8_17constant_iteratorIiNS8_11use_defaultESG_EENS8_10device_ptrIS6_EENSI_IlEEPmSA_NS8_8equal_toIS6_EEEE10hipError_tPvRmT2_T3_mT4_T5_T6_T7_T8_P12ihipStream_tbENKUlT_T0_E_clISt17integral_constantIbLb1EES15_EEDaS10_S11_EUlS10_E_NS1_11comp_targetILNS1_3genE10ELNS1_11target_archE1201ELNS1_3gpuE5ELNS1_3repE0EEENS1_30default_config_static_selectorELNS0_4arch9wavefront6targetE1EEEvT1_,"axG",@progbits,_ZN7rocprim17ROCPRIM_400000_NS6detail17trampoline_kernelINS0_14default_configENS1_29reduce_by_key_config_selectorIN3c108BFloat16ElN6thrust23THRUST_200600_302600_NS4plusIlEEEEZZNS1_33reduce_by_key_impl_wrapped_configILNS1_25lookback_scan_determinismE0ES3_SB_PS6_NS8_17constant_iteratorIiNS8_11use_defaultESG_EENS8_10device_ptrIS6_EENSI_IlEEPmSA_NS8_8equal_toIS6_EEEE10hipError_tPvRmT2_T3_mT4_T5_T6_T7_T8_P12ihipStream_tbENKUlT_T0_E_clISt17integral_constantIbLb1EES15_EEDaS10_S11_EUlS10_E_NS1_11comp_targetILNS1_3genE10ELNS1_11target_archE1201ELNS1_3gpuE5ELNS1_3repE0EEENS1_30default_config_static_selectorELNS0_4arch9wavefront6targetE1EEEvT1_,comdat
.Lfunc_end2067:
	.size	_ZN7rocprim17ROCPRIM_400000_NS6detail17trampoline_kernelINS0_14default_configENS1_29reduce_by_key_config_selectorIN3c108BFloat16ElN6thrust23THRUST_200600_302600_NS4plusIlEEEEZZNS1_33reduce_by_key_impl_wrapped_configILNS1_25lookback_scan_determinismE0ES3_SB_PS6_NS8_17constant_iteratorIiNS8_11use_defaultESG_EENS8_10device_ptrIS6_EENSI_IlEEPmSA_NS8_8equal_toIS6_EEEE10hipError_tPvRmT2_T3_mT4_T5_T6_T7_T8_P12ihipStream_tbENKUlT_T0_E_clISt17integral_constantIbLb1EES15_EEDaS10_S11_EUlS10_E_NS1_11comp_targetILNS1_3genE10ELNS1_11target_archE1201ELNS1_3gpuE5ELNS1_3repE0EEENS1_30default_config_static_selectorELNS0_4arch9wavefront6targetE1EEEvT1_, .Lfunc_end2067-_ZN7rocprim17ROCPRIM_400000_NS6detail17trampoline_kernelINS0_14default_configENS1_29reduce_by_key_config_selectorIN3c108BFloat16ElN6thrust23THRUST_200600_302600_NS4plusIlEEEEZZNS1_33reduce_by_key_impl_wrapped_configILNS1_25lookback_scan_determinismE0ES3_SB_PS6_NS8_17constant_iteratorIiNS8_11use_defaultESG_EENS8_10device_ptrIS6_EENSI_IlEEPmSA_NS8_8equal_toIS6_EEEE10hipError_tPvRmT2_T3_mT4_T5_T6_T7_T8_P12ihipStream_tbENKUlT_T0_E_clISt17integral_constantIbLb1EES15_EEDaS10_S11_EUlS10_E_NS1_11comp_targetILNS1_3genE10ELNS1_11target_archE1201ELNS1_3gpuE5ELNS1_3repE0EEENS1_30default_config_static_selectorELNS0_4arch9wavefront6targetE1EEEvT1_
                                        ; -- End function
	.section	.AMDGPU.csdata,"",@progbits
; Kernel info:
; codeLenInByte = 0
; NumSgprs: 4
; NumVgprs: 0
; NumAgprs: 0
; TotalNumVgprs: 0
; ScratchSize: 0
; MemoryBound: 0
; FloatMode: 240
; IeeeMode: 1
; LDSByteSize: 0 bytes/workgroup (compile time only)
; SGPRBlocks: 0
; VGPRBlocks: 0
; NumSGPRsForWavesPerEU: 4
; NumVGPRsForWavesPerEU: 1
; AccumOffset: 4
; Occupancy: 8
; WaveLimiterHint : 0
; COMPUTE_PGM_RSRC2:SCRATCH_EN: 0
; COMPUTE_PGM_RSRC2:USER_SGPR: 6
; COMPUTE_PGM_RSRC2:TRAP_HANDLER: 0
; COMPUTE_PGM_RSRC2:TGID_X_EN: 1
; COMPUTE_PGM_RSRC2:TGID_Y_EN: 0
; COMPUTE_PGM_RSRC2:TGID_Z_EN: 0
; COMPUTE_PGM_RSRC2:TIDIG_COMP_CNT: 0
; COMPUTE_PGM_RSRC3_GFX90A:ACCUM_OFFSET: 0
; COMPUTE_PGM_RSRC3_GFX90A:TG_SPLIT: 0
	.section	.text._ZN7rocprim17ROCPRIM_400000_NS6detail17trampoline_kernelINS0_14default_configENS1_29reduce_by_key_config_selectorIN3c108BFloat16ElN6thrust23THRUST_200600_302600_NS4plusIlEEEEZZNS1_33reduce_by_key_impl_wrapped_configILNS1_25lookback_scan_determinismE0ES3_SB_PS6_NS8_17constant_iteratorIiNS8_11use_defaultESG_EENS8_10device_ptrIS6_EENSI_IlEEPmSA_NS8_8equal_toIS6_EEEE10hipError_tPvRmT2_T3_mT4_T5_T6_T7_T8_P12ihipStream_tbENKUlT_T0_E_clISt17integral_constantIbLb1EES15_EEDaS10_S11_EUlS10_E_NS1_11comp_targetILNS1_3genE10ELNS1_11target_archE1200ELNS1_3gpuE4ELNS1_3repE0EEENS1_30default_config_static_selectorELNS0_4arch9wavefront6targetE1EEEvT1_,"axG",@progbits,_ZN7rocprim17ROCPRIM_400000_NS6detail17trampoline_kernelINS0_14default_configENS1_29reduce_by_key_config_selectorIN3c108BFloat16ElN6thrust23THRUST_200600_302600_NS4plusIlEEEEZZNS1_33reduce_by_key_impl_wrapped_configILNS1_25lookback_scan_determinismE0ES3_SB_PS6_NS8_17constant_iteratorIiNS8_11use_defaultESG_EENS8_10device_ptrIS6_EENSI_IlEEPmSA_NS8_8equal_toIS6_EEEE10hipError_tPvRmT2_T3_mT4_T5_T6_T7_T8_P12ihipStream_tbENKUlT_T0_E_clISt17integral_constantIbLb1EES15_EEDaS10_S11_EUlS10_E_NS1_11comp_targetILNS1_3genE10ELNS1_11target_archE1200ELNS1_3gpuE4ELNS1_3repE0EEENS1_30default_config_static_selectorELNS0_4arch9wavefront6targetE1EEEvT1_,comdat
	.protected	_ZN7rocprim17ROCPRIM_400000_NS6detail17trampoline_kernelINS0_14default_configENS1_29reduce_by_key_config_selectorIN3c108BFloat16ElN6thrust23THRUST_200600_302600_NS4plusIlEEEEZZNS1_33reduce_by_key_impl_wrapped_configILNS1_25lookback_scan_determinismE0ES3_SB_PS6_NS8_17constant_iteratorIiNS8_11use_defaultESG_EENS8_10device_ptrIS6_EENSI_IlEEPmSA_NS8_8equal_toIS6_EEEE10hipError_tPvRmT2_T3_mT4_T5_T6_T7_T8_P12ihipStream_tbENKUlT_T0_E_clISt17integral_constantIbLb1EES15_EEDaS10_S11_EUlS10_E_NS1_11comp_targetILNS1_3genE10ELNS1_11target_archE1200ELNS1_3gpuE4ELNS1_3repE0EEENS1_30default_config_static_selectorELNS0_4arch9wavefront6targetE1EEEvT1_ ; -- Begin function _ZN7rocprim17ROCPRIM_400000_NS6detail17trampoline_kernelINS0_14default_configENS1_29reduce_by_key_config_selectorIN3c108BFloat16ElN6thrust23THRUST_200600_302600_NS4plusIlEEEEZZNS1_33reduce_by_key_impl_wrapped_configILNS1_25lookback_scan_determinismE0ES3_SB_PS6_NS8_17constant_iteratorIiNS8_11use_defaultESG_EENS8_10device_ptrIS6_EENSI_IlEEPmSA_NS8_8equal_toIS6_EEEE10hipError_tPvRmT2_T3_mT4_T5_T6_T7_T8_P12ihipStream_tbENKUlT_T0_E_clISt17integral_constantIbLb1EES15_EEDaS10_S11_EUlS10_E_NS1_11comp_targetILNS1_3genE10ELNS1_11target_archE1200ELNS1_3gpuE4ELNS1_3repE0EEENS1_30default_config_static_selectorELNS0_4arch9wavefront6targetE1EEEvT1_
	.globl	_ZN7rocprim17ROCPRIM_400000_NS6detail17trampoline_kernelINS0_14default_configENS1_29reduce_by_key_config_selectorIN3c108BFloat16ElN6thrust23THRUST_200600_302600_NS4plusIlEEEEZZNS1_33reduce_by_key_impl_wrapped_configILNS1_25lookback_scan_determinismE0ES3_SB_PS6_NS8_17constant_iteratorIiNS8_11use_defaultESG_EENS8_10device_ptrIS6_EENSI_IlEEPmSA_NS8_8equal_toIS6_EEEE10hipError_tPvRmT2_T3_mT4_T5_T6_T7_T8_P12ihipStream_tbENKUlT_T0_E_clISt17integral_constantIbLb1EES15_EEDaS10_S11_EUlS10_E_NS1_11comp_targetILNS1_3genE10ELNS1_11target_archE1200ELNS1_3gpuE4ELNS1_3repE0EEENS1_30default_config_static_selectorELNS0_4arch9wavefront6targetE1EEEvT1_
	.p2align	8
	.type	_ZN7rocprim17ROCPRIM_400000_NS6detail17trampoline_kernelINS0_14default_configENS1_29reduce_by_key_config_selectorIN3c108BFloat16ElN6thrust23THRUST_200600_302600_NS4plusIlEEEEZZNS1_33reduce_by_key_impl_wrapped_configILNS1_25lookback_scan_determinismE0ES3_SB_PS6_NS8_17constant_iteratorIiNS8_11use_defaultESG_EENS8_10device_ptrIS6_EENSI_IlEEPmSA_NS8_8equal_toIS6_EEEE10hipError_tPvRmT2_T3_mT4_T5_T6_T7_T8_P12ihipStream_tbENKUlT_T0_E_clISt17integral_constantIbLb1EES15_EEDaS10_S11_EUlS10_E_NS1_11comp_targetILNS1_3genE10ELNS1_11target_archE1200ELNS1_3gpuE4ELNS1_3repE0EEENS1_30default_config_static_selectorELNS0_4arch9wavefront6targetE1EEEvT1_,@function
_ZN7rocprim17ROCPRIM_400000_NS6detail17trampoline_kernelINS0_14default_configENS1_29reduce_by_key_config_selectorIN3c108BFloat16ElN6thrust23THRUST_200600_302600_NS4plusIlEEEEZZNS1_33reduce_by_key_impl_wrapped_configILNS1_25lookback_scan_determinismE0ES3_SB_PS6_NS8_17constant_iteratorIiNS8_11use_defaultESG_EENS8_10device_ptrIS6_EENSI_IlEEPmSA_NS8_8equal_toIS6_EEEE10hipError_tPvRmT2_T3_mT4_T5_T6_T7_T8_P12ihipStream_tbENKUlT_T0_E_clISt17integral_constantIbLb1EES15_EEDaS10_S11_EUlS10_E_NS1_11comp_targetILNS1_3genE10ELNS1_11target_archE1200ELNS1_3gpuE4ELNS1_3repE0EEENS1_30default_config_static_selectorELNS0_4arch9wavefront6targetE1EEEvT1_: ; @_ZN7rocprim17ROCPRIM_400000_NS6detail17trampoline_kernelINS0_14default_configENS1_29reduce_by_key_config_selectorIN3c108BFloat16ElN6thrust23THRUST_200600_302600_NS4plusIlEEEEZZNS1_33reduce_by_key_impl_wrapped_configILNS1_25lookback_scan_determinismE0ES3_SB_PS6_NS8_17constant_iteratorIiNS8_11use_defaultESG_EENS8_10device_ptrIS6_EENSI_IlEEPmSA_NS8_8equal_toIS6_EEEE10hipError_tPvRmT2_T3_mT4_T5_T6_T7_T8_P12ihipStream_tbENKUlT_T0_E_clISt17integral_constantIbLb1EES15_EEDaS10_S11_EUlS10_E_NS1_11comp_targetILNS1_3genE10ELNS1_11target_archE1200ELNS1_3gpuE4ELNS1_3repE0EEENS1_30default_config_static_selectorELNS0_4arch9wavefront6targetE1EEEvT1_
; %bb.0:
	.section	.rodata,"a",@progbits
	.p2align	6, 0x0
	.amdhsa_kernel _ZN7rocprim17ROCPRIM_400000_NS6detail17trampoline_kernelINS0_14default_configENS1_29reduce_by_key_config_selectorIN3c108BFloat16ElN6thrust23THRUST_200600_302600_NS4plusIlEEEEZZNS1_33reduce_by_key_impl_wrapped_configILNS1_25lookback_scan_determinismE0ES3_SB_PS6_NS8_17constant_iteratorIiNS8_11use_defaultESG_EENS8_10device_ptrIS6_EENSI_IlEEPmSA_NS8_8equal_toIS6_EEEE10hipError_tPvRmT2_T3_mT4_T5_T6_T7_T8_P12ihipStream_tbENKUlT_T0_E_clISt17integral_constantIbLb1EES15_EEDaS10_S11_EUlS10_E_NS1_11comp_targetILNS1_3genE10ELNS1_11target_archE1200ELNS1_3gpuE4ELNS1_3repE0EEENS1_30default_config_static_selectorELNS0_4arch9wavefront6targetE1EEEvT1_
		.amdhsa_group_segment_fixed_size 0
		.amdhsa_private_segment_fixed_size 0
		.amdhsa_kernarg_size 144
		.amdhsa_user_sgpr_count 6
		.amdhsa_user_sgpr_private_segment_buffer 1
		.amdhsa_user_sgpr_dispatch_ptr 0
		.amdhsa_user_sgpr_queue_ptr 0
		.amdhsa_user_sgpr_kernarg_segment_ptr 1
		.amdhsa_user_sgpr_dispatch_id 0
		.amdhsa_user_sgpr_flat_scratch_init 0
		.amdhsa_user_sgpr_kernarg_preload_length 0
		.amdhsa_user_sgpr_kernarg_preload_offset 0
		.amdhsa_user_sgpr_private_segment_size 0
		.amdhsa_uses_dynamic_stack 0
		.amdhsa_system_sgpr_private_segment_wavefront_offset 0
		.amdhsa_system_sgpr_workgroup_id_x 1
		.amdhsa_system_sgpr_workgroup_id_y 0
		.amdhsa_system_sgpr_workgroup_id_z 0
		.amdhsa_system_sgpr_workgroup_info 0
		.amdhsa_system_vgpr_workitem_id 0
		.amdhsa_next_free_vgpr 1
		.amdhsa_next_free_sgpr 0
		.amdhsa_accum_offset 4
		.amdhsa_reserve_vcc 0
		.amdhsa_reserve_flat_scratch 0
		.amdhsa_float_round_mode_32 0
		.amdhsa_float_round_mode_16_64 0
		.amdhsa_float_denorm_mode_32 3
		.amdhsa_float_denorm_mode_16_64 3
		.amdhsa_dx10_clamp 1
		.amdhsa_ieee_mode 1
		.amdhsa_fp16_overflow 0
		.amdhsa_tg_split 0
		.amdhsa_exception_fp_ieee_invalid_op 0
		.amdhsa_exception_fp_denorm_src 0
		.amdhsa_exception_fp_ieee_div_zero 0
		.amdhsa_exception_fp_ieee_overflow 0
		.amdhsa_exception_fp_ieee_underflow 0
		.amdhsa_exception_fp_ieee_inexact 0
		.amdhsa_exception_int_div_zero 0
	.end_amdhsa_kernel
	.section	.text._ZN7rocprim17ROCPRIM_400000_NS6detail17trampoline_kernelINS0_14default_configENS1_29reduce_by_key_config_selectorIN3c108BFloat16ElN6thrust23THRUST_200600_302600_NS4plusIlEEEEZZNS1_33reduce_by_key_impl_wrapped_configILNS1_25lookback_scan_determinismE0ES3_SB_PS6_NS8_17constant_iteratorIiNS8_11use_defaultESG_EENS8_10device_ptrIS6_EENSI_IlEEPmSA_NS8_8equal_toIS6_EEEE10hipError_tPvRmT2_T3_mT4_T5_T6_T7_T8_P12ihipStream_tbENKUlT_T0_E_clISt17integral_constantIbLb1EES15_EEDaS10_S11_EUlS10_E_NS1_11comp_targetILNS1_3genE10ELNS1_11target_archE1200ELNS1_3gpuE4ELNS1_3repE0EEENS1_30default_config_static_selectorELNS0_4arch9wavefront6targetE1EEEvT1_,"axG",@progbits,_ZN7rocprim17ROCPRIM_400000_NS6detail17trampoline_kernelINS0_14default_configENS1_29reduce_by_key_config_selectorIN3c108BFloat16ElN6thrust23THRUST_200600_302600_NS4plusIlEEEEZZNS1_33reduce_by_key_impl_wrapped_configILNS1_25lookback_scan_determinismE0ES3_SB_PS6_NS8_17constant_iteratorIiNS8_11use_defaultESG_EENS8_10device_ptrIS6_EENSI_IlEEPmSA_NS8_8equal_toIS6_EEEE10hipError_tPvRmT2_T3_mT4_T5_T6_T7_T8_P12ihipStream_tbENKUlT_T0_E_clISt17integral_constantIbLb1EES15_EEDaS10_S11_EUlS10_E_NS1_11comp_targetILNS1_3genE10ELNS1_11target_archE1200ELNS1_3gpuE4ELNS1_3repE0EEENS1_30default_config_static_selectorELNS0_4arch9wavefront6targetE1EEEvT1_,comdat
.Lfunc_end2068:
	.size	_ZN7rocprim17ROCPRIM_400000_NS6detail17trampoline_kernelINS0_14default_configENS1_29reduce_by_key_config_selectorIN3c108BFloat16ElN6thrust23THRUST_200600_302600_NS4plusIlEEEEZZNS1_33reduce_by_key_impl_wrapped_configILNS1_25lookback_scan_determinismE0ES3_SB_PS6_NS8_17constant_iteratorIiNS8_11use_defaultESG_EENS8_10device_ptrIS6_EENSI_IlEEPmSA_NS8_8equal_toIS6_EEEE10hipError_tPvRmT2_T3_mT4_T5_T6_T7_T8_P12ihipStream_tbENKUlT_T0_E_clISt17integral_constantIbLb1EES15_EEDaS10_S11_EUlS10_E_NS1_11comp_targetILNS1_3genE10ELNS1_11target_archE1200ELNS1_3gpuE4ELNS1_3repE0EEENS1_30default_config_static_selectorELNS0_4arch9wavefront6targetE1EEEvT1_, .Lfunc_end2068-_ZN7rocprim17ROCPRIM_400000_NS6detail17trampoline_kernelINS0_14default_configENS1_29reduce_by_key_config_selectorIN3c108BFloat16ElN6thrust23THRUST_200600_302600_NS4plusIlEEEEZZNS1_33reduce_by_key_impl_wrapped_configILNS1_25lookback_scan_determinismE0ES3_SB_PS6_NS8_17constant_iteratorIiNS8_11use_defaultESG_EENS8_10device_ptrIS6_EENSI_IlEEPmSA_NS8_8equal_toIS6_EEEE10hipError_tPvRmT2_T3_mT4_T5_T6_T7_T8_P12ihipStream_tbENKUlT_T0_E_clISt17integral_constantIbLb1EES15_EEDaS10_S11_EUlS10_E_NS1_11comp_targetILNS1_3genE10ELNS1_11target_archE1200ELNS1_3gpuE4ELNS1_3repE0EEENS1_30default_config_static_selectorELNS0_4arch9wavefront6targetE1EEEvT1_
                                        ; -- End function
	.section	.AMDGPU.csdata,"",@progbits
; Kernel info:
; codeLenInByte = 0
; NumSgprs: 4
; NumVgprs: 0
; NumAgprs: 0
; TotalNumVgprs: 0
; ScratchSize: 0
; MemoryBound: 0
; FloatMode: 240
; IeeeMode: 1
; LDSByteSize: 0 bytes/workgroup (compile time only)
; SGPRBlocks: 0
; VGPRBlocks: 0
; NumSGPRsForWavesPerEU: 4
; NumVGPRsForWavesPerEU: 1
; AccumOffset: 4
; Occupancy: 8
; WaveLimiterHint : 0
; COMPUTE_PGM_RSRC2:SCRATCH_EN: 0
; COMPUTE_PGM_RSRC2:USER_SGPR: 6
; COMPUTE_PGM_RSRC2:TRAP_HANDLER: 0
; COMPUTE_PGM_RSRC2:TGID_X_EN: 1
; COMPUTE_PGM_RSRC2:TGID_Y_EN: 0
; COMPUTE_PGM_RSRC2:TGID_Z_EN: 0
; COMPUTE_PGM_RSRC2:TIDIG_COMP_CNT: 0
; COMPUTE_PGM_RSRC3_GFX90A:ACCUM_OFFSET: 0
; COMPUTE_PGM_RSRC3_GFX90A:TG_SPLIT: 0
	.section	.text._ZN7rocprim17ROCPRIM_400000_NS6detail17trampoline_kernelINS0_14default_configENS1_29reduce_by_key_config_selectorIN3c108BFloat16ElN6thrust23THRUST_200600_302600_NS4plusIlEEEEZZNS1_33reduce_by_key_impl_wrapped_configILNS1_25lookback_scan_determinismE0ES3_SB_PS6_NS8_17constant_iteratorIiNS8_11use_defaultESG_EENS8_10device_ptrIS6_EENSI_IlEEPmSA_NS8_8equal_toIS6_EEEE10hipError_tPvRmT2_T3_mT4_T5_T6_T7_T8_P12ihipStream_tbENKUlT_T0_E_clISt17integral_constantIbLb1EES15_EEDaS10_S11_EUlS10_E_NS1_11comp_targetILNS1_3genE9ELNS1_11target_archE1100ELNS1_3gpuE3ELNS1_3repE0EEENS1_30default_config_static_selectorELNS0_4arch9wavefront6targetE1EEEvT1_,"axG",@progbits,_ZN7rocprim17ROCPRIM_400000_NS6detail17trampoline_kernelINS0_14default_configENS1_29reduce_by_key_config_selectorIN3c108BFloat16ElN6thrust23THRUST_200600_302600_NS4plusIlEEEEZZNS1_33reduce_by_key_impl_wrapped_configILNS1_25lookback_scan_determinismE0ES3_SB_PS6_NS8_17constant_iteratorIiNS8_11use_defaultESG_EENS8_10device_ptrIS6_EENSI_IlEEPmSA_NS8_8equal_toIS6_EEEE10hipError_tPvRmT2_T3_mT4_T5_T6_T7_T8_P12ihipStream_tbENKUlT_T0_E_clISt17integral_constantIbLb1EES15_EEDaS10_S11_EUlS10_E_NS1_11comp_targetILNS1_3genE9ELNS1_11target_archE1100ELNS1_3gpuE3ELNS1_3repE0EEENS1_30default_config_static_selectorELNS0_4arch9wavefront6targetE1EEEvT1_,comdat
	.protected	_ZN7rocprim17ROCPRIM_400000_NS6detail17trampoline_kernelINS0_14default_configENS1_29reduce_by_key_config_selectorIN3c108BFloat16ElN6thrust23THRUST_200600_302600_NS4plusIlEEEEZZNS1_33reduce_by_key_impl_wrapped_configILNS1_25lookback_scan_determinismE0ES3_SB_PS6_NS8_17constant_iteratorIiNS8_11use_defaultESG_EENS8_10device_ptrIS6_EENSI_IlEEPmSA_NS8_8equal_toIS6_EEEE10hipError_tPvRmT2_T3_mT4_T5_T6_T7_T8_P12ihipStream_tbENKUlT_T0_E_clISt17integral_constantIbLb1EES15_EEDaS10_S11_EUlS10_E_NS1_11comp_targetILNS1_3genE9ELNS1_11target_archE1100ELNS1_3gpuE3ELNS1_3repE0EEENS1_30default_config_static_selectorELNS0_4arch9wavefront6targetE1EEEvT1_ ; -- Begin function _ZN7rocprim17ROCPRIM_400000_NS6detail17trampoline_kernelINS0_14default_configENS1_29reduce_by_key_config_selectorIN3c108BFloat16ElN6thrust23THRUST_200600_302600_NS4plusIlEEEEZZNS1_33reduce_by_key_impl_wrapped_configILNS1_25lookback_scan_determinismE0ES3_SB_PS6_NS8_17constant_iteratorIiNS8_11use_defaultESG_EENS8_10device_ptrIS6_EENSI_IlEEPmSA_NS8_8equal_toIS6_EEEE10hipError_tPvRmT2_T3_mT4_T5_T6_T7_T8_P12ihipStream_tbENKUlT_T0_E_clISt17integral_constantIbLb1EES15_EEDaS10_S11_EUlS10_E_NS1_11comp_targetILNS1_3genE9ELNS1_11target_archE1100ELNS1_3gpuE3ELNS1_3repE0EEENS1_30default_config_static_selectorELNS0_4arch9wavefront6targetE1EEEvT1_
	.globl	_ZN7rocprim17ROCPRIM_400000_NS6detail17trampoline_kernelINS0_14default_configENS1_29reduce_by_key_config_selectorIN3c108BFloat16ElN6thrust23THRUST_200600_302600_NS4plusIlEEEEZZNS1_33reduce_by_key_impl_wrapped_configILNS1_25lookback_scan_determinismE0ES3_SB_PS6_NS8_17constant_iteratorIiNS8_11use_defaultESG_EENS8_10device_ptrIS6_EENSI_IlEEPmSA_NS8_8equal_toIS6_EEEE10hipError_tPvRmT2_T3_mT4_T5_T6_T7_T8_P12ihipStream_tbENKUlT_T0_E_clISt17integral_constantIbLb1EES15_EEDaS10_S11_EUlS10_E_NS1_11comp_targetILNS1_3genE9ELNS1_11target_archE1100ELNS1_3gpuE3ELNS1_3repE0EEENS1_30default_config_static_selectorELNS0_4arch9wavefront6targetE1EEEvT1_
	.p2align	8
	.type	_ZN7rocprim17ROCPRIM_400000_NS6detail17trampoline_kernelINS0_14default_configENS1_29reduce_by_key_config_selectorIN3c108BFloat16ElN6thrust23THRUST_200600_302600_NS4plusIlEEEEZZNS1_33reduce_by_key_impl_wrapped_configILNS1_25lookback_scan_determinismE0ES3_SB_PS6_NS8_17constant_iteratorIiNS8_11use_defaultESG_EENS8_10device_ptrIS6_EENSI_IlEEPmSA_NS8_8equal_toIS6_EEEE10hipError_tPvRmT2_T3_mT4_T5_T6_T7_T8_P12ihipStream_tbENKUlT_T0_E_clISt17integral_constantIbLb1EES15_EEDaS10_S11_EUlS10_E_NS1_11comp_targetILNS1_3genE9ELNS1_11target_archE1100ELNS1_3gpuE3ELNS1_3repE0EEENS1_30default_config_static_selectorELNS0_4arch9wavefront6targetE1EEEvT1_,@function
_ZN7rocprim17ROCPRIM_400000_NS6detail17trampoline_kernelINS0_14default_configENS1_29reduce_by_key_config_selectorIN3c108BFloat16ElN6thrust23THRUST_200600_302600_NS4plusIlEEEEZZNS1_33reduce_by_key_impl_wrapped_configILNS1_25lookback_scan_determinismE0ES3_SB_PS6_NS8_17constant_iteratorIiNS8_11use_defaultESG_EENS8_10device_ptrIS6_EENSI_IlEEPmSA_NS8_8equal_toIS6_EEEE10hipError_tPvRmT2_T3_mT4_T5_T6_T7_T8_P12ihipStream_tbENKUlT_T0_E_clISt17integral_constantIbLb1EES15_EEDaS10_S11_EUlS10_E_NS1_11comp_targetILNS1_3genE9ELNS1_11target_archE1100ELNS1_3gpuE3ELNS1_3repE0EEENS1_30default_config_static_selectorELNS0_4arch9wavefront6targetE1EEEvT1_: ; @_ZN7rocprim17ROCPRIM_400000_NS6detail17trampoline_kernelINS0_14default_configENS1_29reduce_by_key_config_selectorIN3c108BFloat16ElN6thrust23THRUST_200600_302600_NS4plusIlEEEEZZNS1_33reduce_by_key_impl_wrapped_configILNS1_25lookback_scan_determinismE0ES3_SB_PS6_NS8_17constant_iteratorIiNS8_11use_defaultESG_EENS8_10device_ptrIS6_EENSI_IlEEPmSA_NS8_8equal_toIS6_EEEE10hipError_tPvRmT2_T3_mT4_T5_T6_T7_T8_P12ihipStream_tbENKUlT_T0_E_clISt17integral_constantIbLb1EES15_EEDaS10_S11_EUlS10_E_NS1_11comp_targetILNS1_3genE9ELNS1_11target_archE1100ELNS1_3gpuE3ELNS1_3repE0EEENS1_30default_config_static_selectorELNS0_4arch9wavefront6targetE1EEEvT1_
; %bb.0:
	.section	.rodata,"a",@progbits
	.p2align	6, 0x0
	.amdhsa_kernel _ZN7rocprim17ROCPRIM_400000_NS6detail17trampoline_kernelINS0_14default_configENS1_29reduce_by_key_config_selectorIN3c108BFloat16ElN6thrust23THRUST_200600_302600_NS4plusIlEEEEZZNS1_33reduce_by_key_impl_wrapped_configILNS1_25lookback_scan_determinismE0ES3_SB_PS6_NS8_17constant_iteratorIiNS8_11use_defaultESG_EENS8_10device_ptrIS6_EENSI_IlEEPmSA_NS8_8equal_toIS6_EEEE10hipError_tPvRmT2_T3_mT4_T5_T6_T7_T8_P12ihipStream_tbENKUlT_T0_E_clISt17integral_constantIbLb1EES15_EEDaS10_S11_EUlS10_E_NS1_11comp_targetILNS1_3genE9ELNS1_11target_archE1100ELNS1_3gpuE3ELNS1_3repE0EEENS1_30default_config_static_selectorELNS0_4arch9wavefront6targetE1EEEvT1_
		.amdhsa_group_segment_fixed_size 0
		.amdhsa_private_segment_fixed_size 0
		.amdhsa_kernarg_size 144
		.amdhsa_user_sgpr_count 6
		.amdhsa_user_sgpr_private_segment_buffer 1
		.amdhsa_user_sgpr_dispatch_ptr 0
		.amdhsa_user_sgpr_queue_ptr 0
		.amdhsa_user_sgpr_kernarg_segment_ptr 1
		.amdhsa_user_sgpr_dispatch_id 0
		.amdhsa_user_sgpr_flat_scratch_init 0
		.amdhsa_user_sgpr_kernarg_preload_length 0
		.amdhsa_user_sgpr_kernarg_preload_offset 0
		.amdhsa_user_sgpr_private_segment_size 0
		.amdhsa_uses_dynamic_stack 0
		.amdhsa_system_sgpr_private_segment_wavefront_offset 0
		.amdhsa_system_sgpr_workgroup_id_x 1
		.amdhsa_system_sgpr_workgroup_id_y 0
		.amdhsa_system_sgpr_workgroup_id_z 0
		.amdhsa_system_sgpr_workgroup_info 0
		.amdhsa_system_vgpr_workitem_id 0
		.amdhsa_next_free_vgpr 1
		.amdhsa_next_free_sgpr 0
		.amdhsa_accum_offset 4
		.amdhsa_reserve_vcc 0
		.amdhsa_reserve_flat_scratch 0
		.amdhsa_float_round_mode_32 0
		.amdhsa_float_round_mode_16_64 0
		.amdhsa_float_denorm_mode_32 3
		.amdhsa_float_denorm_mode_16_64 3
		.amdhsa_dx10_clamp 1
		.amdhsa_ieee_mode 1
		.amdhsa_fp16_overflow 0
		.amdhsa_tg_split 0
		.amdhsa_exception_fp_ieee_invalid_op 0
		.amdhsa_exception_fp_denorm_src 0
		.amdhsa_exception_fp_ieee_div_zero 0
		.amdhsa_exception_fp_ieee_overflow 0
		.amdhsa_exception_fp_ieee_underflow 0
		.amdhsa_exception_fp_ieee_inexact 0
		.amdhsa_exception_int_div_zero 0
	.end_amdhsa_kernel
	.section	.text._ZN7rocprim17ROCPRIM_400000_NS6detail17trampoline_kernelINS0_14default_configENS1_29reduce_by_key_config_selectorIN3c108BFloat16ElN6thrust23THRUST_200600_302600_NS4plusIlEEEEZZNS1_33reduce_by_key_impl_wrapped_configILNS1_25lookback_scan_determinismE0ES3_SB_PS6_NS8_17constant_iteratorIiNS8_11use_defaultESG_EENS8_10device_ptrIS6_EENSI_IlEEPmSA_NS8_8equal_toIS6_EEEE10hipError_tPvRmT2_T3_mT4_T5_T6_T7_T8_P12ihipStream_tbENKUlT_T0_E_clISt17integral_constantIbLb1EES15_EEDaS10_S11_EUlS10_E_NS1_11comp_targetILNS1_3genE9ELNS1_11target_archE1100ELNS1_3gpuE3ELNS1_3repE0EEENS1_30default_config_static_selectorELNS0_4arch9wavefront6targetE1EEEvT1_,"axG",@progbits,_ZN7rocprim17ROCPRIM_400000_NS6detail17trampoline_kernelINS0_14default_configENS1_29reduce_by_key_config_selectorIN3c108BFloat16ElN6thrust23THRUST_200600_302600_NS4plusIlEEEEZZNS1_33reduce_by_key_impl_wrapped_configILNS1_25lookback_scan_determinismE0ES3_SB_PS6_NS8_17constant_iteratorIiNS8_11use_defaultESG_EENS8_10device_ptrIS6_EENSI_IlEEPmSA_NS8_8equal_toIS6_EEEE10hipError_tPvRmT2_T3_mT4_T5_T6_T7_T8_P12ihipStream_tbENKUlT_T0_E_clISt17integral_constantIbLb1EES15_EEDaS10_S11_EUlS10_E_NS1_11comp_targetILNS1_3genE9ELNS1_11target_archE1100ELNS1_3gpuE3ELNS1_3repE0EEENS1_30default_config_static_selectorELNS0_4arch9wavefront6targetE1EEEvT1_,comdat
.Lfunc_end2069:
	.size	_ZN7rocprim17ROCPRIM_400000_NS6detail17trampoline_kernelINS0_14default_configENS1_29reduce_by_key_config_selectorIN3c108BFloat16ElN6thrust23THRUST_200600_302600_NS4plusIlEEEEZZNS1_33reduce_by_key_impl_wrapped_configILNS1_25lookback_scan_determinismE0ES3_SB_PS6_NS8_17constant_iteratorIiNS8_11use_defaultESG_EENS8_10device_ptrIS6_EENSI_IlEEPmSA_NS8_8equal_toIS6_EEEE10hipError_tPvRmT2_T3_mT4_T5_T6_T7_T8_P12ihipStream_tbENKUlT_T0_E_clISt17integral_constantIbLb1EES15_EEDaS10_S11_EUlS10_E_NS1_11comp_targetILNS1_3genE9ELNS1_11target_archE1100ELNS1_3gpuE3ELNS1_3repE0EEENS1_30default_config_static_selectorELNS0_4arch9wavefront6targetE1EEEvT1_, .Lfunc_end2069-_ZN7rocprim17ROCPRIM_400000_NS6detail17trampoline_kernelINS0_14default_configENS1_29reduce_by_key_config_selectorIN3c108BFloat16ElN6thrust23THRUST_200600_302600_NS4plusIlEEEEZZNS1_33reduce_by_key_impl_wrapped_configILNS1_25lookback_scan_determinismE0ES3_SB_PS6_NS8_17constant_iteratorIiNS8_11use_defaultESG_EENS8_10device_ptrIS6_EENSI_IlEEPmSA_NS8_8equal_toIS6_EEEE10hipError_tPvRmT2_T3_mT4_T5_T6_T7_T8_P12ihipStream_tbENKUlT_T0_E_clISt17integral_constantIbLb1EES15_EEDaS10_S11_EUlS10_E_NS1_11comp_targetILNS1_3genE9ELNS1_11target_archE1100ELNS1_3gpuE3ELNS1_3repE0EEENS1_30default_config_static_selectorELNS0_4arch9wavefront6targetE1EEEvT1_
                                        ; -- End function
	.section	.AMDGPU.csdata,"",@progbits
; Kernel info:
; codeLenInByte = 0
; NumSgprs: 4
; NumVgprs: 0
; NumAgprs: 0
; TotalNumVgprs: 0
; ScratchSize: 0
; MemoryBound: 0
; FloatMode: 240
; IeeeMode: 1
; LDSByteSize: 0 bytes/workgroup (compile time only)
; SGPRBlocks: 0
; VGPRBlocks: 0
; NumSGPRsForWavesPerEU: 4
; NumVGPRsForWavesPerEU: 1
; AccumOffset: 4
; Occupancy: 8
; WaveLimiterHint : 0
; COMPUTE_PGM_RSRC2:SCRATCH_EN: 0
; COMPUTE_PGM_RSRC2:USER_SGPR: 6
; COMPUTE_PGM_RSRC2:TRAP_HANDLER: 0
; COMPUTE_PGM_RSRC2:TGID_X_EN: 1
; COMPUTE_PGM_RSRC2:TGID_Y_EN: 0
; COMPUTE_PGM_RSRC2:TGID_Z_EN: 0
; COMPUTE_PGM_RSRC2:TIDIG_COMP_CNT: 0
; COMPUTE_PGM_RSRC3_GFX90A:ACCUM_OFFSET: 0
; COMPUTE_PGM_RSRC3_GFX90A:TG_SPLIT: 0
	.section	.text._ZN7rocprim17ROCPRIM_400000_NS6detail17trampoline_kernelINS0_14default_configENS1_29reduce_by_key_config_selectorIN3c108BFloat16ElN6thrust23THRUST_200600_302600_NS4plusIlEEEEZZNS1_33reduce_by_key_impl_wrapped_configILNS1_25lookback_scan_determinismE0ES3_SB_PS6_NS8_17constant_iteratorIiNS8_11use_defaultESG_EENS8_10device_ptrIS6_EENSI_IlEEPmSA_NS8_8equal_toIS6_EEEE10hipError_tPvRmT2_T3_mT4_T5_T6_T7_T8_P12ihipStream_tbENKUlT_T0_E_clISt17integral_constantIbLb1EES15_EEDaS10_S11_EUlS10_E_NS1_11comp_targetILNS1_3genE8ELNS1_11target_archE1030ELNS1_3gpuE2ELNS1_3repE0EEENS1_30default_config_static_selectorELNS0_4arch9wavefront6targetE1EEEvT1_,"axG",@progbits,_ZN7rocprim17ROCPRIM_400000_NS6detail17trampoline_kernelINS0_14default_configENS1_29reduce_by_key_config_selectorIN3c108BFloat16ElN6thrust23THRUST_200600_302600_NS4plusIlEEEEZZNS1_33reduce_by_key_impl_wrapped_configILNS1_25lookback_scan_determinismE0ES3_SB_PS6_NS8_17constant_iteratorIiNS8_11use_defaultESG_EENS8_10device_ptrIS6_EENSI_IlEEPmSA_NS8_8equal_toIS6_EEEE10hipError_tPvRmT2_T3_mT4_T5_T6_T7_T8_P12ihipStream_tbENKUlT_T0_E_clISt17integral_constantIbLb1EES15_EEDaS10_S11_EUlS10_E_NS1_11comp_targetILNS1_3genE8ELNS1_11target_archE1030ELNS1_3gpuE2ELNS1_3repE0EEENS1_30default_config_static_selectorELNS0_4arch9wavefront6targetE1EEEvT1_,comdat
	.protected	_ZN7rocprim17ROCPRIM_400000_NS6detail17trampoline_kernelINS0_14default_configENS1_29reduce_by_key_config_selectorIN3c108BFloat16ElN6thrust23THRUST_200600_302600_NS4plusIlEEEEZZNS1_33reduce_by_key_impl_wrapped_configILNS1_25lookback_scan_determinismE0ES3_SB_PS6_NS8_17constant_iteratorIiNS8_11use_defaultESG_EENS8_10device_ptrIS6_EENSI_IlEEPmSA_NS8_8equal_toIS6_EEEE10hipError_tPvRmT2_T3_mT4_T5_T6_T7_T8_P12ihipStream_tbENKUlT_T0_E_clISt17integral_constantIbLb1EES15_EEDaS10_S11_EUlS10_E_NS1_11comp_targetILNS1_3genE8ELNS1_11target_archE1030ELNS1_3gpuE2ELNS1_3repE0EEENS1_30default_config_static_selectorELNS0_4arch9wavefront6targetE1EEEvT1_ ; -- Begin function _ZN7rocprim17ROCPRIM_400000_NS6detail17trampoline_kernelINS0_14default_configENS1_29reduce_by_key_config_selectorIN3c108BFloat16ElN6thrust23THRUST_200600_302600_NS4plusIlEEEEZZNS1_33reduce_by_key_impl_wrapped_configILNS1_25lookback_scan_determinismE0ES3_SB_PS6_NS8_17constant_iteratorIiNS8_11use_defaultESG_EENS8_10device_ptrIS6_EENSI_IlEEPmSA_NS8_8equal_toIS6_EEEE10hipError_tPvRmT2_T3_mT4_T5_T6_T7_T8_P12ihipStream_tbENKUlT_T0_E_clISt17integral_constantIbLb1EES15_EEDaS10_S11_EUlS10_E_NS1_11comp_targetILNS1_3genE8ELNS1_11target_archE1030ELNS1_3gpuE2ELNS1_3repE0EEENS1_30default_config_static_selectorELNS0_4arch9wavefront6targetE1EEEvT1_
	.globl	_ZN7rocprim17ROCPRIM_400000_NS6detail17trampoline_kernelINS0_14default_configENS1_29reduce_by_key_config_selectorIN3c108BFloat16ElN6thrust23THRUST_200600_302600_NS4plusIlEEEEZZNS1_33reduce_by_key_impl_wrapped_configILNS1_25lookback_scan_determinismE0ES3_SB_PS6_NS8_17constant_iteratorIiNS8_11use_defaultESG_EENS8_10device_ptrIS6_EENSI_IlEEPmSA_NS8_8equal_toIS6_EEEE10hipError_tPvRmT2_T3_mT4_T5_T6_T7_T8_P12ihipStream_tbENKUlT_T0_E_clISt17integral_constantIbLb1EES15_EEDaS10_S11_EUlS10_E_NS1_11comp_targetILNS1_3genE8ELNS1_11target_archE1030ELNS1_3gpuE2ELNS1_3repE0EEENS1_30default_config_static_selectorELNS0_4arch9wavefront6targetE1EEEvT1_
	.p2align	8
	.type	_ZN7rocprim17ROCPRIM_400000_NS6detail17trampoline_kernelINS0_14default_configENS1_29reduce_by_key_config_selectorIN3c108BFloat16ElN6thrust23THRUST_200600_302600_NS4plusIlEEEEZZNS1_33reduce_by_key_impl_wrapped_configILNS1_25lookback_scan_determinismE0ES3_SB_PS6_NS8_17constant_iteratorIiNS8_11use_defaultESG_EENS8_10device_ptrIS6_EENSI_IlEEPmSA_NS8_8equal_toIS6_EEEE10hipError_tPvRmT2_T3_mT4_T5_T6_T7_T8_P12ihipStream_tbENKUlT_T0_E_clISt17integral_constantIbLb1EES15_EEDaS10_S11_EUlS10_E_NS1_11comp_targetILNS1_3genE8ELNS1_11target_archE1030ELNS1_3gpuE2ELNS1_3repE0EEENS1_30default_config_static_selectorELNS0_4arch9wavefront6targetE1EEEvT1_,@function
_ZN7rocprim17ROCPRIM_400000_NS6detail17trampoline_kernelINS0_14default_configENS1_29reduce_by_key_config_selectorIN3c108BFloat16ElN6thrust23THRUST_200600_302600_NS4plusIlEEEEZZNS1_33reduce_by_key_impl_wrapped_configILNS1_25lookback_scan_determinismE0ES3_SB_PS6_NS8_17constant_iteratorIiNS8_11use_defaultESG_EENS8_10device_ptrIS6_EENSI_IlEEPmSA_NS8_8equal_toIS6_EEEE10hipError_tPvRmT2_T3_mT4_T5_T6_T7_T8_P12ihipStream_tbENKUlT_T0_E_clISt17integral_constantIbLb1EES15_EEDaS10_S11_EUlS10_E_NS1_11comp_targetILNS1_3genE8ELNS1_11target_archE1030ELNS1_3gpuE2ELNS1_3repE0EEENS1_30default_config_static_selectorELNS0_4arch9wavefront6targetE1EEEvT1_: ; @_ZN7rocprim17ROCPRIM_400000_NS6detail17trampoline_kernelINS0_14default_configENS1_29reduce_by_key_config_selectorIN3c108BFloat16ElN6thrust23THRUST_200600_302600_NS4plusIlEEEEZZNS1_33reduce_by_key_impl_wrapped_configILNS1_25lookback_scan_determinismE0ES3_SB_PS6_NS8_17constant_iteratorIiNS8_11use_defaultESG_EENS8_10device_ptrIS6_EENSI_IlEEPmSA_NS8_8equal_toIS6_EEEE10hipError_tPvRmT2_T3_mT4_T5_T6_T7_T8_P12ihipStream_tbENKUlT_T0_E_clISt17integral_constantIbLb1EES15_EEDaS10_S11_EUlS10_E_NS1_11comp_targetILNS1_3genE8ELNS1_11target_archE1030ELNS1_3gpuE2ELNS1_3repE0EEENS1_30default_config_static_selectorELNS0_4arch9wavefront6targetE1EEEvT1_
; %bb.0:
	.section	.rodata,"a",@progbits
	.p2align	6, 0x0
	.amdhsa_kernel _ZN7rocprim17ROCPRIM_400000_NS6detail17trampoline_kernelINS0_14default_configENS1_29reduce_by_key_config_selectorIN3c108BFloat16ElN6thrust23THRUST_200600_302600_NS4plusIlEEEEZZNS1_33reduce_by_key_impl_wrapped_configILNS1_25lookback_scan_determinismE0ES3_SB_PS6_NS8_17constant_iteratorIiNS8_11use_defaultESG_EENS8_10device_ptrIS6_EENSI_IlEEPmSA_NS8_8equal_toIS6_EEEE10hipError_tPvRmT2_T3_mT4_T5_T6_T7_T8_P12ihipStream_tbENKUlT_T0_E_clISt17integral_constantIbLb1EES15_EEDaS10_S11_EUlS10_E_NS1_11comp_targetILNS1_3genE8ELNS1_11target_archE1030ELNS1_3gpuE2ELNS1_3repE0EEENS1_30default_config_static_selectorELNS0_4arch9wavefront6targetE1EEEvT1_
		.amdhsa_group_segment_fixed_size 0
		.amdhsa_private_segment_fixed_size 0
		.amdhsa_kernarg_size 144
		.amdhsa_user_sgpr_count 6
		.amdhsa_user_sgpr_private_segment_buffer 1
		.amdhsa_user_sgpr_dispatch_ptr 0
		.amdhsa_user_sgpr_queue_ptr 0
		.amdhsa_user_sgpr_kernarg_segment_ptr 1
		.amdhsa_user_sgpr_dispatch_id 0
		.amdhsa_user_sgpr_flat_scratch_init 0
		.amdhsa_user_sgpr_kernarg_preload_length 0
		.amdhsa_user_sgpr_kernarg_preload_offset 0
		.amdhsa_user_sgpr_private_segment_size 0
		.amdhsa_uses_dynamic_stack 0
		.amdhsa_system_sgpr_private_segment_wavefront_offset 0
		.amdhsa_system_sgpr_workgroup_id_x 1
		.amdhsa_system_sgpr_workgroup_id_y 0
		.amdhsa_system_sgpr_workgroup_id_z 0
		.amdhsa_system_sgpr_workgroup_info 0
		.amdhsa_system_vgpr_workitem_id 0
		.amdhsa_next_free_vgpr 1
		.amdhsa_next_free_sgpr 0
		.amdhsa_accum_offset 4
		.amdhsa_reserve_vcc 0
		.amdhsa_reserve_flat_scratch 0
		.amdhsa_float_round_mode_32 0
		.amdhsa_float_round_mode_16_64 0
		.amdhsa_float_denorm_mode_32 3
		.amdhsa_float_denorm_mode_16_64 3
		.amdhsa_dx10_clamp 1
		.amdhsa_ieee_mode 1
		.amdhsa_fp16_overflow 0
		.amdhsa_tg_split 0
		.amdhsa_exception_fp_ieee_invalid_op 0
		.amdhsa_exception_fp_denorm_src 0
		.amdhsa_exception_fp_ieee_div_zero 0
		.amdhsa_exception_fp_ieee_overflow 0
		.amdhsa_exception_fp_ieee_underflow 0
		.amdhsa_exception_fp_ieee_inexact 0
		.amdhsa_exception_int_div_zero 0
	.end_amdhsa_kernel
	.section	.text._ZN7rocprim17ROCPRIM_400000_NS6detail17trampoline_kernelINS0_14default_configENS1_29reduce_by_key_config_selectorIN3c108BFloat16ElN6thrust23THRUST_200600_302600_NS4plusIlEEEEZZNS1_33reduce_by_key_impl_wrapped_configILNS1_25lookback_scan_determinismE0ES3_SB_PS6_NS8_17constant_iteratorIiNS8_11use_defaultESG_EENS8_10device_ptrIS6_EENSI_IlEEPmSA_NS8_8equal_toIS6_EEEE10hipError_tPvRmT2_T3_mT4_T5_T6_T7_T8_P12ihipStream_tbENKUlT_T0_E_clISt17integral_constantIbLb1EES15_EEDaS10_S11_EUlS10_E_NS1_11comp_targetILNS1_3genE8ELNS1_11target_archE1030ELNS1_3gpuE2ELNS1_3repE0EEENS1_30default_config_static_selectorELNS0_4arch9wavefront6targetE1EEEvT1_,"axG",@progbits,_ZN7rocprim17ROCPRIM_400000_NS6detail17trampoline_kernelINS0_14default_configENS1_29reduce_by_key_config_selectorIN3c108BFloat16ElN6thrust23THRUST_200600_302600_NS4plusIlEEEEZZNS1_33reduce_by_key_impl_wrapped_configILNS1_25lookback_scan_determinismE0ES3_SB_PS6_NS8_17constant_iteratorIiNS8_11use_defaultESG_EENS8_10device_ptrIS6_EENSI_IlEEPmSA_NS8_8equal_toIS6_EEEE10hipError_tPvRmT2_T3_mT4_T5_T6_T7_T8_P12ihipStream_tbENKUlT_T0_E_clISt17integral_constantIbLb1EES15_EEDaS10_S11_EUlS10_E_NS1_11comp_targetILNS1_3genE8ELNS1_11target_archE1030ELNS1_3gpuE2ELNS1_3repE0EEENS1_30default_config_static_selectorELNS0_4arch9wavefront6targetE1EEEvT1_,comdat
.Lfunc_end2070:
	.size	_ZN7rocprim17ROCPRIM_400000_NS6detail17trampoline_kernelINS0_14default_configENS1_29reduce_by_key_config_selectorIN3c108BFloat16ElN6thrust23THRUST_200600_302600_NS4plusIlEEEEZZNS1_33reduce_by_key_impl_wrapped_configILNS1_25lookback_scan_determinismE0ES3_SB_PS6_NS8_17constant_iteratorIiNS8_11use_defaultESG_EENS8_10device_ptrIS6_EENSI_IlEEPmSA_NS8_8equal_toIS6_EEEE10hipError_tPvRmT2_T3_mT4_T5_T6_T7_T8_P12ihipStream_tbENKUlT_T0_E_clISt17integral_constantIbLb1EES15_EEDaS10_S11_EUlS10_E_NS1_11comp_targetILNS1_3genE8ELNS1_11target_archE1030ELNS1_3gpuE2ELNS1_3repE0EEENS1_30default_config_static_selectorELNS0_4arch9wavefront6targetE1EEEvT1_, .Lfunc_end2070-_ZN7rocprim17ROCPRIM_400000_NS6detail17trampoline_kernelINS0_14default_configENS1_29reduce_by_key_config_selectorIN3c108BFloat16ElN6thrust23THRUST_200600_302600_NS4plusIlEEEEZZNS1_33reduce_by_key_impl_wrapped_configILNS1_25lookback_scan_determinismE0ES3_SB_PS6_NS8_17constant_iteratorIiNS8_11use_defaultESG_EENS8_10device_ptrIS6_EENSI_IlEEPmSA_NS8_8equal_toIS6_EEEE10hipError_tPvRmT2_T3_mT4_T5_T6_T7_T8_P12ihipStream_tbENKUlT_T0_E_clISt17integral_constantIbLb1EES15_EEDaS10_S11_EUlS10_E_NS1_11comp_targetILNS1_3genE8ELNS1_11target_archE1030ELNS1_3gpuE2ELNS1_3repE0EEENS1_30default_config_static_selectorELNS0_4arch9wavefront6targetE1EEEvT1_
                                        ; -- End function
	.section	.AMDGPU.csdata,"",@progbits
; Kernel info:
; codeLenInByte = 0
; NumSgprs: 4
; NumVgprs: 0
; NumAgprs: 0
; TotalNumVgprs: 0
; ScratchSize: 0
; MemoryBound: 0
; FloatMode: 240
; IeeeMode: 1
; LDSByteSize: 0 bytes/workgroup (compile time only)
; SGPRBlocks: 0
; VGPRBlocks: 0
; NumSGPRsForWavesPerEU: 4
; NumVGPRsForWavesPerEU: 1
; AccumOffset: 4
; Occupancy: 8
; WaveLimiterHint : 0
; COMPUTE_PGM_RSRC2:SCRATCH_EN: 0
; COMPUTE_PGM_RSRC2:USER_SGPR: 6
; COMPUTE_PGM_RSRC2:TRAP_HANDLER: 0
; COMPUTE_PGM_RSRC2:TGID_X_EN: 1
; COMPUTE_PGM_RSRC2:TGID_Y_EN: 0
; COMPUTE_PGM_RSRC2:TGID_Z_EN: 0
; COMPUTE_PGM_RSRC2:TIDIG_COMP_CNT: 0
; COMPUTE_PGM_RSRC3_GFX90A:ACCUM_OFFSET: 0
; COMPUTE_PGM_RSRC3_GFX90A:TG_SPLIT: 0
	.section	.text._ZN7rocprim17ROCPRIM_400000_NS6detail17trampoline_kernelINS0_14default_configENS1_29reduce_by_key_config_selectorIN3c108BFloat16ElN6thrust23THRUST_200600_302600_NS4plusIlEEEEZZNS1_33reduce_by_key_impl_wrapped_configILNS1_25lookback_scan_determinismE0ES3_SB_PS6_NS8_17constant_iteratorIiNS8_11use_defaultESG_EENS8_10device_ptrIS6_EENSI_IlEEPmSA_NS8_8equal_toIS6_EEEE10hipError_tPvRmT2_T3_mT4_T5_T6_T7_T8_P12ihipStream_tbENKUlT_T0_E_clISt17integral_constantIbLb1EES14_IbLb0EEEEDaS10_S11_EUlS10_E_NS1_11comp_targetILNS1_3genE0ELNS1_11target_archE4294967295ELNS1_3gpuE0ELNS1_3repE0EEENS1_30default_config_static_selectorELNS0_4arch9wavefront6targetE1EEEvT1_,"axG",@progbits,_ZN7rocprim17ROCPRIM_400000_NS6detail17trampoline_kernelINS0_14default_configENS1_29reduce_by_key_config_selectorIN3c108BFloat16ElN6thrust23THRUST_200600_302600_NS4plusIlEEEEZZNS1_33reduce_by_key_impl_wrapped_configILNS1_25lookback_scan_determinismE0ES3_SB_PS6_NS8_17constant_iteratorIiNS8_11use_defaultESG_EENS8_10device_ptrIS6_EENSI_IlEEPmSA_NS8_8equal_toIS6_EEEE10hipError_tPvRmT2_T3_mT4_T5_T6_T7_T8_P12ihipStream_tbENKUlT_T0_E_clISt17integral_constantIbLb1EES14_IbLb0EEEEDaS10_S11_EUlS10_E_NS1_11comp_targetILNS1_3genE0ELNS1_11target_archE4294967295ELNS1_3gpuE0ELNS1_3repE0EEENS1_30default_config_static_selectorELNS0_4arch9wavefront6targetE1EEEvT1_,comdat
	.protected	_ZN7rocprim17ROCPRIM_400000_NS6detail17trampoline_kernelINS0_14default_configENS1_29reduce_by_key_config_selectorIN3c108BFloat16ElN6thrust23THRUST_200600_302600_NS4plusIlEEEEZZNS1_33reduce_by_key_impl_wrapped_configILNS1_25lookback_scan_determinismE0ES3_SB_PS6_NS8_17constant_iteratorIiNS8_11use_defaultESG_EENS8_10device_ptrIS6_EENSI_IlEEPmSA_NS8_8equal_toIS6_EEEE10hipError_tPvRmT2_T3_mT4_T5_T6_T7_T8_P12ihipStream_tbENKUlT_T0_E_clISt17integral_constantIbLb1EES14_IbLb0EEEEDaS10_S11_EUlS10_E_NS1_11comp_targetILNS1_3genE0ELNS1_11target_archE4294967295ELNS1_3gpuE0ELNS1_3repE0EEENS1_30default_config_static_selectorELNS0_4arch9wavefront6targetE1EEEvT1_ ; -- Begin function _ZN7rocprim17ROCPRIM_400000_NS6detail17trampoline_kernelINS0_14default_configENS1_29reduce_by_key_config_selectorIN3c108BFloat16ElN6thrust23THRUST_200600_302600_NS4plusIlEEEEZZNS1_33reduce_by_key_impl_wrapped_configILNS1_25lookback_scan_determinismE0ES3_SB_PS6_NS8_17constant_iteratorIiNS8_11use_defaultESG_EENS8_10device_ptrIS6_EENSI_IlEEPmSA_NS8_8equal_toIS6_EEEE10hipError_tPvRmT2_T3_mT4_T5_T6_T7_T8_P12ihipStream_tbENKUlT_T0_E_clISt17integral_constantIbLb1EES14_IbLb0EEEEDaS10_S11_EUlS10_E_NS1_11comp_targetILNS1_3genE0ELNS1_11target_archE4294967295ELNS1_3gpuE0ELNS1_3repE0EEENS1_30default_config_static_selectorELNS0_4arch9wavefront6targetE1EEEvT1_
	.globl	_ZN7rocprim17ROCPRIM_400000_NS6detail17trampoline_kernelINS0_14default_configENS1_29reduce_by_key_config_selectorIN3c108BFloat16ElN6thrust23THRUST_200600_302600_NS4plusIlEEEEZZNS1_33reduce_by_key_impl_wrapped_configILNS1_25lookback_scan_determinismE0ES3_SB_PS6_NS8_17constant_iteratorIiNS8_11use_defaultESG_EENS8_10device_ptrIS6_EENSI_IlEEPmSA_NS8_8equal_toIS6_EEEE10hipError_tPvRmT2_T3_mT4_T5_T6_T7_T8_P12ihipStream_tbENKUlT_T0_E_clISt17integral_constantIbLb1EES14_IbLb0EEEEDaS10_S11_EUlS10_E_NS1_11comp_targetILNS1_3genE0ELNS1_11target_archE4294967295ELNS1_3gpuE0ELNS1_3repE0EEENS1_30default_config_static_selectorELNS0_4arch9wavefront6targetE1EEEvT1_
	.p2align	8
	.type	_ZN7rocprim17ROCPRIM_400000_NS6detail17trampoline_kernelINS0_14default_configENS1_29reduce_by_key_config_selectorIN3c108BFloat16ElN6thrust23THRUST_200600_302600_NS4plusIlEEEEZZNS1_33reduce_by_key_impl_wrapped_configILNS1_25lookback_scan_determinismE0ES3_SB_PS6_NS8_17constant_iteratorIiNS8_11use_defaultESG_EENS8_10device_ptrIS6_EENSI_IlEEPmSA_NS8_8equal_toIS6_EEEE10hipError_tPvRmT2_T3_mT4_T5_T6_T7_T8_P12ihipStream_tbENKUlT_T0_E_clISt17integral_constantIbLb1EES14_IbLb0EEEEDaS10_S11_EUlS10_E_NS1_11comp_targetILNS1_3genE0ELNS1_11target_archE4294967295ELNS1_3gpuE0ELNS1_3repE0EEENS1_30default_config_static_selectorELNS0_4arch9wavefront6targetE1EEEvT1_,@function
_ZN7rocprim17ROCPRIM_400000_NS6detail17trampoline_kernelINS0_14default_configENS1_29reduce_by_key_config_selectorIN3c108BFloat16ElN6thrust23THRUST_200600_302600_NS4plusIlEEEEZZNS1_33reduce_by_key_impl_wrapped_configILNS1_25lookback_scan_determinismE0ES3_SB_PS6_NS8_17constant_iteratorIiNS8_11use_defaultESG_EENS8_10device_ptrIS6_EENSI_IlEEPmSA_NS8_8equal_toIS6_EEEE10hipError_tPvRmT2_T3_mT4_T5_T6_T7_T8_P12ihipStream_tbENKUlT_T0_E_clISt17integral_constantIbLb1EES14_IbLb0EEEEDaS10_S11_EUlS10_E_NS1_11comp_targetILNS1_3genE0ELNS1_11target_archE4294967295ELNS1_3gpuE0ELNS1_3repE0EEENS1_30default_config_static_selectorELNS0_4arch9wavefront6targetE1EEEvT1_: ; @_ZN7rocprim17ROCPRIM_400000_NS6detail17trampoline_kernelINS0_14default_configENS1_29reduce_by_key_config_selectorIN3c108BFloat16ElN6thrust23THRUST_200600_302600_NS4plusIlEEEEZZNS1_33reduce_by_key_impl_wrapped_configILNS1_25lookback_scan_determinismE0ES3_SB_PS6_NS8_17constant_iteratorIiNS8_11use_defaultESG_EENS8_10device_ptrIS6_EENSI_IlEEPmSA_NS8_8equal_toIS6_EEEE10hipError_tPvRmT2_T3_mT4_T5_T6_T7_T8_P12ihipStream_tbENKUlT_T0_E_clISt17integral_constantIbLb1EES14_IbLb0EEEEDaS10_S11_EUlS10_E_NS1_11comp_targetILNS1_3genE0ELNS1_11target_archE4294967295ELNS1_3gpuE0ELNS1_3repE0EEENS1_30default_config_static_selectorELNS0_4arch9wavefront6targetE1EEEvT1_
; %bb.0:
	.section	.rodata,"a",@progbits
	.p2align	6, 0x0
	.amdhsa_kernel _ZN7rocprim17ROCPRIM_400000_NS6detail17trampoline_kernelINS0_14default_configENS1_29reduce_by_key_config_selectorIN3c108BFloat16ElN6thrust23THRUST_200600_302600_NS4plusIlEEEEZZNS1_33reduce_by_key_impl_wrapped_configILNS1_25lookback_scan_determinismE0ES3_SB_PS6_NS8_17constant_iteratorIiNS8_11use_defaultESG_EENS8_10device_ptrIS6_EENSI_IlEEPmSA_NS8_8equal_toIS6_EEEE10hipError_tPvRmT2_T3_mT4_T5_T6_T7_T8_P12ihipStream_tbENKUlT_T0_E_clISt17integral_constantIbLb1EES14_IbLb0EEEEDaS10_S11_EUlS10_E_NS1_11comp_targetILNS1_3genE0ELNS1_11target_archE4294967295ELNS1_3gpuE0ELNS1_3repE0EEENS1_30default_config_static_selectorELNS0_4arch9wavefront6targetE1EEEvT1_
		.amdhsa_group_segment_fixed_size 0
		.amdhsa_private_segment_fixed_size 0
		.amdhsa_kernarg_size 144
		.amdhsa_user_sgpr_count 6
		.amdhsa_user_sgpr_private_segment_buffer 1
		.amdhsa_user_sgpr_dispatch_ptr 0
		.amdhsa_user_sgpr_queue_ptr 0
		.amdhsa_user_sgpr_kernarg_segment_ptr 1
		.amdhsa_user_sgpr_dispatch_id 0
		.amdhsa_user_sgpr_flat_scratch_init 0
		.amdhsa_user_sgpr_kernarg_preload_length 0
		.amdhsa_user_sgpr_kernarg_preload_offset 0
		.amdhsa_user_sgpr_private_segment_size 0
		.amdhsa_uses_dynamic_stack 0
		.amdhsa_system_sgpr_private_segment_wavefront_offset 0
		.amdhsa_system_sgpr_workgroup_id_x 1
		.amdhsa_system_sgpr_workgroup_id_y 0
		.amdhsa_system_sgpr_workgroup_id_z 0
		.amdhsa_system_sgpr_workgroup_info 0
		.amdhsa_system_vgpr_workitem_id 0
		.amdhsa_next_free_vgpr 1
		.amdhsa_next_free_sgpr 0
		.amdhsa_accum_offset 4
		.amdhsa_reserve_vcc 0
		.amdhsa_reserve_flat_scratch 0
		.amdhsa_float_round_mode_32 0
		.amdhsa_float_round_mode_16_64 0
		.amdhsa_float_denorm_mode_32 3
		.amdhsa_float_denorm_mode_16_64 3
		.amdhsa_dx10_clamp 1
		.amdhsa_ieee_mode 1
		.amdhsa_fp16_overflow 0
		.amdhsa_tg_split 0
		.amdhsa_exception_fp_ieee_invalid_op 0
		.amdhsa_exception_fp_denorm_src 0
		.amdhsa_exception_fp_ieee_div_zero 0
		.amdhsa_exception_fp_ieee_overflow 0
		.amdhsa_exception_fp_ieee_underflow 0
		.amdhsa_exception_fp_ieee_inexact 0
		.amdhsa_exception_int_div_zero 0
	.end_amdhsa_kernel
	.section	.text._ZN7rocprim17ROCPRIM_400000_NS6detail17trampoline_kernelINS0_14default_configENS1_29reduce_by_key_config_selectorIN3c108BFloat16ElN6thrust23THRUST_200600_302600_NS4plusIlEEEEZZNS1_33reduce_by_key_impl_wrapped_configILNS1_25lookback_scan_determinismE0ES3_SB_PS6_NS8_17constant_iteratorIiNS8_11use_defaultESG_EENS8_10device_ptrIS6_EENSI_IlEEPmSA_NS8_8equal_toIS6_EEEE10hipError_tPvRmT2_T3_mT4_T5_T6_T7_T8_P12ihipStream_tbENKUlT_T0_E_clISt17integral_constantIbLb1EES14_IbLb0EEEEDaS10_S11_EUlS10_E_NS1_11comp_targetILNS1_3genE0ELNS1_11target_archE4294967295ELNS1_3gpuE0ELNS1_3repE0EEENS1_30default_config_static_selectorELNS0_4arch9wavefront6targetE1EEEvT1_,"axG",@progbits,_ZN7rocprim17ROCPRIM_400000_NS6detail17trampoline_kernelINS0_14default_configENS1_29reduce_by_key_config_selectorIN3c108BFloat16ElN6thrust23THRUST_200600_302600_NS4plusIlEEEEZZNS1_33reduce_by_key_impl_wrapped_configILNS1_25lookback_scan_determinismE0ES3_SB_PS6_NS8_17constant_iteratorIiNS8_11use_defaultESG_EENS8_10device_ptrIS6_EENSI_IlEEPmSA_NS8_8equal_toIS6_EEEE10hipError_tPvRmT2_T3_mT4_T5_T6_T7_T8_P12ihipStream_tbENKUlT_T0_E_clISt17integral_constantIbLb1EES14_IbLb0EEEEDaS10_S11_EUlS10_E_NS1_11comp_targetILNS1_3genE0ELNS1_11target_archE4294967295ELNS1_3gpuE0ELNS1_3repE0EEENS1_30default_config_static_selectorELNS0_4arch9wavefront6targetE1EEEvT1_,comdat
.Lfunc_end2071:
	.size	_ZN7rocprim17ROCPRIM_400000_NS6detail17trampoline_kernelINS0_14default_configENS1_29reduce_by_key_config_selectorIN3c108BFloat16ElN6thrust23THRUST_200600_302600_NS4plusIlEEEEZZNS1_33reduce_by_key_impl_wrapped_configILNS1_25lookback_scan_determinismE0ES3_SB_PS6_NS8_17constant_iteratorIiNS8_11use_defaultESG_EENS8_10device_ptrIS6_EENSI_IlEEPmSA_NS8_8equal_toIS6_EEEE10hipError_tPvRmT2_T3_mT4_T5_T6_T7_T8_P12ihipStream_tbENKUlT_T0_E_clISt17integral_constantIbLb1EES14_IbLb0EEEEDaS10_S11_EUlS10_E_NS1_11comp_targetILNS1_3genE0ELNS1_11target_archE4294967295ELNS1_3gpuE0ELNS1_3repE0EEENS1_30default_config_static_selectorELNS0_4arch9wavefront6targetE1EEEvT1_, .Lfunc_end2071-_ZN7rocprim17ROCPRIM_400000_NS6detail17trampoline_kernelINS0_14default_configENS1_29reduce_by_key_config_selectorIN3c108BFloat16ElN6thrust23THRUST_200600_302600_NS4plusIlEEEEZZNS1_33reduce_by_key_impl_wrapped_configILNS1_25lookback_scan_determinismE0ES3_SB_PS6_NS8_17constant_iteratorIiNS8_11use_defaultESG_EENS8_10device_ptrIS6_EENSI_IlEEPmSA_NS8_8equal_toIS6_EEEE10hipError_tPvRmT2_T3_mT4_T5_T6_T7_T8_P12ihipStream_tbENKUlT_T0_E_clISt17integral_constantIbLb1EES14_IbLb0EEEEDaS10_S11_EUlS10_E_NS1_11comp_targetILNS1_3genE0ELNS1_11target_archE4294967295ELNS1_3gpuE0ELNS1_3repE0EEENS1_30default_config_static_selectorELNS0_4arch9wavefront6targetE1EEEvT1_
                                        ; -- End function
	.section	.AMDGPU.csdata,"",@progbits
; Kernel info:
; codeLenInByte = 0
; NumSgprs: 4
; NumVgprs: 0
; NumAgprs: 0
; TotalNumVgprs: 0
; ScratchSize: 0
; MemoryBound: 0
; FloatMode: 240
; IeeeMode: 1
; LDSByteSize: 0 bytes/workgroup (compile time only)
; SGPRBlocks: 0
; VGPRBlocks: 0
; NumSGPRsForWavesPerEU: 4
; NumVGPRsForWavesPerEU: 1
; AccumOffset: 4
; Occupancy: 8
; WaveLimiterHint : 0
; COMPUTE_PGM_RSRC2:SCRATCH_EN: 0
; COMPUTE_PGM_RSRC2:USER_SGPR: 6
; COMPUTE_PGM_RSRC2:TRAP_HANDLER: 0
; COMPUTE_PGM_RSRC2:TGID_X_EN: 1
; COMPUTE_PGM_RSRC2:TGID_Y_EN: 0
; COMPUTE_PGM_RSRC2:TGID_Z_EN: 0
; COMPUTE_PGM_RSRC2:TIDIG_COMP_CNT: 0
; COMPUTE_PGM_RSRC3_GFX90A:ACCUM_OFFSET: 0
; COMPUTE_PGM_RSRC3_GFX90A:TG_SPLIT: 0
	.section	.text._ZN7rocprim17ROCPRIM_400000_NS6detail17trampoline_kernelINS0_14default_configENS1_29reduce_by_key_config_selectorIN3c108BFloat16ElN6thrust23THRUST_200600_302600_NS4plusIlEEEEZZNS1_33reduce_by_key_impl_wrapped_configILNS1_25lookback_scan_determinismE0ES3_SB_PS6_NS8_17constant_iteratorIiNS8_11use_defaultESG_EENS8_10device_ptrIS6_EENSI_IlEEPmSA_NS8_8equal_toIS6_EEEE10hipError_tPvRmT2_T3_mT4_T5_T6_T7_T8_P12ihipStream_tbENKUlT_T0_E_clISt17integral_constantIbLb1EES14_IbLb0EEEEDaS10_S11_EUlS10_E_NS1_11comp_targetILNS1_3genE5ELNS1_11target_archE942ELNS1_3gpuE9ELNS1_3repE0EEENS1_30default_config_static_selectorELNS0_4arch9wavefront6targetE1EEEvT1_,"axG",@progbits,_ZN7rocprim17ROCPRIM_400000_NS6detail17trampoline_kernelINS0_14default_configENS1_29reduce_by_key_config_selectorIN3c108BFloat16ElN6thrust23THRUST_200600_302600_NS4plusIlEEEEZZNS1_33reduce_by_key_impl_wrapped_configILNS1_25lookback_scan_determinismE0ES3_SB_PS6_NS8_17constant_iteratorIiNS8_11use_defaultESG_EENS8_10device_ptrIS6_EENSI_IlEEPmSA_NS8_8equal_toIS6_EEEE10hipError_tPvRmT2_T3_mT4_T5_T6_T7_T8_P12ihipStream_tbENKUlT_T0_E_clISt17integral_constantIbLb1EES14_IbLb0EEEEDaS10_S11_EUlS10_E_NS1_11comp_targetILNS1_3genE5ELNS1_11target_archE942ELNS1_3gpuE9ELNS1_3repE0EEENS1_30default_config_static_selectorELNS0_4arch9wavefront6targetE1EEEvT1_,comdat
	.protected	_ZN7rocprim17ROCPRIM_400000_NS6detail17trampoline_kernelINS0_14default_configENS1_29reduce_by_key_config_selectorIN3c108BFloat16ElN6thrust23THRUST_200600_302600_NS4plusIlEEEEZZNS1_33reduce_by_key_impl_wrapped_configILNS1_25lookback_scan_determinismE0ES3_SB_PS6_NS8_17constant_iteratorIiNS8_11use_defaultESG_EENS8_10device_ptrIS6_EENSI_IlEEPmSA_NS8_8equal_toIS6_EEEE10hipError_tPvRmT2_T3_mT4_T5_T6_T7_T8_P12ihipStream_tbENKUlT_T0_E_clISt17integral_constantIbLb1EES14_IbLb0EEEEDaS10_S11_EUlS10_E_NS1_11comp_targetILNS1_3genE5ELNS1_11target_archE942ELNS1_3gpuE9ELNS1_3repE0EEENS1_30default_config_static_selectorELNS0_4arch9wavefront6targetE1EEEvT1_ ; -- Begin function _ZN7rocprim17ROCPRIM_400000_NS6detail17trampoline_kernelINS0_14default_configENS1_29reduce_by_key_config_selectorIN3c108BFloat16ElN6thrust23THRUST_200600_302600_NS4plusIlEEEEZZNS1_33reduce_by_key_impl_wrapped_configILNS1_25lookback_scan_determinismE0ES3_SB_PS6_NS8_17constant_iteratorIiNS8_11use_defaultESG_EENS8_10device_ptrIS6_EENSI_IlEEPmSA_NS8_8equal_toIS6_EEEE10hipError_tPvRmT2_T3_mT4_T5_T6_T7_T8_P12ihipStream_tbENKUlT_T0_E_clISt17integral_constantIbLb1EES14_IbLb0EEEEDaS10_S11_EUlS10_E_NS1_11comp_targetILNS1_3genE5ELNS1_11target_archE942ELNS1_3gpuE9ELNS1_3repE0EEENS1_30default_config_static_selectorELNS0_4arch9wavefront6targetE1EEEvT1_
	.globl	_ZN7rocprim17ROCPRIM_400000_NS6detail17trampoline_kernelINS0_14default_configENS1_29reduce_by_key_config_selectorIN3c108BFloat16ElN6thrust23THRUST_200600_302600_NS4plusIlEEEEZZNS1_33reduce_by_key_impl_wrapped_configILNS1_25lookback_scan_determinismE0ES3_SB_PS6_NS8_17constant_iteratorIiNS8_11use_defaultESG_EENS8_10device_ptrIS6_EENSI_IlEEPmSA_NS8_8equal_toIS6_EEEE10hipError_tPvRmT2_T3_mT4_T5_T6_T7_T8_P12ihipStream_tbENKUlT_T0_E_clISt17integral_constantIbLb1EES14_IbLb0EEEEDaS10_S11_EUlS10_E_NS1_11comp_targetILNS1_3genE5ELNS1_11target_archE942ELNS1_3gpuE9ELNS1_3repE0EEENS1_30default_config_static_selectorELNS0_4arch9wavefront6targetE1EEEvT1_
	.p2align	8
	.type	_ZN7rocprim17ROCPRIM_400000_NS6detail17trampoline_kernelINS0_14default_configENS1_29reduce_by_key_config_selectorIN3c108BFloat16ElN6thrust23THRUST_200600_302600_NS4plusIlEEEEZZNS1_33reduce_by_key_impl_wrapped_configILNS1_25lookback_scan_determinismE0ES3_SB_PS6_NS8_17constant_iteratorIiNS8_11use_defaultESG_EENS8_10device_ptrIS6_EENSI_IlEEPmSA_NS8_8equal_toIS6_EEEE10hipError_tPvRmT2_T3_mT4_T5_T6_T7_T8_P12ihipStream_tbENKUlT_T0_E_clISt17integral_constantIbLb1EES14_IbLb0EEEEDaS10_S11_EUlS10_E_NS1_11comp_targetILNS1_3genE5ELNS1_11target_archE942ELNS1_3gpuE9ELNS1_3repE0EEENS1_30default_config_static_selectorELNS0_4arch9wavefront6targetE1EEEvT1_,@function
_ZN7rocprim17ROCPRIM_400000_NS6detail17trampoline_kernelINS0_14default_configENS1_29reduce_by_key_config_selectorIN3c108BFloat16ElN6thrust23THRUST_200600_302600_NS4plusIlEEEEZZNS1_33reduce_by_key_impl_wrapped_configILNS1_25lookback_scan_determinismE0ES3_SB_PS6_NS8_17constant_iteratorIiNS8_11use_defaultESG_EENS8_10device_ptrIS6_EENSI_IlEEPmSA_NS8_8equal_toIS6_EEEE10hipError_tPvRmT2_T3_mT4_T5_T6_T7_T8_P12ihipStream_tbENKUlT_T0_E_clISt17integral_constantIbLb1EES14_IbLb0EEEEDaS10_S11_EUlS10_E_NS1_11comp_targetILNS1_3genE5ELNS1_11target_archE942ELNS1_3gpuE9ELNS1_3repE0EEENS1_30default_config_static_selectorELNS0_4arch9wavefront6targetE1EEEvT1_: ; @_ZN7rocprim17ROCPRIM_400000_NS6detail17trampoline_kernelINS0_14default_configENS1_29reduce_by_key_config_selectorIN3c108BFloat16ElN6thrust23THRUST_200600_302600_NS4plusIlEEEEZZNS1_33reduce_by_key_impl_wrapped_configILNS1_25lookback_scan_determinismE0ES3_SB_PS6_NS8_17constant_iteratorIiNS8_11use_defaultESG_EENS8_10device_ptrIS6_EENSI_IlEEPmSA_NS8_8equal_toIS6_EEEE10hipError_tPvRmT2_T3_mT4_T5_T6_T7_T8_P12ihipStream_tbENKUlT_T0_E_clISt17integral_constantIbLb1EES14_IbLb0EEEEDaS10_S11_EUlS10_E_NS1_11comp_targetILNS1_3genE5ELNS1_11target_archE942ELNS1_3gpuE9ELNS1_3repE0EEENS1_30default_config_static_selectorELNS0_4arch9wavefront6targetE1EEEvT1_
; %bb.0:
	.section	.rodata,"a",@progbits
	.p2align	6, 0x0
	.amdhsa_kernel _ZN7rocprim17ROCPRIM_400000_NS6detail17trampoline_kernelINS0_14default_configENS1_29reduce_by_key_config_selectorIN3c108BFloat16ElN6thrust23THRUST_200600_302600_NS4plusIlEEEEZZNS1_33reduce_by_key_impl_wrapped_configILNS1_25lookback_scan_determinismE0ES3_SB_PS6_NS8_17constant_iteratorIiNS8_11use_defaultESG_EENS8_10device_ptrIS6_EENSI_IlEEPmSA_NS8_8equal_toIS6_EEEE10hipError_tPvRmT2_T3_mT4_T5_T6_T7_T8_P12ihipStream_tbENKUlT_T0_E_clISt17integral_constantIbLb1EES14_IbLb0EEEEDaS10_S11_EUlS10_E_NS1_11comp_targetILNS1_3genE5ELNS1_11target_archE942ELNS1_3gpuE9ELNS1_3repE0EEENS1_30default_config_static_selectorELNS0_4arch9wavefront6targetE1EEEvT1_
		.amdhsa_group_segment_fixed_size 0
		.amdhsa_private_segment_fixed_size 0
		.amdhsa_kernarg_size 144
		.amdhsa_user_sgpr_count 6
		.amdhsa_user_sgpr_private_segment_buffer 1
		.amdhsa_user_sgpr_dispatch_ptr 0
		.amdhsa_user_sgpr_queue_ptr 0
		.amdhsa_user_sgpr_kernarg_segment_ptr 1
		.amdhsa_user_sgpr_dispatch_id 0
		.amdhsa_user_sgpr_flat_scratch_init 0
		.amdhsa_user_sgpr_kernarg_preload_length 0
		.amdhsa_user_sgpr_kernarg_preload_offset 0
		.amdhsa_user_sgpr_private_segment_size 0
		.amdhsa_uses_dynamic_stack 0
		.amdhsa_system_sgpr_private_segment_wavefront_offset 0
		.amdhsa_system_sgpr_workgroup_id_x 1
		.amdhsa_system_sgpr_workgroup_id_y 0
		.amdhsa_system_sgpr_workgroup_id_z 0
		.amdhsa_system_sgpr_workgroup_info 0
		.amdhsa_system_vgpr_workitem_id 0
		.amdhsa_next_free_vgpr 1
		.amdhsa_next_free_sgpr 0
		.amdhsa_accum_offset 4
		.amdhsa_reserve_vcc 0
		.amdhsa_reserve_flat_scratch 0
		.amdhsa_float_round_mode_32 0
		.amdhsa_float_round_mode_16_64 0
		.amdhsa_float_denorm_mode_32 3
		.amdhsa_float_denorm_mode_16_64 3
		.amdhsa_dx10_clamp 1
		.amdhsa_ieee_mode 1
		.amdhsa_fp16_overflow 0
		.amdhsa_tg_split 0
		.amdhsa_exception_fp_ieee_invalid_op 0
		.amdhsa_exception_fp_denorm_src 0
		.amdhsa_exception_fp_ieee_div_zero 0
		.amdhsa_exception_fp_ieee_overflow 0
		.amdhsa_exception_fp_ieee_underflow 0
		.amdhsa_exception_fp_ieee_inexact 0
		.amdhsa_exception_int_div_zero 0
	.end_amdhsa_kernel
	.section	.text._ZN7rocprim17ROCPRIM_400000_NS6detail17trampoline_kernelINS0_14default_configENS1_29reduce_by_key_config_selectorIN3c108BFloat16ElN6thrust23THRUST_200600_302600_NS4plusIlEEEEZZNS1_33reduce_by_key_impl_wrapped_configILNS1_25lookback_scan_determinismE0ES3_SB_PS6_NS8_17constant_iteratorIiNS8_11use_defaultESG_EENS8_10device_ptrIS6_EENSI_IlEEPmSA_NS8_8equal_toIS6_EEEE10hipError_tPvRmT2_T3_mT4_T5_T6_T7_T8_P12ihipStream_tbENKUlT_T0_E_clISt17integral_constantIbLb1EES14_IbLb0EEEEDaS10_S11_EUlS10_E_NS1_11comp_targetILNS1_3genE5ELNS1_11target_archE942ELNS1_3gpuE9ELNS1_3repE0EEENS1_30default_config_static_selectorELNS0_4arch9wavefront6targetE1EEEvT1_,"axG",@progbits,_ZN7rocprim17ROCPRIM_400000_NS6detail17trampoline_kernelINS0_14default_configENS1_29reduce_by_key_config_selectorIN3c108BFloat16ElN6thrust23THRUST_200600_302600_NS4plusIlEEEEZZNS1_33reduce_by_key_impl_wrapped_configILNS1_25lookback_scan_determinismE0ES3_SB_PS6_NS8_17constant_iteratorIiNS8_11use_defaultESG_EENS8_10device_ptrIS6_EENSI_IlEEPmSA_NS8_8equal_toIS6_EEEE10hipError_tPvRmT2_T3_mT4_T5_T6_T7_T8_P12ihipStream_tbENKUlT_T0_E_clISt17integral_constantIbLb1EES14_IbLb0EEEEDaS10_S11_EUlS10_E_NS1_11comp_targetILNS1_3genE5ELNS1_11target_archE942ELNS1_3gpuE9ELNS1_3repE0EEENS1_30default_config_static_selectorELNS0_4arch9wavefront6targetE1EEEvT1_,comdat
.Lfunc_end2072:
	.size	_ZN7rocprim17ROCPRIM_400000_NS6detail17trampoline_kernelINS0_14default_configENS1_29reduce_by_key_config_selectorIN3c108BFloat16ElN6thrust23THRUST_200600_302600_NS4plusIlEEEEZZNS1_33reduce_by_key_impl_wrapped_configILNS1_25lookback_scan_determinismE0ES3_SB_PS6_NS8_17constant_iteratorIiNS8_11use_defaultESG_EENS8_10device_ptrIS6_EENSI_IlEEPmSA_NS8_8equal_toIS6_EEEE10hipError_tPvRmT2_T3_mT4_T5_T6_T7_T8_P12ihipStream_tbENKUlT_T0_E_clISt17integral_constantIbLb1EES14_IbLb0EEEEDaS10_S11_EUlS10_E_NS1_11comp_targetILNS1_3genE5ELNS1_11target_archE942ELNS1_3gpuE9ELNS1_3repE0EEENS1_30default_config_static_selectorELNS0_4arch9wavefront6targetE1EEEvT1_, .Lfunc_end2072-_ZN7rocprim17ROCPRIM_400000_NS6detail17trampoline_kernelINS0_14default_configENS1_29reduce_by_key_config_selectorIN3c108BFloat16ElN6thrust23THRUST_200600_302600_NS4plusIlEEEEZZNS1_33reduce_by_key_impl_wrapped_configILNS1_25lookback_scan_determinismE0ES3_SB_PS6_NS8_17constant_iteratorIiNS8_11use_defaultESG_EENS8_10device_ptrIS6_EENSI_IlEEPmSA_NS8_8equal_toIS6_EEEE10hipError_tPvRmT2_T3_mT4_T5_T6_T7_T8_P12ihipStream_tbENKUlT_T0_E_clISt17integral_constantIbLb1EES14_IbLb0EEEEDaS10_S11_EUlS10_E_NS1_11comp_targetILNS1_3genE5ELNS1_11target_archE942ELNS1_3gpuE9ELNS1_3repE0EEENS1_30default_config_static_selectorELNS0_4arch9wavefront6targetE1EEEvT1_
                                        ; -- End function
	.section	.AMDGPU.csdata,"",@progbits
; Kernel info:
; codeLenInByte = 0
; NumSgprs: 4
; NumVgprs: 0
; NumAgprs: 0
; TotalNumVgprs: 0
; ScratchSize: 0
; MemoryBound: 0
; FloatMode: 240
; IeeeMode: 1
; LDSByteSize: 0 bytes/workgroup (compile time only)
; SGPRBlocks: 0
; VGPRBlocks: 0
; NumSGPRsForWavesPerEU: 4
; NumVGPRsForWavesPerEU: 1
; AccumOffset: 4
; Occupancy: 8
; WaveLimiterHint : 0
; COMPUTE_PGM_RSRC2:SCRATCH_EN: 0
; COMPUTE_PGM_RSRC2:USER_SGPR: 6
; COMPUTE_PGM_RSRC2:TRAP_HANDLER: 0
; COMPUTE_PGM_RSRC2:TGID_X_EN: 1
; COMPUTE_PGM_RSRC2:TGID_Y_EN: 0
; COMPUTE_PGM_RSRC2:TGID_Z_EN: 0
; COMPUTE_PGM_RSRC2:TIDIG_COMP_CNT: 0
; COMPUTE_PGM_RSRC3_GFX90A:ACCUM_OFFSET: 0
; COMPUTE_PGM_RSRC3_GFX90A:TG_SPLIT: 0
	.section	.text._ZN7rocprim17ROCPRIM_400000_NS6detail17trampoline_kernelINS0_14default_configENS1_29reduce_by_key_config_selectorIN3c108BFloat16ElN6thrust23THRUST_200600_302600_NS4plusIlEEEEZZNS1_33reduce_by_key_impl_wrapped_configILNS1_25lookback_scan_determinismE0ES3_SB_PS6_NS8_17constant_iteratorIiNS8_11use_defaultESG_EENS8_10device_ptrIS6_EENSI_IlEEPmSA_NS8_8equal_toIS6_EEEE10hipError_tPvRmT2_T3_mT4_T5_T6_T7_T8_P12ihipStream_tbENKUlT_T0_E_clISt17integral_constantIbLb1EES14_IbLb0EEEEDaS10_S11_EUlS10_E_NS1_11comp_targetILNS1_3genE4ELNS1_11target_archE910ELNS1_3gpuE8ELNS1_3repE0EEENS1_30default_config_static_selectorELNS0_4arch9wavefront6targetE1EEEvT1_,"axG",@progbits,_ZN7rocprim17ROCPRIM_400000_NS6detail17trampoline_kernelINS0_14default_configENS1_29reduce_by_key_config_selectorIN3c108BFloat16ElN6thrust23THRUST_200600_302600_NS4plusIlEEEEZZNS1_33reduce_by_key_impl_wrapped_configILNS1_25lookback_scan_determinismE0ES3_SB_PS6_NS8_17constant_iteratorIiNS8_11use_defaultESG_EENS8_10device_ptrIS6_EENSI_IlEEPmSA_NS8_8equal_toIS6_EEEE10hipError_tPvRmT2_T3_mT4_T5_T6_T7_T8_P12ihipStream_tbENKUlT_T0_E_clISt17integral_constantIbLb1EES14_IbLb0EEEEDaS10_S11_EUlS10_E_NS1_11comp_targetILNS1_3genE4ELNS1_11target_archE910ELNS1_3gpuE8ELNS1_3repE0EEENS1_30default_config_static_selectorELNS0_4arch9wavefront6targetE1EEEvT1_,comdat
	.protected	_ZN7rocprim17ROCPRIM_400000_NS6detail17trampoline_kernelINS0_14default_configENS1_29reduce_by_key_config_selectorIN3c108BFloat16ElN6thrust23THRUST_200600_302600_NS4plusIlEEEEZZNS1_33reduce_by_key_impl_wrapped_configILNS1_25lookback_scan_determinismE0ES3_SB_PS6_NS8_17constant_iteratorIiNS8_11use_defaultESG_EENS8_10device_ptrIS6_EENSI_IlEEPmSA_NS8_8equal_toIS6_EEEE10hipError_tPvRmT2_T3_mT4_T5_T6_T7_T8_P12ihipStream_tbENKUlT_T0_E_clISt17integral_constantIbLb1EES14_IbLb0EEEEDaS10_S11_EUlS10_E_NS1_11comp_targetILNS1_3genE4ELNS1_11target_archE910ELNS1_3gpuE8ELNS1_3repE0EEENS1_30default_config_static_selectorELNS0_4arch9wavefront6targetE1EEEvT1_ ; -- Begin function _ZN7rocprim17ROCPRIM_400000_NS6detail17trampoline_kernelINS0_14default_configENS1_29reduce_by_key_config_selectorIN3c108BFloat16ElN6thrust23THRUST_200600_302600_NS4plusIlEEEEZZNS1_33reduce_by_key_impl_wrapped_configILNS1_25lookback_scan_determinismE0ES3_SB_PS6_NS8_17constant_iteratorIiNS8_11use_defaultESG_EENS8_10device_ptrIS6_EENSI_IlEEPmSA_NS8_8equal_toIS6_EEEE10hipError_tPvRmT2_T3_mT4_T5_T6_T7_T8_P12ihipStream_tbENKUlT_T0_E_clISt17integral_constantIbLb1EES14_IbLb0EEEEDaS10_S11_EUlS10_E_NS1_11comp_targetILNS1_3genE4ELNS1_11target_archE910ELNS1_3gpuE8ELNS1_3repE0EEENS1_30default_config_static_selectorELNS0_4arch9wavefront6targetE1EEEvT1_
	.globl	_ZN7rocprim17ROCPRIM_400000_NS6detail17trampoline_kernelINS0_14default_configENS1_29reduce_by_key_config_selectorIN3c108BFloat16ElN6thrust23THRUST_200600_302600_NS4plusIlEEEEZZNS1_33reduce_by_key_impl_wrapped_configILNS1_25lookback_scan_determinismE0ES3_SB_PS6_NS8_17constant_iteratorIiNS8_11use_defaultESG_EENS8_10device_ptrIS6_EENSI_IlEEPmSA_NS8_8equal_toIS6_EEEE10hipError_tPvRmT2_T3_mT4_T5_T6_T7_T8_P12ihipStream_tbENKUlT_T0_E_clISt17integral_constantIbLb1EES14_IbLb0EEEEDaS10_S11_EUlS10_E_NS1_11comp_targetILNS1_3genE4ELNS1_11target_archE910ELNS1_3gpuE8ELNS1_3repE0EEENS1_30default_config_static_selectorELNS0_4arch9wavefront6targetE1EEEvT1_
	.p2align	8
	.type	_ZN7rocprim17ROCPRIM_400000_NS6detail17trampoline_kernelINS0_14default_configENS1_29reduce_by_key_config_selectorIN3c108BFloat16ElN6thrust23THRUST_200600_302600_NS4plusIlEEEEZZNS1_33reduce_by_key_impl_wrapped_configILNS1_25lookback_scan_determinismE0ES3_SB_PS6_NS8_17constant_iteratorIiNS8_11use_defaultESG_EENS8_10device_ptrIS6_EENSI_IlEEPmSA_NS8_8equal_toIS6_EEEE10hipError_tPvRmT2_T3_mT4_T5_T6_T7_T8_P12ihipStream_tbENKUlT_T0_E_clISt17integral_constantIbLb1EES14_IbLb0EEEEDaS10_S11_EUlS10_E_NS1_11comp_targetILNS1_3genE4ELNS1_11target_archE910ELNS1_3gpuE8ELNS1_3repE0EEENS1_30default_config_static_selectorELNS0_4arch9wavefront6targetE1EEEvT1_,@function
_ZN7rocprim17ROCPRIM_400000_NS6detail17trampoline_kernelINS0_14default_configENS1_29reduce_by_key_config_selectorIN3c108BFloat16ElN6thrust23THRUST_200600_302600_NS4plusIlEEEEZZNS1_33reduce_by_key_impl_wrapped_configILNS1_25lookback_scan_determinismE0ES3_SB_PS6_NS8_17constant_iteratorIiNS8_11use_defaultESG_EENS8_10device_ptrIS6_EENSI_IlEEPmSA_NS8_8equal_toIS6_EEEE10hipError_tPvRmT2_T3_mT4_T5_T6_T7_T8_P12ihipStream_tbENKUlT_T0_E_clISt17integral_constantIbLb1EES14_IbLb0EEEEDaS10_S11_EUlS10_E_NS1_11comp_targetILNS1_3genE4ELNS1_11target_archE910ELNS1_3gpuE8ELNS1_3repE0EEENS1_30default_config_static_selectorELNS0_4arch9wavefront6targetE1EEEvT1_: ; @_ZN7rocprim17ROCPRIM_400000_NS6detail17trampoline_kernelINS0_14default_configENS1_29reduce_by_key_config_selectorIN3c108BFloat16ElN6thrust23THRUST_200600_302600_NS4plusIlEEEEZZNS1_33reduce_by_key_impl_wrapped_configILNS1_25lookback_scan_determinismE0ES3_SB_PS6_NS8_17constant_iteratorIiNS8_11use_defaultESG_EENS8_10device_ptrIS6_EENSI_IlEEPmSA_NS8_8equal_toIS6_EEEE10hipError_tPvRmT2_T3_mT4_T5_T6_T7_T8_P12ihipStream_tbENKUlT_T0_E_clISt17integral_constantIbLb1EES14_IbLb0EEEEDaS10_S11_EUlS10_E_NS1_11comp_targetILNS1_3genE4ELNS1_11target_archE910ELNS1_3gpuE8ELNS1_3repE0EEENS1_30default_config_static_selectorELNS0_4arch9wavefront6targetE1EEEvT1_
; %bb.0:
	s_load_dwordx16 s[40:55], s[4:5], 0x40
	s_load_dwordx4 s[0:3], s[4:5], 0x0
	s_load_dword s10, s[4:5], 0x18
	s_load_dwordx4 s[56:59], s[4:5], 0x20
	s_load_dwordx2 s[38:39], s[4:5], 0x30
	s_waitcnt lgkmcnt(0)
	s_mul_i32 s7, s48, s47
	s_mul_hi_u32 s8, s48, s46
	s_add_i32 s7, s8, s7
	s_mul_i32 s8, s49, s46
	s_add_i32 s7, s7, s8
	s_lshl_b64 s[2:3], s[2:3], 1
	s_add_u32 s2, s0, s2
	s_addc_u32 s3, s1, s3
	s_mul_i32 s0, s6, 0xf00
	s_mov_b32 s1, 0
	s_lshl_b64 s[0:1], s[0:1], 1
	s_add_u32 s0, s2, s0
	s_mul_i32 s8, s48, s46
	s_addc_u32 s1, s3, s1
	s_add_u32 s2, s8, s6
	s_addc_u32 s3, s7, 0
	s_add_u32 s14, s50, -1
	s_addc_u32 s15, s51, -1
	s_cmp_eq_u64 s[2:3], s[14:15]
	s_cselect_b64 s[48:49], -1, 0
	s_cmp_lg_u64 s[2:3], s[14:15]
	s_mov_b64 s[12:13], -1
	s_cselect_b64 s[8:9], -1, 0
	s_mul_i32 s33, s14, 0xfffff100
	s_and_b64 vcc, exec, s[48:49]
	s_cbranch_vccnz .LBB2073_2
; %bb.1:
	v_lshlrev_b32_e32 v1, 1, v0
	v_mov_b32_e32 v2, s1
	v_add_co_u32_e32 v3, vcc, s0, v1
	v_addc_co_u32_e32 v4, vcc, 0, v2, vcc
	v_add_co_u32_e32 v2, vcc, 0x1000, v3
	v_addc_co_u32_e32 v3, vcc, 0, v4, vcc
	global_load_ushort v6, v1, s[0:1]
	global_load_ushort v7, v1, s[0:1] offset:512
	global_load_ushort v8, v1, s[0:1] offset:1024
	;; [unrolled: 1-line block ×7, first 2 shown]
	global_load_ushort v17, v[2:3], off
	global_load_ushort v18, v[2:3], off offset:512
	global_load_ushort v19, v[2:3], off offset:1024
	;; [unrolled: 1-line block ×6, first 2 shown]
	v_mad_u32_u24 v28, v0, 28, v1
	s_ashr_i32 s11, s10, 31
	s_movk_i32 s7, 0xffea
	v_mul_u32_u24_e32 v2, 15, v0
	v_mad_u32_u24 v10, v0, 15, 2
	v_mad_u32_u24 v5, v0, 15, 4
	;; [unrolled: 1-line block ×7, first 2 shown]
	v_pk_mov_b32 v[12:13], s[10:11], s[10:11] op_sel:[0,1]
	v_mad_i32_i24 v29, v0, s7, v28
	s_waitcnt vmcnt(14)
	ds_write_b16 v1, v6
	s_waitcnt vmcnt(13)
	ds_write_b16 v1, v7 offset:512
	s_waitcnt vmcnt(12)
	ds_write_b16 v1, v8 offset:1024
	s_waitcnt vmcnt(11)
	ds_write_b16 v1, v9 offset:1536
	s_waitcnt vmcnt(10)
	ds_write_b16 v1, v11 offset:2048
	s_waitcnt vmcnt(9)
	ds_write_b16 v1, v14 offset:2560
	s_waitcnt vmcnt(8)
	ds_write_b16 v1, v15 offset:3072
	s_waitcnt vmcnt(7)
	ds_write_b16 v1, v16 offset:3584
	s_waitcnt vmcnt(6)
	ds_write_b16 v1, v17 offset:4096
	s_waitcnt vmcnt(5)
	ds_write_b16 v1, v18 offset:4608
	s_waitcnt vmcnt(4)
	ds_write_b16 v1, v19 offset:5120
	s_waitcnt vmcnt(3)
	ds_write_b16 v1, v20 offset:5632
	s_waitcnt vmcnt(2)
	ds_write_b16 v1, v21 offset:6144
	s_waitcnt vmcnt(1)
	ds_write_b16 v1, v22 offset:6656
	s_waitcnt vmcnt(0)
	ds_write_b16 v1, v23 offset:7168
	s_waitcnt lgkmcnt(0)
	s_barrier
	ds_read_b128 v[6:9], v28
	ds_read_b96 v[22:24], v28 offset:16
	ds_read_u16 v1, v28 offset:28
	s_waitcnt lgkmcnt(0)
	s_barrier
	ds_write2st64_b64 v29, v[12:13], v[12:13] offset1:4
	ds_write2st64_b64 v29, v[12:13], v[12:13] offset0:8 offset1:12
	ds_write2st64_b64 v29, v[12:13], v[12:13] offset0:16 offset1:20
	;; [unrolled: 1-line block ×6, first 2 shown]
	ds_write_b64 v29, v[12:13] offset:28672
	s_waitcnt lgkmcnt(0)
	s_barrier
	s_load_dwordx2 s[60:61], s[4:5], 0x80
	s_add_i32 s33, s33, s52
	s_cbranch_execz .LBB2073_3
	s_branch .LBB2073_34
.LBB2073_2:
                                        ; implicit-def: $vgpr24
                                        ; implicit-def: $vgpr9
                                        ; implicit-def: $vgpr25
                                        ; implicit-def: $vgpr26
                                        ; implicit-def: $vgpr27
                                        ; implicit-def: $vgpr3
                                        ; implicit-def: $vgpr4
                                        ; implicit-def: $vgpr5
                                        ; implicit-def: $vgpr10
                                        ; implicit-def: $vgpr2
                                        ; implicit-def: $vgpr1
	s_load_dwordx2 s[60:61], s[4:5], 0x80
	s_andn2_b64 vcc, exec, s[12:13]
	s_add_i32 s33, s33, s52
	s_cbranch_vccnz .LBB2073_34
.LBB2073_3:
	v_cmp_gt_u32_e32 vcc, s33, v0
                                        ; implicit-def: $vgpr1
	s_and_saveexec_b64 s[4:5], vcc
	s_cbranch_execz .LBB2073_5
; %bb.4:
	v_lshlrev_b32_e32 v1, 1, v0
	global_load_ushort v1, v1, s[0:1]
.LBB2073_5:
	s_or_b64 exec, exec, s[4:5]
	v_or_b32_e32 v2, 0x100, v0
	v_cmp_gt_u32_e32 vcc, s33, v2
                                        ; implicit-def: $vgpr2
	s_and_saveexec_b64 s[4:5], vcc
	s_cbranch_execz .LBB2073_7
; %bb.6:
	v_lshlrev_b32_e32 v2, 1, v0
	global_load_ushort v2, v2, s[0:1] offset:512
.LBB2073_7:
	s_or_b64 exec, exec, s[4:5]
	v_or_b32_e32 v3, 0x200, v0
	v_cmp_gt_u32_e32 vcc, s33, v3
                                        ; implicit-def: $vgpr3
	s_and_saveexec_b64 s[4:5], vcc
	s_cbranch_execz .LBB2073_9
; %bb.8:
	v_lshlrev_b32_e32 v3, 1, v0
	global_load_ushort v3, v3, s[0:1] offset:1024
.LBB2073_9:
	s_or_b64 exec, exec, s[4:5]
	v_or_b32_e32 v4, 0x300, v0
	v_cmp_gt_u32_e32 vcc, s33, v4
                                        ; implicit-def: $vgpr4
	s_and_saveexec_b64 s[4:5], vcc
	s_cbranch_execz .LBB2073_11
; %bb.10:
	v_lshlrev_b32_e32 v4, 1, v0
	global_load_ushort v4, v4, s[0:1] offset:1536
.LBB2073_11:
	s_or_b64 exec, exec, s[4:5]
	v_or_b32_e32 v5, 0x400, v0
	v_cmp_gt_u32_e32 vcc, s33, v5
                                        ; implicit-def: $vgpr5
	s_and_saveexec_b64 s[4:5], vcc
	s_cbranch_execz .LBB2073_13
; %bb.12:
	v_lshlrev_b32_e32 v5, 1, v0
	global_load_ushort v5, v5, s[0:1] offset:2048
.LBB2073_13:
	s_or_b64 exec, exec, s[4:5]
	v_or_b32_e32 v6, 0x500, v0
	v_cmp_gt_u32_e32 vcc, s33, v6
                                        ; implicit-def: $vgpr6
	s_and_saveexec_b64 s[4:5], vcc
	s_cbranch_execz .LBB2073_15
; %bb.14:
	v_lshlrev_b32_e32 v6, 1, v0
	global_load_ushort v6, v6, s[0:1] offset:2560
.LBB2073_15:
	s_or_b64 exec, exec, s[4:5]
	v_or_b32_e32 v7, 0x600, v0
	v_cmp_gt_u32_e32 vcc, s33, v7
                                        ; implicit-def: $vgpr7
	s_and_saveexec_b64 s[4:5], vcc
	s_cbranch_execz .LBB2073_17
; %bb.16:
	v_lshlrev_b32_e32 v7, 1, v0
	global_load_ushort v7, v7, s[0:1] offset:3072
.LBB2073_17:
	s_or_b64 exec, exec, s[4:5]
	v_or_b32_e32 v8, 0x700, v0
	v_cmp_gt_u32_e32 vcc, s33, v8
                                        ; implicit-def: $vgpr8
	s_and_saveexec_b64 s[4:5], vcc
	s_cbranch_execz .LBB2073_19
; %bb.18:
	v_lshlrev_b32_e32 v8, 1, v0
	global_load_ushort v8, v8, s[0:1] offset:3584
.LBB2073_19:
	s_or_b64 exec, exec, s[4:5]
	v_or_b32_e32 v10, 0x800, v0
	v_cmp_gt_u32_e32 vcc, s33, v10
                                        ; implicit-def: $vgpr9
	s_and_saveexec_b64 s[4:5], vcc
	s_cbranch_execz .LBB2073_21
; %bb.20:
	v_lshlrev_b32_e32 v9, 1, v10
	global_load_ushort v9, v9, s[0:1]
.LBB2073_21:
	s_or_b64 exec, exec, s[4:5]
	v_or_b32_e32 v11, 0x900, v0
	v_cmp_gt_u32_e32 vcc, s33, v11
                                        ; implicit-def: $vgpr10
	s_and_saveexec_b64 s[4:5], vcc
	s_cbranch_execz .LBB2073_23
; %bb.22:
	v_lshlrev_b32_e32 v10, 1, v11
	global_load_ushort v10, v10, s[0:1]
.LBB2073_23:
	s_or_b64 exec, exec, s[4:5]
	v_or_b32_e32 v12, 0xa00, v0
	v_cmp_gt_u32_e32 vcc, s33, v12
                                        ; implicit-def: $vgpr11
	s_and_saveexec_b64 s[4:5], vcc
	s_cbranch_execz .LBB2073_25
; %bb.24:
	v_lshlrev_b32_e32 v11, 1, v12
	global_load_ushort v11, v11, s[0:1]
.LBB2073_25:
	s_or_b64 exec, exec, s[4:5]
	v_or_b32_e32 v13, 0xb00, v0
	v_cmp_gt_u32_e32 vcc, s33, v13
                                        ; implicit-def: $vgpr12
	s_and_saveexec_b64 s[4:5], vcc
	s_cbranch_execz .LBB2073_27
; %bb.26:
	v_lshlrev_b32_e32 v12, 1, v13
	global_load_ushort v12, v12, s[0:1]
.LBB2073_27:
	s_or_b64 exec, exec, s[4:5]
	v_or_b32_e32 v14, 0xc00, v0
	v_cmp_gt_u32_e32 vcc, s33, v14
                                        ; implicit-def: $vgpr13
	s_and_saveexec_b64 s[4:5], vcc
	s_cbranch_execz .LBB2073_29
; %bb.28:
	v_lshlrev_b32_e32 v13, 1, v14
	global_load_ushort v13, v13, s[0:1]
.LBB2073_29:
	s_or_b64 exec, exec, s[4:5]
	v_or_b32_e32 v15, 0xd00, v0
	v_cmp_gt_u32_e32 vcc, s33, v15
                                        ; implicit-def: $vgpr14
	s_and_saveexec_b64 s[4:5], vcc
	s_cbranch_execz .LBB2073_31
; %bb.30:
	v_lshlrev_b32_e32 v14, 1, v15
	global_load_ushort v14, v14, s[0:1]
.LBB2073_31:
	s_or_b64 exec, exec, s[4:5]
	v_or_b32_e32 v16, 0xe00, v0
	v_cmp_gt_u32_e32 vcc, s33, v16
                                        ; implicit-def: $vgpr15
	s_and_saveexec_b64 s[4:5], vcc
	s_cbranch_execz .LBB2073_33
; %bb.32:
	v_lshlrev_b32_e32 v15, 1, v16
	global_load_ushort v15, v15, s[0:1]
.LBB2073_33:
	s_or_b64 exec, exec, s[4:5]
	v_lshlrev_b32_e32 v16, 1, v0
	s_waitcnt vmcnt(0)
	ds_write_b16 v16, v1
	ds_write_b16 v16, v2 offset:512
	ds_write_b16 v16, v3 offset:1024
	;; [unrolled: 1-line block ×14, first 2 shown]
	v_mad_u32_u24 v11, v0, 28, v16
	s_waitcnt lgkmcnt(0)
	s_barrier
	ds_read_b128 v[6:9], v11
	ds_read_b96 v[22:24], v11 offset:16
	ds_read_u16 v1, v11 offset:28
	s_ashr_i32 s11, s10, 31
	s_movk_i32 s4, 0xffea
	v_mul_u32_u24_e32 v2, 15, v0
	v_mad_u32_u24 v10, v0, 15, 2
	v_mad_u32_u24 v5, v0, 15, 4
	;; [unrolled: 1-line block ×7, first 2 shown]
	v_mad_i32_i24 v11, v0, s4, v11
	v_pk_mov_b32 v[12:13], s[10:11], s[10:11] op_sel:[0,1]
	s_waitcnt lgkmcnt(0)
	s_barrier
	ds_write2st64_b64 v11, v[12:13], v[12:13] offset1:4
	ds_write2st64_b64 v11, v[12:13], v[12:13] offset0:8 offset1:12
	ds_write2st64_b64 v11, v[12:13], v[12:13] offset0:16 offset1:20
	;; [unrolled: 1-line block ×6, first 2 shown]
	ds_write_b64 v11, v[12:13] offset:28672
	s_waitcnt lgkmcnt(0)
	s_barrier
.LBB2073_34:
	v_lshlrev_b32_e32 v2, 3, v2
	v_lshlrev_b32_e32 v10, 3, v10
	;; [unrolled: 1-line block ×5, first 2 shown]
	s_waitcnt lgkmcnt(0)
	ds_read2_b64 v[18:21], v2 offset1:1
	ds_read_b64 v[34:35], v10
	ds_read2_b64 v[14:17], v2 offset0:3 offset1:5
	ds_read2_b64 v[10:13], v2 offset0:7 offset1:9
	v_lshlrev_b32_e32 v27, 3, v27
	ds_read_b64 v[36:37], v5
	ds_read_b64 v[32:33], v4
	;; [unrolled: 1-line block ×4, first 2 shown]
	ds_read2_b64 v[2:5], v2 offset0:11 offset1:13
	v_lshlrev_b32_e32 v26, 3, v26
	v_lshlrev_b32_e32 v25, 3, v25
	ds_read_b64 v[26:27], v26
	ds_read_b64 v[38:39], v25
	s_cmp_eq_u64 s[2:3], 0
	s_cselect_b64 s[50:51], -1, 0
	s_cmp_lg_u64 s[2:3], 0
	s_mov_b64 s[4:5], 0
	s_cselect_b64 s[10:11], -1, 0
	s_and_b64 vcc, exec, s[8:9]
	s_waitcnt lgkmcnt(0)
	s_barrier
	s_cbranch_vccz .LBB2073_40
; %bb.35:
	s_and_b64 vcc, exec, s[10:11]
	s_cbranch_vccz .LBB2073_41
; %bb.36:
	v_mov_b32_e32 v25, 0
	global_load_ushort v40, v25, s[0:1] offset:-2
	v_lshlrev_b32_e32 v25, 1, v0
	v_cmp_ne_u32_e32 vcc, 0, v0
	ds_write_b16 v25, v1
	s_waitcnt lgkmcnt(0)
	s_barrier
	s_and_saveexec_b64 s[4:5], vcc
	s_cbranch_execz .LBB2073_38
; %bb.37:
	v_add_u32_e32 v25, -2, v25
	s_waitcnt vmcnt(0)
	ds_read_u16 v40, v25
.LBB2073_38:
	s_or_b64 exec, exec, s[4:5]
	v_and_b32_e32 v52, 0xffff0000, v6
	v_lshlrev_b32_e32 v53, 16, v6
	v_lshlrev_b32_e32 v54, 16, v7
	v_cmp_neq_f32_e32 vcc, v52, v53
	v_and_b32_e32 v51, 0xffff0000, v7
	v_cndmask_b32_e64 v89, 0, 1, vcc
	v_cmp_neq_f32_e32 vcc, v52, v54
	v_lshlrev_b32_e32 v49, 16, v8
	v_cndmask_b32_e64 v90, 0, 1, vcc
	v_cmp_neq_f32_e32 vcc, v54, v51
	v_and_b32_e32 v48, 0xffff0000, v8
	v_cndmask_b32_e64 v88, 0, 1, vcc
	v_cmp_neq_f32_e32 vcc, v49, v51
	v_lshlrev_b32_e32 v50, 16, v9
	v_cndmask_b32_e64 v85, 0, 1, vcc
	v_cmp_neq_f32_e32 vcc, v48, v49
	v_and_b32_e32 v47, 0xffff0000, v9
	v_cndmask_b32_e64 v82, 0, 1, vcc
	v_cmp_neq_f32_e32 vcc, v48, v50
	v_lshlrev_b32_e32 v45, 16, v22
	v_cndmask_b32_e64 v87, 0, 1, vcc
	v_cmp_neq_f32_e32 vcc, v50, v47
	v_and_b32_e32 v44, 0xffff0000, v22
	v_cndmask_b32_e64 v86, 0, 1, vcc
	v_cmp_neq_f32_e32 vcc, v45, v47
	v_lshlrev_b32_e32 v46, 16, v23
	v_cndmask_b32_e64 v79, 0, 1, vcc
	v_cmp_neq_f32_e32 vcc, v44, v45
	v_and_b32_e32 v25, 0xffff0000, v23
	v_cndmask_b32_e64 v78, 0, 1, vcc
	v_cmp_neq_f32_e32 vcc, v44, v46
	v_lshlrev_b32_e32 v42, 16, v24
	v_cndmask_b32_e64 v84, 0, 1, vcc
	v_cmp_neq_f32_e32 vcc, v46, v25
	v_and_b32_e32 v41, 0xffff0000, v24
	v_cndmask_b32_e64 v83, 0, 1, vcc
	v_cmp_neq_f32_e32 vcc, v42, v25
	v_lshlrev_b32_e32 v43, 16, v1
	v_cndmask_b32_e64 v25, 0, 1, vcc
	v_cmp_neq_f32_e32 vcc, v41, v42
	v_cndmask_b32_e64 v80, 0, 1, vcc
	v_cmp_neq_f32_e32 vcc, v41, v43
	s_waitcnt vmcnt(0) lgkmcnt(0)
	v_lshlrev_b32_e32 v40, 16, v40
	v_cndmask_b32_e64 v81, 0, 1, vcc
	v_cmp_neq_f32_e64 s[8:9], v53, v40
	s_mov_b64 s[4:5], -1
.LBB2073_39:
                                        ; implicit-def: $sgpr7
	s_branch .LBB2073_53
.LBB2073_40:
                                        ; implicit-def: $sgpr8_sgpr9
                                        ; implicit-def: $vgpr81
                                        ; implicit-def: $vgpr80
                                        ; implicit-def: $vgpr25
                                        ; implicit-def: $vgpr83
                                        ; implicit-def: $vgpr84
                                        ; implicit-def: $vgpr78
                                        ; implicit-def: $vgpr79
                                        ; implicit-def: $vgpr86
                                        ; implicit-def: $vgpr87
                                        ; implicit-def: $vgpr82
                                        ; implicit-def: $vgpr85
                                        ; implicit-def: $vgpr88
                                        ; implicit-def: $vgpr90
                                        ; implicit-def: $vgpr89
                                        ; implicit-def: $sgpr7
	s_cbranch_execnz .LBB2073_45
	s_branch .LBB2073_53
.LBB2073_41:
                                        ; implicit-def: $sgpr8_sgpr9
                                        ; implicit-def: $vgpr81
                                        ; implicit-def: $vgpr80
                                        ; implicit-def: $vgpr25
                                        ; implicit-def: $vgpr83
                                        ; implicit-def: $vgpr84
                                        ; implicit-def: $vgpr78
                                        ; implicit-def: $vgpr79
                                        ; implicit-def: $vgpr86
                                        ; implicit-def: $vgpr87
                                        ; implicit-def: $vgpr82
                                        ; implicit-def: $vgpr85
                                        ; implicit-def: $vgpr88
                                        ; implicit-def: $vgpr90
                                        ; implicit-def: $vgpr89
	s_cbranch_execz .LBB2073_39
; %bb.42:
	v_and_b32_e32 v53, 0xffff0000, v6
	v_lshlrev_b32_e32 v41, 16, v6
	v_lshlrev_b32_e32 v54, 16, v7
	v_cmp_neq_f32_e32 vcc, v53, v41
	v_and_b32_e32 v52, 0xffff0000, v7
	v_cndmask_b32_e64 v89, 0, 1, vcc
	v_cmp_neq_f32_e32 vcc, v53, v54
	v_lshlrev_b32_e32 v50, 16, v8
	v_cndmask_b32_e64 v90, 0, 1, vcc
	v_cmp_neq_f32_e32 vcc, v54, v52
	v_and_b32_e32 v49, 0xffff0000, v8
	v_cndmask_b32_e64 v88, 0, 1, vcc
	v_cmp_neq_f32_e32 vcc, v50, v52
	v_lshlrev_b32_e32 v51, 16, v9
	v_cndmask_b32_e64 v85, 0, 1, vcc
	;; [unrolled: 6-line block ×6, first 2 shown]
	v_cmp_neq_f32_e32 vcc, v42, v43
	v_cndmask_b32_e64 v80, 0, 1, vcc
	v_cmp_neq_f32_e32 vcc, v42, v44
	s_mov_b32 s7, 1
	v_lshlrev_b32_e32 v40, 1, v0
	v_cndmask_b32_e64 v81, 0, 1, vcc
	v_cmp_ne_u32_e32 vcc, 0, v0
	ds_write_b16 v40, v1
	s_waitcnt lgkmcnt(0)
	s_barrier
	s_waitcnt lgkmcnt(0)
                                        ; implicit-def: $sgpr8_sgpr9
	s_and_saveexec_b64 s[12:13], vcc
	s_xor_b64 s[12:13], exec, s[12:13]
	s_cbranch_execz .LBB2073_44
; %bb.43:
	v_add_u32_e32 v40, -2, v40
	ds_read_u16 v40, v40
	s_or_b64 s[4:5], s[4:5], exec
	s_waitcnt lgkmcnt(0)
	v_lshlrev_b32_e32 v40, 16, v40
	v_cmp_neq_f32_e32 vcc, v41, v40
	s_and_b64 s[8:9], vcc, exec
.LBB2073_44:
	s_or_b64 exec, exec, s[12:13]
	s_branch .LBB2073_53
.LBB2073_45:
	s_mul_hi_u32 s7, s2, 0xfffff100
	s_mulk_i32 s3, 0xf100
	s_sub_i32 s7, s7, s2
	s_add_i32 s7, s7, s3
	s_mulk_i32 s2, 0xf100
	s_add_u32 s52, s2, s52
	s_addc_u32 s53, s7, s53
	s_and_b64 vcc, exec, s[10:11]
	s_cbranch_vccz .LBB2073_50
; %bb.46:
	v_mov_b32_e32 v41, 0
	global_load_ushort v44, v41, s[0:1] offset:-2
	v_lshlrev_b32_e32 v25, 1, v0
	v_mul_u32_u24_e32 v42, 15, v0
	v_cmp_ne_u32_e32 vcc, 0, v0
	ds_write_b16 v25, v1
	s_waitcnt lgkmcnt(0)
	s_barrier
	s_and_saveexec_b64 s[0:1], vcc
	s_cbranch_execz .LBB2073_48
; %bb.47:
	v_add_u32_e32 v25, -2, v25
	s_waitcnt vmcnt(0)
	ds_read_u16 v44, v25
.LBB2073_48:
	s_or_b64 exec, exec, s[0:1]
	s_mov_b32 s0, 0xe000d
	v_pk_add_u16 v40, v42, s0 op_sel_hi:[0,1]
	v_alignbit_b32 v46, 0, v40, 16
	v_and_b32_e32 v40, 0xffff, v40
	v_and_b32_e32 v25, 0xffff0000, v24
	v_cmp_gt_u64_e32 vcc, s[52:53], v[40:41]
	v_lshlrev_b32_e32 v40, 16, v1
	v_lshlrev_b32_e32 v43, 16, v24
	v_cmp_neq_f32_e64 s[2:3], v25, v40
	v_add_u32_e32 v40, 12, v42
	v_and_b32_e32 v49, 0xffff0000, v23
	s_mov_b32 s7, 0xb000a
	v_mov_b32_e32 v47, v41
	v_cmp_gt_u64_e64 s[8:9], s[52:53], v[40:41]
	v_cmp_neq_f32_e64 s[10:11], v49, v43
	v_pk_add_u16 v40, v42, s7 op_sel_hi:[0,1]
	v_cmp_gt_u64_e64 s[0:1], s[52:53], v[46:47]
	s_and_b64 s[8:9], s[8:9], s[10:11]
	v_alignbit_b32 v46, 0, v40, 16
	v_and_b32_e32 v40, 0xffff, v40
	v_cmp_neq_f32_e64 s[4:5], v25, v43
	v_and_b32_e32 v48, 0xffff0000, v22
	v_cndmask_b32_e64 v25, 0, 1, s[8:9]
	v_cmp_gt_u64_e64 s[8:9], s[52:53], v[40:41]
	v_add_u32_e32 v40, 9, v42
	v_lshlrev_b32_e32 v43, 16, v22
	v_lshlrev_b32_e32 v45, 16, v23
	v_cmp_gt_u64_e64 s[16:17], s[52:53], v[40:41]
	v_cmp_neq_f32_e64 s[18:19], v48, v43
	v_cmp_neq_f32_e64 s[14:15], v45, v49
	s_and_b64 s[16:17], s[16:17], s[18:19]
	v_add_u32_e32 v40, 8, v42
	v_and_b32_e32 v49, 0xffff0000, v9
	s_mov_b32 s7, 0x70006
	v_cndmask_b32_e64 v78, 0, 1, s[16:17]
	v_cmp_gt_u64_e64 s[16:17], s[52:53], v[40:41]
	v_cmp_neq_f32_e64 s[18:19], v49, v43
	v_pk_add_u16 v40, v42, s7 op_sel_hi:[0,1]
	v_cmp_gt_u64_e64 s[10:11], s[52:53], v[46:47]
	s_and_b64 s[16:17], s[16:17], s[18:19]
	v_alignbit_b32 v46, 0, v40, 16
	v_and_b32_e32 v40, 0xffff, v40
	v_cmp_neq_f32_e64 s[12:13], v45, v48
	v_and_b32_e32 v48, 0xffff0000, v8
	v_cndmask_b32_e64 v79, 0, 1, s[16:17]
	v_cmp_gt_u64_e64 s[16:17], s[52:53], v[40:41]
	v_add_u32_e32 v40, 5, v42
	v_lshlrev_b32_e32 v43, 16, v8
	v_lshlrev_b32_e32 v45, 16, v9
	v_cmp_gt_u64_e64 s[24:25], s[52:53], v[40:41]
	v_cmp_neq_f32_e64 s[26:27], v48, v43
	v_cmp_neq_f32_e64 s[22:23], v45, v49
	s_and_b64 s[24:25], s[24:25], s[26:27]
	v_add_u32_e32 v40, 4, v42
	v_and_b32_e32 v49, 0xffff0000, v7
	s_mov_b32 s7, 0x30002
	v_cndmask_b32_e64 v82, 0, 1, s[24:25]
	v_cmp_gt_u64_e64 s[24:25], s[52:53], v[40:41]
	v_cmp_neq_f32_e64 s[26:27], v49, v43
	v_pk_add_u16 v40, v42, s7 op_sel_hi:[0,1]
	v_cmp_gt_u64_e64 s[18:19], s[52:53], v[46:47]
	s_and_b64 s[24:25], s[24:25], s[26:27]
	v_alignbit_b32 v46, 0, v40, 16
	v_and_b32_e32 v40, 0xffff, v40
	v_cmp_neq_f32_e64 s[20:21], v45, v48
	v_lshlrev_b32_e32 v45, 16, v7
	v_and_b32_e32 v48, 0xffff0000, v6
	v_cndmask_b32_e64 v85, 0, 1, s[24:25]
	v_cmp_gt_u64_e64 s[24:25], s[52:53], v[40:41]
	v_add_u32_e32 v40, 1, v42
	v_cmp_neq_f32_e64 s[28:29], v45, v48
	v_cmp_gt_u64_e64 s[34:35], s[52:53], v[40:41]
	v_lshlrev_b32_e32 v40, 16, v6
	v_cmp_gt_u64_e64 s[26:27], s[52:53], v[46:47]
	v_cmp_neq_f32_e64 s[30:31], v45, v49
	v_cmp_neq_f32_e64 s[36:37], v48, v40
	s_and_b64 s[24:25], s[24:25], s[28:29]
	s_and_b64 s[16:17], s[16:17], s[20:21]
	;; [unrolled: 1-line block ×4, first 2 shown]
	v_mov_b32_e32 v43, v41
	s_waitcnt vmcnt(0) lgkmcnt(0)
	v_lshlrev_b32_e32 v41, 16, v44
	s_and_b64 s[34:35], s[34:35], s[36:37]
	v_cndmask_b32_e64 v90, 0, 1, s[24:25]
	s_and_b64 s[24:25], s[26:27], s[30:31]
	v_cndmask_b32_e64 v87, 0, 1, s[16:17]
	;; [unrolled: 2-line block ×3, first 2 shown]
	s_and_b64 s[8:9], s[10:11], s[14:15]
	s_and_b64 s[4:5], vcc, s[4:5]
	v_cndmask_b32_e64 v81, 0, 1, s[0:1]
	v_cmp_gt_u64_e32 vcc, s[52:53], v[42:43]
	v_cmp_neq_f32_e64 s[0:1], v41, v40
	v_cndmask_b32_e64 v89, 0, 1, s[34:35]
	v_cndmask_b32_e64 v88, 0, 1, s[24:25]
	;; [unrolled: 1-line block ×5, first 2 shown]
	s_and_b64 s[8:9], vcc, s[0:1]
	s_mov_b64 s[4:5], -1
.LBB2073_49:
                                        ; implicit-def: $sgpr7
	v_mov_b32_e32 v91, s7
	s_and_saveexec_b64 s[0:1], s[4:5]
	s_cbranch_execnz .LBB2073_54
	s_branch .LBB2073_55
.LBB2073_50:
                                        ; implicit-def: $sgpr8_sgpr9
                                        ; implicit-def: $vgpr81
                                        ; implicit-def: $vgpr80
                                        ; implicit-def: $vgpr25
                                        ; implicit-def: $vgpr83
                                        ; implicit-def: $vgpr84
                                        ; implicit-def: $vgpr78
                                        ; implicit-def: $vgpr79
                                        ; implicit-def: $vgpr86
                                        ; implicit-def: $vgpr87
                                        ; implicit-def: $vgpr82
                                        ; implicit-def: $vgpr85
                                        ; implicit-def: $vgpr88
                                        ; implicit-def: $vgpr90
                                        ; implicit-def: $vgpr89
	s_cbranch_execz .LBB2073_49
; %bb.51:
	v_mad_u32_u24 v40, v0, 15, 14
	v_mov_b32_e32 v41, 0
	v_cmp_gt_u64_e32 vcc, s[52:53], v[40:41]
	v_mad_u32_u24 v40, v0, 15, 13
	v_lshlrev_b32_e32 v25, 16, v1
	v_cmp_gt_u64_e64 s[0:1], s[52:53], v[40:41]
	v_and_b32_e32 v40, 0xffff0000, v24
	v_lshlrev_b32_e32 v43, 16, v24
	v_cmp_neq_f32_e64 s[2:3], v40, v25
	s_and_b64 s[2:3], vcc, s[2:3]
	v_cmp_neq_f32_e32 vcc, v43, v40
	v_mad_u32_u24 v40, v0, 15, 12
	s_and_b64 s[0:1], s[0:1], vcc
	v_cmp_gt_u64_e32 vcc, s[52:53], v[40:41]
	v_mad_u32_u24 v40, v0, 15, 11
	v_cndmask_b32_e64 v80, 0, 1, s[0:1]
	v_cmp_gt_u64_e64 s[0:1], s[52:53], v[40:41]
	v_and_b32_e32 v40, 0xffff0000, v23
	v_cndmask_b32_e64 v81, 0, 1, s[2:3]
	v_lshlrev_b32_e32 v44, 16, v23
	v_cmp_neq_f32_e64 s[2:3], v40, v43
	s_and_b64 s[2:3], vcc, s[2:3]
	v_cmp_neq_f32_e32 vcc, v44, v40
	v_mad_u32_u24 v40, v0, 15, 10
	s_and_b64 s[0:1], s[0:1], vcc
	v_cmp_gt_u64_e32 vcc, s[52:53], v[40:41]
	v_mad_u32_u24 v40, v0, 15, 9
	v_cndmask_b32_e64 v83, 0, 1, s[0:1]
	v_cmp_gt_u64_e64 s[0:1], s[52:53], v[40:41]
	v_and_b32_e32 v40, 0xffff0000, v22
	v_cndmask_b32_e64 v25, 0, 1, s[2:3]
	;; [unrolled: 12-line block ×6, first 2 shown]
	v_lshlrev_b32_e32 v43, 16, v6
	v_cmp_neq_f32_e64 s[2:3], v40, v44
	s_and_b64 s[2:3], vcc, s[2:3]
	v_cmp_neq_f32_e32 vcc, v43, v40
	s_and_b64 s[0:1], s[0:1], vcc
	s_mov_b32 s7, 1
	v_lshlrev_b32_e32 v42, 1, v0
	v_cndmask_b32_e64 v90, 0, 1, s[2:3]
	v_cndmask_b32_e64 v89, 0, 1, s[0:1]
	v_cmp_ne_u32_e32 vcc, 0, v0
	ds_write_b16 v42, v1
	s_waitcnt lgkmcnt(0)
	s_barrier
	s_waitcnt lgkmcnt(0)
                                        ; implicit-def: $sgpr8_sgpr9
	s_and_saveexec_b64 s[2:3], vcc
	s_cbranch_execz .LBB2073_206
; %bb.52:
	v_add_u32_e32 v40, -2, v42
	ds_read_u16 v42, v40
	v_mul_u32_u24_e32 v40, 15, v0
	v_cmp_gt_u64_e32 vcc, s[52:53], v[40:41]
	s_or_b64 s[4:5], s[4:5], exec
	s_waitcnt lgkmcnt(0)
	v_lshlrev_b32_e32 v40, 16, v42
	v_cmp_neq_f32_e64 s[0:1], v43, v40
	s_and_b64 s[0:1], vcc, s[0:1]
	s_and_b64 s[8:9], s[0:1], exec
	s_or_b64 exec, exec, s[2:3]
.LBB2073_53:
	v_mov_b32_e32 v91, s7
	s_and_saveexec_b64 s[0:1], s[4:5]
.LBB2073_54:
	v_cndmask_b32_e64 v91, 0, 1, s[8:9]
.LBB2073_55:
	s_or_b64 exec, exec, s[0:1]
	s_cmp_eq_u64 s[46:47], 0
	v_add3_u32 v40, v89, v91, v90
	v_mov_b32_e32 v74, v18
	v_mov_b32_e32 v75, v19
	s_cselect_b64 s[30:31], -1, 0
	s_cmp_lg_u32 s6, 0
	v_cmp_eq_u32_e64 s[24:25], 0, v89
	v_cmp_eq_u32_e64 s[22:23], 0, v90
	;; [unrolled: 1-line block ×3, first 2 shown]
	v_add3_u32 v94, v40, v88, v85
	v_cmp_eq_u32_e64 s[18:19], 0, v85
	v_cmp_eq_u32_e64 s[16:17], 0, v82
	;; [unrolled: 1-line block ×10, first 2 shown]
	v_cmp_eq_u32_e32 vcc, 0, v81
	v_mbcnt_lo_u32_b32 v93, -1, 0
	s_cbranch_scc0 .LBB2073_126
; %bb.56:
	v_cndmask_b32_e64 v41, 0, v18, s[24:25]
	v_cndmask_b32_e64 v40, 0, v19, s[24:25]
	v_add_co_u32_e64 v41, s[26:27], v41, v20
	v_addc_co_u32_e64 v40, s[26:27], v40, v21, s[26:27]
	v_cndmask_b32_e64 v41, 0, v41, s[22:23]
	v_cndmask_b32_e64 v40, 0, v40, s[22:23]
	v_add_co_u32_e64 v41, s[26:27], v41, v34
	v_addc_co_u32_e64 v40, s[26:27], v40, v35, s[26:27]
	;; [unrolled: 4-line block ×11, first 2 shown]
	v_cndmask_b32_e64 v41, 0, v41, s[2:3]
	v_add3_u32 v42, v94, v82, v87
	v_cndmask_b32_e64 v40, 0, v40, s[2:3]
	v_add_co_u32_e64 v41, s[26:27], v41, v26
	v_add3_u32 v42, v42, v86, v79
	v_addc_co_u32_e64 v40, s[26:27], v40, v27, s[26:27]
	v_cndmask_b32_e64 v41, 0, v41, s[0:1]
	v_add3_u32 v42, v42, v78, v84
	v_cndmask_b32_e64 v40, 0, v40, s[0:1]
	v_add_co_u32_e64 v41, s[26:27], v41, v4
	v_add3_u32 v42, v42, v83, v25
	v_addc_co_u32_e64 v40, s[26:27], v40, v5, s[26:27]
	v_cndmask_b32_e32 v41, 0, v41, vcc
	v_add3_u32 v44, v42, v80, v81
	v_cndmask_b32_e32 v40, 0, v40, vcc
	v_add_co_u32_e32 v42, vcc, v41, v38
	v_mbcnt_hi_u32_b32 v45, -1, v93
	v_addc_co_u32_e32 v43, vcc, v40, v39, vcc
	v_and_b32_e32 v40, 15, v45
	v_mov_b32_dpp v46, v44 row_shr:1 row_mask:0xf bank_mask:0xf
	v_mov_b32_dpp v41, v42 row_shr:1 row_mask:0xf bank_mask:0xf
	;; [unrolled: 1-line block ×3, first 2 shown]
	v_cmp_ne_u32_e32 vcc, 0, v40
	s_and_saveexec_b64 s[26:27], vcc
; %bb.57:
	v_cmp_eq_u32_e32 vcc, 0, v44
	v_cndmask_b32_e32 v41, 0, v41, vcc
	v_add_u32_e32 v46, v46, v44
	v_cndmask_b32_e32 v44, 0, v47, vcc
	v_add_co_u32_e32 v42, vcc, v41, v42
	v_addc_co_u32_e32 v43, vcc, v44, v43, vcc
	v_mov_b32_e32 v44, v46
; %bb.58:
	s_or_b64 exec, exec, s[26:27]
	s_nop 0
	v_mov_b32_dpp v46, v44 row_shr:2 row_mask:0xf bank_mask:0xf
	v_mov_b32_dpp v41, v42 row_shr:2 row_mask:0xf bank_mask:0xf
	v_mov_b32_dpp v47, v43 row_shr:2 row_mask:0xf bank_mask:0xf
	v_cmp_lt_u32_e32 vcc, 1, v40
	s_and_saveexec_b64 s[26:27], vcc
; %bb.59:
	v_cmp_eq_u32_e32 vcc, 0, v44
	v_cndmask_b32_e32 v41, 0, v41, vcc
	v_add_u32_e32 v46, v46, v44
	v_cndmask_b32_e32 v44, 0, v47, vcc
	v_add_co_u32_e32 v42, vcc, v41, v42
	v_addc_co_u32_e32 v43, vcc, v44, v43, vcc
	v_mov_b32_e32 v44, v46
; %bb.60:
	s_or_b64 exec, exec, s[26:27]
	s_nop 0
	v_mov_b32_dpp v46, v44 row_shr:4 row_mask:0xf bank_mask:0xf
	v_mov_b32_dpp v41, v42 row_shr:4 row_mask:0xf bank_mask:0xf
	v_mov_b32_dpp v47, v43 row_shr:4 row_mask:0xf bank_mask:0xf
	v_cmp_lt_u32_e32 vcc, 3, v40
	s_and_saveexec_b64 s[26:27], vcc
; %bb.61:
	v_cmp_eq_u32_e32 vcc, 0, v44
	v_cndmask_b32_e32 v41, 0, v41, vcc
	v_add_u32_e32 v46, v46, v44
	v_cndmask_b32_e32 v44, 0, v47, vcc
	v_add_co_u32_e32 v42, vcc, v41, v42
	v_addc_co_u32_e32 v43, vcc, v44, v43, vcc
	v_mov_b32_e32 v44, v46
; %bb.62:
	s_or_b64 exec, exec, s[26:27]
	s_nop 0
	v_mov_b32_dpp v46, v44 row_shr:8 row_mask:0xf bank_mask:0xf
	v_mov_b32_dpp v41, v42 row_shr:8 row_mask:0xf bank_mask:0xf
	v_mov_b32_dpp v47, v43 row_shr:8 row_mask:0xf bank_mask:0xf
	v_cmp_lt_u32_e32 vcc, 7, v40
	s_and_saveexec_b64 s[26:27], vcc
; %bb.63:
	v_cmp_eq_u32_e32 vcc, 0, v44
	v_cndmask_b32_e32 v41, 0, v41, vcc
	v_add_u32_e32 v40, v46, v44
	v_cndmask_b32_e32 v44, 0, v47, vcc
	v_add_co_u32_e32 v42, vcc, v41, v42
	v_addc_co_u32_e32 v43, vcc, v44, v43, vcc
	v_mov_b32_e32 v44, v40
; %bb.64:
	s_or_b64 exec, exec, s[26:27]
	v_and_b32_e32 v47, 16, v45
	v_mov_b32_dpp v41, v44 row_bcast:15 row_mask:0xf bank_mask:0xf
	v_mov_b32_dpp v40, v42 row_bcast:15 row_mask:0xf bank_mask:0xf
	;; [unrolled: 1-line block ×3, first 2 shown]
	v_cmp_ne_u32_e32 vcc, 0, v47
	s_and_saveexec_b64 s[26:27], vcc
; %bb.65:
	v_cmp_eq_u32_e32 vcc, 0, v44
	v_cndmask_b32_e32 v40, 0, v40, vcc
	v_add_u32_e32 v41, v41, v44
	v_cndmask_b32_e32 v44, 0, v46, vcc
	v_add_co_u32_e32 v42, vcc, v40, v42
	v_addc_co_u32_e32 v43, vcc, v44, v43, vcc
	v_mov_b32_e32 v44, v41
; %bb.66:
	s_or_b64 exec, exec, s[26:27]
	s_nop 0
	v_mov_b32_dpp v41, v44 row_bcast:31 row_mask:0xf bank_mask:0xf
	v_mov_b32_dpp v40, v42 row_bcast:31 row_mask:0xf bank_mask:0xf
	;; [unrolled: 1-line block ×3, first 2 shown]
	v_cmp_lt_u32_e32 vcc, 31, v45
	s_and_saveexec_b64 s[26:27], vcc
; %bb.67:
	v_cmp_eq_u32_e32 vcc, 0, v44
	v_cndmask_b32_e32 v40, 0, v40, vcc
	v_add_u32_e32 v41, v41, v44
	v_cndmask_b32_e32 v44, 0, v46, vcc
	v_add_co_u32_e32 v42, vcc, v40, v42
	v_addc_co_u32_e32 v43, vcc, v44, v43, vcc
	v_mov_b32_e32 v44, v41
; %bb.68:
	s_or_b64 exec, exec, s[26:27]
	v_lshrrev_b32_e32 v40, 6, v0
	v_or_b32_e32 v41, 63, v0
	v_cmp_eq_u32_e32 vcc, v41, v0
	v_lshlrev_b32_e32 v46, 4, v40
	s_and_saveexec_b64 s[26:27], vcc
	s_cbranch_execz .LBB2073_70
; %bb.69:
	ds_write_b32 v46, v44 offset:1056
	ds_write_b64 v46, v[42:43] offset:1064
.LBB2073_70:
	s_or_b64 exec, exec, s[26:27]
	v_cmp_gt_u32_e32 vcc, 4, v0
	s_waitcnt lgkmcnt(0)
	s_barrier
	s_and_saveexec_b64 s[26:27], vcc
	s_cbranch_execz .LBB2073_76
; %bb.71:
	v_lshlrev_b32_e32 v47, 4, v0
	ds_read_b32 v48, v47 offset:1056
	ds_read_b64 v[40:41], v47 offset:1064
	v_and_b32_e32 v49, 3, v45
	v_cmp_ne_u32_e32 vcc, 0, v49
	s_waitcnt lgkmcnt(1)
	v_mov_b32_dpp v51, v48 row_shr:1 row_mask:0xf bank_mask:0xf
	s_waitcnt lgkmcnt(0)
	v_mov_b32_dpp v50, v40 row_shr:1 row_mask:0xf bank_mask:0xf
	v_mov_b32_dpp v52, v41 row_shr:1 row_mask:0xf bank_mask:0xf
	s_and_saveexec_b64 s[34:35], vcc
; %bb.72:
	v_cmp_eq_u32_e32 vcc, 0, v48
	v_cndmask_b32_e32 v50, 0, v50, vcc
	v_add_u32_e32 v51, v51, v48
	v_cndmask_b32_e32 v48, 0, v52, vcc
	v_add_co_u32_e32 v40, vcc, v50, v40
	v_addc_co_u32_e32 v41, vcc, v48, v41, vcc
	v_mov_b32_e32 v48, v51
; %bb.73:
	s_or_b64 exec, exec, s[34:35]
	s_nop 0
	v_mov_b32_dpp v51, v48 row_shr:2 row_mask:0xf bank_mask:0xf
	v_mov_b32_dpp v50, v40 row_shr:2 row_mask:0xf bank_mask:0xf
	;; [unrolled: 1-line block ×3, first 2 shown]
	v_cmp_lt_u32_e32 vcc, 1, v49
	s_and_saveexec_b64 s[34:35], vcc
; %bb.74:
	v_cmp_eq_u32_e32 vcc, 0, v48
	v_cndmask_b32_e32 v50, 0, v50, vcc
	v_add_u32_e32 v49, v51, v48
	v_cndmask_b32_e32 v48, 0, v52, vcc
	v_add_co_u32_e32 v40, vcc, v50, v40
	v_addc_co_u32_e32 v41, vcc, v48, v41, vcc
	v_mov_b32_e32 v48, v49
; %bb.75:
	s_or_b64 exec, exec, s[34:35]
	ds_write_b32 v47, v48 offset:1056
	ds_write_b64 v47, v[40:41] offset:1064
.LBB2073_76:
	s_or_b64 exec, exec, s[26:27]
	v_cmp_gt_u32_e32 vcc, 64, v0
	v_cmp_lt_u32_e64 s[26:27], 63, v0
	v_pk_mov_b32 v[40:41], 0, 0
	v_mov_b32_e32 v52, 0
	s_waitcnt lgkmcnt(0)
	s_barrier
	s_and_saveexec_b64 s[34:35], s[26:27]
	s_cbranch_execz .LBB2073_78
; %bb.77:
	ds_read_b32 v52, v46 offset:1040
	ds_read_b64 v[40:41], v46 offset:1048
	v_cmp_eq_u32_e64 s[26:27], 0, v44
	s_waitcnt lgkmcnt(1)
	v_add_u32_e32 v46, v52, v44
	s_waitcnt lgkmcnt(0)
	v_cndmask_b32_e64 v47, 0, v40, s[26:27]
	v_cndmask_b32_e64 v44, 0, v41, s[26:27]
	v_add_co_u32_e64 v42, s[26:27], v47, v42
	v_addc_co_u32_e64 v43, s[26:27], v44, v43, s[26:27]
	v_mov_b32_e32 v44, v46
.LBB2073_78:
	s_or_b64 exec, exec, s[34:35]
	v_add_u32_e32 v46, -1, v45
	v_and_b32_e32 v47, 64, v45
	v_cmp_lt_i32_e64 s[26:27], v46, v47
	v_cndmask_b32_e64 v46, v46, v45, s[26:27]
	v_lshlrev_b32_e32 v46, 2, v46
	ds_bpermute_b32 v53, v46, v44
	ds_bpermute_b32 v54, v46, v42
	;; [unrolled: 1-line block ×3, first 2 shown]
	v_cmp_eq_u32_e64 s[26:27], 0, v45
	s_and_saveexec_b64 s[34:35], vcc
	s_cbranch_execz .LBB2073_125
; %bb.79:
	v_mov_b32_e32 v47, 0
	ds_read_b32 v56, v47 offset:1104
	ds_read_b64 v[42:43], v47 offset:1112
	s_and_saveexec_b64 s[36:37], s[26:27]
	s_cbranch_execz .LBB2073_81
; %bb.80:
	s_add_i32 s46, s6, 64
	s_mov_b32 s47, 0
	s_lshl_b64 s[52:53], s[46:47], 4
	s_add_u32 s52, s40, s52
	s_addc_u32 s53, s41, s53
	v_mov_b32_e32 v44, s46
	v_mov_b32_e32 v46, 1
	s_waitcnt lgkmcnt(1)
	global_store_dword v47, v56, s[52:53]
	s_waitcnt lgkmcnt(0)
	global_store_dwordx2 v47, v[42:43], s[52:53] offset:8
	s_waitcnt vmcnt(0)
	buffer_wbinvl1_vol
	global_store_byte v44, v46, s[44:45]
.LBB2073_81:
	s_or_b64 exec, exec, s[36:37]
	v_xad_u32 v44, v45, -1, s6
	v_add_u32_e32 v46, 64, v44
	global_load_ubyte v57, v46, s[44:45] glc
	s_waitcnt vmcnt(0)
	v_cmp_eq_u16_e32 vcc, 0, v57
	s_and_saveexec_b64 s[36:37], vcc
	s_cbranch_execz .LBB2073_87
; %bb.82:
	v_mov_b32_e32 v49, s45
	v_add_co_u32_e32 v48, vcc, s44, v46
	v_addc_co_u32_e32 v49, vcc, 0, v49, vcc
	s_mov_b32 s7, 1
	s_mov_b64 s[46:47], 0
.LBB2073_83:                            ; =>This Loop Header: Depth=1
                                        ;     Child Loop BB2073_84 Depth 2
	s_max_u32 s52, s7, 1
.LBB2073_84:                            ;   Parent Loop BB2073_83 Depth=1
                                        ; =>  This Inner Loop Header: Depth=2
	s_add_i32 s52, s52, -1
	s_cmp_eq_u32 s52, 0
	s_sleep 1
	s_cbranch_scc0 .LBB2073_84
; %bb.85:                               ;   in Loop: Header=BB2073_83 Depth=1
	global_load_ubyte v57, v[48:49], off glc
	s_cmp_lt_u32 s7, 32
	s_cselect_b64 s[52:53], -1, 0
	s_cmp_lg_u64 s[52:53], 0
	s_addc_u32 s7, s7, 0
	s_waitcnt vmcnt(0)
	v_cmp_ne_u16_e32 vcc, 0, v57
	s_or_b64 s[46:47], vcc, s[46:47]
	s_andn2_b64 exec, exec, s[46:47]
	s_cbranch_execnz .LBB2073_83
; %bb.86:
	s_or_b64 exec, exec, s[46:47]
.LBB2073_87:
	s_or_b64 exec, exec, s[36:37]
	v_mov_b32_e32 v48, s43
	v_mov_b32_e32 v49, s41
	v_cmp_eq_u16_e32 vcc, 1, v57
	v_cndmask_b32_e32 v48, v48, v49, vcc
	v_mov_b32_e32 v49, s42
	v_mov_b32_e32 v50, s40
	v_cndmask_b32_e32 v49, v49, v50, vcc
	v_lshlrev_b64 v[46:47], 4, v[46:47]
	v_add_co_u32_e32 v46, vcc, v49, v46
	v_addc_co_u32_e32 v47, vcc, v48, v47, vcc
	s_waitcnt lgkmcnt(0)
	buffer_wbinvl1_vol
	global_load_dword v72, v[46:47], off
	global_load_dwordx2 v[50:51], v[46:47], off offset:8
	v_cmp_eq_u16_e32 vcc, 2, v57
	v_lshlrev_b64 v[46:47], v45, -1
	v_and_b32_e32 v58, 63, v45
	v_and_b32_e32 v48, vcc_hi, v47
	v_and_b32_e32 v62, vcc_lo, v46
	v_cmp_ne_u32_e32 vcc, 63, v58
	v_addc_co_u32_e32 v49, vcc, 0, v45, vcc
	v_lshlrev_b32_e32 v59, 2, v49
	v_or_b32_e32 v48, 0x80000000, v48
	v_ffbl_b32_e32 v48, v48
	v_add_u32_e32 v48, 32, v48
	v_ffbl_b32_e32 v62, v62
	v_min_u32_e32 v48, v62, v48
	v_cmp_lt_u32_e32 vcc, v58, v48
	s_waitcnt vmcnt(1)
	ds_bpermute_b32 v60, v59, v72
	s_waitcnt vmcnt(0)
	ds_bpermute_b32 v49, v59, v50
	ds_bpermute_b32 v61, v59, v51
	s_and_saveexec_b64 s[36:37], vcc
	s_cbranch_execz .LBB2073_89
; %bb.88:
	v_cmp_eq_u32_e32 vcc, 0, v72
	s_waitcnt lgkmcnt(1)
	v_cndmask_b32_e32 v49, 0, v49, vcc
	v_add_u32_e32 v60, v60, v72
	s_waitcnt lgkmcnt(0)
	v_cndmask_b32_e32 v61, 0, v61, vcc
	v_add_co_u32_e32 v50, vcc, v49, v50
	v_addc_co_u32_e32 v51, vcc, v61, v51, vcc
	v_mov_b32_e32 v72, v60
.LBB2073_89:
	s_or_b64 exec, exec, s[36:37]
	v_cmp_gt_u32_e32 vcc, 62, v58
	s_waitcnt lgkmcnt(1)
	v_cndmask_b32_e64 v49, 0, 1, vcc
	v_lshlrev_b32_e32 v49, 1, v49
	v_add_lshl_u32 v60, v49, v45, 2
	ds_bpermute_b32 v62, v60, v72
	ds_bpermute_b32 v49, v60, v50
	ds_bpermute_b32 v63, v60, v51
	s_waitcnt lgkmcnt(3)
	v_add_u32_e32 v61, 2, v58
	v_cmp_le_u32_e32 vcc, v61, v48
	s_and_saveexec_b64 s[36:37], vcc
	s_cbranch_execz .LBB2073_91
; %bb.90:
	v_cmp_eq_u32_e32 vcc, 0, v72
	s_waitcnt lgkmcnt(1)
	v_cndmask_b32_e32 v49, 0, v49, vcc
	v_add_u32_e32 v62, v62, v72
	s_waitcnt lgkmcnt(0)
	v_cndmask_b32_e32 v63, 0, v63, vcc
	v_add_co_u32_e32 v50, vcc, v49, v50
	v_addc_co_u32_e32 v51, vcc, v63, v51, vcc
	v_mov_b32_e32 v72, v62
.LBB2073_91:
	s_or_b64 exec, exec, s[36:37]
	v_cmp_gt_u32_e32 vcc, 60, v58
	s_waitcnt lgkmcnt(1)
	v_cndmask_b32_e64 v49, 0, 1, vcc
	v_lshlrev_b32_e32 v49, 2, v49
	v_add_lshl_u32 v62, v49, v45, 2
	ds_bpermute_b32 v64, v62, v72
	ds_bpermute_b32 v49, v62, v50
	ds_bpermute_b32 v65, v62, v51
	s_waitcnt lgkmcnt(3)
	v_add_u32_e32 v63, 4, v58
	v_cmp_le_u32_e32 vcc, v63, v48
	;; [unrolled: 25-line block ×4, first 2 shown]
	s_and_saveexec_b64 s[36:37], vcc
	s_cbranch_execz .LBB2073_97
; %bb.96:
	v_cmp_eq_u32_e32 vcc, 0, v72
	s_waitcnt lgkmcnt(1)
	v_cndmask_b32_e32 v49, 0, v49, vcc
	v_add_u32_e32 v68, v68, v72
	s_waitcnt lgkmcnt(0)
	v_cndmask_b32_e32 v69, 0, v69, vcc
	v_add_co_u32_e32 v50, vcc, v49, v50
	v_addc_co_u32_e32 v51, vcc, v69, v51, vcc
	v_mov_b32_e32 v72, v68
.LBB2073_97:
	s_or_b64 exec, exec, s[36:37]
	v_cmp_gt_u32_e32 vcc, 32, v58
	s_waitcnt lgkmcnt(1)
	v_cndmask_b32_e64 v49, 0, 1, vcc
	v_lshlrev_b32_e32 v49, 5, v49
	v_add_lshl_u32 v68, v49, v45, 2
	ds_bpermute_b32 v49, v68, v72
	ds_bpermute_b32 v45, v68, v50
	s_waitcnt lgkmcnt(2)
	ds_bpermute_b32 v69, v68, v51
	v_add_u32_e32 v70, 32, v58
	v_cmp_le_u32_e32 vcc, v70, v48
	s_and_saveexec_b64 s[36:37], vcc
	s_cbranch_execz .LBB2073_99
; %bb.98:
	v_cmp_eq_u32_e32 vcc, 0, v72
	s_waitcnt lgkmcnt(1)
	v_cndmask_b32_e32 v45, 0, v45, vcc
	v_add_u32_e32 v48, v49, v72
	s_waitcnt lgkmcnt(0)
	v_cndmask_b32_e32 v49, 0, v69, vcc
	v_add_co_u32_e32 v50, vcc, v45, v50
	v_addc_co_u32_e32 v51, vcc, v49, v51, vcc
	v_mov_b32_e32 v72, v48
.LBB2073_99:
	s_or_b64 exec, exec, s[36:37]
	s_waitcnt lgkmcnt(1)
	v_mov_b32_e32 v45, 0
	v_mov_b32_e32 v71, 2
	s_branch .LBB2073_101
.LBB2073_100:                           ;   in Loop: Header=BB2073_101 Depth=1
	s_or_b64 exec, exec, s[36:37]
	v_cmp_eq_u32_e32 vcc, 0, v69
	v_cndmask_b32_e32 v50, 0, v50, vcc
	v_cndmask_b32_e32 v51, 0, v51, vcc
	v_add_co_u32_e32 v50, vcc, v50, v48
	v_subrev_u32_e32 v44, 64, v44
	v_add_u32_e32 v72, v73, v69
	v_addc_co_u32_e32 v51, vcc, v51, v49, vcc
.LBB2073_101:                           ; =>This Loop Header: Depth=1
                                        ;     Child Loop BB2073_104 Depth 2
                                        ;       Child Loop BB2073_105 Depth 3
	v_cmp_ne_u16_sdwa s[36:37], v57, v71 src0_sel:BYTE_0 src1_sel:DWORD
	v_pk_mov_b32 v[48:49], v[50:51], v[50:51] op_sel:[0,1]
	v_cndmask_b32_e64 v50, 0, 1, s[36:37]
	;;#ASMSTART
	;;#ASMEND
	v_cmp_ne_u32_e32 vcc, 0, v50
	s_cmp_lg_u64 vcc, exec
	s_waitcnt lgkmcnt(0)
	v_mov_b32_e32 v69, v72
	s_cbranch_scc1 .LBB2073_120
; %bb.102:                              ;   in Loop: Header=BB2073_101 Depth=1
	global_load_ubyte v57, v44, s[44:45] glc
	s_waitcnt vmcnt(0)
	v_cmp_eq_u16_e32 vcc, 0, v57
	s_and_saveexec_b64 s[36:37], vcc
	s_cbranch_execz .LBB2073_108
; %bb.103:                              ;   in Loop: Header=BB2073_101 Depth=1
	v_mov_b32_e32 v51, s45
	v_add_co_u32_e32 v50, vcc, s44, v44
	v_addc_co_u32_e32 v51, vcc, 0, v51, vcc
	s_mov_b32 s7, 1
	s_mov_b64 s[46:47], 0
.LBB2073_104:                           ;   Parent Loop BB2073_101 Depth=1
                                        ; =>  This Loop Header: Depth=2
                                        ;       Child Loop BB2073_105 Depth 3
	s_max_u32 s52, s7, 1
.LBB2073_105:                           ;   Parent Loop BB2073_101 Depth=1
                                        ;     Parent Loop BB2073_104 Depth=2
                                        ; =>    This Inner Loop Header: Depth=3
	s_add_i32 s52, s52, -1
	s_cmp_eq_u32 s52, 0
	s_sleep 1
	s_cbranch_scc0 .LBB2073_105
; %bb.106:                              ;   in Loop: Header=BB2073_104 Depth=2
	global_load_ubyte v57, v[50:51], off glc
	s_cmp_lt_u32 s7, 32
	s_cselect_b64 s[52:53], -1, 0
	s_cmp_lg_u64 s[52:53], 0
	s_addc_u32 s7, s7, 0
	s_waitcnt vmcnt(0)
	v_cmp_ne_u16_e32 vcc, 0, v57
	s_or_b64 s[46:47], vcc, s[46:47]
	s_andn2_b64 exec, exec, s[46:47]
	s_cbranch_execnz .LBB2073_104
; %bb.107:                              ;   in Loop: Header=BB2073_101 Depth=1
	s_or_b64 exec, exec, s[46:47]
.LBB2073_108:                           ;   in Loop: Header=BB2073_101 Depth=1
	s_or_b64 exec, exec, s[36:37]
	v_mov_b32_e32 v50, s43
	v_mov_b32_e32 v51, s41
	v_cmp_eq_u16_e32 vcc, 1, v57
	v_cndmask_b32_e32 v72, v50, v51, vcc
	v_mov_b32_e32 v50, s42
	v_mov_b32_e32 v51, s40
	v_cndmask_b32_e32 v73, v50, v51, vcc
	v_lshlrev_b64 v[50:51], 4, v[44:45]
	v_add_co_u32_e32 v50, vcc, v73, v50
	v_addc_co_u32_e32 v51, vcc, v72, v51, vcc
	buffer_wbinvl1_vol
	global_load_dword v73, v[50:51], off
	s_nop 0
	global_load_dwordx2 v[50:51], v[50:51], off offset:8
	v_cmp_eq_u16_e32 vcc, 2, v57
	v_and_b32_e32 v72, vcc_hi, v47
	v_or_b32_e32 v72, 0x80000000, v72
	v_and_b32_e32 v95, vcc_lo, v46
	v_ffbl_b32_e32 v72, v72
	v_add_u32_e32 v72, 32, v72
	v_ffbl_b32_e32 v95, v95
	v_min_u32_e32 v72, v95, v72
	v_cmp_lt_u32_e32 vcc, v58, v72
	s_waitcnt vmcnt(1)
	ds_bpermute_b32 v77, v59, v73
	s_waitcnt vmcnt(0)
	ds_bpermute_b32 v76, v59, v50
	ds_bpermute_b32 v92, v59, v51
	s_and_saveexec_b64 s[36:37], vcc
	s_cbranch_execz .LBB2073_110
; %bb.109:                              ;   in Loop: Header=BB2073_101 Depth=1
	v_cmp_eq_u32_e32 vcc, 0, v73
	s_waitcnt lgkmcnt(1)
	v_cndmask_b32_e32 v76, 0, v76, vcc
	v_add_u32_e32 v77, v77, v73
	s_waitcnt lgkmcnt(0)
	v_cndmask_b32_e32 v73, 0, v92, vcc
	v_add_co_u32_e32 v50, vcc, v76, v50
	v_addc_co_u32_e32 v51, vcc, v73, v51, vcc
	v_mov_b32_e32 v73, v77
.LBB2073_110:                           ;   in Loop: Header=BB2073_101 Depth=1
	s_or_b64 exec, exec, s[36:37]
	s_waitcnt lgkmcnt(2)
	ds_bpermute_b32 v77, v60, v73
	s_waitcnt lgkmcnt(2)
	ds_bpermute_b32 v76, v60, v50
	s_waitcnt lgkmcnt(2)
	ds_bpermute_b32 v92, v60, v51
	v_cmp_le_u32_e32 vcc, v61, v72
	s_and_saveexec_b64 s[36:37], vcc
	s_cbranch_execz .LBB2073_112
; %bb.111:                              ;   in Loop: Header=BB2073_101 Depth=1
	v_cmp_eq_u32_e32 vcc, 0, v73
	s_waitcnt lgkmcnt(1)
	v_cndmask_b32_e32 v76, 0, v76, vcc
	v_add_u32_e32 v77, v77, v73
	s_waitcnt lgkmcnt(0)
	v_cndmask_b32_e32 v73, 0, v92, vcc
	v_add_co_u32_e32 v50, vcc, v76, v50
	v_addc_co_u32_e32 v51, vcc, v73, v51, vcc
	v_mov_b32_e32 v73, v77
.LBB2073_112:                           ;   in Loop: Header=BB2073_101 Depth=1
	s_or_b64 exec, exec, s[36:37]
	s_waitcnt lgkmcnt(2)
	ds_bpermute_b32 v77, v62, v73
	s_waitcnt lgkmcnt(2)
	ds_bpermute_b32 v76, v62, v50
	s_waitcnt lgkmcnt(2)
	ds_bpermute_b32 v92, v62, v51
	v_cmp_le_u32_e32 vcc, v63, v72
	;; [unrolled: 21-line block ×5, first 2 shown]
	s_and_saveexec_b64 s[36:37], vcc
	s_cbranch_execz .LBB2073_100
; %bb.119:                              ;   in Loop: Header=BB2073_101 Depth=1
	v_cmp_eq_u32_e32 vcc, 0, v73
	s_waitcnt lgkmcnt(1)
	v_cndmask_b32_e32 v76, 0, v76, vcc
	v_add_u32_e32 v72, v77, v73
	s_waitcnt lgkmcnt(0)
	v_cndmask_b32_e32 v73, 0, v92, vcc
	v_add_co_u32_e32 v50, vcc, v76, v50
	v_addc_co_u32_e32 v51, vcc, v73, v51, vcc
	v_mov_b32_e32 v73, v72
	s_branch .LBB2073_100
.LBB2073_120:                           ;   in Loop: Header=BB2073_101 Depth=1
                                        ; implicit-def: $vgpr50_vgpr51
                                        ; implicit-def: $vgpr72
                                        ; implicit-def: $vgpr57
	s_cbranch_execz .LBB2073_101
; %bb.121:
	s_and_saveexec_b64 s[36:37], s[26:27]
	s_cbranch_execz .LBB2073_123
; %bb.122:
	s_mov_b32 s7, 0
	v_cmp_eq_u32_e32 vcc, 0, v56
	s_add_i32 s6, s6, 64
	v_cndmask_b32_e32 v44, 0, v48, vcc
	s_lshl_b64 s[40:41], s[6:7], 4
	v_cndmask_b32_e32 v45, 0, v49, vcc
	v_add_co_u32_e32 v44, vcc, v44, v42
	s_add_u32 s40, s42, s40
	v_add_u32_e32 v46, v69, v56
	v_addc_co_u32_e32 v45, vcc, v45, v43, vcc
	s_addc_u32 s41, s43, s41
	v_mov_b32_e32 v47, 0
	global_store_dword v47, v46, s[40:41]
	global_store_dwordx2 v47, v[44:45], s[40:41] offset:8
	v_mov_b32_e32 v44, s6
	v_mov_b32_e32 v45, 2
	s_waitcnt vmcnt(0) lgkmcnt(0)
	buffer_wbinvl1_vol
	global_store_byte v44, v45, s[44:45]
	ds_write_b32 v47, v56 offset:1024
	ds_write_b64 v47, v[42:43] offset:1032
	ds_write_b32 v47, v69 offset:1040
	ds_write_b64 v47, v[48:49] offset:1048
.LBB2073_123:
	s_or_b64 exec, exec, s[36:37]
	v_cmp_eq_u32_e32 vcc, 0, v0
	s_and_b64 exec, exec, vcc
	s_cbranch_execz .LBB2073_125
; %bb.124:
	v_mov_b32_e32 v42, 0
	ds_write_b32 v42, v69 offset:1104
	ds_write_b64 v42, v[48:49] offset:1112
.LBB2073_125:
	s_or_b64 exec, exec, s[34:35]
	v_mov_b32_e32 v45, 0
	s_waitcnt lgkmcnt(0)
	s_barrier
	ds_read_b32 v44, v45 offset:1104
	ds_read_b64 v[42:43], v45 offset:1112
	v_cndmask_b32_e64 v46, v53, v52, s[26:27]
	v_cmp_eq_u32_e32 vcc, 0, v46
	v_cndmask_b32_e64 v40, v54, v40, s[26:27]
	v_cndmask_b32_e64 v41, v55, v41, s[26:27]
	s_waitcnt lgkmcnt(0)
	v_cndmask_b32_e32 v48, 0, v42, vcc
	v_cndmask_b32_e32 v47, 0, v43, vcc
	v_add_co_u32_e32 v40, vcc, v48, v40
	v_addc_co_u32_e32 v41, vcc, v47, v41, vcc
	v_cmp_eq_u32_e32 vcc, 0, v0
	v_cndmask_b32_e64 v46, v46, 0, vcc
	v_cndmask_b32_e32 v71, v41, v43, vcc
	v_cndmask_b32_e32 v70, v40, v42, vcc
	v_cmp_eq_u32_e32 vcc, 0, v91
	v_cndmask_b32_e32 v41, 0, v70, vcc
	v_add_u32_e32 v92, v44, v46
	v_cndmask_b32_e32 v40, 0, v71, vcc
	v_add_co_u32_e32 v46, vcc, v41, v18
	v_addc_co_u32_e32 v47, vcc, v40, v19, vcc
	v_cndmask_b32_e64 v41, 0, v46, s[24:25]
	v_cndmask_b32_e64 v40, 0, v47, s[24:25]
	v_add_co_u32_e32 v48, vcc, v41, v20
	v_addc_co_u32_e32 v49, vcc, v40, v21, vcc
	v_cndmask_b32_e64 v41, 0, v48, s[22:23]
	v_cndmask_b32_e64 v40, 0, v49, s[22:23]
	;; [unrolled: 4-line block ×11, first 2 shown]
	v_add_co_u32_e32 v68, vcc, v41, v2
	v_addc_co_u32_e32 v69, vcc, v40, v3, vcc
	s_barrier
	ds_read_b32 v40, v45 offset:1024
	ds_read_b64 v[42:43], v45 offset:1032
	ds_read_b32 v44, v45 offset:1040
	ds_read_b64 v[96:97], v45 offset:1048
	v_cndmask_b32_e64 v72, 0, v68, s[2:3]
	v_cndmask_b32_e64 v41, 0, v69, s[2:3]
	v_add_co_u32_e32 v72, vcc, v72, v26
	v_addc_co_u32_e32 v73, vcc, v41, v27, vcc
	s_waitcnt lgkmcnt(3)
	v_cmp_eq_u32_e32 vcc, 0, v40
	s_waitcnt lgkmcnt(0)
	v_cndmask_b32_e32 v45, 0, v96, vcc
	v_cndmask_b32_e32 v41, 0, v97, vcc
	v_add_co_u32_e32 v42, vcc, v45, v42
	v_cndmask_b32_e64 v77, 0, v73, s[0:1]
	v_cndmask_b32_e64 v76, 0, v72, s[0:1]
	v_addc_co_u32_e32 v43, vcc, v41, v43, vcc
	s_branch .LBB2073_154
.LBB2073_126:
                                        ; implicit-def: $vgpr40
                                        ; implicit-def: $vgpr42_vgpr43
                                        ; implicit-def: $vgpr44
                                        ; implicit-def: $vgpr70_vgpr71
                                        ; implicit-def: $vgpr46_vgpr47
                                        ; implicit-def: $vgpr48_vgpr49
                                        ; implicit-def: $vgpr50_vgpr51
                                        ; implicit-def: $vgpr52_vgpr53
                                        ; implicit-def: $vgpr54_vgpr55
                                        ; implicit-def: $vgpr56_vgpr57
                                        ; implicit-def: $vgpr58_vgpr59
                                        ; implicit-def: $vgpr60_vgpr61
                                        ; implicit-def: $vgpr62_vgpr63
                                        ; implicit-def: $vgpr64_vgpr65
                                        ; implicit-def: $vgpr66_vgpr67
                                        ; implicit-def: $vgpr68_vgpr69
                                        ; implicit-def: $vgpr72_vgpr73
                                        ; implicit-def: $vgpr76_vgpr77
                                        ; implicit-def: $vgpr92
	s_cbranch_execz .LBB2073_154
; %bb.127:
	s_and_b64 s[0:1], s[30:31], exec
	s_cselect_b32 s1, 0, s61
	s_cselect_b32 s0, 0, s60
	s_cmp_eq_u64 s[0:1], 0
	s_cbranch_scc1 .LBB2073_129
; %bb.128:
	v_mov_b32_e32 v40, 0
	global_load_dwordx2 v[74:75], v40, s[0:1]
.LBB2073_129:
	v_cmp_eq_u32_e64 s[22:23], 0, v89
	v_cndmask_b32_e64 v41, 0, v18, s[22:23]
	v_cndmask_b32_e64 v40, 0, v19, s[22:23]
	v_add_co_u32_e32 v41, vcc, v41, v20
	v_cmp_eq_u32_e64 s[20:21], 0, v90
	v_addc_co_u32_e32 v40, vcc, v40, v21, vcc
	v_cndmask_b32_e64 v41, 0, v41, s[20:21]
	v_cndmask_b32_e64 v40, 0, v40, s[20:21]
	v_add_co_u32_e32 v41, vcc, v41, v34
	v_cmp_eq_u32_e64 s[18:19], 0, v88
	v_addc_co_u32_e32 v40, vcc, v40, v35, vcc
	;; [unrolled: 5-line block ×11, first 2 shown]
	v_cndmask_b32_e64 v41, 0, v41, s[2:3]
	v_cndmask_b32_e64 v40, 0, v40, s[2:3]
	v_add_co_u32_e32 v41, vcc, v41, v26
	v_addc_co_u32_e32 v40, vcc, v40, v27, vcc
	v_cmp_eq_u32_e32 vcc, 0, v80
	v_cndmask_b32_e32 v41, 0, v41, vcc
	v_add3_u32 v42, v94, v82, v87
	v_cndmask_b32_e32 v40, 0, v40, vcc
	v_add_co_u32_e64 v41, s[24:25], v41, v4
	v_add3_u32 v42, v42, v86, v79
	v_addc_co_u32_e64 v40, s[24:25], v40, v5, s[24:25]
	v_add3_u32 v42, v42, v78, v84
	v_cmp_eq_u32_e64 s[24:25], 0, v81
	v_add3_u32 v42, v42, v83, v25
	v_cndmask_b32_e64 v41, 0, v41, s[24:25]
	v_add3_u32 v43, v42, v80, v81
	v_cndmask_b32_e64 v40, 0, v40, s[24:25]
	v_add_co_u32_e64 v38, s[24:25], v41, v38
	v_mbcnt_hi_u32_b32 v42, -1, v93
	v_addc_co_u32_e64 v39, s[24:25], v40, v39, s[24:25]
	v_and_b32_e32 v40, 15, v42
	v_mov_b32_dpp v44, v43 row_shr:1 row_mask:0xf bank_mask:0xf
	v_mov_b32_dpp v41, v38 row_shr:1 row_mask:0xf bank_mask:0xf
	;; [unrolled: 1-line block ×3, first 2 shown]
	v_cmp_ne_u32_e64 s[24:25], 0, v40
	s_and_saveexec_b64 s[26:27], s[24:25]
; %bb.130:
	v_cmp_eq_u32_e64 s[24:25], 0, v43
	v_cndmask_b32_e64 v41, 0, v41, s[24:25]
	v_add_u32_e32 v44, v44, v43
	v_cndmask_b32_e64 v43, 0, v45, s[24:25]
	v_add_co_u32_e64 v38, s[24:25], v41, v38
	v_addc_co_u32_e64 v39, s[24:25], v43, v39, s[24:25]
	v_mov_b32_e32 v43, v44
; %bb.131:
	s_or_b64 exec, exec, s[26:27]
	s_nop 0
	v_mov_b32_dpp v44, v43 row_shr:2 row_mask:0xf bank_mask:0xf
	v_mov_b32_dpp v41, v38 row_shr:2 row_mask:0xf bank_mask:0xf
	v_mov_b32_dpp v45, v39 row_shr:2 row_mask:0xf bank_mask:0xf
	v_cmp_lt_u32_e64 s[24:25], 1, v40
	s_and_saveexec_b64 s[26:27], s[24:25]
; %bb.132:
	v_cmp_eq_u32_e64 s[24:25], 0, v43
	v_cndmask_b32_e64 v41, 0, v41, s[24:25]
	v_add_u32_e32 v44, v44, v43
	v_cndmask_b32_e64 v43, 0, v45, s[24:25]
	v_add_co_u32_e64 v38, s[24:25], v41, v38
	v_addc_co_u32_e64 v39, s[24:25], v43, v39, s[24:25]
	v_mov_b32_e32 v43, v44
; %bb.133:
	s_or_b64 exec, exec, s[26:27]
	s_nop 0
	v_mov_b32_dpp v44, v43 row_shr:4 row_mask:0xf bank_mask:0xf
	v_mov_b32_dpp v41, v38 row_shr:4 row_mask:0xf bank_mask:0xf
	v_mov_b32_dpp v45, v39 row_shr:4 row_mask:0xf bank_mask:0xf
	v_cmp_lt_u32_e64 s[24:25], 3, v40
	;; [unrolled: 16-line block ×3, first 2 shown]
	s_and_saveexec_b64 s[26:27], s[24:25]
; %bb.136:
	v_cmp_eq_u32_e64 s[24:25], 0, v43
	v_cndmask_b32_e64 v41, 0, v41, s[24:25]
	v_add_u32_e32 v40, v44, v43
	v_cndmask_b32_e64 v43, 0, v45, s[24:25]
	v_add_co_u32_e64 v38, s[24:25], v41, v38
	v_addc_co_u32_e64 v39, s[24:25], v43, v39, s[24:25]
	v_mov_b32_e32 v43, v40
; %bb.137:
	s_or_b64 exec, exec, s[26:27]
	v_and_b32_e32 v45, 16, v42
	v_mov_b32_dpp v41, v43 row_bcast:15 row_mask:0xf bank_mask:0xf
	v_mov_b32_dpp v40, v38 row_bcast:15 row_mask:0xf bank_mask:0xf
	;; [unrolled: 1-line block ×3, first 2 shown]
	v_cmp_ne_u32_e64 s[24:25], 0, v45
	s_and_saveexec_b64 s[26:27], s[24:25]
; %bb.138:
	v_cmp_eq_u32_e64 s[24:25], 0, v43
	v_cndmask_b32_e64 v40, 0, v40, s[24:25]
	v_add_u32_e32 v41, v41, v43
	v_cndmask_b32_e64 v43, 0, v44, s[24:25]
	v_add_co_u32_e64 v38, s[24:25], v40, v38
	v_addc_co_u32_e64 v39, s[24:25], v43, v39, s[24:25]
	v_mov_b32_e32 v43, v41
; %bb.139:
	s_or_b64 exec, exec, s[26:27]
	s_nop 0
	v_mov_b32_dpp v41, v43 row_bcast:31 row_mask:0xf bank_mask:0xf
	v_mov_b32_dpp v40, v38 row_bcast:31 row_mask:0xf bank_mask:0xf
	;; [unrolled: 1-line block ×3, first 2 shown]
	v_cmp_lt_u32_e64 s[24:25], 31, v42
	s_and_saveexec_b64 s[26:27], s[24:25]
; %bb.140:
	v_cmp_eq_u32_e64 s[24:25], 0, v43
	v_cndmask_b32_e64 v40, 0, v40, s[24:25]
	v_add_u32_e32 v41, v41, v43
	v_cndmask_b32_e64 v43, 0, v44, s[24:25]
	v_add_co_u32_e64 v38, s[24:25], v40, v38
	v_addc_co_u32_e64 v39, s[24:25], v43, v39, s[24:25]
	v_mov_b32_e32 v43, v41
; %bb.141:
	s_or_b64 exec, exec, s[26:27]
	v_or_b32_e32 v40, 63, v0
	v_lshrrev_b32_e32 v45, 6, v0
	v_cmp_eq_u32_e64 s[24:25], v40, v0
	s_and_saveexec_b64 s[26:27], s[24:25]
	s_cbranch_execz .LBB2073_143
; %bb.142:
	v_lshlrev_b32_e32 v40, 4, v45
	ds_write_b32 v40, v43 offset:1056
	ds_write_b64 v40, v[38:39] offset:1064
.LBB2073_143:
	s_or_b64 exec, exec, s[26:27]
	v_cmp_gt_u32_e64 s[24:25], 4, v0
	s_waitcnt lgkmcnt(0)
	s_barrier
	s_and_saveexec_b64 s[26:27], s[24:25]
	s_cbranch_execz .LBB2073_149
; %bb.144:
	v_lshlrev_b32_e32 v44, 4, v0
	ds_read_b32 v46, v44 offset:1056
	ds_read_b64 v[40:41], v44 offset:1064
	v_and_b32_e32 v47, 3, v42
	v_cmp_ne_u32_e64 s[24:25], 0, v47
	s_waitcnt lgkmcnt(1)
	v_mov_b32_dpp v49, v46 row_shr:1 row_mask:0xf bank_mask:0xf
	s_waitcnt lgkmcnt(0)
	v_mov_b32_dpp v48, v40 row_shr:1 row_mask:0xf bank_mask:0xf
	v_mov_b32_dpp v50, v41 row_shr:1 row_mask:0xf bank_mask:0xf
	s_and_saveexec_b64 s[28:29], s[24:25]
; %bb.145:
	v_cmp_eq_u32_e64 s[24:25], 0, v46
	v_cndmask_b32_e64 v48, 0, v48, s[24:25]
	v_add_u32_e32 v49, v49, v46
	v_cndmask_b32_e64 v46, 0, v50, s[24:25]
	v_add_co_u32_e64 v40, s[24:25], v48, v40
	v_addc_co_u32_e64 v41, s[24:25], v46, v41, s[24:25]
	v_mov_b32_e32 v46, v49
; %bb.146:
	s_or_b64 exec, exec, s[28:29]
	s_nop 0
	v_mov_b32_dpp v49, v46 row_shr:2 row_mask:0xf bank_mask:0xf
	v_mov_b32_dpp v48, v40 row_shr:2 row_mask:0xf bank_mask:0xf
	;; [unrolled: 1-line block ×3, first 2 shown]
	v_cmp_lt_u32_e64 s[24:25], 1, v47
	s_and_saveexec_b64 s[28:29], s[24:25]
; %bb.147:
	v_cmp_eq_u32_e64 s[24:25], 0, v46
	v_cndmask_b32_e64 v48, 0, v48, s[24:25]
	v_add_u32_e32 v47, v49, v46
	v_cndmask_b32_e64 v46, 0, v50, s[24:25]
	v_add_co_u32_e64 v40, s[24:25], v48, v40
	v_addc_co_u32_e64 v41, s[24:25], v46, v41, s[24:25]
	v_mov_b32_e32 v46, v47
; %bb.148:
	s_or_b64 exec, exec, s[28:29]
	ds_write_b32 v44, v46 offset:1056
	ds_write_b64 v44, v[40:41] offset:1064
.LBB2073_149:
	s_or_b64 exec, exec, s[26:27]
	v_cmp_lt_u32_e64 s[24:25], 63, v0
	v_mov_b32_e32 v44, 0
	v_mov_b32_e32 v46, 0
	s_waitcnt vmcnt(0)
	v_pk_mov_b32 v[40:41], v[74:75], v[74:75] op_sel:[0,1]
	s_waitcnt lgkmcnt(0)
	s_barrier
	s_and_saveexec_b64 s[26:27], s[24:25]
	s_cbranch_execz .LBB2073_151
; %bb.150:
	v_lshlrev_b32_e32 v40, 4, v45
	ds_read_b32 v46, v40 offset:1040
	ds_read_b64 v[40:41], v40 offset:1048
	s_waitcnt lgkmcnt(1)
	v_cmp_eq_u32_e64 s[24:25], 0, v46
	v_cndmask_b32_e64 v47, 0, v74, s[24:25]
	v_cndmask_b32_e64 v45, 0, v75, s[24:25]
	s_waitcnt lgkmcnt(0)
	v_add_co_u32_e64 v40, s[24:25], v47, v40
	v_addc_co_u32_e64 v41, s[24:25], v45, v41, s[24:25]
.LBB2073_151:
	s_or_b64 exec, exec, s[26:27]
	v_cmp_eq_u32_e64 s[24:25], 0, v43
	v_cndmask_b32_e64 v47, 0, v40, s[24:25]
	v_add_u32_e32 v45, v46, v43
	v_cndmask_b32_e64 v43, 0, v41, s[24:25]
	v_add_co_u32_e64 v38, s[24:25], v47, v38
	v_addc_co_u32_e64 v39, s[24:25], v43, v39, s[24:25]
	v_add_u32_e32 v43, -1, v42
	v_and_b32_e32 v47, 64, v42
	v_cmp_lt_i32_e64 s[24:25], v43, v47
	v_cndmask_b32_e64 v43, v43, v42, s[24:25]
	v_lshlrev_b32_e32 v43, 2, v43
	ds_bpermute_b32 v45, v43, v45
	ds_bpermute_b32 v39, v43, v39
	;; [unrolled: 1-line block ×3, first 2 shown]
	v_cmp_eq_u32_e64 s[24:25], 0, v42
	v_cmp_eq_u32_e64 s[26:27], 0, v91
	s_waitcnt lgkmcnt(2)
	v_cndmask_b32_e64 v92, v45, v46, s[24:25]
	s_waitcnt lgkmcnt(1)
	v_cndmask_b32_e64 v71, v39, v41, s[24:25]
	;; [unrolled: 2-line block ×3, first 2 shown]
	v_cmp_eq_u32_e64 s[24:25], 0, v0
	v_cndmask_b32_e64 v38, v70, v74, s[24:25]
	v_cndmask_b32_e64 v39, v71, v75, s[24:25]
	;; [unrolled: 1-line block ×4, first 2 shown]
	v_add_co_u32_e64 v46, s[26:27], v38, v18
	v_addc_co_u32_e64 v47, s[26:27], v39, v19, s[26:27]
	v_cndmask_b32_e64 v19, 0, v46, s[22:23]
	v_cndmask_b32_e64 v18, 0, v47, s[22:23]
	v_add_co_u32_e64 v48, s[22:23], v19, v20
	v_addc_co_u32_e64 v49, s[22:23], v18, v21, s[22:23]
	v_cndmask_b32_e64 v19, 0, v48, s[20:21]
	v_cndmask_b32_e64 v18, 0, v49, s[20:21]
	;; [unrolled: 4-line block ×11, first 2 shown]
	v_add_co_u32_e64 v68, s[0:1], v11, v2
	v_addc_co_u32_e64 v69, s[0:1], v10, v3, s[0:1]
	v_cndmask_b32_e64 v3, 0, v68, s[2:3]
	ds_read_b32 v40, v44 offset:1104
	v_cndmask_b32_e64 v2, 0, v69, s[2:3]
	v_add_co_u32_e64 v72, s[0:1], v3, v26
	v_addc_co_u32_e64 v73, s[0:1], v2, v27, s[0:1]
	ds_read_b64 v[2:3], v44 offset:1112
	v_cndmask_b32_e32 v77, 0, v73, vcc
	v_cndmask_b32_e32 v76, 0, v72, vcc
	s_waitcnt lgkmcnt(1)
	v_cmp_eq_u32_e32 vcc, 0, v40
	v_cndmask_b32_e32 v11, 0, v74, vcc
	v_cndmask_b32_e32 v10, 0, v75, vcc
	s_waitcnt lgkmcnt(0)
	v_add_co_u32_e32 v42, vcc, v11, v2
	v_addc_co_u32_e32 v43, vcc, v10, v3, vcc
	s_and_saveexec_b64 s[0:1], s[24:25]
	s_cbranch_execz .LBB2073_153
; %bb.152:
	v_mov_b32_e32 v92, 0
	v_mov_b32_e32 v2, 2
	v_pk_mov_b32 v[70:71], v[74:75], v[74:75] op_sel:[0,1]
	global_store_dword v92, v40, s[42:43] offset:1024
	global_store_dwordx2 v92, v[42:43], s[42:43] offset:1032
	s_waitcnt vmcnt(0)
	buffer_wbinvl1_vol
	global_store_byte v92, v2, s[44:45] offset:64
.LBB2073_153:
	s_or_b64 exec, exec, s[0:1]
	v_mov_b32_e32 v44, 0
.LBB2073_154:
	s_and_b64 s[0:1], s[30:31], exec
	s_cselect_b32 s1, 0, s55
	s_cselect_b32 s0, 0, s54
	s_cmp_eq_u64 s[0:1], 0
	v_pk_mov_b32 v[10:11], 0, 0
	s_barrier
	s_cbranch_scc1 .LBB2073_156
; %bb.155:
	v_mov_b32_e32 v2, 0
	global_load_dwordx2 v[10:11], v2, s[0:1]
.LBB2073_156:
	s_waitcnt vmcnt(0)
	v_lshlrev_b64 v[2:3], 1, v[10:11]
	v_mov_b32_e32 v12, s57
	v_add_co_u32_e32 v13, vcc, s56, v2
	v_mov_b32_e32 v45, 0
	v_addc_co_u32_e32 v12, vcc, v12, v3, vcc
	v_lshlrev_b64 v[2:3], 1, v[44:45]
	v_add_co_u32_e32 v32, vcc, v13, v2
	v_addc_co_u32_e32 v33, vcc, v12, v3, vcc
	v_cmp_eq_u32_e32 vcc, 0, v91
	v_cndmask_b32_e64 v2, 1, 2, vcc
	v_cmp_eq_u32_e32 vcc, 0, v89
	v_cndmask_b32_e64 v3, 1, 2, vcc
	v_cmp_eq_u32_e32 vcc, 0, v90
	v_and_b32_e32 v2, v3, v2
	v_cndmask_b32_e64 v3, 1, 2, vcc
	v_cmp_eq_u32_e32 vcc, 0, v88
	v_add_u32_e32 v31, v92, v91
	v_and_b32_e32 v2, v2, v3
	v_cndmask_b32_e64 v3, 1, 2, vcc
	v_cmp_eq_u32_e32 vcc, 0, v85
	v_add_u32_e32 v30, v31, v89
	;; [unrolled: 4-line block ×12, first 2 shown]
	v_and_b32_e32 v2, v2, v3
	v_cndmask_b32_e64 v3, 1, 2, vcc
	s_movk_i32 s30, 0x100
	v_add_u32_e32 v15, v16, v25
	v_and_b32_e32 v2, v2, v3
	v_cmp_gt_u32_e32 vcc, s30, v40
	v_add_u32_e32 v14, v15, v80
	v_cmp_ne_u32_e64 s[28:29], 0, v91
	v_cmp_ne_u32_e64 s[26:27], 0, v89
	;; [unrolled: 1-line block ×15, first 2 shown]
	s_mov_b64 s[34:35], -1
	v_cmp_gt_i16_e64 s[30:31], 2, v2
	s_cbranch_vccz .LBB2073_163
; %bb.157:
	s_and_saveexec_b64 s[34:35], s[30:31]
	s_cbranch_execz .LBB2073_162
; %bb.158:
	v_cmp_ne_u16_e32 vcc, 1, v2
	s_mov_b64 s[36:37], 0
	s_and_saveexec_b64 s[30:31], vcc
	s_xor_b64 s[30:31], exec, s[30:31]
	s_cbranch_execnz .LBB2073_207
; %bb.159:
	s_andn2_saveexec_b64 s[30:31], s[30:31]
	s_cbranch_execnz .LBB2073_223
.LBB2073_160:
	s_or_b64 exec, exec, s[30:31]
	s_and_b64 exec, exec, s[36:37]
	s_cbranch_execz .LBB2073_162
.LBB2073_161:
	v_sub_u32_e32 v12, v14, v44
	v_mov_b32_e32 v13, 0
	v_lshlrev_b64 v[12:13], 1, v[12:13]
	v_add_co_u32_e32 v12, vcc, v32, v12
	v_addc_co_u32_e32 v13, vcc, v33, v13, vcc
	global_store_short v[12:13], v1, off
.LBB2073_162:
	s_or_b64 exec, exec, s[34:35]
	s_mov_b64 s[34:35], 0
.LBB2073_163:
	s_and_b64 vcc, exec, s[34:35]
	s_cbranch_vccz .LBB2073_185
; %bb.164:
	v_cmp_gt_i16_e32 vcc, 2, v2
	s_and_saveexec_b64 s[30:31], vcc
	s_cbranch_execz .LBB2073_169
; %bb.165:
	v_cmp_ne_u16_e32 vcc, 1, v2
	s_mov_b64 s[36:37], 0
	s_and_saveexec_b64 s[34:35], vcc
	s_xor_b64 s[34:35], exec, s[34:35]
	s_cbranch_execnz .LBB2073_224
; %bb.166:
	s_andn2_saveexec_b64 s[0:1], s[34:35]
	s_cbranch_execnz .LBB2073_240
.LBB2073_167:
	s_or_b64 exec, exec, s[0:1]
	s_and_b64 exec, exec, s[36:37]
	s_cbranch_execz .LBB2073_169
.LBB2073_168:
	v_sub_u32_e32 v2, v14, v44
	v_lshlrev_b32_e32 v2, 1, v2
	ds_write_b16 v2, v1
.LBB2073_169:
	s_or_b64 exec, exec, s[30:31]
	v_cmp_lt_u32_e32 vcc, v0, v40
	s_waitcnt lgkmcnt(0)
	s_barrier
	s_and_saveexec_b64 s[2:3], vcc
	s_cbranch_execz .LBB2073_184
; %bb.170:
	v_xad_u32 v1, v0, -1, v40
	s_movk_i32 s0, 0x1700
	v_cmp_gt_u32_e64 s[4:5], s0, v1
	s_movk_i32 s0, 0x16ff
	v_cmp_lt_u32_e32 vcc, s0, v1
	v_mov_b32_e32 v2, v0
	s_and_saveexec_b64 s[6:7], vcc
	s_cbranch_execz .LBB2073_181
; %bb.171:
	v_sub_u32_e32 v2, v0, v40
	v_or_b32_e32 v2, 0xff, v2
	v_cmp_ge_u32_e32 vcc, v2, v0
	s_mov_b64 s[0:1], -1
	v_mov_b32_e32 v2, v0
	s_and_saveexec_b64 s[8:9], vcc
	s_cbranch_execz .LBB2073_180
; %bb.172:
	v_lshrrev_b32_e32 v22, 8, v1
	v_add_u32_e32 v6, -3, v22
	v_or_b32_e32 v3, 0x300, v0
	v_or_b32_e32 v2, 0x200, v0
	v_lshrrev_b32_e32 v7, 2, v6
	v_or_b32_e32 v1, 0x100, v0
	v_add_u32_e32 v24, 1, v7
	v_cmp_lt_u32_e32 vcc, 11, v6
	v_pk_mov_b32 v[8:9], v[2:3], v[2:3] op_sel:[0,1]
	v_mov_b32_e32 v36, 0
	v_lshlrev_b32_e32 v23, 1, v0
	v_pk_mov_b32 v[6:7], v[0:1], v[0:1] op_sel:[0,1]
	s_and_saveexec_b64 s[10:11], vcc
	s_cbranch_execz .LBB2073_176
; %bb.173:
	v_pk_mov_b32 v[8:9], v[2:3], v[2:3] op_sel:[0,1]
	v_and_b32_e32 v34, 0x7ffffffc, v24
	s_mov_b32 s14, 0
	s_mov_b64 s[12:13], 0
	v_mov_b32_e32 v13, 0
	v_mov_b32_e32 v35, v23
	v_pk_mov_b32 v[6:7], v[0:1], v[0:1] op_sel:[0,1]
.LBB2073_174:                           ; =>This Inner Loop Header: Depth=1
	v_mov_b32_e32 v12, v6
	v_lshlrev_b64 v[104:105], 1, v[12:13]
	v_add_u32_e32 v38, 0x400, v7
	v_mov_b32_e32 v39, v13
	v_add_co_u32_e64 v104, s[0:1], v32, v104
	v_lshlrev_b64 v[38:39], 1, v[38:39]
	v_addc_co_u32_e64 v105, s[0:1], v33, v105, s[0:1]
	v_add_u32_e32 v36, 0x400, v8
	v_mov_b32_e32 v37, v13
	v_add_co_u32_e64 v38, s[0:1], v32, v38
	v_lshlrev_b64 v[106:107], 1, v[36:37]
	v_addc_co_u32_e64 v39, s[0:1], v33, v39, s[0:1]
	v_add_u32_e32 v2, 0x400, v9
	v_mov_b32_e32 v3, v13
	v_add_co_u32_e64 v106, s[0:1], v32, v106
	v_add_u32_e32 v34, -4, v34
	v_mov_b32_e32 v12, v7
	v_lshlrev_b64 v[2:3], 1, v[2:3]
	v_addc_co_u32_e64 v107, s[0:1], v33, v107, s[0:1]
	v_add_u32_e32 v96, 0x800, v7
	v_mov_b32_e32 v97, v13
	s_add_i32 s14, s14, 16
	v_cmp_eq_u32_e32 vcc, 0, v34
	v_lshlrev_b64 v[108:109], 1, v[12:13]
	v_add_co_u32_e64 v2, s[0:1], v32, v2
	v_lshlrev_b64 v[96:97], 1, v[96:97]
	v_mov_b32_e32 v12, v8
	v_addc_co_u32_e64 v3, s[0:1], v33, v3, s[0:1]
	s_or_b64 s[12:13], vcc, s[12:13]
	v_add_co_u32_e32 v108, vcc, v32, v108
	v_add_u32_e32 v94, 0x800, v8
	v_mov_b32_e32 v95, v13
	v_add_co_u32_e64 v96, s[0:1], v32, v96
	v_addc_co_u32_e32 v109, vcc, v33, v109, vcc
	v_lshlrev_b64 v[110:111], 1, v[12:13]
	v_lshlrev_b64 v[94:95], 1, v[94:95]
	v_addc_co_u32_e64 v97, s[0:1], v33, v97, s[0:1]
	v_mov_b32_e32 v12, v9
	v_add_co_u32_e32 v110, vcc, v32, v110
	ds_read_u16 v1, v35
	ds_read_u16 v41, v35 offset:512
	ds_read_u16 v93, v35 offset:1024
	;; [unrolled: 1-line block ×7, first 2 shown]
	v_add_u32_e32 v74, 0x800, v9
	v_mov_b32_e32 v75, v13
	v_add_co_u32_e64 v94, s[0:1], v32, v94
	v_addc_co_u32_e32 v111, vcc, v33, v111, vcc
	v_lshlrev_b64 v[112:113], 1, v[12:13]
	v_lshlrev_b64 v[74:75], 1, v[74:75]
	v_addc_co_u32_e64 v95, s[0:1], v33, v95, s[0:1]
	v_add_u32_e32 v12, 0x400, v6
	v_add_co_u32_e32 v112, vcc, v32, v112
	v_add_u32_e32 v102, 0xc00, v7
	v_mov_b32_e32 v103, v13
	ds_read_u16 v119, v35 offset:4096
	ds_read_u16 v120, v35 offset:4608
	;; [unrolled: 1-line block ×8, first 2 shown]
	v_add_co_u32_e64 v74, s[0:1], v32, v74
	v_addc_co_u32_e32 v113, vcc, v33, v113, vcc
	s_waitcnt lgkmcnt(14)
	global_store_short v[104:105], v1, off
	global_store_short v[108:109], v41, off
	s_waitcnt lgkmcnt(13)
	global_store_short v[110:111], v93, off
	v_lshlrev_b64 v[104:105], 1, v[12:13]
	v_lshlrev_b64 v[102:103], 1, v[102:103]
	v_addc_co_u32_e64 v75, s[0:1], v33, v75, s[0:1]
	v_add_u32_e32 v12, 0x800, v6
	v_add_co_u32_e32 v104, vcc, v32, v104
	v_add_u32_e32 v100, 0xc00, v8
	v_mov_b32_e32 v101, v13
	v_add_co_u32_e64 v102, s[0:1], v32, v102
	v_addc_co_u32_e32 v105, vcc, v33, v105, vcc
	v_lshlrev_b64 v[108:109], 1, v[12:13]
	v_lshlrev_b64 v[100:101], 1, v[100:101]
	v_addc_co_u32_e64 v103, s[0:1], v33, v103, s[0:1]
	s_waitcnt lgkmcnt(12)
	global_store_short v[112:113], v114, off
	v_add_u32_e32 v12, 0xc00, v6
	s_waitcnt lgkmcnt(11)
	global_store_short v[104:105], v115, off
	s_waitcnt lgkmcnt(10)
	global_store_short v[38:39], v116, off
	;; [unrolled: 2-line block ×4, first 2 shown]
	v_add_co_u32_e32 v2, vcc, v32, v108
	v_add_u32_e32 v98, 0xc00, v9
	v_mov_b32_e32 v99, v13
	v_add_co_u32_e64 v100, s[0:1], v32, v100
	v_addc_co_u32_e32 v3, vcc, v33, v109, vcc
	v_lshlrev_b64 v[38:39], 1, v[12:13]
	v_lshlrev_b64 v[98:99], 1, v[98:99]
	v_addc_co_u32_e64 v101, s[0:1], v33, v101, s[0:1]
	s_waitcnt lgkmcnt(7)
	global_store_short v[2:3], v119, off
	s_waitcnt lgkmcnt(6)
	global_store_short v[96:97], v120, off
	;; [unrolled: 2-line block ×4, first 2 shown]
	v_add_co_u32_e32 v2, vcc, v32, v38
	v_add_u32_e32 v35, 0x2000, v35
	v_add_u32_e32 v7, 0x1000, v7
	v_mov_b32_e32 v36, s14
	v_add_co_u32_e64 v98, s[0:1], v32, v98
	v_add_u32_e32 v8, 0x1000, v8
	v_add_u32_e32 v9, 0x1000, v9
	;; [unrolled: 1-line block ×3, first 2 shown]
	v_addc_co_u32_e32 v3, vcc, v33, v39, vcc
	v_addc_co_u32_e64 v99, s[0:1], v33, v99, s[0:1]
	s_waitcnt lgkmcnt(3)
	global_store_short v[2:3], v123, off
	s_waitcnt lgkmcnt(2)
	global_store_short v[102:103], v124, off
	;; [unrolled: 2-line block ×4, first 2 shown]
	s_andn2_b64 exec, exec, s[12:13]
	s_cbranch_execnz .LBB2073_174
; %bb.175:
	s_or_b64 exec, exec, s[12:13]
.LBB2073_176:
	s_or_b64 exec, exec, s[10:11]
	v_and_b32_e32 v1, 3, v24
	v_cmp_ne_u32_e32 vcc, 0, v1
	s_and_saveexec_b64 s[10:11], vcc
	s_cbranch_execz .LBB2073_179
; %bb.177:
	v_lshl_or_b32 v12, v36, 9, v23
	s_mov_b64 s[12:13], 0
	v_mov_b32_e32 v3, 0
.LBB2073_178:                           ; =>This Inner Loop Header: Depth=1
	v_mov_b32_e32 v2, v6
	v_add_u32_e32 v1, -1, v1
	v_lshlrev_b64 v[34:35], 1, v[2:3]
	v_mov_b32_e32 v2, v7
	v_cmp_eq_u32_e32 vcc, 0, v1
	v_lshlrev_b64 v[36:37], 1, v[2:3]
	ds_read_u16 v13, v12
	ds_read_u16 v23, v12 offset:512
	ds_read_u16 v24, v12 offset:1024
	;; [unrolled: 1-line block ×3, first 2 shown]
	v_mov_b32_e32 v2, v8
	s_or_b64 s[12:13], vcc, s[12:13]
	v_add_co_u32_e32 v36, vcc, v32, v36
	v_addc_co_u32_e32 v37, vcc, v33, v37, vcc
	v_lshlrev_b64 v[38:39], 1, v[2:3]
	v_mov_b32_e32 v2, v9
	v_add_co_u32_e32 v38, vcc, v32, v38
	v_add_co_u32_e64 v34, s[0:1], v32, v34
	v_addc_co_u32_e32 v39, vcc, v33, v39, vcc
	v_lshlrev_b64 v[74:75], 1, v[2:3]
	v_add_u32_e32 v6, 0x400, v6
	v_add_u32_e32 v12, 0x800, v12
	;; [unrolled: 1-line block ×3, first 2 shown]
	v_addc_co_u32_e64 v35, s[0:1], v33, v35, s[0:1]
	v_add_u32_e32 v8, 0x400, v8
	v_add_u32_e32 v9, 0x400, v9
	v_add_co_u32_e32 v74, vcc, v32, v74
	v_addc_co_u32_e32 v75, vcc, v33, v75, vcc
	s_waitcnt lgkmcnt(3)
	global_store_short v[34:35], v13, off
	s_waitcnt lgkmcnt(2)
	global_store_short v[36:37], v23, off
	;; [unrolled: 2-line block ×4, first 2 shown]
	s_andn2_b64 exec, exec, s[12:13]
	s_cbranch_execnz .LBB2073_178
.LBB2073_179:
	s_or_b64 exec, exec, s[10:11]
	v_add_u32_e32 v1, 1, v22
	v_and_b32_e32 v3, 0x1fffffc, v1
	v_cmp_ne_u32_e32 vcc, v1, v3
	v_lshl_or_b32 v2, v3, 8, v0
	s_orn2_b64 s[0:1], vcc, exec
.LBB2073_180:
	s_or_b64 exec, exec, s[8:9]
	s_andn2_b64 s[4:5], s[4:5], exec
	s_and_b64 s[0:1], s[0:1], exec
	s_or_b64 s[4:5], s[4:5], s[0:1]
.LBB2073_181:
	s_or_b64 exec, exec, s[6:7]
	s_and_b64 exec, exec, s[4:5]
	s_cbranch_execz .LBB2073_184
; %bb.182:
	v_lshlrev_b32_e32 v1, 1, v2
	s_mov_b64 s[0:1], 0
	v_mov_b32_e32 v3, 0
.LBB2073_183:                           ; =>This Inner Loop Header: Depth=1
	v_lshlrev_b64 v[6:7], 1, v[2:3]
	ds_read_u16 v8, v1
	v_add_co_u32_e32 v6, vcc, v32, v6
	v_add_u32_e32 v2, 0x100, v2
	v_addc_co_u32_e32 v7, vcc, v33, v7, vcc
	v_cmp_ge_u32_e32 vcc, v2, v40
	v_add_u32_e32 v1, 0x200, v1
	s_or_b64 s[0:1], vcc, s[0:1]
	s_waitcnt lgkmcnt(0)
	global_store_short v[6:7], v8, off
	s_andn2_b64 exec, exec, s[0:1]
	s_cbranch_execnz .LBB2073_183
.LBB2073_184:
	s_or_b64 exec, exec, s[2:3]
.LBB2073_185:
	v_add_co_u32_e32 v2, vcc, v76, v4
	s_cmpk_lg_i32 s33, 0xf00
	v_addc_co_u32_e32 v3, vcc, v77, v5, vcc
	s_cselect_b64 s[0:1], -1, 0
	v_cndmask_b32_e64 v8, 0, 1, s[50:51]
	s_and_b64 s[0:1], s[48:49], s[0:1]
	v_cmp_eq_u32_e32 vcc, 0, v0
	v_sub_u32_e32 v1, v40, v8
	v_cndmask_b32_e64 v4, 0, 1, s[0:1]
	s_and_b64 s[0:1], vcc, s[50:51]
	v_add_u32_e32 v1, v1, v4
	v_cndmask_b32_e64 v4, v91, 0, s[0:1]
	s_mul_hi_u32 s0, s33, 0x88888889
	s_lshr_b32 s0, s0, 3
	v_mad_i32_i24 v5, v0, -15, s33
	v_cmp_eq_u32_e32 vcc, s0, v0
	v_cmp_ne_u32_e64 s[0:1], 0, v5
	v_cndmask_b32_e64 v6, 1, v4, s[0:1]
	v_cmp_ne_u32_e64 s[0:1], 1, v5
	v_cndmask_b32_e64 v7, 1, v89, s[0:1]
	;; [unrolled: 2-line block ×15, first 2 shown]
	s_and_b64 vcc, s[48:49], vcc
	v_cndmask_b32_e32 v38, v81, v5, vcc
	v_cndmask_b32_e32 v39, v4, v6, vcc
	v_lshlrev_b64 v[4:5], 3, v[10:11]
	v_cndmask_b32_e32 v37, v80, v37, vcc
	v_cndmask_b32_e32 v25, v25, v36, vcc
	;; [unrolled: 1-line block ×13, first 2 shown]
	v_mov_b32_e32 v6, s59
	v_add_co_u32_e32 v7, vcc, s58, v4
	v_addc_co_u32_e32 v6, vcc, v6, v5, vcc
	v_lshlrev_b64 v[4:5], 3, v[44:45]
	v_add_co_u32_e32 v4, vcc, v7, v4
	v_addc_co_u32_e32 v5, vcc, v6, v5, vcc
	v_lshlrev_b32_e32 v6, 3, v8
	v_add_co_u32_e32 v6, vcc, v6, v4
	v_addc_co_u32_e32 v7, vcc, 0, v5, vcc
	v_add_co_u32_e32 v6, vcc, -8, v6
	v_addc_co_u32_e32 v7, vcc, -1, v7, vcc
	v_cmp_eq_u32_e32 vcc, 0, v39
	v_cmp_ne_u32_e64 s[28:29], 0, v39
	v_cndmask_b32_e64 v39, 1, 2, vcc
	v_cmp_eq_u32_e32 vcc, 0, v36
	v_cmp_ne_u32_e64 s[26:27], 0, v36
	v_cndmask_b32_e64 v36, 1, 2, vcc
	v_cmp_eq_u32_e32 vcc, 0, v9
	v_and_b32_e32 v36, v36, v39
	v_cmp_ne_u32_e64 s[24:25], 0, v9
	v_cndmask_b32_e64 v9, 1, 2, vcc
	v_cmp_eq_u32_e32 vcc, 0, v12
	v_and_b32_e32 v9, v36, v9
	;; [unrolled: 4-line block ×3, first 2 shown]
	v_cndmask_b32_e64 v12, 1, 2, vcc
	v_cmp_eq_u32_e32 vcc, 0, v22
	v_and_b32_e32 v9, v9, v12
	v_cndmask_b32_e64 v12, 1, 2, vcc
	v_cmp_eq_u32_e32 vcc, 0, v23
	v_and_b32_e32 v9, v9, v12
	;; [unrolled: 3-line block ×10, first 2 shown]
	v_cndmask_b32_e64 v12, 1, 2, vcc
	s_movk_i32 s30, 0x100
	v_and_b32_e32 v9, v9, v12
	v_cmp_gt_u32_e32 vcc, s30, v1
	v_add_u32_e32 v8, v44, v8
	v_cmp_ne_u32_e64 s[20:21], 0, v13
	v_cmp_ne_u32_e64 s[18:19], 0, v22
	;; [unrolled: 1-line block ×11, first 2 shown]
	s_mov_b64 s[34:35], -1
	v_cmp_gt_i16_e64 s[30:31], 2, v9
	s_barrier
	s_cbranch_vccz .LBB2073_192
; %bb.186:
	s_and_saveexec_b64 s[34:35], s[30:31]
	s_cbranch_execz .LBB2073_191
; %bb.187:
	v_cmp_ne_u16_e32 vcc, 1, v9
	s_mov_b64 s[36:37], 0
	s_and_saveexec_b64 s[30:31], vcc
	s_xor_b64 s[30:31], exec, s[30:31]
	s_cbranch_execnz .LBB2073_241
; %bb.188:
	s_andn2_saveexec_b64 s[30:31], s[30:31]
	s_cbranch_execnz .LBB2073_257
.LBB2073_189:
	s_or_b64 exec, exec, s[30:31]
	s_and_b64 exec, exec, s[36:37]
	s_cbranch_execz .LBB2073_191
.LBB2073_190:
	v_sub_u32_e32 v12, v14, v8
	v_mov_b32_e32 v13, 0
	v_lshlrev_b64 v[12:13], 3, v[12:13]
	v_add_co_u32_e32 v12, vcc, v6, v12
	v_addc_co_u32_e32 v13, vcc, v7, v13, vcc
	global_store_dwordx2 v[12:13], v[2:3], off
.LBB2073_191:
	s_or_b64 exec, exec, s[34:35]
	s_mov_b64 s[34:35], 0
.LBB2073_192:
	s_and_b64 vcc, exec, s[34:35]
	s_cbranch_vccz .LBB2073_202
; %bb.193:
	v_cmp_gt_i16_e32 vcc, 2, v9
	s_and_saveexec_b64 s[30:31], vcc
	s_cbranch_execz .LBB2073_198
; %bb.194:
	v_cmp_ne_u16_e32 vcc, 1, v9
	s_mov_b64 s[36:37], 0
	s_and_saveexec_b64 s[34:35], vcc
	s_xor_b64 s[34:35], exec, s[34:35]
	s_cbranch_execnz .LBB2073_258
; %bb.195:
	s_andn2_saveexec_b64 s[0:1], s[34:35]
	s_cbranch_execnz .LBB2073_274
.LBB2073_196:
	s_or_b64 exec, exec, s[0:1]
	s_and_b64 exec, exec, s[36:37]
	s_cbranch_execz .LBB2073_198
.LBB2073_197:
	v_sub_u32_e32 v8, v14, v8
	v_lshlrev_b32_e32 v8, 3, v8
	ds_write_b64 v8, v[2:3]
.LBB2073_198:
	s_or_b64 exec, exec, s[30:31]
	v_cmp_lt_u32_e32 vcc, v0, v1
	s_waitcnt lgkmcnt(0)
	s_barrier
	s_and_saveexec_b64 s[0:1], vcc
	s_cbranch_execz .LBB2073_201
; %bb.199:
	v_lshlrev_b32_e32 v8, 3, v0
	s_mov_b64 s[2:3], 0
	v_mov_b32_e32 v3, 0
	v_mov_b32_e32 v2, v0
.LBB2073_200:                           ; =>This Inner Loop Header: Depth=1
	v_lshlrev_b64 v[12:13], 3, v[2:3]
	ds_read_b64 v[14:15], v8
	v_add_co_u32_e32 v12, vcc, v6, v12
	v_add_u32_e32 v2, 0x100, v2
	v_addc_co_u32_e32 v13, vcc, v7, v13, vcc
	v_cmp_ge_u32_e32 vcc, v2, v1
	v_add_u32_e32 v8, 0x800, v8
	s_or_b64 s[2:3], vcc, s[2:3]
	s_waitcnt lgkmcnt(0)
	global_store_dwordx2 v[12:13], v[14:15], off
	s_andn2_b64 exec, exec, s[2:3]
	s_cbranch_execnz .LBB2073_200
.LBB2073_201:
	s_or_b64 exec, exec, s[0:1]
.LBB2073_202:
	s_movk_i32 s0, 0xff
	v_cmp_eq_u32_e32 vcc, s0, v0
	s_and_b64 s[0:1], vcc, s[48:49]
	s_and_saveexec_b64 s[2:3], s[0:1]
	s_cbranch_execz .LBB2073_205
; %bb.203:
	v_add_co_u32_e32 v0, vcc, v40, v44
	v_addc_co_u32_e64 v1, s[0:1], 0, 0, vcc
	v_add_co_u32_e32 v0, vcc, v0, v10
	v_mov_b32_e32 v41, 0
	v_addc_co_u32_e32 v1, vcc, v1, v11, vcc
	s_cmpk_lg_i32 s33, 0xf00
	global_store_dwordx2 v41, v[0:1], s[38:39]
	s_cbranch_scc1 .LBB2073_205
; %bb.204:
	v_lshlrev_b64 v[0:1], 3, v[40:41]
	v_add_co_u32_e32 v0, vcc, v4, v0
	v_addc_co_u32_e32 v1, vcc, v5, v1, vcc
	global_store_dwordx2 v[0:1], v[42:43], off offset:-8
.LBB2073_205:
	s_endpgm
.LBB2073_206:
	s_or_b64 exec, exec, s[2:3]
	v_mov_b32_e32 v91, s7
	s_and_saveexec_b64 s[0:1], s[4:5]
	s_cbranch_execnz .LBB2073_54
	s_branch .LBB2073_55
.LBB2073_207:
	s_and_saveexec_b64 s[36:37], s[28:29]
	s_cbranch_execnz .LBB2073_275
; %bb.208:
	s_or_b64 exec, exec, s[36:37]
	s_and_saveexec_b64 s[36:37], s[26:27]
	s_cbranch_execnz .LBB2073_276
.LBB2073_209:
	s_or_b64 exec, exec, s[36:37]
	s_and_saveexec_b64 s[36:37], s[24:25]
	s_cbranch_execnz .LBB2073_277
.LBB2073_210:
	s_or_b64 exec, exec, s[36:37]
	s_and_saveexec_b64 s[36:37], s[22:23]
	s_cbranch_execnz .LBB2073_278
.LBB2073_211:
	s_or_b64 exec, exec, s[36:37]
	s_and_saveexec_b64 s[36:37], s[20:21]
	s_cbranch_execnz .LBB2073_279
.LBB2073_212:
	s_or_b64 exec, exec, s[36:37]
	s_and_saveexec_b64 s[36:37], s[18:19]
	s_cbranch_execnz .LBB2073_280
.LBB2073_213:
	s_or_b64 exec, exec, s[36:37]
	s_and_saveexec_b64 s[36:37], s[16:17]
	s_cbranch_execnz .LBB2073_281
.LBB2073_214:
	s_or_b64 exec, exec, s[36:37]
	s_and_saveexec_b64 s[36:37], s[14:15]
	s_cbranch_execnz .LBB2073_282
.LBB2073_215:
	s_or_b64 exec, exec, s[36:37]
	s_and_saveexec_b64 s[36:37], s[12:13]
	s_cbranch_execnz .LBB2073_283
.LBB2073_216:
	s_or_b64 exec, exec, s[36:37]
	s_and_saveexec_b64 s[36:37], s[10:11]
	s_cbranch_execnz .LBB2073_284
.LBB2073_217:
	s_or_b64 exec, exec, s[36:37]
	s_and_saveexec_b64 s[36:37], s[8:9]
	s_cbranch_execnz .LBB2073_285
.LBB2073_218:
	s_or_b64 exec, exec, s[36:37]
	s_and_saveexec_b64 s[36:37], s[6:7]
	s_cbranch_execnz .LBB2073_286
.LBB2073_219:
	s_or_b64 exec, exec, s[36:37]
	s_and_saveexec_b64 s[36:37], s[4:5]
	s_cbranch_execnz .LBB2073_287
.LBB2073_220:
	s_or_b64 exec, exec, s[36:37]
	s_and_saveexec_b64 s[36:37], s[2:3]
	s_cbranch_execz .LBB2073_222
.LBB2073_221:
	v_sub_u32_e32 v12, v15, v44
	v_mov_b32_e32 v13, 0
	v_lshlrev_b64 v[12:13], 1, v[12:13]
	v_add_co_u32_e32 v12, vcc, v32, v12
	v_addc_co_u32_e32 v13, vcc, v33, v13, vcc
	global_store_short_d16_hi v[12:13], v24, off
.LBB2073_222:
	s_or_b64 exec, exec, s[36:37]
	s_and_b64 s[36:37], s[0:1], exec
	s_andn2_saveexec_b64 s[30:31], s[30:31]
	s_cbranch_execz .LBB2073_160
.LBB2073_223:
	v_sub_u32_e32 v12, v92, v44
	v_mov_b32_e32 v13, 0
	v_lshlrev_b64 v[34:35], 1, v[12:13]
	v_add_co_u32_e32 v34, vcc, v32, v34
	v_addc_co_u32_e32 v35, vcc, v33, v35, vcc
	v_sub_u32_e32 v12, v31, v44
	global_store_short v[34:35], v6, off
	v_lshlrev_b64 v[34:35], 1, v[12:13]
	v_add_co_u32_e32 v34, vcc, v32, v34
	v_addc_co_u32_e32 v35, vcc, v33, v35, vcc
	v_sub_u32_e32 v12, v30, v44
	global_store_short_d16_hi v[34:35], v6, off
	v_lshlrev_b64 v[34:35], 1, v[12:13]
	v_add_co_u32_e32 v34, vcc, v32, v34
	v_addc_co_u32_e32 v35, vcc, v33, v35, vcc
	v_sub_u32_e32 v12, v29, v44
	global_store_short v[34:35], v7, off
	v_lshlrev_b64 v[34:35], 1, v[12:13]
	v_add_co_u32_e32 v34, vcc, v32, v34
	v_addc_co_u32_e32 v35, vcc, v33, v35, vcc
	v_sub_u32_e32 v12, v28, v44
	global_store_short_d16_hi v[34:35], v7, off
	;; [unrolled: 10-line block ×6, first 2 shown]
	v_lshlrev_b64 v[34:35], 1, v[12:13]
	v_add_co_u32_e32 v34, vcc, v32, v34
	v_sub_u32_e32 v12, v15, v44
	v_addc_co_u32_e32 v35, vcc, v33, v35, vcc
	v_lshlrev_b64 v[12:13], 1, v[12:13]
	v_add_co_u32_e32 v12, vcc, v32, v12
	v_addc_co_u32_e32 v13, vcc, v33, v13, vcc
	s_or_b64 s[36:37], s[36:37], exec
	global_store_short v[34:35], v24, off
	global_store_short_d16_hi v[12:13], v24, off
	s_or_b64 exec, exec, s[30:31]
	s_and_b64 exec, exec, s[36:37]
	s_cbranch_execnz .LBB2073_161
	s_branch .LBB2073_162
.LBB2073_224:
	s_and_saveexec_b64 s[36:37], s[28:29]
	s_cbranch_execnz .LBB2073_288
; %bb.225:
	s_or_b64 exec, exec, s[36:37]
	s_and_saveexec_b64 s[28:29], s[26:27]
	s_cbranch_execnz .LBB2073_289
.LBB2073_226:
	s_or_b64 exec, exec, s[28:29]
	s_and_saveexec_b64 s[26:27], s[24:25]
	s_cbranch_execnz .LBB2073_290
.LBB2073_227:
	s_or_b64 exec, exec, s[26:27]
	s_and_saveexec_b64 s[24:25], s[22:23]
	s_cbranch_execnz .LBB2073_291
.LBB2073_228:
	s_or_b64 exec, exec, s[24:25]
	s_and_saveexec_b64 s[22:23], s[20:21]
	s_cbranch_execnz .LBB2073_292
.LBB2073_229:
	s_or_b64 exec, exec, s[22:23]
	s_and_saveexec_b64 s[20:21], s[18:19]
	s_cbranch_execnz .LBB2073_293
.LBB2073_230:
	s_or_b64 exec, exec, s[20:21]
	s_and_saveexec_b64 s[18:19], s[16:17]
	s_cbranch_execnz .LBB2073_294
.LBB2073_231:
	s_or_b64 exec, exec, s[18:19]
	s_and_saveexec_b64 s[16:17], s[14:15]
	s_cbranch_execnz .LBB2073_295
.LBB2073_232:
	s_or_b64 exec, exec, s[16:17]
	s_and_saveexec_b64 s[14:15], s[12:13]
	s_cbranch_execnz .LBB2073_296
.LBB2073_233:
	s_or_b64 exec, exec, s[14:15]
	s_and_saveexec_b64 s[12:13], s[10:11]
	s_cbranch_execnz .LBB2073_297
.LBB2073_234:
	s_or_b64 exec, exec, s[12:13]
	s_and_saveexec_b64 s[10:11], s[8:9]
	s_cbranch_execnz .LBB2073_298
.LBB2073_235:
	s_or_b64 exec, exec, s[10:11]
	s_and_saveexec_b64 s[8:9], s[6:7]
	s_cbranch_execnz .LBB2073_299
.LBB2073_236:
	s_or_b64 exec, exec, s[8:9]
	s_and_saveexec_b64 s[6:7], s[4:5]
	s_cbranch_execnz .LBB2073_300
.LBB2073_237:
	s_or_b64 exec, exec, s[6:7]
	s_and_saveexec_b64 s[4:5], s[2:3]
	s_cbranch_execz .LBB2073_239
.LBB2073_238:
	v_sub_u32_e32 v2, v15, v44
	v_lshlrev_b32_e32 v2, 1, v2
	ds_write_b16_d16_hi v2, v24
.LBB2073_239:
	s_or_b64 exec, exec, s[4:5]
	s_and_b64 s[36:37], s[0:1], exec
                                        ; implicit-def: $vgpr6
                                        ; implicit-def: $vgpr22
	s_andn2_saveexec_b64 s[0:1], s[34:35]
	s_cbranch_execz .LBB2073_167
.LBB2073_240:
	v_sub_u32_e32 v2, v92, v44
	v_lshlrev_b32_e32 v2, 1, v2
	ds_write_b16 v2, v6
	v_sub_u32_e32 v2, v31, v44
	v_lshlrev_b32_e32 v2, 1, v2
	ds_write_b16_d16_hi v2, v6
	v_sub_u32_e32 v2, v30, v44
	v_lshlrev_b32_e32 v2, 1, v2
	ds_write_b16 v2, v7
	v_sub_u32_e32 v2, v29, v44
	v_lshlrev_b32_e32 v2, 1, v2
	ds_write_b16_d16_hi v2, v7
	;; [unrolled: 6-line block ×6, first 2 shown]
	v_sub_u32_e32 v2, v16, v44
	v_lshlrev_b32_e32 v2, 1, v2
	ds_write_b16 v2, v24
	v_sub_u32_e32 v2, v15, v44
	v_lshlrev_b32_e32 v2, 1, v2
	s_or_b64 s[36:37], s[36:37], exec
	ds_write_b16_d16_hi v2, v24
	s_or_b64 exec, exec, s[0:1]
	s_and_b64 exec, exec, s[36:37]
	s_cbranch_execnz .LBB2073_168
	s_branch .LBB2073_169
.LBB2073_241:
	s_and_saveexec_b64 s[36:37], s[28:29]
	s_cbranch_execnz .LBB2073_301
; %bb.242:
	s_or_b64 exec, exec, s[36:37]
	s_and_saveexec_b64 s[36:37], s[26:27]
	s_cbranch_execnz .LBB2073_302
.LBB2073_243:
	s_or_b64 exec, exec, s[36:37]
	s_and_saveexec_b64 s[36:37], s[24:25]
	s_cbranch_execnz .LBB2073_303
.LBB2073_244:
	s_or_b64 exec, exec, s[36:37]
	s_and_saveexec_b64 s[36:37], s[22:23]
	s_cbranch_execnz .LBB2073_304
.LBB2073_245:
	s_or_b64 exec, exec, s[36:37]
	s_and_saveexec_b64 s[36:37], s[20:21]
	s_cbranch_execnz .LBB2073_305
.LBB2073_246:
	s_or_b64 exec, exec, s[36:37]
	s_and_saveexec_b64 s[36:37], s[18:19]
	s_cbranch_execnz .LBB2073_306
.LBB2073_247:
	s_or_b64 exec, exec, s[36:37]
	s_and_saveexec_b64 s[36:37], s[16:17]
	s_cbranch_execnz .LBB2073_307
.LBB2073_248:
	s_or_b64 exec, exec, s[36:37]
	s_and_saveexec_b64 s[36:37], s[14:15]
	s_cbranch_execnz .LBB2073_308
.LBB2073_249:
	s_or_b64 exec, exec, s[36:37]
	s_and_saveexec_b64 s[36:37], s[12:13]
	s_cbranch_execnz .LBB2073_309
.LBB2073_250:
	s_or_b64 exec, exec, s[36:37]
	s_and_saveexec_b64 s[36:37], s[10:11]
	s_cbranch_execnz .LBB2073_310
.LBB2073_251:
	s_or_b64 exec, exec, s[36:37]
	s_and_saveexec_b64 s[36:37], s[8:9]
	s_cbranch_execnz .LBB2073_311
.LBB2073_252:
	s_or_b64 exec, exec, s[36:37]
	s_and_saveexec_b64 s[36:37], s[6:7]
	s_cbranch_execnz .LBB2073_312
.LBB2073_253:
	s_or_b64 exec, exec, s[36:37]
	s_and_saveexec_b64 s[36:37], s[4:5]
	s_cbranch_execnz .LBB2073_313
.LBB2073_254:
	s_or_b64 exec, exec, s[36:37]
	s_and_saveexec_b64 s[36:37], s[2:3]
	s_cbranch_execz .LBB2073_256
.LBB2073_255:
	v_sub_u32_e32 v12, v15, v8
	v_mov_b32_e32 v13, 0
	v_lshlrev_b64 v[12:13], 3, v[12:13]
	v_add_co_u32_e32 v12, vcc, v6, v12
	v_addc_co_u32_e32 v13, vcc, v7, v13, vcc
	global_store_dwordx2 v[12:13], v[72:73], off
.LBB2073_256:
	s_or_b64 exec, exec, s[36:37]
	s_and_b64 s[36:37], s[0:1], exec
	s_andn2_saveexec_b64 s[30:31], s[30:31]
	s_cbranch_execz .LBB2073_189
.LBB2073_257:
	v_sub_u32_e32 v12, v92, v8
	v_mov_b32_e32 v13, 0
	v_lshlrev_b64 v[22:23], 3, v[12:13]
	v_add_co_u32_e32 v22, vcc, v6, v22
	v_addc_co_u32_e32 v23, vcc, v7, v23, vcc
	v_sub_u32_e32 v12, v31, v8
	global_store_dwordx2 v[22:23], v[70:71], off
	v_lshlrev_b64 v[22:23], 3, v[12:13]
	v_add_co_u32_e32 v22, vcc, v6, v22
	v_addc_co_u32_e32 v23, vcc, v7, v23, vcc
	v_sub_u32_e32 v12, v30, v8
	global_store_dwordx2 v[22:23], v[46:47], off
	;; [unrolled: 5-line block ×12, first 2 shown]
	v_lshlrev_b64 v[22:23], 3, v[12:13]
	v_add_co_u32_e32 v22, vcc, v6, v22
	v_sub_u32_e32 v12, v15, v8
	v_addc_co_u32_e32 v23, vcc, v7, v23, vcc
	v_lshlrev_b64 v[12:13], 3, v[12:13]
	v_add_co_u32_e32 v12, vcc, v6, v12
	v_addc_co_u32_e32 v13, vcc, v7, v13, vcc
	s_or_b64 s[36:37], s[36:37], exec
	global_store_dwordx2 v[22:23], v[68:69], off
	global_store_dwordx2 v[12:13], v[72:73], off
	s_or_b64 exec, exec, s[30:31]
	s_and_b64 exec, exec, s[36:37]
	s_cbranch_execnz .LBB2073_190
	s_branch .LBB2073_191
.LBB2073_258:
	s_and_saveexec_b64 s[36:37], s[28:29]
	s_cbranch_execnz .LBB2073_314
; %bb.259:
	s_or_b64 exec, exec, s[36:37]
	s_and_saveexec_b64 s[28:29], s[26:27]
	s_cbranch_execnz .LBB2073_315
.LBB2073_260:
	s_or_b64 exec, exec, s[28:29]
	s_and_saveexec_b64 s[26:27], s[24:25]
	s_cbranch_execnz .LBB2073_316
.LBB2073_261:
	s_or_b64 exec, exec, s[26:27]
	s_and_saveexec_b64 s[24:25], s[22:23]
	s_cbranch_execnz .LBB2073_317
.LBB2073_262:
	s_or_b64 exec, exec, s[24:25]
	s_and_saveexec_b64 s[22:23], s[20:21]
	s_cbranch_execnz .LBB2073_318
.LBB2073_263:
	s_or_b64 exec, exec, s[22:23]
	s_and_saveexec_b64 s[20:21], s[18:19]
	s_cbranch_execnz .LBB2073_319
.LBB2073_264:
	s_or_b64 exec, exec, s[20:21]
	s_and_saveexec_b64 s[18:19], s[16:17]
	s_cbranch_execnz .LBB2073_320
.LBB2073_265:
	s_or_b64 exec, exec, s[18:19]
	s_and_saveexec_b64 s[16:17], s[14:15]
	s_cbranch_execnz .LBB2073_321
.LBB2073_266:
	s_or_b64 exec, exec, s[16:17]
	s_and_saveexec_b64 s[14:15], s[12:13]
	s_cbranch_execnz .LBB2073_322
.LBB2073_267:
	s_or_b64 exec, exec, s[14:15]
	s_and_saveexec_b64 s[12:13], s[10:11]
	s_cbranch_execnz .LBB2073_323
.LBB2073_268:
	s_or_b64 exec, exec, s[12:13]
	s_and_saveexec_b64 s[10:11], s[8:9]
	s_cbranch_execnz .LBB2073_324
.LBB2073_269:
	s_or_b64 exec, exec, s[10:11]
	s_and_saveexec_b64 s[8:9], s[6:7]
	s_cbranch_execnz .LBB2073_325
.LBB2073_270:
	s_or_b64 exec, exec, s[8:9]
	s_and_saveexec_b64 s[6:7], s[4:5]
	s_cbranch_execnz .LBB2073_326
.LBB2073_271:
	s_or_b64 exec, exec, s[6:7]
	s_and_saveexec_b64 s[4:5], s[2:3]
	s_cbranch_execz .LBB2073_273
.LBB2073_272:
	v_sub_u32_e32 v9, v15, v8
	v_lshlrev_b32_e32 v9, 3, v9
	ds_write_b64 v9, v[72:73]
.LBB2073_273:
	s_or_b64 exec, exec, s[4:5]
	s_and_b64 s[36:37], s[0:1], exec
                                        ; implicit-def: $vgpr70_vgpr71
                                        ; implicit-def: $vgpr46_vgpr47
                                        ; implicit-def: $vgpr48_vgpr49
                                        ; implicit-def: $vgpr50_vgpr51
                                        ; implicit-def: $vgpr52_vgpr53
                                        ; implicit-def: $vgpr54_vgpr55
                                        ; implicit-def: $vgpr56_vgpr57
                                        ; implicit-def: $vgpr58_vgpr59
                                        ; implicit-def: $vgpr60_vgpr61
                                        ; implicit-def: $vgpr62_vgpr63
                                        ; implicit-def: $vgpr64_vgpr65
                                        ; implicit-def: $vgpr66_vgpr67
                                        ; implicit-def: $vgpr68_vgpr69
                                        ; implicit-def: $vgpr72_vgpr73
                                        ; implicit-def: $vgpr92
                                        ; implicit-def: $vgpr31
                                        ; implicit-def: $vgpr30
                                        ; implicit-def: $vgpr29
                                        ; implicit-def: $vgpr28
                                        ; implicit-def: $vgpr27
                                        ; implicit-def: $vgpr26
                                        ; implicit-def: $vgpr21
                                        ; implicit-def: $vgpr20
                                        ; implicit-def: $vgpr19
                                        ; implicit-def: $vgpr18
                                        ; implicit-def: $vgpr17
                                        ; implicit-def: $vgpr16
                                        ; implicit-def: $vgpr15
	s_andn2_saveexec_b64 s[0:1], s[34:35]
	s_cbranch_execz .LBB2073_196
.LBB2073_274:
	v_sub_u32_e32 v9, v92, v8
	v_lshlrev_b32_e32 v9, 3, v9
	ds_write_b64 v9, v[70:71]
	v_sub_u32_e32 v9, v31, v8
	v_lshlrev_b32_e32 v9, 3, v9
	ds_write_b64 v9, v[46:47]
	;; [unrolled: 3-line block ×13, first 2 shown]
	v_sub_u32_e32 v9, v15, v8
	v_lshlrev_b32_e32 v9, 3, v9
	s_or_b64 s[36:37], s[36:37], exec
	ds_write_b64 v9, v[72:73]
	s_or_b64 exec, exec, s[0:1]
	s_and_b64 exec, exec, s[36:37]
	s_cbranch_execnz .LBB2073_197
	s_branch .LBB2073_198
.LBB2073_275:
	v_sub_u32_e32 v12, v92, v44
	v_mov_b32_e32 v13, 0
	v_lshlrev_b64 v[12:13], 1, v[12:13]
	v_add_co_u32_e32 v12, vcc, v32, v12
	v_addc_co_u32_e32 v13, vcc, v33, v13, vcc
	global_store_short v[12:13], v6, off
	s_or_b64 exec, exec, s[36:37]
	s_and_saveexec_b64 s[36:37], s[26:27]
	s_cbranch_execz .LBB2073_209
.LBB2073_276:
	v_sub_u32_e32 v12, v31, v44
	v_mov_b32_e32 v13, 0
	v_lshlrev_b64 v[12:13], 1, v[12:13]
	v_add_co_u32_e32 v12, vcc, v32, v12
	v_addc_co_u32_e32 v13, vcc, v33, v13, vcc
	global_store_short_d16_hi v[12:13], v6, off
	s_or_b64 exec, exec, s[36:37]
	s_and_saveexec_b64 s[36:37], s[24:25]
	s_cbranch_execz .LBB2073_210
.LBB2073_277:
	v_sub_u32_e32 v12, v30, v44
	v_mov_b32_e32 v13, 0
	v_lshlrev_b64 v[12:13], 1, v[12:13]
	v_add_co_u32_e32 v12, vcc, v32, v12
	v_addc_co_u32_e32 v13, vcc, v33, v13, vcc
	global_store_short v[12:13], v7, off
	s_or_b64 exec, exec, s[36:37]
	s_and_saveexec_b64 s[36:37], s[22:23]
	s_cbranch_execz .LBB2073_211
.LBB2073_278:
	v_sub_u32_e32 v12, v29, v44
	v_mov_b32_e32 v13, 0
	v_lshlrev_b64 v[12:13], 1, v[12:13]
	v_add_co_u32_e32 v12, vcc, v32, v12
	v_addc_co_u32_e32 v13, vcc, v33, v13, vcc
	global_store_short_d16_hi v[12:13], v7, off
	s_or_b64 exec, exec, s[36:37]
	s_and_saveexec_b64 s[36:37], s[20:21]
	s_cbranch_execz .LBB2073_212
.LBB2073_279:
	v_sub_u32_e32 v12, v28, v44
	v_mov_b32_e32 v13, 0
	v_lshlrev_b64 v[12:13], 1, v[12:13]
	v_add_co_u32_e32 v12, vcc, v32, v12
	v_addc_co_u32_e32 v13, vcc, v33, v13, vcc
	global_store_short v[12:13], v8, off
	s_or_b64 exec, exec, s[36:37]
	s_and_saveexec_b64 s[36:37], s[18:19]
	s_cbranch_execz .LBB2073_213
.LBB2073_280:
	v_sub_u32_e32 v12, v27, v44
	v_mov_b32_e32 v13, 0
	v_lshlrev_b64 v[12:13], 1, v[12:13]
	v_add_co_u32_e32 v12, vcc, v32, v12
	v_addc_co_u32_e32 v13, vcc, v33, v13, vcc
	global_store_short_d16_hi v[12:13], v8, off
	s_or_b64 exec, exec, s[36:37]
	s_and_saveexec_b64 s[36:37], s[16:17]
	s_cbranch_execz .LBB2073_214
.LBB2073_281:
	v_sub_u32_e32 v12, v26, v44
	v_mov_b32_e32 v13, 0
	v_lshlrev_b64 v[12:13], 1, v[12:13]
	v_add_co_u32_e32 v12, vcc, v32, v12
	v_addc_co_u32_e32 v13, vcc, v33, v13, vcc
	global_store_short v[12:13], v9, off
	s_or_b64 exec, exec, s[36:37]
	s_and_saveexec_b64 s[36:37], s[14:15]
	s_cbranch_execz .LBB2073_215
.LBB2073_282:
	v_sub_u32_e32 v12, v21, v44
	v_mov_b32_e32 v13, 0
	v_lshlrev_b64 v[12:13], 1, v[12:13]
	v_add_co_u32_e32 v12, vcc, v32, v12
	v_addc_co_u32_e32 v13, vcc, v33, v13, vcc
	global_store_short_d16_hi v[12:13], v9, off
	s_or_b64 exec, exec, s[36:37]
	s_and_saveexec_b64 s[36:37], s[12:13]
	s_cbranch_execz .LBB2073_216
.LBB2073_283:
	v_sub_u32_e32 v12, v20, v44
	v_mov_b32_e32 v13, 0
	v_lshlrev_b64 v[12:13], 1, v[12:13]
	v_add_co_u32_e32 v12, vcc, v32, v12
	v_addc_co_u32_e32 v13, vcc, v33, v13, vcc
	global_store_short v[12:13], v22, off
	s_or_b64 exec, exec, s[36:37]
	s_and_saveexec_b64 s[36:37], s[10:11]
	s_cbranch_execz .LBB2073_217
.LBB2073_284:
	v_sub_u32_e32 v12, v19, v44
	v_mov_b32_e32 v13, 0
	v_lshlrev_b64 v[12:13], 1, v[12:13]
	v_add_co_u32_e32 v12, vcc, v32, v12
	v_addc_co_u32_e32 v13, vcc, v33, v13, vcc
	global_store_short_d16_hi v[12:13], v22, off
	s_or_b64 exec, exec, s[36:37]
	s_and_saveexec_b64 s[36:37], s[8:9]
	s_cbranch_execz .LBB2073_218
.LBB2073_285:
	v_sub_u32_e32 v12, v18, v44
	v_mov_b32_e32 v13, 0
	v_lshlrev_b64 v[12:13], 1, v[12:13]
	v_add_co_u32_e32 v12, vcc, v32, v12
	v_addc_co_u32_e32 v13, vcc, v33, v13, vcc
	global_store_short v[12:13], v23, off
	s_or_b64 exec, exec, s[36:37]
	s_and_saveexec_b64 s[36:37], s[6:7]
	s_cbranch_execz .LBB2073_219
.LBB2073_286:
	v_sub_u32_e32 v12, v17, v44
	v_mov_b32_e32 v13, 0
	v_lshlrev_b64 v[12:13], 1, v[12:13]
	v_add_co_u32_e32 v12, vcc, v32, v12
	v_addc_co_u32_e32 v13, vcc, v33, v13, vcc
	global_store_short_d16_hi v[12:13], v23, off
	s_or_b64 exec, exec, s[36:37]
	s_and_saveexec_b64 s[36:37], s[4:5]
	s_cbranch_execz .LBB2073_220
.LBB2073_287:
	v_sub_u32_e32 v12, v16, v44
	v_mov_b32_e32 v13, 0
	v_lshlrev_b64 v[12:13], 1, v[12:13]
	v_add_co_u32_e32 v12, vcc, v32, v12
	v_addc_co_u32_e32 v13, vcc, v33, v13, vcc
	global_store_short v[12:13], v24, off
	s_or_b64 exec, exec, s[36:37]
	s_and_saveexec_b64 s[36:37], s[2:3]
	s_cbranch_execnz .LBB2073_221
	s_branch .LBB2073_222
.LBB2073_288:
	v_sub_u32_e32 v2, v92, v44
	v_lshlrev_b32_e32 v2, 1, v2
	ds_write_b16 v2, v6
	s_or_b64 exec, exec, s[36:37]
	s_and_saveexec_b64 s[28:29], s[26:27]
	s_cbranch_execz .LBB2073_226
.LBB2073_289:
	v_sub_u32_e32 v2, v31, v44
	v_lshlrev_b32_e32 v2, 1, v2
	ds_write_b16_d16_hi v2, v6
	s_or_b64 exec, exec, s[28:29]
	s_and_saveexec_b64 s[26:27], s[24:25]
	s_cbranch_execz .LBB2073_227
.LBB2073_290:
	v_sub_u32_e32 v2, v30, v44
	v_lshlrev_b32_e32 v2, 1, v2
	ds_write_b16 v2, v7
	s_or_b64 exec, exec, s[26:27]
	s_and_saveexec_b64 s[24:25], s[22:23]
	s_cbranch_execz .LBB2073_228
.LBB2073_291:
	v_sub_u32_e32 v2, v29, v44
	v_lshlrev_b32_e32 v2, 1, v2
	ds_write_b16_d16_hi v2, v7
	s_or_b64 exec, exec, s[24:25]
	s_and_saveexec_b64 s[22:23], s[20:21]
	s_cbranch_execz .LBB2073_229
.LBB2073_292:
	v_sub_u32_e32 v2, v28, v44
	v_lshlrev_b32_e32 v2, 1, v2
	ds_write_b16 v2, v8
	s_or_b64 exec, exec, s[22:23]
	s_and_saveexec_b64 s[20:21], s[18:19]
	s_cbranch_execz .LBB2073_230
.LBB2073_293:
	v_sub_u32_e32 v2, v27, v44
	v_lshlrev_b32_e32 v2, 1, v2
	ds_write_b16_d16_hi v2, v8
	s_or_b64 exec, exec, s[20:21]
	s_and_saveexec_b64 s[18:19], s[16:17]
	s_cbranch_execz .LBB2073_231
.LBB2073_294:
	v_sub_u32_e32 v2, v26, v44
	v_lshlrev_b32_e32 v2, 1, v2
	ds_write_b16 v2, v9
	s_or_b64 exec, exec, s[18:19]
	s_and_saveexec_b64 s[16:17], s[14:15]
	s_cbranch_execz .LBB2073_232
.LBB2073_295:
	v_sub_u32_e32 v2, v21, v44
	v_lshlrev_b32_e32 v2, 1, v2
	ds_write_b16_d16_hi v2, v9
	s_or_b64 exec, exec, s[16:17]
	s_and_saveexec_b64 s[14:15], s[12:13]
	s_cbranch_execz .LBB2073_233
.LBB2073_296:
	v_sub_u32_e32 v2, v20, v44
	v_lshlrev_b32_e32 v2, 1, v2
	ds_write_b16 v2, v22
	s_or_b64 exec, exec, s[14:15]
	s_and_saveexec_b64 s[12:13], s[10:11]
	s_cbranch_execz .LBB2073_234
.LBB2073_297:
	v_sub_u32_e32 v2, v19, v44
	v_lshlrev_b32_e32 v2, 1, v2
	ds_write_b16_d16_hi v2, v22
	s_or_b64 exec, exec, s[12:13]
	s_and_saveexec_b64 s[10:11], s[8:9]
	s_cbranch_execz .LBB2073_235
.LBB2073_298:
	v_sub_u32_e32 v2, v18, v44
	v_lshlrev_b32_e32 v2, 1, v2
	ds_write_b16 v2, v23
	s_or_b64 exec, exec, s[10:11]
	s_and_saveexec_b64 s[8:9], s[6:7]
	s_cbranch_execz .LBB2073_236
.LBB2073_299:
	v_sub_u32_e32 v2, v17, v44
	v_lshlrev_b32_e32 v2, 1, v2
	ds_write_b16_d16_hi v2, v23
	s_or_b64 exec, exec, s[8:9]
	s_and_saveexec_b64 s[6:7], s[4:5]
	s_cbranch_execz .LBB2073_237
.LBB2073_300:
	v_sub_u32_e32 v2, v16, v44
	v_lshlrev_b32_e32 v2, 1, v2
	ds_write_b16 v2, v24
	s_or_b64 exec, exec, s[6:7]
	s_and_saveexec_b64 s[4:5], s[2:3]
	s_cbranch_execnz .LBB2073_238
	s_branch .LBB2073_239
.LBB2073_301:
	v_sub_u32_e32 v12, v92, v8
	v_mov_b32_e32 v13, 0
	v_lshlrev_b64 v[12:13], 3, v[12:13]
	v_add_co_u32_e32 v12, vcc, v6, v12
	v_addc_co_u32_e32 v13, vcc, v7, v13, vcc
	global_store_dwordx2 v[12:13], v[70:71], off
	s_or_b64 exec, exec, s[36:37]
	s_and_saveexec_b64 s[36:37], s[26:27]
	s_cbranch_execz .LBB2073_243
.LBB2073_302:
	v_sub_u32_e32 v12, v31, v8
	v_mov_b32_e32 v13, 0
	v_lshlrev_b64 v[12:13], 3, v[12:13]
	v_add_co_u32_e32 v12, vcc, v6, v12
	v_addc_co_u32_e32 v13, vcc, v7, v13, vcc
	global_store_dwordx2 v[12:13], v[46:47], off
	s_or_b64 exec, exec, s[36:37]
	s_and_saveexec_b64 s[36:37], s[24:25]
	s_cbranch_execz .LBB2073_244
.LBB2073_303:
	v_sub_u32_e32 v12, v30, v8
	v_mov_b32_e32 v13, 0
	v_lshlrev_b64 v[12:13], 3, v[12:13]
	v_add_co_u32_e32 v12, vcc, v6, v12
	v_addc_co_u32_e32 v13, vcc, v7, v13, vcc
	global_store_dwordx2 v[12:13], v[48:49], off
	s_or_b64 exec, exec, s[36:37]
	s_and_saveexec_b64 s[36:37], s[22:23]
	s_cbranch_execz .LBB2073_245
.LBB2073_304:
	v_sub_u32_e32 v12, v29, v8
	v_mov_b32_e32 v13, 0
	v_lshlrev_b64 v[12:13], 3, v[12:13]
	v_add_co_u32_e32 v12, vcc, v6, v12
	v_addc_co_u32_e32 v13, vcc, v7, v13, vcc
	global_store_dwordx2 v[12:13], v[50:51], off
	s_or_b64 exec, exec, s[36:37]
	s_and_saveexec_b64 s[36:37], s[20:21]
	s_cbranch_execz .LBB2073_246
.LBB2073_305:
	v_sub_u32_e32 v12, v28, v8
	v_mov_b32_e32 v13, 0
	v_lshlrev_b64 v[12:13], 3, v[12:13]
	v_add_co_u32_e32 v12, vcc, v6, v12
	v_addc_co_u32_e32 v13, vcc, v7, v13, vcc
	global_store_dwordx2 v[12:13], v[52:53], off
	s_or_b64 exec, exec, s[36:37]
	s_and_saveexec_b64 s[36:37], s[18:19]
	s_cbranch_execz .LBB2073_247
.LBB2073_306:
	v_sub_u32_e32 v12, v27, v8
	v_mov_b32_e32 v13, 0
	v_lshlrev_b64 v[12:13], 3, v[12:13]
	v_add_co_u32_e32 v12, vcc, v6, v12
	v_addc_co_u32_e32 v13, vcc, v7, v13, vcc
	global_store_dwordx2 v[12:13], v[54:55], off
	s_or_b64 exec, exec, s[36:37]
	s_and_saveexec_b64 s[36:37], s[16:17]
	s_cbranch_execz .LBB2073_248
.LBB2073_307:
	v_sub_u32_e32 v12, v26, v8
	v_mov_b32_e32 v13, 0
	v_lshlrev_b64 v[12:13], 3, v[12:13]
	v_add_co_u32_e32 v12, vcc, v6, v12
	v_addc_co_u32_e32 v13, vcc, v7, v13, vcc
	global_store_dwordx2 v[12:13], v[56:57], off
	s_or_b64 exec, exec, s[36:37]
	s_and_saveexec_b64 s[36:37], s[14:15]
	s_cbranch_execz .LBB2073_249
.LBB2073_308:
	v_sub_u32_e32 v12, v21, v8
	v_mov_b32_e32 v13, 0
	v_lshlrev_b64 v[12:13], 3, v[12:13]
	v_add_co_u32_e32 v12, vcc, v6, v12
	v_addc_co_u32_e32 v13, vcc, v7, v13, vcc
	global_store_dwordx2 v[12:13], v[58:59], off
	s_or_b64 exec, exec, s[36:37]
	s_and_saveexec_b64 s[36:37], s[12:13]
	s_cbranch_execz .LBB2073_250
.LBB2073_309:
	v_sub_u32_e32 v12, v20, v8
	v_mov_b32_e32 v13, 0
	v_lshlrev_b64 v[12:13], 3, v[12:13]
	v_add_co_u32_e32 v12, vcc, v6, v12
	v_addc_co_u32_e32 v13, vcc, v7, v13, vcc
	global_store_dwordx2 v[12:13], v[60:61], off
	s_or_b64 exec, exec, s[36:37]
	s_and_saveexec_b64 s[36:37], s[10:11]
	s_cbranch_execz .LBB2073_251
.LBB2073_310:
	v_sub_u32_e32 v12, v19, v8
	v_mov_b32_e32 v13, 0
	v_lshlrev_b64 v[12:13], 3, v[12:13]
	v_add_co_u32_e32 v12, vcc, v6, v12
	v_addc_co_u32_e32 v13, vcc, v7, v13, vcc
	global_store_dwordx2 v[12:13], v[62:63], off
	s_or_b64 exec, exec, s[36:37]
	s_and_saveexec_b64 s[36:37], s[8:9]
	s_cbranch_execz .LBB2073_252
.LBB2073_311:
	v_sub_u32_e32 v12, v18, v8
	v_mov_b32_e32 v13, 0
	v_lshlrev_b64 v[12:13], 3, v[12:13]
	v_add_co_u32_e32 v12, vcc, v6, v12
	v_addc_co_u32_e32 v13, vcc, v7, v13, vcc
	global_store_dwordx2 v[12:13], v[64:65], off
	s_or_b64 exec, exec, s[36:37]
	s_and_saveexec_b64 s[36:37], s[6:7]
	s_cbranch_execz .LBB2073_253
.LBB2073_312:
	v_sub_u32_e32 v12, v17, v8
	v_mov_b32_e32 v13, 0
	v_lshlrev_b64 v[12:13], 3, v[12:13]
	v_add_co_u32_e32 v12, vcc, v6, v12
	v_addc_co_u32_e32 v13, vcc, v7, v13, vcc
	global_store_dwordx2 v[12:13], v[66:67], off
	s_or_b64 exec, exec, s[36:37]
	s_and_saveexec_b64 s[36:37], s[4:5]
	s_cbranch_execz .LBB2073_254
.LBB2073_313:
	v_sub_u32_e32 v12, v16, v8
	v_mov_b32_e32 v13, 0
	v_lshlrev_b64 v[12:13], 3, v[12:13]
	v_add_co_u32_e32 v12, vcc, v6, v12
	v_addc_co_u32_e32 v13, vcc, v7, v13, vcc
	global_store_dwordx2 v[12:13], v[68:69], off
	s_or_b64 exec, exec, s[36:37]
	s_and_saveexec_b64 s[36:37], s[2:3]
	s_cbranch_execnz .LBB2073_255
	s_branch .LBB2073_256
.LBB2073_314:
	v_sub_u32_e32 v9, v92, v8
	v_lshlrev_b32_e32 v9, 3, v9
	ds_write_b64 v9, v[70:71]
	s_or_b64 exec, exec, s[36:37]
	s_and_saveexec_b64 s[28:29], s[26:27]
	s_cbranch_execz .LBB2073_260
.LBB2073_315:
	v_sub_u32_e32 v9, v31, v8
	v_lshlrev_b32_e32 v9, 3, v9
	ds_write_b64 v9, v[46:47]
	s_or_b64 exec, exec, s[28:29]
	s_and_saveexec_b64 s[26:27], s[24:25]
	s_cbranch_execz .LBB2073_261
.LBB2073_316:
	v_sub_u32_e32 v9, v30, v8
	v_lshlrev_b32_e32 v9, 3, v9
	ds_write_b64 v9, v[48:49]
	s_or_b64 exec, exec, s[26:27]
	s_and_saveexec_b64 s[24:25], s[22:23]
	s_cbranch_execz .LBB2073_262
.LBB2073_317:
	v_sub_u32_e32 v9, v29, v8
	v_lshlrev_b32_e32 v9, 3, v9
	ds_write_b64 v9, v[50:51]
	s_or_b64 exec, exec, s[24:25]
	s_and_saveexec_b64 s[22:23], s[20:21]
	s_cbranch_execz .LBB2073_263
.LBB2073_318:
	v_sub_u32_e32 v9, v28, v8
	v_lshlrev_b32_e32 v9, 3, v9
	ds_write_b64 v9, v[52:53]
	s_or_b64 exec, exec, s[22:23]
	s_and_saveexec_b64 s[20:21], s[18:19]
	s_cbranch_execz .LBB2073_264
.LBB2073_319:
	v_sub_u32_e32 v9, v27, v8
	v_lshlrev_b32_e32 v9, 3, v9
	ds_write_b64 v9, v[54:55]
	s_or_b64 exec, exec, s[20:21]
	s_and_saveexec_b64 s[18:19], s[16:17]
	s_cbranch_execz .LBB2073_265
.LBB2073_320:
	v_sub_u32_e32 v9, v26, v8
	v_lshlrev_b32_e32 v9, 3, v9
	ds_write_b64 v9, v[56:57]
	s_or_b64 exec, exec, s[18:19]
	s_and_saveexec_b64 s[16:17], s[14:15]
	s_cbranch_execz .LBB2073_266
.LBB2073_321:
	v_sub_u32_e32 v9, v21, v8
	v_lshlrev_b32_e32 v9, 3, v9
	ds_write_b64 v9, v[58:59]
	s_or_b64 exec, exec, s[16:17]
	s_and_saveexec_b64 s[14:15], s[12:13]
	s_cbranch_execz .LBB2073_267
.LBB2073_322:
	v_sub_u32_e32 v9, v20, v8
	v_lshlrev_b32_e32 v9, 3, v9
	ds_write_b64 v9, v[60:61]
	s_or_b64 exec, exec, s[14:15]
	s_and_saveexec_b64 s[12:13], s[10:11]
	s_cbranch_execz .LBB2073_268
.LBB2073_323:
	v_sub_u32_e32 v9, v19, v8
	v_lshlrev_b32_e32 v9, 3, v9
	ds_write_b64 v9, v[62:63]
	s_or_b64 exec, exec, s[12:13]
	s_and_saveexec_b64 s[10:11], s[8:9]
	s_cbranch_execz .LBB2073_269
.LBB2073_324:
	v_sub_u32_e32 v9, v18, v8
	v_lshlrev_b32_e32 v9, 3, v9
	ds_write_b64 v9, v[64:65]
	s_or_b64 exec, exec, s[10:11]
	s_and_saveexec_b64 s[8:9], s[6:7]
	s_cbranch_execz .LBB2073_270
.LBB2073_325:
	v_sub_u32_e32 v9, v17, v8
	v_lshlrev_b32_e32 v9, 3, v9
	ds_write_b64 v9, v[66:67]
	s_or_b64 exec, exec, s[8:9]
	s_and_saveexec_b64 s[6:7], s[4:5]
	s_cbranch_execz .LBB2073_271
.LBB2073_326:
	v_sub_u32_e32 v9, v16, v8
	v_lshlrev_b32_e32 v9, 3, v9
	ds_write_b64 v9, v[68:69]
	s_or_b64 exec, exec, s[6:7]
	s_and_saveexec_b64 s[4:5], s[2:3]
	s_cbranch_execnz .LBB2073_272
	s_branch .LBB2073_273
	.section	.rodata,"a",@progbits
	.p2align	6, 0x0
	.amdhsa_kernel _ZN7rocprim17ROCPRIM_400000_NS6detail17trampoline_kernelINS0_14default_configENS1_29reduce_by_key_config_selectorIN3c108BFloat16ElN6thrust23THRUST_200600_302600_NS4plusIlEEEEZZNS1_33reduce_by_key_impl_wrapped_configILNS1_25lookback_scan_determinismE0ES3_SB_PS6_NS8_17constant_iteratorIiNS8_11use_defaultESG_EENS8_10device_ptrIS6_EENSI_IlEEPmSA_NS8_8equal_toIS6_EEEE10hipError_tPvRmT2_T3_mT4_T5_T6_T7_T8_P12ihipStream_tbENKUlT_T0_E_clISt17integral_constantIbLb1EES14_IbLb0EEEEDaS10_S11_EUlS10_E_NS1_11comp_targetILNS1_3genE4ELNS1_11target_archE910ELNS1_3gpuE8ELNS1_3repE0EEENS1_30default_config_static_selectorELNS0_4arch9wavefront6targetE1EEEvT1_
		.amdhsa_group_segment_fixed_size 30720
		.amdhsa_private_segment_fixed_size 0
		.amdhsa_kernarg_size 144
		.amdhsa_user_sgpr_count 6
		.amdhsa_user_sgpr_private_segment_buffer 1
		.amdhsa_user_sgpr_dispatch_ptr 0
		.amdhsa_user_sgpr_queue_ptr 0
		.amdhsa_user_sgpr_kernarg_segment_ptr 1
		.amdhsa_user_sgpr_dispatch_id 0
		.amdhsa_user_sgpr_flat_scratch_init 0
		.amdhsa_user_sgpr_kernarg_preload_length 0
		.amdhsa_user_sgpr_kernarg_preload_offset 0
		.amdhsa_user_sgpr_private_segment_size 0
		.amdhsa_uses_dynamic_stack 0
		.amdhsa_system_sgpr_private_segment_wavefront_offset 0
		.amdhsa_system_sgpr_workgroup_id_x 1
		.amdhsa_system_sgpr_workgroup_id_y 0
		.amdhsa_system_sgpr_workgroup_id_z 0
		.amdhsa_system_sgpr_workgroup_info 0
		.amdhsa_system_vgpr_workitem_id 0
		.amdhsa_next_free_vgpr 127
		.amdhsa_next_free_sgpr 62
		.amdhsa_accum_offset 128
		.amdhsa_reserve_vcc 1
		.amdhsa_reserve_flat_scratch 0
		.amdhsa_float_round_mode_32 0
		.amdhsa_float_round_mode_16_64 0
		.amdhsa_float_denorm_mode_32 3
		.amdhsa_float_denorm_mode_16_64 3
		.amdhsa_dx10_clamp 1
		.amdhsa_ieee_mode 1
		.amdhsa_fp16_overflow 0
		.amdhsa_tg_split 0
		.amdhsa_exception_fp_ieee_invalid_op 0
		.amdhsa_exception_fp_denorm_src 0
		.amdhsa_exception_fp_ieee_div_zero 0
		.amdhsa_exception_fp_ieee_overflow 0
		.amdhsa_exception_fp_ieee_underflow 0
		.amdhsa_exception_fp_ieee_inexact 0
		.amdhsa_exception_int_div_zero 0
	.end_amdhsa_kernel
	.section	.text._ZN7rocprim17ROCPRIM_400000_NS6detail17trampoline_kernelINS0_14default_configENS1_29reduce_by_key_config_selectorIN3c108BFloat16ElN6thrust23THRUST_200600_302600_NS4plusIlEEEEZZNS1_33reduce_by_key_impl_wrapped_configILNS1_25lookback_scan_determinismE0ES3_SB_PS6_NS8_17constant_iteratorIiNS8_11use_defaultESG_EENS8_10device_ptrIS6_EENSI_IlEEPmSA_NS8_8equal_toIS6_EEEE10hipError_tPvRmT2_T3_mT4_T5_T6_T7_T8_P12ihipStream_tbENKUlT_T0_E_clISt17integral_constantIbLb1EES14_IbLb0EEEEDaS10_S11_EUlS10_E_NS1_11comp_targetILNS1_3genE4ELNS1_11target_archE910ELNS1_3gpuE8ELNS1_3repE0EEENS1_30default_config_static_selectorELNS0_4arch9wavefront6targetE1EEEvT1_,"axG",@progbits,_ZN7rocprim17ROCPRIM_400000_NS6detail17trampoline_kernelINS0_14default_configENS1_29reduce_by_key_config_selectorIN3c108BFloat16ElN6thrust23THRUST_200600_302600_NS4plusIlEEEEZZNS1_33reduce_by_key_impl_wrapped_configILNS1_25lookback_scan_determinismE0ES3_SB_PS6_NS8_17constant_iteratorIiNS8_11use_defaultESG_EENS8_10device_ptrIS6_EENSI_IlEEPmSA_NS8_8equal_toIS6_EEEE10hipError_tPvRmT2_T3_mT4_T5_T6_T7_T8_P12ihipStream_tbENKUlT_T0_E_clISt17integral_constantIbLb1EES14_IbLb0EEEEDaS10_S11_EUlS10_E_NS1_11comp_targetILNS1_3genE4ELNS1_11target_archE910ELNS1_3gpuE8ELNS1_3repE0EEENS1_30default_config_static_selectorELNS0_4arch9wavefront6targetE1EEEvT1_,comdat
.Lfunc_end2073:
	.size	_ZN7rocprim17ROCPRIM_400000_NS6detail17trampoline_kernelINS0_14default_configENS1_29reduce_by_key_config_selectorIN3c108BFloat16ElN6thrust23THRUST_200600_302600_NS4plusIlEEEEZZNS1_33reduce_by_key_impl_wrapped_configILNS1_25lookback_scan_determinismE0ES3_SB_PS6_NS8_17constant_iteratorIiNS8_11use_defaultESG_EENS8_10device_ptrIS6_EENSI_IlEEPmSA_NS8_8equal_toIS6_EEEE10hipError_tPvRmT2_T3_mT4_T5_T6_T7_T8_P12ihipStream_tbENKUlT_T0_E_clISt17integral_constantIbLb1EES14_IbLb0EEEEDaS10_S11_EUlS10_E_NS1_11comp_targetILNS1_3genE4ELNS1_11target_archE910ELNS1_3gpuE8ELNS1_3repE0EEENS1_30default_config_static_selectorELNS0_4arch9wavefront6targetE1EEEvT1_, .Lfunc_end2073-_ZN7rocprim17ROCPRIM_400000_NS6detail17trampoline_kernelINS0_14default_configENS1_29reduce_by_key_config_selectorIN3c108BFloat16ElN6thrust23THRUST_200600_302600_NS4plusIlEEEEZZNS1_33reduce_by_key_impl_wrapped_configILNS1_25lookback_scan_determinismE0ES3_SB_PS6_NS8_17constant_iteratorIiNS8_11use_defaultESG_EENS8_10device_ptrIS6_EENSI_IlEEPmSA_NS8_8equal_toIS6_EEEE10hipError_tPvRmT2_T3_mT4_T5_T6_T7_T8_P12ihipStream_tbENKUlT_T0_E_clISt17integral_constantIbLb1EES14_IbLb0EEEEDaS10_S11_EUlS10_E_NS1_11comp_targetILNS1_3genE4ELNS1_11target_archE910ELNS1_3gpuE8ELNS1_3repE0EEENS1_30default_config_static_selectorELNS0_4arch9wavefront6targetE1EEEvT1_
                                        ; -- End function
	.section	.AMDGPU.csdata,"",@progbits
; Kernel info:
; codeLenInByte = 17528
; NumSgprs: 66
; NumVgprs: 127
; NumAgprs: 0
; TotalNumVgprs: 127
; ScratchSize: 0
; MemoryBound: 0
; FloatMode: 240
; IeeeMode: 1
; LDSByteSize: 30720 bytes/workgroup (compile time only)
; SGPRBlocks: 8
; VGPRBlocks: 15
; NumSGPRsForWavesPerEU: 66
; NumVGPRsForWavesPerEU: 127
; AccumOffset: 128
; Occupancy: 2
; WaveLimiterHint : 1
; COMPUTE_PGM_RSRC2:SCRATCH_EN: 0
; COMPUTE_PGM_RSRC2:USER_SGPR: 6
; COMPUTE_PGM_RSRC2:TRAP_HANDLER: 0
; COMPUTE_PGM_RSRC2:TGID_X_EN: 1
; COMPUTE_PGM_RSRC2:TGID_Y_EN: 0
; COMPUTE_PGM_RSRC2:TGID_Z_EN: 0
; COMPUTE_PGM_RSRC2:TIDIG_COMP_CNT: 0
; COMPUTE_PGM_RSRC3_GFX90A:ACCUM_OFFSET: 31
; COMPUTE_PGM_RSRC3_GFX90A:TG_SPLIT: 0
	.section	.text._ZN7rocprim17ROCPRIM_400000_NS6detail17trampoline_kernelINS0_14default_configENS1_29reduce_by_key_config_selectorIN3c108BFloat16ElN6thrust23THRUST_200600_302600_NS4plusIlEEEEZZNS1_33reduce_by_key_impl_wrapped_configILNS1_25lookback_scan_determinismE0ES3_SB_PS6_NS8_17constant_iteratorIiNS8_11use_defaultESG_EENS8_10device_ptrIS6_EENSI_IlEEPmSA_NS8_8equal_toIS6_EEEE10hipError_tPvRmT2_T3_mT4_T5_T6_T7_T8_P12ihipStream_tbENKUlT_T0_E_clISt17integral_constantIbLb1EES14_IbLb0EEEEDaS10_S11_EUlS10_E_NS1_11comp_targetILNS1_3genE3ELNS1_11target_archE908ELNS1_3gpuE7ELNS1_3repE0EEENS1_30default_config_static_selectorELNS0_4arch9wavefront6targetE1EEEvT1_,"axG",@progbits,_ZN7rocprim17ROCPRIM_400000_NS6detail17trampoline_kernelINS0_14default_configENS1_29reduce_by_key_config_selectorIN3c108BFloat16ElN6thrust23THRUST_200600_302600_NS4plusIlEEEEZZNS1_33reduce_by_key_impl_wrapped_configILNS1_25lookback_scan_determinismE0ES3_SB_PS6_NS8_17constant_iteratorIiNS8_11use_defaultESG_EENS8_10device_ptrIS6_EENSI_IlEEPmSA_NS8_8equal_toIS6_EEEE10hipError_tPvRmT2_T3_mT4_T5_T6_T7_T8_P12ihipStream_tbENKUlT_T0_E_clISt17integral_constantIbLb1EES14_IbLb0EEEEDaS10_S11_EUlS10_E_NS1_11comp_targetILNS1_3genE3ELNS1_11target_archE908ELNS1_3gpuE7ELNS1_3repE0EEENS1_30default_config_static_selectorELNS0_4arch9wavefront6targetE1EEEvT1_,comdat
	.protected	_ZN7rocprim17ROCPRIM_400000_NS6detail17trampoline_kernelINS0_14default_configENS1_29reduce_by_key_config_selectorIN3c108BFloat16ElN6thrust23THRUST_200600_302600_NS4plusIlEEEEZZNS1_33reduce_by_key_impl_wrapped_configILNS1_25lookback_scan_determinismE0ES3_SB_PS6_NS8_17constant_iteratorIiNS8_11use_defaultESG_EENS8_10device_ptrIS6_EENSI_IlEEPmSA_NS8_8equal_toIS6_EEEE10hipError_tPvRmT2_T3_mT4_T5_T6_T7_T8_P12ihipStream_tbENKUlT_T0_E_clISt17integral_constantIbLb1EES14_IbLb0EEEEDaS10_S11_EUlS10_E_NS1_11comp_targetILNS1_3genE3ELNS1_11target_archE908ELNS1_3gpuE7ELNS1_3repE0EEENS1_30default_config_static_selectorELNS0_4arch9wavefront6targetE1EEEvT1_ ; -- Begin function _ZN7rocprim17ROCPRIM_400000_NS6detail17trampoline_kernelINS0_14default_configENS1_29reduce_by_key_config_selectorIN3c108BFloat16ElN6thrust23THRUST_200600_302600_NS4plusIlEEEEZZNS1_33reduce_by_key_impl_wrapped_configILNS1_25lookback_scan_determinismE0ES3_SB_PS6_NS8_17constant_iteratorIiNS8_11use_defaultESG_EENS8_10device_ptrIS6_EENSI_IlEEPmSA_NS8_8equal_toIS6_EEEE10hipError_tPvRmT2_T3_mT4_T5_T6_T7_T8_P12ihipStream_tbENKUlT_T0_E_clISt17integral_constantIbLb1EES14_IbLb0EEEEDaS10_S11_EUlS10_E_NS1_11comp_targetILNS1_3genE3ELNS1_11target_archE908ELNS1_3gpuE7ELNS1_3repE0EEENS1_30default_config_static_selectorELNS0_4arch9wavefront6targetE1EEEvT1_
	.globl	_ZN7rocprim17ROCPRIM_400000_NS6detail17trampoline_kernelINS0_14default_configENS1_29reduce_by_key_config_selectorIN3c108BFloat16ElN6thrust23THRUST_200600_302600_NS4plusIlEEEEZZNS1_33reduce_by_key_impl_wrapped_configILNS1_25lookback_scan_determinismE0ES3_SB_PS6_NS8_17constant_iteratorIiNS8_11use_defaultESG_EENS8_10device_ptrIS6_EENSI_IlEEPmSA_NS8_8equal_toIS6_EEEE10hipError_tPvRmT2_T3_mT4_T5_T6_T7_T8_P12ihipStream_tbENKUlT_T0_E_clISt17integral_constantIbLb1EES14_IbLb0EEEEDaS10_S11_EUlS10_E_NS1_11comp_targetILNS1_3genE3ELNS1_11target_archE908ELNS1_3gpuE7ELNS1_3repE0EEENS1_30default_config_static_selectorELNS0_4arch9wavefront6targetE1EEEvT1_
	.p2align	8
	.type	_ZN7rocprim17ROCPRIM_400000_NS6detail17trampoline_kernelINS0_14default_configENS1_29reduce_by_key_config_selectorIN3c108BFloat16ElN6thrust23THRUST_200600_302600_NS4plusIlEEEEZZNS1_33reduce_by_key_impl_wrapped_configILNS1_25lookback_scan_determinismE0ES3_SB_PS6_NS8_17constant_iteratorIiNS8_11use_defaultESG_EENS8_10device_ptrIS6_EENSI_IlEEPmSA_NS8_8equal_toIS6_EEEE10hipError_tPvRmT2_T3_mT4_T5_T6_T7_T8_P12ihipStream_tbENKUlT_T0_E_clISt17integral_constantIbLb1EES14_IbLb0EEEEDaS10_S11_EUlS10_E_NS1_11comp_targetILNS1_3genE3ELNS1_11target_archE908ELNS1_3gpuE7ELNS1_3repE0EEENS1_30default_config_static_selectorELNS0_4arch9wavefront6targetE1EEEvT1_,@function
_ZN7rocprim17ROCPRIM_400000_NS6detail17trampoline_kernelINS0_14default_configENS1_29reduce_by_key_config_selectorIN3c108BFloat16ElN6thrust23THRUST_200600_302600_NS4plusIlEEEEZZNS1_33reduce_by_key_impl_wrapped_configILNS1_25lookback_scan_determinismE0ES3_SB_PS6_NS8_17constant_iteratorIiNS8_11use_defaultESG_EENS8_10device_ptrIS6_EENSI_IlEEPmSA_NS8_8equal_toIS6_EEEE10hipError_tPvRmT2_T3_mT4_T5_T6_T7_T8_P12ihipStream_tbENKUlT_T0_E_clISt17integral_constantIbLb1EES14_IbLb0EEEEDaS10_S11_EUlS10_E_NS1_11comp_targetILNS1_3genE3ELNS1_11target_archE908ELNS1_3gpuE7ELNS1_3repE0EEENS1_30default_config_static_selectorELNS0_4arch9wavefront6targetE1EEEvT1_: ; @_ZN7rocprim17ROCPRIM_400000_NS6detail17trampoline_kernelINS0_14default_configENS1_29reduce_by_key_config_selectorIN3c108BFloat16ElN6thrust23THRUST_200600_302600_NS4plusIlEEEEZZNS1_33reduce_by_key_impl_wrapped_configILNS1_25lookback_scan_determinismE0ES3_SB_PS6_NS8_17constant_iteratorIiNS8_11use_defaultESG_EENS8_10device_ptrIS6_EENSI_IlEEPmSA_NS8_8equal_toIS6_EEEE10hipError_tPvRmT2_T3_mT4_T5_T6_T7_T8_P12ihipStream_tbENKUlT_T0_E_clISt17integral_constantIbLb1EES14_IbLb0EEEEDaS10_S11_EUlS10_E_NS1_11comp_targetILNS1_3genE3ELNS1_11target_archE908ELNS1_3gpuE7ELNS1_3repE0EEENS1_30default_config_static_selectorELNS0_4arch9wavefront6targetE1EEEvT1_
; %bb.0:
	.section	.rodata,"a",@progbits
	.p2align	6, 0x0
	.amdhsa_kernel _ZN7rocprim17ROCPRIM_400000_NS6detail17trampoline_kernelINS0_14default_configENS1_29reduce_by_key_config_selectorIN3c108BFloat16ElN6thrust23THRUST_200600_302600_NS4plusIlEEEEZZNS1_33reduce_by_key_impl_wrapped_configILNS1_25lookback_scan_determinismE0ES3_SB_PS6_NS8_17constant_iteratorIiNS8_11use_defaultESG_EENS8_10device_ptrIS6_EENSI_IlEEPmSA_NS8_8equal_toIS6_EEEE10hipError_tPvRmT2_T3_mT4_T5_T6_T7_T8_P12ihipStream_tbENKUlT_T0_E_clISt17integral_constantIbLb1EES14_IbLb0EEEEDaS10_S11_EUlS10_E_NS1_11comp_targetILNS1_3genE3ELNS1_11target_archE908ELNS1_3gpuE7ELNS1_3repE0EEENS1_30default_config_static_selectorELNS0_4arch9wavefront6targetE1EEEvT1_
		.amdhsa_group_segment_fixed_size 0
		.amdhsa_private_segment_fixed_size 0
		.amdhsa_kernarg_size 144
		.amdhsa_user_sgpr_count 6
		.amdhsa_user_sgpr_private_segment_buffer 1
		.amdhsa_user_sgpr_dispatch_ptr 0
		.amdhsa_user_sgpr_queue_ptr 0
		.amdhsa_user_sgpr_kernarg_segment_ptr 1
		.amdhsa_user_sgpr_dispatch_id 0
		.amdhsa_user_sgpr_flat_scratch_init 0
		.amdhsa_user_sgpr_kernarg_preload_length 0
		.amdhsa_user_sgpr_kernarg_preload_offset 0
		.amdhsa_user_sgpr_private_segment_size 0
		.amdhsa_uses_dynamic_stack 0
		.amdhsa_system_sgpr_private_segment_wavefront_offset 0
		.amdhsa_system_sgpr_workgroup_id_x 1
		.amdhsa_system_sgpr_workgroup_id_y 0
		.amdhsa_system_sgpr_workgroup_id_z 0
		.amdhsa_system_sgpr_workgroup_info 0
		.amdhsa_system_vgpr_workitem_id 0
		.amdhsa_next_free_vgpr 1
		.amdhsa_next_free_sgpr 0
		.amdhsa_accum_offset 4
		.amdhsa_reserve_vcc 0
		.amdhsa_reserve_flat_scratch 0
		.amdhsa_float_round_mode_32 0
		.amdhsa_float_round_mode_16_64 0
		.amdhsa_float_denorm_mode_32 3
		.amdhsa_float_denorm_mode_16_64 3
		.amdhsa_dx10_clamp 1
		.amdhsa_ieee_mode 1
		.amdhsa_fp16_overflow 0
		.amdhsa_tg_split 0
		.amdhsa_exception_fp_ieee_invalid_op 0
		.amdhsa_exception_fp_denorm_src 0
		.amdhsa_exception_fp_ieee_div_zero 0
		.amdhsa_exception_fp_ieee_overflow 0
		.amdhsa_exception_fp_ieee_underflow 0
		.amdhsa_exception_fp_ieee_inexact 0
		.amdhsa_exception_int_div_zero 0
	.end_amdhsa_kernel
	.section	.text._ZN7rocprim17ROCPRIM_400000_NS6detail17trampoline_kernelINS0_14default_configENS1_29reduce_by_key_config_selectorIN3c108BFloat16ElN6thrust23THRUST_200600_302600_NS4plusIlEEEEZZNS1_33reduce_by_key_impl_wrapped_configILNS1_25lookback_scan_determinismE0ES3_SB_PS6_NS8_17constant_iteratorIiNS8_11use_defaultESG_EENS8_10device_ptrIS6_EENSI_IlEEPmSA_NS8_8equal_toIS6_EEEE10hipError_tPvRmT2_T3_mT4_T5_T6_T7_T8_P12ihipStream_tbENKUlT_T0_E_clISt17integral_constantIbLb1EES14_IbLb0EEEEDaS10_S11_EUlS10_E_NS1_11comp_targetILNS1_3genE3ELNS1_11target_archE908ELNS1_3gpuE7ELNS1_3repE0EEENS1_30default_config_static_selectorELNS0_4arch9wavefront6targetE1EEEvT1_,"axG",@progbits,_ZN7rocprim17ROCPRIM_400000_NS6detail17trampoline_kernelINS0_14default_configENS1_29reduce_by_key_config_selectorIN3c108BFloat16ElN6thrust23THRUST_200600_302600_NS4plusIlEEEEZZNS1_33reduce_by_key_impl_wrapped_configILNS1_25lookback_scan_determinismE0ES3_SB_PS6_NS8_17constant_iteratorIiNS8_11use_defaultESG_EENS8_10device_ptrIS6_EENSI_IlEEPmSA_NS8_8equal_toIS6_EEEE10hipError_tPvRmT2_T3_mT4_T5_T6_T7_T8_P12ihipStream_tbENKUlT_T0_E_clISt17integral_constantIbLb1EES14_IbLb0EEEEDaS10_S11_EUlS10_E_NS1_11comp_targetILNS1_3genE3ELNS1_11target_archE908ELNS1_3gpuE7ELNS1_3repE0EEENS1_30default_config_static_selectorELNS0_4arch9wavefront6targetE1EEEvT1_,comdat
.Lfunc_end2074:
	.size	_ZN7rocprim17ROCPRIM_400000_NS6detail17trampoline_kernelINS0_14default_configENS1_29reduce_by_key_config_selectorIN3c108BFloat16ElN6thrust23THRUST_200600_302600_NS4plusIlEEEEZZNS1_33reduce_by_key_impl_wrapped_configILNS1_25lookback_scan_determinismE0ES3_SB_PS6_NS8_17constant_iteratorIiNS8_11use_defaultESG_EENS8_10device_ptrIS6_EENSI_IlEEPmSA_NS8_8equal_toIS6_EEEE10hipError_tPvRmT2_T3_mT4_T5_T6_T7_T8_P12ihipStream_tbENKUlT_T0_E_clISt17integral_constantIbLb1EES14_IbLb0EEEEDaS10_S11_EUlS10_E_NS1_11comp_targetILNS1_3genE3ELNS1_11target_archE908ELNS1_3gpuE7ELNS1_3repE0EEENS1_30default_config_static_selectorELNS0_4arch9wavefront6targetE1EEEvT1_, .Lfunc_end2074-_ZN7rocprim17ROCPRIM_400000_NS6detail17trampoline_kernelINS0_14default_configENS1_29reduce_by_key_config_selectorIN3c108BFloat16ElN6thrust23THRUST_200600_302600_NS4plusIlEEEEZZNS1_33reduce_by_key_impl_wrapped_configILNS1_25lookback_scan_determinismE0ES3_SB_PS6_NS8_17constant_iteratorIiNS8_11use_defaultESG_EENS8_10device_ptrIS6_EENSI_IlEEPmSA_NS8_8equal_toIS6_EEEE10hipError_tPvRmT2_T3_mT4_T5_T6_T7_T8_P12ihipStream_tbENKUlT_T0_E_clISt17integral_constantIbLb1EES14_IbLb0EEEEDaS10_S11_EUlS10_E_NS1_11comp_targetILNS1_3genE3ELNS1_11target_archE908ELNS1_3gpuE7ELNS1_3repE0EEENS1_30default_config_static_selectorELNS0_4arch9wavefront6targetE1EEEvT1_
                                        ; -- End function
	.section	.AMDGPU.csdata,"",@progbits
; Kernel info:
; codeLenInByte = 0
; NumSgprs: 4
; NumVgprs: 0
; NumAgprs: 0
; TotalNumVgprs: 0
; ScratchSize: 0
; MemoryBound: 0
; FloatMode: 240
; IeeeMode: 1
; LDSByteSize: 0 bytes/workgroup (compile time only)
; SGPRBlocks: 0
; VGPRBlocks: 0
; NumSGPRsForWavesPerEU: 4
; NumVGPRsForWavesPerEU: 1
; AccumOffset: 4
; Occupancy: 8
; WaveLimiterHint : 0
; COMPUTE_PGM_RSRC2:SCRATCH_EN: 0
; COMPUTE_PGM_RSRC2:USER_SGPR: 6
; COMPUTE_PGM_RSRC2:TRAP_HANDLER: 0
; COMPUTE_PGM_RSRC2:TGID_X_EN: 1
; COMPUTE_PGM_RSRC2:TGID_Y_EN: 0
; COMPUTE_PGM_RSRC2:TGID_Z_EN: 0
; COMPUTE_PGM_RSRC2:TIDIG_COMP_CNT: 0
; COMPUTE_PGM_RSRC3_GFX90A:ACCUM_OFFSET: 0
; COMPUTE_PGM_RSRC3_GFX90A:TG_SPLIT: 0
	.section	.text._ZN7rocprim17ROCPRIM_400000_NS6detail17trampoline_kernelINS0_14default_configENS1_29reduce_by_key_config_selectorIN3c108BFloat16ElN6thrust23THRUST_200600_302600_NS4plusIlEEEEZZNS1_33reduce_by_key_impl_wrapped_configILNS1_25lookback_scan_determinismE0ES3_SB_PS6_NS8_17constant_iteratorIiNS8_11use_defaultESG_EENS8_10device_ptrIS6_EENSI_IlEEPmSA_NS8_8equal_toIS6_EEEE10hipError_tPvRmT2_T3_mT4_T5_T6_T7_T8_P12ihipStream_tbENKUlT_T0_E_clISt17integral_constantIbLb1EES14_IbLb0EEEEDaS10_S11_EUlS10_E_NS1_11comp_targetILNS1_3genE2ELNS1_11target_archE906ELNS1_3gpuE6ELNS1_3repE0EEENS1_30default_config_static_selectorELNS0_4arch9wavefront6targetE1EEEvT1_,"axG",@progbits,_ZN7rocprim17ROCPRIM_400000_NS6detail17trampoline_kernelINS0_14default_configENS1_29reduce_by_key_config_selectorIN3c108BFloat16ElN6thrust23THRUST_200600_302600_NS4plusIlEEEEZZNS1_33reduce_by_key_impl_wrapped_configILNS1_25lookback_scan_determinismE0ES3_SB_PS6_NS8_17constant_iteratorIiNS8_11use_defaultESG_EENS8_10device_ptrIS6_EENSI_IlEEPmSA_NS8_8equal_toIS6_EEEE10hipError_tPvRmT2_T3_mT4_T5_T6_T7_T8_P12ihipStream_tbENKUlT_T0_E_clISt17integral_constantIbLb1EES14_IbLb0EEEEDaS10_S11_EUlS10_E_NS1_11comp_targetILNS1_3genE2ELNS1_11target_archE906ELNS1_3gpuE6ELNS1_3repE0EEENS1_30default_config_static_selectorELNS0_4arch9wavefront6targetE1EEEvT1_,comdat
	.protected	_ZN7rocprim17ROCPRIM_400000_NS6detail17trampoline_kernelINS0_14default_configENS1_29reduce_by_key_config_selectorIN3c108BFloat16ElN6thrust23THRUST_200600_302600_NS4plusIlEEEEZZNS1_33reduce_by_key_impl_wrapped_configILNS1_25lookback_scan_determinismE0ES3_SB_PS6_NS8_17constant_iteratorIiNS8_11use_defaultESG_EENS8_10device_ptrIS6_EENSI_IlEEPmSA_NS8_8equal_toIS6_EEEE10hipError_tPvRmT2_T3_mT4_T5_T6_T7_T8_P12ihipStream_tbENKUlT_T0_E_clISt17integral_constantIbLb1EES14_IbLb0EEEEDaS10_S11_EUlS10_E_NS1_11comp_targetILNS1_3genE2ELNS1_11target_archE906ELNS1_3gpuE6ELNS1_3repE0EEENS1_30default_config_static_selectorELNS0_4arch9wavefront6targetE1EEEvT1_ ; -- Begin function _ZN7rocprim17ROCPRIM_400000_NS6detail17trampoline_kernelINS0_14default_configENS1_29reduce_by_key_config_selectorIN3c108BFloat16ElN6thrust23THRUST_200600_302600_NS4plusIlEEEEZZNS1_33reduce_by_key_impl_wrapped_configILNS1_25lookback_scan_determinismE0ES3_SB_PS6_NS8_17constant_iteratorIiNS8_11use_defaultESG_EENS8_10device_ptrIS6_EENSI_IlEEPmSA_NS8_8equal_toIS6_EEEE10hipError_tPvRmT2_T3_mT4_T5_T6_T7_T8_P12ihipStream_tbENKUlT_T0_E_clISt17integral_constantIbLb1EES14_IbLb0EEEEDaS10_S11_EUlS10_E_NS1_11comp_targetILNS1_3genE2ELNS1_11target_archE906ELNS1_3gpuE6ELNS1_3repE0EEENS1_30default_config_static_selectorELNS0_4arch9wavefront6targetE1EEEvT1_
	.globl	_ZN7rocprim17ROCPRIM_400000_NS6detail17trampoline_kernelINS0_14default_configENS1_29reduce_by_key_config_selectorIN3c108BFloat16ElN6thrust23THRUST_200600_302600_NS4plusIlEEEEZZNS1_33reduce_by_key_impl_wrapped_configILNS1_25lookback_scan_determinismE0ES3_SB_PS6_NS8_17constant_iteratorIiNS8_11use_defaultESG_EENS8_10device_ptrIS6_EENSI_IlEEPmSA_NS8_8equal_toIS6_EEEE10hipError_tPvRmT2_T3_mT4_T5_T6_T7_T8_P12ihipStream_tbENKUlT_T0_E_clISt17integral_constantIbLb1EES14_IbLb0EEEEDaS10_S11_EUlS10_E_NS1_11comp_targetILNS1_3genE2ELNS1_11target_archE906ELNS1_3gpuE6ELNS1_3repE0EEENS1_30default_config_static_selectorELNS0_4arch9wavefront6targetE1EEEvT1_
	.p2align	8
	.type	_ZN7rocprim17ROCPRIM_400000_NS6detail17trampoline_kernelINS0_14default_configENS1_29reduce_by_key_config_selectorIN3c108BFloat16ElN6thrust23THRUST_200600_302600_NS4plusIlEEEEZZNS1_33reduce_by_key_impl_wrapped_configILNS1_25lookback_scan_determinismE0ES3_SB_PS6_NS8_17constant_iteratorIiNS8_11use_defaultESG_EENS8_10device_ptrIS6_EENSI_IlEEPmSA_NS8_8equal_toIS6_EEEE10hipError_tPvRmT2_T3_mT4_T5_T6_T7_T8_P12ihipStream_tbENKUlT_T0_E_clISt17integral_constantIbLb1EES14_IbLb0EEEEDaS10_S11_EUlS10_E_NS1_11comp_targetILNS1_3genE2ELNS1_11target_archE906ELNS1_3gpuE6ELNS1_3repE0EEENS1_30default_config_static_selectorELNS0_4arch9wavefront6targetE1EEEvT1_,@function
_ZN7rocprim17ROCPRIM_400000_NS6detail17trampoline_kernelINS0_14default_configENS1_29reduce_by_key_config_selectorIN3c108BFloat16ElN6thrust23THRUST_200600_302600_NS4plusIlEEEEZZNS1_33reduce_by_key_impl_wrapped_configILNS1_25lookback_scan_determinismE0ES3_SB_PS6_NS8_17constant_iteratorIiNS8_11use_defaultESG_EENS8_10device_ptrIS6_EENSI_IlEEPmSA_NS8_8equal_toIS6_EEEE10hipError_tPvRmT2_T3_mT4_T5_T6_T7_T8_P12ihipStream_tbENKUlT_T0_E_clISt17integral_constantIbLb1EES14_IbLb0EEEEDaS10_S11_EUlS10_E_NS1_11comp_targetILNS1_3genE2ELNS1_11target_archE906ELNS1_3gpuE6ELNS1_3repE0EEENS1_30default_config_static_selectorELNS0_4arch9wavefront6targetE1EEEvT1_: ; @_ZN7rocprim17ROCPRIM_400000_NS6detail17trampoline_kernelINS0_14default_configENS1_29reduce_by_key_config_selectorIN3c108BFloat16ElN6thrust23THRUST_200600_302600_NS4plusIlEEEEZZNS1_33reduce_by_key_impl_wrapped_configILNS1_25lookback_scan_determinismE0ES3_SB_PS6_NS8_17constant_iteratorIiNS8_11use_defaultESG_EENS8_10device_ptrIS6_EENSI_IlEEPmSA_NS8_8equal_toIS6_EEEE10hipError_tPvRmT2_T3_mT4_T5_T6_T7_T8_P12ihipStream_tbENKUlT_T0_E_clISt17integral_constantIbLb1EES14_IbLb0EEEEDaS10_S11_EUlS10_E_NS1_11comp_targetILNS1_3genE2ELNS1_11target_archE906ELNS1_3gpuE6ELNS1_3repE0EEENS1_30default_config_static_selectorELNS0_4arch9wavefront6targetE1EEEvT1_
; %bb.0:
	.section	.rodata,"a",@progbits
	.p2align	6, 0x0
	.amdhsa_kernel _ZN7rocprim17ROCPRIM_400000_NS6detail17trampoline_kernelINS0_14default_configENS1_29reduce_by_key_config_selectorIN3c108BFloat16ElN6thrust23THRUST_200600_302600_NS4plusIlEEEEZZNS1_33reduce_by_key_impl_wrapped_configILNS1_25lookback_scan_determinismE0ES3_SB_PS6_NS8_17constant_iteratorIiNS8_11use_defaultESG_EENS8_10device_ptrIS6_EENSI_IlEEPmSA_NS8_8equal_toIS6_EEEE10hipError_tPvRmT2_T3_mT4_T5_T6_T7_T8_P12ihipStream_tbENKUlT_T0_E_clISt17integral_constantIbLb1EES14_IbLb0EEEEDaS10_S11_EUlS10_E_NS1_11comp_targetILNS1_3genE2ELNS1_11target_archE906ELNS1_3gpuE6ELNS1_3repE0EEENS1_30default_config_static_selectorELNS0_4arch9wavefront6targetE1EEEvT1_
		.amdhsa_group_segment_fixed_size 0
		.amdhsa_private_segment_fixed_size 0
		.amdhsa_kernarg_size 144
		.amdhsa_user_sgpr_count 6
		.amdhsa_user_sgpr_private_segment_buffer 1
		.amdhsa_user_sgpr_dispatch_ptr 0
		.amdhsa_user_sgpr_queue_ptr 0
		.amdhsa_user_sgpr_kernarg_segment_ptr 1
		.amdhsa_user_sgpr_dispatch_id 0
		.amdhsa_user_sgpr_flat_scratch_init 0
		.amdhsa_user_sgpr_kernarg_preload_length 0
		.amdhsa_user_sgpr_kernarg_preload_offset 0
		.amdhsa_user_sgpr_private_segment_size 0
		.amdhsa_uses_dynamic_stack 0
		.amdhsa_system_sgpr_private_segment_wavefront_offset 0
		.amdhsa_system_sgpr_workgroup_id_x 1
		.amdhsa_system_sgpr_workgroup_id_y 0
		.amdhsa_system_sgpr_workgroup_id_z 0
		.amdhsa_system_sgpr_workgroup_info 0
		.amdhsa_system_vgpr_workitem_id 0
		.amdhsa_next_free_vgpr 1
		.amdhsa_next_free_sgpr 0
		.amdhsa_accum_offset 4
		.amdhsa_reserve_vcc 0
		.amdhsa_reserve_flat_scratch 0
		.amdhsa_float_round_mode_32 0
		.amdhsa_float_round_mode_16_64 0
		.amdhsa_float_denorm_mode_32 3
		.amdhsa_float_denorm_mode_16_64 3
		.amdhsa_dx10_clamp 1
		.amdhsa_ieee_mode 1
		.amdhsa_fp16_overflow 0
		.amdhsa_tg_split 0
		.amdhsa_exception_fp_ieee_invalid_op 0
		.amdhsa_exception_fp_denorm_src 0
		.amdhsa_exception_fp_ieee_div_zero 0
		.amdhsa_exception_fp_ieee_overflow 0
		.amdhsa_exception_fp_ieee_underflow 0
		.amdhsa_exception_fp_ieee_inexact 0
		.amdhsa_exception_int_div_zero 0
	.end_amdhsa_kernel
	.section	.text._ZN7rocprim17ROCPRIM_400000_NS6detail17trampoline_kernelINS0_14default_configENS1_29reduce_by_key_config_selectorIN3c108BFloat16ElN6thrust23THRUST_200600_302600_NS4plusIlEEEEZZNS1_33reduce_by_key_impl_wrapped_configILNS1_25lookback_scan_determinismE0ES3_SB_PS6_NS8_17constant_iteratorIiNS8_11use_defaultESG_EENS8_10device_ptrIS6_EENSI_IlEEPmSA_NS8_8equal_toIS6_EEEE10hipError_tPvRmT2_T3_mT4_T5_T6_T7_T8_P12ihipStream_tbENKUlT_T0_E_clISt17integral_constantIbLb1EES14_IbLb0EEEEDaS10_S11_EUlS10_E_NS1_11comp_targetILNS1_3genE2ELNS1_11target_archE906ELNS1_3gpuE6ELNS1_3repE0EEENS1_30default_config_static_selectorELNS0_4arch9wavefront6targetE1EEEvT1_,"axG",@progbits,_ZN7rocprim17ROCPRIM_400000_NS6detail17trampoline_kernelINS0_14default_configENS1_29reduce_by_key_config_selectorIN3c108BFloat16ElN6thrust23THRUST_200600_302600_NS4plusIlEEEEZZNS1_33reduce_by_key_impl_wrapped_configILNS1_25lookback_scan_determinismE0ES3_SB_PS6_NS8_17constant_iteratorIiNS8_11use_defaultESG_EENS8_10device_ptrIS6_EENSI_IlEEPmSA_NS8_8equal_toIS6_EEEE10hipError_tPvRmT2_T3_mT4_T5_T6_T7_T8_P12ihipStream_tbENKUlT_T0_E_clISt17integral_constantIbLb1EES14_IbLb0EEEEDaS10_S11_EUlS10_E_NS1_11comp_targetILNS1_3genE2ELNS1_11target_archE906ELNS1_3gpuE6ELNS1_3repE0EEENS1_30default_config_static_selectorELNS0_4arch9wavefront6targetE1EEEvT1_,comdat
.Lfunc_end2075:
	.size	_ZN7rocprim17ROCPRIM_400000_NS6detail17trampoline_kernelINS0_14default_configENS1_29reduce_by_key_config_selectorIN3c108BFloat16ElN6thrust23THRUST_200600_302600_NS4plusIlEEEEZZNS1_33reduce_by_key_impl_wrapped_configILNS1_25lookback_scan_determinismE0ES3_SB_PS6_NS8_17constant_iteratorIiNS8_11use_defaultESG_EENS8_10device_ptrIS6_EENSI_IlEEPmSA_NS8_8equal_toIS6_EEEE10hipError_tPvRmT2_T3_mT4_T5_T6_T7_T8_P12ihipStream_tbENKUlT_T0_E_clISt17integral_constantIbLb1EES14_IbLb0EEEEDaS10_S11_EUlS10_E_NS1_11comp_targetILNS1_3genE2ELNS1_11target_archE906ELNS1_3gpuE6ELNS1_3repE0EEENS1_30default_config_static_selectorELNS0_4arch9wavefront6targetE1EEEvT1_, .Lfunc_end2075-_ZN7rocprim17ROCPRIM_400000_NS6detail17trampoline_kernelINS0_14default_configENS1_29reduce_by_key_config_selectorIN3c108BFloat16ElN6thrust23THRUST_200600_302600_NS4plusIlEEEEZZNS1_33reduce_by_key_impl_wrapped_configILNS1_25lookback_scan_determinismE0ES3_SB_PS6_NS8_17constant_iteratorIiNS8_11use_defaultESG_EENS8_10device_ptrIS6_EENSI_IlEEPmSA_NS8_8equal_toIS6_EEEE10hipError_tPvRmT2_T3_mT4_T5_T6_T7_T8_P12ihipStream_tbENKUlT_T0_E_clISt17integral_constantIbLb1EES14_IbLb0EEEEDaS10_S11_EUlS10_E_NS1_11comp_targetILNS1_3genE2ELNS1_11target_archE906ELNS1_3gpuE6ELNS1_3repE0EEENS1_30default_config_static_selectorELNS0_4arch9wavefront6targetE1EEEvT1_
                                        ; -- End function
	.section	.AMDGPU.csdata,"",@progbits
; Kernel info:
; codeLenInByte = 0
; NumSgprs: 4
; NumVgprs: 0
; NumAgprs: 0
; TotalNumVgprs: 0
; ScratchSize: 0
; MemoryBound: 0
; FloatMode: 240
; IeeeMode: 1
; LDSByteSize: 0 bytes/workgroup (compile time only)
; SGPRBlocks: 0
; VGPRBlocks: 0
; NumSGPRsForWavesPerEU: 4
; NumVGPRsForWavesPerEU: 1
; AccumOffset: 4
; Occupancy: 8
; WaveLimiterHint : 0
; COMPUTE_PGM_RSRC2:SCRATCH_EN: 0
; COMPUTE_PGM_RSRC2:USER_SGPR: 6
; COMPUTE_PGM_RSRC2:TRAP_HANDLER: 0
; COMPUTE_PGM_RSRC2:TGID_X_EN: 1
; COMPUTE_PGM_RSRC2:TGID_Y_EN: 0
; COMPUTE_PGM_RSRC2:TGID_Z_EN: 0
; COMPUTE_PGM_RSRC2:TIDIG_COMP_CNT: 0
; COMPUTE_PGM_RSRC3_GFX90A:ACCUM_OFFSET: 0
; COMPUTE_PGM_RSRC3_GFX90A:TG_SPLIT: 0
	.section	.text._ZN7rocprim17ROCPRIM_400000_NS6detail17trampoline_kernelINS0_14default_configENS1_29reduce_by_key_config_selectorIN3c108BFloat16ElN6thrust23THRUST_200600_302600_NS4plusIlEEEEZZNS1_33reduce_by_key_impl_wrapped_configILNS1_25lookback_scan_determinismE0ES3_SB_PS6_NS8_17constant_iteratorIiNS8_11use_defaultESG_EENS8_10device_ptrIS6_EENSI_IlEEPmSA_NS8_8equal_toIS6_EEEE10hipError_tPvRmT2_T3_mT4_T5_T6_T7_T8_P12ihipStream_tbENKUlT_T0_E_clISt17integral_constantIbLb1EES14_IbLb0EEEEDaS10_S11_EUlS10_E_NS1_11comp_targetILNS1_3genE10ELNS1_11target_archE1201ELNS1_3gpuE5ELNS1_3repE0EEENS1_30default_config_static_selectorELNS0_4arch9wavefront6targetE1EEEvT1_,"axG",@progbits,_ZN7rocprim17ROCPRIM_400000_NS6detail17trampoline_kernelINS0_14default_configENS1_29reduce_by_key_config_selectorIN3c108BFloat16ElN6thrust23THRUST_200600_302600_NS4plusIlEEEEZZNS1_33reduce_by_key_impl_wrapped_configILNS1_25lookback_scan_determinismE0ES3_SB_PS6_NS8_17constant_iteratorIiNS8_11use_defaultESG_EENS8_10device_ptrIS6_EENSI_IlEEPmSA_NS8_8equal_toIS6_EEEE10hipError_tPvRmT2_T3_mT4_T5_T6_T7_T8_P12ihipStream_tbENKUlT_T0_E_clISt17integral_constantIbLb1EES14_IbLb0EEEEDaS10_S11_EUlS10_E_NS1_11comp_targetILNS1_3genE10ELNS1_11target_archE1201ELNS1_3gpuE5ELNS1_3repE0EEENS1_30default_config_static_selectorELNS0_4arch9wavefront6targetE1EEEvT1_,comdat
	.protected	_ZN7rocprim17ROCPRIM_400000_NS6detail17trampoline_kernelINS0_14default_configENS1_29reduce_by_key_config_selectorIN3c108BFloat16ElN6thrust23THRUST_200600_302600_NS4plusIlEEEEZZNS1_33reduce_by_key_impl_wrapped_configILNS1_25lookback_scan_determinismE0ES3_SB_PS6_NS8_17constant_iteratorIiNS8_11use_defaultESG_EENS8_10device_ptrIS6_EENSI_IlEEPmSA_NS8_8equal_toIS6_EEEE10hipError_tPvRmT2_T3_mT4_T5_T6_T7_T8_P12ihipStream_tbENKUlT_T0_E_clISt17integral_constantIbLb1EES14_IbLb0EEEEDaS10_S11_EUlS10_E_NS1_11comp_targetILNS1_3genE10ELNS1_11target_archE1201ELNS1_3gpuE5ELNS1_3repE0EEENS1_30default_config_static_selectorELNS0_4arch9wavefront6targetE1EEEvT1_ ; -- Begin function _ZN7rocprim17ROCPRIM_400000_NS6detail17trampoline_kernelINS0_14default_configENS1_29reduce_by_key_config_selectorIN3c108BFloat16ElN6thrust23THRUST_200600_302600_NS4plusIlEEEEZZNS1_33reduce_by_key_impl_wrapped_configILNS1_25lookback_scan_determinismE0ES3_SB_PS6_NS8_17constant_iteratorIiNS8_11use_defaultESG_EENS8_10device_ptrIS6_EENSI_IlEEPmSA_NS8_8equal_toIS6_EEEE10hipError_tPvRmT2_T3_mT4_T5_T6_T7_T8_P12ihipStream_tbENKUlT_T0_E_clISt17integral_constantIbLb1EES14_IbLb0EEEEDaS10_S11_EUlS10_E_NS1_11comp_targetILNS1_3genE10ELNS1_11target_archE1201ELNS1_3gpuE5ELNS1_3repE0EEENS1_30default_config_static_selectorELNS0_4arch9wavefront6targetE1EEEvT1_
	.globl	_ZN7rocprim17ROCPRIM_400000_NS6detail17trampoline_kernelINS0_14default_configENS1_29reduce_by_key_config_selectorIN3c108BFloat16ElN6thrust23THRUST_200600_302600_NS4plusIlEEEEZZNS1_33reduce_by_key_impl_wrapped_configILNS1_25lookback_scan_determinismE0ES3_SB_PS6_NS8_17constant_iteratorIiNS8_11use_defaultESG_EENS8_10device_ptrIS6_EENSI_IlEEPmSA_NS8_8equal_toIS6_EEEE10hipError_tPvRmT2_T3_mT4_T5_T6_T7_T8_P12ihipStream_tbENKUlT_T0_E_clISt17integral_constantIbLb1EES14_IbLb0EEEEDaS10_S11_EUlS10_E_NS1_11comp_targetILNS1_3genE10ELNS1_11target_archE1201ELNS1_3gpuE5ELNS1_3repE0EEENS1_30default_config_static_selectorELNS0_4arch9wavefront6targetE1EEEvT1_
	.p2align	8
	.type	_ZN7rocprim17ROCPRIM_400000_NS6detail17trampoline_kernelINS0_14default_configENS1_29reduce_by_key_config_selectorIN3c108BFloat16ElN6thrust23THRUST_200600_302600_NS4plusIlEEEEZZNS1_33reduce_by_key_impl_wrapped_configILNS1_25lookback_scan_determinismE0ES3_SB_PS6_NS8_17constant_iteratorIiNS8_11use_defaultESG_EENS8_10device_ptrIS6_EENSI_IlEEPmSA_NS8_8equal_toIS6_EEEE10hipError_tPvRmT2_T3_mT4_T5_T6_T7_T8_P12ihipStream_tbENKUlT_T0_E_clISt17integral_constantIbLb1EES14_IbLb0EEEEDaS10_S11_EUlS10_E_NS1_11comp_targetILNS1_3genE10ELNS1_11target_archE1201ELNS1_3gpuE5ELNS1_3repE0EEENS1_30default_config_static_selectorELNS0_4arch9wavefront6targetE1EEEvT1_,@function
_ZN7rocprim17ROCPRIM_400000_NS6detail17trampoline_kernelINS0_14default_configENS1_29reduce_by_key_config_selectorIN3c108BFloat16ElN6thrust23THRUST_200600_302600_NS4plusIlEEEEZZNS1_33reduce_by_key_impl_wrapped_configILNS1_25lookback_scan_determinismE0ES3_SB_PS6_NS8_17constant_iteratorIiNS8_11use_defaultESG_EENS8_10device_ptrIS6_EENSI_IlEEPmSA_NS8_8equal_toIS6_EEEE10hipError_tPvRmT2_T3_mT4_T5_T6_T7_T8_P12ihipStream_tbENKUlT_T0_E_clISt17integral_constantIbLb1EES14_IbLb0EEEEDaS10_S11_EUlS10_E_NS1_11comp_targetILNS1_3genE10ELNS1_11target_archE1201ELNS1_3gpuE5ELNS1_3repE0EEENS1_30default_config_static_selectorELNS0_4arch9wavefront6targetE1EEEvT1_: ; @_ZN7rocprim17ROCPRIM_400000_NS6detail17trampoline_kernelINS0_14default_configENS1_29reduce_by_key_config_selectorIN3c108BFloat16ElN6thrust23THRUST_200600_302600_NS4plusIlEEEEZZNS1_33reduce_by_key_impl_wrapped_configILNS1_25lookback_scan_determinismE0ES3_SB_PS6_NS8_17constant_iteratorIiNS8_11use_defaultESG_EENS8_10device_ptrIS6_EENSI_IlEEPmSA_NS8_8equal_toIS6_EEEE10hipError_tPvRmT2_T3_mT4_T5_T6_T7_T8_P12ihipStream_tbENKUlT_T0_E_clISt17integral_constantIbLb1EES14_IbLb0EEEEDaS10_S11_EUlS10_E_NS1_11comp_targetILNS1_3genE10ELNS1_11target_archE1201ELNS1_3gpuE5ELNS1_3repE0EEENS1_30default_config_static_selectorELNS0_4arch9wavefront6targetE1EEEvT1_
; %bb.0:
	.section	.rodata,"a",@progbits
	.p2align	6, 0x0
	.amdhsa_kernel _ZN7rocprim17ROCPRIM_400000_NS6detail17trampoline_kernelINS0_14default_configENS1_29reduce_by_key_config_selectorIN3c108BFloat16ElN6thrust23THRUST_200600_302600_NS4plusIlEEEEZZNS1_33reduce_by_key_impl_wrapped_configILNS1_25lookback_scan_determinismE0ES3_SB_PS6_NS8_17constant_iteratorIiNS8_11use_defaultESG_EENS8_10device_ptrIS6_EENSI_IlEEPmSA_NS8_8equal_toIS6_EEEE10hipError_tPvRmT2_T3_mT4_T5_T6_T7_T8_P12ihipStream_tbENKUlT_T0_E_clISt17integral_constantIbLb1EES14_IbLb0EEEEDaS10_S11_EUlS10_E_NS1_11comp_targetILNS1_3genE10ELNS1_11target_archE1201ELNS1_3gpuE5ELNS1_3repE0EEENS1_30default_config_static_selectorELNS0_4arch9wavefront6targetE1EEEvT1_
		.amdhsa_group_segment_fixed_size 0
		.amdhsa_private_segment_fixed_size 0
		.amdhsa_kernarg_size 144
		.amdhsa_user_sgpr_count 6
		.amdhsa_user_sgpr_private_segment_buffer 1
		.amdhsa_user_sgpr_dispatch_ptr 0
		.amdhsa_user_sgpr_queue_ptr 0
		.amdhsa_user_sgpr_kernarg_segment_ptr 1
		.amdhsa_user_sgpr_dispatch_id 0
		.amdhsa_user_sgpr_flat_scratch_init 0
		.amdhsa_user_sgpr_kernarg_preload_length 0
		.amdhsa_user_sgpr_kernarg_preload_offset 0
		.amdhsa_user_sgpr_private_segment_size 0
		.amdhsa_uses_dynamic_stack 0
		.amdhsa_system_sgpr_private_segment_wavefront_offset 0
		.amdhsa_system_sgpr_workgroup_id_x 1
		.amdhsa_system_sgpr_workgroup_id_y 0
		.amdhsa_system_sgpr_workgroup_id_z 0
		.amdhsa_system_sgpr_workgroup_info 0
		.amdhsa_system_vgpr_workitem_id 0
		.amdhsa_next_free_vgpr 1
		.amdhsa_next_free_sgpr 0
		.amdhsa_accum_offset 4
		.amdhsa_reserve_vcc 0
		.amdhsa_reserve_flat_scratch 0
		.amdhsa_float_round_mode_32 0
		.amdhsa_float_round_mode_16_64 0
		.amdhsa_float_denorm_mode_32 3
		.amdhsa_float_denorm_mode_16_64 3
		.amdhsa_dx10_clamp 1
		.amdhsa_ieee_mode 1
		.amdhsa_fp16_overflow 0
		.amdhsa_tg_split 0
		.amdhsa_exception_fp_ieee_invalid_op 0
		.amdhsa_exception_fp_denorm_src 0
		.amdhsa_exception_fp_ieee_div_zero 0
		.amdhsa_exception_fp_ieee_overflow 0
		.amdhsa_exception_fp_ieee_underflow 0
		.amdhsa_exception_fp_ieee_inexact 0
		.amdhsa_exception_int_div_zero 0
	.end_amdhsa_kernel
	.section	.text._ZN7rocprim17ROCPRIM_400000_NS6detail17trampoline_kernelINS0_14default_configENS1_29reduce_by_key_config_selectorIN3c108BFloat16ElN6thrust23THRUST_200600_302600_NS4plusIlEEEEZZNS1_33reduce_by_key_impl_wrapped_configILNS1_25lookback_scan_determinismE0ES3_SB_PS6_NS8_17constant_iteratorIiNS8_11use_defaultESG_EENS8_10device_ptrIS6_EENSI_IlEEPmSA_NS8_8equal_toIS6_EEEE10hipError_tPvRmT2_T3_mT4_T5_T6_T7_T8_P12ihipStream_tbENKUlT_T0_E_clISt17integral_constantIbLb1EES14_IbLb0EEEEDaS10_S11_EUlS10_E_NS1_11comp_targetILNS1_3genE10ELNS1_11target_archE1201ELNS1_3gpuE5ELNS1_3repE0EEENS1_30default_config_static_selectorELNS0_4arch9wavefront6targetE1EEEvT1_,"axG",@progbits,_ZN7rocprim17ROCPRIM_400000_NS6detail17trampoline_kernelINS0_14default_configENS1_29reduce_by_key_config_selectorIN3c108BFloat16ElN6thrust23THRUST_200600_302600_NS4plusIlEEEEZZNS1_33reduce_by_key_impl_wrapped_configILNS1_25lookback_scan_determinismE0ES3_SB_PS6_NS8_17constant_iteratorIiNS8_11use_defaultESG_EENS8_10device_ptrIS6_EENSI_IlEEPmSA_NS8_8equal_toIS6_EEEE10hipError_tPvRmT2_T3_mT4_T5_T6_T7_T8_P12ihipStream_tbENKUlT_T0_E_clISt17integral_constantIbLb1EES14_IbLb0EEEEDaS10_S11_EUlS10_E_NS1_11comp_targetILNS1_3genE10ELNS1_11target_archE1201ELNS1_3gpuE5ELNS1_3repE0EEENS1_30default_config_static_selectorELNS0_4arch9wavefront6targetE1EEEvT1_,comdat
.Lfunc_end2076:
	.size	_ZN7rocprim17ROCPRIM_400000_NS6detail17trampoline_kernelINS0_14default_configENS1_29reduce_by_key_config_selectorIN3c108BFloat16ElN6thrust23THRUST_200600_302600_NS4plusIlEEEEZZNS1_33reduce_by_key_impl_wrapped_configILNS1_25lookback_scan_determinismE0ES3_SB_PS6_NS8_17constant_iteratorIiNS8_11use_defaultESG_EENS8_10device_ptrIS6_EENSI_IlEEPmSA_NS8_8equal_toIS6_EEEE10hipError_tPvRmT2_T3_mT4_T5_T6_T7_T8_P12ihipStream_tbENKUlT_T0_E_clISt17integral_constantIbLb1EES14_IbLb0EEEEDaS10_S11_EUlS10_E_NS1_11comp_targetILNS1_3genE10ELNS1_11target_archE1201ELNS1_3gpuE5ELNS1_3repE0EEENS1_30default_config_static_selectorELNS0_4arch9wavefront6targetE1EEEvT1_, .Lfunc_end2076-_ZN7rocprim17ROCPRIM_400000_NS6detail17trampoline_kernelINS0_14default_configENS1_29reduce_by_key_config_selectorIN3c108BFloat16ElN6thrust23THRUST_200600_302600_NS4plusIlEEEEZZNS1_33reduce_by_key_impl_wrapped_configILNS1_25lookback_scan_determinismE0ES3_SB_PS6_NS8_17constant_iteratorIiNS8_11use_defaultESG_EENS8_10device_ptrIS6_EENSI_IlEEPmSA_NS8_8equal_toIS6_EEEE10hipError_tPvRmT2_T3_mT4_T5_T6_T7_T8_P12ihipStream_tbENKUlT_T0_E_clISt17integral_constantIbLb1EES14_IbLb0EEEEDaS10_S11_EUlS10_E_NS1_11comp_targetILNS1_3genE10ELNS1_11target_archE1201ELNS1_3gpuE5ELNS1_3repE0EEENS1_30default_config_static_selectorELNS0_4arch9wavefront6targetE1EEEvT1_
                                        ; -- End function
	.section	.AMDGPU.csdata,"",@progbits
; Kernel info:
; codeLenInByte = 0
; NumSgprs: 4
; NumVgprs: 0
; NumAgprs: 0
; TotalNumVgprs: 0
; ScratchSize: 0
; MemoryBound: 0
; FloatMode: 240
; IeeeMode: 1
; LDSByteSize: 0 bytes/workgroup (compile time only)
; SGPRBlocks: 0
; VGPRBlocks: 0
; NumSGPRsForWavesPerEU: 4
; NumVGPRsForWavesPerEU: 1
; AccumOffset: 4
; Occupancy: 8
; WaveLimiterHint : 0
; COMPUTE_PGM_RSRC2:SCRATCH_EN: 0
; COMPUTE_PGM_RSRC2:USER_SGPR: 6
; COMPUTE_PGM_RSRC2:TRAP_HANDLER: 0
; COMPUTE_PGM_RSRC2:TGID_X_EN: 1
; COMPUTE_PGM_RSRC2:TGID_Y_EN: 0
; COMPUTE_PGM_RSRC2:TGID_Z_EN: 0
; COMPUTE_PGM_RSRC2:TIDIG_COMP_CNT: 0
; COMPUTE_PGM_RSRC3_GFX90A:ACCUM_OFFSET: 0
; COMPUTE_PGM_RSRC3_GFX90A:TG_SPLIT: 0
	.section	.text._ZN7rocprim17ROCPRIM_400000_NS6detail17trampoline_kernelINS0_14default_configENS1_29reduce_by_key_config_selectorIN3c108BFloat16ElN6thrust23THRUST_200600_302600_NS4plusIlEEEEZZNS1_33reduce_by_key_impl_wrapped_configILNS1_25lookback_scan_determinismE0ES3_SB_PS6_NS8_17constant_iteratorIiNS8_11use_defaultESG_EENS8_10device_ptrIS6_EENSI_IlEEPmSA_NS8_8equal_toIS6_EEEE10hipError_tPvRmT2_T3_mT4_T5_T6_T7_T8_P12ihipStream_tbENKUlT_T0_E_clISt17integral_constantIbLb1EES14_IbLb0EEEEDaS10_S11_EUlS10_E_NS1_11comp_targetILNS1_3genE10ELNS1_11target_archE1200ELNS1_3gpuE4ELNS1_3repE0EEENS1_30default_config_static_selectorELNS0_4arch9wavefront6targetE1EEEvT1_,"axG",@progbits,_ZN7rocprim17ROCPRIM_400000_NS6detail17trampoline_kernelINS0_14default_configENS1_29reduce_by_key_config_selectorIN3c108BFloat16ElN6thrust23THRUST_200600_302600_NS4plusIlEEEEZZNS1_33reduce_by_key_impl_wrapped_configILNS1_25lookback_scan_determinismE0ES3_SB_PS6_NS8_17constant_iteratorIiNS8_11use_defaultESG_EENS8_10device_ptrIS6_EENSI_IlEEPmSA_NS8_8equal_toIS6_EEEE10hipError_tPvRmT2_T3_mT4_T5_T6_T7_T8_P12ihipStream_tbENKUlT_T0_E_clISt17integral_constantIbLb1EES14_IbLb0EEEEDaS10_S11_EUlS10_E_NS1_11comp_targetILNS1_3genE10ELNS1_11target_archE1200ELNS1_3gpuE4ELNS1_3repE0EEENS1_30default_config_static_selectorELNS0_4arch9wavefront6targetE1EEEvT1_,comdat
	.protected	_ZN7rocprim17ROCPRIM_400000_NS6detail17trampoline_kernelINS0_14default_configENS1_29reduce_by_key_config_selectorIN3c108BFloat16ElN6thrust23THRUST_200600_302600_NS4plusIlEEEEZZNS1_33reduce_by_key_impl_wrapped_configILNS1_25lookback_scan_determinismE0ES3_SB_PS6_NS8_17constant_iteratorIiNS8_11use_defaultESG_EENS8_10device_ptrIS6_EENSI_IlEEPmSA_NS8_8equal_toIS6_EEEE10hipError_tPvRmT2_T3_mT4_T5_T6_T7_T8_P12ihipStream_tbENKUlT_T0_E_clISt17integral_constantIbLb1EES14_IbLb0EEEEDaS10_S11_EUlS10_E_NS1_11comp_targetILNS1_3genE10ELNS1_11target_archE1200ELNS1_3gpuE4ELNS1_3repE0EEENS1_30default_config_static_selectorELNS0_4arch9wavefront6targetE1EEEvT1_ ; -- Begin function _ZN7rocprim17ROCPRIM_400000_NS6detail17trampoline_kernelINS0_14default_configENS1_29reduce_by_key_config_selectorIN3c108BFloat16ElN6thrust23THRUST_200600_302600_NS4plusIlEEEEZZNS1_33reduce_by_key_impl_wrapped_configILNS1_25lookback_scan_determinismE0ES3_SB_PS6_NS8_17constant_iteratorIiNS8_11use_defaultESG_EENS8_10device_ptrIS6_EENSI_IlEEPmSA_NS8_8equal_toIS6_EEEE10hipError_tPvRmT2_T3_mT4_T5_T6_T7_T8_P12ihipStream_tbENKUlT_T0_E_clISt17integral_constantIbLb1EES14_IbLb0EEEEDaS10_S11_EUlS10_E_NS1_11comp_targetILNS1_3genE10ELNS1_11target_archE1200ELNS1_3gpuE4ELNS1_3repE0EEENS1_30default_config_static_selectorELNS0_4arch9wavefront6targetE1EEEvT1_
	.globl	_ZN7rocprim17ROCPRIM_400000_NS6detail17trampoline_kernelINS0_14default_configENS1_29reduce_by_key_config_selectorIN3c108BFloat16ElN6thrust23THRUST_200600_302600_NS4plusIlEEEEZZNS1_33reduce_by_key_impl_wrapped_configILNS1_25lookback_scan_determinismE0ES3_SB_PS6_NS8_17constant_iteratorIiNS8_11use_defaultESG_EENS8_10device_ptrIS6_EENSI_IlEEPmSA_NS8_8equal_toIS6_EEEE10hipError_tPvRmT2_T3_mT4_T5_T6_T7_T8_P12ihipStream_tbENKUlT_T0_E_clISt17integral_constantIbLb1EES14_IbLb0EEEEDaS10_S11_EUlS10_E_NS1_11comp_targetILNS1_3genE10ELNS1_11target_archE1200ELNS1_3gpuE4ELNS1_3repE0EEENS1_30default_config_static_selectorELNS0_4arch9wavefront6targetE1EEEvT1_
	.p2align	8
	.type	_ZN7rocprim17ROCPRIM_400000_NS6detail17trampoline_kernelINS0_14default_configENS1_29reduce_by_key_config_selectorIN3c108BFloat16ElN6thrust23THRUST_200600_302600_NS4plusIlEEEEZZNS1_33reduce_by_key_impl_wrapped_configILNS1_25lookback_scan_determinismE0ES3_SB_PS6_NS8_17constant_iteratorIiNS8_11use_defaultESG_EENS8_10device_ptrIS6_EENSI_IlEEPmSA_NS8_8equal_toIS6_EEEE10hipError_tPvRmT2_T3_mT4_T5_T6_T7_T8_P12ihipStream_tbENKUlT_T0_E_clISt17integral_constantIbLb1EES14_IbLb0EEEEDaS10_S11_EUlS10_E_NS1_11comp_targetILNS1_3genE10ELNS1_11target_archE1200ELNS1_3gpuE4ELNS1_3repE0EEENS1_30default_config_static_selectorELNS0_4arch9wavefront6targetE1EEEvT1_,@function
_ZN7rocprim17ROCPRIM_400000_NS6detail17trampoline_kernelINS0_14default_configENS1_29reduce_by_key_config_selectorIN3c108BFloat16ElN6thrust23THRUST_200600_302600_NS4plusIlEEEEZZNS1_33reduce_by_key_impl_wrapped_configILNS1_25lookback_scan_determinismE0ES3_SB_PS6_NS8_17constant_iteratorIiNS8_11use_defaultESG_EENS8_10device_ptrIS6_EENSI_IlEEPmSA_NS8_8equal_toIS6_EEEE10hipError_tPvRmT2_T3_mT4_T5_T6_T7_T8_P12ihipStream_tbENKUlT_T0_E_clISt17integral_constantIbLb1EES14_IbLb0EEEEDaS10_S11_EUlS10_E_NS1_11comp_targetILNS1_3genE10ELNS1_11target_archE1200ELNS1_3gpuE4ELNS1_3repE0EEENS1_30default_config_static_selectorELNS0_4arch9wavefront6targetE1EEEvT1_: ; @_ZN7rocprim17ROCPRIM_400000_NS6detail17trampoline_kernelINS0_14default_configENS1_29reduce_by_key_config_selectorIN3c108BFloat16ElN6thrust23THRUST_200600_302600_NS4plusIlEEEEZZNS1_33reduce_by_key_impl_wrapped_configILNS1_25lookback_scan_determinismE0ES3_SB_PS6_NS8_17constant_iteratorIiNS8_11use_defaultESG_EENS8_10device_ptrIS6_EENSI_IlEEPmSA_NS8_8equal_toIS6_EEEE10hipError_tPvRmT2_T3_mT4_T5_T6_T7_T8_P12ihipStream_tbENKUlT_T0_E_clISt17integral_constantIbLb1EES14_IbLb0EEEEDaS10_S11_EUlS10_E_NS1_11comp_targetILNS1_3genE10ELNS1_11target_archE1200ELNS1_3gpuE4ELNS1_3repE0EEENS1_30default_config_static_selectorELNS0_4arch9wavefront6targetE1EEEvT1_
; %bb.0:
	.section	.rodata,"a",@progbits
	.p2align	6, 0x0
	.amdhsa_kernel _ZN7rocprim17ROCPRIM_400000_NS6detail17trampoline_kernelINS0_14default_configENS1_29reduce_by_key_config_selectorIN3c108BFloat16ElN6thrust23THRUST_200600_302600_NS4plusIlEEEEZZNS1_33reduce_by_key_impl_wrapped_configILNS1_25lookback_scan_determinismE0ES3_SB_PS6_NS8_17constant_iteratorIiNS8_11use_defaultESG_EENS8_10device_ptrIS6_EENSI_IlEEPmSA_NS8_8equal_toIS6_EEEE10hipError_tPvRmT2_T3_mT4_T5_T6_T7_T8_P12ihipStream_tbENKUlT_T0_E_clISt17integral_constantIbLb1EES14_IbLb0EEEEDaS10_S11_EUlS10_E_NS1_11comp_targetILNS1_3genE10ELNS1_11target_archE1200ELNS1_3gpuE4ELNS1_3repE0EEENS1_30default_config_static_selectorELNS0_4arch9wavefront6targetE1EEEvT1_
		.amdhsa_group_segment_fixed_size 0
		.amdhsa_private_segment_fixed_size 0
		.amdhsa_kernarg_size 144
		.amdhsa_user_sgpr_count 6
		.amdhsa_user_sgpr_private_segment_buffer 1
		.amdhsa_user_sgpr_dispatch_ptr 0
		.amdhsa_user_sgpr_queue_ptr 0
		.amdhsa_user_sgpr_kernarg_segment_ptr 1
		.amdhsa_user_sgpr_dispatch_id 0
		.amdhsa_user_sgpr_flat_scratch_init 0
		.amdhsa_user_sgpr_kernarg_preload_length 0
		.amdhsa_user_sgpr_kernarg_preload_offset 0
		.amdhsa_user_sgpr_private_segment_size 0
		.amdhsa_uses_dynamic_stack 0
		.amdhsa_system_sgpr_private_segment_wavefront_offset 0
		.amdhsa_system_sgpr_workgroup_id_x 1
		.amdhsa_system_sgpr_workgroup_id_y 0
		.amdhsa_system_sgpr_workgroup_id_z 0
		.amdhsa_system_sgpr_workgroup_info 0
		.amdhsa_system_vgpr_workitem_id 0
		.amdhsa_next_free_vgpr 1
		.amdhsa_next_free_sgpr 0
		.amdhsa_accum_offset 4
		.amdhsa_reserve_vcc 0
		.amdhsa_reserve_flat_scratch 0
		.amdhsa_float_round_mode_32 0
		.amdhsa_float_round_mode_16_64 0
		.amdhsa_float_denorm_mode_32 3
		.amdhsa_float_denorm_mode_16_64 3
		.amdhsa_dx10_clamp 1
		.amdhsa_ieee_mode 1
		.amdhsa_fp16_overflow 0
		.amdhsa_tg_split 0
		.amdhsa_exception_fp_ieee_invalid_op 0
		.amdhsa_exception_fp_denorm_src 0
		.amdhsa_exception_fp_ieee_div_zero 0
		.amdhsa_exception_fp_ieee_overflow 0
		.amdhsa_exception_fp_ieee_underflow 0
		.amdhsa_exception_fp_ieee_inexact 0
		.amdhsa_exception_int_div_zero 0
	.end_amdhsa_kernel
	.section	.text._ZN7rocprim17ROCPRIM_400000_NS6detail17trampoline_kernelINS0_14default_configENS1_29reduce_by_key_config_selectorIN3c108BFloat16ElN6thrust23THRUST_200600_302600_NS4plusIlEEEEZZNS1_33reduce_by_key_impl_wrapped_configILNS1_25lookback_scan_determinismE0ES3_SB_PS6_NS8_17constant_iteratorIiNS8_11use_defaultESG_EENS8_10device_ptrIS6_EENSI_IlEEPmSA_NS8_8equal_toIS6_EEEE10hipError_tPvRmT2_T3_mT4_T5_T6_T7_T8_P12ihipStream_tbENKUlT_T0_E_clISt17integral_constantIbLb1EES14_IbLb0EEEEDaS10_S11_EUlS10_E_NS1_11comp_targetILNS1_3genE10ELNS1_11target_archE1200ELNS1_3gpuE4ELNS1_3repE0EEENS1_30default_config_static_selectorELNS0_4arch9wavefront6targetE1EEEvT1_,"axG",@progbits,_ZN7rocprim17ROCPRIM_400000_NS6detail17trampoline_kernelINS0_14default_configENS1_29reduce_by_key_config_selectorIN3c108BFloat16ElN6thrust23THRUST_200600_302600_NS4plusIlEEEEZZNS1_33reduce_by_key_impl_wrapped_configILNS1_25lookback_scan_determinismE0ES3_SB_PS6_NS8_17constant_iteratorIiNS8_11use_defaultESG_EENS8_10device_ptrIS6_EENSI_IlEEPmSA_NS8_8equal_toIS6_EEEE10hipError_tPvRmT2_T3_mT4_T5_T6_T7_T8_P12ihipStream_tbENKUlT_T0_E_clISt17integral_constantIbLb1EES14_IbLb0EEEEDaS10_S11_EUlS10_E_NS1_11comp_targetILNS1_3genE10ELNS1_11target_archE1200ELNS1_3gpuE4ELNS1_3repE0EEENS1_30default_config_static_selectorELNS0_4arch9wavefront6targetE1EEEvT1_,comdat
.Lfunc_end2077:
	.size	_ZN7rocprim17ROCPRIM_400000_NS6detail17trampoline_kernelINS0_14default_configENS1_29reduce_by_key_config_selectorIN3c108BFloat16ElN6thrust23THRUST_200600_302600_NS4plusIlEEEEZZNS1_33reduce_by_key_impl_wrapped_configILNS1_25lookback_scan_determinismE0ES3_SB_PS6_NS8_17constant_iteratorIiNS8_11use_defaultESG_EENS8_10device_ptrIS6_EENSI_IlEEPmSA_NS8_8equal_toIS6_EEEE10hipError_tPvRmT2_T3_mT4_T5_T6_T7_T8_P12ihipStream_tbENKUlT_T0_E_clISt17integral_constantIbLb1EES14_IbLb0EEEEDaS10_S11_EUlS10_E_NS1_11comp_targetILNS1_3genE10ELNS1_11target_archE1200ELNS1_3gpuE4ELNS1_3repE0EEENS1_30default_config_static_selectorELNS0_4arch9wavefront6targetE1EEEvT1_, .Lfunc_end2077-_ZN7rocprim17ROCPRIM_400000_NS6detail17trampoline_kernelINS0_14default_configENS1_29reduce_by_key_config_selectorIN3c108BFloat16ElN6thrust23THRUST_200600_302600_NS4plusIlEEEEZZNS1_33reduce_by_key_impl_wrapped_configILNS1_25lookback_scan_determinismE0ES3_SB_PS6_NS8_17constant_iteratorIiNS8_11use_defaultESG_EENS8_10device_ptrIS6_EENSI_IlEEPmSA_NS8_8equal_toIS6_EEEE10hipError_tPvRmT2_T3_mT4_T5_T6_T7_T8_P12ihipStream_tbENKUlT_T0_E_clISt17integral_constantIbLb1EES14_IbLb0EEEEDaS10_S11_EUlS10_E_NS1_11comp_targetILNS1_3genE10ELNS1_11target_archE1200ELNS1_3gpuE4ELNS1_3repE0EEENS1_30default_config_static_selectorELNS0_4arch9wavefront6targetE1EEEvT1_
                                        ; -- End function
	.section	.AMDGPU.csdata,"",@progbits
; Kernel info:
; codeLenInByte = 0
; NumSgprs: 4
; NumVgprs: 0
; NumAgprs: 0
; TotalNumVgprs: 0
; ScratchSize: 0
; MemoryBound: 0
; FloatMode: 240
; IeeeMode: 1
; LDSByteSize: 0 bytes/workgroup (compile time only)
; SGPRBlocks: 0
; VGPRBlocks: 0
; NumSGPRsForWavesPerEU: 4
; NumVGPRsForWavesPerEU: 1
; AccumOffset: 4
; Occupancy: 8
; WaveLimiterHint : 0
; COMPUTE_PGM_RSRC2:SCRATCH_EN: 0
; COMPUTE_PGM_RSRC2:USER_SGPR: 6
; COMPUTE_PGM_RSRC2:TRAP_HANDLER: 0
; COMPUTE_PGM_RSRC2:TGID_X_EN: 1
; COMPUTE_PGM_RSRC2:TGID_Y_EN: 0
; COMPUTE_PGM_RSRC2:TGID_Z_EN: 0
; COMPUTE_PGM_RSRC2:TIDIG_COMP_CNT: 0
; COMPUTE_PGM_RSRC3_GFX90A:ACCUM_OFFSET: 0
; COMPUTE_PGM_RSRC3_GFX90A:TG_SPLIT: 0
	.section	.text._ZN7rocprim17ROCPRIM_400000_NS6detail17trampoline_kernelINS0_14default_configENS1_29reduce_by_key_config_selectorIN3c108BFloat16ElN6thrust23THRUST_200600_302600_NS4plusIlEEEEZZNS1_33reduce_by_key_impl_wrapped_configILNS1_25lookback_scan_determinismE0ES3_SB_PS6_NS8_17constant_iteratorIiNS8_11use_defaultESG_EENS8_10device_ptrIS6_EENSI_IlEEPmSA_NS8_8equal_toIS6_EEEE10hipError_tPvRmT2_T3_mT4_T5_T6_T7_T8_P12ihipStream_tbENKUlT_T0_E_clISt17integral_constantIbLb1EES14_IbLb0EEEEDaS10_S11_EUlS10_E_NS1_11comp_targetILNS1_3genE9ELNS1_11target_archE1100ELNS1_3gpuE3ELNS1_3repE0EEENS1_30default_config_static_selectorELNS0_4arch9wavefront6targetE1EEEvT1_,"axG",@progbits,_ZN7rocprim17ROCPRIM_400000_NS6detail17trampoline_kernelINS0_14default_configENS1_29reduce_by_key_config_selectorIN3c108BFloat16ElN6thrust23THRUST_200600_302600_NS4plusIlEEEEZZNS1_33reduce_by_key_impl_wrapped_configILNS1_25lookback_scan_determinismE0ES3_SB_PS6_NS8_17constant_iteratorIiNS8_11use_defaultESG_EENS8_10device_ptrIS6_EENSI_IlEEPmSA_NS8_8equal_toIS6_EEEE10hipError_tPvRmT2_T3_mT4_T5_T6_T7_T8_P12ihipStream_tbENKUlT_T0_E_clISt17integral_constantIbLb1EES14_IbLb0EEEEDaS10_S11_EUlS10_E_NS1_11comp_targetILNS1_3genE9ELNS1_11target_archE1100ELNS1_3gpuE3ELNS1_3repE0EEENS1_30default_config_static_selectorELNS0_4arch9wavefront6targetE1EEEvT1_,comdat
	.protected	_ZN7rocprim17ROCPRIM_400000_NS6detail17trampoline_kernelINS0_14default_configENS1_29reduce_by_key_config_selectorIN3c108BFloat16ElN6thrust23THRUST_200600_302600_NS4plusIlEEEEZZNS1_33reduce_by_key_impl_wrapped_configILNS1_25lookback_scan_determinismE0ES3_SB_PS6_NS8_17constant_iteratorIiNS8_11use_defaultESG_EENS8_10device_ptrIS6_EENSI_IlEEPmSA_NS8_8equal_toIS6_EEEE10hipError_tPvRmT2_T3_mT4_T5_T6_T7_T8_P12ihipStream_tbENKUlT_T0_E_clISt17integral_constantIbLb1EES14_IbLb0EEEEDaS10_S11_EUlS10_E_NS1_11comp_targetILNS1_3genE9ELNS1_11target_archE1100ELNS1_3gpuE3ELNS1_3repE0EEENS1_30default_config_static_selectorELNS0_4arch9wavefront6targetE1EEEvT1_ ; -- Begin function _ZN7rocprim17ROCPRIM_400000_NS6detail17trampoline_kernelINS0_14default_configENS1_29reduce_by_key_config_selectorIN3c108BFloat16ElN6thrust23THRUST_200600_302600_NS4plusIlEEEEZZNS1_33reduce_by_key_impl_wrapped_configILNS1_25lookback_scan_determinismE0ES3_SB_PS6_NS8_17constant_iteratorIiNS8_11use_defaultESG_EENS8_10device_ptrIS6_EENSI_IlEEPmSA_NS8_8equal_toIS6_EEEE10hipError_tPvRmT2_T3_mT4_T5_T6_T7_T8_P12ihipStream_tbENKUlT_T0_E_clISt17integral_constantIbLb1EES14_IbLb0EEEEDaS10_S11_EUlS10_E_NS1_11comp_targetILNS1_3genE9ELNS1_11target_archE1100ELNS1_3gpuE3ELNS1_3repE0EEENS1_30default_config_static_selectorELNS0_4arch9wavefront6targetE1EEEvT1_
	.globl	_ZN7rocprim17ROCPRIM_400000_NS6detail17trampoline_kernelINS0_14default_configENS1_29reduce_by_key_config_selectorIN3c108BFloat16ElN6thrust23THRUST_200600_302600_NS4plusIlEEEEZZNS1_33reduce_by_key_impl_wrapped_configILNS1_25lookback_scan_determinismE0ES3_SB_PS6_NS8_17constant_iteratorIiNS8_11use_defaultESG_EENS8_10device_ptrIS6_EENSI_IlEEPmSA_NS8_8equal_toIS6_EEEE10hipError_tPvRmT2_T3_mT4_T5_T6_T7_T8_P12ihipStream_tbENKUlT_T0_E_clISt17integral_constantIbLb1EES14_IbLb0EEEEDaS10_S11_EUlS10_E_NS1_11comp_targetILNS1_3genE9ELNS1_11target_archE1100ELNS1_3gpuE3ELNS1_3repE0EEENS1_30default_config_static_selectorELNS0_4arch9wavefront6targetE1EEEvT1_
	.p2align	8
	.type	_ZN7rocprim17ROCPRIM_400000_NS6detail17trampoline_kernelINS0_14default_configENS1_29reduce_by_key_config_selectorIN3c108BFloat16ElN6thrust23THRUST_200600_302600_NS4plusIlEEEEZZNS1_33reduce_by_key_impl_wrapped_configILNS1_25lookback_scan_determinismE0ES3_SB_PS6_NS8_17constant_iteratorIiNS8_11use_defaultESG_EENS8_10device_ptrIS6_EENSI_IlEEPmSA_NS8_8equal_toIS6_EEEE10hipError_tPvRmT2_T3_mT4_T5_T6_T7_T8_P12ihipStream_tbENKUlT_T0_E_clISt17integral_constantIbLb1EES14_IbLb0EEEEDaS10_S11_EUlS10_E_NS1_11comp_targetILNS1_3genE9ELNS1_11target_archE1100ELNS1_3gpuE3ELNS1_3repE0EEENS1_30default_config_static_selectorELNS0_4arch9wavefront6targetE1EEEvT1_,@function
_ZN7rocprim17ROCPRIM_400000_NS6detail17trampoline_kernelINS0_14default_configENS1_29reduce_by_key_config_selectorIN3c108BFloat16ElN6thrust23THRUST_200600_302600_NS4plusIlEEEEZZNS1_33reduce_by_key_impl_wrapped_configILNS1_25lookback_scan_determinismE0ES3_SB_PS6_NS8_17constant_iteratorIiNS8_11use_defaultESG_EENS8_10device_ptrIS6_EENSI_IlEEPmSA_NS8_8equal_toIS6_EEEE10hipError_tPvRmT2_T3_mT4_T5_T6_T7_T8_P12ihipStream_tbENKUlT_T0_E_clISt17integral_constantIbLb1EES14_IbLb0EEEEDaS10_S11_EUlS10_E_NS1_11comp_targetILNS1_3genE9ELNS1_11target_archE1100ELNS1_3gpuE3ELNS1_3repE0EEENS1_30default_config_static_selectorELNS0_4arch9wavefront6targetE1EEEvT1_: ; @_ZN7rocprim17ROCPRIM_400000_NS6detail17trampoline_kernelINS0_14default_configENS1_29reduce_by_key_config_selectorIN3c108BFloat16ElN6thrust23THRUST_200600_302600_NS4plusIlEEEEZZNS1_33reduce_by_key_impl_wrapped_configILNS1_25lookback_scan_determinismE0ES3_SB_PS6_NS8_17constant_iteratorIiNS8_11use_defaultESG_EENS8_10device_ptrIS6_EENSI_IlEEPmSA_NS8_8equal_toIS6_EEEE10hipError_tPvRmT2_T3_mT4_T5_T6_T7_T8_P12ihipStream_tbENKUlT_T0_E_clISt17integral_constantIbLb1EES14_IbLb0EEEEDaS10_S11_EUlS10_E_NS1_11comp_targetILNS1_3genE9ELNS1_11target_archE1100ELNS1_3gpuE3ELNS1_3repE0EEENS1_30default_config_static_selectorELNS0_4arch9wavefront6targetE1EEEvT1_
; %bb.0:
	.section	.rodata,"a",@progbits
	.p2align	6, 0x0
	.amdhsa_kernel _ZN7rocprim17ROCPRIM_400000_NS6detail17trampoline_kernelINS0_14default_configENS1_29reduce_by_key_config_selectorIN3c108BFloat16ElN6thrust23THRUST_200600_302600_NS4plusIlEEEEZZNS1_33reduce_by_key_impl_wrapped_configILNS1_25lookback_scan_determinismE0ES3_SB_PS6_NS8_17constant_iteratorIiNS8_11use_defaultESG_EENS8_10device_ptrIS6_EENSI_IlEEPmSA_NS8_8equal_toIS6_EEEE10hipError_tPvRmT2_T3_mT4_T5_T6_T7_T8_P12ihipStream_tbENKUlT_T0_E_clISt17integral_constantIbLb1EES14_IbLb0EEEEDaS10_S11_EUlS10_E_NS1_11comp_targetILNS1_3genE9ELNS1_11target_archE1100ELNS1_3gpuE3ELNS1_3repE0EEENS1_30default_config_static_selectorELNS0_4arch9wavefront6targetE1EEEvT1_
		.amdhsa_group_segment_fixed_size 0
		.amdhsa_private_segment_fixed_size 0
		.amdhsa_kernarg_size 144
		.amdhsa_user_sgpr_count 6
		.amdhsa_user_sgpr_private_segment_buffer 1
		.amdhsa_user_sgpr_dispatch_ptr 0
		.amdhsa_user_sgpr_queue_ptr 0
		.amdhsa_user_sgpr_kernarg_segment_ptr 1
		.amdhsa_user_sgpr_dispatch_id 0
		.amdhsa_user_sgpr_flat_scratch_init 0
		.amdhsa_user_sgpr_kernarg_preload_length 0
		.amdhsa_user_sgpr_kernarg_preload_offset 0
		.amdhsa_user_sgpr_private_segment_size 0
		.amdhsa_uses_dynamic_stack 0
		.amdhsa_system_sgpr_private_segment_wavefront_offset 0
		.amdhsa_system_sgpr_workgroup_id_x 1
		.amdhsa_system_sgpr_workgroup_id_y 0
		.amdhsa_system_sgpr_workgroup_id_z 0
		.amdhsa_system_sgpr_workgroup_info 0
		.amdhsa_system_vgpr_workitem_id 0
		.amdhsa_next_free_vgpr 1
		.amdhsa_next_free_sgpr 0
		.amdhsa_accum_offset 4
		.amdhsa_reserve_vcc 0
		.amdhsa_reserve_flat_scratch 0
		.amdhsa_float_round_mode_32 0
		.amdhsa_float_round_mode_16_64 0
		.amdhsa_float_denorm_mode_32 3
		.amdhsa_float_denorm_mode_16_64 3
		.amdhsa_dx10_clamp 1
		.amdhsa_ieee_mode 1
		.amdhsa_fp16_overflow 0
		.amdhsa_tg_split 0
		.amdhsa_exception_fp_ieee_invalid_op 0
		.amdhsa_exception_fp_denorm_src 0
		.amdhsa_exception_fp_ieee_div_zero 0
		.amdhsa_exception_fp_ieee_overflow 0
		.amdhsa_exception_fp_ieee_underflow 0
		.amdhsa_exception_fp_ieee_inexact 0
		.amdhsa_exception_int_div_zero 0
	.end_amdhsa_kernel
	.section	.text._ZN7rocprim17ROCPRIM_400000_NS6detail17trampoline_kernelINS0_14default_configENS1_29reduce_by_key_config_selectorIN3c108BFloat16ElN6thrust23THRUST_200600_302600_NS4plusIlEEEEZZNS1_33reduce_by_key_impl_wrapped_configILNS1_25lookback_scan_determinismE0ES3_SB_PS6_NS8_17constant_iteratorIiNS8_11use_defaultESG_EENS8_10device_ptrIS6_EENSI_IlEEPmSA_NS8_8equal_toIS6_EEEE10hipError_tPvRmT2_T3_mT4_T5_T6_T7_T8_P12ihipStream_tbENKUlT_T0_E_clISt17integral_constantIbLb1EES14_IbLb0EEEEDaS10_S11_EUlS10_E_NS1_11comp_targetILNS1_3genE9ELNS1_11target_archE1100ELNS1_3gpuE3ELNS1_3repE0EEENS1_30default_config_static_selectorELNS0_4arch9wavefront6targetE1EEEvT1_,"axG",@progbits,_ZN7rocprim17ROCPRIM_400000_NS6detail17trampoline_kernelINS0_14default_configENS1_29reduce_by_key_config_selectorIN3c108BFloat16ElN6thrust23THRUST_200600_302600_NS4plusIlEEEEZZNS1_33reduce_by_key_impl_wrapped_configILNS1_25lookback_scan_determinismE0ES3_SB_PS6_NS8_17constant_iteratorIiNS8_11use_defaultESG_EENS8_10device_ptrIS6_EENSI_IlEEPmSA_NS8_8equal_toIS6_EEEE10hipError_tPvRmT2_T3_mT4_T5_T6_T7_T8_P12ihipStream_tbENKUlT_T0_E_clISt17integral_constantIbLb1EES14_IbLb0EEEEDaS10_S11_EUlS10_E_NS1_11comp_targetILNS1_3genE9ELNS1_11target_archE1100ELNS1_3gpuE3ELNS1_3repE0EEENS1_30default_config_static_selectorELNS0_4arch9wavefront6targetE1EEEvT1_,comdat
.Lfunc_end2078:
	.size	_ZN7rocprim17ROCPRIM_400000_NS6detail17trampoline_kernelINS0_14default_configENS1_29reduce_by_key_config_selectorIN3c108BFloat16ElN6thrust23THRUST_200600_302600_NS4plusIlEEEEZZNS1_33reduce_by_key_impl_wrapped_configILNS1_25lookback_scan_determinismE0ES3_SB_PS6_NS8_17constant_iteratorIiNS8_11use_defaultESG_EENS8_10device_ptrIS6_EENSI_IlEEPmSA_NS8_8equal_toIS6_EEEE10hipError_tPvRmT2_T3_mT4_T5_T6_T7_T8_P12ihipStream_tbENKUlT_T0_E_clISt17integral_constantIbLb1EES14_IbLb0EEEEDaS10_S11_EUlS10_E_NS1_11comp_targetILNS1_3genE9ELNS1_11target_archE1100ELNS1_3gpuE3ELNS1_3repE0EEENS1_30default_config_static_selectorELNS0_4arch9wavefront6targetE1EEEvT1_, .Lfunc_end2078-_ZN7rocprim17ROCPRIM_400000_NS6detail17trampoline_kernelINS0_14default_configENS1_29reduce_by_key_config_selectorIN3c108BFloat16ElN6thrust23THRUST_200600_302600_NS4plusIlEEEEZZNS1_33reduce_by_key_impl_wrapped_configILNS1_25lookback_scan_determinismE0ES3_SB_PS6_NS8_17constant_iteratorIiNS8_11use_defaultESG_EENS8_10device_ptrIS6_EENSI_IlEEPmSA_NS8_8equal_toIS6_EEEE10hipError_tPvRmT2_T3_mT4_T5_T6_T7_T8_P12ihipStream_tbENKUlT_T0_E_clISt17integral_constantIbLb1EES14_IbLb0EEEEDaS10_S11_EUlS10_E_NS1_11comp_targetILNS1_3genE9ELNS1_11target_archE1100ELNS1_3gpuE3ELNS1_3repE0EEENS1_30default_config_static_selectorELNS0_4arch9wavefront6targetE1EEEvT1_
                                        ; -- End function
	.section	.AMDGPU.csdata,"",@progbits
; Kernel info:
; codeLenInByte = 0
; NumSgprs: 4
; NumVgprs: 0
; NumAgprs: 0
; TotalNumVgprs: 0
; ScratchSize: 0
; MemoryBound: 0
; FloatMode: 240
; IeeeMode: 1
; LDSByteSize: 0 bytes/workgroup (compile time only)
; SGPRBlocks: 0
; VGPRBlocks: 0
; NumSGPRsForWavesPerEU: 4
; NumVGPRsForWavesPerEU: 1
; AccumOffset: 4
; Occupancy: 8
; WaveLimiterHint : 0
; COMPUTE_PGM_RSRC2:SCRATCH_EN: 0
; COMPUTE_PGM_RSRC2:USER_SGPR: 6
; COMPUTE_PGM_RSRC2:TRAP_HANDLER: 0
; COMPUTE_PGM_RSRC2:TGID_X_EN: 1
; COMPUTE_PGM_RSRC2:TGID_Y_EN: 0
; COMPUTE_PGM_RSRC2:TGID_Z_EN: 0
; COMPUTE_PGM_RSRC2:TIDIG_COMP_CNT: 0
; COMPUTE_PGM_RSRC3_GFX90A:ACCUM_OFFSET: 0
; COMPUTE_PGM_RSRC3_GFX90A:TG_SPLIT: 0
	.section	.text._ZN7rocprim17ROCPRIM_400000_NS6detail17trampoline_kernelINS0_14default_configENS1_29reduce_by_key_config_selectorIN3c108BFloat16ElN6thrust23THRUST_200600_302600_NS4plusIlEEEEZZNS1_33reduce_by_key_impl_wrapped_configILNS1_25lookback_scan_determinismE0ES3_SB_PS6_NS8_17constant_iteratorIiNS8_11use_defaultESG_EENS8_10device_ptrIS6_EENSI_IlEEPmSA_NS8_8equal_toIS6_EEEE10hipError_tPvRmT2_T3_mT4_T5_T6_T7_T8_P12ihipStream_tbENKUlT_T0_E_clISt17integral_constantIbLb1EES14_IbLb0EEEEDaS10_S11_EUlS10_E_NS1_11comp_targetILNS1_3genE8ELNS1_11target_archE1030ELNS1_3gpuE2ELNS1_3repE0EEENS1_30default_config_static_selectorELNS0_4arch9wavefront6targetE1EEEvT1_,"axG",@progbits,_ZN7rocprim17ROCPRIM_400000_NS6detail17trampoline_kernelINS0_14default_configENS1_29reduce_by_key_config_selectorIN3c108BFloat16ElN6thrust23THRUST_200600_302600_NS4plusIlEEEEZZNS1_33reduce_by_key_impl_wrapped_configILNS1_25lookback_scan_determinismE0ES3_SB_PS6_NS8_17constant_iteratorIiNS8_11use_defaultESG_EENS8_10device_ptrIS6_EENSI_IlEEPmSA_NS8_8equal_toIS6_EEEE10hipError_tPvRmT2_T3_mT4_T5_T6_T7_T8_P12ihipStream_tbENKUlT_T0_E_clISt17integral_constantIbLb1EES14_IbLb0EEEEDaS10_S11_EUlS10_E_NS1_11comp_targetILNS1_3genE8ELNS1_11target_archE1030ELNS1_3gpuE2ELNS1_3repE0EEENS1_30default_config_static_selectorELNS0_4arch9wavefront6targetE1EEEvT1_,comdat
	.protected	_ZN7rocprim17ROCPRIM_400000_NS6detail17trampoline_kernelINS0_14default_configENS1_29reduce_by_key_config_selectorIN3c108BFloat16ElN6thrust23THRUST_200600_302600_NS4plusIlEEEEZZNS1_33reduce_by_key_impl_wrapped_configILNS1_25lookback_scan_determinismE0ES3_SB_PS6_NS8_17constant_iteratorIiNS8_11use_defaultESG_EENS8_10device_ptrIS6_EENSI_IlEEPmSA_NS8_8equal_toIS6_EEEE10hipError_tPvRmT2_T3_mT4_T5_T6_T7_T8_P12ihipStream_tbENKUlT_T0_E_clISt17integral_constantIbLb1EES14_IbLb0EEEEDaS10_S11_EUlS10_E_NS1_11comp_targetILNS1_3genE8ELNS1_11target_archE1030ELNS1_3gpuE2ELNS1_3repE0EEENS1_30default_config_static_selectorELNS0_4arch9wavefront6targetE1EEEvT1_ ; -- Begin function _ZN7rocprim17ROCPRIM_400000_NS6detail17trampoline_kernelINS0_14default_configENS1_29reduce_by_key_config_selectorIN3c108BFloat16ElN6thrust23THRUST_200600_302600_NS4plusIlEEEEZZNS1_33reduce_by_key_impl_wrapped_configILNS1_25lookback_scan_determinismE0ES3_SB_PS6_NS8_17constant_iteratorIiNS8_11use_defaultESG_EENS8_10device_ptrIS6_EENSI_IlEEPmSA_NS8_8equal_toIS6_EEEE10hipError_tPvRmT2_T3_mT4_T5_T6_T7_T8_P12ihipStream_tbENKUlT_T0_E_clISt17integral_constantIbLb1EES14_IbLb0EEEEDaS10_S11_EUlS10_E_NS1_11comp_targetILNS1_3genE8ELNS1_11target_archE1030ELNS1_3gpuE2ELNS1_3repE0EEENS1_30default_config_static_selectorELNS0_4arch9wavefront6targetE1EEEvT1_
	.globl	_ZN7rocprim17ROCPRIM_400000_NS6detail17trampoline_kernelINS0_14default_configENS1_29reduce_by_key_config_selectorIN3c108BFloat16ElN6thrust23THRUST_200600_302600_NS4plusIlEEEEZZNS1_33reduce_by_key_impl_wrapped_configILNS1_25lookback_scan_determinismE0ES3_SB_PS6_NS8_17constant_iteratorIiNS8_11use_defaultESG_EENS8_10device_ptrIS6_EENSI_IlEEPmSA_NS8_8equal_toIS6_EEEE10hipError_tPvRmT2_T3_mT4_T5_T6_T7_T8_P12ihipStream_tbENKUlT_T0_E_clISt17integral_constantIbLb1EES14_IbLb0EEEEDaS10_S11_EUlS10_E_NS1_11comp_targetILNS1_3genE8ELNS1_11target_archE1030ELNS1_3gpuE2ELNS1_3repE0EEENS1_30default_config_static_selectorELNS0_4arch9wavefront6targetE1EEEvT1_
	.p2align	8
	.type	_ZN7rocprim17ROCPRIM_400000_NS6detail17trampoline_kernelINS0_14default_configENS1_29reduce_by_key_config_selectorIN3c108BFloat16ElN6thrust23THRUST_200600_302600_NS4plusIlEEEEZZNS1_33reduce_by_key_impl_wrapped_configILNS1_25lookback_scan_determinismE0ES3_SB_PS6_NS8_17constant_iteratorIiNS8_11use_defaultESG_EENS8_10device_ptrIS6_EENSI_IlEEPmSA_NS8_8equal_toIS6_EEEE10hipError_tPvRmT2_T3_mT4_T5_T6_T7_T8_P12ihipStream_tbENKUlT_T0_E_clISt17integral_constantIbLb1EES14_IbLb0EEEEDaS10_S11_EUlS10_E_NS1_11comp_targetILNS1_3genE8ELNS1_11target_archE1030ELNS1_3gpuE2ELNS1_3repE0EEENS1_30default_config_static_selectorELNS0_4arch9wavefront6targetE1EEEvT1_,@function
_ZN7rocprim17ROCPRIM_400000_NS6detail17trampoline_kernelINS0_14default_configENS1_29reduce_by_key_config_selectorIN3c108BFloat16ElN6thrust23THRUST_200600_302600_NS4plusIlEEEEZZNS1_33reduce_by_key_impl_wrapped_configILNS1_25lookback_scan_determinismE0ES3_SB_PS6_NS8_17constant_iteratorIiNS8_11use_defaultESG_EENS8_10device_ptrIS6_EENSI_IlEEPmSA_NS8_8equal_toIS6_EEEE10hipError_tPvRmT2_T3_mT4_T5_T6_T7_T8_P12ihipStream_tbENKUlT_T0_E_clISt17integral_constantIbLb1EES14_IbLb0EEEEDaS10_S11_EUlS10_E_NS1_11comp_targetILNS1_3genE8ELNS1_11target_archE1030ELNS1_3gpuE2ELNS1_3repE0EEENS1_30default_config_static_selectorELNS0_4arch9wavefront6targetE1EEEvT1_: ; @_ZN7rocprim17ROCPRIM_400000_NS6detail17trampoline_kernelINS0_14default_configENS1_29reduce_by_key_config_selectorIN3c108BFloat16ElN6thrust23THRUST_200600_302600_NS4plusIlEEEEZZNS1_33reduce_by_key_impl_wrapped_configILNS1_25lookback_scan_determinismE0ES3_SB_PS6_NS8_17constant_iteratorIiNS8_11use_defaultESG_EENS8_10device_ptrIS6_EENSI_IlEEPmSA_NS8_8equal_toIS6_EEEE10hipError_tPvRmT2_T3_mT4_T5_T6_T7_T8_P12ihipStream_tbENKUlT_T0_E_clISt17integral_constantIbLb1EES14_IbLb0EEEEDaS10_S11_EUlS10_E_NS1_11comp_targetILNS1_3genE8ELNS1_11target_archE1030ELNS1_3gpuE2ELNS1_3repE0EEENS1_30default_config_static_selectorELNS0_4arch9wavefront6targetE1EEEvT1_
; %bb.0:
	.section	.rodata,"a",@progbits
	.p2align	6, 0x0
	.amdhsa_kernel _ZN7rocprim17ROCPRIM_400000_NS6detail17trampoline_kernelINS0_14default_configENS1_29reduce_by_key_config_selectorIN3c108BFloat16ElN6thrust23THRUST_200600_302600_NS4plusIlEEEEZZNS1_33reduce_by_key_impl_wrapped_configILNS1_25lookback_scan_determinismE0ES3_SB_PS6_NS8_17constant_iteratorIiNS8_11use_defaultESG_EENS8_10device_ptrIS6_EENSI_IlEEPmSA_NS8_8equal_toIS6_EEEE10hipError_tPvRmT2_T3_mT4_T5_T6_T7_T8_P12ihipStream_tbENKUlT_T0_E_clISt17integral_constantIbLb1EES14_IbLb0EEEEDaS10_S11_EUlS10_E_NS1_11comp_targetILNS1_3genE8ELNS1_11target_archE1030ELNS1_3gpuE2ELNS1_3repE0EEENS1_30default_config_static_selectorELNS0_4arch9wavefront6targetE1EEEvT1_
		.amdhsa_group_segment_fixed_size 0
		.amdhsa_private_segment_fixed_size 0
		.amdhsa_kernarg_size 144
		.amdhsa_user_sgpr_count 6
		.amdhsa_user_sgpr_private_segment_buffer 1
		.amdhsa_user_sgpr_dispatch_ptr 0
		.amdhsa_user_sgpr_queue_ptr 0
		.amdhsa_user_sgpr_kernarg_segment_ptr 1
		.amdhsa_user_sgpr_dispatch_id 0
		.amdhsa_user_sgpr_flat_scratch_init 0
		.amdhsa_user_sgpr_kernarg_preload_length 0
		.amdhsa_user_sgpr_kernarg_preload_offset 0
		.amdhsa_user_sgpr_private_segment_size 0
		.amdhsa_uses_dynamic_stack 0
		.amdhsa_system_sgpr_private_segment_wavefront_offset 0
		.amdhsa_system_sgpr_workgroup_id_x 1
		.amdhsa_system_sgpr_workgroup_id_y 0
		.amdhsa_system_sgpr_workgroup_id_z 0
		.amdhsa_system_sgpr_workgroup_info 0
		.amdhsa_system_vgpr_workitem_id 0
		.amdhsa_next_free_vgpr 1
		.amdhsa_next_free_sgpr 0
		.amdhsa_accum_offset 4
		.amdhsa_reserve_vcc 0
		.amdhsa_reserve_flat_scratch 0
		.amdhsa_float_round_mode_32 0
		.amdhsa_float_round_mode_16_64 0
		.amdhsa_float_denorm_mode_32 3
		.amdhsa_float_denorm_mode_16_64 3
		.amdhsa_dx10_clamp 1
		.amdhsa_ieee_mode 1
		.amdhsa_fp16_overflow 0
		.amdhsa_tg_split 0
		.amdhsa_exception_fp_ieee_invalid_op 0
		.amdhsa_exception_fp_denorm_src 0
		.amdhsa_exception_fp_ieee_div_zero 0
		.amdhsa_exception_fp_ieee_overflow 0
		.amdhsa_exception_fp_ieee_underflow 0
		.amdhsa_exception_fp_ieee_inexact 0
		.amdhsa_exception_int_div_zero 0
	.end_amdhsa_kernel
	.section	.text._ZN7rocprim17ROCPRIM_400000_NS6detail17trampoline_kernelINS0_14default_configENS1_29reduce_by_key_config_selectorIN3c108BFloat16ElN6thrust23THRUST_200600_302600_NS4plusIlEEEEZZNS1_33reduce_by_key_impl_wrapped_configILNS1_25lookback_scan_determinismE0ES3_SB_PS6_NS8_17constant_iteratorIiNS8_11use_defaultESG_EENS8_10device_ptrIS6_EENSI_IlEEPmSA_NS8_8equal_toIS6_EEEE10hipError_tPvRmT2_T3_mT4_T5_T6_T7_T8_P12ihipStream_tbENKUlT_T0_E_clISt17integral_constantIbLb1EES14_IbLb0EEEEDaS10_S11_EUlS10_E_NS1_11comp_targetILNS1_3genE8ELNS1_11target_archE1030ELNS1_3gpuE2ELNS1_3repE0EEENS1_30default_config_static_selectorELNS0_4arch9wavefront6targetE1EEEvT1_,"axG",@progbits,_ZN7rocprim17ROCPRIM_400000_NS6detail17trampoline_kernelINS0_14default_configENS1_29reduce_by_key_config_selectorIN3c108BFloat16ElN6thrust23THRUST_200600_302600_NS4plusIlEEEEZZNS1_33reduce_by_key_impl_wrapped_configILNS1_25lookback_scan_determinismE0ES3_SB_PS6_NS8_17constant_iteratorIiNS8_11use_defaultESG_EENS8_10device_ptrIS6_EENSI_IlEEPmSA_NS8_8equal_toIS6_EEEE10hipError_tPvRmT2_T3_mT4_T5_T6_T7_T8_P12ihipStream_tbENKUlT_T0_E_clISt17integral_constantIbLb1EES14_IbLb0EEEEDaS10_S11_EUlS10_E_NS1_11comp_targetILNS1_3genE8ELNS1_11target_archE1030ELNS1_3gpuE2ELNS1_3repE0EEENS1_30default_config_static_selectorELNS0_4arch9wavefront6targetE1EEEvT1_,comdat
.Lfunc_end2079:
	.size	_ZN7rocprim17ROCPRIM_400000_NS6detail17trampoline_kernelINS0_14default_configENS1_29reduce_by_key_config_selectorIN3c108BFloat16ElN6thrust23THRUST_200600_302600_NS4plusIlEEEEZZNS1_33reduce_by_key_impl_wrapped_configILNS1_25lookback_scan_determinismE0ES3_SB_PS6_NS8_17constant_iteratorIiNS8_11use_defaultESG_EENS8_10device_ptrIS6_EENSI_IlEEPmSA_NS8_8equal_toIS6_EEEE10hipError_tPvRmT2_T3_mT4_T5_T6_T7_T8_P12ihipStream_tbENKUlT_T0_E_clISt17integral_constantIbLb1EES14_IbLb0EEEEDaS10_S11_EUlS10_E_NS1_11comp_targetILNS1_3genE8ELNS1_11target_archE1030ELNS1_3gpuE2ELNS1_3repE0EEENS1_30default_config_static_selectorELNS0_4arch9wavefront6targetE1EEEvT1_, .Lfunc_end2079-_ZN7rocprim17ROCPRIM_400000_NS6detail17trampoline_kernelINS0_14default_configENS1_29reduce_by_key_config_selectorIN3c108BFloat16ElN6thrust23THRUST_200600_302600_NS4plusIlEEEEZZNS1_33reduce_by_key_impl_wrapped_configILNS1_25lookback_scan_determinismE0ES3_SB_PS6_NS8_17constant_iteratorIiNS8_11use_defaultESG_EENS8_10device_ptrIS6_EENSI_IlEEPmSA_NS8_8equal_toIS6_EEEE10hipError_tPvRmT2_T3_mT4_T5_T6_T7_T8_P12ihipStream_tbENKUlT_T0_E_clISt17integral_constantIbLb1EES14_IbLb0EEEEDaS10_S11_EUlS10_E_NS1_11comp_targetILNS1_3genE8ELNS1_11target_archE1030ELNS1_3gpuE2ELNS1_3repE0EEENS1_30default_config_static_selectorELNS0_4arch9wavefront6targetE1EEEvT1_
                                        ; -- End function
	.section	.AMDGPU.csdata,"",@progbits
; Kernel info:
; codeLenInByte = 0
; NumSgprs: 4
; NumVgprs: 0
; NumAgprs: 0
; TotalNumVgprs: 0
; ScratchSize: 0
; MemoryBound: 0
; FloatMode: 240
; IeeeMode: 1
; LDSByteSize: 0 bytes/workgroup (compile time only)
; SGPRBlocks: 0
; VGPRBlocks: 0
; NumSGPRsForWavesPerEU: 4
; NumVGPRsForWavesPerEU: 1
; AccumOffset: 4
; Occupancy: 8
; WaveLimiterHint : 0
; COMPUTE_PGM_RSRC2:SCRATCH_EN: 0
; COMPUTE_PGM_RSRC2:USER_SGPR: 6
; COMPUTE_PGM_RSRC2:TRAP_HANDLER: 0
; COMPUTE_PGM_RSRC2:TGID_X_EN: 1
; COMPUTE_PGM_RSRC2:TGID_Y_EN: 0
; COMPUTE_PGM_RSRC2:TGID_Z_EN: 0
; COMPUTE_PGM_RSRC2:TIDIG_COMP_CNT: 0
; COMPUTE_PGM_RSRC3_GFX90A:ACCUM_OFFSET: 0
; COMPUTE_PGM_RSRC3_GFX90A:TG_SPLIT: 0
	.section	.text._ZN7rocprim17ROCPRIM_400000_NS6detail17trampoline_kernelINS0_14default_configENS1_29reduce_by_key_config_selectorIN3c108BFloat16ElN6thrust23THRUST_200600_302600_NS4plusIlEEEEZZNS1_33reduce_by_key_impl_wrapped_configILNS1_25lookback_scan_determinismE0ES3_SB_PS6_NS8_17constant_iteratorIiNS8_11use_defaultESG_EENS8_10device_ptrIS6_EENSI_IlEEPmSA_NS8_8equal_toIS6_EEEE10hipError_tPvRmT2_T3_mT4_T5_T6_T7_T8_P12ihipStream_tbENKUlT_T0_E_clISt17integral_constantIbLb0EES14_IbLb1EEEEDaS10_S11_EUlS10_E_NS1_11comp_targetILNS1_3genE0ELNS1_11target_archE4294967295ELNS1_3gpuE0ELNS1_3repE0EEENS1_30default_config_static_selectorELNS0_4arch9wavefront6targetE1EEEvT1_,"axG",@progbits,_ZN7rocprim17ROCPRIM_400000_NS6detail17trampoline_kernelINS0_14default_configENS1_29reduce_by_key_config_selectorIN3c108BFloat16ElN6thrust23THRUST_200600_302600_NS4plusIlEEEEZZNS1_33reduce_by_key_impl_wrapped_configILNS1_25lookback_scan_determinismE0ES3_SB_PS6_NS8_17constant_iteratorIiNS8_11use_defaultESG_EENS8_10device_ptrIS6_EENSI_IlEEPmSA_NS8_8equal_toIS6_EEEE10hipError_tPvRmT2_T3_mT4_T5_T6_T7_T8_P12ihipStream_tbENKUlT_T0_E_clISt17integral_constantIbLb0EES14_IbLb1EEEEDaS10_S11_EUlS10_E_NS1_11comp_targetILNS1_3genE0ELNS1_11target_archE4294967295ELNS1_3gpuE0ELNS1_3repE0EEENS1_30default_config_static_selectorELNS0_4arch9wavefront6targetE1EEEvT1_,comdat
	.protected	_ZN7rocprim17ROCPRIM_400000_NS6detail17trampoline_kernelINS0_14default_configENS1_29reduce_by_key_config_selectorIN3c108BFloat16ElN6thrust23THRUST_200600_302600_NS4plusIlEEEEZZNS1_33reduce_by_key_impl_wrapped_configILNS1_25lookback_scan_determinismE0ES3_SB_PS6_NS8_17constant_iteratorIiNS8_11use_defaultESG_EENS8_10device_ptrIS6_EENSI_IlEEPmSA_NS8_8equal_toIS6_EEEE10hipError_tPvRmT2_T3_mT4_T5_T6_T7_T8_P12ihipStream_tbENKUlT_T0_E_clISt17integral_constantIbLb0EES14_IbLb1EEEEDaS10_S11_EUlS10_E_NS1_11comp_targetILNS1_3genE0ELNS1_11target_archE4294967295ELNS1_3gpuE0ELNS1_3repE0EEENS1_30default_config_static_selectorELNS0_4arch9wavefront6targetE1EEEvT1_ ; -- Begin function _ZN7rocprim17ROCPRIM_400000_NS6detail17trampoline_kernelINS0_14default_configENS1_29reduce_by_key_config_selectorIN3c108BFloat16ElN6thrust23THRUST_200600_302600_NS4plusIlEEEEZZNS1_33reduce_by_key_impl_wrapped_configILNS1_25lookback_scan_determinismE0ES3_SB_PS6_NS8_17constant_iteratorIiNS8_11use_defaultESG_EENS8_10device_ptrIS6_EENSI_IlEEPmSA_NS8_8equal_toIS6_EEEE10hipError_tPvRmT2_T3_mT4_T5_T6_T7_T8_P12ihipStream_tbENKUlT_T0_E_clISt17integral_constantIbLb0EES14_IbLb1EEEEDaS10_S11_EUlS10_E_NS1_11comp_targetILNS1_3genE0ELNS1_11target_archE4294967295ELNS1_3gpuE0ELNS1_3repE0EEENS1_30default_config_static_selectorELNS0_4arch9wavefront6targetE1EEEvT1_
	.globl	_ZN7rocprim17ROCPRIM_400000_NS6detail17trampoline_kernelINS0_14default_configENS1_29reduce_by_key_config_selectorIN3c108BFloat16ElN6thrust23THRUST_200600_302600_NS4plusIlEEEEZZNS1_33reduce_by_key_impl_wrapped_configILNS1_25lookback_scan_determinismE0ES3_SB_PS6_NS8_17constant_iteratorIiNS8_11use_defaultESG_EENS8_10device_ptrIS6_EENSI_IlEEPmSA_NS8_8equal_toIS6_EEEE10hipError_tPvRmT2_T3_mT4_T5_T6_T7_T8_P12ihipStream_tbENKUlT_T0_E_clISt17integral_constantIbLb0EES14_IbLb1EEEEDaS10_S11_EUlS10_E_NS1_11comp_targetILNS1_3genE0ELNS1_11target_archE4294967295ELNS1_3gpuE0ELNS1_3repE0EEENS1_30default_config_static_selectorELNS0_4arch9wavefront6targetE1EEEvT1_
	.p2align	8
	.type	_ZN7rocprim17ROCPRIM_400000_NS6detail17trampoline_kernelINS0_14default_configENS1_29reduce_by_key_config_selectorIN3c108BFloat16ElN6thrust23THRUST_200600_302600_NS4plusIlEEEEZZNS1_33reduce_by_key_impl_wrapped_configILNS1_25lookback_scan_determinismE0ES3_SB_PS6_NS8_17constant_iteratorIiNS8_11use_defaultESG_EENS8_10device_ptrIS6_EENSI_IlEEPmSA_NS8_8equal_toIS6_EEEE10hipError_tPvRmT2_T3_mT4_T5_T6_T7_T8_P12ihipStream_tbENKUlT_T0_E_clISt17integral_constantIbLb0EES14_IbLb1EEEEDaS10_S11_EUlS10_E_NS1_11comp_targetILNS1_3genE0ELNS1_11target_archE4294967295ELNS1_3gpuE0ELNS1_3repE0EEENS1_30default_config_static_selectorELNS0_4arch9wavefront6targetE1EEEvT1_,@function
_ZN7rocprim17ROCPRIM_400000_NS6detail17trampoline_kernelINS0_14default_configENS1_29reduce_by_key_config_selectorIN3c108BFloat16ElN6thrust23THRUST_200600_302600_NS4plusIlEEEEZZNS1_33reduce_by_key_impl_wrapped_configILNS1_25lookback_scan_determinismE0ES3_SB_PS6_NS8_17constant_iteratorIiNS8_11use_defaultESG_EENS8_10device_ptrIS6_EENSI_IlEEPmSA_NS8_8equal_toIS6_EEEE10hipError_tPvRmT2_T3_mT4_T5_T6_T7_T8_P12ihipStream_tbENKUlT_T0_E_clISt17integral_constantIbLb0EES14_IbLb1EEEEDaS10_S11_EUlS10_E_NS1_11comp_targetILNS1_3genE0ELNS1_11target_archE4294967295ELNS1_3gpuE0ELNS1_3repE0EEENS1_30default_config_static_selectorELNS0_4arch9wavefront6targetE1EEEvT1_: ; @_ZN7rocprim17ROCPRIM_400000_NS6detail17trampoline_kernelINS0_14default_configENS1_29reduce_by_key_config_selectorIN3c108BFloat16ElN6thrust23THRUST_200600_302600_NS4plusIlEEEEZZNS1_33reduce_by_key_impl_wrapped_configILNS1_25lookback_scan_determinismE0ES3_SB_PS6_NS8_17constant_iteratorIiNS8_11use_defaultESG_EENS8_10device_ptrIS6_EENSI_IlEEPmSA_NS8_8equal_toIS6_EEEE10hipError_tPvRmT2_T3_mT4_T5_T6_T7_T8_P12ihipStream_tbENKUlT_T0_E_clISt17integral_constantIbLb0EES14_IbLb1EEEEDaS10_S11_EUlS10_E_NS1_11comp_targetILNS1_3genE0ELNS1_11target_archE4294967295ELNS1_3gpuE0ELNS1_3repE0EEENS1_30default_config_static_selectorELNS0_4arch9wavefront6targetE1EEEvT1_
; %bb.0:
	.section	.rodata,"a",@progbits
	.p2align	6, 0x0
	.amdhsa_kernel _ZN7rocprim17ROCPRIM_400000_NS6detail17trampoline_kernelINS0_14default_configENS1_29reduce_by_key_config_selectorIN3c108BFloat16ElN6thrust23THRUST_200600_302600_NS4plusIlEEEEZZNS1_33reduce_by_key_impl_wrapped_configILNS1_25lookback_scan_determinismE0ES3_SB_PS6_NS8_17constant_iteratorIiNS8_11use_defaultESG_EENS8_10device_ptrIS6_EENSI_IlEEPmSA_NS8_8equal_toIS6_EEEE10hipError_tPvRmT2_T3_mT4_T5_T6_T7_T8_P12ihipStream_tbENKUlT_T0_E_clISt17integral_constantIbLb0EES14_IbLb1EEEEDaS10_S11_EUlS10_E_NS1_11comp_targetILNS1_3genE0ELNS1_11target_archE4294967295ELNS1_3gpuE0ELNS1_3repE0EEENS1_30default_config_static_selectorELNS0_4arch9wavefront6targetE1EEEvT1_
		.amdhsa_group_segment_fixed_size 0
		.amdhsa_private_segment_fixed_size 0
		.amdhsa_kernarg_size 144
		.amdhsa_user_sgpr_count 6
		.amdhsa_user_sgpr_private_segment_buffer 1
		.amdhsa_user_sgpr_dispatch_ptr 0
		.amdhsa_user_sgpr_queue_ptr 0
		.amdhsa_user_sgpr_kernarg_segment_ptr 1
		.amdhsa_user_sgpr_dispatch_id 0
		.amdhsa_user_sgpr_flat_scratch_init 0
		.amdhsa_user_sgpr_kernarg_preload_length 0
		.amdhsa_user_sgpr_kernarg_preload_offset 0
		.amdhsa_user_sgpr_private_segment_size 0
		.amdhsa_uses_dynamic_stack 0
		.amdhsa_system_sgpr_private_segment_wavefront_offset 0
		.amdhsa_system_sgpr_workgroup_id_x 1
		.amdhsa_system_sgpr_workgroup_id_y 0
		.amdhsa_system_sgpr_workgroup_id_z 0
		.amdhsa_system_sgpr_workgroup_info 0
		.amdhsa_system_vgpr_workitem_id 0
		.amdhsa_next_free_vgpr 1
		.amdhsa_next_free_sgpr 0
		.amdhsa_accum_offset 4
		.amdhsa_reserve_vcc 0
		.amdhsa_reserve_flat_scratch 0
		.amdhsa_float_round_mode_32 0
		.amdhsa_float_round_mode_16_64 0
		.amdhsa_float_denorm_mode_32 3
		.amdhsa_float_denorm_mode_16_64 3
		.amdhsa_dx10_clamp 1
		.amdhsa_ieee_mode 1
		.amdhsa_fp16_overflow 0
		.amdhsa_tg_split 0
		.amdhsa_exception_fp_ieee_invalid_op 0
		.amdhsa_exception_fp_denorm_src 0
		.amdhsa_exception_fp_ieee_div_zero 0
		.amdhsa_exception_fp_ieee_overflow 0
		.amdhsa_exception_fp_ieee_underflow 0
		.amdhsa_exception_fp_ieee_inexact 0
		.amdhsa_exception_int_div_zero 0
	.end_amdhsa_kernel
	.section	.text._ZN7rocprim17ROCPRIM_400000_NS6detail17trampoline_kernelINS0_14default_configENS1_29reduce_by_key_config_selectorIN3c108BFloat16ElN6thrust23THRUST_200600_302600_NS4plusIlEEEEZZNS1_33reduce_by_key_impl_wrapped_configILNS1_25lookback_scan_determinismE0ES3_SB_PS6_NS8_17constant_iteratorIiNS8_11use_defaultESG_EENS8_10device_ptrIS6_EENSI_IlEEPmSA_NS8_8equal_toIS6_EEEE10hipError_tPvRmT2_T3_mT4_T5_T6_T7_T8_P12ihipStream_tbENKUlT_T0_E_clISt17integral_constantIbLb0EES14_IbLb1EEEEDaS10_S11_EUlS10_E_NS1_11comp_targetILNS1_3genE0ELNS1_11target_archE4294967295ELNS1_3gpuE0ELNS1_3repE0EEENS1_30default_config_static_selectorELNS0_4arch9wavefront6targetE1EEEvT1_,"axG",@progbits,_ZN7rocprim17ROCPRIM_400000_NS6detail17trampoline_kernelINS0_14default_configENS1_29reduce_by_key_config_selectorIN3c108BFloat16ElN6thrust23THRUST_200600_302600_NS4plusIlEEEEZZNS1_33reduce_by_key_impl_wrapped_configILNS1_25lookback_scan_determinismE0ES3_SB_PS6_NS8_17constant_iteratorIiNS8_11use_defaultESG_EENS8_10device_ptrIS6_EENSI_IlEEPmSA_NS8_8equal_toIS6_EEEE10hipError_tPvRmT2_T3_mT4_T5_T6_T7_T8_P12ihipStream_tbENKUlT_T0_E_clISt17integral_constantIbLb0EES14_IbLb1EEEEDaS10_S11_EUlS10_E_NS1_11comp_targetILNS1_3genE0ELNS1_11target_archE4294967295ELNS1_3gpuE0ELNS1_3repE0EEENS1_30default_config_static_selectorELNS0_4arch9wavefront6targetE1EEEvT1_,comdat
.Lfunc_end2080:
	.size	_ZN7rocprim17ROCPRIM_400000_NS6detail17trampoline_kernelINS0_14default_configENS1_29reduce_by_key_config_selectorIN3c108BFloat16ElN6thrust23THRUST_200600_302600_NS4plusIlEEEEZZNS1_33reduce_by_key_impl_wrapped_configILNS1_25lookback_scan_determinismE0ES3_SB_PS6_NS8_17constant_iteratorIiNS8_11use_defaultESG_EENS8_10device_ptrIS6_EENSI_IlEEPmSA_NS8_8equal_toIS6_EEEE10hipError_tPvRmT2_T3_mT4_T5_T6_T7_T8_P12ihipStream_tbENKUlT_T0_E_clISt17integral_constantIbLb0EES14_IbLb1EEEEDaS10_S11_EUlS10_E_NS1_11comp_targetILNS1_3genE0ELNS1_11target_archE4294967295ELNS1_3gpuE0ELNS1_3repE0EEENS1_30default_config_static_selectorELNS0_4arch9wavefront6targetE1EEEvT1_, .Lfunc_end2080-_ZN7rocprim17ROCPRIM_400000_NS6detail17trampoline_kernelINS0_14default_configENS1_29reduce_by_key_config_selectorIN3c108BFloat16ElN6thrust23THRUST_200600_302600_NS4plusIlEEEEZZNS1_33reduce_by_key_impl_wrapped_configILNS1_25lookback_scan_determinismE0ES3_SB_PS6_NS8_17constant_iteratorIiNS8_11use_defaultESG_EENS8_10device_ptrIS6_EENSI_IlEEPmSA_NS8_8equal_toIS6_EEEE10hipError_tPvRmT2_T3_mT4_T5_T6_T7_T8_P12ihipStream_tbENKUlT_T0_E_clISt17integral_constantIbLb0EES14_IbLb1EEEEDaS10_S11_EUlS10_E_NS1_11comp_targetILNS1_3genE0ELNS1_11target_archE4294967295ELNS1_3gpuE0ELNS1_3repE0EEENS1_30default_config_static_selectorELNS0_4arch9wavefront6targetE1EEEvT1_
                                        ; -- End function
	.section	.AMDGPU.csdata,"",@progbits
; Kernel info:
; codeLenInByte = 0
; NumSgprs: 4
; NumVgprs: 0
; NumAgprs: 0
; TotalNumVgprs: 0
; ScratchSize: 0
; MemoryBound: 0
; FloatMode: 240
; IeeeMode: 1
; LDSByteSize: 0 bytes/workgroup (compile time only)
; SGPRBlocks: 0
; VGPRBlocks: 0
; NumSGPRsForWavesPerEU: 4
; NumVGPRsForWavesPerEU: 1
; AccumOffset: 4
; Occupancy: 8
; WaveLimiterHint : 0
; COMPUTE_PGM_RSRC2:SCRATCH_EN: 0
; COMPUTE_PGM_RSRC2:USER_SGPR: 6
; COMPUTE_PGM_RSRC2:TRAP_HANDLER: 0
; COMPUTE_PGM_RSRC2:TGID_X_EN: 1
; COMPUTE_PGM_RSRC2:TGID_Y_EN: 0
; COMPUTE_PGM_RSRC2:TGID_Z_EN: 0
; COMPUTE_PGM_RSRC2:TIDIG_COMP_CNT: 0
; COMPUTE_PGM_RSRC3_GFX90A:ACCUM_OFFSET: 0
; COMPUTE_PGM_RSRC3_GFX90A:TG_SPLIT: 0
	.section	.text._ZN7rocprim17ROCPRIM_400000_NS6detail17trampoline_kernelINS0_14default_configENS1_29reduce_by_key_config_selectorIN3c108BFloat16ElN6thrust23THRUST_200600_302600_NS4plusIlEEEEZZNS1_33reduce_by_key_impl_wrapped_configILNS1_25lookback_scan_determinismE0ES3_SB_PS6_NS8_17constant_iteratorIiNS8_11use_defaultESG_EENS8_10device_ptrIS6_EENSI_IlEEPmSA_NS8_8equal_toIS6_EEEE10hipError_tPvRmT2_T3_mT4_T5_T6_T7_T8_P12ihipStream_tbENKUlT_T0_E_clISt17integral_constantIbLb0EES14_IbLb1EEEEDaS10_S11_EUlS10_E_NS1_11comp_targetILNS1_3genE5ELNS1_11target_archE942ELNS1_3gpuE9ELNS1_3repE0EEENS1_30default_config_static_selectorELNS0_4arch9wavefront6targetE1EEEvT1_,"axG",@progbits,_ZN7rocprim17ROCPRIM_400000_NS6detail17trampoline_kernelINS0_14default_configENS1_29reduce_by_key_config_selectorIN3c108BFloat16ElN6thrust23THRUST_200600_302600_NS4plusIlEEEEZZNS1_33reduce_by_key_impl_wrapped_configILNS1_25lookback_scan_determinismE0ES3_SB_PS6_NS8_17constant_iteratorIiNS8_11use_defaultESG_EENS8_10device_ptrIS6_EENSI_IlEEPmSA_NS8_8equal_toIS6_EEEE10hipError_tPvRmT2_T3_mT4_T5_T6_T7_T8_P12ihipStream_tbENKUlT_T0_E_clISt17integral_constantIbLb0EES14_IbLb1EEEEDaS10_S11_EUlS10_E_NS1_11comp_targetILNS1_3genE5ELNS1_11target_archE942ELNS1_3gpuE9ELNS1_3repE0EEENS1_30default_config_static_selectorELNS0_4arch9wavefront6targetE1EEEvT1_,comdat
	.protected	_ZN7rocprim17ROCPRIM_400000_NS6detail17trampoline_kernelINS0_14default_configENS1_29reduce_by_key_config_selectorIN3c108BFloat16ElN6thrust23THRUST_200600_302600_NS4plusIlEEEEZZNS1_33reduce_by_key_impl_wrapped_configILNS1_25lookback_scan_determinismE0ES3_SB_PS6_NS8_17constant_iteratorIiNS8_11use_defaultESG_EENS8_10device_ptrIS6_EENSI_IlEEPmSA_NS8_8equal_toIS6_EEEE10hipError_tPvRmT2_T3_mT4_T5_T6_T7_T8_P12ihipStream_tbENKUlT_T0_E_clISt17integral_constantIbLb0EES14_IbLb1EEEEDaS10_S11_EUlS10_E_NS1_11comp_targetILNS1_3genE5ELNS1_11target_archE942ELNS1_3gpuE9ELNS1_3repE0EEENS1_30default_config_static_selectorELNS0_4arch9wavefront6targetE1EEEvT1_ ; -- Begin function _ZN7rocprim17ROCPRIM_400000_NS6detail17trampoline_kernelINS0_14default_configENS1_29reduce_by_key_config_selectorIN3c108BFloat16ElN6thrust23THRUST_200600_302600_NS4plusIlEEEEZZNS1_33reduce_by_key_impl_wrapped_configILNS1_25lookback_scan_determinismE0ES3_SB_PS6_NS8_17constant_iteratorIiNS8_11use_defaultESG_EENS8_10device_ptrIS6_EENSI_IlEEPmSA_NS8_8equal_toIS6_EEEE10hipError_tPvRmT2_T3_mT4_T5_T6_T7_T8_P12ihipStream_tbENKUlT_T0_E_clISt17integral_constantIbLb0EES14_IbLb1EEEEDaS10_S11_EUlS10_E_NS1_11comp_targetILNS1_3genE5ELNS1_11target_archE942ELNS1_3gpuE9ELNS1_3repE0EEENS1_30default_config_static_selectorELNS0_4arch9wavefront6targetE1EEEvT1_
	.globl	_ZN7rocprim17ROCPRIM_400000_NS6detail17trampoline_kernelINS0_14default_configENS1_29reduce_by_key_config_selectorIN3c108BFloat16ElN6thrust23THRUST_200600_302600_NS4plusIlEEEEZZNS1_33reduce_by_key_impl_wrapped_configILNS1_25lookback_scan_determinismE0ES3_SB_PS6_NS8_17constant_iteratorIiNS8_11use_defaultESG_EENS8_10device_ptrIS6_EENSI_IlEEPmSA_NS8_8equal_toIS6_EEEE10hipError_tPvRmT2_T3_mT4_T5_T6_T7_T8_P12ihipStream_tbENKUlT_T0_E_clISt17integral_constantIbLb0EES14_IbLb1EEEEDaS10_S11_EUlS10_E_NS1_11comp_targetILNS1_3genE5ELNS1_11target_archE942ELNS1_3gpuE9ELNS1_3repE0EEENS1_30default_config_static_selectorELNS0_4arch9wavefront6targetE1EEEvT1_
	.p2align	8
	.type	_ZN7rocprim17ROCPRIM_400000_NS6detail17trampoline_kernelINS0_14default_configENS1_29reduce_by_key_config_selectorIN3c108BFloat16ElN6thrust23THRUST_200600_302600_NS4plusIlEEEEZZNS1_33reduce_by_key_impl_wrapped_configILNS1_25lookback_scan_determinismE0ES3_SB_PS6_NS8_17constant_iteratorIiNS8_11use_defaultESG_EENS8_10device_ptrIS6_EENSI_IlEEPmSA_NS8_8equal_toIS6_EEEE10hipError_tPvRmT2_T3_mT4_T5_T6_T7_T8_P12ihipStream_tbENKUlT_T0_E_clISt17integral_constantIbLb0EES14_IbLb1EEEEDaS10_S11_EUlS10_E_NS1_11comp_targetILNS1_3genE5ELNS1_11target_archE942ELNS1_3gpuE9ELNS1_3repE0EEENS1_30default_config_static_selectorELNS0_4arch9wavefront6targetE1EEEvT1_,@function
_ZN7rocprim17ROCPRIM_400000_NS6detail17trampoline_kernelINS0_14default_configENS1_29reduce_by_key_config_selectorIN3c108BFloat16ElN6thrust23THRUST_200600_302600_NS4plusIlEEEEZZNS1_33reduce_by_key_impl_wrapped_configILNS1_25lookback_scan_determinismE0ES3_SB_PS6_NS8_17constant_iteratorIiNS8_11use_defaultESG_EENS8_10device_ptrIS6_EENSI_IlEEPmSA_NS8_8equal_toIS6_EEEE10hipError_tPvRmT2_T3_mT4_T5_T6_T7_T8_P12ihipStream_tbENKUlT_T0_E_clISt17integral_constantIbLb0EES14_IbLb1EEEEDaS10_S11_EUlS10_E_NS1_11comp_targetILNS1_3genE5ELNS1_11target_archE942ELNS1_3gpuE9ELNS1_3repE0EEENS1_30default_config_static_selectorELNS0_4arch9wavefront6targetE1EEEvT1_: ; @_ZN7rocprim17ROCPRIM_400000_NS6detail17trampoline_kernelINS0_14default_configENS1_29reduce_by_key_config_selectorIN3c108BFloat16ElN6thrust23THRUST_200600_302600_NS4plusIlEEEEZZNS1_33reduce_by_key_impl_wrapped_configILNS1_25lookback_scan_determinismE0ES3_SB_PS6_NS8_17constant_iteratorIiNS8_11use_defaultESG_EENS8_10device_ptrIS6_EENSI_IlEEPmSA_NS8_8equal_toIS6_EEEE10hipError_tPvRmT2_T3_mT4_T5_T6_T7_T8_P12ihipStream_tbENKUlT_T0_E_clISt17integral_constantIbLb0EES14_IbLb1EEEEDaS10_S11_EUlS10_E_NS1_11comp_targetILNS1_3genE5ELNS1_11target_archE942ELNS1_3gpuE9ELNS1_3repE0EEENS1_30default_config_static_selectorELNS0_4arch9wavefront6targetE1EEEvT1_
; %bb.0:
	.section	.rodata,"a",@progbits
	.p2align	6, 0x0
	.amdhsa_kernel _ZN7rocprim17ROCPRIM_400000_NS6detail17trampoline_kernelINS0_14default_configENS1_29reduce_by_key_config_selectorIN3c108BFloat16ElN6thrust23THRUST_200600_302600_NS4plusIlEEEEZZNS1_33reduce_by_key_impl_wrapped_configILNS1_25lookback_scan_determinismE0ES3_SB_PS6_NS8_17constant_iteratorIiNS8_11use_defaultESG_EENS8_10device_ptrIS6_EENSI_IlEEPmSA_NS8_8equal_toIS6_EEEE10hipError_tPvRmT2_T3_mT4_T5_T6_T7_T8_P12ihipStream_tbENKUlT_T0_E_clISt17integral_constantIbLb0EES14_IbLb1EEEEDaS10_S11_EUlS10_E_NS1_11comp_targetILNS1_3genE5ELNS1_11target_archE942ELNS1_3gpuE9ELNS1_3repE0EEENS1_30default_config_static_selectorELNS0_4arch9wavefront6targetE1EEEvT1_
		.amdhsa_group_segment_fixed_size 0
		.amdhsa_private_segment_fixed_size 0
		.amdhsa_kernarg_size 144
		.amdhsa_user_sgpr_count 6
		.amdhsa_user_sgpr_private_segment_buffer 1
		.amdhsa_user_sgpr_dispatch_ptr 0
		.amdhsa_user_sgpr_queue_ptr 0
		.amdhsa_user_sgpr_kernarg_segment_ptr 1
		.amdhsa_user_sgpr_dispatch_id 0
		.amdhsa_user_sgpr_flat_scratch_init 0
		.amdhsa_user_sgpr_kernarg_preload_length 0
		.amdhsa_user_sgpr_kernarg_preload_offset 0
		.amdhsa_user_sgpr_private_segment_size 0
		.amdhsa_uses_dynamic_stack 0
		.amdhsa_system_sgpr_private_segment_wavefront_offset 0
		.amdhsa_system_sgpr_workgroup_id_x 1
		.amdhsa_system_sgpr_workgroup_id_y 0
		.amdhsa_system_sgpr_workgroup_id_z 0
		.amdhsa_system_sgpr_workgroup_info 0
		.amdhsa_system_vgpr_workitem_id 0
		.amdhsa_next_free_vgpr 1
		.amdhsa_next_free_sgpr 0
		.amdhsa_accum_offset 4
		.amdhsa_reserve_vcc 0
		.amdhsa_reserve_flat_scratch 0
		.amdhsa_float_round_mode_32 0
		.amdhsa_float_round_mode_16_64 0
		.amdhsa_float_denorm_mode_32 3
		.amdhsa_float_denorm_mode_16_64 3
		.amdhsa_dx10_clamp 1
		.amdhsa_ieee_mode 1
		.amdhsa_fp16_overflow 0
		.amdhsa_tg_split 0
		.amdhsa_exception_fp_ieee_invalid_op 0
		.amdhsa_exception_fp_denorm_src 0
		.amdhsa_exception_fp_ieee_div_zero 0
		.amdhsa_exception_fp_ieee_overflow 0
		.amdhsa_exception_fp_ieee_underflow 0
		.amdhsa_exception_fp_ieee_inexact 0
		.amdhsa_exception_int_div_zero 0
	.end_amdhsa_kernel
	.section	.text._ZN7rocprim17ROCPRIM_400000_NS6detail17trampoline_kernelINS0_14default_configENS1_29reduce_by_key_config_selectorIN3c108BFloat16ElN6thrust23THRUST_200600_302600_NS4plusIlEEEEZZNS1_33reduce_by_key_impl_wrapped_configILNS1_25lookback_scan_determinismE0ES3_SB_PS6_NS8_17constant_iteratorIiNS8_11use_defaultESG_EENS8_10device_ptrIS6_EENSI_IlEEPmSA_NS8_8equal_toIS6_EEEE10hipError_tPvRmT2_T3_mT4_T5_T6_T7_T8_P12ihipStream_tbENKUlT_T0_E_clISt17integral_constantIbLb0EES14_IbLb1EEEEDaS10_S11_EUlS10_E_NS1_11comp_targetILNS1_3genE5ELNS1_11target_archE942ELNS1_3gpuE9ELNS1_3repE0EEENS1_30default_config_static_selectorELNS0_4arch9wavefront6targetE1EEEvT1_,"axG",@progbits,_ZN7rocprim17ROCPRIM_400000_NS6detail17trampoline_kernelINS0_14default_configENS1_29reduce_by_key_config_selectorIN3c108BFloat16ElN6thrust23THRUST_200600_302600_NS4plusIlEEEEZZNS1_33reduce_by_key_impl_wrapped_configILNS1_25lookback_scan_determinismE0ES3_SB_PS6_NS8_17constant_iteratorIiNS8_11use_defaultESG_EENS8_10device_ptrIS6_EENSI_IlEEPmSA_NS8_8equal_toIS6_EEEE10hipError_tPvRmT2_T3_mT4_T5_T6_T7_T8_P12ihipStream_tbENKUlT_T0_E_clISt17integral_constantIbLb0EES14_IbLb1EEEEDaS10_S11_EUlS10_E_NS1_11comp_targetILNS1_3genE5ELNS1_11target_archE942ELNS1_3gpuE9ELNS1_3repE0EEENS1_30default_config_static_selectorELNS0_4arch9wavefront6targetE1EEEvT1_,comdat
.Lfunc_end2081:
	.size	_ZN7rocprim17ROCPRIM_400000_NS6detail17trampoline_kernelINS0_14default_configENS1_29reduce_by_key_config_selectorIN3c108BFloat16ElN6thrust23THRUST_200600_302600_NS4plusIlEEEEZZNS1_33reduce_by_key_impl_wrapped_configILNS1_25lookback_scan_determinismE0ES3_SB_PS6_NS8_17constant_iteratorIiNS8_11use_defaultESG_EENS8_10device_ptrIS6_EENSI_IlEEPmSA_NS8_8equal_toIS6_EEEE10hipError_tPvRmT2_T3_mT4_T5_T6_T7_T8_P12ihipStream_tbENKUlT_T0_E_clISt17integral_constantIbLb0EES14_IbLb1EEEEDaS10_S11_EUlS10_E_NS1_11comp_targetILNS1_3genE5ELNS1_11target_archE942ELNS1_3gpuE9ELNS1_3repE0EEENS1_30default_config_static_selectorELNS0_4arch9wavefront6targetE1EEEvT1_, .Lfunc_end2081-_ZN7rocprim17ROCPRIM_400000_NS6detail17trampoline_kernelINS0_14default_configENS1_29reduce_by_key_config_selectorIN3c108BFloat16ElN6thrust23THRUST_200600_302600_NS4plusIlEEEEZZNS1_33reduce_by_key_impl_wrapped_configILNS1_25lookback_scan_determinismE0ES3_SB_PS6_NS8_17constant_iteratorIiNS8_11use_defaultESG_EENS8_10device_ptrIS6_EENSI_IlEEPmSA_NS8_8equal_toIS6_EEEE10hipError_tPvRmT2_T3_mT4_T5_T6_T7_T8_P12ihipStream_tbENKUlT_T0_E_clISt17integral_constantIbLb0EES14_IbLb1EEEEDaS10_S11_EUlS10_E_NS1_11comp_targetILNS1_3genE5ELNS1_11target_archE942ELNS1_3gpuE9ELNS1_3repE0EEENS1_30default_config_static_selectorELNS0_4arch9wavefront6targetE1EEEvT1_
                                        ; -- End function
	.section	.AMDGPU.csdata,"",@progbits
; Kernel info:
; codeLenInByte = 0
; NumSgprs: 4
; NumVgprs: 0
; NumAgprs: 0
; TotalNumVgprs: 0
; ScratchSize: 0
; MemoryBound: 0
; FloatMode: 240
; IeeeMode: 1
; LDSByteSize: 0 bytes/workgroup (compile time only)
; SGPRBlocks: 0
; VGPRBlocks: 0
; NumSGPRsForWavesPerEU: 4
; NumVGPRsForWavesPerEU: 1
; AccumOffset: 4
; Occupancy: 8
; WaveLimiterHint : 0
; COMPUTE_PGM_RSRC2:SCRATCH_EN: 0
; COMPUTE_PGM_RSRC2:USER_SGPR: 6
; COMPUTE_PGM_RSRC2:TRAP_HANDLER: 0
; COMPUTE_PGM_RSRC2:TGID_X_EN: 1
; COMPUTE_PGM_RSRC2:TGID_Y_EN: 0
; COMPUTE_PGM_RSRC2:TGID_Z_EN: 0
; COMPUTE_PGM_RSRC2:TIDIG_COMP_CNT: 0
; COMPUTE_PGM_RSRC3_GFX90A:ACCUM_OFFSET: 0
; COMPUTE_PGM_RSRC3_GFX90A:TG_SPLIT: 0
	.section	.text._ZN7rocprim17ROCPRIM_400000_NS6detail17trampoline_kernelINS0_14default_configENS1_29reduce_by_key_config_selectorIN3c108BFloat16ElN6thrust23THRUST_200600_302600_NS4plusIlEEEEZZNS1_33reduce_by_key_impl_wrapped_configILNS1_25lookback_scan_determinismE0ES3_SB_PS6_NS8_17constant_iteratorIiNS8_11use_defaultESG_EENS8_10device_ptrIS6_EENSI_IlEEPmSA_NS8_8equal_toIS6_EEEE10hipError_tPvRmT2_T3_mT4_T5_T6_T7_T8_P12ihipStream_tbENKUlT_T0_E_clISt17integral_constantIbLb0EES14_IbLb1EEEEDaS10_S11_EUlS10_E_NS1_11comp_targetILNS1_3genE4ELNS1_11target_archE910ELNS1_3gpuE8ELNS1_3repE0EEENS1_30default_config_static_selectorELNS0_4arch9wavefront6targetE1EEEvT1_,"axG",@progbits,_ZN7rocprim17ROCPRIM_400000_NS6detail17trampoline_kernelINS0_14default_configENS1_29reduce_by_key_config_selectorIN3c108BFloat16ElN6thrust23THRUST_200600_302600_NS4plusIlEEEEZZNS1_33reduce_by_key_impl_wrapped_configILNS1_25lookback_scan_determinismE0ES3_SB_PS6_NS8_17constant_iteratorIiNS8_11use_defaultESG_EENS8_10device_ptrIS6_EENSI_IlEEPmSA_NS8_8equal_toIS6_EEEE10hipError_tPvRmT2_T3_mT4_T5_T6_T7_T8_P12ihipStream_tbENKUlT_T0_E_clISt17integral_constantIbLb0EES14_IbLb1EEEEDaS10_S11_EUlS10_E_NS1_11comp_targetILNS1_3genE4ELNS1_11target_archE910ELNS1_3gpuE8ELNS1_3repE0EEENS1_30default_config_static_selectorELNS0_4arch9wavefront6targetE1EEEvT1_,comdat
	.protected	_ZN7rocprim17ROCPRIM_400000_NS6detail17trampoline_kernelINS0_14default_configENS1_29reduce_by_key_config_selectorIN3c108BFloat16ElN6thrust23THRUST_200600_302600_NS4plusIlEEEEZZNS1_33reduce_by_key_impl_wrapped_configILNS1_25lookback_scan_determinismE0ES3_SB_PS6_NS8_17constant_iteratorIiNS8_11use_defaultESG_EENS8_10device_ptrIS6_EENSI_IlEEPmSA_NS8_8equal_toIS6_EEEE10hipError_tPvRmT2_T3_mT4_T5_T6_T7_T8_P12ihipStream_tbENKUlT_T0_E_clISt17integral_constantIbLb0EES14_IbLb1EEEEDaS10_S11_EUlS10_E_NS1_11comp_targetILNS1_3genE4ELNS1_11target_archE910ELNS1_3gpuE8ELNS1_3repE0EEENS1_30default_config_static_selectorELNS0_4arch9wavefront6targetE1EEEvT1_ ; -- Begin function _ZN7rocprim17ROCPRIM_400000_NS6detail17trampoline_kernelINS0_14default_configENS1_29reduce_by_key_config_selectorIN3c108BFloat16ElN6thrust23THRUST_200600_302600_NS4plusIlEEEEZZNS1_33reduce_by_key_impl_wrapped_configILNS1_25lookback_scan_determinismE0ES3_SB_PS6_NS8_17constant_iteratorIiNS8_11use_defaultESG_EENS8_10device_ptrIS6_EENSI_IlEEPmSA_NS8_8equal_toIS6_EEEE10hipError_tPvRmT2_T3_mT4_T5_T6_T7_T8_P12ihipStream_tbENKUlT_T0_E_clISt17integral_constantIbLb0EES14_IbLb1EEEEDaS10_S11_EUlS10_E_NS1_11comp_targetILNS1_3genE4ELNS1_11target_archE910ELNS1_3gpuE8ELNS1_3repE0EEENS1_30default_config_static_selectorELNS0_4arch9wavefront6targetE1EEEvT1_
	.globl	_ZN7rocprim17ROCPRIM_400000_NS6detail17trampoline_kernelINS0_14default_configENS1_29reduce_by_key_config_selectorIN3c108BFloat16ElN6thrust23THRUST_200600_302600_NS4plusIlEEEEZZNS1_33reduce_by_key_impl_wrapped_configILNS1_25lookback_scan_determinismE0ES3_SB_PS6_NS8_17constant_iteratorIiNS8_11use_defaultESG_EENS8_10device_ptrIS6_EENSI_IlEEPmSA_NS8_8equal_toIS6_EEEE10hipError_tPvRmT2_T3_mT4_T5_T6_T7_T8_P12ihipStream_tbENKUlT_T0_E_clISt17integral_constantIbLb0EES14_IbLb1EEEEDaS10_S11_EUlS10_E_NS1_11comp_targetILNS1_3genE4ELNS1_11target_archE910ELNS1_3gpuE8ELNS1_3repE0EEENS1_30default_config_static_selectorELNS0_4arch9wavefront6targetE1EEEvT1_
	.p2align	8
	.type	_ZN7rocprim17ROCPRIM_400000_NS6detail17trampoline_kernelINS0_14default_configENS1_29reduce_by_key_config_selectorIN3c108BFloat16ElN6thrust23THRUST_200600_302600_NS4plusIlEEEEZZNS1_33reduce_by_key_impl_wrapped_configILNS1_25lookback_scan_determinismE0ES3_SB_PS6_NS8_17constant_iteratorIiNS8_11use_defaultESG_EENS8_10device_ptrIS6_EENSI_IlEEPmSA_NS8_8equal_toIS6_EEEE10hipError_tPvRmT2_T3_mT4_T5_T6_T7_T8_P12ihipStream_tbENKUlT_T0_E_clISt17integral_constantIbLb0EES14_IbLb1EEEEDaS10_S11_EUlS10_E_NS1_11comp_targetILNS1_3genE4ELNS1_11target_archE910ELNS1_3gpuE8ELNS1_3repE0EEENS1_30default_config_static_selectorELNS0_4arch9wavefront6targetE1EEEvT1_,@function
_ZN7rocprim17ROCPRIM_400000_NS6detail17trampoline_kernelINS0_14default_configENS1_29reduce_by_key_config_selectorIN3c108BFloat16ElN6thrust23THRUST_200600_302600_NS4plusIlEEEEZZNS1_33reduce_by_key_impl_wrapped_configILNS1_25lookback_scan_determinismE0ES3_SB_PS6_NS8_17constant_iteratorIiNS8_11use_defaultESG_EENS8_10device_ptrIS6_EENSI_IlEEPmSA_NS8_8equal_toIS6_EEEE10hipError_tPvRmT2_T3_mT4_T5_T6_T7_T8_P12ihipStream_tbENKUlT_T0_E_clISt17integral_constantIbLb0EES14_IbLb1EEEEDaS10_S11_EUlS10_E_NS1_11comp_targetILNS1_3genE4ELNS1_11target_archE910ELNS1_3gpuE8ELNS1_3repE0EEENS1_30default_config_static_selectorELNS0_4arch9wavefront6targetE1EEEvT1_: ; @_ZN7rocprim17ROCPRIM_400000_NS6detail17trampoline_kernelINS0_14default_configENS1_29reduce_by_key_config_selectorIN3c108BFloat16ElN6thrust23THRUST_200600_302600_NS4plusIlEEEEZZNS1_33reduce_by_key_impl_wrapped_configILNS1_25lookback_scan_determinismE0ES3_SB_PS6_NS8_17constant_iteratorIiNS8_11use_defaultESG_EENS8_10device_ptrIS6_EENSI_IlEEPmSA_NS8_8equal_toIS6_EEEE10hipError_tPvRmT2_T3_mT4_T5_T6_T7_T8_P12ihipStream_tbENKUlT_T0_E_clISt17integral_constantIbLb0EES14_IbLb1EEEEDaS10_S11_EUlS10_E_NS1_11comp_targetILNS1_3genE4ELNS1_11target_archE910ELNS1_3gpuE8ELNS1_3repE0EEENS1_30default_config_static_selectorELNS0_4arch9wavefront6targetE1EEEvT1_
; %bb.0:
	s_load_dwordx4 s[56:59], s[4:5], 0x20
	s_load_dwordx2 s[60:61], s[4:5], 0x30
	s_load_dwordx2 s[62:63], s[4:5], 0x80
	v_cmp_ne_u32_e64 s[2:3], 0, v0
	v_cmp_eq_u32_e64 s[0:1], 0, v0
	s_and_saveexec_b64 s[6:7], s[0:1]
	s_cbranch_execz .LBB2082_4
; %bb.1:
	s_mov_b64 s[10:11], exec
	v_mbcnt_lo_u32_b32 v1, s10, 0
	v_mbcnt_hi_u32_b32 v1, s11, v1
	v_cmp_eq_u32_e32 vcc, 0, v1
                                        ; implicit-def: $vgpr2
	s_and_saveexec_b64 s[8:9], vcc
	s_cbranch_execz .LBB2082_3
; %bb.2:
	s_load_dwordx2 s[12:13], s[4:5], 0x88
	s_bcnt1_i32_b64 s10, s[10:11]
	v_mov_b32_e32 v2, 0
	v_mov_b32_e32 v3, s10
	s_waitcnt lgkmcnt(0)
	global_atomic_add v2, v2, v3, s[12:13] glc
.LBB2082_3:
	s_or_b64 exec, exec, s[8:9]
	s_waitcnt vmcnt(0)
	v_readfirstlane_b32 s8, v2
	v_add_u32_e32 v1, s8, v1
	v_mov_b32_e32 v2, 0
	ds_write_b32 v2, v1
.LBB2082_4:
	s_or_b64 exec, exec, s[6:7]
	s_load_dwordx4 s[8:11], s[4:5], 0x0
	s_load_dword s12, s[4:5], 0x18
	s_load_dwordx16 s[40:55], s[4:5], 0x40
	v_mov_b32_e32 v3, 0
	s_waitcnt lgkmcnt(0)
	s_barrier
	ds_read_b32 v1, v3
	s_mul_i32 s4, s48, s47
	s_mul_hi_u32 s5, s48, s46
	s_add_i32 s4, s5, s4
	s_mul_i32 s5, s49, s46
	s_add_i32 s6, s4, s5
	s_lshl_b64 s[4:5], s[10:11], 1
	s_add_u32 s4, s8, s4
	s_movk_i32 s8, 0xf00
	s_waitcnt lgkmcnt(0)
	v_mul_lo_u32 v2, v1, s8
	s_mul_i32 s7, s48, s46
	s_addc_u32 s5, s9, s5
	v_readfirstlane_b32 s64, v1
	v_lshlrev_b64 v[2:3], 1, v[2:3]
	v_add_co_u32_e32 v40, vcc, s4, v2
	s_add_u32 s4, s7, s64
	v_mov_b32_e32 v1, s5
	s_addc_u32 s5, s6, 0
	s_add_u32 s10, s50, -1
	s_addc_u32 s11, s51, -1
	s_cmp_eq_u64 s[4:5], s[10:11]
	v_addc_co_u32_e32 v41, vcc, v1, v3, vcc
	s_cselect_b64 s[48:49], -1, 0
	s_cmp_lg_u64 s[4:5], s[10:11]
	s_mov_b64 s[8:9], -1
	s_cselect_b64 s[6:7], -1, 0
	s_mul_i32 s33, s10, 0xfffff100
	s_and_b64 vcc, exec, s[48:49]
	s_barrier
	s_cbranch_vccnz .LBB2082_6
; %bb.5:
	v_lshlrev_b32_e32 v1, 1, v0
	v_add_co_u32_e32 v2, vcc, v40, v1
	v_addc_co_u32_e32 v3, vcc, 0, v41, vcc
	v_add_co_u32_e32 v2, vcc, 0x1000, v2
	v_readfirstlane_b32 s8, v40
	v_readfirstlane_b32 s9, v41
	v_addc_co_u32_e32 v3, vcc, 0, v3, vcc
	s_nop 3
	global_load_ushort v6, v1, s[8:9]
	global_load_ushort v7, v1, s[8:9] offset:512
	global_load_ushort v8, v1, s[8:9] offset:1024
	;; [unrolled: 1-line block ×7, first 2 shown]
	global_load_ushort v17, v[2:3], off
	global_load_ushort v18, v[2:3], off offset:512
	global_load_ushort v19, v[2:3], off offset:1024
	;; [unrolled: 1-line block ×6, first 2 shown]
	v_mad_u32_u24 v28, v0, 28, v1
	s_ashr_i32 s13, s12, 31
	s_movk_i32 s8, 0xffea
	v_mul_u32_u24_e32 v2, 15, v0
	v_mad_u32_u24 v10, v0, 15, 2
	v_mad_u32_u24 v5, v0, 15, 4
	v_mad_u32_u24 v4, v0, 15, 6
	v_mad_u32_u24 v3, v0, 15, 8
	v_mad_u32_u24 v27, v0, 15, 10
	v_mad_u32_u24 v26, v0, 15, 12
	v_mad_u32_u24 v25, v0, 15, 14
	v_pk_mov_b32 v[12:13], s[12:13], s[12:13] op_sel:[0,1]
	v_mad_i32_i24 v29, v0, s8, v28
	s_waitcnt vmcnt(14)
	ds_write_b16 v1, v6
	s_waitcnt vmcnt(13)
	ds_write_b16 v1, v7 offset:512
	s_waitcnt vmcnt(12)
	ds_write_b16 v1, v8 offset:1024
	;; [unrolled: 2-line block ×14, first 2 shown]
	s_waitcnt lgkmcnt(0)
	s_barrier
	ds_read_b128 v[6:9], v28
	ds_read_b96 v[22:24], v28 offset:16
	ds_read_u16 v1, v28 offset:28
	s_waitcnt lgkmcnt(0)
	s_barrier
	ds_write2st64_b64 v29, v[12:13], v[12:13] offset1:4
	ds_write2st64_b64 v29, v[12:13], v[12:13] offset0:8 offset1:12
	ds_write2st64_b64 v29, v[12:13], v[12:13] offset0:16 offset1:20
	;; [unrolled: 1-line block ×6, first 2 shown]
	ds_write_b64 v29, v[12:13] offset:28672
	s_waitcnt lgkmcnt(0)
	s_barrier
	s_add_i32 s33, s33, s52
	s_cbranch_execz .LBB2082_7
	s_branch .LBB2082_38
.LBB2082_6:
                                        ; implicit-def: $vgpr24
                                        ; implicit-def: $vgpr9
                                        ; implicit-def: $vgpr25
                                        ; implicit-def: $vgpr26
                                        ; implicit-def: $vgpr27
                                        ; implicit-def: $vgpr3
                                        ; implicit-def: $vgpr4
                                        ; implicit-def: $vgpr5
                                        ; implicit-def: $vgpr10
                                        ; implicit-def: $vgpr2
                                        ; implicit-def: $vgpr1
	s_andn2_b64 vcc, exec, s[8:9]
	s_add_i32 s33, s33, s52
	s_cbranch_vccnz .LBB2082_38
.LBB2082_7:
	v_cmp_gt_u32_e32 vcc, s33, v0
                                        ; implicit-def: $vgpr1
	s_and_saveexec_b64 s[8:9], vcc
	s_cbranch_execz .LBB2082_9
; %bb.8:
	v_lshlrev_b32_e32 v1, 1, v0
	v_readfirstlane_b32 s10, v40
	v_readfirstlane_b32 s11, v41
	s_nop 4
	global_load_ushort v1, v1, s[10:11]
.LBB2082_9:
	s_or_b64 exec, exec, s[8:9]
	v_or_b32_e32 v2, 0x100, v0
	v_cmp_gt_u32_e32 vcc, s33, v2
                                        ; implicit-def: $vgpr2
	s_and_saveexec_b64 s[8:9], vcc
	s_cbranch_execz .LBB2082_11
; %bb.10:
	v_lshlrev_b32_e32 v2, 1, v0
	v_readfirstlane_b32 s10, v40
	v_readfirstlane_b32 s11, v41
	s_nop 4
	global_load_ushort v2, v2, s[10:11] offset:512
.LBB2082_11:
	s_or_b64 exec, exec, s[8:9]
	v_or_b32_e32 v3, 0x200, v0
	v_cmp_gt_u32_e32 vcc, s33, v3
                                        ; implicit-def: $vgpr3
	s_and_saveexec_b64 s[8:9], vcc
	s_cbranch_execz .LBB2082_13
; %bb.12:
	v_lshlrev_b32_e32 v3, 1, v0
	v_readfirstlane_b32 s10, v40
	v_readfirstlane_b32 s11, v41
	s_nop 4
	global_load_ushort v3, v3, s[10:11] offset:1024
.LBB2082_13:
	s_or_b64 exec, exec, s[8:9]
	v_or_b32_e32 v4, 0x300, v0
	v_cmp_gt_u32_e32 vcc, s33, v4
                                        ; implicit-def: $vgpr4
	s_and_saveexec_b64 s[8:9], vcc
	s_cbranch_execz .LBB2082_15
; %bb.14:
	v_lshlrev_b32_e32 v4, 1, v0
	v_readfirstlane_b32 s10, v40
	v_readfirstlane_b32 s11, v41
	s_nop 4
	global_load_ushort v4, v4, s[10:11] offset:1536
.LBB2082_15:
	s_or_b64 exec, exec, s[8:9]
	v_or_b32_e32 v5, 0x400, v0
	v_cmp_gt_u32_e32 vcc, s33, v5
                                        ; implicit-def: $vgpr5
	s_and_saveexec_b64 s[8:9], vcc
	s_cbranch_execz .LBB2082_17
; %bb.16:
	v_lshlrev_b32_e32 v5, 1, v0
	v_readfirstlane_b32 s10, v40
	v_readfirstlane_b32 s11, v41
	s_nop 4
	global_load_ushort v5, v5, s[10:11] offset:2048
.LBB2082_17:
	s_or_b64 exec, exec, s[8:9]
	v_or_b32_e32 v6, 0x500, v0
	v_cmp_gt_u32_e32 vcc, s33, v6
                                        ; implicit-def: $vgpr6
	s_and_saveexec_b64 s[8:9], vcc
	s_cbranch_execz .LBB2082_19
; %bb.18:
	v_lshlrev_b32_e32 v6, 1, v0
	v_readfirstlane_b32 s10, v40
	v_readfirstlane_b32 s11, v41
	s_nop 4
	global_load_ushort v6, v6, s[10:11] offset:2560
.LBB2082_19:
	s_or_b64 exec, exec, s[8:9]
	v_or_b32_e32 v7, 0x600, v0
	v_cmp_gt_u32_e32 vcc, s33, v7
                                        ; implicit-def: $vgpr7
	s_and_saveexec_b64 s[8:9], vcc
	s_cbranch_execz .LBB2082_21
; %bb.20:
	v_lshlrev_b32_e32 v7, 1, v0
	v_readfirstlane_b32 s10, v40
	v_readfirstlane_b32 s11, v41
	s_nop 4
	global_load_ushort v7, v7, s[10:11] offset:3072
.LBB2082_21:
	s_or_b64 exec, exec, s[8:9]
	v_or_b32_e32 v8, 0x700, v0
	v_cmp_gt_u32_e32 vcc, s33, v8
                                        ; implicit-def: $vgpr8
	s_and_saveexec_b64 s[8:9], vcc
	s_cbranch_execz .LBB2082_23
; %bb.22:
	v_lshlrev_b32_e32 v8, 1, v0
	v_readfirstlane_b32 s10, v40
	v_readfirstlane_b32 s11, v41
	s_nop 4
	global_load_ushort v8, v8, s[10:11] offset:3584
.LBB2082_23:
	s_or_b64 exec, exec, s[8:9]
	v_or_b32_e32 v10, 0x800, v0
	v_cmp_gt_u32_e32 vcc, s33, v10
                                        ; implicit-def: $vgpr9
	s_and_saveexec_b64 s[8:9], vcc
	s_cbranch_execz .LBB2082_25
; %bb.24:
	v_lshlrev_b32_e32 v9, 1, v10
	v_readfirstlane_b32 s10, v40
	v_readfirstlane_b32 s11, v41
	s_nop 4
	global_load_ushort v9, v9, s[10:11]
.LBB2082_25:
	s_or_b64 exec, exec, s[8:9]
	v_or_b32_e32 v11, 0x900, v0
	v_cmp_gt_u32_e32 vcc, s33, v11
                                        ; implicit-def: $vgpr10
	s_and_saveexec_b64 s[8:9], vcc
	s_cbranch_execz .LBB2082_27
; %bb.26:
	v_lshlrev_b32_e32 v10, 1, v11
	v_readfirstlane_b32 s10, v40
	v_readfirstlane_b32 s11, v41
	s_nop 4
	global_load_ushort v10, v10, s[10:11]
.LBB2082_27:
	s_or_b64 exec, exec, s[8:9]
	v_or_b32_e32 v12, 0xa00, v0
	v_cmp_gt_u32_e32 vcc, s33, v12
                                        ; implicit-def: $vgpr11
	s_and_saveexec_b64 s[8:9], vcc
	s_cbranch_execz .LBB2082_29
; %bb.28:
	v_lshlrev_b32_e32 v11, 1, v12
	v_readfirstlane_b32 s10, v40
	v_readfirstlane_b32 s11, v41
	s_nop 4
	global_load_ushort v11, v11, s[10:11]
.LBB2082_29:
	s_or_b64 exec, exec, s[8:9]
	v_or_b32_e32 v13, 0xb00, v0
	v_cmp_gt_u32_e32 vcc, s33, v13
                                        ; implicit-def: $vgpr12
	s_and_saveexec_b64 s[8:9], vcc
	s_cbranch_execz .LBB2082_31
; %bb.30:
	v_lshlrev_b32_e32 v12, 1, v13
	v_readfirstlane_b32 s10, v40
	v_readfirstlane_b32 s11, v41
	s_nop 4
	global_load_ushort v12, v12, s[10:11]
.LBB2082_31:
	s_or_b64 exec, exec, s[8:9]
	v_or_b32_e32 v14, 0xc00, v0
	v_cmp_gt_u32_e32 vcc, s33, v14
                                        ; implicit-def: $vgpr13
	s_and_saveexec_b64 s[8:9], vcc
	s_cbranch_execz .LBB2082_33
; %bb.32:
	v_lshlrev_b32_e32 v13, 1, v14
	v_readfirstlane_b32 s10, v40
	v_readfirstlane_b32 s11, v41
	s_nop 4
	global_load_ushort v13, v13, s[10:11]
.LBB2082_33:
	s_or_b64 exec, exec, s[8:9]
	v_or_b32_e32 v15, 0xd00, v0
	v_cmp_gt_u32_e32 vcc, s33, v15
                                        ; implicit-def: $vgpr14
	s_and_saveexec_b64 s[8:9], vcc
	s_cbranch_execz .LBB2082_35
; %bb.34:
	v_lshlrev_b32_e32 v14, 1, v15
	v_readfirstlane_b32 s10, v40
	v_readfirstlane_b32 s11, v41
	s_nop 4
	global_load_ushort v14, v14, s[10:11]
.LBB2082_35:
	s_or_b64 exec, exec, s[8:9]
	v_or_b32_e32 v16, 0xe00, v0
	v_cmp_gt_u32_e32 vcc, s33, v16
                                        ; implicit-def: $vgpr15
	s_and_saveexec_b64 s[8:9], vcc
	s_cbranch_execz .LBB2082_37
; %bb.36:
	v_lshlrev_b32_e32 v15, 1, v16
	v_readfirstlane_b32 s10, v40
	v_readfirstlane_b32 s11, v41
	s_nop 4
	global_load_ushort v15, v15, s[10:11]
.LBB2082_37:
	s_or_b64 exec, exec, s[8:9]
	v_lshlrev_b32_e32 v16, 1, v0
	s_waitcnt vmcnt(0)
	ds_write_b16 v16, v1
	ds_write_b16 v16, v2 offset:512
	ds_write_b16 v16, v3 offset:1024
	;; [unrolled: 1-line block ×14, first 2 shown]
	v_mad_u32_u24 v11, v0, 28, v16
	s_waitcnt lgkmcnt(0)
	s_barrier
	ds_read_b128 v[6:9], v11
	ds_read_b96 v[22:24], v11 offset:16
	ds_read_u16 v1, v11 offset:28
	s_ashr_i32 s13, s12, 31
	s_movk_i32 s8, 0xffea
	v_mul_u32_u24_e32 v2, 15, v0
	v_mad_u32_u24 v10, v0, 15, 2
	v_mad_u32_u24 v5, v0, 15, 4
	;; [unrolled: 1-line block ×7, first 2 shown]
	v_mad_i32_i24 v11, v0, s8, v11
	v_pk_mov_b32 v[12:13], s[12:13], s[12:13] op_sel:[0,1]
	s_waitcnt lgkmcnt(0)
	s_barrier
	ds_write2st64_b64 v11, v[12:13], v[12:13] offset1:4
	ds_write2st64_b64 v11, v[12:13], v[12:13] offset0:8 offset1:12
	ds_write2st64_b64 v11, v[12:13], v[12:13] offset0:16 offset1:20
	;; [unrolled: 1-line block ×6, first 2 shown]
	ds_write_b64 v11, v[12:13] offset:28672
	s_waitcnt lgkmcnt(0)
	s_barrier
.LBB2082_38:
	v_lshlrev_b32_e32 v2, 3, v2
	v_lshlrev_b32_e32 v10, 3, v10
	v_lshlrev_b32_e32 v5, 3, v5
	v_lshlrev_b32_e32 v4, 3, v4
	v_lshlrev_b32_e32 v3, 3, v3
	ds_read2_b64 v[18:21], v2 offset1:1
	ds_read_b64 v[34:35], v10
	ds_read2_b64 v[14:17], v2 offset0:3 offset1:5
	ds_read2_b64 v[10:13], v2 offset0:7 offset1:9
	v_lshlrev_b32_e32 v27, 3, v27
	ds_read_b64 v[36:37], v5
	ds_read_b64 v[32:33], v4
	;; [unrolled: 1-line block ×4, first 2 shown]
	ds_read2_b64 v[2:5], v2 offset0:11 offset1:13
	v_lshlrev_b32_e32 v26, 3, v26
	v_lshlrev_b32_e32 v25, 3, v25
	ds_read_b64 v[26:27], v26
	ds_read_b64 v[38:39], v25
	s_cmp_eq_u64 s[4:5], 0
	s_cselect_b64 s[50:51], -1, 0
	s_cmp_lg_u64 s[4:5], 0
	s_mov_b64 s[8:9], 0
	s_cselect_b64 s[10:11], -1, 0
	s_and_b64 vcc, exec, s[6:7]
	s_waitcnt lgkmcnt(0)
	s_barrier
	s_cbranch_vccz .LBB2082_44
; %bb.39:
	s_and_b64 vcc, exec, s[10:11]
	s_cbranch_vccz .LBB2082_45
; %bb.40:
	global_load_ushort v42, v[40:41], off offset:-2
	v_lshlrev_b32_e32 v25, 1, v0
	ds_write_b16 v25, v1
	s_waitcnt lgkmcnt(0)
	s_barrier
	s_and_saveexec_b64 s[6:7], s[2:3]
	s_cbranch_execz .LBB2082_42
; %bb.41:
	v_add_u32_e32 v25, -2, v25
	s_waitcnt vmcnt(0)
	ds_read_u16 v42, v25
.LBB2082_42:
	s_or_b64 exec, exec, s[6:7]
	v_and_b32_e32 v54, 0xffff0000, v6
	v_lshlrev_b32_e32 v55, 16, v6
	v_lshlrev_b32_e32 v56, 16, v7
	v_cmp_neq_f32_e32 vcc, v54, v55
	v_and_b32_e32 v53, 0xffff0000, v7
	v_cndmask_b32_e64 v89, 0, 1, vcc
	v_cmp_neq_f32_e32 vcc, v54, v56
	v_lshlrev_b32_e32 v51, 16, v8
	v_cndmask_b32_e64 v90, 0, 1, vcc
	v_cmp_neq_f32_e32 vcc, v56, v53
	v_and_b32_e32 v50, 0xffff0000, v8
	v_cndmask_b32_e64 v88, 0, 1, vcc
	v_cmp_neq_f32_e32 vcc, v51, v53
	v_lshlrev_b32_e32 v52, 16, v9
	v_cndmask_b32_e64 v85, 0, 1, vcc
	;; [unrolled: 6-line block ×6, first 2 shown]
	v_cmp_neq_f32_e32 vcc, v43, v44
	v_cndmask_b32_e64 v80, 0, 1, vcc
	v_cmp_neq_f32_e32 vcc, v43, v45
	s_waitcnt vmcnt(0) lgkmcnt(0)
	v_lshlrev_b32_e32 v42, 16, v42
	v_cndmask_b32_e64 v81, 0, 1, vcc
	v_cmp_neq_f32_e64 s[6:7], v55, v42
	s_mov_b64 s[8:9], -1
.LBB2082_43:
                                        ; implicit-def: $sgpr14
	s_branch .LBB2082_57
.LBB2082_44:
                                        ; implicit-def: $sgpr6_sgpr7
                                        ; implicit-def: $vgpr81
                                        ; implicit-def: $vgpr80
                                        ; implicit-def: $vgpr25
                                        ; implicit-def: $vgpr83
                                        ; implicit-def: $vgpr84
                                        ; implicit-def: $vgpr78
                                        ; implicit-def: $vgpr79
                                        ; implicit-def: $vgpr86
                                        ; implicit-def: $vgpr87
                                        ; implicit-def: $vgpr82
                                        ; implicit-def: $vgpr85
                                        ; implicit-def: $vgpr88
                                        ; implicit-def: $vgpr90
                                        ; implicit-def: $vgpr89
                                        ; implicit-def: $sgpr14
	s_cbranch_execnz .LBB2082_49
	s_branch .LBB2082_57
.LBB2082_45:
                                        ; implicit-def: $sgpr6_sgpr7
                                        ; implicit-def: $vgpr81
                                        ; implicit-def: $vgpr80
                                        ; implicit-def: $vgpr25
                                        ; implicit-def: $vgpr83
                                        ; implicit-def: $vgpr84
                                        ; implicit-def: $vgpr78
                                        ; implicit-def: $vgpr79
                                        ; implicit-def: $vgpr86
                                        ; implicit-def: $vgpr87
                                        ; implicit-def: $vgpr82
                                        ; implicit-def: $vgpr85
                                        ; implicit-def: $vgpr88
                                        ; implicit-def: $vgpr90
                                        ; implicit-def: $vgpr89
	s_cbranch_execz .LBB2082_43
; %bb.46:
	v_and_b32_e32 v55, 0xffff0000, v6
	v_lshlrev_b32_e32 v43, 16, v6
	v_lshlrev_b32_e32 v56, 16, v7
	v_cmp_neq_f32_e32 vcc, v55, v43
	v_and_b32_e32 v54, 0xffff0000, v7
	v_cndmask_b32_e64 v89, 0, 1, vcc
	v_cmp_neq_f32_e32 vcc, v55, v56
	v_lshlrev_b32_e32 v52, 16, v8
	v_cndmask_b32_e64 v90, 0, 1, vcc
	v_cmp_neq_f32_e32 vcc, v56, v54
	v_and_b32_e32 v51, 0xffff0000, v8
	v_cndmask_b32_e64 v88, 0, 1, vcc
	v_cmp_neq_f32_e32 vcc, v52, v54
	v_lshlrev_b32_e32 v53, 16, v9
	v_cndmask_b32_e64 v85, 0, 1, vcc
	;; [unrolled: 6-line block ×6, first 2 shown]
	v_cmp_neq_f32_e32 vcc, v44, v45
	v_cndmask_b32_e64 v80, 0, 1, vcc
	v_cmp_neq_f32_e32 vcc, v44, v46
	s_mov_b32 s14, 1
	v_lshlrev_b32_e32 v42, 1, v0
	v_cndmask_b32_e64 v81, 0, 1, vcc
	ds_write_b16 v42, v1
	s_waitcnt lgkmcnt(0)
	s_barrier
	s_waitcnt lgkmcnt(0)
                                        ; implicit-def: $sgpr6_sgpr7
	s_and_saveexec_b64 s[12:13], s[2:3]
	s_xor_b64 s[12:13], exec, s[12:13]
	s_cbranch_execz .LBB2082_48
; %bb.47:
	v_add_u32_e32 v42, -2, v42
	ds_read_u16 v42, v42
	s_or_b64 s[8:9], s[8:9], exec
	s_waitcnt lgkmcnt(0)
	v_lshlrev_b32_e32 v42, 16, v42
	v_cmp_neq_f32_e32 vcc, v43, v42
	s_and_b64 s[6:7], vcc, exec
.LBB2082_48:
	s_or_b64 exec, exec, s[12:13]
	s_branch .LBB2082_57
.LBB2082_49:
	s_mul_hi_u32 s6, s4, 0xfffff100
	s_mulk_i32 s5, 0xf100
	s_sub_i32 s6, s6, s4
	s_add_i32 s6, s6, s5
	s_mulk_i32 s4, 0xf100
	s_add_u32 s52, s4, s52
	s_addc_u32 s53, s6, s53
	s_and_b64 vcc, exec, s[10:11]
	s_cbranch_vccz .LBB2082_54
; %bb.50:
	global_load_ushort v42, v[40:41], off offset:-2
	v_lshlrev_b32_e32 v25, 1, v0
	v_mul_u32_u24_e32 v40, 15, v0
	ds_write_b16 v25, v1
	s_waitcnt lgkmcnt(0)
	s_barrier
	s_and_saveexec_b64 s[4:5], s[2:3]
	s_cbranch_execz .LBB2082_52
; %bb.51:
	v_add_u32_e32 v25, -2, v25
	s_waitcnt vmcnt(0)
	ds_read_u16 v42, v25
.LBB2082_52:
	s_or_b64 exec, exec, s[4:5]
	s_mov_b32 s4, 0xe000d
	v_pk_add_u16 v41, v40, s4 op_sel_hi:[0,1]
	v_and_b32_e32 v46, 0xffff, v41
	v_mov_b32_e32 v47, 0
	v_cmp_gt_u64_e32 vcc, s[52:53], v[46:47]
	v_lshlrev_b32_e32 v43, 16, v24
	v_add_u32_e32 v46, 12, v40
	v_and_b32_e32 v49, 0xffff0000, v23
	v_cmp_gt_u64_e64 s[10:11], s[52:53], v[46:47]
	v_cmp_neq_f32_e64 s[12:13], v49, v43
	v_and_b32_e32 v25, 0xffff0000, v24
	v_alignbit_b32 v44, 0, v41, 16
	v_lshlrev_b32_e32 v41, 16, v1
	s_and_b64 s[10:11], s[10:11], s[12:13]
	v_cmp_neq_f32_e64 s[8:9], v25, v43
	v_cmp_neq_f32_e64 s[6:7], v25, v41
	v_cndmask_b32_e64 v25, 0, 1, s[10:11]
	s_mov_b32 s10, 0xb000a
	v_pk_add_u16 v43, v40, s10 op_sel_hi:[0,1]
	v_lshlrev_b32_e32 v41, 16, v23
	v_and_b32_e32 v48, 0xffff0000, v22
	v_and_b32_e32 v46, 0xffff, v43
	v_cmp_gt_u64_e64 s[10:11], s[52:53], v[46:47]
	v_cmp_neq_f32_e64 s[14:15], v41, v48
	v_cmp_neq_f32_e64 s[16:17], v41, v49
	v_add_u32_e32 v46, 9, v40
	v_lshlrev_b32_e32 v41, 16, v22
	v_cmp_gt_u64_e64 s[18:19], s[52:53], v[46:47]
	v_cmp_neq_f32_e64 s[20:21], v48, v41
	s_and_b64 s[18:19], s[18:19], s[20:21]
	v_add_u32_e32 v46, 8, v40
	v_and_b32_e32 v49, 0xffff0000, v9
	v_cndmask_b32_e64 v78, 0, 1, s[18:19]
	v_cmp_gt_u64_e64 s[18:19], s[52:53], v[46:47]
	v_cmp_neq_f32_e64 s[20:21], v49, v41
	s_and_b64 s[18:19], s[18:19], s[20:21]
	v_cndmask_b32_e64 v79, 0, 1, s[18:19]
	s_mov_b32 s18, 0x70006
	v_mov_b32_e32 v45, v47
	v_pk_add_u16 v41, v40, s18 op_sel_hi:[0,1]
	v_cmp_gt_u64_e64 s[4:5], s[52:53], v[44:45]
	v_alignbit_b32 v44, 0, v43, 16
	v_and_b32_e32 v46, 0xffff, v41
	v_cmp_gt_u64_e64 s[12:13], s[52:53], v[44:45]
	v_and_b32_e32 v48, 0xffff0000, v8
	v_alignbit_b32 v44, 0, v41, 16
	v_cmp_gt_u64_e64 s[18:19], s[52:53], v[46:47]
	v_add_u32_e32 v46, 5, v40
	v_lshlrev_b32_e32 v41, 16, v8
	v_lshlrev_b32_e32 v43, 16, v9
	v_cmp_gt_u64_e64 s[26:27], s[52:53], v[46:47]
	v_cmp_neq_f32_e64 s[28:29], v48, v41
	v_cmp_neq_f32_e64 s[24:25], v43, v49
	s_and_b64 s[26:27], s[26:27], s[28:29]
	v_add_u32_e32 v46, 4, v40
	v_and_b32_e32 v49, 0xffff0000, v7
	v_cndmask_b32_e64 v82, 0, 1, s[26:27]
	v_cmp_gt_u64_e64 s[26:27], s[52:53], v[46:47]
	v_cmp_neq_f32_e64 s[28:29], v49, v41
	s_and_b64 s[26:27], s[26:27], s[28:29]
	v_cndmask_b32_e64 v85, 0, 1, s[26:27]
	s_mov_b32 s26, 0x30002
	v_pk_add_u16 v41, v40, s26 op_sel_hi:[0,1]
	v_cmp_neq_f32_e64 s[22:23], v43, v48
	v_lshlrev_b32_e32 v43, 16, v7
	v_and_b32_e32 v48, 0xffff0000, v6
	v_and_b32_e32 v46, 0xffff, v41
	v_cmp_gt_u64_e64 s[20:21], s[52:53], v[44:45]
	v_alignbit_b32 v44, 0, v41, 16
	v_cmp_gt_u64_e64 s[26:27], s[52:53], v[46:47]
	v_cmp_neq_f32_e64 s[30:31], v43, v48
	v_cmp_neq_f32_e64 s[34:35], v43, v49
	v_add_u32_e32 v46, 1, v40
	v_lshlrev_b32_e32 v43, 16, v6
	v_mov_b32_e32 v41, v47
	v_cmp_gt_u64_e64 s[28:29], s[52:53], v[44:45]
	v_cmp_gt_u64_e64 s[36:37], s[52:53], v[46:47]
	v_cmp_neq_f32_e64 s[38:39], v48, v43
	s_and_b64 s[26:27], s[26:27], s[30:31]
	s_and_b64 s[18:19], s[18:19], s[22:23]
	;; [unrolled: 1-line block ×3, first 2 shown]
	s_and_b64 s[8:9], vcc, s[8:9]
	s_and_b64 s[4:5], s[4:5], s[6:7]
	v_cmp_gt_u64_e32 vcc, s[52:53], v[40:41]
	s_waitcnt vmcnt(0) lgkmcnt(0)
	v_lshlrev_b32_e32 v40, 16, v42
	s_and_b64 s[36:37], s[36:37], s[38:39]
	v_cndmask_b32_e64 v90, 0, 1, s[26:27]
	s_and_b64 s[26:27], s[28:29], s[34:35]
	v_cndmask_b32_e64 v87, 0, 1, s[18:19]
	;; [unrolled: 2-line block ×4, first 2 shown]
	v_cmp_neq_f32_e64 s[4:5], v40, v43
	v_cndmask_b32_e64 v89, 0, 1, s[36:37]
	v_cndmask_b32_e64 v88, 0, 1, s[26:27]
	;; [unrolled: 1-line block ×5, first 2 shown]
	s_and_b64 s[6:7], vcc, s[4:5]
	s_mov_b64 s[8:9], -1
.LBB2082_53:
                                        ; implicit-def: $sgpr14
	v_mov_b32_e32 v91, s14
	s_and_saveexec_b64 s[2:3], s[8:9]
	s_cbranch_execnz .LBB2082_58
	s_branch .LBB2082_59
.LBB2082_54:
                                        ; implicit-def: $sgpr6_sgpr7
                                        ; implicit-def: $vgpr81
                                        ; implicit-def: $vgpr80
                                        ; implicit-def: $vgpr25
                                        ; implicit-def: $vgpr83
                                        ; implicit-def: $vgpr84
                                        ; implicit-def: $vgpr78
                                        ; implicit-def: $vgpr79
                                        ; implicit-def: $vgpr86
                                        ; implicit-def: $vgpr87
                                        ; implicit-def: $vgpr82
                                        ; implicit-def: $vgpr85
                                        ; implicit-def: $vgpr88
                                        ; implicit-def: $vgpr90
                                        ; implicit-def: $vgpr89
	s_cbranch_execz .LBB2082_53
; %bb.55:
	v_mad_u32_u24 v40, v0, 15, 14
	v_mov_b32_e32 v41, 0
	v_cmp_gt_u64_e32 vcc, s[52:53], v[40:41]
	v_mad_u32_u24 v40, v0, 15, 13
	v_lshlrev_b32_e32 v25, 16, v1
	v_cmp_gt_u64_e64 s[4:5], s[52:53], v[40:41]
	v_and_b32_e32 v40, 0xffff0000, v24
	v_lshlrev_b32_e32 v43, 16, v24
	v_cmp_neq_f32_e64 s[6:7], v40, v25
	s_and_b64 s[6:7], vcc, s[6:7]
	v_cmp_neq_f32_e32 vcc, v43, v40
	v_mad_u32_u24 v40, v0, 15, 12
	s_and_b64 s[4:5], s[4:5], vcc
	v_cmp_gt_u64_e32 vcc, s[52:53], v[40:41]
	v_mad_u32_u24 v40, v0, 15, 11
	v_cndmask_b32_e64 v80, 0, 1, s[4:5]
	v_cmp_gt_u64_e64 s[4:5], s[52:53], v[40:41]
	v_and_b32_e32 v40, 0xffff0000, v23
	v_cndmask_b32_e64 v81, 0, 1, s[6:7]
	v_lshlrev_b32_e32 v44, 16, v23
	v_cmp_neq_f32_e64 s[6:7], v40, v43
	s_and_b64 s[6:7], vcc, s[6:7]
	v_cmp_neq_f32_e32 vcc, v44, v40
	v_mad_u32_u24 v40, v0, 15, 10
	s_and_b64 s[4:5], s[4:5], vcc
	v_cmp_gt_u64_e32 vcc, s[52:53], v[40:41]
	v_mad_u32_u24 v40, v0, 15, 9
	v_cndmask_b32_e64 v83, 0, 1, s[4:5]
	v_cmp_gt_u64_e64 s[4:5], s[52:53], v[40:41]
	v_and_b32_e32 v40, 0xffff0000, v22
	v_cndmask_b32_e64 v25, 0, 1, s[6:7]
	;; [unrolled: 12-line block ×6, first 2 shown]
	v_lshlrev_b32_e32 v43, 16, v6
	v_cmp_neq_f32_e64 s[6:7], v40, v44
	s_and_b64 s[6:7], vcc, s[6:7]
	v_cmp_neq_f32_e32 vcc, v43, v40
	s_and_b64 s[4:5], s[4:5], vcc
	s_mov_b32 s14, 1
	v_lshlrev_b32_e32 v42, 1, v0
	v_cndmask_b32_e64 v90, 0, 1, s[6:7]
	v_cndmask_b32_e64 v89, 0, 1, s[4:5]
	ds_write_b16 v42, v1
	s_waitcnt lgkmcnt(0)
	s_barrier
	s_waitcnt lgkmcnt(0)
                                        ; implicit-def: $sgpr6_sgpr7
	s_and_saveexec_b64 s[4:5], s[2:3]
	s_cbranch_execz .LBB2082_206
; %bb.56:
	v_add_u32_e32 v40, -2, v42
	ds_read_u16 v42, v40
	v_mul_u32_u24_e32 v40, 15, v0
	v_cmp_gt_u64_e32 vcc, s[52:53], v[40:41]
	s_or_b64 s[8:9], s[8:9], exec
	s_waitcnt lgkmcnt(0)
	v_lshlrev_b32_e32 v40, 16, v42
	v_cmp_neq_f32_e64 s[2:3], v43, v40
	s_and_b64 s[2:3], vcc, s[2:3]
	s_and_b64 s[6:7], s[2:3], exec
	s_or_b64 exec, exec, s[4:5]
.LBB2082_57:
	v_mov_b32_e32 v91, s14
	s_and_saveexec_b64 s[2:3], s[8:9]
.LBB2082_58:
	v_cndmask_b32_e64 v91, 0, 1, s[6:7]
.LBB2082_59:
	s_or_b64 exec, exec, s[2:3]
	s_cmp_eq_u64 s[46:47], 0
	v_add3_u32 v40, v89, v91, v90
	v_mov_b32_e32 v74, v18
	v_mov_b32_e32 v75, v19
	s_cselect_b64 s[30:31], -1, 0
	s_cmp_lg_u32 s64, 0
	v_cmp_eq_u32_e64 s[26:27], 0, v89
	v_cmp_eq_u32_e64 s[24:25], 0, v90
	;; [unrolled: 1-line block ×3, first 2 shown]
	v_add3_u32 v94, v40, v88, v85
	v_cmp_eq_u32_e64 s[20:21], 0, v85
	v_cmp_eq_u32_e64 s[18:19], 0, v82
	v_cmp_eq_u32_e64 s[16:17], 0, v87
	v_cmp_eq_u32_e64 s[14:15], 0, v86
	v_cmp_eq_u32_e64 s[12:13], 0, v79
	v_cmp_eq_u32_e64 s[10:11], 0, v78
	v_cmp_eq_u32_e64 s[8:9], 0, v84
	v_cmp_eq_u32_e64 s[6:7], 0, v83
	v_cmp_eq_u32_e64 s[4:5], 0, v25
	v_cmp_eq_u32_e64 s[2:3], 0, v80
	v_cmp_eq_u32_e32 vcc, 0, v81
	v_mbcnt_lo_u32_b32 v93, -1, 0
	s_cbranch_scc0 .LBB2082_126
; %bb.60:
	v_cndmask_b32_e64 v41, 0, v18, s[26:27]
	v_cndmask_b32_e64 v40, 0, v19, s[26:27]
	v_add_co_u32_e64 v41, s[28:29], v41, v20
	v_addc_co_u32_e64 v40, s[28:29], v40, v21, s[28:29]
	v_cndmask_b32_e64 v41, 0, v41, s[24:25]
	v_cndmask_b32_e64 v40, 0, v40, s[24:25]
	v_add_co_u32_e64 v41, s[28:29], v41, v34
	v_addc_co_u32_e64 v40, s[28:29], v40, v35, s[28:29]
	;; [unrolled: 4-line block ×11, first 2 shown]
	v_cndmask_b32_e64 v41, 0, v41, s[4:5]
	v_add3_u32 v42, v94, v82, v87
	v_cndmask_b32_e64 v40, 0, v40, s[4:5]
	v_add_co_u32_e64 v41, s[28:29], v41, v26
	v_add3_u32 v42, v42, v86, v79
	v_addc_co_u32_e64 v40, s[28:29], v40, v27, s[28:29]
	v_cndmask_b32_e64 v41, 0, v41, s[2:3]
	v_add3_u32 v42, v42, v78, v84
	v_cndmask_b32_e64 v40, 0, v40, s[2:3]
	v_add_co_u32_e64 v41, s[28:29], v41, v4
	v_add3_u32 v42, v42, v83, v25
	v_addc_co_u32_e64 v40, s[28:29], v40, v5, s[28:29]
	v_cndmask_b32_e32 v41, 0, v41, vcc
	v_add3_u32 v44, v42, v80, v81
	v_cndmask_b32_e32 v40, 0, v40, vcc
	v_add_co_u32_e32 v42, vcc, v41, v38
	v_mbcnt_hi_u32_b32 v45, -1, v93
	v_addc_co_u32_e32 v43, vcc, v40, v39, vcc
	v_and_b32_e32 v40, 15, v45
	v_mov_b32_dpp v46, v44 row_shr:1 row_mask:0xf bank_mask:0xf
	v_mov_b32_dpp v41, v42 row_shr:1 row_mask:0xf bank_mask:0xf
	;; [unrolled: 1-line block ×3, first 2 shown]
	v_cmp_ne_u32_e32 vcc, 0, v40
	s_and_saveexec_b64 s[28:29], vcc
; %bb.61:
	v_cmp_eq_u32_e32 vcc, 0, v44
	v_cndmask_b32_e32 v41, 0, v41, vcc
	v_add_u32_e32 v46, v46, v44
	v_cndmask_b32_e32 v44, 0, v47, vcc
	v_add_co_u32_e32 v42, vcc, v41, v42
	v_addc_co_u32_e32 v43, vcc, v44, v43, vcc
	v_mov_b32_e32 v44, v46
; %bb.62:
	s_or_b64 exec, exec, s[28:29]
	s_nop 0
	v_mov_b32_dpp v46, v44 row_shr:2 row_mask:0xf bank_mask:0xf
	v_mov_b32_dpp v41, v42 row_shr:2 row_mask:0xf bank_mask:0xf
	v_mov_b32_dpp v47, v43 row_shr:2 row_mask:0xf bank_mask:0xf
	v_cmp_lt_u32_e32 vcc, 1, v40
	s_and_saveexec_b64 s[28:29], vcc
; %bb.63:
	v_cmp_eq_u32_e32 vcc, 0, v44
	v_cndmask_b32_e32 v41, 0, v41, vcc
	v_add_u32_e32 v46, v46, v44
	v_cndmask_b32_e32 v44, 0, v47, vcc
	v_add_co_u32_e32 v42, vcc, v41, v42
	v_addc_co_u32_e32 v43, vcc, v44, v43, vcc
	v_mov_b32_e32 v44, v46
; %bb.64:
	s_or_b64 exec, exec, s[28:29]
	s_nop 0
	v_mov_b32_dpp v46, v44 row_shr:4 row_mask:0xf bank_mask:0xf
	v_mov_b32_dpp v41, v42 row_shr:4 row_mask:0xf bank_mask:0xf
	v_mov_b32_dpp v47, v43 row_shr:4 row_mask:0xf bank_mask:0xf
	v_cmp_lt_u32_e32 vcc, 3, v40
	;; [unrolled: 16-line block ×3, first 2 shown]
	s_and_saveexec_b64 s[28:29], vcc
; %bb.67:
	v_cmp_eq_u32_e32 vcc, 0, v44
	v_cndmask_b32_e32 v41, 0, v41, vcc
	v_add_u32_e32 v40, v46, v44
	v_cndmask_b32_e32 v44, 0, v47, vcc
	v_add_co_u32_e32 v42, vcc, v41, v42
	v_addc_co_u32_e32 v43, vcc, v44, v43, vcc
	v_mov_b32_e32 v44, v40
; %bb.68:
	s_or_b64 exec, exec, s[28:29]
	v_and_b32_e32 v47, 16, v45
	v_mov_b32_dpp v41, v44 row_bcast:15 row_mask:0xf bank_mask:0xf
	v_mov_b32_dpp v40, v42 row_bcast:15 row_mask:0xf bank_mask:0xf
	;; [unrolled: 1-line block ×3, first 2 shown]
	v_cmp_ne_u32_e32 vcc, 0, v47
	s_and_saveexec_b64 s[28:29], vcc
; %bb.69:
	v_cmp_eq_u32_e32 vcc, 0, v44
	v_cndmask_b32_e32 v40, 0, v40, vcc
	v_add_u32_e32 v41, v41, v44
	v_cndmask_b32_e32 v44, 0, v46, vcc
	v_add_co_u32_e32 v42, vcc, v40, v42
	v_addc_co_u32_e32 v43, vcc, v44, v43, vcc
	v_mov_b32_e32 v44, v41
; %bb.70:
	s_or_b64 exec, exec, s[28:29]
	s_nop 0
	v_mov_b32_dpp v41, v44 row_bcast:31 row_mask:0xf bank_mask:0xf
	v_mov_b32_dpp v40, v42 row_bcast:31 row_mask:0xf bank_mask:0xf
	;; [unrolled: 1-line block ×3, first 2 shown]
	v_cmp_lt_u32_e32 vcc, 31, v45
	s_and_saveexec_b64 s[28:29], vcc
; %bb.71:
	v_cmp_eq_u32_e32 vcc, 0, v44
	v_cndmask_b32_e32 v40, 0, v40, vcc
	v_add_u32_e32 v41, v41, v44
	v_cndmask_b32_e32 v44, 0, v46, vcc
	v_add_co_u32_e32 v42, vcc, v40, v42
	v_addc_co_u32_e32 v43, vcc, v44, v43, vcc
	v_mov_b32_e32 v44, v41
; %bb.72:
	s_or_b64 exec, exec, s[28:29]
	v_lshrrev_b32_e32 v40, 6, v0
	v_or_b32_e32 v41, 63, v0
	v_cmp_eq_u32_e32 vcc, v41, v0
	v_lshlrev_b32_e32 v46, 4, v40
	s_and_saveexec_b64 s[28:29], vcc
	s_cbranch_execz .LBB2082_74
; %bb.73:
	ds_write_b32 v46, v44 offset:1056
	ds_write_b64 v46, v[42:43] offset:1064
.LBB2082_74:
	s_or_b64 exec, exec, s[28:29]
	v_cmp_gt_u32_e32 vcc, 4, v0
	s_waitcnt lgkmcnt(0)
	s_barrier
	s_and_saveexec_b64 s[28:29], vcc
	s_cbranch_execz .LBB2082_80
; %bb.75:
	v_lshlrev_b32_e32 v47, 4, v0
	ds_read_b32 v48, v47 offset:1056
	ds_read_b64 v[40:41], v47 offset:1064
	v_and_b32_e32 v49, 3, v45
	v_cmp_ne_u32_e32 vcc, 0, v49
	s_waitcnt lgkmcnt(1)
	v_mov_b32_dpp v51, v48 row_shr:1 row_mask:0xf bank_mask:0xf
	s_waitcnt lgkmcnt(0)
	v_mov_b32_dpp v50, v40 row_shr:1 row_mask:0xf bank_mask:0xf
	v_mov_b32_dpp v52, v41 row_shr:1 row_mask:0xf bank_mask:0xf
	s_and_saveexec_b64 s[34:35], vcc
; %bb.76:
	v_cmp_eq_u32_e32 vcc, 0, v48
	v_cndmask_b32_e32 v50, 0, v50, vcc
	v_add_u32_e32 v51, v51, v48
	v_cndmask_b32_e32 v48, 0, v52, vcc
	v_add_co_u32_e32 v40, vcc, v50, v40
	v_addc_co_u32_e32 v41, vcc, v48, v41, vcc
	v_mov_b32_e32 v48, v51
; %bb.77:
	s_or_b64 exec, exec, s[34:35]
	s_nop 0
	v_mov_b32_dpp v51, v48 row_shr:2 row_mask:0xf bank_mask:0xf
	v_mov_b32_dpp v50, v40 row_shr:2 row_mask:0xf bank_mask:0xf
	;; [unrolled: 1-line block ×3, first 2 shown]
	v_cmp_lt_u32_e32 vcc, 1, v49
	s_and_saveexec_b64 s[34:35], vcc
; %bb.78:
	v_cmp_eq_u32_e32 vcc, 0, v48
	v_cndmask_b32_e32 v50, 0, v50, vcc
	v_add_u32_e32 v49, v51, v48
	v_cndmask_b32_e32 v48, 0, v52, vcc
	v_add_co_u32_e32 v40, vcc, v50, v40
	v_addc_co_u32_e32 v41, vcc, v48, v41, vcc
	v_mov_b32_e32 v48, v49
; %bb.79:
	s_or_b64 exec, exec, s[34:35]
	ds_write_b32 v47, v48 offset:1056
	ds_write_b64 v47, v[40:41] offset:1064
.LBB2082_80:
	s_or_b64 exec, exec, s[28:29]
	v_cmp_gt_u32_e32 vcc, 64, v0
	v_cmp_lt_u32_e64 s[28:29], 63, v0
	v_pk_mov_b32 v[40:41], 0, 0
	v_mov_b32_e32 v52, 0
	s_waitcnt lgkmcnt(0)
	s_barrier
	s_and_saveexec_b64 s[34:35], s[28:29]
	s_cbranch_execz .LBB2082_82
; %bb.81:
	ds_read_b32 v52, v46 offset:1040
	ds_read_b64 v[40:41], v46 offset:1048
	v_cmp_eq_u32_e64 s[28:29], 0, v44
	s_waitcnt lgkmcnt(1)
	v_add_u32_e32 v46, v52, v44
	s_waitcnt lgkmcnt(0)
	v_cndmask_b32_e64 v47, 0, v40, s[28:29]
	v_cndmask_b32_e64 v44, 0, v41, s[28:29]
	v_add_co_u32_e64 v42, s[28:29], v47, v42
	v_addc_co_u32_e64 v43, s[28:29], v44, v43, s[28:29]
	v_mov_b32_e32 v44, v46
.LBB2082_82:
	s_or_b64 exec, exec, s[34:35]
	v_add_u32_e32 v46, -1, v45
	v_and_b32_e32 v47, 64, v45
	v_cmp_lt_i32_e64 s[28:29], v46, v47
	v_cndmask_b32_e64 v46, v46, v45, s[28:29]
	v_lshlrev_b32_e32 v46, 2, v46
	ds_bpermute_b32 v53, v46, v44
	ds_bpermute_b32 v54, v46, v42
	;; [unrolled: 1-line block ×3, first 2 shown]
	v_cmp_eq_u32_e64 s[28:29], 0, v45
	s_and_saveexec_b64 s[34:35], vcc
	s_cbranch_execz .LBB2082_125
; %bb.83:
	v_mov_b32_e32 v47, 0
	ds_read_b32 v56, v47 offset:1104
	ds_read_b64 v[42:43], v47 offset:1112
	s_and_saveexec_b64 s[36:37], s[28:29]
	s_cbranch_execz .LBB2082_85
; %bb.84:
	s_add_i32 s38, s64, 64
	s_mov_b32 s39, 0
	s_lshl_b64 s[46:47], s[38:39], 4
	s_add_u32 s46, s40, s46
	s_addc_u32 s47, s41, s47
	v_mov_b32_e32 v44, s38
	v_mov_b32_e32 v46, 1
	s_waitcnt lgkmcnt(1)
	global_store_dword v47, v56, s[46:47]
	s_waitcnt lgkmcnt(0)
	global_store_dwordx2 v47, v[42:43], s[46:47] offset:8
	s_waitcnt vmcnt(0)
	buffer_wbinvl1_vol
	global_store_byte v44, v46, s[44:45]
.LBB2082_85:
	s_or_b64 exec, exec, s[36:37]
	v_xad_u32 v44, v45, -1, s64
	v_add_u32_e32 v46, 64, v44
	global_load_ubyte v57, v46, s[44:45] glc
	s_waitcnt vmcnt(0)
	v_cmp_eq_u16_e32 vcc, 0, v57
	s_and_saveexec_b64 s[36:37], vcc
	s_cbranch_execz .LBB2082_89
; %bb.86:
	v_mov_b32_e32 v49, s45
	v_add_co_u32_e32 v48, vcc, s44, v46
	v_addc_co_u32_e32 v49, vcc, 0, v49, vcc
	s_mov_b64 s[38:39], 0
.LBB2082_87:                            ; =>This Inner Loop Header: Depth=1
	global_load_ubyte v57, v[48:49], off glc
	s_waitcnt vmcnt(0)
	v_cmp_ne_u16_e32 vcc, 0, v57
	s_or_b64 s[38:39], vcc, s[38:39]
	s_andn2_b64 exec, exec, s[38:39]
	s_cbranch_execnz .LBB2082_87
; %bb.88:
	s_or_b64 exec, exec, s[38:39]
.LBB2082_89:
	s_or_b64 exec, exec, s[36:37]
	v_mov_b32_e32 v48, s43
	v_mov_b32_e32 v49, s41
	v_cmp_eq_u16_e32 vcc, 1, v57
	v_cndmask_b32_e32 v48, v48, v49, vcc
	v_mov_b32_e32 v49, s42
	v_mov_b32_e32 v50, s40
	v_cndmask_b32_e32 v49, v49, v50, vcc
	v_lshlrev_b64 v[46:47], 4, v[46:47]
	v_add_co_u32_e32 v46, vcc, v49, v46
	v_addc_co_u32_e32 v47, vcc, v48, v47, vcc
	s_waitcnt lgkmcnt(0)
	buffer_wbinvl1_vol
	global_load_dword v72, v[46:47], off
	global_load_dwordx2 v[50:51], v[46:47], off offset:8
	v_cmp_eq_u16_e32 vcc, 2, v57
	v_lshlrev_b64 v[46:47], v45, -1
	v_and_b32_e32 v58, 63, v45
	v_and_b32_e32 v48, vcc_hi, v47
	v_and_b32_e32 v62, vcc_lo, v46
	v_cmp_ne_u32_e32 vcc, 63, v58
	v_addc_co_u32_e32 v49, vcc, 0, v45, vcc
	v_lshlrev_b32_e32 v59, 2, v49
	v_or_b32_e32 v48, 0x80000000, v48
	v_ffbl_b32_e32 v48, v48
	v_add_u32_e32 v48, 32, v48
	v_ffbl_b32_e32 v62, v62
	v_min_u32_e32 v48, v62, v48
	v_cmp_lt_u32_e32 vcc, v58, v48
	s_waitcnt vmcnt(1)
	ds_bpermute_b32 v60, v59, v72
	s_waitcnt vmcnt(0)
	ds_bpermute_b32 v49, v59, v50
	ds_bpermute_b32 v61, v59, v51
	s_and_saveexec_b64 s[36:37], vcc
	s_cbranch_execz .LBB2082_91
; %bb.90:
	v_cmp_eq_u32_e32 vcc, 0, v72
	s_waitcnt lgkmcnt(1)
	v_cndmask_b32_e32 v49, 0, v49, vcc
	v_add_u32_e32 v60, v60, v72
	s_waitcnt lgkmcnt(0)
	v_cndmask_b32_e32 v61, 0, v61, vcc
	v_add_co_u32_e32 v50, vcc, v49, v50
	v_addc_co_u32_e32 v51, vcc, v61, v51, vcc
	v_mov_b32_e32 v72, v60
.LBB2082_91:
	s_or_b64 exec, exec, s[36:37]
	v_cmp_gt_u32_e32 vcc, 62, v58
	s_waitcnt lgkmcnt(1)
	v_cndmask_b32_e64 v49, 0, 1, vcc
	v_lshlrev_b32_e32 v49, 1, v49
	v_add_lshl_u32 v60, v49, v45, 2
	ds_bpermute_b32 v62, v60, v72
	ds_bpermute_b32 v49, v60, v50
	ds_bpermute_b32 v63, v60, v51
	s_waitcnt lgkmcnt(3)
	v_add_u32_e32 v61, 2, v58
	v_cmp_le_u32_e32 vcc, v61, v48
	s_and_saveexec_b64 s[36:37], vcc
	s_cbranch_execz .LBB2082_93
; %bb.92:
	v_cmp_eq_u32_e32 vcc, 0, v72
	s_waitcnt lgkmcnt(1)
	v_cndmask_b32_e32 v49, 0, v49, vcc
	v_add_u32_e32 v62, v62, v72
	s_waitcnt lgkmcnt(0)
	v_cndmask_b32_e32 v63, 0, v63, vcc
	v_add_co_u32_e32 v50, vcc, v49, v50
	v_addc_co_u32_e32 v51, vcc, v63, v51, vcc
	v_mov_b32_e32 v72, v62
.LBB2082_93:
	s_or_b64 exec, exec, s[36:37]
	v_cmp_gt_u32_e32 vcc, 60, v58
	s_waitcnt lgkmcnt(1)
	v_cndmask_b32_e64 v49, 0, 1, vcc
	v_lshlrev_b32_e32 v49, 2, v49
	v_add_lshl_u32 v62, v49, v45, 2
	ds_bpermute_b32 v64, v62, v72
	ds_bpermute_b32 v49, v62, v50
	ds_bpermute_b32 v65, v62, v51
	s_waitcnt lgkmcnt(3)
	v_add_u32_e32 v63, 4, v58
	v_cmp_le_u32_e32 vcc, v63, v48
	;; [unrolled: 25-line block ×4, first 2 shown]
	s_and_saveexec_b64 s[36:37], vcc
	s_cbranch_execz .LBB2082_99
; %bb.98:
	v_cmp_eq_u32_e32 vcc, 0, v72
	s_waitcnt lgkmcnt(1)
	v_cndmask_b32_e32 v49, 0, v49, vcc
	v_add_u32_e32 v68, v68, v72
	s_waitcnt lgkmcnt(0)
	v_cndmask_b32_e32 v69, 0, v69, vcc
	v_add_co_u32_e32 v50, vcc, v49, v50
	v_addc_co_u32_e32 v51, vcc, v69, v51, vcc
	v_mov_b32_e32 v72, v68
.LBB2082_99:
	s_or_b64 exec, exec, s[36:37]
	v_cmp_gt_u32_e32 vcc, 32, v58
	s_waitcnt lgkmcnt(1)
	v_cndmask_b32_e64 v49, 0, 1, vcc
	v_lshlrev_b32_e32 v49, 5, v49
	v_add_lshl_u32 v68, v49, v45, 2
	ds_bpermute_b32 v49, v68, v72
	ds_bpermute_b32 v45, v68, v50
	s_waitcnt lgkmcnt(2)
	ds_bpermute_b32 v69, v68, v51
	v_add_u32_e32 v70, 32, v58
	v_cmp_le_u32_e32 vcc, v70, v48
	s_and_saveexec_b64 s[36:37], vcc
	s_cbranch_execz .LBB2082_101
; %bb.100:
	v_cmp_eq_u32_e32 vcc, 0, v72
	s_waitcnt lgkmcnt(1)
	v_cndmask_b32_e32 v45, 0, v45, vcc
	v_add_u32_e32 v48, v49, v72
	s_waitcnt lgkmcnt(0)
	v_cndmask_b32_e32 v49, 0, v69, vcc
	v_add_co_u32_e32 v50, vcc, v45, v50
	v_addc_co_u32_e32 v51, vcc, v49, v51, vcc
	v_mov_b32_e32 v72, v48
.LBB2082_101:
	s_or_b64 exec, exec, s[36:37]
	s_waitcnt lgkmcnt(1)
	v_mov_b32_e32 v45, 0
	v_mov_b32_e32 v71, 2
	s_branch .LBB2082_103
.LBB2082_102:                           ;   in Loop: Header=BB2082_103 Depth=1
	s_or_b64 exec, exec, s[36:37]
	v_cmp_eq_u32_e32 vcc, 0, v69
	v_cndmask_b32_e32 v50, 0, v50, vcc
	v_cndmask_b32_e32 v51, 0, v51, vcc
	v_add_co_u32_e32 v50, vcc, v50, v48
	v_subrev_u32_e32 v44, 64, v44
	v_add_u32_e32 v72, v73, v69
	v_addc_co_u32_e32 v51, vcc, v51, v49, vcc
.LBB2082_103:                           ; =>This Loop Header: Depth=1
                                        ;     Child Loop BB2082_106 Depth 2
	v_cmp_ne_u16_sdwa s[36:37], v57, v71 src0_sel:BYTE_0 src1_sel:DWORD
	v_pk_mov_b32 v[48:49], v[50:51], v[50:51] op_sel:[0,1]
	v_cndmask_b32_e64 v50, 0, 1, s[36:37]
	;;#ASMSTART
	;;#ASMEND
	v_cmp_ne_u32_e32 vcc, 0, v50
	s_cmp_lg_u64 vcc, exec
	s_waitcnt lgkmcnt(0)
	v_mov_b32_e32 v69, v72
	s_cbranch_scc1 .LBB2082_120
; %bb.104:                              ;   in Loop: Header=BB2082_103 Depth=1
	global_load_ubyte v57, v44, s[44:45] glc
	s_waitcnt vmcnt(0)
	v_cmp_eq_u16_e32 vcc, 0, v57
	s_and_saveexec_b64 s[36:37], vcc
	s_cbranch_execz .LBB2082_108
; %bb.105:                              ;   in Loop: Header=BB2082_103 Depth=1
	v_mov_b32_e32 v51, s45
	v_add_co_u32_e32 v50, vcc, s44, v44
	v_addc_co_u32_e32 v51, vcc, 0, v51, vcc
	s_mov_b64 s[38:39], 0
.LBB2082_106:                           ;   Parent Loop BB2082_103 Depth=1
                                        ; =>  This Inner Loop Header: Depth=2
	global_load_ubyte v57, v[50:51], off glc
	s_waitcnt vmcnt(0)
	v_cmp_ne_u16_e32 vcc, 0, v57
	s_or_b64 s[38:39], vcc, s[38:39]
	s_andn2_b64 exec, exec, s[38:39]
	s_cbranch_execnz .LBB2082_106
; %bb.107:                              ;   in Loop: Header=BB2082_103 Depth=1
	s_or_b64 exec, exec, s[38:39]
.LBB2082_108:                           ;   in Loop: Header=BB2082_103 Depth=1
	s_or_b64 exec, exec, s[36:37]
	v_mov_b32_e32 v50, s43
	v_mov_b32_e32 v51, s41
	v_cmp_eq_u16_e32 vcc, 1, v57
	v_cndmask_b32_e32 v72, v50, v51, vcc
	v_mov_b32_e32 v50, s42
	v_mov_b32_e32 v51, s40
	v_cndmask_b32_e32 v73, v50, v51, vcc
	v_lshlrev_b64 v[50:51], 4, v[44:45]
	v_add_co_u32_e32 v50, vcc, v73, v50
	v_addc_co_u32_e32 v51, vcc, v72, v51, vcc
	buffer_wbinvl1_vol
	global_load_dword v73, v[50:51], off
	s_nop 0
	global_load_dwordx2 v[50:51], v[50:51], off offset:8
	v_cmp_eq_u16_e32 vcc, 2, v57
	v_and_b32_e32 v72, vcc_hi, v47
	v_or_b32_e32 v72, 0x80000000, v72
	v_and_b32_e32 v95, vcc_lo, v46
	v_ffbl_b32_e32 v72, v72
	v_add_u32_e32 v72, 32, v72
	v_ffbl_b32_e32 v95, v95
	v_min_u32_e32 v72, v95, v72
	v_cmp_lt_u32_e32 vcc, v58, v72
	s_waitcnt vmcnt(1)
	ds_bpermute_b32 v77, v59, v73
	s_waitcnt vmcnt(0)
	ds_bpermute_b32 v76, v59, v50
	ds_bpermute_b32 v92, v59, v51
	s_and_saveexec_b64 s[36:37], vcc
	s_cbranch_execz .LBB2082_110
; %bb.109:                              ;   in Loop: Header=BB2082_103 Depth=1
	v_cmp_eq_u32_e32 vcc, 0, v73
	s_waitcnt lgkmcnt(1)
	v_cndmask_b32_e32 v76, 0, v76, vcc
	v_add_u32_e32 v77, v77, v73
	s_waitcnt lgkmcnt(0)
	v_cndmask_b32_e32 v73, 0, v92, vcc
	v_add_co_u32_e32 v50, vcc, v76, v50
	v_addc_co_u32_e32 v51, vcc, v73, v51, vcc
	v_mov_b32_e32 v73, v77
.LBB2082_110:                           ;   in Loop: Header=BB2082_103 Depth=1
	s_or_b64 exec, exec, s[36:37]
	s_waitcnt lgkmcnt(2)
	ds_bpermute_b32 v77, v60, v73
	s_waitcnt lgkmcnt(2)
	ds_bpermute_b32 v76, v60, v50
	s_waitcnt lgkmcnt(2)
	ds_bpermute_b32 v92, v60, v51
	v_cmp_le_u32_e32 vcc, v61, v72
	s_and_saveexec_b64 s[36:37], vcc
	s_cbranch_execz .LBB2082_112
; %bb.111:                              ;   in Loop: Header=BB2082_103 Depth=1
	v_cmp_eq_u32_e32 vcc, 0, v73
	s_waitcnt lgkmcnt(1)
	v_cndmask_b32_e32 v76, 0, v76, vcc
	v_add_u32_e32 v77, v77, v73
	s_waitcnt lgkmcnt(0)
	v_cndmask_b32_e32 v73, 0, v92, vcc
	v_add_co_u32_e32 v50, vcc, v76, v50
	v_addc_co_u32_e32 v51, vcc, v73, v51, vcc
	v_mov_b32_e32 v73, v77
.LBB2082_112:                           ;   in Loop: Header=BB2082_103 Depth=1
	s_or_b64 exec, exec, s[36:37]
	s_waitcnt lgkmcnt(2)
	ds_bpermute_b32 v77, v62, v73
	s_waitcnt lgkmcnt(2)
	ds_bpermute_b32 v76, v62, v50
	s_waitcnt lgkmcnt(2)
	ds_bpermute_b32 v92, v62, v51
	v_cmp_le_u32_e32 vcc, v63, v72
	;; [unrolled: 21-line block ×5, first 2 shown]
	s_and_saveexec_b64 s[36:37], vcc
	s_cbranch_execz .LBB2082_102
; %bb.119:                              ;   in Loop: Header=BB2082_103 Depth=1
	v_cmp_eq_u32_e32 vcc, 0, v73
	s_waitcnt lgkmcnt(1)
	v_cndmask_b32_e32 v76, 0, v76, vcc
	v_add_u32_e32 v72, v77, v73
	s_waitcnt lgkmcnt(0)
	v_cndmask_b32_e32 v73, 0, v92, vcc
	v_add_co_u32_e32 v50, vcc, v76, v50
	v_addc_co_u32_e32 v51, vcc, v73, v51, vcc
	v_mov_b32_e32 v73, v72
	s_branch .LBB2082_102
.LBB2082_120:                           ;   in Loop: Header=BB2082_103 Depth=1
                                        ; implicit-def: $vgpr50_vgpr51
                                        ; implicit-def: $vgpr72
                                        ; implicit-def: $vgpr57
	s_cbranch_execz .LBB2082_103
; %bb.121:
	s_and_saveexec_b64 s[36:37], s[28:29]
	s_cbranch_execz .LBB2082_123
; %bb.122:
	s_mov_b32 s39, 0
	v_cmp_eq_u32_e32 vcc, 0, v56
	s_add_i32 s38, s64, 64
	v_cndmask_b32_e32 v44, 0, v48, vcc
	s_lshl_b64 s[40:41], s[38:39], 4
	v_cndmask_b32_e32 v45, 0, v49, vcc
	v_add_co_u32_e32 v44, vcc, v44, v42
	s_add_u32 s40, s42, s40
	v_add_u32_e32 v46, v69, v56
	v_addc_co_u32_e32 v45, vcc, v45, v43, vcc
	s_addc_u32 s41, s43, s41
	v_mov_b32_e32 v47, 0
	global_store_dword v47, v46, s[40:41]
	global_store_dwordx2 v47, v[44:45], s[40:41] offset:8
	v_mov_b32_e32 v44, s38
	v_mov_b32_e32 v45, 2
	s_waitcnt vmcnt(0) lgkmcnt(0)
	buffer_wbinvl1_vol
	global_store_byte v44, v45, s[44:45]
	ds_write_b32 v47, v56 offset:1024
	ds_write_b64 v47, v[42:43] offset:1032
	ds_write_b32 v47, v69 offset:1040
	ds_write_b64 v47, v[48:49] offset:1048
.LBB2082_123:
	s_or_b64 exec, exec, s[36:37]
	s_and_b64 exec, exec, s[0:1]
	s_cbranch_execz .LBB2082_125
; %bb.124:
	v_mov_b32_e32 v42, 0
	ds_write_b32 v42, v69 offset:1104
	ds_write_b64 v42, v[48:49] offset:1112
.LBB2082_125:
	s_or_b64 exec, exec, s[34:35]
	v_mov_b32_e32 v45, 0
	s_waitcnt lgkmcnt(0)
	s_barrier
	ds_read_b32 v44, v45 offset:1104
	ds_read_b64 v[42:43], v45 offset:1112
	v_cndmask_b32_e64 v46, v53, v52, s[28:29]
	v_cmp_eq_u32_e32 vcc, 0, v46
	v_cndmask_b32_e64 v40, v54, v40, s[28:29]
	v_cndmask_b32_e64 v41, v55, v41, s[28:29]
	s_waitcnt lgkmcnt(0)
	v_cndmask_b32_e32 v48, 0, v42, vcc
	v_cndmask_b32_e32 v47, 0, v43, vcc
	v_add_co_u32_e32 v40, vcc, v48, v40
	v_addc_co_u32_e32 v41, vcc, v47, v41, vcc
	v_cndmask_b32_e64 v70, v40, v42, s[0:1]
	v_cmp_eq_u32_e32 vcc, 0, v91
	v_cndmask_b32_e64 v46, v46, 0, s[0:1]
	v_cndmask_b32_e64 v71, v41, v43, s[0:1]
	v_cndmask_b32_e32 v41, 0, v70, vcc
	v_add_u32_e32 v92, v44, v46
	v_cndmask_b32_e32 v40, 0, v71, vcc
	v_add_co_u32_e32 v46, vcc, v41, v18
	v_addc_co_u32_e32 v47, vcc, v40, v19, vcc
	v_cndmask_b32_e64 v41, 0, v46, s[26:27]
	v_cndmask_b32_e64 v40, 0, v47, s[26:27]
	v_add_co_u32_e32 v48, vcc, v41, v20
	v_addc_co_u32_e32 v49, vcc, v40, v21, vcc
	v_cndmask_b32_e64 v41, 0, v48, s[24:25]
	v_cndmask_b32_e64 v40, 0, v49, s[24:25]
	;; [unrolled: 4-line block ×11, first 2 shown]
	v_add_co_u32_e32 v68, vcc, v41, v2
	v_addc_co_u32_e32 v69, vcc, v40, v3, vcc
	s_barrier
	ds_read_b32 v40, v45 offset:1024
	ds_read_b64 v[42:43], v45 offset:1032
	ds_read_b32 v44, v45 offset:1040
	ds_read_b64 v[96:97], v45 offset:1048
	v_cndmask_b32_e64 v72, 0, v68, s[4:5]
	v_cndmask_b32_e64 v41, 0, v69, s[4:5]
	v_add_co_u32_e32 v72, vcc, v72, v26
	v_addc_co_u32_e32 v73, vcc, v41, v27, vcc
	s_waitcnt lgkmcnt(3)
	v_cmp_eq_u32_e32 vcc, 0, v40
	s_waitcnt lgkmcnt(0)
	v_cndmask_b32_e32 v45, 0, v96, vcc
	v_cndmask_b32_e32 v41, 0, v97, vcc
	v_add_co_u32_e32 v42, vcc, v45, v42
	v_cndmask_b32_e64 v77, 0, v73, s[2:3]
	v_cndmask_b32_e64 v76, 0, v72, s[2:3]
	v_addc_co_u32_e32 v43, vcc, v41, v43, vcc
	s_branch .LBB2082_154
.LBB2082_126:
                                        ; implicit-def: $vgpr40
                                        ; implicit-def: $vgpr42_vgpr43
                                        ; implicit-def: $vgpr44
                                        ; implicit-def: $vgpr70_vgpr71
                                        ; implicit-def: $vgpr46_vgpr47
                                        ; implicit-def: $vgpr48_vgpr49
                                        ; implicit-def: $vgpr50_vgpr51
                                        ; implicit-def: $vgpr52_vgpr53
                                        ; implicit-def: $vgpr54_vgpr55
                                        ; implicit-def: $vgpr56_vgpr57
                                        ; implicit-def: $vgpr58_vgpr59
                                        ; implicit-def: $vgpr60_vgpr61
                                        ; implicit-def: $vgpr62_vgpr63
                                        ; implicit-def: $vgpr64_vgpr65
                                        ; implicit-def: $vgpr66_vgpr67
                                        ; implicit-def: $vgpr68_vgpr69
                                        ; implicit-def: $vgpr72_vgpr73
                                        ; implicit-def: $vgpr76_vgpr77
                                        ; implicit-def: $vgpr92
	s_cbranch_execz .LBB2082_154
; %bb.127:
	s_and_b64 s[2:3], s[30:31], exec
	s_cselect_b32 s3, 0, s63
	s_cselect_b32 s2, 0, s62
	s_cmp_eq_u64 s[2:3], 0
	s_cbranch_scc1 .LBB2082_129
; %bb.128:
	v_mov_b32_e32 v40, 0
	global_load_dwordx2 v[74:75], v40, s[2:3]
.LBB2082_129:
	v_cmp_eq_u32_e64 s[24:25], 0, v89
	v_cndmask_b32_e64 v41, 0, v18, s[24:25]
	v_cndmask_b32_e64 v40, 0, v19, s[24:25]
	v_add_co_u32_e32 v41, vcc, v41, v20
	v_cmp_eq_u32_e64 s[22:23], 0, v90
	v_addc_co_u32_e32 v40, vcc, v40, v21, vcc
	v_cndmask_b32_e64 v41, 0, v41, s[22:23]
	v_cndmask_b32_e64 v40, 0, v40, s[22:23]
	v_add_co_u32_e32 v41, vcc, v41, v34
	v_cmp_eq_u32_e64 s[20:21], 0, v88
	v_addc_co_u32_e32 v40, vcc, v40, v35, vcc
	;; [unrolled: 5-line block ×11, first 2 shown]
	v_cndmask_b32_e64 v41, 0, v41, s[4:5]
	v_cndmask_b32_e64 v40, 0, v40, s[4:5]
	v_add_co_u32_e32 v41, vcc, v41, v26
	v_addc_co_u32_e32 v40, vcc, v40, v27, vcc
	v_cmp_eq_u32_e32 vcc, 0, v80
	v_cndmask_b32_e32 v41, 0, v41, vcc
	v_add3_u32 v42, v94, v82, v87
	v_cndmask_b32_e32 v40, 0, v40, vcc
	v_add_co_u32_e64 v41, s[26:27], v41, v4
	v_add3_u32 v42, v42, v86, v79
	v_addc_co_u32_e64 v40, s[26:27], v40, v5, s[26:27]
	v_add3_u32 v42, v42, v78, v84
	v_cmp_eq_u32_e64 s[26:27], 0, v81
	v_add3_u32 v42, v42, v83, v25
	v_cndmask_b32_e64 v41, 0, v41, s[26:27]
	v_add3_u32 v43, v42, v80, v81
	v_cndmask_b32_e64 v40, 0, v40, s[26:27]
	v_add_co_u32_e64 v38, s[26:27], v41, v38
	v_mbcnt_hi_u32_b32 v42, -1, v93
	v_addc_co_u32_e64 v39, s[26:27], v40, v39, s[26:27]
	v_and_b32_e32 v40, 15, v42
	v_mov_b32_dpp v44, v43 row_shr:1 row_mask:0xf bank_mask:0xf
	v_mov_b32_dpp v41, v38 row_shr:1 row_mask:0xf bank_mask:0xf
	;; [unrolled: 1-line block ×3, first 2 shown]
	v_cmp_ne_u32_e64 s[26:27], 0, v40
	s_and_saveexec_b64 s[28:29], s[26:27]
; %bb.130:
	v_cmp_eq_u32_e64 s[26:27], 0, v43
	v_cndmask_b32_e64 v41, 0, v41, s[26:27]
	v_add_u32_e32 v44, v44, v43
	v_cndmask_b32_e64 v43, 0, v45, s[26:27]
	v_add_co_u32_e64 v38, s[26:27], v41, v38
	v_addc_co_u32_e64 v39, s[26:27], v43, v39, s[26:27]
	v_mov_b32_e32 v43, v44
; %bb.131:
	s_or_b64 exec, exec, s[28:29]
	s_nop 0
	v_mov_b32_dpp v44, v43 row_shr:2 row_mask:0xf bank_mask:0xf
	v_mov_b32_dpp v41, v38 row_shr:2 row_mask:0xf bank_mask:0xf
	v_mov_b32_dpp v45, v39 row_shr:2 row_mask:0xf bank_mask:0xf
	v_cmp_lt_u32_e64 s[26:27], 1, v40
	s_and_saveexec_b64 s[28:29], s[26:27]
; %bb.132:
	v_cmp_eq_u32_e64 s[26:27], 0, v43
	v_cndmask_b32_e64 v41, 0, v41, s[26:27]
	v_add_u32_e32 v44, v44, v43
	v_cndmask_b32_e64 v43, 0, v45, s[26:27]
	v_add_co_u32_e64 v38, s[26:27], v41, v38
	v_addc_co_u32_e64 v39, s[26:27], v43, v39, s[26:27]
	v_mov_b32_e32 v43, v44
; %bb.133:
	s_or_b64 exec, exec, s[28:29]
	s_nop 0
	v_mov_b32_dpp v44, v43 row_shr:4 row_mask:0xf bank_mask:0xf
	v_mov_b32_dpp v41, v38 row_shr:4 row_mask:0xf bank_mask:0xf
	v_mov_b32_dpp v45, v39 row_shr:4 row_mask:0xf bank_mask:0xf
	v_cmp_lt_u32_e64 s[26:27], 3, v40
	;; [unrolled: 16-line block ×3, first 2 shown]
	s_and_saveexec_b64 s[28:29], s[26:27]
; %bb.136:
	v_cmp_eq_u32_e64 s[26:27], 0, v43
	v_cndmask_b32_e64 v41, 0, v41, s[26:27]
	v_add_u32_e32 v40, v44, v43
	v_cndmask_b32_e64 v43, 0, v45, s[26:27]
	v_add_co_u32_e64 v38, s[26:27], v41, v38
	v_addc_co_u32_e64 v39, s[26:27], v43, v39, s[26:27]
	v_mov_b32_e32 v43, v40
; %bb.137:
	s_or_b64 exec, exec, s[28:29]
	v_and_b32_e32 v45, 16, v42
	v_mov_b32_dpp v41, v43 row_bcast:15 row_mask:0xf bank_mask:0xf
	v_mov_b32_dpp v40, v38 row_bcast:15 row_mask:0xf bank_mask:0xf
	;; [unrolled: 1-line block ×3, first 2 shown]
	v_cmp_ne_u32_e64 s[26:27], 0, v45
	s_and_saveexec_b64 s[28:29], s[26:27]
; %bb.138:
	v_cmp_eq_u32_e64 s[26:27], 0, v43
	v_cndmask_b32_e64 v40, 0, v40, s[26:27]
	v_add_u32_e32 v41, v41, v43
	v_cndmask_b32_e64 v43, 0, v44, s[26:27]
	v_add_co_u32_e64 v38, s[26:27], v40, v38
	v_addc_co_u32_e64 v39, s[26:27], v43, v39, s[26:27]
	v_mov_b32_e32 v43, v41
; %bb.139:
	s_or_b64 exec, exec, s[28:29]
	s_nop 0
	v_mov_b32_dpp v41, v43 row_bcast:31 row_mask:0xf bank_mask:0xf
	v_mov_b32_dpp v40, v38 row_bcast:31 row_mask:0xf bank_mask:0xf
	;; [unrolled: 1-line block ×3, first 2 shown]
	v_cmp_lt_u32_e64 s[26:27], 31, v42
	s_and_saveexec_b64 s[28:29], s[26:27]
; %bb.140:
	v_cmp_eq_u32_e64 s[26:27], 0, v43
	v_cndmask_b32_e64 v40, 0, v40, s[26:27]
	v_add_u32_e32 v41, v41, v43
	v_cndmask_b32_e64 v43, 0, v44, s[26:27]
	v_add_co_u32_e64 v38, s[26:27], v40, v38
	v_addc_co_u32_e64 v39, s[26:27], v43, v39, s[26:27]
	v_mov_b32_e32 v43, v41
; %bb.141:
	s_or_b64 exec, exec, s[28:29]
	v_lshrrev_b32_e32 v40, 6, v0
	v_or_b32_e32 v41, 63, v0
	v_cmp_eq_u32_e64 s[26:27], v41, v0
	v_lshlrev_b32_e32 v45, 4, v40
	s_and_saveexec_b64 s[28:29], s[26:27]
	s_cbranch_execz .LBB2082_143
; %bb.142:
	ds_write_b32 v45, v43 offset:1056
	ds_write_b64 v45, v[38:39] offset:1064
.LBB2082_143:
	s_or_b64 exec, exec, s[28:29]
	v_cmp_gt_u32_e64 s[26:27], 4, v0
	s_waitcnt lgkmcnt(0)
	s_barrier
	s_and_saveexec_b64 s[28:29], s[26:27]
	s_cbranch_execz .LBB2082_149
; %bb.144:
	v_lshlrev_b32_e32 v44, 4, v0
	ds_read_b32 v46, v44 offset:1056
	ds_read_b64 v[40:41], v44 offset:1064
	v_and_b32_e32 v47, 3, v42
	v_cmp_ne_u32_e64 s[26:27], 0, v47
	s_waitcnt lgkmcnt(1)
	v_mov_b32_dpp v49, v46 row_shr:1 row_mask:0xf bank_mask:0xf
	s_waitcnt lgkmcnt(0)
	v_mov_b32_dpp v48, v40 row_shr:1 row_mask:0xf bank_mask:0xf
	v_mov_b32_dpp v50, v41 row_shr:1 row_mask:0xf bank_mask:0xf
	s_and_saveexec_b64 s[34:35], s[26:27]
; %bb.145:
	v_cmp_eq_u32_e64 s[26:27], 0, v46
	v_cndmask_b32_e64 v48, 0, v48, s[26:27]
	v_add_u32_e32 v49, v49, v46
	v_cndmask_b32_e64 v46, 0, v50, s[26:27]
	v_add_co_u32_e64 v40, s[26:27], v48, v40
	v_addc_co_u32_e64 v41, s[26:27], v46, v41, s[26:27]
	v_mov_b32_e32 v46, v49
; %bb.146:
	s_or_b64 exec, exec, s[34:35]
	s_nop 0
	v_mov_b32_dpp v49, v46 row_shr:2 row_mask:0xf bank_mask:0xf
	v_mov_b32_dpp v48, v40 row_shr:2 row_mask:0xf bank_mask:0xf
	v_mov_b32_dpp v50, v41 row_shr:2 row_mask:0xf bank_mask:0xf
	v_cmp_lt_u32_e64 s[26:27], 1, v47
	s_and_saveexec_b64 s[34:35], s[26:27]
; %bb.147:
	v_cmp_eq_u32_e64 s[26:27], 0, v46
	v_cndmask_b32_e64 v48, 0, v48, s[26:27]
	v_add_u32_e32 v47, v49, v46
	v_cndmask_b32_e64 v46, 0, v50, s[26:27]
	v_add_co_u32_e64 v40, s[26:27], v48, v40
	v_addc_co_u32_e64 v41, s[26:27], v46, v41, s[26:27]
	v_mov_b32_e32 v46, v47
; %bb.148:
	s_or_b64 exec, exec, s[34:35]
	ds_write_b32 v44, v46 offset:1056
	ds_write_b64 v44, v[40:41] offset:1064
.LBB2082_149:
	s_or_b64 exec, exec, s[28:29]
	v_cmp_lt_u32_e64 s[26:27], 63, v0
	v_mov_b32_e32 v44, 0
	v_mov_b32_e32 v46, 0
	s_waitcnt vmcnt(0)
	v_pk_mov_b32 v[40:41], v[74:75], v[74:75] op_sel:[0,1]
	s_waitcnt lgkmcnt(0)
	s_barrier
	s_and_saveexec_b64 s[28:29], s[26:27]
	s_cbranch_execz .LBB2082_151
; %bb.150:
	ds_read_b32 v46, v45 offset:1040
	ds_read_b64 v[40:41], v45 offset:1048
	s_waitcnt lgkmcnt(1)
	v_cmp_eq_u32_e64 s[26:27], 0, v46
	v_cndmask_b32_e64 v47, 0, v74, s[26:27]
	v_cndmask_b32_e64 v45, 0, v75, s[26:27]
	s_waitcnt lgkmcnt(0)
	v_add_co_u32_e64 v40, s[26:27], v47, v40
	v_addc_co_u32_e64 v41, s[26:27], v45, v41, s[26:27]
.LBB2082_151:
	s_or_b64 exec, exec, s[28:29]
	v_cmp_eq_u32_e64 s[26:27], 0, v43
	v_cndmask_b32_e64 v47, 0, v40, s[26:27]
	v_add_u32_e32 v45, v46, v43
	v_cndmask_b32_e64 v43, 0, v41, s[26:27]
	v_add_co_u32_e64 v38, s[26:27], v47, v38
	v_addc_co_u32_e64 v39, s[26:27], v43, v39, s[26:27]
	v_add_u32_e32 v43, -1, v42
	v_and_b32_e32 v47, 64, v42
	v_cmp_lt_i32_e64 s[26:27], v43, v47
	v_cndmask_b32_e64 v43, v43, v42, s[26:27]
	v_lshlrev_b32_e32 v43, 2, v43
	ds_bpermute_b32 v38, v43, v38
	ds_bpermute_b32 v45, v43, v45
	;; [unrolled: 1-line block ×3, first 2 shown]
	v_cmp_eq_u32_e64 s[26:27], 0, v42
	s_waitcnt lgkmcnt(2)
	v_cndmask_b32_e64 v70, v38, v40, s[26:27]
	s_waitcnt lgkmcnt(1)
	v_cndmask_b32_e64 v92, v45, v46, s[26:27]
	;; [unrolled: 2-line block ×3, first 2 shown]
	v_cndmask_b32_e64 v38, v70, v74, s[0:1]
	v_cmp_eq_u32_e64 s[26:27], 0, v91
	v_cndmask_b32_e64 v39, v71, v75, s[0:1]
	v_cndmask_b32_e64 v38, 0, v38, s[26:27]
	;; [unrolled: 1-line block ×3, first 2 shown]
	v_add_co_u32_e64 v46, s[26:27], v38, v18
	v_addc_co_u32_e64 v47, s[26:27], v39, v19, s[26:27]
	v_cndmask_b32_e64 v19, 0, v46, s[24:25]
	v_cndmask_b32_e64 v18, 0, v47, s[24:25]
	v_add_co_u32_e64 v48, s[24:25], v19, v20
	v_addc_co_u32_e64 v49, s[24:25], v18, v21, s[24:25]
	v_cndmask_b32_e64 v19, 0, v48, s[22:23]
	v_cndmask_b32_e64 v18, 0, v49, s[22:23]
	v_add_co_u32_e64 v50, s[22:23], v19, v34
	v_addc_co_u32_e64 v51, s[22:23], v18, v35, s[22:23]
	v_cndmask_b32_e64 v19, 0, v50, s[20:21]
	v_cndmask_b32_e64 v18, 0, v51, s[20:21]
	v_add_co_u32_e64 v52, s[20:21], v19, v14
	v_addc_co_u32_e64 v53, s[20:21], v18, v15, s[20:21]
	v_cndmask_b32_e64 v15, 0, v52, s[18:19]
	v_cndmask_b32_e64 v14, 0, v53, s[18:19]
	v_add_co_u32_e64 v54, s[18:19], v15, v36
	v_addc_co_u32_e64 v55, s[18:19], v14, v37, s[18:19]
	v_cndmask_b32_e64 v15, 0, v54, s[14:15]
	v_cndmask_b32_e64 v14, 0, v55, s[14:15]
	v_add_co_u32_e64 v56, s[14:15], v15, v16
	v_addc_co_u32_e64 v57, s[14:15], v14, v17, s[14:15]
	v_cndmask_b32_e64 v15, 0, v56, s[16:17]
	v_cndmask_b32_e64 v14, 0, v57, s[16:17]
	v_add_co_u32_e64 v58, s[14:15], v15, v32
	v_addc_co_u32_e64 v59, s[14:15], v14, v33, s[14:15]
	v_cndmask_b32_e64 v15, 0, v58, s[10:11]
	v_cndmask_b32_e64 v14, 0, v59, s[10:11]
	v_add_co_u32_e64 v60, s[10:11], v15, v10
	v_addc_co_u32_e64 v61, s[10:11], v14, v11, s[10:11]
	v_cndmask_b32_e64 v11, 0, v60, s[12:13]
	v_cndmask_b32_e64 v10, 0, v61, s[12:13]
	v_add_co_u32_e64 v62, s[10:11], v11, v30
	v_addc_co_u32_e64 v63, s[10:11], v10, v31, s[10:11]
	v_cndmask_b32_e64 v11, 0, v62, s[6:7]
	v_cndmask_b32_e64 v10, 0, v63, s[6:7]
	v_add_co_u32_e64 v64, s[6:7], v11, v12
	v_addc_co_u32_e64 v65, s[6:7], v10, v13, s[6:7]
	v_cndmask_b32_e64 v11, 0, v64, s[8:9]
	v_cndmask_b32_e64 v10, 0, v65, s[8:9]
	v_add_co_u32_e64 v66, s[6:7], v11, v28
	v_addc_co_u32_e64 v67, s[6:7], v10, v29, s[6:7]
	v_cndmask_b32_e64 v11, 0, v66, s[2:3]
	v_cndmask_b32_e64 v10, 0, v67, s[2:3]
	v_add_co_u32_e64 v68, s[2:3], v11, v2
	v_addc_co_u32_e64 v69, s[2:3], v10, v3, s[2:3]
	v_cndmask_b32_e64 v3, 0, v68, s[4:5]
	ds_read_b32 v40, v44 offset:1104
	v_cndmask_b32_e64 v2, 0, v69, s[4:5]
	v_add_co_u32_e64 v72, s[2:3], v3, v26
	v_addc_co_u32_e64 v73, s[2:3], v2, v27, s[2:3]
	ds_read_b64 v[2:3], v44 offset:1112
	v_cndmask_b32_e32 v77, 0, v73, vcc
	v_cndmask_b32_e32 v76, 0, v72, vcc
	s_waitcnt lgkmcnt(1)
	v_cmp_eq_u32_e32 vcc, 0, v40
	v_cndmask_b32_e32 v11, 0, v74, vcc
	v_cndmask_b32_e32 v10, 0, v75, vcc
	s_waitcnt lgkmcnt(0)
	v_add_co_u32_e32 v42, vcc, v11, v2
	v_addc_co_u32_e32 v43, vcc, v10, v3, vcc
	s_and_saveexec_b64 s[2:3], s[0:1]
	s_cbranch_execz .LBB2082_153
; %bb.152:
	v_mov_b32_e32 v92, 0
	v_mov_b32_e32 v2, 2
	v_pk_mov_b32 v[70:71], v[74:75], v[74:75] op_sel:[0,1]
	global_store_dword v92, v40, s[42:43] offset:1024
	global_store_dwordx2 v92, v[42:43], s[42:43] offset:1032
	s_waitcnt vmcnt(0)
	buffer_wbinvl1_vol
	global_store_byte v92, v2, s[44:45] offset:64
.LBB2082_153:
	s_or_b64 exec, exec, s[2:3]
	v_mov_b32_e32 v44, 0
.LBB2082_154:
	s_and_b64 s[2:3], s[30:31], exec
	s_cselect_b32 s3, 0, s55
	s_cselect_b32 s2, 0, s54
	s_cmp_eq_u64 s[2:3], 0
	v_pk_mov_b32 v[10:11], 0, 0
	s_barrier
	s_cbranch_scc1 .LBB2082_156
; %bb.155:
	v_mov_b32_e32 v2, 0
	global_load_dwordx2 v[10:11], v2, s[2:3]
.LBB2082_156:
	s_waitcnt vmcnt(0)
	v_lshlrev_b64 v[2:3], 1, v[10:11]
	v_mov_b32_e32 v12, s57
	v_add_co_u32_e32 v13, vcc, s56, v2
	v_mov_b32_e32 v45, 0
	v_addc_co_u32_e32 v12, vcc, v12, v3, vcc
	v_lshlrev_b64 v[2:3], 1, v[44:45]
	v_add_co_u32_e32 v32, vcc, v13, v2
	v_addc_co_u32_e32 v33, vcc, v12, v3, vcc
	v_cmp_eq_u32_e32 vcc, 0, v91
	v_cndmask_b32_e64 v2, 1, 2, vcc
	v_cmp_eq_u32_e32 vcc, 0, v89
	v_cndmask_b32_e64 v3, 1, 2, vcc
	v_cmp_eq_u32_e32 vcc, 0, v90
	v_and_b32_e32 v2, v3, v2
	v_cndmask_b32_e64 v3, 1, 2, vcc
	v_cmp_eq_u32_e32 vcc, 0, v88
	v_add_u32_e32 v31, v92, v91
	v_and_b32_e32 v2, v2, v3
	v_cndmask_b32_e64 v3, 1, 2, vcc
	v_cmp_eq_u32_e32 vcc, 0, v85
	v_add_u32_e32 v30, v31, v89
	;; [unrolled: 4-line block ×12, first 2 shown]
	v_and_b32_e32 v2, v2, v3
	v_cndmask_b32_e64 v3, 1, 2, vcc
	s_movk_i32 s34, 0x100
	v_add_u32_e32 v15, v16, v25
	v_and_b32_e32 v2, v2, v3
	v_cmp_gt_u32_e32 vcc, s34, v40
	v_add_u32_e32 v14, v15, v80
	v_cmp_ne_u32_e64 s[30:31], 0, v91
	v_cmp_ne_u32_e64 s[28:29], 0, v89
	;; [unrolled: 1-line block ×15, first 2 shown]
	s_mov_b64 s[36:37], -1
	v_cmp_gt_i16_e64 s[34:35], 2, v2
	s_cbranch_vccz .LBB2082_163
; %bb.157:
	s_and_saveexec_b64 s[36:37], s[34:35]
	s_cbranch_execz .LBB2082_162
; %bb.158:
	v_cmp_ne_u16_e32 vcc, 1, v2
	s_mov_b64 s[38:39], 0
	s_and_saveexec_b64 s[34:35], vcc
	s_xor_b64 s[34:35], exec, s[34:35]
	s_cbranch_execnz .LBB2082_207
; %bb.159:
	s_andn2_saveexec_b64 s[34:35], s[34:35]
	s_cbranch_execnz .LBB2082_223
.LBB2082_160:
	s_or_b64 exec, exec, s[34:35]
	s_and_b64 exec, exec, s[38:39]
	s_cbranch_execz .LBB2082_162
.LBB2082_161:
	v_sub_u32_e32 v12, v14, v44
	v_mov_b32_e32 v13, 0
	v_lshlrev_b64 v[12:13], 1, v[12:13]
	v_add_co_u32_e32 v12, vcc, v32, v12
	v_addc_co_u32_e32 v13, vcc, v33, v13, vcc
	global_store_short v[12:13], v1, off
.LBB2082_162:
	s_or_b64 exec, exec, s[36:37]
	s_mov_b64 s[36:37], 0
.LBB2082_163:
	s_and_b64 vcc, exec, s[36:37]
	s_cbranch_vccz .LBB2082_185
; %bb.164:
	v_cmp_gt_i16_e32 vcc, 2, v2
	s_and_saveexec_b64 s[34:35], vcc
	s_cbranch_execz .LBB2082_169
; %bb.165:
	v_cmp_ne_u16_e32 vcc, 1, v2
	s_mov_b64 s[38:39], 0
	s_and_saveexec_b64 s[36:37], vcc
	s_xor_b64 s[36:37], exec, s[36:37]
	s_cbranch_execnz .LBB2082_224
; %bb.166:
	s_andn2_saveexec_b64 s[2:3], s[36:37]
	s_cbranch_execnz .LBB2082_240
.LBB2082_167:
	s_or_b64 exec, exec, s[2:3]
	s_and_b64 exec, exec, s[38:39]
	s_cbranch_execz .LBB2082_169
.LBB2082_168:
	v_sub_u32_e32 v2, v14, v44
	v_lshlrev_b32_e32 v2, 1, v2
	ds_write_b16 v2, v1
.LBB2082_169:
	s_or_b64 exec, exec, s[34:35]
	v_cmp_lt_u32_e32 vcc, v0, v40
	s_waitcnt lgkmcnt(0)
	s_barrier
	s_and_saveexec_b64 s[4:5], vcc
	s_cbranch_execz .LBB2082_184
; %bb.170:
	v_xad_u32 v1, v0, -1, v40
	s_movk_i32 s2, 0x1700
	v_cmp_gt_u32_e64 s[6:7], s2, v1
	s_movk_i32 s2, 0x16ff
	v_cmp_lt_u32_e32 vcc, s2, v1
	v_mov_b32_e32 v2, v0
	s_and_saveexec_b64 s[8:9], vcc
	s_cbranch_execz .LBB2082_181
; %bb.171:
	v_sub_u32_e32 v2, v0, v40
	v_or_b32_e32 v2, 0xff, v2
	v_cmp_ge_u32_e32 vcc, v2, v0
	s_mov_b64 s[2:3], -1
	v_mov_b32_e32 v2, v0
	s_and_saveexec_b64 s[10:11], vcc
	s_cbranch_execz .LBB2082_180
; %bb.172:
	v_lshrrev_b32_e32 v22, 8, v1
	v_add_u32_e32 v6, -3, v22
	v_or_b32_e32 v3, 0x300, v0
	v_or_b32_e32 v2, 0x200, v0
	v_lshrrev_b32_e32 v7, 2, v6
	v_or_b32_e32 v1, 0x100, v0
	v_add_u32_e32 v24, 1, v7
	v_cmp_lt_u32_e32 vcc, 11, v6
	v_pk_mov_b32 v[8:9], v[2:3], v[2:3] op_sel:[0,1]
	v_mov_b32_e32 v36, 0
	v_lshlrev_b32_e32 v23, 1, v0
	v_pk_mov_b32 v[6:7], v[0:1], v[0:1] op_sel:[0,1]
	s_and_saveexec_b64 s[12:13], vcc
	s_cbranch_execz .LBB2082_176
; %bb.173:
	v_pk_mov_b32 v[8:9], v[2:3], v[2:3] op_sel:[0,1]
	v_and_b32_e32 v34, 0x7ffffffc, v24
	s_mov_b32 s16, 0
	s_mov_b64 s[14:15], 0
	v_mov_b32_e32 v13, 0
	v_mov_b32_e32 v35, v23
	v_pk_mov_b32 v[6:7], v[0:1], v[0:1] op_sel:[0,1]
.LBB2082_174:                           ; =>This Inner Loop Header: Depth=1
	v_mov_b32_e32 v12, v6
	v_lshlrev_b64 v[104:105], 1, v[12:13]
	v_add_u32_e32 v38, 0x400, v7
	v_mov_b32_e32 v39, v13
	v_add_co_u32_e64 v104, s[2:3], v32, v104
	v_lshlrev_b64 v[38:39], 1, v[38:39]
	v_addc_co_u32_e64 v105, s[2:3], v33, v105, s[2:3]
	v_add_u32_e32 v36, 0x400, v8
	v_mov_b32_e32 v37, v13
	v_add_co_u32_e64 v38, s[2:3], v32, v38
	v_lshlrev_b64 v[106:107], 1, v[36:37]
	v_addc_co_u32_e64 v39, s[2:3], v33, v39, s[2:3]
	v_add_u32_e32 v2, 0x400, v9
	v_mov_b32_e32 v3, v13
	v_add_co_u32_e64 v106, s[2:3], v32, v106
	v_add_u32_e32 v34, -4, v34
	v_mov_b32_e32 v12, v7
	v_lshlrev_b64 v[2:3], 1, v[2:3]
	v_addc_co_u32_e64 v107, s[2:3], v33, v107, s[2:3]
	v_add_u32_e32 v96, 0x800, v7
	v_mov_b32_e32 v97, v13
	s_add_i32 s16, s16, 16
	v_cmp_eq_u32_e32 vcc, 0, v34
	v_lshlrev_b64 v[108:109], 1, v[12:13]
	v_add_co_u32_e64 v2, s[2:3], v32, v2
	v_lshlrev_b64 v[96:97], 1, v[96:97]
	v_mov_b32_e32 v12, v8
	v_addc_co_u32_e64 v3, s[2:3], v33, v3, s[2:3]
	s_or_b64 s[14:15], vcc, s[14:15]
	v_add_co_u32_e32 v108, vcc, v32, v108
	v_add_u32_e32 v94, 0x800, v8
	v_mov_b32_e32 v95, v13
	v_add_co_u32_e64 v96, s[2:3], v32, v96
	v_addc_co_u32_e32 v109, vcc, v33, v109, vcc
	v_lshlrev_b64 v[110:111], 1, v[12:13]
	v_lshlrev_b64 v[94:95], 1, v[94:95]
	v_addc_co_u32_e64 v97, s[2:3], v33, v97, s[2:3]
	v_mov_b32_e32 v12, v9
	v_add_co_u32_e32 v110, vcc, v32, v110
	ds_read_u16 v1, v35
	ds_read_u16 v41, v35 offset:512
	ds_read_u16 v93, v35 offset:1024
	;; [unrolled: 1-line block ×7, first 2 shown]
	v_add_u32_e32 v74, 0x800, v9
	v_mov_b32_e32 v75, v13
	v_add_co_u32_e64 v94, s[2:3], v32, v94
	v_addc_co_u32_e32 v111, vcc, v33, v111, vcc
	v_lshlrev_b64 v[112:113], 1, v[12:13]
	v_lshlrev_b64 v[74:75], 1, v[74:75]
	v_addc_co_u32_e64 v95, s[2:3], v33, v95, s[2:3]
	v_add_u32_e32 v12, 0x400, v6
	v_add_co_u32_e32 v112, vcc, v32, v112
	v_add_u32_e32 v102, 0xc00, v7
	v_mov_b32_e32 v103, v13
	ds_read_u16 v119, v35 offset:4096
	ds_read_u16 v120, v35 offset:4608
	;; [unrolled: 1-line block ×8, first 2 shown]
	v_add_co_u32_e64 v74, s[2:3], v32, v74
	v_addc_co_u32_e32 v113, vcc, v33, v113, vcc
	s_waitcnt lgkmcnt(14)
	global_store_short v[104:105], v1, off
	global_store_short v[108:109], v41, off
	s_waitcnt lgkmcnt(13)
	global_store_short v[110:111], v93, off
	v_lshlrev_b64 v[104:105], 1, v[12:13]
	v_lshlrev_b64 v[102:103], 1, v[102:103]
	v_addc_co_u32_e64 v75, s[2:3], v33, v75, s[2:3]
	v_add_u32_e32 v12, 0x800, v6
	v_add_co_u32_e32 v104, vcc, v32, v104
	v_add_u32_e32 v100, 0xc00, v8
	v_mov_b32_e32 v101, v13
	v_add_co_u32_e64 v102, s[2:3], v32, v102
	v_addc_co_u32_e32 v105, vcc, v33, v105, vcc
	v_lshlrev_b64 v[108:109], 1, v[12:13]
	v_lshlrev_b64 v[100:101], 1, v[100:101]
	v_addc_co_u32_e64 v103, s[2:3], v33, v103, s[2:3]
	s_waitcnt lgkmcnt(12)
	global_store_short v[112:113], v114, off
	v_add_u32_e32 v12, 0xc00, v6
	s_waitcnt lgkmcnt(11)
	global_store_short v[104:105], v115, off
	s_waitcnt lgkmcnt(10)
	global_store_short v[38:39], v116, off
	;; [unrolled: 2-line block ×4, first 2 shown]
	v_add_co_u32_e32 v2, vcc, v32, v108
	v_add_u32_e32 v98, 0xc00, v9
	v_mov_b32_e32 v99, v13
	v_add_co_u32_e64 v100, s[2:3], v32, v100
	v_addc_co_u32_e32 v3, vcc, v33, v109, vcc
	v_lshlrev_b64 v[38:39], 1, v[12:13]
	v_lshlrev_b64 v[98:99], 1, v[98:99]
	v_addc_co_u32_e64 v101, s[2:3], v33, v101, s[2:3]
	s_waitcnt lgkmcnt(7)
	global_store_short v[2:3], v119, off
	s_waitcnt lgkmcnt(6)
	global_store_short v[96:97], v120, off
	;; [unrolled: 2-line block ×4, first 2 shown]
	v_add_co_u32_e32 v2, vcc, v32, v38
	v_add_u32_e32 v35, 0x2000, v35
	v_add_u32_e32 v7, 0x1000, v7
	v_mov_b32_e32 v36, s16
	v_add_co_u32_e64 v98, s[2:3], v32, v98
	v_add_u32_e32 v8, 0x1000, v8
	v_add_u32_e32 v9, 0x1000, v9
	;; [unrolled: 1-line block ×3, first 2 shown]
	v_addc_co_u32_e32 v3, vcc, v33, v39, vcc
	v_addc_co_u32_e64 v99, s[2:3], v33, v99, s[2:3]
	s_waitcnt lgkmcnt(3)
	global_store_short v[2:3], v123, off
	s_waitcnt lgkmcnt(2)
	global_store_short v[102:103], v124, off
	;; [unrolled: 2-line block ×4, first 2 shown]
	s_andn2_b64 exec, exec, s[14:15]
	s_cbranch_execnz .LBB2082_174
; %bb.175:
	s_or_b64 exec, exec, s[14:15]
.LBB2082_176:
	s_or_b64 exec, exec, s[12:13]
	v_and_b32_e32 v1, 3, v24
	v_cmp_ne_u32_e32 vcc, 0, v1
	s_and_saveexec_b64 s[12:13], vcc
	s_cbranch_execz .LBB2082_179
; %bb.177:
	v_lshl_or_b32 v12, v36, 9, v23
	s_mov_b64 s[14:15], 0
	v_mov_b32_e32 v3, 0
.LBB2082_178:                           ; =>This Inner Loop Header: Depth=1
	v_mov_b32_e32 v2, v6
	v_add_u32_e32 v1, -1, v1
	v_lshlrev_b64 v[34:35], 1, v[2:3]
	v_mov_b32_e32 v2, v7
	v_cmp_eq_u32_e32 vcc, 0, v1
	v_lshlrev_b64 v[36:37], 1, v[2:3]
	ds_read_u16 v13, v12
	ds_read_u16 v23, v12 offset:512
	ds_read_u16 v24, v12 offset:1024
	;; [unrolled: 1-line block ×3, first 2 shown]
	v_mov_b32_e32 v2, v8
	s_or_b64 s[14:15], vcc, s[14:15]
	v_add_co_u32_e32 v36, vcc, v32, v36
	v_addc_co_u32_e32 v37, vcc, v33, v37, vcc
	v_lshlrev_b64 v[38:39], 1, v[2:3]
	v_mov_b32_e32 v2, v9
	v_add_co_u32_e32 v38, vcc, v32, v38
	v_add_co_u32_e64 v34, s[2:3], v32, v34
	v_addc_co_u32_e32 v39, vcc, v33, v39, vcc
	v_lshlrev_b64 v[74:75], 1, v[2:3]
	v_add_u32_e32 v6, 0x400, v6
	v_add_u32_e32 v12, 0x800, v12
	;; [unrolled: 1-line block ×3, first 2 shown]
	v_addc_co_u32_e64 v35, s[2:3], v33, v35, s[2:3]
	v_add_u32_e32 v8, 0x400, v8
	v_add_u32_e32 v9, 0x400, v9
	v_add_co_u32_e32 v74, vcc, v32, v74
	v_addc_co_u32_e32 v75, vcc, v33, v75, vcc
	s_waitcnt lgkmcnt(3)
	global_store_short v[34:35], v13, off
	s_waitcnt lgkmcnt(2)
	global_store_short v[36:37], v23, off
	;; [unrolled: 2-line block ×4, first 2 shown]
	s_andn2_b64 exec, exec, s[14:15]
	s_cbranch_execnz .LBB2082_178
.LBB2082_179:
	s_or_b64 exec, exec, s[12:13]
	v_add_u32_e32 v1, 1, v22
	v_and_b32_e32 v3, 0x1fffffc, v1
	v_cmp_ne_u32_e32 vcc, v1, v3
	v_lshl_or_b32 v2, v3, 8, v0
	s_orn2_b64 s[2:3], vcc, exec
.LBB2082_180:
	s_or_b64 exec, exec, s[10:11]
	s_andn2_b64 s[6:7], s[6:7], exec
	s_and_b64 s[2:3], s[2:3], exec
	s_or_b64 s[6:7], s[6:7], s[2:3]
.LBB2082_181:
	s_or_b64 exec, exec, s[8:9]
	s_and_b64 exec, exec, s[6:7]
	s_cbranch_execz .LBB2082_184
; %bb.182:
	v_lshlrev_b32_e32 v1, 1, v2
	s_mov_b64 s[2:3], 0
	v_mov_b32_e32 v3, 0
.LBB2082_183:                           ; =>This Inner Loop Header: Depth=1
	v_lshlrev_b64 v[6:7], 1, v[2:3]
	ds_read_u16 v8, v1
	v_add_co_u32_e32 v6, vcc, v32, v6
	v_add_u32_e32 v2, 0x100, v2
	v_addc_co_u32_e32 v7, vcc, v33, v7, vcc
	v_cmp_ge_u32_e32 vcc, v2, v40
	v_add_u32_e32 v1, 0x200, v1
	s_or_b64 s[2:3], vcc, s[2:3]
	s_waitcnt lgkmcnt(0)
	global_store_short v[6:7], v8, off
	s_andn2_b64 exec, exec, s[2:3]
	s_cbranch_execnz .LBB2082_183
.LBB2082_184:
	s_or_b64 exec, exec, s[4:5]
.LBB2082_185:
	s_cmpk_lg_i32 s33, 0xf00
	s_cselect_b64 s[2:3], -1, 0
	v_cndmask_b32_e64 v8, 0, 1, s[50:51]
	s_and_b64 s[2:3], s[2:3], s[48:49]
	v_add_co_u32_e32 v2, vcc, v76, v4
	v_sub_u32_e32 v1, v40, v8
	v_cndmask_b32_e64 v4, 0, 1, s[2:3]
	s_and_b64 s[0:1], s[0:1], s[50:51]
	v_add_u32_e32 v1, v1, v4
	v_cndmask_b32_e64 v4, v91, 0, s[0:1]
	s_mul_hi_u32 s0, s33, 0x88888889
	v_addc_co_u32_e32 v3, vcc, v77, v5, vcc
	s_lshr_b32 s0, s0, 3
	v_mad_i32_i24 v5, v0, -15, s33
	v_cmp_eq_u32_e32 vcc, s0, v0
	v_cmp_ne_u32_e64 s[0:1], 0, v5
	v_cndmask_b32_e64 v6, 1, v4, s[0:1]
	v_cmp_ne_u32_e64 s[0:1], 1, v5
	v_cndmask_b32_e64 v7, 1, v89, s[0:1]
	v_cmp_ne_u32_e64 s[0:1], 2, v5
	v_cndmask_b32_e64 v9, 1, v90, s[0:1]
	v_cmp_ne_u32_e64 s[0:1], 3, v5
	v_cndmask_b32_e64 v12, 1, v88, s[0:1]
	v_cmp_ne_u32_e64 s[0:1], 4, v5
	v_cndmask_b32_e64 v13, 1, v85, s[0:1]
	v_cmp_ne_u32_e64 s[0:1], 5, v5
	v_cndmask_b32_e64 v22, 1, v82, s[0:1]
	v_cmp_ne_u32_e64 s[0:1], 6, v5
	v_cndmask_b32_e64 v23, 1, v87, s[0:1]
	v_cmp_ne_u32_e64 s[0:1], 7, v5
	v_cndmask_b32_e64 v24, 1, v86, s[0:1]
	v_cmp_ne_u32_e64 s[0:1], 8, v5
	v_cndmask_b32_e64 v32, 1, v79, s[0:1]
	v_cmp_ne_u32_e64 s[0:1], 9, v5
	v_cndmask_b32_e64 v33, 1, v78, s[0:1]
	v_cmp_ne_u32_e64 s[0:1], 10, v5
	v_cndmask_b32_e64 v34, 1, v84, s[0:1]
	v_cmp_ne_u32_e64 s[0:1], 11, v5
	v_cndmask_b32_e64 v35, 1, v83, s[0:1]
	v_cmp_ne_u32_e64 s[0:1], 12, v5
	v_cndmask_b32_e64 v36, 1, v25, s[0:1]
	v_cmp_ne_u32_e64 s[0:1], 13, v5
	v_cndmask_b32_e64 v37, 1, v80, s[0:1]
	v_cmp_ne_u32_e64 s[0:1], 14, v5
	v_cndmask_b32_e64 v5, 1, v81, s[0:1]
	s_and_b64 vcc, vcc, s[48:49]
	v_cndmask_b32_e32 v38, v81, v5, vcc
	v_cndmask_b32_e32 v39, v4, v6, vcc
	v_lshlrev_b64 v[4:5], 3, v[10:11]
	v_cndmask_b32_e32 v37, v80, v37, vcc
	v_cndmask_b32_e32 v25, v25, v36, vcc
	;; [unrolled: 1-line block ×13, first 2 shown]
	v_mov_b32_e32 v6, s59
	v_add_co_u32_e32 v7, vcc, s58, v4
	v_addc_co_u32_e32 v6, vcc, v6, v5, vcc
	v_lshlrev_b64 v[4:5], 3, v[44:45]
	v_add_co_u32_e32 v4, vcc, v7, v4
	v_addc_co_u32_e32 v5, vcc, v6, v5, vcc
	v_lshlrev_b32_e32 v6, 3, v8
	v_add_co_u32_e32 v6, vcc, v6, v4
	v_addc_co_u32_e32 v7, vcc, 0, v5, vcc
	v_add_co_u32_e32 v6, vcc, -8, v6
	v_addc_co_u32_e32 v7, vcc, -1, v7, vcc
	v_cmp_eq_u32_e32 vcc, 0, v39
	v_cmp_ne_u32_e64 s[28:29], 0, v39
	v_cndmask_b32_e64 v39, 1, 2, vcc
	v_cmp_eq_u32_e32 vcc, 0, v36
	v_cmp_ne_u32_e64 s[26:27], 0, v36
	v_cndmask_b32_e64 v36, 1, 2, vcc
	v_cmp_eq_u32_e32 vcc, 0, v9
	v_and_b32_e32 v36, v36, v39
	v_cmp_ne_u32_e64 s[24:25], 0, v9
	v_cndmask_b32_e64 v9, 1, 2, vcc
	v_cmp_eq_u32_e32 vcc, 0, v12
	v_and_b32_e32 v9, v36, v9
	;; [unrolled: 4-line block ×3, first 2 shown]
	v_cndmask_b32_e64 v12, 1, 2, vcc
	v_cmp_eq_u32_e32 vcc, 0, v22
	v_and_b32_e32 v9, v9, v12
	v_cndmask_b32_e64 v12, 1, 2, vcc
	v_cmp_eq_u32_e32 vcc, 0, v23
	v_and_b32_e32 v9, v9, v12
	;; [unrolled: 3-line block ×10, first 2 shown]
	v_cndmask_b32_e64 v12, 1, 2, vcc
	s_movk_i32 s30, 0x100
	v_and_b32_e32 v9, v9, v12
	v_cmp_gt_u32_e32 vcc, s30, v1
	v_add_u32_e32 v8, v44, v8
	v_cmp_ne_u32_e64 s[20:21], 0, v13
	v_cmp_ne_u32_e64 s[18:19], 0, v22
	;; [unrolled: 1-line block ×11, first 2 shown]
	s_mov_b64 s[34:35], -1
	v_cmp_gt_i16_e64 s[30:31], 2, v9
	s_barrier
	s_cbranch_vccz .LBB2082_192
; %bb.186:
	s_and_saveexec_b64 s[34:35], s[30:31]
	s_cbranch_execz .LBB2082_191
; %bb.187:
	v_cmp_ne_u16_e32 vcc, 1, v9
	s_mov_b64 s[36:37], 0
	s_and_saveexec_b64 s[30:31], vcc
	s_xor_b64 s[30:31], exec, s[30:31]
	s_cbranch_execnz .LBB2082_241
; %bb.188:
	s_andn2_saveexec_b64 s[30:31], s[30:31]
	s_cbranch_execnz .LBB2082_257
.LBB2082_189:
	s_or_b64 exec, exec, s[30:31]
	s_and_b64 exec, exec, s[36:37]
	s_cbranch_execz .LBB2082_191
.LBB2082_190:
	v_sub_u32_e32 v12, v14, v8
	v_mov_b32_e32 v13, 0
	v_lshlrev_b64 v[12:13], 3, v[12:13]
	v_add_co_u32_e32 v12, vcc, v6, v12
	v_addc_co_u32_e32 v13, vcc, v7, v13, vcc
	global_store_dwordx2 v[12:13], v[2:3], off
.LBB2082_191:
	s_or_b64 exec, exec, s[34:35]
	s_mov_b64 s[34:35], 0
.LBB2082_192:
	s_and_b64 vcc, exec, s[34:35]
	s_cbranch_vccz .LBB2082_202
; %bb.193:
	v_cmp_gt_i16_e32 vcc, 2, v9
	s_and_saveexec_b64 s[30:31], vcc
	s_cbranch_execz .LBB2082_198
; %bb.194:
	v_cmp_ne_u16_e32 vcc, 1, v9
	s_mov_b64 s[36:37], 0
	s_and_saveexec_b64 s[34:35], vcc
	s_xor_b64 s[34:35], exec, s[34:35]
	s_cbranch_execnz .LBB2082_258
; %bb.195:
	s_andn2_saveexec_b64 s[0:1], s[34:35]
	s_cbranch_execnz .LBB2082_274
.LBB2082_196:
	s_or_b64 exec, exec, s[0:1]
	s_and_b64 exec, exec, s[36:37]
	s_cbranch_execz .LBB2082_198
.LBB2082_197:
	v_sub_u32_e32 v8, v14, v8
	v_lshlrev_b32_e32 v8, 3, v8
	ds_write_b64 v8, v[2:3]
.LBB2082_198:
	s_or_b64 exec, exec, s[30:31]
	v_cmp_lt_u32_e32 vcc, v0, v1
	s_waitcnt lgkmcnt(0)
	s_barrier
	s_and_saveexec_b64 s[0:1], vcc
	s_cbranch_execz .LBB2082_201
; %bb.199:
	v_lshlrev_b32_e32 v8, 3, v0
	s_mov_b64 s[2:3], 0
	v_mov_b32_e32 v3, 0
	v_mov_b32_e32 v2, v0
.LBB2082_200:                           ; =>This Inner Loop Header: Depth=1
	v_lshlrev_b64 v[12:13], 3, v[2:3]
	ds_read_b64 v[14:15], v8
	v_add_co_u32_e32 v12, vcc, v6, v12
	v_add_u32_e32 v2, 0x100, v2
	v_addc_co_u32_e32 v13, vcc, v7, v13, vcc
	v_cmp_ge_u32_e32 vcc, v2, v1
	v_add_u32_e32 v8, 0x800, v8
	s_or_b64 s[2:3], vcc, s[2:3]
	s_waitcnt lgkmcnt(0)
	global_store_dwordx2 v[12:13], v[14:15], off
	s_andn2_b64 exec, exec, s[2:3]
	s_cbranch_execnz .LBB2082_200
.LBB2082_201:
	s_or_b64 exec, exec, s[0:1]
.LBB2082_202:
	s_movk_i32 s0, 0xff
	v_cmp_eq_u32_e32 vcc, s0, v0
	s_and_b64 s[0:1], vcc, s[48:49]
	s_and_saveexec_b64 s[2:3], s[0:1]
	s_cbranch_execz .LBB2082_205
; %bb.203:
	v_add_co_u32_e32 v0, vcc, v40, v44
	v_addc_co_u32_e64 v1, s[0:1], 0, 0, vcc
	v_add_co_u32_e32 v0, vcc, v0, v10
	v_mov_b32_e32 v41, 0
	v_addc_co_u32_e32 v1, vcc, v1, v11, vcc
	s_cmpk_lg_i32 s33, 0xf00
	global_store_dwordx2 v41, v[0:1], s[60:61]
	s_cbranch_scc1 .LBB2082_205
; %bb.204:
	v_lshlrev_b64 v[0:1], 3, v[40:41]
	v_add_co_u32_e32 v0, vcc, v4, v0
	v_addc_co_u32_e32 v1, vcc, v5, v1, vcc
	global_store_dwordx2 v[0:1], v[42:43], off offset:-8
.LBB2082_205:
	s_endpgm
.LBB2082_206:
	s_or_b64 exec, exec, s[4:5]
	v_mov_b32_e32 v91, s14
	s_and_saveexec_b64 s[2:3], s[8:9]
	s_cbranch_execnz .LBB2082_58
	s_branch .LBB2082_59
.LBB2082_207:
	s_and_saveexec_b64 s[38:39], s[30:31]
	s_cbranch_execnz .LBB2082_275
; %bb.208:
	s_or_b64 exec, exec, s[38:39]
	s_and_saveexec_b64 s[38:39], s[28:29]
	s_cbranch_execnz .LBB2082_276
.LBB2082_209:
	s_or_b64 exec, exec, s[38:39]
	s_and_saveexec_b64 s[38:39], s[26:27]
	s_cbranch_execnz .LBB2082_277
.LBB2082_210:
	s_or_b64 exec, exec, s[38:39]
	s_and_saveexec_b64 s[38:39], s[24:25]
	s_cbranch_execnz .LBB2082_278
.LBB2082_211:
	s_or_b64 exec, exec, s[38:39]
	s_and_saveexec_b64 s[38:39], s[22:23]
	s_cbranch_execnz .LBB2082_279
.LBB2082_212:
	s_or_b64 exec, exec, s[38:39]
	s_and_saveexec_b64 s[38:39], s[20:21]
	s_cbranch_execnz .LBB2082_280
.LBB2082_213:
	s_or_b64 exec, exec, s[38:39]
	s_and_saveexec_b64 s[38:39], s[18:19]
	s_cbranch_execnz .LBB2082_281
.LBB2082_214:
	s_or_b64 exec, exec, s[38:39]
	s_and_saveexec_b64 s[38:39], s[16:17]
	s_cbranch_execnz .LBB2082_282
.LBB2082_215:
	s_or_b64 exec, exec, s[38:39]
	s_and_saveexec_b64 s[38:39], s[14:15]
	s_cbranch_execnz .LBB2082_283
.LBB2082_216:
	s_or_b64 exec, exec, s[38:39]
	s_and_saveexec_b64 s[38:39], s[12:13]
	s_cbranch_execnz .LBB2082_284
.LBB2082_217:
	s_or_b64 exec, exec, s[38:39]
	s_and_saveexec_b64 s[38:39], s[10:11]
	s_cbranch_execnz .LBB2082_285
.LBB2082_218:
	s_or_b64 exec, exec, s[38:39]
	s_and_saveexec_b64 s[38:39], s[8:9]
	s_cbranch_execnz .LBB2082_286
.LBB2082_219:
	s_or_b64 exec, exec, s[38:39]
	s_and_saveexec_b64 s[38:39], s[6:7]
	s_cbranch_execnz .LBB2082_287
.LBB2082_220:
	s_or_b64 exec, exec, s[38:39]
	s_and_saveexec_b64 s[38:39], s[4:5]
	s_cbranch_execz .LBB2082_222
.LBB2082_221:
	v_sub_u32_e32 v12, v15, v44
	v_mov_b32_e32 v13, 0
	v_lshlrev_b64 v[12:13], 1, v[12:13]
	v_add_co_u32_e32 v12, vcc, v32, v12
	v_addc_co_u32_e32 v13, vcc, v33, v13, vcc
	global_store_short_d16_hi v[12:13], v24, off
.LBB2082_222:
	s_or_b64 exec, exec, s[38:39]
	s_and_b64 s[38:39], s[2:3], exec
	s_andn2_saveexec_b64 s[34:35], s[34:35]
	s_cbranch_execz .LBB2082_160
.LBB2082_223:
	v_sub_u32_e32 v12, v92, v44
	v_mov_b32_e32 v13, 0
	v_lshlrev_b64 v[34:35], 1, v[12:13]
	v_add_co_u32_e32 v34, vcc, v32, v34
	v_addc_co_u32_e32 v35, vcc, v33, v35, vcc
	v_sub_u32_e32 v12, v31, v44
	global_store_short v[34:35], v6, off
	v_lshlrev_b64 v[34:35], 1, v[12:13]
	v_add_co_u32_e32 v34, vcc, v32, v34
	v_addc_co_u32_e32 v35, vcc, v33, v35, vcc
	v_sub_u32_e32 v12, v30, v44
	global_store_short_d16_hi v[34:35], v6, off
	v_lshlrev_b64 v[34:35], 1, v[12:13]
	v_add_co_u32_e32 v34, vcc, v32, v34
	v_addc_co_u32_e32 v35, vcc, v33, v35, vcc
	v_sub_u32_e32 v12, v29, v44
	global_store_short v[34:35], v7, off
	v_lshlrev_b64 v[34:35], 1, v[12:13]
	v_add_co_u32_e32 v34, vcc, v32, v34
	v_addc_co_u32_e32 v35, vcc, v33, v35, vcc
	v_sub_u32_e32 v12, v28, v44
	global_store_short_d16_hi v[34:35], v7, off
	;; [unrolled: 10-line block ×6, first 2 shown]
	v_lshlrev_b64 v[34:35], 1, v[12:13]
	v_add_co_u32_e32 v34, vcc, v32, v34
	v_sub_u32_e32 v12, v15, v44
	v_addc_co_u32_e32 v35, vcc, v33, v35, vcc
	v_lshlrev_b64 v[12:13], 1, v[12:13]
	v_add_co_u32_e32 v12, vcc, v32, v12
	v_addc_co_u32_e32 v13, vcc, v33, v13, vcc
	s_or_b64 s[38:39], s[38:39], exec
	global_store_short v[34:35], v24, off
	global_store_short_d16_hi v[12:13], v24, off
	s_or_b64 exec, exec, s[34:35]
	s_and_b64 exec, exec, s[38:39]
	s_cbranch_execnz .LBB2082_161
	s_branch .LBB2082_162
.LBB2082_224:
	s_and_saveexec_b64 s[38:39], s[30:31]
	s_cbranch_execnz .LBB2082_288
; %bb.225:
	s_or_b64 exec, exec, s[38:39]
	s_and_saveexec_b64 s[30:31], s[28:29]
	s_cbranch_execnz .LBB2082_289
.LBB2082_226:
	s_or_b64 exec, exec, s[30:31]
	s_and_saveexec_b64 s[28:29], s[26:27]
	s_cbranch_execnz .LBB2082_290
.LBB2082_227:
	s_or_b64 exec, exec, s[28:29]
	s_and_saveexec_b64 s[26:27], s[24:25]
	s_cbranch_execnz .LBB2082_291
.LBB2082_228:
	s_or_b64 exec, exec, s[26:27]
	s_and_saveexec_b64 s[24:25], s[22:23]
	s_cbranch_execnz .LBB2082_292
.LBB2082_229:
	s_or_b64 exec, exec, s[24:25]
	s_and_saveexec_b64 s[22:23], s[20:21]
	s_cbranch_execnz .LBB2082_293
.LBB2082_230:
	s_or_b64 exec, exec, s[22:23]
	s_and_saveexec_b64 s[20:21], s[18:19]
	s_cbranch_execnz .LBB2082_294
.LBB2082_231:
	s_or_b64 exec, exec, s[20:21]
	s_and_saveexec_b64 s[18:19], s[16:17]
	s_cbranch_execnz .LBB2082_295
.LBB2082_232:
	s_or_b64 exec, exec, s[18:19]
	s_and_saveexec_b64 s[16:17], s[14:15]
	s_cbranch_execnz .LBB2082_296
.LBB2082_233:
	s_or_b64 exec, exec, s[16:17]
	s_and_saveexec_b64 s[14:15], s[12:13]
	s_cbranch_execnz .LBB2082_297
.LBB2082_234:
	s_or_b64 exec, exec, s[14:15]
	s_and_saveexec_b64 s[12:13], s[10:11]
	s_cbranch_execnz .LBB2082_298
.LBB2082_235:
	s_or_b64 exec, exec, s[12:13]
	s_and_saveexec_b64 s[10:11], s[8:9]
	s_cbranch_execnz .LBB2082_299
.LBB2082_236:
	s_or_b64 exec, exec, s[10:11]
	s_and_saveexec_b64 s[8:9], s[6:7]
	s_cbranch_execnz .LBB2082_300
.LBB2082_237:
	s_or_b64 exec, exec, s[8:9]
	s_and_saveexec_b64 s[6:7], s[4:5]
	s_cbranch_execz .LBB2082_239
.LBB2082_238:
	v_sub_u32_e32 v2, v15, v44
	v_lshlrev_b32_e32 v2, 1, v2
	ds_write_b16_d16_hi v2, v24
.LBB2082_239:
	s_or_b64 exec, exec, s[6:7]
	s_and_b64 s[38:39], s[2:3], exec
                                        ; implicit-def: $vgpr6
                                        ; implicit-def: $vgpr22
	s_andn2_saveexec_b64 s[2:3], s[36:37]
	s_cbranch_execz .LBB2082_167
.LBB2082_240:
	v_sub_u32_e32 v2, v92, v44
	v_lshlrev_b32_e32 v2, 1, v2
	ds_write_b16 v2, v6
	v_sub_u32_e32 v2, v31, v44
	v_lshlrev_b32_e32 v2, 1, v2
	ds_write_b16_d16_hi v2, v6
	v_sub_u32_e32 v2, v30, v44
	v_lshlrev_b32_e32 v2, 1, v2
	ds_write_b16 v2, v7
	v_sub_u32_e32 v2, v29, v44
	v_lshlrev_b32_e32 v2, 1, v2
	ds_write_b16_d16_hi v2, v7
	v_sub_u32_e32 v2, v28, v44
	v_lshlrev_b32_e32 v2, 1, v2
	ds_write_b16 v2, v8
	v_sub_u32_e32 v2, v27, v44
	v_lshlrev_b32_e32 v2, 1, v2
	ds_write_b16_d16_hi v2, v8
	v_sub_u32_e32 v2, v26, v44
	v_lshlrev_b32_e32 v2, 1, v2
	ds_write_b16 v2, v9
	v_sub_u32_e32 v2, v21, v44
	v_lshlrev_b32_e32 v2, 1, v2
	ds_write_b16_d16_hi v2, v9
	v_sub_u32_e32 v2, v20, v44
	v_lshlrev_b32_e32 v2, 1, v2
	ds_write_b16 v2, v22
	v_sub_u32_e32 v2, v19, v44
	v_lshlrev_b32_e32 v2, 1, v2
	ds_write_b16_d16_hi v2, v22
	v_sub_u32_e32 v2, v18, v44
	v_lshlrev_b32_e32 v2, 1, v2
	ds_write_b16 v2, v23
	v_sub_u32_e32 v2, v17, v44
	v_lshlrev_b32_e32 v2, 1, v2
	ds_write_b16_d16_hi v2, v23
	v_sub_u32_e32 v2, v16, v44
	v_lshlrev_b32_e32 v2, 1, v2
	ds_write_b16 v2, v24
	v_sub_u32_e32 v2, v15, v44
	v_lshlrev_b32_e32 v2, 1, v2
	s_or_b64 s[38:39], s[38:39], exec
	ds_write_b16_d16_hi v2, v24
	s_or_b64 exec, exec, s[2:3]
	s_and_b64 exec, exec, s[38:39]
	s_cbranch_execnz .LBB2082_168
	s_branch .LBB2082_169
.LBB2082_241:
	s_and_saveexec_b64 s[36:37], s[28:29]
	s_cbranch_execnz .LBB2082_301
; %bb.242:
	s_or_b64 exec, exec, s[36:37]
	s_and_saveexec_b64 s[36:37], s[26:27]
	s_cbranch_execnz .LBB2082_302
.LBB2082_243:
	s_or_b64 exec, exec, s[36:37]
	s_and_saveexec_b64 s[36:37], s[24:25]
	s_cbranch_execnz .LBB2082_303
.LBB2082_244:
	s_or_b64 exec, exec, s[36:37]
	s_and_saveexec_b64 s[36:37], s[22:23]
	s_cbranch_execnz .LBB2082_304
.LBB2082_245:
	s_or_b64 exec, exec, s[36:37]
	s_and_saveexec_b64 s[36:37], s[20:21]
	s_cbranch_execnz .LBB2082_305
.LBB2082_246:
	s_or_b64 exec, exec, s[36:37]
	s_and_saveexec_b64 s[36:37], s[18:19]
	s_cbranch_execnz .LBB2082_306
.LBB2082_247:
	s_or_b64 exec, exec, s[36:37]
	s_and_saveexec_b64 s[36:37], s[16:17]
	s_cbranch_execnz .LBB2082_307
.LBB2082_248:
	s_or_b64 exec, exec, s[36:37]
	s_and_saveexec_b64 s[36:37], s[14:15]
	s_cbranch_execnz .LBB2082_308
.LBB2082_249:
	s_or_b64 exec, exec, s[36:37]
	s_and_saveexec_b64 s[36:37], s[12:13]
	s_cbranch_execnz .LBB2082_309
.LBB2082_250:
	s_or_b64 exec, exec, s[36:37]
	s_and_saveexec_b64 s[36:37], s[10:11]
	s_cbranch_execnz .LBB2082_310
.LBB2082_251:
	s_or_b64 exec, exec, s[36:37]
	s_and_saveexec_b64 s[36:37], s[8:9]
	s_cbranch_execnz .LBB2082_311
.LBB2082_252:
	s_or_b64 exec, exec, s[36:37]
	s_and_saveexec_b64 s[36:37], s[6:7]
	s_cbranch_execnz .LBB2082_312
.LBB2082_253:
	s_or_b64 exec, exec, s[36:37]
	s_and_saveexec_b64 s[36:37], s[4:5]
	s_cbranch_execnz .LBB2082_313
.LBB2082_254:
	s_or_b64 exec, exec, s[36:37]
	s_and_saveexec_b64 s[36:37], s[2:3]
	s_cbranch_execz .LBB2082_256
.LBB2082_255:
	v_sub_u32_e32 v12, v15, v8
	v_mov_b32_e32 v13, 0
	v_lshlrev_b64 v[12:13], 3, v[12:13]
	v_add_co_u32_e32 v12, vcc, v6, v12
	v_addc_co_u32_e32 v13, vcc, v7, v13, vcc
	global_store_dwordx2 v[12:13], v[72:73], off
.LBB2082_256:
	s_or_b64 exec, exec, s[36:37]
	s_and_b64 s[36:37], s[0:1], exec
	s_andn2_saveexec_b64 s[30:31], s[30:31]
	s_cbranch_execz .LBB2082_189
.LBB2082_257:
	v_sub_u32_e32 v12, v92, v8
	v_mov_b32_e32 v13, 0
	v_lshlrev_b64 v[22:23], 3, v[12:13]
	v_add_co_u32_e32 v22, vcc, v6, v22
	v_addc_co_u32_e32 v23, vcc, v7, v23, vcc
	v_sub_u32_e32 v12, v31, v8
	global_store_dwordx2 v[22:23], v[70:71], off
	v_lshlrev_b64 v[22:23], 3, v[12:13]
	v_add_co_u32_e32 v22, vcc, v6, v22
	v_addc_co_u32_e32 v23, vcc, v7, v23, vcc
	v_sub_u32_e32 v12, v30, v8
	global_store_dwordx2 v[22:23], v[46:47], off
	v_lshlrev_b64 v[22:23], 3, v[12:13]
	v_add_co_u32_e32 v22, vcc, v6, v22
	v_addc_co_u32_e32 v23, vcc, v7, v23, vcc
	v_sub_u32_e32 v12, v29, v8
	global_store_dwordx2 v[22:23], v[48:49], off
	v_lshlrev_b64 v[22:23], 3, v[12:13]
	v_add_co_u32_e32 v22, vcc, v6, v22
	v_addc_co_u32_e32 v23, vcc, v7, v23, vcc
	v_sub_u32_e32 v12, v28, v8
	global_store_dwordx2 v[22:23], v[50:51], off
	v_lshlrev_b64 v[22:23], 3, v[12:13]
	v_add_co_u32_e32 v22, vcc, v6, v22
	v_addc_co_u32_e32 v23, vcc, v7, v23, vcc
	v_sub_u32_e32 v12, v27, v8
	global_store_dwordx2 v[22:23], v[52:53], off
	v_lshlrev_b64 v[22:23], 3, v[12:13]
	v_add_co_u32_e32 v22, vcc, v6, v22
	v_addc_co_u32_e32 v23, vcc, v7, v23, vcc
	v_sub_u32_e32 v12, v26, v8
	global_store_dwordx2 v[22:23], v[54:55], off
	v_lshlrev_b64 v[22:23], 3, v[12:13]
	v_add_co_u32_e32 v22, vcc, v6, v22
	v_addc_co_u32_e32 v23, vcc, v7, v23, vcc
	v_sub_u32_e32 v12, v21, v8
	global_store_dwordx2 v[22:23], v[56:57], off
	v_lshlrev_b64 v[22:23], 3, v[12:13]
	v_add_co_u32_e32 v22, vcc, v6, v22
	v_addc_co_u32_e32 v23, vcc, v7, v23, vcc
	v_sub_u32_e32 v12, v20, v8
	global_store_dwordx2 v[22:23], v[58:59], off
	v_lshlrev_b64 v[22:23], 3, v[12:13]
	v_add_co_u32_e32 v22, vcc, v6, v22
	v_addc_co_u32_e32 v23, vcc, v7, v23, vcc
	v_sub_u32_e32 v12, v19, v8
	global_store_dwordx2 v[22:23], v[60:61], off
	v_lshlrev_b64 v[22:23], 3, v[12:13]
	v_add_co_u32_e32 v22, vcc, v6, v22
	v_addc_co_u32_e32 v23, vcc, v7, v23, vcc
	v_sub_u32_e32 v12, v18, v8
	global_store_dwordx2 v[22:23], v[62:63], off
	v_lshlrev_b64 v[22:23], 3, v[12:13]
	v_add_co_u32_e32 v22, vcc, v6, v22
	v_addc_co_u32_e32 v23, vcc, v7, v23, vcc
	v_sub_u32_e32 v12, v17, v8
	global_store_dwordx2 v[22:23], v[64:65], off
	v_lshlrev_b64 v[22:23], 3, v[12:13]
	v_add_co_u32_e32 v22, vcc, v6, v22
	v_addc_co_u32_e32 v23, vcc, v7, v23, vcc
	v_sub_u32_e32 v12, v16, v8
	global_store_dwordx2 v[22:23], v[66:67], off
	v_lshlrev_b64 v[22:23], 3, v[12:13]
	v_add_co_u32_e32 v22, vcc, v6, v22
	v_sub_u32_e32 v12, v15, v8
	v_addc_co_u32_e32 v23, vcc, v7, v23, vcc
	v_lshlrev_b64 v[12:13], 3, v[12:13]
	v_add_co_u32_e32 v12, vcc, v6, v12
	v_addc_co_u32_e32 v13, vcc, v7, v13, vcc
	s_or_b64 s[36:37], s[36:37], exec
	global_store_dwordx2 v[22:23], v[68:69], off
	global_store_dwordx2 v[12:13], v[72:73], off
	s_or_b64 exec, exec, s[30:31]
	s_and_b64 exec, exec, s[36:37]
	s_cbranch_execnz .LBB2082_190
	s_branch .LBB2082_191
.LBB2082_258:
	s_and_saveexec_b64 s[36:37], s[28:29]
	s_cbranch_execnz .LBB2082_314
; %bb.259:
	s_or_b64 exec, exec, s[36:37]
	s_and_saveexec_b64 s[28:29], s[26:27]
	s_cbranch_execnz .LBB2082_315
.LBB2082_260:
	s_or_b64 exec, exec, s[28:29]
	s_and_saveexec_b64 s[26:27], s[24:25]
	s_cbranch_execnz .LBB2082_316
.LBB2082_261:
	s_or_b64 exec, exec, s[26:27]
	s_and_saveexec_b64 s[24:25], s[22:23]
	s_cbranch_execnz .LBB2082_317
.LBB2082_262:
	s_or_b64 exec, exec, s[24:25]
	s_and_saveexec_b64 s[22:23], s[20:21]
	s_cbranch_execnz .LBB2082_318
.LBB2082_263:
	s_or_b64 exec, exec, s[22:23]
	s_and_saveexec_b64 s[20:21], s[18:19]
	s_cbranch_execnz .LBB2082_319
.LBB2082_264:
	s_or_b64 exec, exec, s[20:21]
	s_and_saveexec_b64 s[18:19], s[16:17]
	s_cbranch_execnz .LBB2082_320
.LBB2082_265:
	s_or_b64 exec, exec, s[18:19]
	s_and_saveexec_b64 s[16:17], s[14:15]
	s_cbranch_execnz .LBB2082_321
.LBB2082_266:
	s_or_b64 exec, exec, s[16:17]
	s_and_saveexec_b64 s[14:15], s[12:13]
	s_cbranch_execnz .LBB2082_322
.LBB2082_267:
	s_or_b64 exec, exec, s[14:15]
	s_and_saveexec_b64 s[12:13], s[10:11]
	s_cbranch_execnz .LBB2082_323
.LBB2082_268:
	s_or_b64 exec, exec, s[12:13]
	s_and_saveexec_b64 s[10:11], s[8:9]
	s_cbranch_execnz .LBB2082_324
.LBB2082_269:
	s_or_b64 exec, exec, s[10:11]
	s_and_saveexec_b64 s[8:9], s[6:7]
	s_cbranch_execnz .LBB2082_325
.LBB2082_270:
	s_or_b64 exec, exec, s[8:9]
	s_and_saveexec_b64 s[6:7], s[4:5]
	s_cbranch_execnz .LBB2082_326
.LBB2082_271:
	s_or_b64 exec, exec, s[6:7]
	s_and_saveexec_b64 s[4:5], s[2:3]
	s_cbranch_execz .LBB2082_273
.LBB2082_272:
	v_sub_u32_e32 v9, v15, v8
	v_lshlrev_b32_e32 v9, 3, v9
	ds_write_b64 v9, v[72:73]
.LBB2082_273:
	s_or_b64 exec, exec, s[4:5]
	s_and_b64 s[36:37], s[0:1], exec
                                        ; implicit-def: $vgpr70_vgpr71
                                        ; implicit-def: $vgpr46_vgpr47
                                        ; implicit-def: $vgpr48_vgpr49
                                        ; implicit-def: $vgpr50_vgpr51
                                        ; implicit-def: $vgpr52_vgpr53
                                        ; implicit-def: $vgpr54_vgpr55
                                        ; implicit-def: $vgpr56_vgpr57
                                        ; implicit-def: $vgpr58_vgpr59
                                        ; implicit-def: $vgpr60_vgpr61
                                        ; implicit-def: $vgpr62_vgpr63
                                        ; implicit-def: $vgpr64_vgpr65
                                        ; implicit-def: $vgpr66_vgpr67
                                        ; implicit-def: $vgpr68_vgpr69
                                        ; implicit-def: $vgpr72_vgpr73
                                        ; implicit-def: $vgpr92
                                        ; implicit-def: $vgpr31
                                        ; implicit-def: $vgpr30
                                        ; implicit-def: $vgpr29
                                        ; implicit-def: $vgpr28
                                        ; implicit-def: $vgpr27
                                        ; implicit-def: $vgpr26
                                        ; implicit-def: $vgpr21
                                        ; implicit-def: $vgpr20
                                        ; implicit-def: $vgpr19
                                        ; implicit-def: $vgpr18
                                        ; implicit-def: $vgpr17
                                        ; implicit-def: $vgpr16
                                        ; implicit-def: $vgpr15
	s_andn2_saveexec_b64 s[0:1], s[34:35]
	s_cbranch_execz .LBB2082_196
.LBB2082_274:
	v_sub_u32_e32 v9, v92, v8
	v_lshlrev_b32_e32 v9, 3, v9
	ds_write_b64 v9, v[70:71]
	v_sub_u32_e32 v9, v31, v8
	v_lshlrev_b32_e32 v9, 3, v9
	ds_write_b64 v9, v[46:47]
	;; [unrolled: 3-line block ×13, first 2 shown]
	v_sub_u32_e32 v9, v15, v8
	v_lshlrev_b32_e32 v9, 3, v9
	s_or_b64 s[36:37], s[36:37], exec
	ds_write_b64 v9, v[72:73]
	s_or_b64 exec, exec, s[0:1]
	s_and_b64 exec, exec, s[36:37]
	s_cbranch_execnz .LBB2082_197
	s_branch .LBB2082_198
.LBB2082_275:
	v_sub_u32_e32 v12, v92, v44
	v_mov_b32_e32 v13, 0
	v_lshlrev_b64 v[12:13], 1, v[12:13]
	v_add_co_u32_e32 v12, vcc, v32, v12
	v_addc_co_u32_e32 v13, vcc, v33, v13, vcc
	global_store_short v[12:13], v6, off
	s_or_b64 exec, exec, s[38:39]
	s_and_saveexec_b64 s[38:39], s[28:29]
	s_cbranch_execz .LBB2082_209
.LBB2082_276:
	v_sub_u32_e32 v12, v31, v44
	v_mov_b32_e32 v13, 0
	v_lshlrev_b64 v[12:13], 1, v[12:13]
	v_add_co_u32_e32 v12, vcc, v32, v12
	v_addc_co_u32_e32 v13, vcc, v33, v13, vcc
	global_store_short_d16_hi v[12:13], v6, off
	s_or_b64 exec, exec, s[38:39]
	s_and_saveexec_b64 s[38:39], s[26:27]
	s_cbranch_execz .LBB2082_210
.LBB2082_277:
	v_sub_u32_e32 v12, v30, v44
	v_mov_b32_e32 v13, 0
	v_lshlrev_b64 v[12:13], 1, v[12:13]
	v_add_co_u32_e32 v12, vcc, v32, v12
	v_addc_co_u32_e32 v13, vcc, v33, v13, vcc
	global_store_short v[12:13], v7, off
	s_or_b64 exec, exec, s[38:39]
	s_and_saveexec_b64 s[38:39], s[24:25]
	s_cbranch_execz .LBB2082_211
.LBB2082_278:
	v_sub_u32_e32 v12, v29, v44
	v_mov_b32_e32 v13, 0
	v_lshlrev_b64 v[12:13], 1, v[12:13]
	v_add_co_u32_e32 v12, vcc, v32, v12
	v_addc_co_u32_e32 v13, vcc, v33, v13, vcc
	global_store_short_d16_hi v[12:13], v7, off
	s_or_b64 exec, exec, s[38:39]
	s_and_saveexec_b64 s[38:39], s[22:23]
	s_cbranch_execz .LBB2082_212
.LBB2082_279:
	v_sub_u32_e32 v12, v28, v44
	v_mov_b32_e32 v13, 0
	v_lshlrev_b64 v[12:13], 1, v[12:13]
	v_add_co_u32_e32 v12, vcc, v32, v12
	v_addc_co_u32_e32 v13, vcc, v33, v13, vcc
	global_store_short v[12:13], v8, off
	s_or_b64 exec, exec, s[38:39]
	s_and_saveexec_b64 s[38:39], s[20:21]
	s_cbranch_execz .LBB2082_213
.LBB2082_280:
	v_sub_u32_e32 v12, v27, v44
	v_mov_b32_e32 v13, 0
	v_lshlrev_b64 v[12:13], 1, v[12:13]
	v_add_co_u32_e32 v12, vcc, v32, v12
	v_addc_co_u32_e32 v13, vcc, v33, v13, vcc
	global_store_short_d16_hi v[12:13], v8, off
	s_or_b64 exec, exec, s[38:39]
	s_and_saveexec_b64 s[38:39], s[18:19]
	s_cbranch_execz .LBB2082_214
.LBB2082_281:
	v_sub_u32_e32 v12, v26, v44
	v_mov_b32_e32 v13, 0
	v_lshlrev_b64 v[12:13], 1, v[12:13]
	v_add_co_u32_e32 v12, vcc, v32, v12
	v_addc_co_u32_e32 v13, vcc, v33, v13, vcc
	global_store_short v[12:13], v9, off
	s_or_b64 exec, exec, s[38:39]
	s_and_saveexec_b64 s[38:39], s[16:17]
	s_cbranch_execz .LBB2082_215
.LBB2082_282:
	v_sub_u32_e32 v12, v21, v44
	v_mov_b32_e32 v13, 0
	v_lshlrev_b64 v[12:13], 1, v[12:13]
	v_add_co_u32_e32 v12, vcc, v32, v12
	v_addc_co_u32_e32 v13, vcc, v33, v13, vcc
	global_store_short_d16_hi v[12:13], v9, off
	s_or_b64 exec, exec, s[38:39]
	s_and_saveexec_b64 s[38:39], s[14:15]
	s_cbranch_execz .LBB2082_216
.LBB2082_283:
	v_sub_u32_e32 v12, v20, v44
	v_mov_b32_e32 v13, 0
	v_lshlrev_b64 v[12:13], 1, v[12:13]
	v_add_co_u32_e32 v12, vcc, v32, v12
	v_addc_co_u32_e32 v13, vcc, v33, v13, vcc
	global_store_short v[12:13], v22, off
	s_or_b64 exec, exec, s[38:39]
	s_and_saveexec_b64 s[38:39], s[12:13]
	s_cbranch_execz .LBB2082_217
.LBB2082_284:
	v_sub_u32_e32 v12, v19, v44
	v_mov_b32_e32 v13, 0
	v_lshlrev_b64 v[12:13], 1, v[12:13]
	v_add_co_u32_e32 v12, vcc, v32, v12
	v_addc_co_u32_e32 v13, vcc, v33, v13, vcc
	global_store_short_d16_hi v[12:13], v22, off
	s_or_b64 exec, exec, s[38:39]
	s_and_saveexec_b64 s[38:39], s[10:11]
	s_cbranch_execz .LBB2082_218
.LBB2082_285:
	v_sub_u32_e32 v12, v18, v44
	v_mov_b32_e32 v13, 0
	v_lshlrev_b64 v[12:13], 1, v[12:13]
	v_add_co_u32_e32 v12, vcc, v32, v12
	v_addc_co_u32_e32 v13, vcc, v33, v13, vcc
	global_store_short v[12:13], v23, off
	s_or_b64 exec, exec, s[38:39]
	s_and_saveexec_b64 s[38:39], s[8:9]
	s_cbranch_execz .LBB2082_219
.LBB2082_286:
	v_sub_u32_e32 v12, v17, v44
	v_mov_b32_e32 v13, 0
	v_lshlrev_b64 v[12:13], 1, v[12:13]
	v_add_co_u32_e32 v12, vcc, v32, v12
	v_addc_co_u32_e32 v13, vcc, v33, v13, vcc
	global_store_short_d16_hi v[12:13], v23, off
	s_or_b64 exec, exec, s[38:39]
	s_and_saveexec_b64 s[38:39], s[6:7]
	s_cbranch_execz .LBB2082_220
.LBB2082_287:
	v_sub_u32_e32 v12, v16, v44
	v_mov_b32_e32 v13, 0
	v_lshlrev_b64 v[12:13], 1, v[12:13]
	v_add_co_u32_e32 v12, vcc, v32, v12
	v_addc_co_u32_e32 v13, vcc, v33, v13, vcc
	global_store_short v[12:13], v24, off
	s_or_b64 exec, exec, s[38:39]
	s_and_saveexec_b64 s[38:39], s[4:5]
	s_cbranch_execnz .LBB2082_221
	s_branch .LBB2082_222
.LBB2082_288:
	v_sub_u32_e32 v2, v92, v44
	v_lshlrev_b32_e32 v2, 1, v2
	ds_write_b16 v2, v6
	s_or_b64 exec, exec, s[38:39]
	s_and_saveexec_b64 s[30:31], s[28:29]
	s_cbranch_execz .LBB2082_226
.LBB2082_289:
	v_sub_u32_e32 v2, v31, v44
	v_lshlrev_b32_e32 v2, 1, v2
	ds_write_b16_d16_hi v2, v6
	s_or_b64 exec, exec, s[30:31]
	s_and_saveexec_b64 s[28:29], s[26:27]
	s_cbranch_execz .LBB2082_227
.LBB2082_290:
	v_sub_u32_e32 v2, v30, v44
	v_lshlrev_b32_e32 v2, 1, v2
	ds_write_b16 v2, v7
	s_or_b64 exec, exec, s[28:29]
	s_and_saveexec_b64 s[26:27], s[24:25]
	s_cbranch_execz .LBB2082_228
.LBB2082_291:
	v_sub_u32_e32 v2, v29, v44
	v_lshlrev_b32_e32 v2, 1, v2
	ds_write_b16_d16_hi v2, v7
	s_or_b64 exec, exec, s[26:27]
	s_and_saveexec_b64 s[24:25], s[22:23]
	s_cbranch_execz .LBB2082_229
.LBB2082_292:
	v_sub_u32_e32 v2, v28, v44
	v_lshlrev_b32_e32 v2, 1, v2
	ds_write_b16 v2, v8
	s_or_b64 exec, exec, s[24:25]
	s_and_saveexec_b64 s[22:23], s[20:21]
	s_cbranch_execz .LBB2082_230
.LBB2082_293:
	v_sub_u32_e32 v2, v27, v44
	v_lshlrev_b32_e32 v2, 1, v2
	ds_write_b16_d16_hi v2, v8
	s_or_b64 exec, exec, s[22:23]
	s_and_saveexec_b64 s[20:21], s[18:19]
	s_cbranch_execz .LBB2082_231
.LBB2082_294:
	v_sub_u32_e32 v2, v26, v44
	v_lshlrev_b32_e32 v2, 1, v2
	ds_write_b16 v2, v9
	s_or_b64 exec, exec, s[20:21]
	s_and_saveexec_b64 s[18:19], s[16:17]
	s_cbranch_execz .LBB2082_232
.LBB2082_295:
	v_sub_u32_e32 v2, v21, v44
	v_lshlrev_b32_e32 v2, 1, v2
	ds_write_b16_d16_hi v2, v9
	s_or_b64 exec, exec, s[18:19]
	s_and_saveexec_b64 s[16:17], s[14:15]
	s_cbranch_execz .LBB2082_233
.LBB2082_296:
	v_sub_u32_e32 v2, v20, v44
	v_lshlrev_b32_e32 v2, 1, v2
	ds_write_b16 v2, v22
	s_or_b64 exec, exec, s[16:17]
	s_and_saveexec_b64 s[14:15], s[12:13]
	s_cbranch_execz .LBB2082_234
.LBB2082_297:
	v_sub_u32_e32 v2, v19, v44
	v_lshlrev_b32_e32 v2, 1, v2
	ds_write_b16_d16_hi v2, v22
	s_or_b64 exec, exec, s[14:15]
	s_and_saveexec_b64 s[12:13], s[10:11]
	s_cbranch_execz .LBB2082_235
.LBB2082_298:
	v_sub_u32_e32 v2, v18, v44
	v_lshlrev_b32_e32 v2, 1, v2
	ds_write_b16 v2, v23
	s_or_b64 exec, exec, s[12:13]
	s_and_saveexec_b64 s[10:11], s[8:9]
	s_cbranch_execz .LBB2082_236
.LBB2082_299:
	v_sub_u32_e32 v2, v17, v44
	v_lshlrev_b32_e32 v2, 1, v2
	ds_write_b16_d16_hi v2, v23
	s_or_b64 exec, exec, s[10:11]
	s_and_saveexec_b64 s[8:9], s[6:7]
	s_cbranch_execz .LBB2082_237
.LBB2082_300:
	v_sub_u32_e32 v2, v16, v44
	v_lshlrev_b32_e32 v2, 1, v2
	ds_write_b16 v2, v24
	s_or_b64 exec, exec, s[8:9]
	s_and_saveexec_b64 s[6:7], s[4:5]
	s_cbranch_execnz .LBB2082_238
	s_branch .LBB2082_239
.LBB2082_301:
	v_sub_u32_e32 v12, v92, v8
	v_mov_b32_e32 v13, 0
	v_lshlrev_b64 v[12:13], 3, v[12:13]
	v_add_co_u32_e32 v12, vcc, v6, v12
	v_addc_co_u32_e32 v13, vcc, v7, v13, vcc
	global_store_dwordx2 v[12:13], v[70:71], off
	s_or_b64 exec, exec, s[36:37]
	s_and_saveexec_b64 s[36:37], s[26:27]
	s_cbranch_execz .LBB2082_243
.LBB2082_302:
	v_sub_u32_e32 v12, v31, v8
	v_mov_b32_e32 v13, 0
	v_lshlrev_b64 v[12:13], 3, v[12:13]
	v_add_co_u32_e32 v12, vcc, v6, v12
	v_addc_co_u32_e32 v13, vcc, v7, v13, vcc
	global_store_dwordx2 v[12:13], v[46:47], off
	s_or_b64 exec, exec, s[36:37]
	s_and_saveexec_b64 s[36:37], s[24:25]
	s_cbranch_execz .LBB2082_244
.LBB2082_303:
	v_sub_u32_e32 v12, v30, v8
	v_mov_b32_e32 v13, 0
	v_lshlrev_b64 v[12:13], 3, v[12:13]
	v_add_co_u32_e32 v12, vcc, v6, v12
	v_addc_co_u32_e32 v13, vcc, v7, v13, vcc
	global_store_dwordx2 v[12:13], v[48:49], off
	s_or_b64 exec, exec, s[36:37]
	s_and_saveexec_b64 s[36:37], s[22:23]
	s_cbranch_execz .LBB2082_245
.LBB2082_304:
	v_sub_u32_e32 v12, v29, v8
	v_mov_b32_e32 v13, 0
	v_lshlrev_b64 v[12:13], 3, v[12:13]
	v_add_co_u32_e32 v12, vcc, v6, v12
	v_addc_co_u32_e32 v13, vcc, v7, v13, vcc
	global_store_dwordx2 v[12:13], v[50:51], off
	s_or_b64 exec, exec, s[36:37]
	s_and_saveexec_b64 s[36:37], s[20:21]
	s_cbranch_execz .LBB2082_246
.LBB2082_305:
	v_sub_u32_e32 v12, v28, v8
	v_mov_b32_e32 v13, 0
	v_lshlrev_b64 v[12:13], 3, v[12:13]
	v_add_co_u32_e32 v12, vcc, v6, v12
	v_addc_co_u32_e32 v13, vcc, v7, v13, vcc
	global_store_dwordx2 v[12:13], v[52:53], off
	s_or_b64 exec, exec, s[36:37]
	s_and_saveexec_b64 s[36:37], s[18:19]
	s_cbranch_execz .LBB2082_247
.LBB2082_306:
	v_sub_u32_e32 v12, v27, v8
	v_mov_b32_e32 v13, 0
	v_lshlrev_b64 v[12:13], 3, v[12:13]
	v_add_co_u32_e32 v12, vcc, v6, v12
	v_addc_co_u32_e32 v13, vcc, v7, v13, vcc
	global_store_dwordx2 v[12:13], v[54:55], off
	s_or_b64 exec, exec, s[36:37]
	s_and_saveexec_b64 s[36:37], s[16:17]
	s_cbranch_execz .LBB2082_248
.LBB2082_307:
	v_sub_u32_e32 v12, v26, v8
	v_mov_b32_e32 v13, 0
	v_lshlrev_b64 v[12:13], 3, v[12:13]
	v_add_co_u32_e32 v12, vcc, v6, v12
	v_addc_co_u32_e32 v13, vcc, v7, v13, vcc
	global_store_dwordx2 v[12:13], v[56:57], off
	s_or_b64 exec, exec, s[36:37]
	s_and_saveexec_b64 s[36:37], s[14:15]
	s_cbranch_execz .LBB2082_249
.LBB2082_308:
	v_sub_u32_e32 v12, v21, v8
	v_mov_b32_e32 v13, 0
	v_lshlrev_b64 v[12:13], 3, v[12:13]
	v_add_co_u32_e32 v12, vcc, v6, v12
	v_addc_co_u32_e32 v13, vcc, v7, v13, vcc
	global_store_dwordx2 v[12:13], v[58:59], off
	s_or_b64 exec, exec, s[36:37]
	s_and_saveexec_b64 s[36:37], s[12:13]
	s_cbranch_execz .LBB2082_250
.LBB2082_309:
	v_sub_u32_e32 v12, v20, v8
	v_mov_b32_e32 v13, 0
	v_lshlrev_b64 v[12:13], 3, v[12:13]
	v_add_co_u32_e32 v12, vcc, v6, v12
	v_addc_co_u32_e32 v13, vcc, v7, v13, vcc
	global_store_dwordx2 v[12:13], v[60:61], off
	s_or_b64 exec, exec, s[36:37]
	s_and_saveexec_b64 s[36:37], s[10:11]
	s_cbranch_execz .LBB2082_251
.LBB2082_310:
	v_sub_u32_e32 v12, v19, v8
	v_mov_b32_e32 v13, 0
	v_lshlrev_b64 v[12:13], 3, v[12:13]
	v_add_co_u32_e32 v12, vcc, v6, v12
	v_addc_co_u32_e32 v13, vcc, v7, v13, vcc
	global_store_dwordx2 v[12:13], v[62:63], off
	s_or_b64 exec, exec, s[36:37]
	s_and_saveexec_b64 s[36:37], s[8:9]
	s_cbranch_execz .LBB2082_252
.LBB2082_311:
	v_sub_u32_e32 v12, v18, v8
	v_mov_b32_e32 v13, 0
	v_lshlrev_b64 v[12:13], 3, v[12:13]
	v_add_co_u32_e32 v12, vcc, v6, v12
	v_addc_co_u32_e32 v13, vcc, v7, v13, vcc
	global_store_dwordx2 v[12:13], v[64:65], off
	s_or_b64 exec, exec, s[36:37]
	s_and_saveexec_b64 s[36:37], s[6:7]
	s_cbranch_execz .LBB2082_253
.LBB2082_312:
	v_sub_u32_e32 v12, v17, v8
	v_mov_b32_e32 v13, 0
	v_lshlrev_b64 v[12:13], 3, v[12:13]
	v_add_co_u32_e32 v12, vcc, v6, v12
	v_addc_co_u32_e32 v13, vcc, v7, v13, vcc
	global_store_dwordx2 v[12:13], v[66:67], off
	s_or_b64 exec, exec, s[36:37]
	s_and_saveexec_b64 s[36:37], s[4:5]
	s_cbranch_execz .LBB2082_254
.LBB2082_313:
	v_sub_u32_e32 v12, v16, v8
	v_mov_b32_e32 v13, 0
	v_lshlrev_b64 v[12:13], 3, v[12:13]
	v_add_co_u32_e32 v12, vcc, v6, v12
	v_addc_co_u32_e32 v13, vcc, v7, v13, vcc
	global_store_dwordx2 v[12:13], v[68:69], off
	s_or_b64 exec, exec, s[36:37]
	s_and_saveexec_b64 s[36:37], s[2:3]
	s_cbranch_execnz .LBB2082_255
	s_branch .LBB2082_256
.LBB2082_314:
	v_sub_u32_e32 v9, v92, v8
	v_lshlrev_b32_e32 v9, 3, v9
	ds_write_b64 v9, v[70:71]
	s_or_b64 exec, exec, s[36:37]
	s_and_saveexec_b64 s[28:29], s[26:27]
	s_cbranch_execz .LBB2082_260
.LBB2082_315:
	v_sub_u32_e32 v9, v31, v8
	v_lshlrev_b32_e32 v9, 3, v9
	ds_write_b64 v9, v[46:47]
	s_or_b64 exec, exec, s[28:29]
	s_and_saveexec_b64 s[26:27], s[24:25]
	s_cbranch_execz .LBB2082_261
.LBB2082_316:
	v_sub_u32_e32 v9, v30, v8
	v_lshlrev_b32_e32 v9, 3, v9
	ds_write_b64 v9, v[48:49]
	s_or_b64 exec, exec, s[26:27]
	s_and_saveexec_b64 s[24:25], s[22:23]
	s_cbranch_execz .LBB2082_262
.LBB2082_317:
	v_sub_u32_e32 v9, v29, v8
	v_lshlrev_b32_e32 v9, 3, v9
	ds_write_b64 v9, v[50:51]
	s_or_b64 exec, exec, s[24:25]
	s_and_saveexec_b64 s[22:23], s[20:21]
	s_cbranch_execz .LBB2082_263
.LBB2082_318:
	v_sub_u32_e32 v9, v28, v8
	v_lshlrev_b32_e32 v9, 3, v9
	ds_write_b64 v9, v[52:53]
	s_or_b64 exec, exec, s[22:23]
	s_and_saveexec_b64 s[20:21], s[18:19]
	s_cbranch_execz .LBB2082_264
.LBB2082_319:
	v_sub_u32_e32 v9, v27, v8
	v_lshlrev_b32_e32 v9, 3, v9
	ds_write_b64 v9, v[54:55]
	s_or_b64 exec, exec, s[20:21]
	s_and_saveexec_b64 s[18:19], s[16:17]
	s_cbranch_execz .LBB2082_265
.LBB2082_320:
	v_sub_u32_e32 v9, v26, v8
	v_lshlrev_b32_e32 v9, 3, v9
	ds_write_b64 v9, v[56:57]
	s_or_b64 exec, exec, s[18:19]
	s_and_saveexec_b64 s[16:17], s[14:15]
	s_cbranch_execz .LBB2082_266
.LBB2082_321:
	v_sub_u32_e32 v9, v21, v8
	v_lshlrev_b32_e32 v9, 3, v9
	ds_write_b64 v9, v[58:59]
	s_or_b64 exec, exec, s[16:17]
	s_and_saveexec_b64 s[14:15], s[12:13]
	s_cbranch_execz .LBB2082_267
.LBB2082_322:
	v_sub_u32_e32 v9, v20, v8
	v_lshlrev_b32_e32 v9, 3, v9
	ds_write_b64 v9, v[60:61]
	s_or_b64 exec, exec, s[14:15]
	s_and_saveexec_b64 s[12:13], s[10:11]
	s_cbranch_execz .LBB2082_268
.LBB2082_323:
	v_sub_u32_e32 v9, v19, v8
	v_lshlrev_b32_e32 v9, 3, v9
	ds_write_b64 v9, v[62:63]
	s_or_b64 exec, exec, s[12:13]
	s_and_saveexec_b64 s[10:11], s[8:9]
	s_cbranch_execz .LBB2082_269
.LBB2082_324:
	v_sub_u32_e32 v9, v18, v8
	v_lshlrev_b32_e32 v9, 3, v9
	ds_write_b64 v9, v[64:65]
	s_or_b64 exec, exec, s[10:11]
	s_and_saveexec_b64 s[8:9], s[6:7]
	s_cbranch_execz .LBB2082_270
.LBB2082_325:
	v_sub_u32_e32 v9, v17, v8
	v_lshlrev_b32_e32 v9, 3, v9
	ds_write_b64 v9, v[66:67]
	s_or_b64 exec, exec, s[8:9]
	s_and_saveexec_b64 s[6:7], s[4:5]
	s_cbranch_execz .LBB2082_271
.LBB2082_326:
	v_sub_u32_e32 v9, v16, v8
	v_lshlrev_b32_e32 v9, 3, v9
	ds_write_b64 v9, v[68:69]
	s_or_b64 exec, exec, s[6:7]
	s_and_saveexec_b64 s[4:5], s[2:3]
	s_cbranch_execnz .LBB2082_272
	s_branch .LBB2082_273
	.section	.rodata,"a",@progbits
	.p2align	6, 0x0
	.amdhsa_kernel _ZN7rocprim17ROCPRIM_400000_NS6detail17trampoline_kernelINS0_14default_configENS1_29reduce_by_key_config_selectorIN3c108BFloat16ElN6thrust23THRUST_200600_302600_NS4plusIlEEEEZZNS1_33reduce_by_key_impl_wrapped_configILNS1_25lookback_scan_determinismE0ES3_SB_PS6_NS8_17constant_iteratorIiNS8_11use_defaultESG_EENS8_10device_ptrIS6_EENSI_IlEEPmSA_NS8_8equal_toIS6_EEEE10hipError_tPvRmT2_T3_mT4_T5_T6_T7_T8_P12ihipStream_tbENKUlT_T0_E_clISt17integral_constantIbLb0EES14_IbLb1EEEEDaS10_S11_EUlS10_E_NS1_11comp_targetILNS1_3genE4ELNS1_11target_archE910ELNS1_3gpuE8ELNS1_3repE0EEENS1_30default_config_static_selectorELNS0_4arch9wavefront6targetE1EEEvT1_
		.amdhsa_group_segment_fixed_size 30720
		.amdhsa_private_segment_fixed_size 0
		.amdhsa_kernarg_size 144
		.amdhsa_user_sgpr_count 6
		.amdhsa_user_sgpr_private_segment_buffer 1
		.amdhsa_user_sgpr_dispatch_ptr 0
		.amdhsa_user_sgpr_queue_ptr 0
		.amdhsa_user_sgpr_kernarg_segment_ptr 1
		.amdhsa_user_sgpr_dispatch_id 0
		.amdhsa_user_sgpr_flat_scratch_init 0
		.amdhsa_user_sgpr_kernarg_preload_length 0
		.amdhsa_user_sgpr_kernarg_preload_offset 0
		.amdhsa_user_sgpr_private_segment_size 0
		.amdhsa_uses_dynamic_stack 0
		.amdhsa_system_sgpr_private_segment_wavefront_offset 0
		.amdhsa_system_sgpr_workgroup_id_x 1
		.amdhsa_system_sgpr_workgroup_id_y 0
		.amdhsa_system_sgpr_workgroup_id_z 0
		.amdhsa_system_sgpr_workgroup_info 0
		.amdhsa_system_vgpr_workitem_id 0
		.amdhsa_next_free_vgpr 127
		.amdhsa_next_free_sgpr 65
		.amdhsa_accum_offset 128
		.amdhsa_reserve_vcc 1
		.amdhsa_reserve_flat_scratch 0
		.amdhsa_float_round_mode_32 0
		.amdhsa_float_round_mode_16_64 0
		.amdhsa_float_denorm_mode_32 3
		.amdhsa_float_denorm_mode_16_64 3
		.amdhsa_dx10_clamp 1
		.amdhsa_ieee_mode 1
		.amdhsa_fp16_overflow 0
		.amdhsa_tg_split 0
		.amdhsa_exception_fp_ieee_invalid_op 0
		.amdhsa_exception_fp_denorm_src 0
		.amdhsa_exception_fp_ieee_div_zero 0
		.amdhsa_exception_fp_ieee_overflow 0
		.amdhsa_exception_fp_ieee_underflow 0
		.amdhsa_exception_fp_ieee_inexact 0
		.amdhsa_exception_int_div_zero 0
	.end_amdhsa_kernel
	.section	.text._ZN7rocprim17ROCPRIM_400000_NS6detail17trampoline_kernelINS0_14default_configENS1_29reduce_by_key_config_selectorIN3c108BFloat16ElN6thrust23THRUST_200600_302600_NS4plusIlEEEEZZNS1_33reduce_by_key_impl_wrapped_configILNS1_25lookback_scan_determinismE0ES3_SB_PS6_NS8_17constant_iteratorIiNS8_11use_defaultESG_EENS8_10device_ptrIS6_EENSI_IlEEPmSA_NS8_8equal_toIS6_EEEE10hipError_tPvRmT2_T3_mT4_T5_T6_T7_T8_P12ihipStream_tbENKUlT_T0_E_clISt17integral_constantIbLb0EES14_IbLb1EEEEDaS10_S11_EUlS10_E_NS1_11comp_targetILNS1_3genE4ELNS1_11target_archE910ELNS1_3gpuE8ELNS1_3repE0EEENS1_30default_config_static_selectorELNS0_4arch9wavefront6targetE1EEEvT1_,"axG",@progbits,_ZN7rocprim17ROCPRIM_400000_NS6detail17trampoline_kernelINS0_14default_configENS1_29reduce_by_key_config_selectorIN3c108BFloat16ElN6thrust23THRUST_200600_302600_NS4plusIlEEEEZZNS1_33reduce_by_key_impl_wrapped_configILNS1_25lookback_scan_determinismE0ES3_SB_PS6_NS8_17constant_iteratorIiNS8_11use_defaultESG_EENS8_10device_ptrIS6_EENSI_IlEEPmSA_NS8_8equal_toIS6_EEEE10hipError_tPvRmT2_T3_mT4_T5_T6_T7_T8_P12ihipStream_tbENKUlT_T0_E_clISt17integral_constantIbLb0EES14_IbLb1EEEEDaS10_S11_EUlS10_E_NS1_11comp_targetILNS1_3genE4ELNS1_11target_archE910ELNS1_3gpuE8ELNS1_3repE0EEENS1_30default_config_static_selectorELNS0_4arch9wavefront6targetE1EEEvT1_,comdat
.Lfunc_end2082:
	.size	_ZN7rocprim17ROCPRIM_400000_NS6detail17trampoline_kernelINS0_14default_configENS1_29reduce_by_key_config_selectorIN3c108BFloat16ElN6thrust23THRUST_200600_302600_NS4plusIlEEEEZZNS1_33reduce_by_key_impl_wrapped_configILNS1_25lookback_scan_determinismE0ES3_SB_PS6_NS8_17constant_iteratorIiNS8_11use_defaultESG_EENS8_10device_ptrIS6_EENSI_IlEEPmSA_NS8_8equal_toIS6_EEEE10hipError_tPvRmT2_T3_mT4_T5_T6_T7_T8_P12ihipStream_tbENKUlT_T0_E_clISt17integral_constantIbLb0EES14_IbLb1EEEEDaS10_S11_EUlS10_E_NS1_11comp_targetILNS1_3genE4ELNS1_11target_archE910ELNS1_3gpuE8ELNS1_3repE0EEENS1_30default_config_static_selectorELNS0_4arch9wavefront6targetE1EEEvT1_, .Lfunc_end2082-_ZN7rocprim17ROCPRIM_400000_NS6detail17trampoline_kernelINS0_14default_configENS1_29reduce_by_key_config_selectorIN3c108BFloat16ElN6thrust23THRUST_200600_302600_NS4plusIlEEEEZZNS1_33reduce_by_key_impl_wrapped_configILNS1_25lookback_scan_determinismE0ES3_SB_PS6_NS8_17constant_iteratorIiNS8_11use_defaultESG_EENS8_10device_ptrIS6_EENSI_IlEEPmSA_NS8_8equal_toIS6_EEEE10hipError_tPvRmT2_T3_mT4_T5_T6_T7_T8_P12ihipStream_tbENKUlT_T0_E_clISt17integral_constantIbLb0EES14_IbLb1EEEEDaS10_S11_EUlS10_E_NS1_11comp_targetILNS1_3genE4ELNS1_11target_archE910ELNS1_3gpuE8ELNS1_3repE0EEENS1_30default_config_static_selectorELNS0_4arch9wavefront6targetE1EEEvT1_
                                        ; -- End function
	.section	.AMDGPU.csdata,"",@progbits
; Kernel info:
; codeLenInByte = 17744
; NumSgprs: 69
; NumVgprs: 127
; NumAgprs: 0
; TotalNumVgprs: 127
; ScratchSize: 0
; MemoryBound: 0
; FloatMode: 240
; IeeeMode: 1
; LDSByteSize: 30720 bytes/workgroup (compile time only)
; SGPRBlocks: 8
; VGPRBlocks: 15
; NumSGPRsForWavesPerEU: 69
; NumVGPRsForWavesPerEU: 127
; AccumOffset: 128
; Occupancy: 2
; WaveLimiterHint : 1
; COMPUTE_PGM_RSRC2:SCRATCH_EN: 0
; COMPUTE_PGM_RSRC2:USER_SGPR: 6
; COMPUTE_PGM_RSRC2:TRAP_HANDLER: 0
; COMPUTE_PGM_RSRC2:TGID_X_EN: 1
; COMPUTE_PGM_RSRC2:TGID_Y_EN: 0
; COMPUTE_PGM_RSRC2:TGID_Z_EN: 0
; COMPUTE_PGM_RSRC2:TIDIG_COMP_CNT: 0
; COMPUTE_PGM_RSRC3_GFX90A:ACCUM_OFFSET: 31
; COMPUTE_PGM_RSRC3_GFX90A:TG_SPLIT: 0
	.section	.text._ZN7rocprim17ROCPRIM_400000_NS6detail17trampoline_kernelINS0_14default_configENS1_29reduce_by_key_config_selectorIN3c108BFloat16ElN6thrust23THRUST_200600_302600_NS4plusIlEEEEZZNS1_33reduce_by_key_impl_wrapped_configILNS1_25lookback_scan_determinismE0ES3_SB_PS6_NS8_17constant_iteratorIiNS8_11use_defaultESG_EENS8_10device_ptrIS6_EENSI_IlEEPmSA_NS8_8equal_toIS6_EEEE10hipError_tPvRmT2_T3_mT4_T5_T6_T7_T8_P12ihipStream_tbENKUlT_T0_E_clISt17integral_constantIbLb0EES14_IbLb1EEEEDaS10_S11_EUlS10_E_NS1_11comp_targetILNS1_3genE3ELNS1_11target_archE908ELNS1_3gpuE7ELNS1_3repE0EEENS1_30default_config_static_selectorELNS0_4arch9wavefront6targetE1EEEvT1_,"axG",@progbits,_ZN7rocprim17ROCPRIM_400000_NS6detail17trampoline_kernelINS0_14default_configENS1_29reduce_by_key_config_selectorIN3c108BFloat16ElN6thrust23THRUST_200600_302600_NS4plusIlEEEEZZNS1_33reduce_by_key_impl_wrapped_configILNS1_25lookback_scan_determinismE0ES3_SB_PS6_NS8_17constant_iteratorIiNS8_11use_defaultESG_EENS8_10device_ptrIS6_EENSI_IlEEPmSA_NS8_8equal_toIS6_EEEE10hipError_tPvRmT2_T3_mT4_T5_T6_T7_T8_P12ihipStream_tbENKUlT_T0_E_clISt17integral_constantIbLb0EES14_IbLb1EEEEDaS10_S11_EUlS10_E_NS1_11comp_targetILNS1_3genE3ELNS1_11target_archE908ELNS1_3gpuE7ELNS1_3repE0EEENS1_30default_config_static_selectorELNS0_4arch9wavefront6targetE1EEEvT1_,comdat
	.protected	_ZN7rocprim17ROCPRIM_400000_NS6detail17trampoline_kernelINS0_14default_configENS1_29reduce_by_key_config_selectorIN3c108BFloat16ElN6thrust23THRUST_200600_302600_NS4plusIlEEEEZZNS1_33reduce_by_key_impl_wrapped_configILNS1_25lookback_scan_determinismE0ES3_SB_PS6_NS8_17constant_iteratorIiNS8_11use_defaultESG_EENS8_10device_ptrIS6_EENSI_IlEEPmSA_NS8_8equal_toIS6_EEEE10hipError_tPvRmT2_T3_mT4_T5_T6_T7_T8_P12ihipStream_tbENKUlT_T0_E_clISt17integral_constantIbLb0EES14_IbLb1EEEEDaS10_S11_EUlS10_E_NS1_11comp_targetILNS1_3genE3ELNS1_11target_archE908ELNS1_3gpuE7ELNS1_3repE0EEENS1_30default_config_static_selectorELNS0_4arch9wavefront6targetE1EEEvT1_ ; -- Begin function _ZN7rocprim17ROCPRIM_400000_NS6detail17trampoline_kernelINS0_14default_configENS1_29reduce_by_key_config_selectorIN3c108BFloat16ElN6thrust23THRUST_200600_302600_NS4plusIlEEEEZZNS1_33reduce_by_key_impl_wrapped_configILNS1_25lookback_scan_determinismE0ES3_SB_PS6_NS8_17constant_iteratorIiNS8_11use_defaultESG_EENS8_10device_ptrIS6_EENSI_IlEEPmSA_NS8_8equal_toIS6_EEEE10hipError_tPvRmT2_T3_mT4_T5_T6_T7_T8_P12ihipStream_tbENKUlT_T0_E_clISt17integral_constantIbLb0EES14_IbLb1EEEEDaS10_S11_EUlS10_E_NS1_11comp_targetILNS1_3genE3ELNS1_11target_archE908ELNS1_3gpuE7ELNS1_3repE0EEENS1_30default_config_static_selectorELNS0_4arch9wavefront6targetE1EEEvT1_
	.globl	_ZN7rocprim17ROCPRIM_400000_NS6detail17trampoline_kernelINS0_14default_configENS1_29reduce_by_key_config_selectorIN3c108BFloat16ElN6thrust23THRUST_200600_302600_NS4plusIlEEEEZZNS1_33reduce_by_key_impl_wrapped_configILNS1_25lookback_scan_determinismE0ES3_SB_PS6_NS8_17constant_iteratorIiNS8_11use_defaultESG_EENS8_10device_ptrIS6_EENSI_IlEEPmSA_NS8_8equal_toIS6_EEEE10hipError_tPvRmT2_T3_mT4_T5_T6_T7_T8_P12ihipStream_tbENKUlT_T0_E_clISt17integral_constantIbLb0EES14_IbLb1EEEEDaS10_S11_EUlS10_E_NS1_11comp_targetILNS1_3genE3ELNS1_11target_archE908ELNS1_3gpuE7ELNS1_3repE0EEENS1_30default_config_static_selectorELNS0_4arch9wavefront6targetE1EEEvT1_
	.p2align	8
	.type	_ZN7rocprim17ROCPRIM_400000_NS6detail17trampoline_kernelINS0_14default_configENS1_29reduce_by_key_config_selectorIN3c108BFloat16ElN6thrust23THRUST_200600_302600_NS4plusIlEEEEZZNS1_33reduce_by_key_impl_wrapped_configILNS1_25lookback_scan_determinismE0ES3_SB_PS6_NS8_17constant_iteratorIiNS8_11use_defaultESG_EENS8_10device_ptrIS6_EENSI_IlEEPmSA_NS8_8equal_toIS6_EEEE10hipError_tPvRmT2_T3_mT4_T5_T6_T7_T8_P12ihipStream_tbENKUlT_T0_E_clISt17integral_constantIbLb0EES14_IbLb1EEEEDaS10_S11_EUlS10_E_NS1_11comp_targetILNS1_3genE3ELNS1_11target_archE908ELNS1_3gpuE7ELNS1_3repE0EEENS1_30default_config_static_selectorELNS0_4arch9wavefront6targetE1EEEvT1_,@function
_ZN7rocprim17ROCPRIM_400000_NS6detail17trampoline_kernelINS0_14default_configENS1_29reduce_by_key_config_selectorIN3c108BFloat16ElN6thrust23THRUST_200600_302600_NS4plusIlEEEEZZNS1_33reduce_by_key_impl_wrapped_configILNS1_25lookback_scan_determinismE0ES3_SB_PS6_NS8_17constant_iteratorIiNS8_11use_defaultESG_EENS8_10device_ptrIS6_EENSI_IlEEPmSA_NS8_8equal_toIS6_EEEE10hipError_tPvRmT2_T3_mT4_T5_T6_T7_T8_P12ihipStream_tbENKUlT_T0_E_clISt17integral_constantIbLb0EES14_IbLb1EEEEDaS10_S11_EUlS10_E_NS1_11comp_targetILNS1_3genE3ELNS1_11target_archE908ELNS1_3gpuE7ELNS1_3repE0EEENS1_30default_config_static_selectorELNS0_4arch9wavefront6targetE1EEEvT1_: ; @_ZN7rocprim17ROCPRIM_400000_NS6detail17trampoline_kernelINS0_14default_configENS1_29reduce_by_key_config_selectorIN3c108BFloat16ElN6thrust23THRUST_200600_302600_NS4plusIlEEEEZZNS1_33reduce_by_key_impl_wrapped_configILNS1_25lookback_scan_determinismE0ES3_SB_PS6_NS8_17constant_iteratorIiNS8_11use_defaultESG_EENS8_10device_ptrIS6_EENSI_IlEEPmSA_NS8_8equal_toIS6_EEEE10hipError_tPvRmT2_T3_mT4_T5_T6_T7_T8_P12ihipStream_tbENKUlT_T0_E_clISt17integral_constantIbLb0EES14_IbLb1EEEEDaS10_S11_EUlS10_E_NS1_11comp_targetILNS1_3genE3ELNS1_11target_archE908ELNS1_3gpuE7ELNS1_3repE0EEENS1_30default_config_static_selectorELNS0_4arch9wavefront6targetE1EEEvT1_
; %bb.0:
	.section	.rodata,"a",@progbits
	.p2align	6, 0x0
	.amdhsa_kernel _ZN7rocprim17ROCPRIM_400000_NS6detail17trampoline_kernelINS0_14default_configENS1_29reduce_by_key_config_selectorIN3c108BFloat16ElN6thrust23THRUST_200600_302600_NS4plusIlEEEEZZNS1_33reduce_by_key_impl_wrapped_configILNS1_25lookback_scan_determinismE0ES3_SB_PS6_NS8_17constant_iteratorIiNS8_11use_defaultESG_EENS8_10device_ptrIS6_EENSI_IlEEPmSA_NS8_8equal_toIS6_EEEE10hipError_tPvRmT2_T3_mT4_T5_T6_T7_T8_P12ihipStream_tbENKUlT_T0_E_clISt17integral_constantIbLb0EES14_IbLb1EEEEDaS10_S11_EUlS10_E_NS1_11comp_targetILNS1_3genE3ELNS1_11target_archE908ELNS1_3gpuE7ELNS1_3repE0EEENS1_30default_config_static_selectorELNS0_4arch9wavefront6targetE1EEEvT1_
		.amdhsa_group_segment_fixed_size 0
		.amdhsa_private_segment_fixed_size 0
		.amdhsa_kernarg_size 144
		.amdhsa_user_sgpr_count 6
		.amdhsa_user_sgpr_private_segment_buffer 1
		.amdhsa_user_sgpr_dispatch_ptr 0
		.amdhsa_user_sgpr_queue_ptr 0
		.amdhsa_user_sgpr_kernarg_segment_ptr 1
		.amdhsa_user_sgpr_dispatch_id 0
		.amdhsa_user_sgpr_flat_scratch_init 0
		.amdhsa_user_sgpr_kernarg_preload_length 0
		.amdhsa_user_sgpr_kernarg_preload_offset 0
		.amdhsa_user_sgpr_private_segment_size 0
		.amdhsa_uses_dynamic_stack 0
		.amdhsa_system_sgpr_private_segment_wavefront_offset 0
		.amdhsa_system_sgpr_workgroup_id_x 1
		.amdhsa_system_sgpr_workgroup_id_y 0
		.amdhsa_system_sgpr_workgroup_id_z 0
		.amdhsa_system_sgpr_workgroup_info 0
		.amdhsa_system_vgpr_workitem_id 0
		.amdhsa_next_free_vgpr 1
		.amdhsa_next_free_sgpr 0
		.amdhsa_accum_offset 4
		.amdhsa_reserve_vcc 0
		.amdhsa_reserve_flat_scratch 0
		.amdhsa_float_round_mode_32 0
		.amdhsa_float_round_mode_16_64 0
		.amdhsa_float_denorm_mode_32 3
		.amdhsa_float_denorm_mode_16_64 3
		.amdhsa_dx10_clamp 1
		.amdhsa_ieee_mode 1
		.amdhsa_fp16_overflow 0
		.amdhsa_tg_split 0
		.amdhsa_exception_fp_ieee_invalid_op 0
		.amdhsa_exception_fp_denorm_src 0
		.amdhsa_exception_fp_ieee_div_zero 0
		.amdhsa_exception_fp_ieee_overflow 0
		.amdhsa_exception_fp_ieee_underflow 0
		.amdhsa_exception_fp_ieee_inexact 0
		.amdhsa_exception_int_div_zero 0
	.end_amdhsa_kernel
	.section	.text._ZN7rocprim17ROCPRIM_400000_NS6detail17trampoline_kernelINS0_14default_configENS1_29reduce_by_key_config_selectorIN3c108BFloat16ElN6thrust23THRUST_200600_302600_NS4plusIlEEEEZZNS1_33reduce_by_key_impl_wrapped_configILNS1_25lookback_scan_determinismE0ES3_SB_PS6_NS8_17constant_iteratorIiNS8_11use_defaultESG_EENS8_10device_ptrIS6_EENSI_IlEEPmSA_NS8_8equal_toIS6_EEEE10hipError_tPvRmT2_T3_mT4_T5_T6_T7_T8_P12ihipStream_tbENKUlT_T0_E_clISt17integral_constantIbLb0EES14_IbLb1EEEEDaS10_S11_EUlS10_E_NS1_11comp_targetILNS1_3genE3ELNS1_11target_archE908ELNS1_3gpuE7ELNS1_3repE0EEENS1_30default_config_static_selectorELNS0_4arch9wavefront6targetE1EEEvT1_,"axG",@progbits,_ZN7rocprim17ROCPRIM_400000_NS6detail17trampoline_kernelINS0_14default_configENS1_29reduce_by_key_config_selectorIN3c108BFloat16ElN6thrust23THRUST_200600_302600_NS4plusIlEEEEZZNS1_33reduce_by_key_impl_wrapped_configILNS1_25lookback_scan_determinismE0ES3_SB_PS6_NS8_17constant_iteratorIiNS8_11use_defaultESG_EENS8_10device_ptrIS6_EENSI_IlEEPmSA_NS8_8equal_toIS6_EEEE10hipError_tPvRmT2_T3_mT4_T5_T6_T7_T8_P12ihipStream_tbENKUlT_T0_E_clISt17integral_constantIbLb0EES14_IbLb1EEEEDaS10_S11_EUlS10_E_NS1_11comp_targetILNS1_3genE3ELNS1_11target_archE908ELNS1_3gpuE7ELNS1_3repE0EEENS1_30default_config_static_selectorELNS0_4arch9wavefront6targetE1EEEvT1_,comdat
.Lfunc_end2083:
	.size	_ZN7rocprim17ROCPRIM_400000_NS6detail17trampoline_kernelINS0_14default_configENS1_29reduce_by_key_config_selectorIN3c108BFloat16ElN6thrust23THRUST_200600_302600_NS4plusIlEEEEZZNS1_33reduce_by_key_impl_wrapped_configILNS1_25lookback_scan_determinismE0ES3_SB_PS6_NS8_17constant_iteratorIiNS8_11use_defaultESG_EENS8_10device_ptrIS6_EENSI_IlEEPmSA_NS8_8equal_toIS6_EEEE10hipError_tPvRmT2_T3_mT4_T5_T6_T7_T8_P12ihipStream_tbENKUlT_T0_E_clISt17integral_constantIbLb0EES14_IbLb1EEEEDaS10_S11_EUlS10_E_NS1_11comp_targetILNS1_3genE3ELNS1_11target_archE908ELNS1_3gpuE7ELNS1_3repE0EEENS1_30default_config_static_selectorELNS0_4arch9wavefront6targetE1EEEvT1_, .Lfunc_end2083-_ZN7rocprim17ROCPRIM_400000_NS6detail17trampoline_kernelINS0_14default_configENS1_29reduce_by_key_config_selectorIN3c108BFloat16ElN6thrust23THRUST_200600_302600_NS4plusIlEEEEZZNS1_33reduce_by_key_impl_wrapped_configILNS1_25lookback_scan_determinismE0ES3_SB_PS6_NS8_17constant_iteratorIiNS8_11use_defaultESG_EENS8_10device_ptrIS6_EENSI_IlEEPmSA_NS8_8equal_toIS6_EEEE10hipError_tPvRmT2_T3_mT4_T5_T6_T7_T8_P12ihipStream_tbENKUlT_T0_E_clISt17integral_constantIbLb0EES14_IbLb1EEEEDaS10_S11_EUlS10_E_NS1_11comp_targetILNS1_3genE3ELNS1_11target_archE908ELNS1_3gpuE7ELNS1_3repE0EEENS1_30default_config_static_selectorELNS0_4arch9wavefront6targetE1EEEvT1_
                                        ; -- End function
	.section	.AMDGPU.csdata,"",@progbits
; Kernel info:
; codeLenInByte = 0
; NumSgprs: 4
; NumVgprs: 0
; NumAgprs: 0
; TotalNumVgprs: 0
; ScratchSize: 0
; MemoryBound: 0
; FloatMode: 240
; IeeeMode: 1
; LDSByteSize: 0 bytes/workgroup (compile time only)
; SGPRBlocks: 0
; VGPRBlocks: 0
; NumSGPRsForWavesPerEU: 4
; NumVGPRsForWavesPerEU: 1
; AccumOffset: 4
; Occupancy: 8
; WaveLimiterHint : 0
; COMPUTE_PGM_RSRC2:SCRATCH_EN: 0
; COMPUTE_PGM_RSRC2:USER_SGPR: 6
; COMPUTE_PGM_RSRC2:TRAP_HANDLER: 0
; COMPUTE_PGM_RSRC2:TGID_X_EN: 1
; COMPUTE_PGM_RSRC2:TGID_Y_EN: 0
; COMPUTE_PGM_RSRC2:TGID_Z_EN: 0
; COMPUTE_PGM_RSRC2:TIDIG_COMP_CNT: 0
; COMPUTE_PGM_RSRC3_GFX90A:ACCUM_OFFSET: 0
; COMPUTE_PGM_RSRC3_GFX90A:TG_SPLIT: 0
	.section	.text._ZN7rocprim17ROCPRIM_400000_NS6detail17trampoline_kernelINS0_14default_configENS1_29reduce_by_key_config_selectorIN3c108BFloat16ElN6thrust23THRUST_200600_302600_NS4plusIlEEEEZZNS1_33reduce_by_key_impl_wrapped_configILNS1_25lookback_scan_determinismE0ES3_SB_PS6_NS8_17constant_iteratorIiNS8_11use_defaultESG_EENS8_10device_ptrIS6_EENSI_IlEEPmSA_NS8_8equal_toIS6_EEEE10hipError_tPvRmT2_T3_mT4_T5_T6_T7_T8_P12ihipStream_tbENKUlT_T0_E_clISt17integral_constantIbLb0EES14_IbLb1EEEEDaS10_S11_EUlS10_E_NS1_11comp_targetILNS1_3genE2ELNS1_11target_archE906ELNS1_3gpuE6ELNS1_3repE0EEENS1_30default_config_static_selectorELNS0_4arch9wavefront6targetE1EEEvT1_,"axG",@progbits,_ZN7rocprim17ROCPRIM_400000_NS6detail17trampoline_kernelINS0_14default_configENS1_29reduce_by_key_config_selectorIN3c108BFloat16ElN6thrust23THRUST_200600_302600_NS4plusIlEEEEZZNS1_33reduce_by_key_impl_wrapped_configILNS1_25lookback_scan_determinismE0ES3_SB_PS6_NS8_17constant_iteratorIiNS8_11use_defaultESG_EENS8_10device_ptrIS6_EENSI_IlEEPmSA_NS8_8equal_toIS6_EEEE10hipError_tPvRmT2_T3_mT4_T5_T6_T7_T8_P12ihipStream_tbENKUlT_T0_E_clISt17integral_constantIbLb0EES14_IbLb1EEEEDaS10_S11_EUlS10_E_NS1_11comp_targetILNS1_3genE2ELNS1_11target_archE906ELNS1_3gpuE6ELNS1_3repE0EEENS1_30default_config_static_selectorELNS0_4arch9wavefront6targetE1EEEvT1_,comdat
	.protected	_ZN7rocprim17ROCPRIM_400000_NS6detail17trampoline_kernelINS0_14default_configENS1_29reduce_by_key_config_selectorIN3c108BFloat16ElN6thrust23THRUST_200600_302600_NS4plusIlEEEEZZNS1_33reduce_by_key_impl_wrapped_configILNS1_25lookback_scan_determinismE0ES3_SB_PS6_NS8_17constant_iteratorIiNS8_11use_defaultESG_EENS8_10device_ptrIS6_EENSI_IlEEPmSA_NS8_8equal_toIS6_EEEE10hipError_tPvRmT2_T3_mT4_T5_T6_T7_T8_P12ihipStream_tbENKUlT_T0_E_clISt17integral_constantIbLb0EES14_IbLb1EEEEDaS10_S11_EUlS10_E_NS1_11comp_targetILNS1_3genE2ELNS1_11target_archE906ELNS1_3gpuE6ELNS1_3repE0EEENS1_30default_config_static_selectorELNS0_4arch9wavefront6targetE1EEEvT1_ ; -- Begin function _ZN7rocprim17ROCPRIM_400000_NS6detail17trampoline_kernelINS0_14default_configENS1_29reduce_by_key_config_selectorIN3c108BFloat16ElN6thrust23THRUST_200600_302600_NS4plusIlEEEEZZNS1_33reduce_by_key_impl_wrapped_configILNS1_25lookback_scan_determinismE0ES3_SB_PS6_NS8_17constant_iteratorIiNS8_11use_defaultESG_EENS8_10device_ptrIS6_EENSI_IlEEPmSA_NS8_8equal_toIS6_EEEE10hipError_tPvRmT2_T3_mT4_T5_T6_T7_T8_P12ihipStream_tbENKUlT_T0_E_clISt17integral_constantIbLb0EES14_IbLb1EEEEDaS10_S11_EUlS10_E_NS1_11comp_targetILNS1_3genE2ELNS1_11target_archE906ELNS1_3gpuE6ELNS1_3repE0EEENS1_30default_config_static_selectorELNS0_4arch9wavefront6targetE1EEEvT1_
	.globl	_ZN7rocprim17ROCPRIM_400000_NS6detail17trampoline_kernelINS0_14default_configENS1_29reduce_by_key_config_selectorIN3c108BFloat16ElN6thrust23THRUST_200600_302600_NS4plusIlEEEEZZNS1_33reduce_by_key_impl_wrapped_configILNS1_25lookback_scan_determinismE0ES3_SB_PS6_NS8_17constant_iteratorIiNS8_11use_defaultESG_EENS8_10device_ptrIS6_EENSI_IlEEPmSA_NS8_8equal_toIS6_EEEE10hipError_tPvRmT2_T3_mT4_T5_T6_T7_T8_P12ihipStream_tbENKUlT_T0_E_clISt17integral_constantIbLb0EES14_IbLb1EEEEDaS10_S11_EUlS10_E_NS1_11comp_targetILNS1_3genE2ELNS1_11target_archE906ELNS1_3gpuE6ELNS1_3repE0EEENS1_30default_config_static_selectorELNS0_4arch9wavefront6targetE1EEEvT1_
	.p2align	8
	.type	_ZN7rocprim17ROCPRIM_400000_NS6detail17trampoline_kernelINS0_14default_configENS1_29reduce_by_key_config_selectorIN3c108BFloat16ElN6thrust23THRUST_200600_302600_NS4plusIlEEEEZZNS1_33reduce_by_key_impl_wrapped_configILNS1_25lookback_scan_determinismE0ES3_SB_PS6_NS8_17constant_iteratorIiNS8_11use_defaultESG_EENS8_10device_ptrIS6_EENSI_IlEEPmSA_NS8_8equal_toIS6_EEEE10hipError_tPvRmT2_T3_mT4_T5_T6_T7_T8_P12ihipStream_tbENKUlT_T0_E_clISt17integral_constantIbLb0EES14_IbLb1EEEEDaS10_S11_EUlS10_E_NS1_11comp_targetILNS1_3genE2ELNS1_11target_archE906ELNS1_3gpuE6ELNS1_3repE0EEENS1_30default_config_static_selectorELNS0_4arch9wavefront6targetE1EEEvT1_,@function
_ZN7rocprim17ROCPRIM_400000_NS6detail17trampoline_kernelINS0_14default_configENS1_29reduce_by_key_config_selectorIN3c108BFloat16ElN6thrust23THRUST_200600_302600_NS4plusIlEEEEZZNS1_33reduce_by_key_impl_wrapped_configILNS1_25lookback_scan_determinismE0ES3_SB_PS6_NS8_17constant_iteratorIiNS8_11use_defaultESG_EENS8_10device_ptrIS6_EENSI_IlEEPmSA_NS8_8equal_toIS6_EEEE10hipError_tPvRmT2_T3_mT4_T5_T6_T7_T8_P12ihipStream_tbENKUlT_T0_E_clISt17integral_constantIbLb0EES14_IbLb1EEEEDaS10_S11_EUlS10_E_NS1_11comp_targetILNS1_3genE2ELNS1_11target_archE906ELNS1_3gpuE6ELNS1_3repE0EEENS1_30default_config_static_selectorELNS0_4arch9wavefront6targetE1EEEvT1_: ; @_ZN7rocprim17ROCPRIM_400000_NS6detail17trampoline_kernelINS0_14default_configENS1_29reduce_by_key_config_selectorIN3c108BFloat16ElN6thrust23THRUST_200600_302600_NS4plusIlEEEEZZNS1_33reduce_by_key_impl_wrapped_configILNS1_25lookback_scan_determinismE0ES3_SB_PS6_NS8_17constant_iteratorIiNS8_11use_defaultESG_EENS8_10device_ptrIS6_EENSI_IlEEPmSA_NS8_8equal_toIS6_EEEE10hipError_tPvRmT2_T3_mT4_T5_T6_T7_T8_P12ihipStream_tbENKUlT_T0_E_clISt17integral_constantIbLb0EES14_IbLb1EEEEDaS10_S11_EUlS10_E_NS1_11comp_targetILNS1_3genE2ELNS1_11target_archE906ELNS1_3gpuE6ELNS1_3repE0EEENS1_30default_config_static_selectorELNS0_4arch9wavefront6targetE1EEEvT1_
; %bb.0:
	.section	.rodata,"a",@progbits
	.p2align	6, 0x0
	.amdhsa_kernel _ZN7rocprim17ROCPRIM_400000_NS6detail17trampoline_kernelINS0_14default_configENS1_29reduce_by_key_config_selectorIN3c108BFloat16ElN6thrust23THRUST_200600_302600_NS4plusIlEEEEZZNS1_33reduce_by_key_impl_wrapped_configILNS1_25lookback_scan_determinismE0ES3_SB_PS6_NS8_17constant_iteratorIiNS8_11use_defaultESG_EENS8_10device_ptrIS6_EENSI_IlEEPmSA_NS8_8equal_toIS6_EEEE10hipError_tPvRmT2_T3_mT4_T5_T6_T7_T8_P12ihipStream_tbENKUlT_T0_E_clISt17integral_constantIbLb0EES14_IbLb1EEEEDaS10_S11_EUlS10_E_NS1_11comp_targetILNS1_3genE2ELNS1_11target_archE906ELNS1_3gpuE6ELNS1_3repE0EEENS1_30default_config_static_selectorELNS0_4arch9wavefront6targetE1EEEvT1_
		.amdhsa_group_segment_fixed_size 0
		.amdhsa_private_segment_fixed_size 0
		.amdhsa_kernarg_size 144
		.amdhsa_user_sgpr_count 6
		.amdhsa_user_sgpr_private_segment_buffer 1
		.amdhsa_user_sgpr_dispatch_ptr 0
		.amdhsa_user_sgpr_queue_ptr 0
		.amdhsa_user_sgpr_kernarg_segment_ptr 1
		.amdhsa_user_sgpr_dispatch_id 0
		.amdhsa_user_sgpr_flat_scratch_init 0
		.amdhsa_user_sgpr_kernarg_preload_length 0
		.amdhsa_user_sgpr_kernarg_preload_offset 0
		.amdhsa_user_sgpr_private_segment_size 0
		.amdhsa_uses_dynamic_stack 0
		.amdhsa_system_sgpr_private_segment_wavefront_offset 0
		.amdhsa_system_sgpr_workgroup_id_x 1
		.amdhsa_system_sgpr_workgroup_id_y 0
		.amdhsa_system_sgpr_workgroup_id_z 0
		.amdhsa_system_sgpr_workgroup_info 0
		.amdhsa_system_vgpr_workitem_id 0
		.amdhsa_next_free_vgpr 1
		.amdhsa_next_free_sgpr 0
		.amdhsa_accum_offset 4
		.amdhsa_reserve_vcc 0
		.amdhsa_reserve_flat_scratch 0
		.amdhsa_float_round_mode_32 0
		.amdhsa_float_round_mode_16_64 0
		.amdhsa_float_denorm_mode_32 3
		.amdhsa_float_denorm_mode_16_64 3
		.amdhsa_dx10_clamp 1
		.amdhsa_ieee_mode 1
		.amdhsa_fp16_overflow 0
		.amdhsa_tg_split 0
		.amdhsa_exception_fp_ieee_invalid_op 0
		.amdhsa_exception_fp_denorm_src 0
		.amdhsa_exception_fp_ieee_div_zero 0
		.amdhsa_exception_fp_ieee_overflow 0
		.amdhsa_exception_fp_ieee_underflow 0
		.amdhsa_exception_fp_ieee_inexact 0
		.amdhsa_exception_int_div_zero 0
	.end_amdhsa_kernel
	.section	.text._ZN7rocprim17ROCPRIM_400000_NS6detail17trampoline_kernelINS0_14default_configENS1_29reduce_by_key_config_selectorIN3c108BFloat16ElN6thrust23THRUST_200600_302600_NS4plusIlEEEEZZNS1_33reduce_by_key_impl_wrapped_configILNS1_25lookback_scan_determinismE0ES3_SB_PS6_NS8_17constant_iteratorIiNS8_11use_defaultESG_EENS8_10device_ptrIS6_EENSI_IlEEPmSA_NS8_8equal_toIS6_EEEE10hipError_tPvRmT2_T3_mT4_T5_T6_T7_T8_P12ihipStream_tbENKUlT_T0_E_clISt17integral_constantIbLb0EES14_IbLb1EEEEDaS10_S11_EUlS10_E_NS1_11comp_targetILNS1_3genE2ELNS1_11target_archE906ELNS1_3gpuE6ELNS1_3repE0EEENS1_30default_config_static_selectorELNS0_4arch9wavefront6targetE1EEEvT1_,"axG",@progbits,_ZN7rocprim17ROCPRIM_400000_NS6detail17trampoline_kernelINS0_14default_configENS1_29reduce_by_key_config_selectorIN3c108BFloat16ElN6thrust23THRUST_200600_302600_NS4plusIlEEEEZZNS1_33reduce_by_key_impl_wrapped_configILNS1_25lookback_scan_determinismE0ES3_SB_PS6_NS8_17constant_iteratorIiNS8_11use_defaultESG_EENS8_10device_ptrIS6_EENSI_IlEEPmSA_NS8_8equal_toIS6_EEEE10hipError_tPvRmT2_T3_mT4_T5_T6_T7_T8_P12ihipStream_tbENKUlT_T0_E_clISt17integral_constantIbLb0EES14_IbLb1EEEEDaS10_S11_EUlS10_E_NS1_11comp_targetILNS1_3genE2ELNS1_11target_archE906ELNS1_3gpuE6ELNS1_3repE0EEENS1_30default_config_static_selectorELNS0_4arch9wavefront6targetE1EEEvT1_,comdat
.Lfunc_end2084:
	.size	_ZN7rocprim17ROCPRIM_400000_NS6detail17trampoline_kernelINS0_14default_configENS1_29reduce_by_key_config_selectorIN3c108BFloat16ElN6thrust23THRUST_200600_302600_NS4plusIlEEEEZZNS1_33reduce_by_key_impl_wrapped_configILNS1_25lookback_scan_determinismE0ES3_SB_PS6_NS8_17constant_iteratorIiNS8_11use_defaultESG_EENS8_10device_ptrIS6_EENSI_IlEEPmSA_NS8_8equal_toIS6_EEEE10hipError_tPvRmT2_T3_mT4_T5_T6_T7_T8_P12ihipStream_tbENKUlT_T0_E_clISt17integral_constantIbLb0EES14_IbLb1EEEEDaS10_S11_EUlS10_E_NS1_11comp_targetILNS1_3genE2ELNS1_11target_archE906ELNS1_3gpuE6ELNS1_3repE0EEENS1_30default_config_static_selectorELNS0_4arch9wavefront6targetE1EEEvT1_, .Lfunc_end2084-_ZN7rocprim17ROCPRIM_400000_NS6detail17trampoline_kernelINS0_14default_configENS1_29reduce_by_key_config_selectorIN3c108BFloat16ElN6thrust23THRUST_200600_302600_NS4plusIlEEEEZZNS1_33reduce_by_key_impl_wrapped_configILNS1_25lookback_scan_determinismE0ES3_SB_PS6_NS8_17constant_iteratorIiNS8_11use_defaultESG_EENS8_10device_ptrIS6_EENSI_IlEEPmSA_NS8_8equal_toIS6_EEEE10hipError_tPvRmT2_T3_mT4_T5_T6_T7_T8_P12ihipStream_tbENKUlT_T0_E_clISt17integral_constantIbLb0EES14_IbLb1EEEEDaS10_S11_EUlS10_E_NS1_11comp_targetILNS1_3genE2ELNS1_11target_archE906ELNS1_3gpuE6ELNS1_3repE0EEENS1_30default_config_static_selectorELNS0_4arch9wavefront6targetE1EEEvT1_
                                        ; -- End function
	.section	.AMDGPU.csdata,"",@progbits
; Kernel info:
; codeLenInByte = 0
; NumSgprs: 4
; NumVgprs: 0
; NumAgprs: 0
; TotalNumVgprs: 0
; ScratchSize: 0
; MemoryBound: 0
; FloatMode: 240
; IeeeMode: 1
; LDSByteSize: 0 bytes/workgroup (compile time only)
; SGPRBlocks: 0
; VGPRBlocks: 0
; NumSGPRsForWavesPerEU: 4
; NumVGPRsForWavesPerEU: 1
; AccumOffset: 4
; Occupancy: 8
; WaveLimiterHint : 0
; COMPUTE_PGM_RSRC2:SCRATCH_EN: 0
; COMPUTE_PGM_RSRC2:USER_SGPR: 6
; COMPUTE_PGM_RSRC2:TRAP_HANDLER: 0
; COMPUTE_PGM_RSRC2:TGID_X_EN: 1
; COMPUTE_PGM_RSRC2:TGID_Y_EN: 0
; COMPUTE_PGM_RSRC2:TGID_Z_EN: 0
; COMPUTE_PGM_RSRC2:TIDIG_COMP_CNT: 0
; COMPUTE_PGM_RSRC3_GFX90A:ACCUM_OFFSET: 0
; COMPUTE_PGM_RSRC3_GFX90A:TG_SPLIT: 0
	.section	.text._ZN7rocprim17ROCPRIM_400000_NS6detail17trampoline_kernelINS0_14default_configENS1_29reduce_by_key_config_selectorIN3c108BFloat16ElN6thrust23THRUST_200600_302600_NS4plusIlEEEEZZNS1_33reduce_by_key_impl_wrapped_configILNS1_25lookback_scan_determinismE0ES3_SB_PS6_NS8_17constant_iteratorIiNS8_11use_defaultESG_EENS8_10device_ptrIS6_EENSI_IlEEPmSA_NS8_8equal_toIS6_EEEE10hipError_tPvRmT2_T3_mT4_T5_T6_T7_T8_P12ihipStream_tbENKUlT_T0_E_clISt17integral_constantIbLb0EES14_IbLb1EEEEDaS10_S11_EUlS10_E_NS1_11comp_targetILNS1_3genE10ELNS1_11target_archE1201ELNS1_3gpuE5ELNS1_3repE0EEENS1_30default_config_static_selectorELNS0_4arch9wavefront6targetE1EEEvT1_,"axG",@progbits,_ZN7rocprim17ROCPRIM_400000_NS6detail17trampoline_kernelINS0_14default_configENS1_29reduce_by_key_config_selectorIN3c108BFloat16ElN6thrust23THRUST_200600_302600_NS4plusIlEEEEZZNS1_33reduce_by_key_impl_wrapped_configILNS1_25lookback_scan_determinismE0ES3_SB_PS6_NS8_17constant_iteratorIiNS8_11use_defaultESG_EENS8_10device_ptrIS6_EENSI_IlEEPmSA_NS8_8equal_toIS6_EEEE10hipError_tPvRmT2_T3_mT4_T5_T6_T7_T8_P12ihipStream_tbENKUlT_T0_E_clISt17integral_constantIbLb0EES14_IbLb1EEEEDaS10_S11_EUlS10_E_NS1_11comp_targetILNS1_3genE10ELNS1_11target_archE1201ELNS1_3gpuE5ELNS1_3repE0EEENS1_30default_config_static_selectorELNS0_4arch9wavefront6targetE1EEEvT1_,comdat
	.protected	_ZN7rocprim17ROCPRIM_400000_NS6detail17trampoline_kernelINS0_14default_configENS1_29reduce_by_key_config_selectorIN3c108BFloat16ElN6thrust23THRUST_200600_302600_NS4plusIlEEEEZZNS1_33reduce_by_key_impl_wrapped_configILNS1_25lookback_scan_determinismE0ES3_SB_PS6_NS8_17constant_iteratorIiNS8_11use_defaultESG_EENS8_10device_ptrIS6_EENSI_IlEEPmSA_NS8_8equal_toIS6_EEEE10hipError_tPvRmT2_T3_mT4_T5_T6_T7_T8_P12ihipStream_tbENKUlT_T0_E_clISt17integral_constantIbLb0EES14_IbLb1EEEEDaS10_S11_EUlS10_E_NS1_11comp_targetILNS1_3genE10ELNS1_11target_archE1201ELNS1_3gpuE5ELNS1_3repE0EEENS1_30default_config_static_selectorELNS0_4arch9wavefront6targetE1EEEvT1_ ; -- Begin function _ZN7rocprim17ROCPRIM_400000_NS6detail17trampoline_kernelINS0_14default_configENS1_29reduce_by_key_config_selectorIN3c108BFloat16ElN6thrust23THRUST_200600_302600_NS4plusIlEEEEZZNS1_33reduce_by_key_impl_wrapped_configILNS1_25lookback_scan_determinismE0ES3_SB_PS6_NS8_17constant_iteratorIiNS8_11use_defaultESG_EENS8_10device_ptrIS6_EENSI_IlEEPmSA_NS8_8equal_toIS6_EEEE10hipError_tPvRmT2_T3_mT4_T5_T6_T7_T8_P12ihipStream_tbENKUlT_T0_E_clISt17integral_constantIbLb0EES14_IbLb1EEEEDaS10_S11_EUlS10_E_NS1_11comp_targetILNS1_3genE10ELNS1_11target_archE1201ELNS1_3gpuE5ELNS1_3repE0EEENS1_30default_config_static_selectorELNS0_4arch9wavefront6targetE1EEEvT1_
	.globl	_ZN7rocprim17ROCPRIM_400000_NS6detail17trampoline_kernelINS0_14default_configENS1_29reduce_by_key_config_selectorIN3c108BFloat16ElN6thrust23THRUST_200600_302600_NS4plusIlEEEEZZNS1_33reduce_by_key_impl_wrapped_configILNS1_25lookback_scan_determinismE0ES3_SB_PS6_NS8_17constant_iteratorIiNS8_11use_defaultESG_EENS8_10device_ptrIS6_EENSI_IlEEPmSA_NS8_8equal_toIS6_EEEE10hipError_tPvRmT2_T3_mT4_T5_T6_T7_T8_P12ihipStream_tbENKUlT_T0_E_clISt17integral_constantIbLb0EES14_IbLb1EEEEDaS10_S11_EUlS10_E_NS1_11comp_targetILNS1_3genE10ELNS1_11target_archE1201ELNS1_3gpuE5ELNS1_3repE0EEENS1_30default_config_static_selectorELNS0_4arch9wavefront6targetE1EEEvT1_
	.p2align	8
	.type	_ZN7rocprim17ROCPRIM_400000_NS6detail17trampoline_kernelINS0_14default_configENS1_29reduce_by_key_config_selectorIN3c108BFloat16ElN6thrust23THRUST_200600_302600_NS4plusIlEEEEZZNS1_33reduce_by_key_impl_wrapped_configILNS1_25lookback_scan_determinismE0ES3_SB_PS6_NS8_17constant_iteratorIiNS8_11use_defaultESG_EENS8_10device_ptrIS6_EENSI_IlEEPmSA_NS8_8equal_toIS6_EEEE10hipError_tPvRmT2_T3_mT4_T5_T6_T7_T8_P12ihipStream_tbENKUlT_T0_E_clISt17integral_constantIbLb0EES14_IbLb1EEEEDaS10_S11_EUlS10_E_NS1_11comp_targetILNS1_3genE10ELNS1_11target_archE1201ELNS1_3gpuE5ELNS1_3repE0EEENS1_30default_config_static_selectorELNS0_4arch9wavefront6targetE1EEEvT1_,@function
_ZN7rocprim17ROCPRIM_400000_NS6detail17trampoline_kernelINS0_14default_configENS1_29reduce_by_key_config_selectorIN3c108BFloat16ElN6thrust23THRUST_200600_302600_NS4plusIlEEEEZZNS1_33reduce_by_key_impl_wrapped_configILNS1_25lookback_scan_determinismE0ES3_SB_PS6_NS8_17constant_iteratorIiNS8_11use_defaultESG_EENS8_10device_ptrIS6_EENSI_IlEEPmSA_NS8_8equal_toIS6_EEEE10hipError_tPvRmT2_T3_mT4_T5_T6_T7_T8_P12ihipStream_tbENKUlT_T0_E_clISt17integral_constantIbLb0EES14_IbLb1EEEEDaS10_S11_EUlS10_E_NS1_11comp_targetILNS1_3genE10ELNS1_11target_archE1201ELNS1_3gpuE5ELNS1_3repE0EEENS1_30default_config_static_selectorELNS0_4arch9wavefront6targetE1EEEvT1_: ; @_ZN7rocprim17ROCPRIM_400000_NS6detail17trampoline_kernelINS0_14default_configENS1_29reduce_by_key_config_selectorIN3c108BFloat16ElN6thrust23THRUST_200600_302600_NS4plusIlEEEEZZNS1_33reduce_by_key_impl_wrapped_configILNS1_25lookback_scan_determinismE0ES3_SB_PS6_NS8_17constant_iteratorIiNS8_11use_defaultESG_EENS8_10device_ptrIS6_EENSI_IlEEPmSA_NS8_8equal_toIS6_EEEE10hipError_tPvRmT2_T3_mT4_T5_T6_T7_T8_P12ihipStream_tbENKUlT_T0_E_clISt17integral_constantIbLb0EES14_IbLb1EEEEDaS10_S11_EUlS10_E_NS1_11comp_targetILNS1_3genE10ELNS1_11target_archE1201ELNS1_3gpuE5ELNS1_3repE0EEENS1_30default_config_static_selectorELNS0_4arch9wavefront6targetE1EEEvT1_
; %bb.0:
	.section	.rodata,"a",@progbits
	.p2align	6, 0x0
	.amdhsa_kernel _ZN7rocprim17ROCPRIM_400000_NS6detail17trampoline_kernelINS0_14default_configENS1_29reduce_by_key_config_selectorIN3c108BFloat16ElN6thrust23THRUST_200600_302600_NS4plusIlEEEEZZNS1_33reduce_by_key_impl_wrapped_configILNS1_25lookback_scan_determinismE0ES3_SB_PS6_NS8_17constant_iteratorIiNS8_11use_defaultESG_EENS8_10device_ptrIS6_EENSI_IlEEPmSA_NS8_8equal_toIS6_EEEE10hipError_tPvRmT2_T3_mT4_T5_T6_T7_T8_P12ihipStream_tbENKUlT_T0_E_clISt17integral_constantIbLb0EES14_IbLb1EEEEDaS10_S11_EUlS10_E_NS1_11comp_targetILNS1_3genE10ELNS1_11target_archE1201ELNS1_3gpuE5ELNS1_3repE0EEENS1_30default_config_static_selectorELNS0_4arch9wavefront6targetE1EEEvT1_
		.amdhsa_group_segment_fixed_size 0
		.amdhsa_private_segment_fixed_size 0
		.amdhsa_kernarg_size 144
		.amdhsa_user_sgpr_count 6
		.amdhsa_user_sgpr_private_segment_buffer 1
		.amdhsa_user_sgpr_dispatch_ptr 0
		.amdhsa_user_sgpr_queue_ptr 0
		.amdhsa_user_sgpr_kernarg_segment_ptr 1
		.amdhsa_user_sgpr_dispatch_id 0
		.amdhsa_user_sgpr_flat_scratch_init 0
		.amdhsa_user_sgpr_kernarg_preload_length 0
		.amdhsa_user_sgpr_kernarg_preload_offset 0
		.amdhsa_user_sgpr_private_segment_size 0
		.amdhsa_uses_dynamic_stack 0
		.amdhsa_system_sgpr_private_segment_wavefront_offset 0
		.amdhsa_system_sgpr_workgroup_id_x 1
		.amdhsa_system_sgpr_workgroup_id_y 0
		.amdhsa_system_sgpr_workgroup_id_z 0
		.amdhsa_system_sgpr_workgroup_info 0
		.amdhsa_system_vgpr_workitem_id 0
		.amdhsa_next_free_vgpr 1
		.amdhsa_next_free_sgpr 0
		.amdhsa_accum_offset 4
		.amdhsa_reserve_vcc 0
		.amdhsa_reserve_flat_scratch 0
		.amdhsa_float_round_mode_32 0
		.amdhsa_float_round_mode_16_64 0
		.amdhsa_float_denorm_mode_32 3
		.amdhsa_float_denorm_mode_16_64 3
		.amdhsa_dx10_clamp 1
		.amdhsa_ieee_mode 1
		.amdhsa_fp16_overflow 0
		.amdhsa_tg_split 0
		.amdhsa_exception_fp_ieee_invalid_op 0
		.amdhsa_exception_fp_denorm_src 0
		.amdhsa_exception_fp_ieee_div_zero 0
		.amdhsa_exception_fp_ieee_overflow 0
		.amdhsa_exception_fp_ieee_underflow 0
		.amdhsa_exception_fp_ieee_inexact 0
		.amdhsa_exception_int_div_zero 0
	.end_amdhsa_kernel
	.section	.text._ZN7rocprim17ROCPRIM_400000_NS6detail17trampoline_kernelINS0_14default_configENS1_29reduce_by_key_config_selectorIN3c108BFloat16ElN6thrust23THRUST_200600_302600_NS4plusIlEEEEZZNS1_33reduce_by_key_impl_wrapped_configILNS1_25lookback_scan_determinismE0ES3_SB_PS6_NS8_17constant_iteratorIiNS8_11use_defaultESG_EENS8_10device_ptrIS6_EENSI_IlEEPmSA_NS8_8equal_toIS6_EEEE10hipError_tPvRmT2_T3_mT4_T5_T6_T7_T8_P12ihipStream_tbENKUlT_T0_E_clISt17integral_constantIbLb0EES14_IbLb1EEEEDaS10_S11_EUlS10_E_NS1_11comp_targetILNS1_3genE10ELNS1_11target_archE1201ELNS1_3gpuE5ELNS1_3repE0EEENS1_30default_config_static_selectorELNS0_4arch9wavefront6targetE1EEEvT1_,"axG",@progbits,_ZN7rocprim17ROCPRIM_400000_NS6detail17trampoline_kernelINS0_14default_configENS1_29reduce_by_key_config_selectorIN3c108BFloat16ElN6thrust23THRUST_200600_302600_NS4plusIlEEEEZZNS1_33reduce_by_key_impl_wrapped_configILNS1_25lookback_scan_determinismE0ES3_SB_PS6_NS8_17constant_iteratorIiNS8_11use_defaultESG_EENS8_10device_ptrIS6_EENSI_IlEEPmSA_NS8_8equal_toIS6_EEEE10hipError_tPvRmT2_T3_mT4_T5_T6_T7_T8_P12ihipStream_tbENKUlT_T0_E_clISt17integral_constantIbLb0EES14_IbLb1EEEEDaS10_S11_EUlS10_E_NS1_11comp_targetILNS1_3genE10ELNS1_11target_archE1201ELNS1_3gpuE5ELNS1_3repE0EEENS1_30default_config_static_selectorELNS0_4arch9wavefront6targetE1EEEvT1_,comdat
.Lfunc_end2085:
	.size	_ZN7rocprim17ROCPRIM_400000_NS6detail17trampoline_kernelINS0_14default_configENS1_29reduce_by_key_config_selectorIN3c108BFloat16ElN6thrust23THRUST_200600_302600_NS4plusIlEEEEZZNS1_33reduce_by_key_impl_wrapped_configILNS1_25lookback_scan_determinismE0ES3_SB_PS6_NS8_17constant_iteratorIiNS8_11use_defaultESG_EENS8_10device_ptrIS6_EENSI_IlEEPmSA_NS8_8equal_toIS6_EEEE10hipError_tPvRmT2_T3_mT4_T5_T6_T7_T8_P12ihipStream_tbENKUlT_T0_E_clISt17integral_constantIbLb0EES14_IbLb1EEEEDaS10_S11_EUlS10_E_NS1_11comp_targetILNS1_3genE10ELNS1_11target_archE1201ELNS1_3gpuE5ELNS1_3repE0EEENS1_30default_config_static_selectorELNS0_4arch9wavefront6targetE1EEEvT1_, .Lfunc_end2085-_ZN7rocprim17ROCPRIM_400000_NS6detail17trampoline_kernelINS0_14default_configENS1_29reduce_by_key_config_selectorIN3c108BFloat16ElN6thrust23THRUST_200600_302600_NS4plusIlEEEEZZNS1_33reduce_by_key_impl_wrapped_configILNS1_25lookback_scan_determinismE0ES3_SB_PS6_NS8_17constant_iteratorIiNS8_11use_defaultESG_EENS8_10device_ptrIS6_EENSI_IlEEPmSA_NS8_8equal_toIS6_EEEE10hipError_tPvRmT2_T3_mT4_T5_T6_T7_T8_P12ihipStream_tbENKUlT_T0_E_clISt17integral_constantIbLb0EES14_IbLb1EEEEDaS10_S11_EUlS10_E_NS1_11comp_targetILNS1_3genE10ELNS1_11target_archE1201ELNS1_3gpuE5ELNS1_3repE0EEENS1_30default_config_static_selectorELNS0_4arch9wavefront6targetE1EEEvT1_
                                        ; -- End function
	.section	.AMDGPU.csdata,"",@progbits
; Kernel info:
; codeLenInByte = 0
; NumSgprs: 4
; NumVgprs: 0
; NumAgprs: 0
; TotalNumVgprs: 0
; ScratchSize: 0
; MemoryBound: 0
; FloatMode: 240
; IeeeMode: 1
; LDSByteSize: 0 bytes/workgroup (compile time only)
; SGPRBlocks: 0
; VGPRBlocks: 0
; NumSGPRsForWavesPerEU: 4
; NumVGPRsForWavesPerEU: 1
; AccumOffset: 4
; Occupancy: 8
; WaveLimiterHint : 0
; COMPUTE_PGM_RSRC2:SCRATCH_EN: 0
; COMPUTE_PGM_RSRC2:USER_SGPR: 6
; COMPUTE_PGM_RSRC2:TRAP_HANDLER: 0
; COMPUTE_PGM_RSRC2:TGID_X_EN: 1
; COMPUTE_PGM_RSRC2:TGID_Y_EN: 0
; COMPUTE_PGM_RSRC2:TGID_Z_EN: 0
; COMPUTE_PGM_RSRC2:TIDIG_COMP_CNT: 0
; COMPUTE_PGM_RSRC3_GFX90A:ACCUM_OFFSET: 0
; COMPUTE_PGM_RSRC3_GFX90A:TG_SPLIT: 0
	.section	.text._ZN7rocprim17ROCPRIM_400000_NS6detail17trampoline_kernelINS0_14default_configENS1_29reduce_by_key_config_selectorIN3c108BFloat16ElN6thrust23THRUST_200600_302600_NS4plusIlEEEEZZNS1_33reduce_by_key_impl_wrapped_configILNS1_25lookback_scan_determinismE0ES3_SB_PS6_NS8_17constant_iteratorIiNS8_11use_defaultESG_EENS8_10device_ptrIS6_EENSI_IlEEPmSA_NS8_8equal_toIS6_EEEE10hipError_tPvRmT2_T3_mT4_T5_T6_T7_T8_P12ihipStream_tbENKUlT_T0_E_clISt17integral_constantIbLb0EES14_IbLb1EEEEDaS10_S11_EUlS10_E_NS1_11comp_targetILNS1_3genE10ELNS1_11target_archE1200ELNS1_3gpuE4ELNS1_3repE0EEENS1_30default_config_static_selectorELNS0_4arch9wavefront6targetE1EEEvT1_,"axG",@progbits,_ZN7rocprim17ROCPRIM_400000_NS6detail17trampoline_kernelINS0_14default_configENS1_29reduce_by_key_config_selectorIN3c108BFloat16ElN6thrust23THRUST_200600_302600_NS4plusIlEEEEZZNS1_33reduce_by_key_impl_wrapped_configILNS1_25lookback_scan_determinismE0ES3_SB_PS6_NS8_17constant_iteratorIiNS8_11use_defaultESG_EENS8_10device_ptrIS6_EENSI_IlEEPmSA_NS8_8equal_toIS6_EEEE10hipError_tPvRmT2_T3_mT4_T5_T6_T7_T8_P12ihipStream_tbENKUlT_T0_E_clISt17integral_constantIbLb0EES14_IbLb1EEEEDaS10_S11_EUlS10_E_NS1_11comp_targetILNS1_3genE10ELNS1_11target_archE1200ELNS1_3gpuE4ELNS1_3repE0EEENS1_30default_config_static_selectorELNS0_4arch9wavefront6targetE1EEEvT1_,comdat
	.protected	_ZN7rocprim17ROCPRIM_400000_NS6detail17trampoline_kernelINS0_14default_configENS1_29reduce_by_key_config_selectorIN3c108BFloat16ElN6thrust23THRUST_200600_302600_NS4plusIlEEEEZZNS1_33reduce_by_key_impl_wrapped_configILNS1_25lookback_scan_determinismE0ES3_SB_PS6_NS8_17constant_iteratorIiNS8_11use_defaultESG_EENS8_10device_ptrIS6_EENSI_IlEEPmSA_NS8_8equal_toIS6_EEEE10hipError_tPvRmT2_T3_mT4_T5_T6_T7_T8_P12ihipStream_tbENKUlT_T0_E_clISt17integral_constantIbLb0EES14_IbLb1EEEEDaS10_S11_EUlS10_E_NS1_11comp_targetILNS1_3genE10ELNS1_11target_archE1200ELNS1_3gpuE4ELNS1_3repE0EEENS1_30default_config_static_selectorELNS0_4arch9wavefront6targetE1EEEvT1_ ; -- Begin function _ZN7rocprim17ROCPRIM_400000_NS6detail17trampoline_kernelINS0_14default_configENS1_29reduce_by_key_config_selectorIN3c108BFloat16ElN6thrust23THRUST_200600_302600_NS4plusIlEEEEZZNS1_33reduce_by_key_impl_wrapped_configILNS1_25lookback_scan_determinismE0ES3_SB_PS6_NS8_17constant_iteratorIiNS8_11use_defaultESG_EENS8_10device_ptrIS6_EENSI_IlEEPmSA_NS8_8equal_toIS6_EEEE10hipError_tPvRmT2_T3_mT4_T5_T6_T7_T8_P12ihipStream_tbENKUlT_T0_E_clISt17integral_constantIbLb0EES14_IbLb1EEEEDaS10_S11_EUlS10_E_NS1_11comp_targetILNS1_3genE10ELNS1_11target_archE1200ELNS1_3gpuE4ELNS1_3repE0EEENS1_30default_config_static_selectorELNS0_4arch9wavefront6targetE1EEEvT1_
	.globl	_ZN7rocprim17ROCPRIM_400000_NS6detail17trampoline_kernelINS0_14default_configENS1_29reduce_by_key_config_selectorIN3c108BFloat16ElN6thrust23THRUST_200600_302600_NS4plusIlEEEEZZNS1_33reduce_by_key_impl_wrapped_configILNS1_25lookback_scan_determinismE0ES3_SB_PS6_NS8_17constant_iteratorIiNS8_11use_defaultESG_EENS8_10device_ptrIS6_EENSI_IlEEPmSA_NS8_8equal_toIS6_EEEE10hipError_tPvRmT2_T3_mT4_T5_T6_T7_T8_P12ihipStream_tbENKUlT_T0_E_clISt17integral_constantIbLb0EES14_IbLb1EEEEDaS10_S11_EUlS10_E_NS1_11comp_targetILNS1_3genE10ELNS1_11target_archE1200ELNS1_3gpuE4ELNS1_3repE0EEENS1_30default_config_static_selectorELNS0_4arch9wavefront6targetE1EEEvT1_
	.p2align	8
	.type	_ZN7rocprim17ROCPRIM_400000_NS6detail17trampoline_kernelINS0_14default_configENS1_29reduce_by_key_config_selectorIN3c108BFloat16ElN6thrust23THRUST_200600_302600_NS4plusIlEEEEZZNS1_33reduce_by_key_impl_wrapped_configILNS1_25lookback_scan_determinismE0ES3_SB_PS6_NS8_17constant_iteratorIiNS8_11use_defaultESG_EENS8_10device_ptrIS6_EENSI_IlEEPmSA_NS8_8equal_toIS6_EEEE10hipError_tPvRmT2_T3_mT4_T5_T6_T7_T8_P12ihipStream_tbENKUlT_T0_E_clISt17integral_constantIbLb0EES14_IbLb1EEEEDaS10_S11_EUlS10_E_NS1_11comp_targetILNS1_3genE10ELNS1_11target_archE1200ELNS1_3gpuE4ELNS1_3repE0EEENS1_30default_config_static_selectorELNS0_4arch9wavefront6targetE1EEEvT1_,@function
_ZN7rocprim17ROCPRIM_400000_NS6detail17trampoline_kernelINS0_14default_configENS1_29reduce_by_key_config_selectorIN3c108BFloat16ElN6thrust23THRUST_200600_302600_NS4plusIlEEEEZZNS1_33reduce_by_key_impl_wrapped_configILNS1_25lookback_scan_determinismE0ES3_SB_PS6_NS8_17constant_iteratorIiNS8_11use_defaultESG_EENS8_10device_ptrIS6_EENSI_IlEEPmSA_NS8_8equal_toIS6_EEEE10hipError_tPvRmT2_T3_mT4_T5_T6_T7_T8_P12ihipStream_tbENKUlT_T0_E_clISt17integral_constantIbLb0EES14_IbLb1EEEEDaS10_S11_EUlS10_E_NS1_11comp_targetILNS1_3genE10ELNS1_11target_archE1200ELNS1_3gpuE4ELNS1_3repE0EEENS1_30default_config_static_selectorELNS0_4arch9wavefront6targetE1EEEvT1_: ; @_ZN7rocprim17ROCPRIM_400000_NS6detail17trampoline_kernelINS0_14default_configENS1_29reduce_by_key_config_selectorIN3c108BFloat16ElN6thrust23THRUST_200600_302600_NS4plusIlEEEEZZNS1_33reduce_by_key_impl_wrapped_configILNS1_25lookback_scan_determinismE0ES3_SB_PS6_NS8_17constant_iteratorIiNS8_11use_defaultESG_EENS8_10device_ptrIS6_EENSI_IlEEPmSA_NS8_8equal_toIS6_EEEE10hipError_tPvRmT2_T3_mT4_T5_T6_T7_T8_P12ihipStream_tbENKUlT_T0_E_clISt17integral_constantIbLb0EES14_IbLb1EEEEDaS10_S11_EUlS10_E_NS1_11comp_targetILNS1_3genE10ELNS1_11target_archE1200ELNS1_3gpuE4ELNS1_3repE0EEENS1_30default_config_static_selectorELNS0_4arch9wavefront6targetE1EEEvT1_
; %bb.0:
	.section	.rodata,"a",@progbits
	.p2align	6, 0x0
	.amdhsa_kernel _ZN7rocprim17ROCPRIM_400000_NS6detail17trampoline_kernelINS0_14default_configENS1_29reduce_by_key_config_selectorIN3c108BFloat16ElN6thrust23THRUST_200600_302600_NS4plusIlEEEEZZNS1_33reduce_by_key_impl_wrapped_configILNS1_25lookback_scan_determinismE0ES3_SB_PS6_NS8_17constant_iteratorIiNS8_11use_defaultESG_EENS8_10device_ptrIS6_EENSI_IlEEPmSA_NS8_8equal_toIS6_EEEE10hipError_tPvRmT2_T3_mT4_T5_T6_T7_T8_P12ihipStream_tbENKUlT_T0_E_clISt17integral_constantIbLb0EES14_IbLb1EEEEDaS10_S11_EUlS10_E_NS1_11comp_targetILNS1_3genE10ELNS1_11target_archE1200ELNS1_3gpuE4ELNS1_3repE0EEENS1_30default_config_static_selectorELNS0_4arch9wavefront6targetE1EEEvT1_
		.amdhsa_group_segment_fixed_size 0
		.amdhsa_private_segment_fixed_size 0
		.amdhsa_kernarg_size 144
		.amdhsa_user_sgpr_count 6
		.amdhsa_user_sgpr_private_segment_buffer 1
		.amdhsa_user_sgpr_dispatch_ptr 0
		.amdhsa_user_sgpr_queue_ptr 0
		.amdhsa_user_sgpr_kernarg_segment_ptr 1
		.amdhsa_user_sgpr_dispatch_id 0
		.amdhsa_user_sgpr_flat_scratch_init 0
		.amdhsa_user_sgpr_kernarg_preload_length 0
		.amdhsa_user_sgpr_kernarg_preload_offset 0
		.amdhsa_user_sgpr_private_segment_size 0
		.amdhsa_uses_dynamic_stack 0
		.amdhsa_system_sgpr_private_segment_wavefront_offset 0
		.amdhsa_system_sgpr_workgroup_id_x 1
		.amdhsa_system_sgpr_workgroup_id_y 0
		.amdhsa_system_sgpr_workgroup_id_z 0
		.amdhsa_system_sgpr_workgroup_info 0
		.amdhsa_system_vgpr_workitem_id 0
		.amdhsa_next_free_vgpr 1
		.amdhsa_next_free_sgpr 0
		.amdhsa_accum_offset 4
		.amdhsa_reserve_vcc 0
		.amdhsa_reserve_flat_scratch 0
		.amdhsa_float_round_mode_32 0
		.amdhsa_float_round_mode_16_64 0
		.amdhsa_float_denorm_mode_32 3
		.amdhsa_float_denorm_mode_16_64 3
		.amdhsa_dx10_clamp 1
		.amdhsa_ieee_mode 1
		.amdhsa_fp16_overflow 0
		.amdhsa_tg_split 0
		.amdhsa_exception_fp_ieee_invalid_op 0
		.amdhsa_exception_fp_denorm_src 0
		.amdhsa_exception_fp_ieee_div_zero 0
		.amdhsa_exception_fp_ieee_overflow 0
		.amdhsa_exception_fp_ieee_underflow 0
		.amdhsa_exception_fp_ieee_inexact 0
		.amdhsa_exception_int_div_zero 0
	.end_amdhsa_kernel
	.section	.text._ZN7rocprim17ROCPRIM_400000_NS6detail17trampoline_kernelINS0_14default_configENS1_29reduce_by_key_config_selectorIN3c108BFloat16ElN6thrust23THRUST_200600_302600_NS4plusIlEEEEZZNS1_33reduce_by_key_impl_wrapped_configILNS1_25lookback_scan_determinismE0ES3_SB_PS6_NS8_17constant_iteratorIiNS8_11use_defaultESG_EENS8_10device_ptrIS6_EENSI_IlEEPmSA_NS8_8equal_toIS6_EEEE10hipError_tPvRmT2_T3_mT4_T5_T6_T7_T8_P12ihipStream_tbENKUlT_T0_E_clISt17integral_constantIbLb0EES14_IbLb1EEEEDaS10_S11_EUlS10_E_NS1_11comp_targetILNS1_3genE10ELNS1_11target_archE1200ELNS1_3gpuE4ELNS1_3repE0EEENS1_30default_config_static_selectorELNS0_4arch9wavefront6targetE1EEEvT1_,"axG",@progbits,_ZN7rocprim17ROCPRIM_400000_NS6detail17trampoline_kernelINS0_14default_configENS1_29reduce_by_key_config_selectorIN3c108BFloat16ElN6thrust23THRUST_200600_302600_NS4plusIlEEEEZZNS1_33reduce_by_key_impl_wrapped_configILNS1_25lookback_scan_determinismE0ES3_SB_PS6_NS8_17constant_iteratorIiNS8_11use_defaultESG_EENS8_10device_ptrIS6_EENSI_IlEEPmSA_NS8_8equal_toIS6_EEEE10hipError_tPvRmT2_T3_mT4_T5_T6_T7_T8_P12ihipStream_tbENKUlT_T0_E_clISt17integral_constantIbLb0EES14_IbLb1EEEEDaS10_S11_EUlS10_E_NS1_11comp_targetILNS1_3genE10ELNS1_11target_archE1200ELNS1_3gpuE4ELNS1_3repE0EEENS1_30default_config_static_selectorELNS0_4arch9wavefront6targetE1EEEvT1_,comdat
.Lfunc_end2086:
	.size	_ZN7rocprim17ROCPRIM_400000_NS6detail17trampoline_kernelINS0_14default_configENS1_29reduce_by_key_config_selectorIN3c108BFloat16ElN6thrust23THRUST_200600_302600_NS4plusIlEEEEZZNS1_33reduce_by_key_impl_wrapped_configILNS1_25lookback_scan_determinismE0ES3_SB_PS6_NS8_17constant_iteratorIiNS8_11use_defaultESG_EENS8_10device_ptrIS6_EENSI_IlEEPmSA_NS8_8equal_toIS6_EEEE10hipError_tPvRmT2_T3_mT4_T5_T6_T7_T8_P12ihipStream_tbENKUlT_T0_E_clISt17integral_constantIbLb0EES14_IbLb1EEEEDaS10_S11_EUlS10_E_NS1_11comp_targetILNS1_3genE10ELNS1_11target_archE1200ELNS1_3gpuE4ELNS1_3repE0EEENS1_30default_config_static_selectorELNS0_4arch9wavefront6targetE1EEEvT1_, .Lfunc_end2086-_ZN7rocprim17ROCPRIM_400000_NS6detail17trampoline_kernelINS0_14default_configENS1_29reduce_by_key_config_selectorIN3c108BFloat16ElN6thrust23THRUST_200600_302600_NS4plusIlEEEEZZNS1_33reduce_by_key_impl_wrapped_configILNS1_25lookback_scan_determinismE0ES3_SB_PS6_NS8_17constant_iteratorIiNS8_11use_defaultESG_EENS8_10device_ptrIS6_EENSI_IlEEPmSA_NS8_8equal_toIS6_EEEE10hipError_tPvRmT2_T3_mT4_T5_T6_T7_T8_P12ihipStream_tbENKUlT_T0_E_clISt17integral_constantIbLb0EES14_IbLb1EEEEDaS10_S11_EUlS10_E_NS1_11comp_targetILNS1_3genE10ELNS1_11target_archE1200ELNS1_3gpuE4ELNS1_3repE0EEENS1_30default_config_static_selectorELNS0_4arch9wavefront6targetE1EEEvT1_
                                        ; -- End function
	.section	.AMDGPU.csdata,"",@progbits
; Kernel info:
; codeLenInByte = 0
; NumSgprs: 4
; NumVgprs: 0
; NumAgprs: 0
; TotalNumVgprs: 0
; ScratchSize: 0
; MemoryBound: 0
; FloatMode: 240
; IeeeMode: 1
; LDSByteSize: 0 bytes/workgroup (compile time only)
; SGPRBlocks: 0
; VGPRBlocks: 0
; NumSGPRsForWavesPerEU: 4
; NumVGPRsForWavesPerEU: 1
; AccumOffset: 4
; Occupancy: 8
; WaveLimiterHint : 0
; COMPUTE_PGM_RSRC2:SCRATCH_EN: 0
; COMPUTE_PGM_RSRC2:USER_SGPR: 6
; COMPUTE_PGM_RSRC2:TRAP_HANDLER: 0
; COMPUTE_PGM_RSRC2:TGID_X_EN: 1
; COMPUTE_PGM_RSRC2:TGID_Y_EN: 0
; COMPUTE_PGM_RSRC2:TGID_Z_EN: 0
; COMPUTE_PGM_RSRC2:TIDIG_COMP_CNT: 0
; COMPUTE_PGM_RSRC3_GFX90A:ACCUM_OFFSET: 0
; COMPUTE_PGM_RSRC3_GFX90A:TG_SPLIT: 0
	.section	.text._ZN7rocprim17ROCPRIM_400000_NS6detail17trampoline_kernelINS0_14default_configENS1_29reduce_by_key_config_selectorIN3c108BFloat16ElN6thrust23THRUST_200600_302600_NS4plusIlEEEEZZNS1_33reduce_by_key_impl_wrapped_configILNS1_25lookback_scan_determinismE0ES3_SB_PS6_NS8_17constant_iteratorIiNS8_11use_defaultESG_EENS8_10device_ptrIS6_EENSI_IlEEPmSA_NS8_8equal_toIS6_EEEE10hipError_tPvRmT2_T3_mT4_T5_T6_T7_T8_P12ihipStream_tbENKUlT_T0_E_clISt17integral_constantIbLb0EES14_IbLb1EEEEDaS10_S11_EUlS10_E_NS1_11comp_targetILNS1_3genE9ELNS1_11target_archE1100ELNS1_3gpuE3ELNS1_3repE0EEENS1_30default_config_static_selectorELNS0_4arch9wavefront6targetE1EEEvT1_,"axG",@progbits,_ZN7rocprim17ROCPRIM_400000_NS6detail17trampoline_kernelINS0_14default_configENS1_29reduce_by_key_config_selectorIN3c108BFloat16ElN6thrust23THRUST_200600_302600_NS4plusIlEEEEZZNS1_33reduce_by_key_impl_wrapped_configILNS1_25lookback_scan_determinismE0ES3_SB_PS6_NS8_17constant_iteratorIiNS8_11use_defaultESG_EENS8_10device_ptrIS6_EENSI_IlEEPmSA_NS8_8equal_toIS6_EEEE10hipError_tPvRmT2_T3_mT4_T5_T6_T7_T8_P12ihipStream_tbENKUlT_T0_E_clISt17integral_constantIbLb0EES14_IbLb1EEEEDaS10_S11_EUlS10_E_NS1_11comp_targetILNS1_3genE9ELNS1_11target_archE1100ELNS1_3gpuE3ELNS1_3repE0EEENS1_30default_config_static_selectorELNS0_4arch9wavefront6targetE1EEEvT1_,comdat
	.protected	_ZN7rocprim17ROCPRIM_400000_NS6detail17trampoline_kernelINS0_14default_configENS1_29reduce_by_key_config_selectorIN3c108BFloat16ElN6thrust23THRUST_200600_302600_NS4plusIlEEEEZZNS1_33reduce_by_key_impl_wrapped_configILNS1_25lookback_scan_determinismE0ES3_SB_PS6_NS8_17constant_iteratorIiNS8_11use_defaultESG_EENS8_10device_ptrIS6_EENSI_IlEEPmSA_NS8_8equal_toIS6_EEEE10hipError_tPvRmT2_T3_mT4_T5_T6_T7_T8_P12ihipStream_tbENKUlT_T0_E_clISt17integral_constantIbLb0EES14_IbLb1EEEEDaS10_S11_EUlS10_E_NS1_11comp_targetILNS1_3genE9ELNS1_11target_archE1100ELNS1_3gpuE3ELNS1_3repE0EEENS1_30default_config_static_selectorELNS0_4arch9wavefront6targetE1EEEvT1_ ; -- Begin function _ZN7rocprim17ROCPRIM_400000_NS6detail17trampoline_kernelINS0_14default_configENS1_29reduce_by_key_config_selectorIN3c108BFloat16ElN6thrust23THRUST_200600_302600_NS4plusIlEEEEZZNS1_33reduce_by_key_impl_wrapped_configILNS1_25lookback_scan_determinismE0ES3_SB_PS6_NS8_17constant_iteratorIiNS8_11use_defaultESG_EENS8_10device_ptrIS6_EENSI_IlEEPmSA_NS8_8equal_toIS6_EEEE10hipError_tPvRmT2_T3_mT4_T5_T6_T7_T8_P12ihipStream_tbENKUlT_T0_E_clISt17integral_constantIbLb0EES14_IbLb1EEEEDaS10_S11_EUlS10_E_NS1_11comp_targetILNS1_3genE9ELNS1_11target_archE1100ELNS1_3gpuE3ELNS1_3repE0EEENS1_30default_config_static_selectorELNS0_4arch9wavefront6targetE1EEEvT1_
	.globl	_ZN7rocprim17ROCPRIM_400000_NS6detail17trampoline_kernelINS0_14default_configENS1_29reduce_by_key_config_selectorIN3c108BFloat16ElN6thrust23THRUST_200600_302600_NS4plusIlEEEEZZNS1_33reduce_by_key_impl_wrapped_configILNS1_25lookback_scan_determinismE0ES3_SB_PS6_NS8_17constant_iteratorIiNS8_11use_defaultESG_EENS8_10device_ptrIS6_EENSI_IlEEPmSA_NS8_8equal_toIS6_EEEE10hipError_tPvRmT2_T3_mT4_T5_T6_T7_T8_P12ihipStream_tbENKUlT_T0_E_clISt17integral_constantIbLb0EES14_IbLb1EEEEDaS10_S11_EUlS10_E_NS1_11comp_targetILNS1_3genE9ELNS1_11target_archE1100ELNS1_3gpuE3ELNS1_3repE0EEENS1_30default_config_static_selectorELNS0_4arch9wavefront6targetE1EEEvT1_
	.p2align	8
	.type	_ZN7rocprim17ROCPRIM_400000_NS6detail17trampoline_kernelINS0_14default_configENS1_29reduce_by_key_config_selectorIN3c108BFloat16ElN6thrust23THRUST_200600_302600_NS4plusIlEEEEZZNS1_33reduce_by_key_impl_wrapped_configILNS1_25lookback_scan_determinismE0ES3_SB_PS6_NS8_17constant_iteratorIiNS8_11use_defaultESG_EENS8_10device_ptrIS6_EENSI_IlEEPmSA_NS8_8equal_toIS6_EEEE10hipError_tPvRmT2_T3_mT4_T5_T6_T7_T8_P12ihipStream_tbENKUlT_T0_E_clISt17integral_constantIbLb0EES14_IbLb1EEEEDaS10_S11_EUlS10_E_NS1_11comp_targetILNS1_3genE9ELNS1_11target_archE1100ELNS1_3gpuE3ELNS1_3repE0EEENS1_30default_config_static_selectorELNS0_4arch9wavefront6targetE1EEEvT1_,@function
_ZN7rocprim17ROCPRIM_400000_NS6detail17trampoline_kernelINS0_14default_configENS1_29reduce_by_key_config_selectorIN3c108BFloat16ElN6thrust23THRUST_200600_302600_NS4plusIlEEEEZZNS1_33reduce_by_key_impl_wrapped_configILNS1_25lookback_scan_determinismE0ES3_SB_PS6_NS8_17constant_iteratorIiNS8_11use_defaultESG_EENS8_10device_ptrIS6_EENSI_IlEEPmSA_NS8_8equal_toIS6_EEEE10hipError_tPvRmT2_T3_mT4_T5_T6_T7_T8_P12ihipStream_tbENKUlT_T0_E_clISt17integral_constantIbLb0EES14_IbLb1EEEEDaS10_S11_EUlS10_E_NS1_11comp_targetILNS1_3genE9ELNS1_11target_archE1100ELNS1_3gpuE3ELNS1_3repE0EEENS1_30default_config_static_selectorELNS0_4arch9wavefront6targetE1EEEvT1_: ; @_ZN7rocprim17ROCPRIM_400000_NS6detail17trampoline_kernelINS0_14default_configENS1_29reduce_by_key_config_selectorIN3c108BFloat16ElN6thrust23THRUST_200600_302600_NS4plusIlEEEEZZNS1_33reduce_by_key_impl_wrapped_configILNS1_25lookback_scan_determinismE0ES3_SB_PS6_NS8_17constant_iteratorIiNS8_11use_defaultESG_EENS8_10device_ptrIS6_EENSI_IlEEPmSA_NS8_8equal_toIS6_EEEE10hipError_tPvRmT2_T3_mT4_T5_T6_T7_T8_P12ihipStream_tbENKUlT_T0_E_clISt17integral_constantIbLb0EES14_IbLb1EEEEDaS10_S11_EUlS10_E_NS1_11comp_targetILNS1_3genE9ELNS1_11target_archE1100ELNS1_3gpuE3ELNS1_3repE0EEENS1_30default_config_static_selectorELNS0_4arch9wavefront6targetE1EEEvT1_
; %bb.0:
	.section	.rodata,"a",@progbits
	.p2align	6, 0x0
	.amdhsa_kernel _ZN7rocprim17ROCPRIM_400000_NS6detail17trampoline_kernelINS0_14default_configENS1_29reduce_by_key_config_selectorIN3c108BFloat16ElN6thrust23THRUST_200600_302600_NS4plusIlEEEEZZNS1_33reduce_by_key_impl_wrapped_configILNS1_25lookback_scan_determinismE0ES3_SB_PS6_NS8_17constant_iteratorIiNS8_11use_defaultESG_EENS8_10device_ptrIS6_EENSI_IlEEPmSA_NS8_8equal_toIS6_EEEE10hipError_tPvRmT2_T3_mT4_T5_T6_T7_T8_P12ihipStream_tbENKUlT_T0_E_clISt17integral_constantIbLb0EES14_IbLb1EEEEDaS10_S11_EUlS10_E_NS1_11comp_targetILNS1_3genE9ELNS1_11target_archE1100ELNS1_3gpuE3ELNS1_3repE0EEENS1_30default_config_static_selectorELNS0_4arch9wavefront6targetE1EEEvT1_
		.amdhsa_group_segment_fixed_size 0
		.amdhsa_private_segment_fixed_size 0
		.amdhsa_kernarg_size 144
		.amdhsa_user_sgpr_count 6
		.amdhsa_user_sgpr_private_segment_buffer 1
		.amdhsa_user_sgpr_dispatch_ptr 0
		.amdhsa_user_sgpr_queue_ptr 0
		.amdhsa_user_sgpr_kernarg_segment_ptr 1
		.amdhsa_user_sgpr_dispatch_id 0
		.amdhsa_user_sgpr_flat_scratch_init 0
		.amdhsa_user_sgpr_kernarg_preload_length 0
		.amdhsa_user_sgpr_kernarg_preload_offset 0
		.amdhsa_user_sgpr_private_segment_size 0
		.amdhsa_uses_dynamic_stack 0
		.amdhsa_system_sgpr_private_segment_wavefront_offset 0
		.amdhsa_system_sgpr_workgroup_id_x 1
		.amdhsa_system_sgpr_workgroup_id_y 0
		.amdhsa_system_sgpr_workgroup_id_z 0
		.amdhsa_system_sgpr_workgroup_info 0
		.amdhsa_system_vgpr_workitem_id 0
		.amdhsa_next_free_vgpr 1
		.amdhsa_next_free_sgpr 0
		.amdhsa_accum_offset 4
		.amdhsa_reserve_vcc 0
		.amdhsa_reserve_flat_scratch 0
		.amdhsa_float_round_mode_32 0
		.amdhsa_float_round_mode_16_64 0
		.amdhsa_float_denorm_mode_32 3
		.amdhsa_float_denorm_mode_16_64 3
		.amdhsa_dx10_clamp 1
		.amdhsa_ieee_mode 1
		.amdhsa_fp16_overflow 0
		.amdhsa_tg_split 0
		.amdhsa_exception_fp_ieee_invalid_op 0
		.amdhsa_exception_fp_denorm_src 0
		.amdhsa_exception_fp_ieee_div_zero 0
		.amdhsa_exception_fp_ieee_overflow 0
		.amdhsa_exception_fp_ieee_underflow 0
		.amdhsa_exception_fp_ieee_inexact 0
		.amdhsa_exception_int_div_zero 0
	.end_amdhsa_kernel
	.section	.text._ZN7rocprim17ROCPRIM_400000_NS6detail17trampoline_kernelINS0_14default_configENS1_29reduce_by_key_config_selectorIN3c108BFloat16ElN6thrust23THRUST_200600_302600_NS4plusIlEEEEZZNS1_33reduce_by_key_impl_wrapped_configILNS1_25lookback_scan_determinismE0ES3_SB_PS6_NS8_17constant_iteratorIiNS8_11use_defaultESG_EENS8_10device_ptrIS6_EENSI_IlEEPmSA_NS8_8equal_toIS6_EEEE10hipError_tPvRmT2_T3_mT4_T5_T6_T7_T8_P12ihipStream_tbENKUlT_T0_E_clISt17integral_constantIbLb0EES14_IbLb1EEEEDaS10_S11_EUlS10_E_NS1_11comp_targetILNS1_3genE9ELNS1_11target_archE1100ELNS1_3gpuE3ELNS1_3repE0EEENS1_30default_config_static_selectorELNS0_4arch9wavefront6targetE1EEEvT1_,"axG",@progbits,_ZN7rocprim17ROCPRIM_400000_NS6detail17trampoline_kernelINS0_14default_configENS1_29reduce_by_key_config_selectorIN3c108BFloat16ElN6thrust23THRUST_200600_302600_NS4plusIlEEEEZZNS1_33reduce_by_key_impl_wrapped_configILNS1_25lookback_scan_determinismE0ES3_SB_PS6_NS8_17constant_iteratorIiNS8_11use_defaultESG_EENS8_10device_ptrIS6_EENSI_IlEEPmSA_NS8_8equal_toIS6_EEEE10hipError_tPvRmT2_T3_mT4_T5_T6_T7_T8_P12ihipStream_tbENKUlT_T0_E_clISt17integral_constantIbLb0EES14_IbLb1EEEEDaS10_S11_EUlS10_E_NS1_11comp_targetILNS1_3genE9ELNS1_11target_archE1100ELNS1_3gpuE3ELNS1_3repE0EEENS1_30default_config_static_selectorELNS0_4arch9wavefront6targetE1EEEvT1_,comdat
.Lfunc_end2087:
	.size	_ZN7rocprim17ROCPRIM_400000_NS6detail17trampoline_kernelINS0_14default_configENS1_29reduce_by_key_config_selectorIN3c108BFloat16ElN6thrust23THRUST_200600_302600_NS4plusIlEEEEZZNS1_33reduce_by_key_impl_wrapped_configILNS1_25lookback_scan_determinismE0ES3_SB_PS6_NS8_17constant_iteratorIiNS8_11use_defaultESG_EENS8_10device_ptrIS6_EENSI_IlEEPmSA_NS8_8equal_toIS6_EEEE10hipError_tPvRmT2_T3_mT4_T5_T6_T7_T8_P12ihipStream_tbENKUlT_T0_E_clISt17integral_constantIbLb0EES14_IbLb1EEEEDaS10_S11_EUlS10_E_NS1_11comp_targetILNS1_3genE9ELNS1_11target_archE1100ELNS1_3gpuE3ELNS1_3repE0EEENS1_30default_config_static_selectorELNS0_4arch9wavefront6targetE1EEEvT1_, .Lfunc_end2087-_ZN7rocprim17ROCPRIM_400000_NS6detail17trampoline_kernelINS0_14default_configENS1_29reduce_by_key_config_selectorIN3c108BFloat16ElN6thrust23THRUST_200600_302600_NS4plusIlEEEEZZNS1_33reduce_by_key_impl_wrapped_configILNS1_25lookback_scan_determinismE0ES3_SB_PS6_NS8_17constant_iteratorIiNS8_11use_defaultESG_EENS8_10device_ptrIS6_EENSI_IlEEPmSA_NS8_8equal_toIS6_EEEE10hipError_tPvRmT2_T3_mT4_T5_T6_T7_T8_P12ihipStream_tbENKUlT_T0_E_clISt17integral_constantIbLb0EES14_IbLb1EEEEDaS10_S11_EUlS10_E_NS1_11comp_targetILNS1_3genE9ELNS1_11target_archE1100ELNS1_3gpuE3ELNS1_3repE0EEENS1_30default_config_static_selectorELNS0_4arch9wavefront6targetE1EEEvT1_
                                        ; -- End function
	.section	.AMDGPU.csdata,"",@progbits
; Kernel info:
; codeLenInByte = 0
; NumSgprs: 4
; NumVgprs: 0
; NumAgprs: 0
; TotalNumVgprs: 0
; ScratchSize: 0
; MemoryBound: 0
; FloatMode: 240
; IeeeMode: 1
; LDSByteSize: 0 bytes/workgroup (compile time only)
; SGPRBlocks: 0
; VGPRBlocks: 0
; NumSGPRsForWavesPerEU: 4
; NumVGPRsForWavesPerEU: 1
; AccumOffset: 4
; Occupancy: 8
; WaveLimiterHint : 0
; COMPUTE_PGM_RSRC2:SCRATCH_EN: 0
; COMPUTE_PGM_RSRC2:USER_SGPR: 6
; COMPUTE_PGM_RSRC2:TRAP_HANDLER: 0
; COMPUTE_PGM_RSRC2:TGID_X_EN: 1
; COMPUTE_PGM_RSRC2:TGID_Y_EN: 0
; COMPUTE_PGM_RSRC2:TGID_Z_EN: 0
; COMPUTE_PGM_RSRC2:TIDIG_COMP_CNT: 0
; COMPUTE_PGM_RSRC3_GFX90A:ACCUM_OFFSET: 0
; COMPUTE_PGM_RSRC3_GFX90A:TG_SPLIT: 0
	.section	.text._ZN7rocprim17ROCPRIM_400000_NS6detail17trampoline_kernelINS0_14default_configENS1_29reduce_by_key_config_selectorIN3c108BFloat16ElN6thrust23THRUST_200600_302600_NS4plusIlEEEEZZNS1_33reduce_by_key_impl_wrapped_configILNS1_25lookback_scan_determinismE0ES3_SB_PS6_NS8_17constant_iteratorIiNS8_11use_defaultESG_EENS8_10device_ptrIS6_EENSI_IlEEPmSA_NS8_8equal_toIS6_EEEE10hipError_tPvRmT2_T3_mT4_T5_T6_T7_T8_P12ihipStream_tbENKUlT_T0_E_clISt17integral_constantIbLb0EES14_IbLb1EEEEDaS10_S11_EUlS10_E_NS1_11comp_targetILNS1_3genE8ELNS1_11target_archE1030ELNS1_3gpuE2ELNS1_3repE0EEENS1_30default_config_static_selectorELNS0_4arch9wavefront6targetE1EEEvT1_,"axG",@progbits,_ZN7rocprim17ROCPRIM_400000_NS6detail17trampoline_kernelINS0_14default_configENS1_29reduce_by_key_config_selectorIN3c108BFloat16ElN6thrust23THRUST_200600_302600_NS4plusIlEEEEZZNS1_33reduce_by_key_impl_wrapped_configILNS1_25lookback_scan_determinismE0ES3_SB_PS6_NS8_17constant_iteratorIiNS8_11use_defaultESG_EENS8_10device_ptrIS6_EENSI_IlEEPmSA_NS8_8equal_toIS6_EEEE10hipError_tPvRmT2_T3_mT4_T5_T6_T7_T8_P12ihipStream_tbENKUlT_T0_E_clISt17integral_constantIbLb0EES14_IbLb1EEEEDaS10_S11_EUlS10_E_NS1_11comp_targetILNS1_3genE8ELNS1_11target_archE1030ELNS1_3gpuE2ELNS1_3repE0EEENS1_30default_config_static_selectorELNS0_4arch9wavefront6targetE1EEEvT1_,comdat
	.protected	_ZN7rocprim17ROCPRIM_400000_NS6detail17trampoline_kernelINS0_14default_configENS1_29reduce_by_key_config_selectorIN3c108BFloat16ElN6thrust23THRUST_200600_302600_NS4plusIlEEEEZZNS1_33reduce_by_key_impl_wrapped_configILNS1_25lookback_scan_determinismE0ES3_SB_PS6_NS8_17constant_iteratorIiNS8_11use_defaultESG_EENS8_10device_ptrIS6_EENSI_IlEEPmSA_NS8_8equal_toIS6_EEEE10hipError_tPvRmT2_T3_mT4_T5_T6_T7_T8_P12ihipStream_tbENKUlT_T0_E_clISt17integral_constantIbLb0EES14_IbLb1EEEEDaS10_S11_EUlS10_E_NS1_11comp_targetILNS1_3genE8ELNS1_11target_archE1030ELNS1_3gpuE2ELNS1_3repE0EEENS1_30default_config_static_selectorELNS0_4arch9wavefront6targetE1EEEvT1_ ; -- Begin function _ZN7rocprim17ROCPRIM_400000_NS6detail17trampoline_kernelINS0_14default_configENS1_29reduce_by_key_config_selectorIN3c108BFloat16ElN6thrust23THRUST_200600_302600_NS4plusIlEEEEZZNS1_33reduce_by_key_impl_wrapped_configILNS1_25lookback_scan_determinismE0ES3_SB_PS6_NS8_17constant_iteratorIiNS8_11use_defaultESG_EENS8_10device_ptrIS6_EENSI_IlEEPmSA_NS8_8equal_toIS6_EEEE10hipError_tPvRmT2_T3_mT4_T5_T6_T7_T8_P12ihipStream_tbENKUlT_T0_E_clISt17integral_constantIbLb0EES14_IbLb1EEEEDaS10_S11_EUlS10_E_NS1_11comp_targetILNS1_3genE8ELNS1_11target_archE1030ELNS1_3gpuE2ELNS1_3repE0EEENS1_30default_config_static_selectorELNS0_4arch9wavefront6targetE1EEEvT1_
	.globl	_ZN7rocprim17ROCPRIM_400000_NS6detail17trampoline_kernelINS0_14default_configENS1_29reduce_by_key_config_selectorIN3c108BFloat16ElN6thrust23THRUST_200600_302600_NS4plusIlEEEEZZNS1_33reduce_by_key_impl_wrapped_configILNS1_25lookback_scan_determinismE0ES3_SB_PS6_NS8_17constant_iteratorIiNS8_11use_defaultESG_EENS8_10device_ptrIS6_EENSI_IlEEPmSA_NS8_8equal_toIS6_EEEE10hipError_tPvRmT2_T3_mT4_T5_T6_T7_T8_P12ihipStream_tbENKUlT_T0_E_clISt17integral_constantIbLb0EES14_IbLb1EEEEDaS10_S11_EUlS10_E_NS1_11comp_targetILNS1_3genE8ELNS1_11target_archE1030ELNS1_3gpuE2ELNS1_3repE0EEENS1_30default_config_static_selectorELNS0_4arch9wavefront6targetE1EEEvT1_
	.p2align	8
	.type	_ZN7rocprim17ROCPRIM_400000_NS6detail17trampoline_kernelINS0_14default_configENS1_29reduce_by_key_config_selectorIN3c108BFloat16ElN6thrust23THRUST_200600_302600_NS4plusIlEEEEZZNS1_33reduce_by_key_impl_wrapped_configILNS1_25lookback_scan_determinismE0ES3_SB_PS6_NS8_17constant_iteratorIiNS8_11use_defaultESG_EENS8_10device_ptrIS6_EENSI_IlEEPmSA_NS8_8equal_toIS6_EEEE10hipError_tPvRmT2_T3_mT4_T5_T6_T7_T8_P12ihipStream_tbENKUlT_T0_E_clISt17integral_constantIbLb0EES14_IbLb1EEEEDaS10_S11_EUlS10_E_NS1_11comp_targetILNS1_3genE8ELNS1_11target_archE1030ELNS1_3gpuE2ELNS1_3repE0EEENS1_30default_config_static_selectorELNS0_4arch9wavefront6targetE1EEEvT1_,@function
_ZN7rocprim17ROCPRIM_400000_NS6detail17trampoline_kernelINS0_14default_configENS1_29reduce_by_key_config_selectorIN3c108BFloat16ElN6thrust23THRUST_200600_302600_NS4plusIlEEEEZZNS1_33reduce_by_key_impl_wrapped_configILNS1_25lookback_scan_determinismE0ES3_SB_PS6_NS8_17constant_iteratorIiNS8_11use_defaultESG_EENS8_10device_ptrIS6_EENSI_IlEEPmSA_NS8_8equal_toIS6_EEEE10hipError_tPvRmT2_T3_mT4_T5_T6_T7_T8_P12ihipStream_tbENKUlT_T0_E_clISt17integral_constantIbLb0EES14_IbLb1EEEEDaS10_S11_EUlS10_E_NS1_11comp_targetILNS1_3genE8ELNS1_11target_archE1030ELNS1_3gpuE2ELNS1_3repE0EEENS1_30default_config_static_selectorELNS0_4arch9wavefront6targetE1EEEvT1_: ; @_ZN7rocprim17ROCPRIM_400000_NS6detail17trampoline_kernelINS0_14default_configENS1_29reduce_by_key_config_selectorIN3c108BFloat16ElN6thrust23THRUST_200600_302600_NS4plusIlEEEEZZNS1_33reduce_by_key_impl_wrapped_configILNS1_25lookback_scan_determinismE0ES3_SB_PS6_NS8_17constant_iteratorIiNS8_11use_defaultESG_EENS8_10device_ptrIS6_EENSI_IlEEPmSA_NS8_8equal_toIS6_EEEE10hipError_tPvRmT2_T3_mT4_T5_T6_T7_T8_P12ihipStream_tbENKUlT_T0_E_clISt17integral_constantIbLb0EES14_IbLb1EEEEDaS10_S11_EUlS10_E_NS1_11comp_targetILNS1_3genE8ELNS1_11target_archE1030ELNS1_3gpuE2ELNS1_3repE0EEENS1_30default_config_static_selectorELNS0_4arch9wavefront6targetE1EEEvT1_
; %bb.0:
	.section	.rodata,"a",@progbits
	.p2align	6, 0x0
	.amdhsa_kernel _ZN7rocprim17ROCPRIM_400000_NS6detail17trampoline_kernelINS0_14default_configENS1_29reduce_by_key_config_selectorIN3c108BFloat16ElN6thrust23THRUST_200600_302600_NS4plusIlEEEEZZNS1_33reduce_by_key_impl_wrapped_configILNS1_25lookback_scan_determinismE0ES3_SB_PS6_NS8_17constant_iteratorIiNS8_11use_defaultESG_EENS8_10device_ptrIS6_EENSI_IlEEPmSA_NS8_8equal_toIS6_EEEE10hipError_tPvRmT2_T3_mT4_T5_T6_T7_T8_P12ihipStream_tbENKUlT_T0_E_clISt17integral_constantIbLb0EES14_IbLb1EEEEDaS10_S11_EUlS10_E_NS1_11comp_targetILNS1_3genE8ELNS1_11target_archE1030ELNS1_3gpuE2ELNS1_3repE0EEENS1_30default_config_static_selectorELNS0_4arch9wavefront6targetE1EEEvT1_
		.amdhsa_group_segment_fixed_size 0
		.amdhsa_private_segment_fixed_size 0
		.amdhsa_kernarg_size 144
		.amdhsa_user_sgpr_count 6
		.amdhsa_user_sgpr_private_segment_buffer 1
		.amdhsa_user_sgpr_dispatch_ptr 0
		.amdhsa_user_sgpr_queue_ptr 0
		.amdhsa_user_sgpr_kernarg_segment_ptr 1
		.amdhsa_user_sgpr_dispatch_id 0
		.amdhsa_user_sgpr_flat_scratch_init 0
		.amdhsa_user_sgpr_kernarg_preload_length 0
		.amdhsa_user_sgpr_kernarg_preload_offset 0
		.amdhsa_user_sgpr_private_segment_size 0
		.amdhsa_uses_dynamic_stack 0
		.amdhsa_system_sgpr_private_segment_wavefront_offset 0
		.amdhsa_system_sgpr_workgroup_id_x 1
		.amdhsa_system_sgpr_workgroup_id_y 0
		.amdhsa_system_sgpr_workgroup_id_z 0
		.amdhsa_system_sgpr_workgroup_info 0
		.amdhsa_system_vgpr_workitem_id 0
		.amdhsa_next_free_vgpr 1
		.amdhsa_next_free_sgpr 0
		.amdhsa_accum_offset 4
		.amdhsa_reserve_vcc 0
		.amdhsa_reserve_flat_scratch 0
		.amdhsa_float_round_mode_32 0
		.amdhsa_float_round_mode_16_64 0
		.amdhsa_float_denorm_mode_32 3
		.amdhsa_float_denorm_mode_16_64 3
		.amdhsa_dx10_clamp 1
		.amdhsa_ieee_mode 1
		.amdhsa_fp16_overflow 0
		.amdhsa_tg_split 0
		.amdhsa_exception_fp_ieee_invalid_op 0
		.amdhsa_exception_fp_denorm_src 0
		.amdhsa_exception_fp_ieee_div_zero 0
		.amdhsa_exception_fp_ieee_overflow 0
		.amdhsa_exception_fp_ieee_underflow 0
		.amdhsa_exception_fp_ieee_inexact 0
		.amdhsa_exception_int_div_zero 0
	.end_amdhsa_kernel
	.section	.text._ZN7rocprim17ROCPRIM_400000_NS6detail17trampoline_kernelINS0_14default_configENS1_29reduce_by_key_config_selectorIN3c108BFloat16ElN6thrust23THRUST_200600_302600_NS4plusIlEEEEZZNS1_33reduce_by_key_impl_wrapped_configILNS1_25lookback_scan_determinismE0ES3_SB_PS6_NS8_17constant_iteratorIiNS8_11use_defaultESG_EENS8_10device_ptrIS6_EENSI_IlEEPmSA_NS8_8equal_toIS6_EEEE10hipError_tPvRmT2_T3_mT4_T5_T6_T7_T8_P12ihipStream_tbENKUlT_T0_E_clISt17integral_constantIbLb0EES14_IbLb1EEEEDaS10_S11_EUlS10_E_NS1_11comp_targetILNS1_3genE8ELNS1_11target_archE1030ELNS1_3gpuE2ELNS1_3repE0EEENS1_30default_config_static_selectorELNS0_4arch9wavefront6targetE1EEEvT1_,"axG",@progbits,_ZN7rocprim17ROCPRIM_400000_NS6detail17trampoline_kernelINS0_14default_configENS1_29reduce_by_key_config_selectorIN3c108BFloat16ElN6thrust23THRUST_200600_302600_NS4plusIlEEEEZZNS1_33reduce_by_key_impl_wrapped_configILNS1_25lookback_scan_determinismE0ES3_SB_PS6_NS8_17constant_iteratorIiNS8_11use_defaultESG_EENS8_10device_ptrIS6_EENSI_IlEEPmSA_NS8_8equal_toIS6_EEEE10hipError_tPvRmT2_T3_mT4_T5_T6_T7_T8_P12ihipStream_tbENKUlT_T0_E_clISt17integral_constantIbLb0EES14_IbLb1EEEEDaS10_S11_EUlS10_E_NS1_11comp_targetILNS1_3genE8ELNS1_11target_archE1030ELNS1_3gpuE2ELNS1_3repE0EEENS1_30default_config_static_selectorELNS0_4arch9wavefront6targetE1EEEvT1_,comdat
.Lfunc_end2088:
	.size	_ZN7rocprim17ROCPRIM_400000_NS6detail17trampoline_kernelINS0_14default_configENS1_29reduce_by_key_config_selectorIN3c108BFloat16ElN6thrust23THRUST_200600_302600_NS4plusIlEEEEZZNS1_33reduce_by_key_impl_wrapped_configILNS1_25lookback_scan_determinismE0ES3_SB_PS6_NS8_17constant_iteratorIiNS8_11use_defaultESG_EENS8_10device_ptrIS6_EENSI_IlEEPmSA_NS8_8equal_toIS6_EEEE10hipError_tPvRmT2_T3_mT4_T5_T6_T7_T8_P12ihipStream_tbENKUlT_T0_E_clISt17integral_constantIbLb0EES14_IbLb1EEEEDaS10_S11_EUlS10_E_NS1_11comp_targetILNS1_3genE8ELNS1_11target_archE1030ELNS1_3gpuE2ELNS1_3repE0EEENS1_30default_config_static_selectorELNS0_4arch9wavefront6targetE1EEEvT1_, .Lfunc_end2088-_ZN7rocprim17ROCPRIM_400000_NS6detail17trampoline_kernelINS0_14default_configENS1_29reduce_by_key_config_selectorIN3c108BFloat16ElN6thrust23THRUST_200600_302600_NS4plusIlEEEEZZNS1_33reduce_by_key_impl_wrapped_configILNS1_25lookback_scan_determinismE0ES3_SB_PS6_NS8_17constant_iteratorIiNS8_11use_defaultESG_EENS8_10device_ptrIS6_EENSI_IlEEPmSA_NS8_8equal_toIS6_EEEE10hipError_tPvRmT2_T3_mT4_T5_T6_T7_T8_P12ihipStream_tbENKUlT_T0_E_clISt17integral_constantIbLb0EES14_IbLb1EEEEDaS10_S11_EUlS10_E_NS1_11comp_targetILNS1_3genE8ELNS1_11target_archE1030ELNS1_3gpuE2ELNS1_3repE0EEENS1_30default_config_static_selectorELNS0_4arch9wavefront6targetE1EEEvT1_
                                        ; -- End function
	.section	.AMDGPU.csdata,"",@progbits
; Kernel info:
; codeLenInByte = 0
; NumSgprs: 4
; NumVgprs: 0
; NumAgprs: 0
; TotalNumVgprs: 0
; ScratchSize: 0
; MemoryBound: 0
; FloatMode: 240
; IeeeMode: 1
; LDSByteSize: 0 bytes/workgroup (compile time only)
; SGPRBlocks: 0
; VGPRBlocks: 0
; NumSGPRsForWavesPerEU: 4
; NumVGPRsForWavesPerEU: 1
; AccumOffset: 4
; Occupancy: 8
; WaveLimiterHint : 0
; COMPUTE_PGM_RSRC2:SCRATCH_EN: 0
; COMPUTE_PGM_RSRC2:USER_SGPR: 6
; COMPUTE_PGM_RSRC2:TRAP_HANDLER: 0
; COMPUTE_PGM_RSRC2:TGID_X_EN: 1
; COMPUTE_PGM_RSRC2:TGID_Y_EN: 0
; COMPUTE_PGM_RSRC2:TGID_Z_EN: 0
; COMPUTE_PGM_RSRC2:TIDIG_COMP_CNT: 0
; COMPUTE_PGM_RSRC3_GFX90A:ACCUM_OFFSET: 0
; COMPUTE_PGM_RSRC3_GFX90A:TG_SPLIT: 0
	.section	.text._ZN7rocprim17ROCPRIM_400000_NS6detail17trampoline_kernelINS0_14default_configENS1_22reduce_config_selectorIN6thrust23THRUST_200600_302600_NS5tupleIblNS6_9null_typeES8_S8_S8_S8_S8_S8_S8_EEEEZNS1_11reduce_implILb1ES3_NS6_12zip_iteratorINS7_INS6_11hip_rocprim26transform_input_iterator_tIbPN3c108BFloat16ENS6_6detail10functional5actorINSJ_9compositeIJNSJ_27transparent_binary_operatorINS6_8equal_toIvEEEENSK_INSJ_8argumentILj0EEEEENSJ_5valueISG_EEEEEEEEENSD_19counting_iterator_tIlEES8_S8_S8_S8_S8_S8_S8_S8_EEEEPS9_S9_NSD_9__find_if7functorIS9_EEEE10hipError_tPvRmT1_T2_T3_mT4_P12ihipStream_tbEUlT_E0_NS1_11comp_targetILNS1_3genE0ELNS1_11target_archE4294967295ELNS1_3gpuE0ELNS1_3repE0EEENS1_30default_config_static_selectorELNS0_4arch9wavefront6targetE1EEEvS19_,"axG",@progbits,_ZN7rocprim17ROCPRIM_400000_NS6detail17trampoline_kernelINS0_14default_configENS1_22reduce_config_selectorIN6thrust23THRUST_200600_302600_NS5tupleIblNS6_9null_typeES8_S8_S8_S8_S8_S8_S8_EEEEZNS1_11reduce_implILb1ES3_NS6_12zip_iteratorINS7_INS6_11hip_rocprim26transform_input_iterator_tIbPN3c108BFloat16ENS6_6detail10functional5actorINSJ_9compositeIJNSJ_27transparent_binary_operatorINS6_8equal_toIvEEEENSK_INSJ_8argumentILj0EEEEENSJ_5valueISG_EEEEEEEEENSD_19counting_iterator_tIlEES8_S8_S8_S8_S8_S8_S8_S8_EEEEPS9_S9_NSD_9__find_if7functorIS9_EEEE10hipError_tPvRmT1_T2_T3_mT4_P12ihipStream_tbEUlT_E0_NS1_11comp_targetILNS1_3genE0ELNS1_11target_archE4294967295ELNS1_3gpuE0ELNS1_3repE0EEENS1_30default_config_static_selectorELNS0_4arch9wavefront6targetE1EEEvS19_,comdat
	.protected	_ZN7rocprim17ROCPRIM_400000_NS6detail17trampoline_kernelINS0_14default_configENS1_22reduce_config_selectorIN6thrust23THRUST_200600_302600_NS5tupleIblNS6_9null_typeES8_S8_S8_S8_S8_S8_S8_EEEEZNS1_11reduce_implILb1ES3_NS6_12zip_iteratorINS7_INS6_11hip_rocprim26transform_input_iterator_tIbPN3c108BFloat16ENS6_6detail10functional5actorINSJ_9compositeIJNSJ_27transparent_binary_operatorINS6_8equal_toIvEEEENSK_INSJ_8argumentILj0EEEEENSJ_5valueISG_EEEEEEEEENSD_19counting_iterator_tIlEES8_S8_S8_S8_S8_S8_S8_S8_EEEEPS9_S9_NSD_9__find_if7functorIS9_EEEE10hipError_tPvRmT1_T2_T3_mT4_P12ihipStream_tbEUlT_E0_NS1_11comp_targetILNS1_3genE0ELNS1_11target_archE4294967295ELNS1_3gpuE0ELNS1_3repE0EEENS1_30default_config_static_selectorELNS0_4arch9wavefront6targetE1EEEvS19_ ; -- Begin function _ZN7rocprim17ROCPRIM_400000_NS6detail17trampoline_kernelINS0_14default_configENS1_22reduce_config_selectorIN6thrust23THRUST_200600_302600_NS5tupleIblNS6_9null_typeES8_S8_S8_S8_S8_S8_S8_EEEEZNS1_11reduce_implILb1ES3_NS6_12zip_iteratorINS7_INS6_11hip_rocprim26transform_input_iterator_tIbPN3c108BFloat16ENS6_6detail10functional5actorINSJ_9compositeIJNSJ_27transparent_binary_operatorINS6_8equal_toIvEEEENSK_INSJ_8argumentILj0EEEEENSJ_5valueISG_EEEEEEEEENSD_19counting_iterator_tIlEES8_S8_S8_S8_S8_S8_S8_S8_EEEEPS9_S9_NSD_9__find_if7functorIS9_EEEE10hipError_tPvRmT1_T2_T3_mT4_P12ihipStream_tbEUlT_E0_NS1_11comp_targetILNS1_3genE0ELNS1_11target_archE4294967295ELNS1_3gpuE0ELNS1_3repE0EEENS1_30default_config_static_selectorELNS0_4arch9wavefront6targetE1EEEvS19_
	.globl	_ZN7rocprim17ROCPRIM_400000_NS6detail17trampoline_kernelINS0_14default_configENS1_22reduce_config_selectorIN6thrust23THRUST_200600_302600_NS5tupleIblNS6_9null_typeES8_S8_S8_S8_S8_S8_S8_EEEEZNS1_11reduce_implILb1ES3_NS6_12zip_iteratorINS7_INS6_11hip_rocprim26transform_input_iterator_tIbPN3c108BFloat16ENS6_6detail10functional5actorINSJ_9compositeIJNSJ_27transparent_binary_operatorINS6_8equal_toIvEEEENSK_INSJ_8argumentILj0EEEEENSJ_5valueISG_EEEEEEEEENSD_19counting_iterator_tIlEES8_S8_S8_S8_S8_S8_S8_S8_EEEEPS9_S9_NSD_9__find_if7functorIS9_EEEE10hipError_tPvRmT1_T2_T3_mT4_P12ihipStream_tbEUlT_E0_NS1_11comp_targetILNS1_3genE0ELNS1_11target_archE4294967295ELNS1_3gpuE0ELNS1_3repE0EEENS1_30default_config_static_selectorELNS0_4arch9wavefront6targetE1EEEvS19_
	.p2align	8
	.type	_ZN7rocprim17ROCPRIM_400000_NS6detail17trampoline_kernelINS0_14default_configENS1_22reduce_config_selectorIN6thrust23THRUST_200600_302600_NS5tupleIblNS6_9null_typeES8_S8_S8_S8_S8_S8_S8_EEEEZNS1_11reduce_implILb1ES3_NS6_12zip_iteratorINS7_INS6_11hip_rocprim26transform_input_iterator_tIbPN3c108BFloat16ENS6_6detail10functional5actorINSJ_9compositeIJNSJ_27transparent_binary_operatorINS6_8equal_toIvEEEENSK_INSJ_8argumentILj0EEEEENSJ_5valueISG_EEEEEEEEENSD_19counting_iterator_tIlEES8_S8_S8_S8_S8_S8_S8_S8_EEEEPS9_S9_NSD_9__find_if7functorIS9_EEEE10hipError_tPvRmT1_T2_T3_mT4_P12ihipStream_tbEUlT_E0_NS1_11comp_targetILNS1_3genE0ELNS1_11target_archE4294967295ELNS1_3gpuE0ELNS1_3repE0EEENS1_30default_config_static_selectorELNS0_4arch9wavefront6targetE1EEEvS19_,@function
_ZN7rocprim17ROCPRIM_400000_NS6detail17trampoline_kernelINS0_14default_configENS1_22reduce_config_selectorIN6thrust23THRUST_200600_302600_NS5tupleIblNS6_9null_typeES8_S8_S8_S8_S8_S8_S8_EEEEZNS1_11reduce_implILb1ES3_NS6_12zip_iteratorINS7_INS6_11hip_rocprim26transform_input_iterator_tIbPN3c108BFloat16ENS6_6detail10functional5actorINSJ_9compositeIJNSJ_27transparent_binary_operatorINS6_8equal_toIvEEEENSK_INSJ_8argumentILj0EEEEENSJ_5valueISG_EEEEEEEEENSD_19counting_iterator_tIlEES8_S8_S8_S8_S8_S8_S8_S8_EEEEPS9_S9_NSD_9__find_if7functorIS9_EEEE10hipError_tPvRmT1_T2_T3_mT4_P12ihipStream_tbEUlT_E0_NS1_11comp_targetILNS1_3genE0ELNS1_11target_archE4294967295ELNS1_3gpuE0ELNS1_3repE0EEENS1_30default_config_static_selectorELNS0_4arch9wavefront6targetE1EEEvS19_: ; @_ZN7rocprim17ROCPRIM_400000_NS6detail17trampoline_kernelINS0_14default_configENS1_22reduce_config_selectorIN6thrust23THRUST_200600_302600_NS5tupleIblNS6_9null_typeES8_S8_S8_S8_S8_S8_S8_EEEEZNS1_11reduce_implILb1ES3_NS6_12zip_iteratorINS7_INS6_11hip_rocprim26transform_input_iterator_tIbPN3c108BFloat16ENS6_6detail10functional5actorINSJ_9compositeIJNSJ_27transparent_binary_operatorINS6_8equal_toIvEEEENSK_INSJ_8argumentILj0EEEEENSJ_5valueISG_EEEEEEEEENSD_19counting_iterator_tIlEES8_S8_S8_S8_S8_S8_S8_S8_EEEEPS9_S9_NSD_9__find_if7functorIS9_EEEE10hipError_tPvRmT1_T2_T3_mT4_P12ihipStream_tbEUlT_E0_NS1_11comp_targetILNS1_3genE0ELNS1_11target_archE4294967295ELNS1_3gpuE0ELNS1_3repE0EEENS1_30default_config_static_selectorELNS0_4arch9wavefront6targetE1EEEvS19_
; %bb.0:
	.section	.rodata,"a",@progbits
	.p2align	6, 0x0
	.amdhsa_kernel _ZN7rocprim17ROCPRIM_400000_NS6detail17trampoline_kernelINS0_14default_configENS1_22reduce_config_selectorIN6thrust23THRUST_200600_302600_NS5tupleIblNS6_9null_typeES8_S8_S8_S8_S8_S8_S8_EEEEZNS1_11reduce_implILb1ES3_NS6_12zip_iteratorINS7_INS6_11hip_rocprim26transform_input_iterator_tIbPN3c108BFloat16ENS6_6detail10functional5actorINSJ_9compositeIJNSJ_27transparent_binary_operatorINS6_8equal_toIvEEEENSK_INSJ_8argumentILj0EEEEENSJ_5valueISG_EEEEEEEEENSD_19counting_iterator_tIlEES8_S8_S8_S8_S8_S8_S8_S8_EEEEPS9_S9_NSD_9__find_if7functorIS9_EEEE10hipError_tPvRmT1_T2_T3_mT4_P12ihipStream_tbEUlT_E0_NS1_11comp_targetILNS1_3genE0ELNS1_11target_archE4294967295ELNS1_3gpuE0ELNS1_3repE0EEENS1_30default_config_static_selectorELNS0_4arch9wavefront6targetE1EEEvS19_
		.amdhsa_group_segment_fixed_size 0
		.amdhsa_private_segment_fixed_size 0
		.amdhsa_kernarg_size 88
		.amdhsa_user_sgpr_count 6
		.amdhsa_user_sgpr_private_segment_buffer 1
		.amdhsa_user_sgpr_dispatch_ptr 0
		.amdhsa_user_sgpr_queue_ptr 0
		.amdhsa_user_sgpr_kernarg_segment_ptr 1
		.amdhsa_user_sgpr_dispatch_id 0
		.amdhsa_user_sgpr_flat_scratch_init 0
		.amdhsa_user_sgpr_kernarg_preload_length 0
		.amdhsa_user_sgpr_kernarg_preload_offset 0
		.amdhsa_user_sgpr_private_segment_size 0
		.amdhsa_uses_dynamic_stack 0
		.amdhsa_system_sgpr_private_segment_wavefront_offset 0
		.amdhsa_system_sgpr_workgroup_id_x 1
		.amdhsa_system_sgpr_workgroup_id_y 0
		.amdhsa_system_sgpr_workgroup_id_z 0
		.amdhsa_system_sgpr_workgroup_info 0
		.amdhsa_system_vgpr_workitem_id 0
		.amdhsa_next_free_vgpr 1
		.amdhsa_next_free_sgpr 0
		.amdhsa_accum_offset 4
		.amdhsa_reserve_vcc 0
		.amdhsa_reserve_flat_scratch 0
		.amdhsa_float_round_mode_32 0
		.amdhsa_float_round_mode_16_64 0
		.amdhsa_float_denorm_mode_32 3
		.amdhsa_float_denorm_mode_16_64 3
		.amdhsa_dx10_clamp 1
		.amdhsa_ieee_mode 1
		.amdhsa_fp16_overflow 0
		.amdhsa_tg_split 0
		.amdhsa_exception_fp_ieee_invalid_op 0
		.amdhsa_exception_fp_denorm_src 0
		.amdhsa_exception_fp_ieee_div_zero 0
		.amdhsa_exception_fp_ieee_overflow 0
		.amdhsa_exception_fp_ieee_underflow 0
		.amdhsa_exception_fp_ieee_inexact 0
		.amdhsa_exception_int_div_zero 0
	.end_amdhsa_kernel
	.section	.text._ZN7rocprim17ROCPRIM_400000_NS6detail17trampoline_kernelINS0_14default_configENS1_22reduce_config_selectorIN6thrust23THRUST_200600_302600_NS5tupleIblNS6_9null_typeES8_S8_S8_S8_S8_S8_S8_EEEEZNS1_11reduce_implILb1ES3_NS6_12zip_iteratorINS7_INS6_11hip_rocprim26transform_input_iterator_tIbPN3c108BFloat16ENS6_6detail10functional5actorINSJ_9compositeIJNSJ_27transparent_binary_operatorINS6_8equal_toIvEEEENSK_INSJ_8argumentILj0EEEEENSJ_5valueISG_EEEEEEEEENSD_19counting_iterator_tIlEES8_S8_S8_S8_S8_S8_S8_S8_EEEEPS9_S9_NSD_9__find_if7functorIS9_EEEE10hipError_tPvRmT1_T2_T3_mT4_P12ihipStream_tbEUlT_E0_NS1_11comp_targetILNS1_3genE0ELNS1_11target_archE4294967295ELNS1_3gpuE0ELNS1_3repE0EEENS1_30default_config_static_selectorELNS0_4arch9wavefront6targetE1EEEvS19_,"axG",@progbits,_ZN7rocprim17ROCPRIM_400000_NS6detail17trampoline_kernelINS0_14default_configENS1_22reduce_config_selectorIN6thrust23THRUST_200600_302600_NS5tupleIblNS6_9null_typeES8_S8_S8_S8_S8_S8_S8_EEEEZNS1_11reduce_implILb1ES3_NS6_12zip_iteratorINS7_INS6_11hip_rocprim26transform_input_iterator_tIbPN3c108BFloat16ENS6_6detail10functional5actorINSJ_9compositeIJNSJ_27transparent_binary_operatorINS6_8equal_toIvEEEENSK_INSJ_8argumentILj0EEEEENSJ_5valueISG_EEEEEEEEENSD_19counting_iterator_tIlEES8_S8_S8_S8_S8_S8_S8_S8_EEEEPS9_S9_NSD_9__find_if7functorIS9_EEEE10hipError_tPvRmT1_T2_T3_mT4_P12ihipStream_tbEUlT_E0_NS1_11comp_targetILNS1_3genE0ELNS1_11target_archE4294967295ELNS1_3gpuE0ELNS1_3repE0EEENS1_30default_config_static_selectorELNS0_4arch9wavefront6targetE1EEEvS19_,comdat
.Lfunc_end2089:
	.size	_ZN7rocprim17ROCPRIM_400000_NS6detail17trampoline_kernelINS0_14default_configENS1_22reduce_config_selectorIN6thrust23THRUST_200600_302600_NS5tupleIblNS6_9null_typeES8_S8_S8_S8_S8_S8_S8_EEEEZNS1_11reduce_implILb1ES3_NS6_12zip_iteratorINS7_INS6_11hip_rocprim26transform_input_iterator_tIbPN3c108BFloat16ENS6_6detail10functional5actorINSJ_9compositeIJNSJ_27transparent_binary_operatorINS6_8equal_toIvEEEENSK_INSJ_8argumentILj0EEEEENSJ_5valueISG_EEEEEEEEENSD_19counting_iterator_tIlEES8_S8_S8_S8_S8_S8_S8_S8_EEEEPS9_S9_NSD_9__find_if7functorIS9_EEEE10hipError_tPvRmT1_T2_T3_mT4_P12ihipStream_tbEUlT_E0_NS1_11comp_targetILNS1_3genE0ELNS1_11target_archE4294967295ELNS1_3gpuE0ELNS1_3repE0EEENS1_30default_config_static_selectorELNS0_4arch9wavefront6targetE1EEEvS19_, .Lfunc_end2089-_ZN7rocprim17ROCPRIM_400000_NS6detail17trampoline_kernelINS0_14default_configENS1_22reduce_config_selectorIN6thrust23THRUST_200600_302600_NS5tupleIblNS6_9null_typeES8_S8_S8_S8_S8_S8_S8_EEEEZNS1_11reduce_implILb1ES3_NS6_12zip_iteratorINS7_INS6_11hip_rocprim26transform_input_iterator_tIbPN3c108BFloat16ENS6_6detail10functional5actorINSJ_9compositeIJNSJ_27transparent_binary_operatorINS6_8equal_toIvEEEENSK_INSJ_8argumentILj0EEEEENSJ_5valueISG_EEEEEEEEENSD_19counting_iterator_tIlEES8_S8_S8_S8_S8_S8_S8_S8_EEEEPS9_S9_NSD_9__find_if7functorIS9_EEEE10hipError_tPvRmT1_T2_T3_mT4_P12ihipStream_tbEUlT_E0_NS1_11comp_targetILNS1_3genE0ELNS1_11target_archE4294967295ELNS1_3gpuE0ELNS1_3repE0EEENS1_30default_config_static_selectorELNS0_4arch9wavefront6targetE1EEEvS19_
                                        ; -- End function
	.section	.AMDGPU.csdata,"",@progbits
; Kernel info:
; codeLenInByte = 0
; NumSgprs: 4
; NumVgprs: 0
; NumAgprs: 0
; TotalNumVgprs: 0
; ScratchSize: 0
; MemoryBound: 0
; FloatMode: 240
; IeeeMode: 1
; LDSByteSize: 0 bytes/workgroup (compile time only)
; SGPRBlocks: 0
; VGPRBlocks: 0
; NumSGPRsForWavesPerEU: 4
; NumVGPRsForWavesPerEU: 1
; AccumOffset: 4
; Occupancy: 8
; WaveLimiterHint : 0
; COMPUTE_PGM_RSRC2:SCRATCH_EN: 0
; COMPUTE_PGM_RSRC2:USER_SGPR: 6
; COMPUTE_PGM_RSRC2:TRAP_HANDLER: 0
; COMPUTE_PGM_RSRC2:TGID_X_EN: 1
; COMPUTE_PGM_RSRC2:TGID_Y_EN: 0
; COMPUTE_PGM_RSRC2:TGID_Z_EN: 0
; COMPUTE_PGM_RSRC2:TIDIG_COMP_CNT: 0
; COMPUTE_PGM_RSRC3_GFX90A:ACCUM_OFFSET: 0
; COMPUTE_PGM_RSRC3_GFX90A:TG_SPLIT: 0
	.section	.text._ZN7rocprim17ROCPRIM_400000_NS6detail17trampoline_kernelINS0_14default_configENS1_22reduce_config_selectorIN6thrust23THRUST_200600_302600_NS5tupleIblNS6_9null_typeES8_S8_S8_S8_S8_S8_S8_EEEEZNS1_11reduce_implILb1ES3_NS6_12zip_iteratorINS7_INS6_11hip_rocprim26transform_input_iterator_tIbPN3c108BFloat16ENS6_6detail10functional5actorINSJ_9compositeIJNSJ_27transparent_binary_operatorINS6_8equal_toIvEEEENSK_INSJ_8argumentILj0EEEEENSJ_5valueISG_EEEEEEEEENSD_19counting_iterator_tIlEES8_S8_S8_S8_S8_S8_S8_S8_EEEEPS9_S9_NSD_9__find_if7functorIS9_EEEE10hipError_tPvRmT1_T2_T3_mT4_P12ihipStream_tbEUlT_E0_NS1_11comp_targetILNS1_3genE5ELNS1_11target_archE942ELNS1_3gpuE9ELNS1_3repE0EEENS1_30default_config_static_selectorELNS0_4arch9wavefront6targetE1EEEvS19_,"axG",@progbits,_ZN7rocprim17ROCPRIM_400000_NS6detail17trampoline_kernelINS0_14default_configENS1_22reduce_config_selectorIN6thrust23THRUST_200600_302600_NS5tupleIblNS6_9null_typeES8_S8_S8_S8_S8_S8_S8_EEEEZNS1_11reduce_implILb1ES3_NS6_12zip_iteratorINS7_INS6_11hip_rocprim26transform_input_iterator_tIbPN3c108BFloat16ENS6_6detail10functional5actorINSJ_9compositeIJNSJ_27transparent_binary_operatorINS6_8equal_toIvEEEENSK_INSJ_8argumentILj0EEEEENSJ_5valueISG_EEEEEEEEENSD_19counting_iterator_tIlEES8_S8_S8_S8_S8_S8_S8_S8_EEEEPS9_S9_NSD_9__find_if7functorIS9_EEEE10hipError_tPvRmT1_T2_T3_mT4_P12ihipStream_tbEUlT_E0_NS1_11comp_targetILNS1_3genE5ELNS1_11target_archE942ELNS1_3gpuE9ELNS1_3repE0EEENS1_30default_config_static_selectorELNS0_4arch9wavefront6targetE1EEEvS19_,comdat
	.protected	_ZN7rocprim17ROCPRIM_400000_NS6detail17trampoline_kernelINS0_14default_configENS1_22reduce_config_selectorIN6thrust23THRUST_200600_302600_NS5tupleIblNS6_9null_typeES8_S8_S8_S8_S8_S8_S8_EEEEZNS1_11reduce_implILb1ES3_NS6_12zip_iteratorINS7_INS6_11hip_rocprim26transform_input_iterator_tIbPN3c108BFloat16ENS6_6detail10functional5actorINSJ_9compositeIJNSJ_27transparent_binary_operatorINS6_8equal_toIvEEEENSK_INSJ_8argumentILj0EEEEENSJ_5valueISG_EEEEEEEEENSD_19counting_iterator_tIlEES8_S8_S8_S8_S8_S8_S8_S8_EEEEPS9_S9_NSD_9__find_if7functorIS9_EEEE10hipError_tPvRmT1_T2_T3_mT4_P12ihipStream_tbEUlT_E0_NS1_11comp_targetILNS1_3genE5ELNS1_11target_archE942ELNS1_3gpuE9ELNS1_3repE0EEENS1_30default_config_static_selectorELNS0_4arch9wavefront6targetE1EEEvS19_ ; -- Begin function _ZN7rocprim17ROCPRIM_400000_NS6detail17trampoline_kernelINS0_14default_configENS1_22reduce_config_selectorIN6thrust23THRUST_200600_302600_NS5tupleIblNS6_9null_typeES8_S8_S8_S8_S8_S8_S8_EEEEZNS1_11reduce_implILb1ES3_NS6_12zip_iteratorINS7_INS6_11hip_rocprim26transform_input_iterator_tIbPN3c108BFloat16ENS6_6detail10functional5actorINSJ_9compositeIJNSJ_27transparent_binary_operatorINS6_8equal_toIvEEEENSK_INSJ_8argumentILj0EEEEENSJ_5valueISG_EEEEEEEEENSD_19counting_iterator_tIlEES8_S8_S8_S8_S8_S8_S8_S8_EEEEPS9_S9_NSD_9__find_if7functorIS9_EEEE10hipError_tPvRmT1_T2_T3_mT4_P12ihipStream_tbEUlT_E0_NS1_11comp_targetILNS1_3genE5ELNS1_11target_archE942ELNS1_3gpuE9ELNS1_3repE0EEENS1_30default_config_static_selectorELNS0_4arch9wavefront6targetE1EEEvS19_
	.globl	_ZN7rocprim17ROCPRIM_400000_NS6detail17trampoline_kernelINS0_14default_configENS1_22reduce_config_selectorIN6thrust23THRUST_200600_302600_NS5tupleIblNS6_9null_typeES8_S8_S8_S8_S8_S8_S8_EEEEZNS1_11reduce_implILb1ES3_NS6_12zip_iteratorINS7_INS6_11hip_rocprim26transform_input_iterator_tIbPN3c108BFloat16ENS6_6detail10functional5actorINSJ_9compositeIJNSJ_27transparent_binary_operatorINS6_8equal_toIvEEEENSK_INSJ_8argumentILj0EEEEENSJ_5valueISG_EEEEEEEEENSD_19counting_iterator_tIlEES8_S8_S8_S8_S8_S8_S8_S8_EEEEPS9_S9_NSD_9__find_if7functorIS9_EEEE10hipError_tPvRmT1_T2_T3_mT4_P12ihipStream_tbEUlT_E0_NS1_11comp_targetILNS1_3genE5ELNS1_11target_archE942ELNS1_3gpuE9ELNS1_3repE0EEENS1_30default_config_static_selectorELNS0_4arch9wavefront6targetE1EEEvS19_
	.p2align	8
	.type	_ZN7rocprim17ROCPRIM_400000_NS6detail17trampoline_kernelINS0_14default_configENS1_22reduce_config_selectorIN6thrust23THRUST_200600_302600_NS5tupleIblNS6_9null_typeES8_S8_S8_S8_S8_S8_S8_EEEEZNS1_11reduce_implILb1ES3_NS6_12zip_iteratorINS7_INS6_11hip_rocprim26transform_input_iterator_tIbPN3c108BFloat16ENS6_6detail10functional5actorINSJ_9compositeIJNSJ_27transparent_binary_operatorINS6_8equal_toIvEEEENSK_INSJ_8argumentILj0EEEEENSJ_5valueISG_EEEEEEEEENSD_19counting_iterator_tIlEES8_S8_S8_S8_S8_S8_S8_S8_EEEEPS9_S9_NSD_9__find_if7functorIS9_EEEE10hipError_tPvRmT1_T2_T3_mT4_P12ihipStream_tbEUlT_E0_NS1_11comp_targetILNS1_3genE5ELNS1_11target_archE942ELNS1_3gpuE9ELNS1_3repE0EEENS1_30default_config_static_selectorELNS0_4arch9wavefront6targetE1EEEvS19_,@function
_ZN7rocprim17ROCPRIM_400000_NS6detail17trampoline_kernelINS0_14default_configENS1_22reduce_config_selectorIN6thrust23THRUST_200600_302600_NS5tupleIblNS6_9null_typeES8_S8_S8_S8_S8_S8_S8_EEEEZNS1_11reduce_implILb1ES3_NS6_12zip_iteratorINS7_INS6_11hip_rocprim26transform_input_iterator_tIbPN3c108BFloat16ENS6_6detail10functional5actorINSJ_9compositeIJNSJ_27transparent_binary_operatorINS6_8equal_toIvEEEENSK_INSJ_8argumentILj0EEEEENSJ_5valueISG_EEEEEEEEENSD_19counting_iterator_tIlEES8_S8_S8_S8_S8_S8_S8_S8_EEEEPS9_S9_NSD_9__find_if7functorIS9_EEEE10hipError_tPvRmT1_T2_T3_mT4_P12ihipStream_tbEUlT_E0_NS1_11comp_targetILNS1_3genE5ELNS1_11target_archE942ELNS1_3gpuE9ELNS1_3repE0EEENS1_30default_config_static_selectorELNS0_4arch9wavefront6targetE1EEEvS19_: ; @_ZN7rocprim17ROCPRIM_400000_NS6detail17trampoline_kernelINS0_14default_configENS1_22reduce_config_selectorIN6thrust23THRUST_200600_302600_NS5tupleIblNS6_9null_typeES8_S8_S8_S8_S8_S8_S8_EEEEZNS1_11reduce_implILb1ES3_NS6_12zip_iteratorINS7_INS6_11hip_rocprim26transform_input_iterator_tIbPN3c108BFloat16ENS6_6detail10functional5actorINSJ_9compositeIJNSJ_27transparent_binary_operatorINS6_8equal_toIvEEEENSK_INSJ_8argumentILj0EEEEENSJ_5valueISG_EEEEEEEEENSD_19counting_iterator_tIlEES8_S8_S8_S8_S8_S8_S8_S8_EEEEPS9_S9_NSD_9__find_if7functorIS9_EEEE10hipError_tPvRmT1_T2_T3_mT4_P12ihipStream_tbEUlT_E0_NS1_11comp_targetILNS1_3genE5ELNS1_11target_archE942ELNS1_3gpuE9ELNS1_3repE0EEENS1_30default_config_static_selectorELNS0_4arch9wavefront6targetE1EEEvS19_
; %bb.0:
	.section	.rodata,"a",@progbits
	.p2align	6, 0x0
	.amdhsa_kernel _ZN7rocprim17ROCPRIM_400000_NS6detail17trampoline_kernelINS0_14default_configENS1_22reduce_config_selectorIN6thrust23THRUST_200600_302600_NS5tupleIblNS6_9null_typeES8_S8_S8_S8_S8_S8_S8_EEEEZNS1_11reduce_implILb1ES3_NS6_12zip_iteratorINS7_INS6_11hip_rocprim26transform_input_iterator_tIbPN3c108BFloat16ENS6_6detail10functional5actorINSJ_9compositeIJNSJ_27transparent_binary_operatorINS6_8equal_toIvEEEENSK_INSJ_8argumentILj0EEEEENSJ_5valueISG_EEEEEEEEENSD_19counting_iterator_tIlEES8_S8_S8_S8_S8_S8_S8_S8_EEEEPS9_S9_NSD_9__find_if7functorIS9_EEEE10hipError_tPvRmT1_T2_T3_mT4_P12ihipStream_tbEUlT_E0_NS1_11comp_targetILNS1_3genE5ELNS1_11target_archE942ELNS1_3gpuE9ELNS1_3repE0EEENS1_30default_config_static_selectorELNS0_4arch9wavefront6targetE1EEEvS19_
		.amdhsa_group_segment_fixed_size 0
		.amdhsa_private_segment_fixed_size 0
		.amdhsa_kernarg_size 88
		.amdhsa_user_sgpr_count 6
		.amdhsa_user_sgpr_private_segment_buffer 1
		.amdhsa_user_sgpr_dispatch_ptr 0
		.amdhsa_user_sgpr_queue_ptr 0
		.amdhsa_user_sgpr_kernarg_segment_ptr 1
		.amdhsa_user_sgpr_dispatch_id 0
		.amdhsa_user_sgpr_flat_scratch_init 0
		.amdhsa_user_sgpr_kernarg_preload_length 0
		.amdhsa_user_sgpr_kernarg_preload_offset 0
		.amdhsa_user_sgpr_private_segment_size 0
		.amdhsa_uses_dynamic_stack 0
		.amdhsa_system_sgpr_private_segment_wavefront_offset 0
		.amdhsa_system_sgpr_workgroup_id_x 1
		.amdhsa_system_sgpr_workgroup_id_y 0
		.amdhsa_system_sgpr_workgroup_id_z 0
		.amdhsa_system_sgpr_workgroup_info 0
		.amdhsa_system_vgpr_workitem_id 0
		.amdhsa_next_free_vgpr 1
		.amdhsa_next_free_sgpr 0
		.amdhsa_accum_offset 4
		.amdhsa_reserve_vcc 0
		.amdhsa_reserve_flat_scratch 0
		.amdhsa_float_round_mode_32 0
		.amdhsa_float_round_mode_16_64 0
		.amdhsa_float_denorm_mode_32 3
		.amdhsa_float_denorm_mode_16_64 3
		.amdhsa_dx10_clamp 1
		.amdhsa_ieee_mode 1
		.amdhsa_fp16_overflow 0
		.amdhsa_tg_split 0
		.amdhsa_exception_fp_ieee_invalid_op 0
		.amdhsa_exception_fp_denorm_src 0
		.amdhsa_exception_fp_ieee_div_zero 0
		.amdhsa_exception_fp_ieee_overflow 0
		.amdhsa_exception_fp_ieee_underflow 0
		.amdhsa_exception_fp_ieee_inexact 0
		.amdhsa_exception_int_div_zero 0
	.end_amdhsa_kernel
	.section	.text._ZN7rocprim17ROCPRIM_400000_NS6detail17trampoline_kernelINS0_14default_configENS1_22reduce_config_selectorIN6thrust23THRUST_200600_302600_NS5tupleIblNS6_9null_typeES8_S8_S8_S8_S8_S8_S8_EEEEZNS1_11reduce_implILb1ES3_NS6_12zip_iteratorINS7_INS6_11hip_rocprim26transform_input_iterator_tIbPN3c108BFloat16ENS6_6detail10functional5actorINSJ_9compositeIJNSJ_27transparent_binary_operatorINS6_8equal_toIvEEEENSK_INSJ_8argumentILj0EEEEENSJ_5valueISG_EEEEEEEEENSD_19counting_iterator_tIlEES8_S8_S8_S8_S8_S8_S8_S8_EEEEPS9_S9_NSD_9__find_if7functorIS9_EEEE10hipError_tPvRmT1_T2_T3_mT4_P12ihipStream_tbEUlT_E0_NS1_11comp_targetILNS1_3genE5ELNS1_11target_archE942ELNS1_3gpuE9ELNS1_3repE0EEENS1_30default_config_static_selectorELNS0_4arch9wavefront6targetE1EEEvS19_,"axG",@progbits,_ZN7rocprim17ROCPRIM_400000_NS6detail17trampoline_kernelINS0_14default_configENS1_22reduce_config_selectorIN6thrust23THRUST_200600_302600_NS5tupleIblNS6_9null_typeES8_S8_S8_S8_S8_S8_S8_EEEEZNS1_11reduce_implILb1ES3_NS6_12zip_iteratorINS7_INS6_11hip_rocprim26transform_input_iterator_tIbPN3c108BFloat16ENS6_6detail10functional5actorINSJ_9compositeIJNSJ_27transparent_binary_operatorINS6_8equal_toIvEEEENSK_INSJ_8argumentILj0EEEEENSJ_5valueISG_EEEEEEEEENSD_19counting_iterator_tIlEES8_S8_S8_S8_S8_S8_S8_S8_EEEEPS9_S9_NSD_9__find_if7functorIS9_EEEE10hipError_tPvRmT1_T2_T3_mT4_P12ihipStream_tbEUlT_E0_NS1_11comp_targetILNS1_3genE5ELNS1_11target_archE942ELNS1_3gpuE9ELNS1_3repE0EEENS1_30default_config_static_selectorELNS0_4arch9wavefront6targetE1EEEvS19_,comdat
.Lfunc_end2090:
	.size	_ZN7rocprim17ROCPRIM_400000_NS6detail17trampoline_kernelINS0_14default_configENS1_22reduce_config_selectorIN6thrust23THRUST_200600_302600_NS5tupleIblNS6_9null_typeES8_S8_S8_S8_S8_S8_S8_EEEEZNS1_11reduce_implILb1ES3_NS6_12zip_iteratorINS7_INS6_11hip_rocprim26transform_input_iterator_tIbPN3c108BFloat16ENS6_6detail10functional5actorINSJ_9compositeIJNSJ_27transparent_binary_operatorINS6_8equal_toIvEEEENSK_INSJ_8argumentILj0EEEEENSJ_5valueISG_EEEEEEEEENSD_19counting_iterator_tIlEES8_S8_S8_S8_S8_S8_S8_S8_EEEEPS9_S9_NSD_9__find_if7functorIS9_EEEE10hipError_tPvRmT1_T2_T3_mT4_P12ihipStream_tbEUlT_E0_NS1_11comp_targetILNS1_3genE5ELNS1_11target_archE942ELNS1_3gpuE9ELNS1_3repE0EEENS1_30default_config_static_selectorELNS0_4arch9wavefront6targetE1EEEvS19_, .Lfunc_end2090-_ZN7rocprim17ROCPRIM_400000_NS6detail17trampoline_kernelINS0_14default_configENS1_22reduce_config_selectorIN6thrust23THRUST_200600_302600_NS5tupleIblNS6_9null_typeES8_S8_S8_S8_S8_S8_S8_EEEEZNS1_11reduce_implILb1ES3_NS6_12zip_iteratorINS7_INS6_11hip_rocprim26transform_input_iterator_tIbPN3c108BFloat16ENS6_6detail10functional5actorINSJ_9compositeIJNSJ_27transparent_binary_operatorINS6_8equal_toIvEEEENSK_INSJ_8argumentILj0EEEEENSJ_5valueISG_EEEEEEEEENSD_19counting_iterator_tIlEES8_S8_S8_S8_S8_S8_S8_S8_EEEEPS9_S9_NSD_9__find_if7functorIS9_EEEE10hipError_tPvRmT1_T2_T3_mT4_P12ihipStream_tbEUlT_E0_NS1_11comp_targetILNS1_3genE5ELNS1_11target_archE942ELNS1_3gpuE9ELNS1_3repE0EEENS1_30default_config_static_selectorELNS0_4arch9wavefront6targetE1EEEvS19_
                                        ; -- End function
	.section	.AMDGPU.csdata,"",@progbits
; Kernel info:
; codeLenInByte = 0
; NumSgprs: 4
; NumVgprs: 0
; NumAgprs: 0
; TotalNumVgprs: 0
; ScratchSize: 0
; MemoryBound: 0
; FloatMode: 240
; IeeeMode: 1
; LDSByteSize: 0 bytes/workgroup (compile time only)
; SGPRBlocks: 0
; VGPRBlocks: 0
; NumSGPRsForWavesPerEU: 4
; NumVGPRsForWavesPerEU: 1
; AccumOffset: 4
; Occupancy: 8
; WaveLimiterHint : 0
; COMPUTE_PGM_RSRC2:SCRATCH_EN: 0
; COMPUTE_PGM_RSRC2:USER_SGPR: 6
; COMPUTE_PGM_RSRC2:TRAP_HANDLER: 0
; COMPUTE_PGM_RSRC2:TGID_X_EN: 1
; COMPUTE_PGM_RSRC2:TGID_Y_EN: 0
; COMPUTE_PGM_RSRC2:TGID_Z_EN: 0
; COMPUTE_PGM_RSRC2:TIDIG_COMP_CNT: 0
; COMPUTE_PGM_RSRC3_GFX90A:ACCUM_OFFSET: 0
; COMPUTE_PGM_RSRC3_GFX90A:TG_SPLIT: 0
	.section	.text._ZN7rocprim17ROCPRIM_400000_NS6detail17trampoline_kernelINS0_14default_configENS1_22reduce_config_selectorIN6thrust23THRUST_200600_302600_NS5tupleIblNS6_9null_typeES8_S8_S8_S8_S8_S8_S8_EEEEZNS1_11reduce_implILb1ES3_NS6_12zip_iteratorINS7_INS6_11hip_rocprim26transform_input_iterator_tIbPN3c108BFloat16ENS6_6detail10functional5actorINSJ_9compositeIJNSJ_27transparent_binary_operatorINS6_8equal_toIvEEEENSK_INSJ_8argumentILj0EEEEENSJ_5valueISG_EEEEEEEEENSD_19counting_iterator_tIlEES8_S8_S8_S8_S8_S8_S8_S8_EEEEPS9_S9_NSD_9__find_if7functorIS9_EEEE10hipError_tPvRmT1_T2_T3_mT4_P12ihipStream_tbEUlT_E0_NS1_11comp_targetILNS1_3genE4ELNS1_11target_archE910ELNS1_3gpuE8ELNS1_3repE0EEENS1_30default_config_static_selectorELNS0_4arch9wavefront6targetE1EEEvS19_,"axG",@progbits,_ZN7rocprim17ROCPRIM_400000_NS6detail17trampoline_kernelINS0_14default_configENS1_22reduce_config_selectorIN6thrust23THRUST_200600_302600_NS5tupleIblNS6_9null_typeES8_S8_S8_S8_S8_S8_S8_EEEEZNS1_11reduce_implILb1ES3_NS6_12zip_iteratorINS7_INS6_11hip_rocprim26transform_input_iterator_tIbPN3c108BFloat16ENS6_6detail10functional5actorINSJ_9compositeIJNSJ_27transparent_binary_operatorINS6_8equal_toIvEEEENSK_INSJ_8argumentILj0EEEEENSJ_5valueISG_EEEEEEEEENSD_19counting_iterator_tIlEES8_S8_S8_S8_S8_S8_S8_S8_EEEEPS9_S9_NSD_9__find_if7functorIS9_EEEE10hipError_tPvRmT1_T2_T3_mT4_P12ihipStream_tbEUlT_E0_NS1_11comp_targetILNS1_3genE4ELNS1_11target_archE910ELNS1_3gpuE8ELNS1_3repE0EEENS1_30default_config_static_selectorELNS0_4arch9wavefront6targetE1EEEvS19_,comdat
	.protected	_ZN7rocprim17ROCPRIM_400000_NS6detail17trampoline_kernelINS0_14default_configENS1_22reduce_config_selectorIN6thrust23THRUST_200600_302600_NS5tupleIblNS6_9null_typeES8_S8_S8_S8_S8_S8_S8_EEEEZNS1_11reduce_implILb1ES3_NS6_12zip_iteratorINS7_INS6_11hip_rocprim26transform_input_iterator_tIbPN3c108BFloat16ENS6_6detail10functional5actorINSJ_9compositeIJNSJ_27transparent_binary_operatorINS6_8equal_toIvEEEENSK_INSJ_8argumentILj0EEEEENSJ_5valueISG_EEEEEEEEENSD_19counting_iterator_tIlEES8_S8_S8_S8_S8_S8_S8_S8_EEEEPS9_S9_NSD_9__find_if7functorIS9_EEEE10hipError_tPvRmT1_T2_T3_mT4_P12ihipStream_tbEUlT_E0_NS1_11comp_targetILNS1_3genE4ELNS1_11target_archE910ELNS1_3gpuE8ELNS1_3repE0EEENS1_30default_config_static_selectorELNS0_4arch9wavefront6targetE1EEEvS19_ ; -- Begin function _ZN7rocprim17ROCPRIM_400000_NS6detail17trampoline_kernelINS0_14default_configENS1_22reduce_config_selectorIN6thrust23THRUST_200600_302600_NS5tupleIblNS6_9null_typeES8_S8_S8_S8_S8_S8_S8_EEEEZNS1_11reduce_implILb1ES3_NS6_12zip_iteratorINS7_INS6_11hip_rocprim26transform_input_iterator_tIbPN3c108BFloat16ENS6_6detail10functional5actorINSJ_9compositeIJNSJ_27transparent_binary_operatorINS6_8equal_toIvEEEENSK_INSJ_8argumentILj0EEEEENSJ_5valueISG_EEEEEEEEENSD_19counting_iterator_tIlEES8_S8_S8_S8_S8_S8_S8_S8_EEEEPS9_S9_NSD_9__find_if7functorIS9_EEEE10hipError_tPvRmT1_T2_T3_mT4_P12ihipStream_tbEUlT_E0_NS1_11comp_targetILNS1_3genE4ELNS1_11target_archE910ELNS1_3gpuE8ELNS1_3repE0EEENS1_30default_config_static_selectorELNS0_4arch9wavefront6targetE1EEEvS19_
	.globl	_ZN7rocprim17ROCPRIM_400000_NS6detail17trampoline_kernelINS0_14default_configENS1_22reduce_config_selectorIN6thrust23THRUST_200600_302600_NS5tupleIblNS6_9null_typeES8_S8_S8_S8_S8_S8_S8_EEEEZNS1_11reduce_implILb1ES3_NS6_12zip_iteratorINS7_INS6_11hip_rocprim26transform_input_iterator_tIbPN3c108BFloat16ENS6_6detail10functional5actorINSJ_9compositeIJNSJ_27transparent_binary_operatorINS6_8equal_toIvEEEENSK_INSJ_8argumentILj0EEEEENSJ_5valueISG_EEEEEEEEENSD_19counting_iterator_tIlEES8_S8_S8_S8_S8_S8_S8_S8_EEEEPS9_S9_NSD_9__find_if7functorIS9_EEEE10hipError_tPvRmT1_T2_T3_mT4_P12ihipStream_tbEUlT_E0_NS1_11comp_targetILNS1_3genE4ELNS1_11target_archE910ELNS1_3gpuE8ELNS1_3repE0EEENS1_30default_config_static_selectorELNS0_4arch9wavefront6targetE1EEEvS19_
	.p2align	8
	.type	_ZN7rocprim17ROCPRIM_400000_NS6detail17trampoline_kernelINS0_14default_configENS1_22reduce_config_selectorIN6thrust23THRUST_200600_302600_NS5tupleIblNS6_9null_typeES8_S8_S8_S8_S8_S8_S8_EEEEZNS1_11reduce_implILb1ES3_NS6_12zip_iteratorINS7_INS6_11hip_rocprim26transform_input_iterator_tIbPN3c108BFloat16ENS6_6detail10functional5actorINSJ_9compositeIJNSJ_27transparent_binary_operatorINS6_8equal_toIvEEEENSK_INSJ_8argumentILj0EEEEENSJ_5valueISG_EEEEEEEEENSD_19counting_iterator_tIlEES8_S8_S8_S8_S8_S8_S8_S8_EEEEPS9_S9_NSD_9__find_if7functorIS9_EEEE10hipError_tPvRmT1_T2_T3_mT4_P12ihipStream_tbEUlT_E0_NS1_11comp_targetILNS1_3genE4ELNS1_11target_archE910ELNS1_3gpuE8ELNS1_3repE0EEENS1_30default_config_static_selectorELNS0_4arch9wavefront6targetE1EEEvS19_,@function
_ZN7rocprim17ROCPRIM_400000_NS6detail17trampoline_kernelINS0_14default_configENS1_22reduce_config_selectorIN6thrust23THRUST_200600_302600_NS5tupleIblNS6_9null_typeES8_S8_S8_S8_S8_S8_S8_EEEEZNS1_11reduce_implILb1ES3_NS6_12zip_iteratorINS7_INS6_11hip_rocprim26transform_input_iterator_tIbPN3c108BFloat16ENS6_6detail10functional5actorINSJ_9compositeIJNSJ_27transparent_binary_operatorINS6_8equal_toIvEEEENSK_INSJ_8argumentILj0EEEEENSJ_5valueISG_EEEEEEEEENSD_19counting_iterator_tIlEES8_S8_S8_S8_S8_S8_S8_S8_EEEEPS9_S9_NSD_9__find_if7functorIS9_EEEE10hipError_tPvRmT1_T2_T3_mT4_P12ihipStream_tbEUlT_E0_NS1_11comp_targetILNS1_3genE4ELNS1_11target_archE910ELNS1_3gpuE8ELNS1_3repE0EEENS1_30default_config_static_selectorELNS0_4arch9wavefront6targetE1EEEvS19_: ; @_ZN7rocprim17ROCPRIM_400000_NS6detail17trampoline_kernelINS0_14default_configENS1_22reduce_config_selectorIN6thrust23THRUST_200600_302600_NS5tupleIblNS6_9null_typeES8_S8_S8_S8_S8_S8_S8_EEEEZNS1_11reduce_implILb1ES3_NS6_12zip_iteratorINS7_INS6_11hip_rocprim26transform_input_iterator_tIbPN3c108BFloat16ENS6_6detail10functional5actorINSJ_9compositeIJNSJ_27transparent_binary_operatorINS6_8equal_toIvEEEENSK_INSJ_8argumentILj0EEEEENSJ_5valueISG_EEEEEEEEENSD_19counting_iterator_tIlEES8_S8_S8_S8_S8_S8_S8_S8_EEEEPS9_S9_NSD_9__find_if7functorIS9_EEEE10hipError_tPvRmT1_T2_T3_mT4_P12ihipStream_tbEUlT_E0_NS1_11comp_targetILNS1_3genE4ELNS1_11target_archE910ELNS1_3gpuE8ELNS1_3repE0EEENS1_30default_config_static_selectorELNS0_4arch9wavefront6targetE1EEEvS19_
; %bb.0:
	s_load_dword s2, s[4:5], 0x8
	s_load_dwordx8 s[8:15], s[4:5], 0x10
	s_load_dwordx2 s[0:1], s[4:5], 0x0
	s_load_dwordx4 s[16:19], s[4:5], 0x30
	s_mov_b32 s23, 0
	s_waitcnt lgkmcnt(0)
	s_lshr_b32 s24, s2, 16
	s_lshl_b64 s[2:3], s[10:11], 1
	s_add_u32 s20, s0, s2
	s_addc_u32 s21, s1, s3
	s_lshl_b32 s22, s6, 9
	s_lshr_b64 s[0:1], s[12:13], 9
	s_lshl_b64 s[2:3], s[22:23], 1
	s_add_u32 s20, s20, s2
	s_addc_u32 s21, s21, s3
	s_add_u32 s2, s8, s22
	s_addc_u32 s3, s9, 0
	s_add_u32 s8, s2, s10
	s_mov_b32 s7, s23
	s_addc_u32 s9, s3, s11
	s_cmp_lg_u64 s[0:1], s[6:7]
	v_lshlrev_b32_e32 v1, 1, v0
	s_cbranch_scc0 .LBB2091_18
; %bb.1:
	global_load_ushort v2, v1, s[20:21]
	global_load_ushort v3, v1, s[20:21] offset:512
	v_mov_b32_e32 v4, s9
	v_add_co_u32_e32 v5, vcc, s8, v0
	v_addc_co_u32_e32 v4, vcc, 0, v4, vcc
	v_add_co_u32_e32 v6, vcc, 0x100, v5
	s_lshl_b32 s0, s24, 16
	v_addc_co_u32_e32 v7, vcc, 0, v4, vcc
	s_waitcnt vmcnt(1)
	v_lshlrev_b32_e32 v2, 16, v2
	s_waitcnt vmcnt(0)
	v_lshlrev_b32_e32 v3, 16, v3
	v_cmp_eq_f32_e32 vcc, s0, v3
	v_cmp_eq_f32_e64 s[0:1], s0, v2
	v_cndmask_b32_e64 v3, v7, v4, s[0:1]
	v_cndmask_b32_e64 v2, v6, v5, s[0:1]
	s_or_b64 s[0:1], s[0:1], vcc
	v_cndmask_b32_e64 v6, 0, 1, s[0:1]
	v_mov_b32_dpp v4, v2 quad_perm:[1,0,3,2] row_mask:0xf bank_mask:0xf bound_ctrl:1
	v_mov_b32_dpp v5, v3 quad_perm:[1,0,3,2] row_mask:0xf bank_mask:0xf bound_ctrl:1
	;; [unrolled: 1-line block ×3, first 2 shown]
	v_and_b32_e32 v8, 1, v7
	v_cmp_eq_u32_e32 vcc, 1, v8
	s_and_saveexec_b64 s[2:3], vcc
; %bb.2:
	v_cmp_lt_i64_e32 vcc, v[2:3], v[4:5]
	v_cndmask_b32_e64 v7, v7, 1, s[0:1]
	s_and_b64 vcc, s[0:1], vcc
	v_cndmask_b32_e32 v2, v4, v2, vcc
	v_and_b32_e32 v4, 1, v7
	v_cndmask_b32_e32 v3, v5, v3, vcc
	v_cmp_eq_u32_e32 vcc, 1, v4
	s_andn2_b64 s[0:1], s[0:1], exec
	s_and_b64 s[10:11], vcc, exec
	v_and_b32_e32 v6, 0xff, v7
	s_or_b64 s[0:1], s[0:1], s[10:11]
; %bb.3:
	s_or_b64 exec, exec, s[2:3]
	v_mov_b32_dpp v7, v6 quad_perm:[2,3,0,1] row_mask:0xf bank_mask:0xf bound_ctrl:1
	v_and_b32_e32 v8, 1, v7
	v_mov_b32_dpp v4, v2 quad_perm:[2,3,0,1] row_mask:0xf bank_mask:0xf bound_ctrl:1
	v_mov_b32_dpp v5, v3 quad_perm:[2,3,0,1] row_mask:0xf bank_mask:0xf bound_ctrl:1
	v_cmp_eq_u32_e32 vcc, 1, v8
	s_and_saveexec_b64 s[2:3], vcc
; %bb.4:
	v_cmp_lt_i64_e32 vcc, v[2:3], v[4:5]
	v_cndmask_b32_e64 v7, v7, 1, s[0:1]
	s_and_b64 vcc, s[0:1], vcc
	v_cndmask_b32_e32 v2, v4, v2, vcc
	v_and_b32_e32 v4, 1, v7
	v_cndmask_b32_e32 v3, v5, v3, vcc
	v_cmp_eq_u32_e32 vcc, 1, v4
	s_andn2_b64 s[0:1], s[0:1], exec
	s_and_b64 s[10:11], vcc, exec
	v_and_b32_e32 v6, 0xff, v7
	s_or_b64 s[0:1], s[0:1], s[10:11]
; %bb.5:
	s_or_b64 exec, exec, s[2:3]
	v_mov_b32_dpp v7, v6 row_ror:4 row_mask:0xf bank_mask:0xf bound_ctrl:1
	v_and_b32_e32 v8, 1, v7
	v_mov_b32_dpp v4, v2 row_ror:4 row_mask:0xf bank_mask:0xf bound_ctrl:1
	v_mov_b32_dpp v5, v3 row_ror:4 row_mask:0xf bank_mask:0xf bound_ctrl:1
	v_cmp_eq_u32_e32 vcc, 1, v8
	s_and_saveexec_b64 s[2:3], vcc
; %bb.6:
	v_cmp_lt_i64_e32 vcc, v[2:3], v[4:5]
	v_cndmask_b32_e64 v7, v7, 1, s[0:1]
	s_and_b64 vcc, s[0:1], vcc
	v_cndmask_b32_e32 v2, v4, v2, vcc
	v_and_b32_e32 v4, 1, v7
	v_cndmask_b32_e32 v3, v5, v3, vcc
	v_cmp_eq_u32_e32 vcc, 1, v4
	s_andn2_b64 s[0:1], s[0:1], exec
	s_and_b64 s[10:11], vcc, exec
	v_and_b32_e32 v6, 0xff, v7
	s_or_b64 s[0:1], s[0:1], s[10:11]
; %bb.7:
	s_or_b64 exec, exec, s[2:3]
	v_mov_b32_dpp v7, v6 row_ror:8 row_mask:0xf bank_mask:0xf bound_ctrl:1
	v_and_b32_e32 v8, 1, v7
	v_mov_b32_dpp v4, v2 row_ror:8 row_mask:0xf bank_mask:0xf bound_ctrl:1
	v_mov_b32_dpp v5, v3 row_ror:8 row_mask:0xf bank_mask:0xf bound_ctrl:1
	v_cmp_eq_u32_e32 vcc, 1, v8
	s_and_saveexec_b64 s[2:3], vcc
; %bb.8:
	v_cmp_lt_i64_e32 vcc, v[2:3], v[4:5]
	v_cndmask_b32_e64 v7, v7, 1, s[0:1]
	s_and_b64 vcc, s[0:1], vcc
	v_cndmask_b32_e32 v2, v4, v2, vcc
	v_and_b32_e32 v4, 1, v7
	v_cndmask_b32_e32 v3, v5, v3, vcc
	v_cmp_eq_u32_e32 vcc, 1, v4
	s_andn2_b64 s[0:1], s[0:1], exec
	s_and_b64 s[10:11], vcc, exec
	v_and_b32_e32 v6, 0xff, v7
	s_or_b64 s[0:1], s[0:1], s[10:11]
; %bb.9:
	s_or_b64 exec, exec, s[2:3]
	v_mov_b32_dpp v7, v6 row_bcast:15 row_mask:0xf bank_mask:0xf bound_ctrl:1
	v_and_b32_e32 v8, 1, v7
	v_mov_b32_dpp v4, v2 row_bcast:15 row_mask:0xf bank_mask:0xf bound_ctrl:1
	v_mov_b32_dpp v5, v3 row_bcast:15 row_mask:0xf bank_mask:0xf bound_ctrl:1
	v_cmp_eq_u32_e32 vcc, 1, v8
	s_and_saveexec_b64 s[2:3], vcc
; %bb.10:
	v_cmp_lt_i64_e32 vcc, v[2:3], v[4:5]
	v_cndmask_b32_e64 v7, v7, 1, s[0:1]
	s_and_b64 vcc, s[0:1], vcc
	v_cndmask_b32_e32 v2, v4, v2, vcc
	v_and_b32_e32 v4, 1, v7
	v_cndmask_b32_e32 v3, v5, v3, vcc
	v_cmp_eq_u32_e32 vcc, 1, v4
	s_andn2_b64 s[0:1], s[0:1], exec
	s_and_b64 s[10:11], vcc, exec
	v_and_b32_e32 v6, 0xff, v7
	s_or_b64 s[0:1], s[0:1], s[10:11]
; %bb.11:
	s_or_b64 exec, exec, s[2:3]
	v_mov_b32_dpp v7, v6 row_bcast:31 row_mask:0xf bank_mask:0xf bound_ctrl:1
	v_and_b32_e32 v8, 1, v7
	v_mov_b32_dpp v4, v2 row_bcast:31 row_mask:0xf bank_mask:0xf bound_ctrl:1
	v_mov_b32_dpp v5, v3 row_bcast:31 row_mask:0xf bank_mask:0xf bound_ctrl:1
	v_cmp_eq_u32_e32 vcc, 1, v8
	s_and_saveexec_b64 s[2:3], vcc
; %bb.12:
	v_cmp_lt_i64_e32 vcc, v[2:3], v[4:5]
	v_and_b32_e32 v6, 0xff, v7
	s_and_b64 vcc, s[0:1], vcc
	v_cndmask_b32_e32 v2, v4, v2, vcc
	v_cndmask_b32_e32 v3, v5, v3, vcc
	v_cndmask_b32_e64 v6, v6, 1, s[0:1]
; %bb.13:
	s_or_b64 exec, exec, s[2:3]
	v_mbcnt_lo_u32_b32 v4, -1, 0
	v_mbcnt_hi_u32_b32 v4, -1, v4
	v_bfrev_b32_e32 v5, 0.5
	v_lshl_or_b32 v5, v4, 2, v5
	ds_bpermute_b32 v6, v5, v6
	ds_bpermute_b32 v2, v5, v2
	;; [unrolled: 1-line block ×3, first 2 shown]
	v_cmp_eq_u32_e32 vcc, 0, v4
	s_and_saveexec_b64 s[0:1], vcc
	s_cbranch_execz .LBB2091_15
; %bb.14:
	v_lshrrev_b32_e32 v5, 2, v0
	v_and_b32_e32 v5, 48, v5
	s_waitcnt lgkmcnt(2)
	ds_write_b8 v5, v6
	s_waitcnt lgkmcnt(1)
	ds_write_b64 v5, v[2:3] offset:8
.LBB2091_15:
	s_or_b64 exec, exec, s[0:1]
	v_cmp_gt_u32_e32 vcc, 64, v0
	s_waitcnt lgkmcnt(0)
	s_barrier
	s_and_saveexec_b64 s[2:3], vcc
	s_cbranch_execz .LBB2091_17
; %bb.16:
	v_and_b32_e32 v5, 3, v4
	v_lshlrev_b32_e32 v2, 4, v5
	ds_read_u8 v8, v2
	ds_read_b64 v[2:3], v2 offset:8
	v_cmp_ne_u32_e32 vcc, 3, v5
	v_addc_co_u32_e32 v6, vcc, 0, v4, vcc
	s_waitcnt lgkmcnt(1)
	v_and_b32_e32 v7, 0xff, v8
	v_lshlrev_b32_e32 v9, 2, v6
	ds_bpermute_b32 v10, v9, v7
	s_waitcnt lgkmcnt(1)
	ds_bpermute_b32 v6, v9, v2
	ds_bpermute_b32 v7, v9, v3
	v_and_b32_e32 v9, 1, v8
	s_waitcnt lgkmcnt(2)
	v_and_b32_e32 v11, 1, v10
	v_cmp_eq_u32_e64 s[0:1], 1, v11
	s_waitcnt lgkmcnt(0)
	v_cmp_lt_i64_e32 vcc, v[6:7], v[2:3]
	s_and_b64 vcc, s[0:1], vcc
	v_cndmask_b32_e64 v8, v8, 1, s[0:1]
	v_cndmask_b32_e32 v2, v2, v6, vcc
	v_cndmask_b32_e32 v3, v3, v7, vcc
	v_cmp_eq_u32_e32 vcc, 1, v9
	v_cndmask_b32_e32 v8, v10, v8, vcc
	v_cndmask_b32_e32 v3, v7, v3, vcc
	v_cndmask_b32_e32 v2, v6, v2, vcc
	v_cmp_gt_u32_e32 vcc, 2, v5
	v_cndmask_b32_e64 v5, 0, 1, vcc
	v_lshlrev_b32_e32 v5, 1, v5
	v_and_b32_e32 v6, 0xff, v8
	v_add_lshl_u32 v5, v5, v4, 2
	ds_bpermute_b32 v6, v5, v6
	ds_bpermute_b32 v4, v5, v2
	;; [unrolled: 1-line block ×3, first 2 shown]
	v_and_b32_e32 v7, 1, v8
	s_waitcnt lgkmcnt(2)
	v_and_b32_e32 v9, 1, v6
	v_cmp_eq_u32_e64 s[0:1], 1, v9
	s_waitcnt lgkmcnt(0)
	v_cmp_lt_i64_e32 vcc, v[4:5], v[2:3]
	s_and_b64 vcc, s[0:1], vcc
	v_cndmask_b32_e64 v8, v8, 1, s[0:1]
	v_cndmask_b32_e32 v2, v2, v4, vcc
	v_cndmask_b32_e32 v3, v3, v5, vcc
	v_cmp_eq_u32_e32 vcc, 1, v7
	v_cndmask_b32_e32 v6, v6, v8, vcc
	v_cndmask_b32_e32 v3, v5, v3, vcc
	;; [unrolled: 1-line block ×3, first 2 shown]
	v_and_b32_e32 v6, 0xff, v6
.LBB2091_17:
	s_or_b64 exec, exec, s[2:3]
	s_load_dword s10, s[4:5], 0x40
	s_load_dwordx2 s[2:3], s[4:5], 0x48
	s_branch .LBB2091_46
.LBB2091_18:
                                        ; implicit-def: $vgpr2_vgpr3
                                        ; implicit-def: $vgpr6
	s_load_dword s10, s[4:5], 0x40
	s_load_dwordx2 s[2:3], s[4:5], 0x48
	s_cbranch_execz .LBB2091_46
; %bb.19:
	s_sub_i32 s11, s12, s22
	v_pk_mov_b32 v[4:5], 0, 0
	s_lshl_b32 s22, s24, 16
	v_cmp_gt_u32_e32 vcc, s11, v0
	v_mov_b32_e32 v6, 0
	v_pk_mov_b32 v[2:3], v[4:5], v[4:5] op_sel:[0,1]
	v_mov_b32_e32 v7, 0
	s_and_saveexec_b64 s[0:1], vcc
	s_cbranch_execz .LBB2091_21
; %bb.20:
	global_load_ushort v7, v1, s[20:21]
	v_mov_b32_e32 v3, s9
	v_add_co_u32_e32 v2, vcc, s8, v0
	v_addc_co_u32_e32 v3, vcc, 0, v3, vcc
	s_waitcnt vmcnt(0)
	v_lshlrev_b32_e32 v7, 16, v7
	v_cmp_eq_f32_e32 vcc, s22, v7
	v_cndmask_b32_e64 v7, 0, 1, vcc
.LBB2091_21:
	s_or_b64 exec, exec, s[0:1]
	v_or_b32_e32 v8, 0x100, v0
	v_cmp_gt_u32_e32 vcc, s11, v8
	s_and_saveexec_b64 s[4:5], vcc
	s_cbranch_execz .LBB2091_23
; %bb.22:
	global_load_ushort v1, v1, s[20:21] offset:512
	v_mov_b32_e32 v5, s9
	v_add_co_u32_e64 v4, s[0:1], s8, v8
	v_addc_co_u32_e64 v5, s[0:1], 0, v5, s[0:1]
	s_waitcnt vmcnt(0)
	v_lshlrev_b32_e32 v1, 16, v1
	v_cmp_eq_f32_e64 s[0:1], s22, v1
	v_cndmask_b32_e64 v6, 0, 1, s[0:1]
.LBB2091_23:
	s_or_b64 exec, exec, s[4:5]
	s_and_saveexec_b64 s[4:5], vcc
	s_cbranch_execz .LBB2091_25
; %bb.24:
	v_and_b32_e32 v8, 1, v6
	v_cmp_lt_i64_e32 vcc, v[4:5], v[2:3]
	v_cmp_eq_u32_e64 s[0:1], 1, v8
	v_and_b32_e32 v1, 1, v7
	s_and_b64 vcc, s[0:1], vcc
	v_cndmask_b32_e64 v7, v7, 1, s[0:1]
	v_cndmask_b32_e32 v2, v2, v4, vcc
	v_cndmask_b32_e32 v3, v3, v5, vcc
	v_cmp_eq_u32_e32 vcc, 1, v1
	v_cndmask_b32_e32 v7, v6, v7, vcc
	v_cndmask_b32_e32 v3, v5, v3, vcc
	v_cndmask_b32_e32 v2, v4, v2, vcc
.LBB2091_25:
	s_or_b64 exec, exec, s[4:5]
	v_mbcnt_lo_u32_b32 v1, -1, 0
	v_mbcnt_hi_u32_b32 v1, -1, v1
	v_and_b32_e32 v8, 63, v1
	v_cmp_ne_u32_e32 vcc, 63, v8
	v_addc_co_u32_e32 v4, vcc, 0, v1, vcc
	v_and_b32_e32 v6, 0xffff, v7
	v_lshlrev_b32_e32 v5, 2, v4
	ds_bpermute_b32 v10, v5, v6
	ds_bpermute_b32 v4, v5, v2
	;; [unrolled: 1-line block ×3, first 2 shown]
	s_min_u32 s8, s11, 0x100
	v_and_b32_e32 v9, 0xc0, v0
	v_sub_u32_e64 v9, s8, v9 clamp
	v_add_u32_e32 v11, 1, v8
	v_cmp_lt_u32_e32 vcc, v11, v9
	s_and_saveexec_b64 s[4:5], vcc
	s_cbranch_execz .LBB2091_27
; %bb.26:
	s_waitcnt lgkmcnt(0)
	v_and_b32_e32 v11, 1, v10
	v_cmp_lt_i64_e32 vcc, v[4:5], v[2:3]
	v_cmp_eq_u32_e64 s[0:1], 1, v11
	v_and_b32_e32 v6, 1, v7
	s_and_b64 vcc, s[0:1], vcc
	v_cndmask_b32_e64 v7, v7, 1, s[0:1]
	v_cndmask_b32_e32 v2, v2, v4, vcc
	v_cndmask_b32_e32 v3, v3, v5, vcc
	v_cmp_eq_u32_e32 vcc, 1, v6
	v_cndmask_b32_e32 v7, v10, v7, vcc
	v_cndmask_b32_e32 v3, v5, v3, vcc
	;; [unrolled: 1-line block ×3, first 2 shown]
	v_and_b32_e32 v6, 0xff, v7
.LBB2091_27:
	s_or_b64 exec, exec, s[4:5]
	v_cmp_gt_u32_e32 vcc, 62, v8
	s_waitcnt lgkmcnt(0)
	v_cndmask_b32_e64 v4, 0, 1, vcc
	v_lshlrev_b32_e32 v4, 1, v4
	v_add_lshl_u32 v5, v4, v1, 2
	ds_bpermute_b32 v10, v5, v6
	ds_bpermute_b32 v4, v5, v2
	ds_bpermute_b32 v5, v5, v3
	v_add_u32_e32 v11, 2, v8
	v_cmp_lt_u32_e32 vcc, v11, v9
	s_and_saveexec_b64 s[4:5], vcc
	s_cbranch_execz .LBB2091_29
; %bb.28:
	s_waitcnt lgkmcnt(2)
	v_and_b32_e32 v11, 1, v10
	s_waitcnt lgkmcnt(0)
	v_cmp_lt_i64_e32 vcc, v[4:5], v[2:3]
	v_cmp_eq_u32_e64 s[0:1], 1, v11
	v_and_b32_e32 v6, 1, v7
	s_and_b64 vcc, s[0:1], vcc
	v_cndmask_b32_e64 v7, v7, 1, s[0:1]
	v_cndmask_b32_e32 v2, v2, v4, vcc
	v_cndmask_b32_e32 v3, v3, v5, vcc
	v_cmp_eq_u32_e32 vcc, 1, v6
	v_cndmask_b32_e32 v7, v10, v7, vcc
	v_cndmask_b32_e32 v3, v5, v3, vcc
	v_cndmask_b32_e32 v2, v4, v2, vcc
	v_and_b32_e32 v6, 0xff, v7
.LBB2091_29:
	s_or_b64 exec, exec, s[4:5]
	v_cmp_gt_u32_e32 vcc, 60, v8
	s_waitcnt lgkmcnt(1)
	v_cndmask_b32_e64 v4, 0, 1, vcc
	v_lshlrev_b32_e32 v4, 2, v4
	s_waitcnt lgkmcnt(0)
	v_add_lshl_u32 v5, v4, v1, 2
	ds_bpermute_b32 v10, v5, v6
	ds_bpermute_b32 v4, v5, v2
	ds_bpermute_b32 v5, v5, v3
	v_add_u32_e32 v11, 4, v8
	v_cmp_lt_u32_e32 vcc, v11, v9
	s_and_saveexec_b64 s[4:5], vcc
	s_cbranch_execz .LBB2091_31
; %bb.30:
	s_waitcnt lgkmcnt(2)
	v_and_b32_e32 v11, 1, v10
	s_waitcnt lgkmcnt(0)
	v_cmp_lt_i64_e32 vcc, v[4:5], v[2:3]
	v_cmp_eq_u32_e64 s[0:1], 1, v11
	v_and_b32_e32 v6, 1, v7
	s_and_b64 vcc, s[0:1], vcc
	v_cndmask_b32_e64 v7, v7, 1, s[0:1]
	v_cndmask_b32_e32 v2, v2, v4, vcc
	v_cndmask_b32_e32 v3, v3, v5, vcc
	v_cmp_eq_u32_e32 vcc, 1, v6
	v_cndmask_b32_e32 v7, v10, v7, vcc
	v_cndmask_b32_e32 v3, v5, v3, vcc
	v_cndmask_b32_e32 v2, v4, v2, vcc
	v_and_b32_e32 v6, 0xff, v7
.LBB2091_31:
	s_or_b64 exec, exec, s[4:5]
	v_cmp_gt_u32_e32 vcc, 56, v8
	s_waitcnt lgkmcnt(1)
	v_cndmask_b32_e64 v4, 0, 1, vcc
	v_lshlrev_b32_e32 v4, 3, v4
	s_waitcnt lgkmcnt(0)
	;; [unrolled: 31-line block ×4, first 2 shown]
	v_add_lshl_u32 v5, v4, v1, 2
	ds_bpermute_b32 v10, v5, v6
	ds_bpermute_b32 v4, v5, v2
	;; [unrolled: 1-line block ×3, first 2 shown]
	v_add_u32_e32 v8, 32, v8
	v_cmp_lt_u32_e32 vcc, v8, v9
	s_and_saveexec_b64 s[4:5], vcc
	s_cbranch_execz .LBB2091_37
; %bb.36:
	s_waitcnt lgkmcnt(2)
	v_and_b32_e32 v8, 1, v10
	s_waitcnt lgkmcnt(0)
	v_cmp_lt_i64_e32 vcc, v[4:5], v[2:3]
	v_cmp_eq_u32_e64 s[0:1], 1, v8
	v_and_b32_e32 v6, 1, v7
	s_and_b64 vcc, s[0:1], vcc
	v_cndmask_b32_e64 v7, v7, 1, s[0:1]
	v_cndmask_b32_e32 v2, v2, v4, vcc
	v_cndmask_b32_e32 v3, v3, v5, vcc
	v_cmp_eq_u32_e32 vcc, 1, v6
	v_cndmask_b32_e32 v7, v10, v7, vcc
	v_cndmask_b32_e32 v3, v5, v3, vcc
	v_cndmask_b32_e32 v2, v4, v2, vcc
	v_and_b32_e32 v6, 0xff, v7
.LBB2091_37:
	s_or_b64 exec, exec, s[4:5]
	v_cmp_eq_u32_e32 vcc, 0, v1
	s_and_saveexec_b64 s[0:1], vcc
	s_cbranch_execz .LBB2091_39
; %bb.38:
	s_waitcnt lgkmcnt(1)
	v_lshrrev_b32_e32 v4, 2, v0
	v_and_b32_e32 v4, 48, v4
	ds_write_b8 v4, v7 offset:64
	ds_write_b64 v4, v[2:3] offset:72
.LBB2091_39:
	s_or_b64 exec, exec, s[0:1]
	v_cmp_gt_u32_e32 vcc, 4, v0
	s_waitcnt lgkmcnt(0)
	s_barrier
	s_and_saveexec_b64 s[4:5], vcc
	s_cbranch_execz .LBB2091_45
; %bb.40:
	v_lshlrev_b32_e32 v2, 4, v1
	ds_read_u8 v7, v2 offset:64
	ds_read_b64 v[2:3], v2 offset:72
	v_and_b32_e32 v8, 3, v1
	v_cmp_ne_u32_e32 vcc, 3, v8
	v_addc_co_u32_e32 v4, vcc, 0, v1, vcc
	s_waitcnt lgkmcnt(1)
	v_and_b32_e32 v6, 0xff, v7
	v_lshlrev_b32_e32 v5, 2, v4
	ds_bpermute_b32 v9, v5, v6
	s_waitcnt lgkmcnt(1)
	ds_bpermute_b32 v4, v5, v2
	ds_bpermute_b32 v5, v5, v3
	s_add_i32 s8, s8, 63
	s_lshr_b32 s11, s8, 6
	v_add_u32_e32 v10, 1, v8
	v_cmp_gt_u32_e32 vcc, s11, v10
	s_and_saveexec_b64 s[8:9], vcc
	s_cbranch_execz .LBB2091_42
; %bb.41:
	s_waitcnt lgkmcnt(2)
	v_and_b32_e32 v10, 1, v9
	s_waitcnt lgkmcnt(0)
	v_cmp_lt_i64_e32 vcc, v[4:5], v[2:3]
	v_cmp_eq_u32_e64 s[0:1], 1, v10
	v_and_b32_e32 v6, 1, v7
	s_and_b64 vcc, s[0:1], vcc
	v_cndmask_b32_e64 v7, v7, 1, s[0:1]
	v_cndmask_b32_e32 v2, v2, v4, vcc
	v_cndmask_b32_e32 v3, v3, v5, vcc
	v_cmp_eq_u32_e32 vcc, 1, v6
	v_cndmask_b32_e32 v7, v9, v7, vcc
	v_cndmask_b32_e32 v3, v5, v3, vcc
	;; [unrolled: 1-line block ×3, first 2 shown]
	v_and_b32_e32 v6, 0xff, v7
.LBB2091_42:
	s_or_b64 exec, exec, s[8:9]
	v_cmp_gt_u32_e32 vcc, 2, v8
	s_waitcnt lgkmcnt(1)
	v_cndmask_b32_e64 v4, 0, 1, vcc
	v_lshlrev_b32_e32 v4, 1, v4
	s_waitcnt lgkmcnt(0)
	v_add_lshl_u32 v5, v4, v1, 2
	ds_bpermute_b32 v1, v5, v6
	ds_bpermute_b32 v4, v5, v2
	;; [unrolled: 1-line block ×3, first 2 shown]
	v_add_u32_e32 v8, 2, v8
	v_cmp_gt_u32_e32 vcc, s11, v8
	s_and_saveexec_b64 s[8:9], vcc
	s_cbranch_execz .LBB2091_44
; %bb.43:
	s_waitcnt lgkmcnt(2)
	v_and_b32_e32 v8, 1, v1
	s_waitcnt lgkmcnt(0)
	v_cmp_lt_i64_e32 vcc, v[4:5], v[2:3]
	v_cmp_eq_u32_e64 s[0:1], 1, v8
	v_and_b32_e32 v6, 1, v7
	s_and_b64 vcc, s[0:1], vcc
	v_cndmask_b32_e64 v7, v7, 1, s[0:1]
	v_cndmask_b32_e32 v2, v2, v4, vcc
	v_cndmask_b32_e32 v3, v3, v5, vcc
	v_cmp_eq_u32_e32 vcc, 1, v6
	v_cndmask_b32_e32 v1, v1, v7, vcc
	v_cndmask_b32_e32 v3, v5, v3, vcc
	;; [unrolled: 1-line block ×3, first 2 shown]
	v_and_b32_e32 v6, 0xff, v1
.LBB2091_44:
	s_or_b64 exec, exec, s[8:9]
.LBB2091_45:
	s_or_b64 exec, exec, s[4:5]
.LBB2091_46:
	v_cmp_eq_u32_e32 vcc, 0, v0
	s_and_saveexec_b64 s[0:1], vcc
	s_cbranch_execnz .LBB2091_48
; %bb.47:
	s_endpgm
.LBB2091_48:
	s_mul_i32 s0, s18, s17
	s_mul_hi_u32 s1, s18, s16
	s_add_i32 s0, s1, s0
	s_mul_i32 s1, s19, s16
	s_add_i32 s1, s0, s1
	s_mul_i32 s0, s18, s16
	s_lshl_b64 s[0:1], s[0:1], 4
	s_add_u32 s4, s14, s0
	s_addc_u32 s5, s15, s1
	s_cmp_eq_u64 s[12:13], 0
	s_waitcnt lgkmcnt(0)
	v_mov_b32_e32 v0, s3
	s_cselect_b64 vcc, -1, 0
	v_cndmask_b32_e32 v1, v3, v0, vcc
	v_mov_b32_e32 v0, s2
	s_lshl_b64 s[0:1], s[6:7], 4
	v_cndmask_b32_e32 v0, v2, v0, vcc
	v_mov_b32_e32 v2, s10
	s_add_u32 s0, s4, s0
	v_cndmask_b32_e32 v2, v6, v2, vcc
	s_addc_u32 s1, s5, s1
	v_mov_b32_e32 v3, 0
	global_store_byte v3, v2, s[0:1]
	global_store_dwordx2 v3, v[0:1], s[0:1] offset:8
	s_endpgm
	.section	.rodata,"a",@progbits
	.p2align	6, 0x0
	.amdhsa_kernel _ZN7rocprim17ROCPRIM_400000_NS6detail17trampoline_kernelINS0_14default_configENS1_22reduce_config_selectorIN6thrust23THRUST_200600_302600_NS5tupleIblNS6_9null_typeES8_S8_S8_S8_S8_S8_S8_EEEEZNS1_11reduce_implILb1ES3_NS6_12zip_iteratorINS7_INS6_11hip_rocprim26transform_input_iterator_tIbPN3c108BFloat16ENS6_6detail10functional5actorINSJ_9compositeIJNSJ_27transparent_binary_operatorINS6_8equal_toIvEEEENSK_INSJ_8argumentILj0EEEEENSJ_5valueISG_EEEEEEEEENSD_19counting_iterator_tIlEES8_S8_S8_S8_S8_S8_S8_S8_EEEEPS9_S9_NSD_9__find_if7functorIS9_EEEE10hipError_tPvRmT1_T2_T3_mT4_P12ihipStream_tbEUlT_E0_NS1_11comp_targetILNS1_3genE4ELNS1_11target_archE910ELNS1_3gpuE8ELNS1_3repE0EEENS1_30default_config_static_selectorELNS0_4arch9wavefront6targetE1EEEvS19_
		.amdhsa_group_segment_fixed_size 128
		.amdhsa_private_segment_fixed_size 0
		.amdhsa_kernarg_size 88
		.amdhsa_user_sgpr_count 6
		.amdhsa_user_sgpr_private_segment_buffer 1
		.amdhsa_user_sgpr_dispatch_ptr 0
		.amdhsa_user_sgpr_queue_ptr 0
		.amdhsa_user_sgpr_kernarg_segment_ptr 1
		.amdhsa_user_sgpr_dispatch_id 0
		.amdhsa_user_sgpr_flat_scratch_init 0
		.amdhsa_user_sgpr_kernarg_preload_length 0
		.amdhsa_user_sgpr_kernarg_preload_offset 0
		.amdhsa_user_sgpr_private_segment_size 0
		.amdhsa_uses_dynamic_stack 0
		.amdhsa_system_sgpr_private_segment_wavefront_offset 0
		.amdhsa_system_sgpr_workgroup_id_x 1
		.amdhsa_system_sgpr_workgroup_id_y 0
		.amdhsa_system_sgpr_workgroup_id_z 0
		.amdhsa_system_sgpr_workgroup_info 0
		.amdhsa_system_vgpr_workitem_id 0
		.amdhsa_next_free_vgpr 12
		.amdhsa_next_free_sgpr 25
		.amdhsa_accum_offset 12
		.amdhsa_reserve_vcc 1
		.amdhsa_reserve_flat_scratch 0
		.amdhsa_float_round_mode_32 0
		.amdhsa_float_round_mode_16_64 0
		.amdhsa_float_denorm_mode_32 3
		.amdhsa_float_denorm_mode_16_64 3
		.amdhsa_dx10_clamp 1
		.amdhsa_ieee_mode 1
		.amdhsa_fp16_overflow 0
		.amdhsa_tg_split 0
		.amdhsa_exception_fp_ieee_invalid_op 0
		.amdhsa_exception_fp_denorm_src 0
		.amdhsa_exception_fp_ieee_div_zero 0
		.amdhsa_exception_fp_ieee_overflow 0
		.amdhsa_exception_fp_ieee_underflow 0
		.amdhsa_exception_fp_ieee_inexact 0
		.amdhsa_exception_int_div_zero 0
	.end_amdhsa_kernel
	.section	.text._ZN7rocprim17ROCPRIM_400000_NS6detail17trampoline_kernelINS0_14default_configENS1_22reduce_config_selectorIN6thrust23THRUST_200600_302600_NS5tupleIblNS6_9null_typeES8_S8_S8_S8_S8_S8_S8_EEEEZNS1_11reduce_implILb1ES3_NS6_12zip_iteratorINS7_INS6_11hip_rocprim26transform_input_iterator_tIbPN3c108BFloat16ENS6_6detail10functional5actorINSJ_9compositeIJNSJ_27transparent_binary_operatorINS6_8equal_toIvEEEENSK_INSJ_8argumentILj0EEEEENSJ_5valueISG_EEEEEEEEENSD_19counting_iterator_tIlEES8_S8_S8_S8_S8_S8_S8_S8_EEEEPS9_S9_NSD_9__find_if7functorIS9_EEEE10hipError_tPvRmT1_T2_T3_mT4_P12ihipStream_tbEUlT_E0_NS1_11comp_targetILNS1_3genE4ELNS1_11target_archE910ELNS1_3gpuE8ELNS1_3repE0EEENS1_30default_config_static_selectorELNS0_4arch9wavefront6targetE1EEEvS19_,"axG",@progbits,_ZN7rocprim17ROCPRIM_400000_NS6detail17trampoline_kernelINS0_14default_configENS1_22reduce_config_selectorIN6thrust23THRUST_200600_302600_NS5tupleIblNS6_9null_typeES8_S8_S8_S8_S8_S8_S8_EEEEZNS1_11reduce_implILb1ES3_NS6_12zip_iteratorINS7_INS6_11hip_rocprim26transform_input_iterator_tIbPN3c108BFloat16ENS6_6detail10functional5actorINSJ_9compositeIJNSJ_27transparent_binary_operatorINS6_8equal_toIvEEEENSK_INSJ_8argumentILj0EEEEENSJ_5valueISG_EEEEEEEEENSD_19counting_iterator_tIlEES8_S8_S8_S8_S8_S8_S8_S8_EEEEPS9_S9_NSD_9__find_if7functorIS9_EEEE10hipError_tPvRmT1_T2_T3_mT4_P12ihipStream_tbEUlT_E0_NS1_11comp_targetILNS1_3genE4ELNS1_11target_archE910ELNS1_3gpuE8ELNS1_3repE0EEENS1_30default_config_static_selectorELNS0_4arch9wavefront6targetE1EEEvS19_,comdat
.Lfunc_end2091:
	.size	_ZN7rocprim17ROCPRIM_400000_NS6detail17trampoline_kernelINS0_14default_configENS1_22reduce_config_selectorIN6thrust23THRUST_200600_302600_NS5tupleIblNS6_9null_typeES8_S8_S8_S8_S8_S8_S8_EEEEZNS1_11reduce_implILb1ES3_NS6_12zip_iteratorINS7_INS6_11hip_rocprim26transform_input_iterator_tIbPN3c108BFloat16ENS6_6detail10functional5actorINSJ_9compositeIJNSJ_27transparent_binary_operatorINS6_8equal_toIvEEEENSK_INSJ_8argumentILj0EEEEENSJ_5valueISG_EEEEEEEEENSD_19counting_iterator_tIlEES8_S8_S8_S8_S8_S8_S8_S8_EEEEPS9_S9_NSD_9__find_if7functorIS9_EEEE10hipError_tPvRmT1_T2_T3_mT4_P12ihipStream_tbEUlT_E0_NS1_11comp_targetILNS1_3genE4ELNS1_11target_archE910ELNS1_3gpuE8ELNS1_3repE0EEENS1_30default_config_static_selectorELNS0_4arch9wavefront6targetE1EEEvS19_, .Lfunc_end2091-_ZN7rocprim17ROCPRIM_400000_NS6detail17trampoline_kernelINS0_14default_configENS1_22reduce_config_selectorIN6thrust23THRUST_200600_302600_NS5tupleIblNS6_9null_typeES8_S8_S8_S8_S8_S8_S8_EEEEZNS1_11reduce_implILb1ES3_NS6_12zip_iteratorINS7_INS6_11hip_rocprim26transform_input_iterator_tIbPN3c108BFloat16ENS6_6detail10functional5actorINSJ_9compositeIJNSJ_27transparent_binary_operatorINS6_8equal_toIvEEEENSK_INSJ_8argumentILj0EEEEENSJ_5valueISG_EEEEEEEEENSD_19counting_iterator_tIlEES8_S8_S8_S8_S8_S8_S8_S8_EEEEPS9_S9_NSD_9__find_if7functorIS9_EEEE10hipError_tPvRmT1_T2_T3_mT4_P12ihipStream_tbEUlT_E0_NS1_11comp_targetILNS1_3genE4ELNS1_11target_archE910ELNS1_3gpuE8ELNS1_3repE0EEENS1_30default_config_static_selectorELNS0_4arch9wavefront6targetE1EEEvS19_
                                        ; -- End function
	.section	.AMDGPU.csdata,"",@progbits
; Kernel info:
; codeLenInByte = 2832
; NumSgprs: 29
; NumVgprs: 12
; NumAgprs: 0
; TotalNumVgprs: 12
; ScratchSize: 0
; MemoryBound: 0
; FloatMode: 240
; IeeeMode: 1
; LDSByteSize: 128 bytes/workgroup (compile time only)
; SGPRBlocks: 3
; VGPRBlocks: 1
; NumSGPRsForWavesPerEU: 29
; NumVGPRsForWavesPerEU: 12
; AccumOffset: 12
; Occupancy: 8
; WaveLimiterHint : 1
; COMPUTE_PGM_RSRC2:SCRATCH_EN: 0
; COMPUTE_PGM_RSRC2:USER_SGPR: 6
; COMPUTE_PGM_RSRC2:TRAP_HANDLER: 0
; COMPUTE_PGM_RSRC2:TGID_X_EN: 1
; COMPUTE_PGM_RSRC2:TGID_Y_EN: 0
; COMPUTE_PGM_RSRC2:TGID_Z_EN: 0
; COMPUTE_PGM_RSRC2:TIDIG_COMP_CNT: 0
; COMPUTE_PGM_RSRC3_GFX90A:ACCUM_OFFSET: 2
; COMPUTE_PGM_RSRC3_GFX90A:TG_SPLIT: 0
	.section	.text._ZN7rocprim17ROCPRIM_400000_NS6detail17trampoline_kernelINS0_14default_configENS1_22reduce_config_selectorIN6thrust23THRUST_200600_302600_NS5tupleIblNS6_9null_typeES8_S8_S8_S8_S8_S8_S8_EEEEZNS1_11reduce_implILb1ES3_NS6_12zip_iteratorINS7_INS6_11hip_rocprim26transform_input_iterator_tIbPN3c108BFloat16ENS6_6detail10functional5actorINSJ_9compositeIJNSJ_27transparent_binary_operatorINS6_8equal_toIvEEEENSK_INSJ_8argumentILj0EEEEENSJ_5valueISG_EEEEEEEEENSD_19counting_iterator_tIlEES8_S8_S8_S8_S8_S8_S8_S8_EEEEPS9_S9_NSD_9__find_if7functorIS9_EEEE10hipError_tPvRmT1_T2_T3_mT4_P12ihipStream_tbEUlT_E0_NS1_11comp_targetILNS1_3genE3ELNS1_11target_archE908ELNS1_3gpuE7ELNS1_3repE0EEENS1_30default_config_static_selectorELNS0_4arch9wavefront6targetE1EEEvS19_,"axG",@progbits,_ZN7rocprim17ROCPRIM_400000_NS6detail17trampoline_kernelINS0_14default_configENS1_22reduce_config_selectorIN6thrust23THRUST_200600_302600_NS5tupleIblNS6_9null_typeES8_S8_S8_S8_S8_S8_S8_EEEEZNS1_11reduce_implILb1ES3_NS6_12zip_iteratorINS7_INS6_11hip_rocprim26transform_input_iterator_tIbPN3c108BFloat16ENS6_6detail10functional5actorINSJ_9compositeIJNSJ_27transparent_binary_operatorINS6_8equal_toIvEEEENSK_INSJ_8argumentILj0EEEEENSJ_5valueISG_EEEEEEEEENSD_19counting_iterator_tIlEES8_S8_S8_S8_S8_S8_S8_S8_EEEEPS9_S9_NSD_9__find_if7functorIS9_EEEE10hipError_tPvRmT1_T2_T3_mT4_P12ihipStream_tbEUlT_E0_NS1_11comp_targetILNS1_3genE3ELNS1_11target_archE908ELNS1_3gpuE7ELNS1_3repE0EEENS1_30default_config_static_selectorELNS0_4arch9wavefront6targetE1EEEvS19_,comdat
	.protected	_ZN7rocprim17ROCPRIM_400000_NS6detail17trampoline_kernelINS0_14default_configENS1_22reduce_config_selectorIN6thrust23THRUST_200600_302600_NS5tupleIblNS6_9null_typeES8_S8_S8_S8_S8_S8_S8_EEEEZNS1_11reduce_implILb1ES3_NS6_12zip_iteratorINS7_INS6_11hip_rocprim26transform_input_iterator_tIbPN3c108BFloat16ENS6_6detail10functional5actorINSJ_9compositeIJNSJ_27transparent_binary_operatorINS6_8equal_toIvEEEENSK_INSJ_8argumentILj0EEEEENSJ_5valueISG_EEEEEEEEENSD_19counting_iterator_tIlEES8_S8_S8_S8_S8_S8_S8_S8_EEEEPS9_S9_NSD_9__find_if7functorIS9_EEEE10hipError_tPvRmT1_T2_T3_mT4_P12ihipStream_tbEUlT_E0_NS1_11comp_targetILNS1_3genE3ELNS1_11target_archE908ELNS1_3gpuE7ELNS1_3repE0EEENS1_30default_config_static_selectorELNS0_4arch9wavefront6targetE1EEEvS19_ ; -- Begin function _ZN7rocprim17ROCPRIM_400000_NS6detail17trampoline_kernelINS0_14default_configENS1_22reduce_config_selectorIN6thrust23THRUST_200600_302600_NS5tupleIblNS6_9null_typeES8_S8_S8_S8_S8_S8_S8_EEEEZNS1_11reduce_implILb1ES3_NS6_12zip_iteratorINS7_INS6_11hip_rocprim26transform_input_iterator_tIbPN3c108BFloat16ENS6_6detail10functional5actorINSJ_9compositeIJNSJ_27transparent_binary_operatorINS6_8equal_toIvEEEENSK_INSJ_8argumentILj0EEEEENSJ_5valueISG_EEEEEEEEENSD_19counting_iterator_tIlEES8_S8_S8_S8_S8_S8_S8_S8_EEEEPS9_S9_NSD_9__find_if7functorIS9_EEEE10hipError_tPvRmT1_T2_T3_mT4_P12ihipStream_tbEUlT_E0_NS1_11comp_targetILNS1_3genE3ELNS1_11target_archE908ELNS1_3gpuE7ELNS1_3repE0EEENS1_30default_config_static_selectorELNS0_4arch9wavefront6targetE1EEEvS19_
	.globl	_ZN7rocprim17ROCPRIM_400000_NS6detail17trampoline_kernelINS0_14default_configENS1_22reduce_config_selectorIN6thrust23THRUST_200600_302600_NS5tupleIblNS6_9null_typeES8_S8_S8_S8_S8_S8_S8_EEEEZNS1_11reduce_implILb1ES3_NS6_12zip_iteratorINS7_INS6_11hip_rocprim26transform_input_iterator_tIbPN3c108BFloat16ENS6_6detail10functional5actorINSJ_9compositeIJNSJ_27transparent_binary_operatorINS6_8equal_toIvEEEENSK_INSJ_8argumentILj0EEEEENSJ_5valueISG_EEEEEEEEENSD_19counting_iterator_tIlEES8_S8_S8_S8_S8_S8_S8_S8_EEEEPS9_S9_NSD_9__find_if7functorIS9_EEEE10hipError_tPvRmT1_T2_T3_mT4_P12ihipStream_tbEUlT_E0_NS1_11comp_targetILNS1_3genE3ELNS1_11target_archE908ELNS1_3gpuE7ELNS1_3repE0EEENS1_30default_config_static_selectorELNS0_4arch9wavefront6targetE1EEEvS19_
	.p2align	8
	.type	_ZN7rocprim17ROCPRIM_400000_NS6detail17trampoline_kernelINS0_14default_configENS1_22reduce_config_selectorIN6thrust23THRUST_200600_302600_NS5tupleIblNS6_9null_typeES8_S8_S8_S8_S8_S8_S8_EEEEZNS1_11reduce_implILb1ES3_NS6_12zip_iteratorINS7_INS6_11hip_rocprim26transform_input_iterator_tIbPN3c108BFloat16ENS6_6detail10functional5actorINSJ_9compositeIJNSJ_27transparent_binary_operatorINS6_8equal_toIvEEEENSK_INSJ_8argumentILj0EEEEENSJ_5valueISG_EEEEEEEEENSD_19counting_iterator_tIlEES8_S8_S8_S8_S8_S8_S8_S8_EEEEPS9_S9_NSD_9__find_if7functorIS9_EEEE10hipError_tPvRmT1_T2_T3_mT4_P12ihipStream_tbEUlT_E0_NS1_11comp_targetILNS1_3genE3ELNS1_11target_archE908ELNS1_3gpuE7ELNS1_3repE0EEENS1_30default_config_static_selectorELNS0_4arch9wavefront6targetE1EEEvS19_,@function
_ZN7rocprim17ROCPRIM_400000_NS6detail17trampoline_kernelINS0_14default_configENS1_22reduce_config_selectorIN6thrust23THRUST_200600_302600_NS5tupleIblNS6_9null_typeES8_S8_S8_S8_S8_S8_S8_EEEEZNS1_11reduce_implILb1ES3_NS6_12zip_iteratorINS7_INS6_11hip_rocprim26transform_input_iterator_tIbPN3c108BFloat16ENS6_6detail10functional5actorINSJ_9compositeIJNSJ_27transparent_binary_operatorINS6_8equal_toIvEEEENSK_INSJ_8argumentILj0EEEEENSJ_5valueISG_EEEEEEEEENSD_19counting_iterator_tIlEES8_S8_S8_S8_S8_S8_S8_S8_EEEEPS9_S9_NSD_9__find_if7functorIS9_EEEE10hipError_tPvRmT1_T2_T3_mT4_P12ihipStream_tbEUlT_E0_NS1_11comp_targetILNS1_3genE3ELNS1_11target_archE908ELNS1_3gpuE7ELNS1_3repE0EEENS1_30default_config_static_selectorELNS0_4arch9wavefront6targetE1EEEvS19_: ; @_ZN7rocprim17ROCPRIM_400000_NS6detail17trampoline_kernelINS0_14default_configENS1_22reduce_config_selectorIN6thrust23THRUST_200600_302600_NS5tupleIblNS6_9null_typeES8_S8_S8_S8_S8_S8_S8_EEEEZNS1_11reduce_implILb1ES3_NS6_12zip_iteratorINS7_INS6_11hip_rocprim26transform_input_iterator_tIbPN3c108BFloat16ENS6_6detail10functional5actorINSJ_9compositeIJNSJ_27transparent_binary_operatorINS6_8equal_toIvEEEENSK_INSJ_8argumentILj0EEEEENSJ_5valueISG_EEEEEEEEENSD_19counting_iterator_tIlEES8_S8_S8_S8_S8_S8_S8_S8_EEEEPS9_S9_NSD_9__find_if7functorIS9_EEEE10hipError_tPvRmT1_T2_T3_mT4_P12ihipStream_tbEUlT_E0_NS1_11comp_targetILNS1_3genE3ELNS1_11target_archE908ELNS1_3gpuE7ELNS1_3repE0EEENS1_30default_config_static_selectorELNS0_4arch9wavefront6targetE1EEEvS19_
; %bb.0:
	.section	.rodata,"a",@progbits
	.p2align	6, 0x0
	.amdhsa_kernel _ZN7rocprim17ROCPRIM_400000_NS6detail17trampoline_kernelINS0_14default_configENS1_22reduce_config_selectorIN6thrust23THRUST_200600_302600_NS5tupleIblNS6_9null_typeES8_S8_S8_S8_S8_S8_S8_EEEEZNS1_11reduce_implILb1ES3_NS6_12zip_iteratorINS7_INS6_11hip_rocprim26transform_input_iterator_tIbPN3c108BFloat16ENS6_6detail10functional5actorINSJ_9compositeIJNSJ_27transparent_binary_operatorINS6_8equal_toIvEEEENSK_INSJ_8argumentILj0EEEEENSJ_5valueISG_EEEEEEEEENSD_19counting_iterator_tIlEES8_S8_S8_S8_S8_S8_S8_S8_EEEEPS9_S9_NSD_9__find_if7functorIS9_EEEE10hipError_tPvRmT1_T2_T3_mT4_P12ihipStream_tbEUlT_E0_NS1_11comp_targetILNS1_3genE3ELNS1_11target_archE908ELNS1_3gpuE7ELNS1_3repE0EEENS1_30default_config_static_selectorELNS0_4arch9wavefront6targetE1EEEvS19_
		.amdhsa_group_segment_fixed_size 0
		.amdhsa_private_segment_fixed_size 0
		.amdhsa_kernarg_size 88
		.amdhsa_user_sgpr_count 6
		.amdhsa_user_sgpr_private_segment_buffer 1
		.amdhsa_user_sgpr_dispatch_ptr 0
		.amdhsa_user_sgpr_queue_ptr 0
		.amdhsa_user_sgpr_kernarg_segment_ptr 1
		.amdhsa_user_sgpr_dispatch_id 0
		.amdhsa_user_sgpr_flat_scratch_init 0
		.amdhsa_user_sgpr_kernarg_preload_length 0
		.amdhsa_user_sgpr_kernarg_preload_offset 0
		.amdhsa_user_sgpr_private_segment_size 0
		.amdhsa_uses_dynamic_stack 0
		.amdhsa_system_sgpr_private_segment_wavefront_offset 0
		.amdhsa_system_sgpr_workgroup_id_x 1
		.amdhsa_system_sgpr_workgroup_id_y 0
		.amdhsa_system_sgpr_workgroup_id_z 0
		.amdhsa_system_sgpr_workgroup_info 0
		.amdhsa_system_vgpr_workitem_id 0
		.amdhsa_next_free_vgpr 1
		.amdhsa_next_free_sgpr 0
		.amdhsa_accum_offset 4
		.amdhsa_reserve_vcc 0
		.amdhsa_reserve_flat_scratch 0
		.amdhsa_float_round_mode_32 0
		.amdhsa_float_round_mode_16_64 0
		.amdhsa_float_denorm_mode_32 3
		.amdhsa_float_denorm_mode_16_64 3
		.amdhsa_dx10_clamp 1
		.amdhsa_ieee_mode 1
		.amdhsa_fp16_overflow 0
		.amdhsa_tg_split 0
		.amdhsa_exception_fp_ieee_invalid_op 0
		.amdhsa_exception_fp_denorm_src 0
		.amdhsa_exception_fp_ieee_div_zero 0
		.amdhsa_exception_fp_ieee_overflow 0
		.amdhsa_exception_fp_ieee_underflow 0
		.amdhsa_exception_fp_ieee_inexact 0
		.amdhsa_exception_int_div_zero 0
	.end_amdhsa_kernel
	.section	.text._ZN7rocprim17ROCPRIM_400000_NS6detail17trampoline_kernelINS0_14default_configENS1_22reduce_config_selectorIN6thrust23THRUST_200600_302600_NS5tupleIblNS6_9null_typeES8_S8_S8_S8_S8_S8_S8_EEEEZNS1_11reduce_implILb1ES3_NS6_12zip_iteratorINS7_INS6_11hip_rocprim26transform_input_iterator_tIbPN3c108BFloat16ENS6_6detail10functional5actorINSJ_9compositeIJNSJ_27transparent_binary_operatorINS6_8equal_toIvEEEENSK_INSJ_8argumentILj0EEEEENSJ_5valueISG_EEEEEEEEENSD_19counting_iterator_tIlEES8_S8_S8_S8_S8_S8_S8_S8_EEEEPS9_S9_NSD_9__find_if7functorIS9_EEEE10hipError_tPvRmT1_T2_T3_mT4_P12ihipStream_tbEUlT_E0_NS1_11comp_targetILNS1_3genE3ELNS1_11target_archE908ELNS1_3gpuE7ELNS1_3repE0EEENS1_30default_config_static_selectorELNS0_4arch9wavefront6targetE1EEEvS19_,"axG",@progbits,_ZN7rocprim17ROCPRIM_400000_NS6detail17trampoline_kernelINS0_14default_configENS1_22reduce_config_selectorIN6thrust23THRUST_200600_302600_NS5tupleIblNS6_9null_typeES8_S8_S8_S8_S8_S8_S8_EEEEZNS1_11reduce_implILb1ES3_NS6_12zip_iteratorINS7_INS6_11hip_rocprim26transform_input_iterator_tIbPN3c108BFloat16ENS6_6detail10functional5actorINSJ_9compositeIJNSJ_27transparent_binary_operatorINS6_8equal_toIvEEEENSK_INSJ_8argumentILj0EEEEENSJ_5valueISG_EEEEEEEEENSD_19counting_iterator_tIlEES8_S8_S8_S8_S8_S8_S8_S8_EEEEPS9_S9_NSD_9__find_if7functorIS9_EEEE10hipError_tPvRmT1_T2_T3_mT4_P12ihipStream_tbEUlT_E0_NS1_11comp_targetILNS1_3genE3ELNS1_11target_archE908ELNS1_3gpuE7ELNS1_3repE0EEENS1_30default_config_static_selectorELNS0_4arch9wavefront6targetE1EEEvS19_,comdat
.Lfunc_end2092:
	.size	_ZN7rocprim17ROCPRIM_400000_NS6detail17trampoline_kernelINS0_14default_configENS1_22reduce_config_selectorIN6thrust23THRUST_200600_302600_NS5tupleIblNS6_9null_typeES8_S8_S8_S8_S8_S8_S8_EEEEZNS1_11reduce_implILb1ES3_NS6_12zip_iteratorINS7_INS6_11hip_rocprim26transform_input_iterator_tIbPN3c108BFloat16ENS6_6detail10functional5actorINSJ_9compositeIJNSJ_27transparent_binary_operatorINS6_8equal_toIvEEEENSK_INSJ_8argumentILj0EEEEENSJ_5valueISG_EEEEEEEEENSD_19counting_iterator_tIlEES8_S8_S8_S8_S8_S8_S8_S8_EEEEPS9_S9_NSD_9__find_if7functorIS9_EEEE10hipError_tPvRmT1_T2_T3_mT4_P12ihipStream_tbEUlT_E0_NS1_11comp_targetILNS1_3genE3ELNS1_11target_archE908ELNS1_3gpuE7ELNS1_3repE0EEENS1_30default_config_static_selectorELNS0_4arch9wavefront6targetE1EEEvS19_, .Lfunc_end2092-_ZN7rocprim17ROCPRIM_400000_NS6detail17trampoline_kernelINS0_14default_configENS1_22reduce_config_selectorIN6thrust23THRUST_200600_302600_NS5tupleIblNS6_9null_typeES8_S8_S8_S8_S8_S8_S8_EEEEZNS1_11reduce_implILb1ES3_NS6_12zip_iteratorINS7_INS6_11hip_rocprim26transform_input_iterator_tIbPN3c108BFloat16ENS6_6detail10functional5actorINSJ_9compositeIJNSJ_27transparent_binary_operatorINS6_8equal_toIvEEEENSK_INSJ_8argumentILj0EEEEENSJ_5valueISG_EEEEEEEEENSD_19counting_iterator_tIlEES8_S8_S8_S8_S8_S8_S8_S8_EEEEPS9_S9_NSD_9__find_if7functorIS9_EEEE10hipError_tPvRmT1_T2_T3_mT4_P12ihipStream_tbEUlT_E0_NS1_11comp_targetILNS1_3genE3ELNS1_11target_archE908ELNS1_3gpuE7ELNS1_3repE0EEENS1_30default_config_static_selectorELNS0_4arch9wavefront6targetE1EEEvS19_
                                        ; -- End function
	.section	.AMDGPU.csdata,"",@progbits
; Kernel info:
; codeLenInByte = 0
; NumSgprs: 4
; NumVgprs: 0
; NumAgprs: 0
; TotalNumVgprs: 0
; ScratchSize: 0
; MemoryBound: 0
; FloatMode: 240
; IeeeMode: 1
; LDSByteSize: 0 bytes/workgroup (compile time only)
; SGPRBlocks: 0
; VGPRBlocks: 0
; NumSGPRsForWavesPerEU: 4
; NumVGPRsForWavesPerEU: 1
; AccumOffset: 4
; Occupancy: 8
; WaveLimiterHint : 0
; COMPUTE_PGM_RSRC2:SCRATCH_EN: 0
; COMPUTE_PGM_RSRC2:USER_SGPR: 6
; COMPUTE_PGM_RSRC2:TRAP_HANDLER: 0
; COMPUTE_PGM_RSRC2:TGID_X_EN: 1
; COMPUTE_PGM_RSRC2:TGID_Y_EN: 0
; COMPUTE_PGM_RSRC2:TGID_Z_EN: 0
; COMPUTE_PGM_RSRC2:TIDIG_COMP_CNT: 0
; COMPUTE_PGM_RSRC3_GFX90A:ACCUM_OFFSET: 0
; COMPUTE_PGM_RSRC3_GFX90A:TG_SPLIT: 0
	.section	.text._ZN7rocprim17ROCPRIM_400000_NS6detail17trampoline_kernelINS0_14default_configENS1_22reduce_config_selectorIN6thrust23THRUST_200600_302600_NS5tupleIblNS6_9null_typeES8_S8_S8_S8_S8_S8_S8_EEEEZNS1_11reduce_implILb1ES3_NS6_12zip_iteratorINS7_INS6_11hip_rocprim26transform_input_iterator_tIbPN3c108BFloat16ENS6_6detail10functional5actorINSJ_9compositeIJNSJ_27transparent_binary_operatorINS6_8equal_toIvEEEENSK_INSJ_8argumentILj0EEEEENSJ_5valueISG_EEEEEEEEENSD_19counting_iterator_tIlEES8_S8_S8_S8_S8_S8_S8_S8_EEEEPS9_S9_NSD_9__find_if7functorIS9_EEEE10hipError_tPvRmT1_T2_T3_mT4_P12ihipStream_tbEUlT_E0_NS1_11comp_targetILNS1_3genE2ELNS1_11target_archE906ELNS1_3gpuE6ELNS1_3repE0EEENS1_30default_config_static_selectorELNS0_4arch9wavefront6targetE1EEEvS19_,"axG",@progbits,_ZN7rocprim17ROCPRIM_400000_NS6detail17trampoline_kernelINS0_14default_configENS1_22reduce_config_selectorIN6thrust23THRUST_200600_302600_NS5tupleIblNS6_9null_typeES8_S8_S8_S8_S8_S8_S8_EEEEZNS1_11reduce_implILb1ES3_NS6_12zip_iteratorINS7_INS6_11hip_rocprim26transform_input_iterator_tIbPN3c108BFloat16ENS6_6detail10functional5actorINSJ_9compositeIJNSJ_27transparent_binary_operatorINS6_8equal_toIvEEEENSK_INSJ_8argumentILj0EEEEENSJ_5valueISG_EEEEEEEEENSD_19counting_iterator_tIlEES8_S8_S8_S8_S8_S8_S8_S8_EEEEPS9_S9_NSD_9__find_if7functorIS9_EEEE10hipError_tPvRmT1_T2_T3_mT4_P12ihipStream_tbEUlT_E0_NS1_11comp_targetILNS1_3genE2ELNS1_11target_archE906ELNS1_3gpuE6ELNS1_3repE0EEENS1_30default_config_static_selectorELNS0_4arch9wavefront6targetE1EEEvS19_,comdat
	.protected	_ZN7rocprim17ROCPRIM_400000_NS6detail17trampoline_kernelINS0_14default_configENS1_22reduce_config_selectorIN6thrust23THRUST_200600_302600_NS5tupleIblNS6_9null_typeES8_S8_S8_S8_S8_S8_S8_EEEEZNS1_11reduce_implILb1ES3_NS6_12zip_iteratorINS7_INS6_11hip_rocprim26transform_input_iterator_tIbPN3c108BFloat16ENS6_6detail10functional5actorINSJ_9compositeIJNSJ_27transparent_binary_operatorINS6_8equal_toIvEEEENSK_INSJ_8argumentILj0EEEEENSJ_5valueISG_EEEEEEEEENSD_19counting_iterator_tIlEES8_S8_S8_S8_S8_S8_S8_S8_EEEEPS9_S9_NSD_9__find_if7functorIS9_EEEE10hipError_tPvRmT1_T2_T3_mT4_P12ihipStream_tbEUlT_E0_NS1_11comp_targetILNS1_3genE2ELNS1_11target_archE906ELNS1_3gpuE6ELNS1_3repE0EEENS1_30default_config_static_selectorELNS0_4arch9wavefront6targetE1EEEvS19_ ; -- Begin function _ZN7rocprim17ROCPRIM_400000_NS6detail17trampoline_kernelINS0_14default_configENS1_22reduce_config_selectorIN6thrust23THRUST_200600_302600_NS5tupleIblNS6_9null_typeES8_S8_S8_S8_S8_S8_S8_EEEEZNS1_11reduce_implILb1ES3_NS6_12zip_iteratorINS7_INS6_11hip_rocprim26transform_input_iterator_tIbPN3c108BFloat16ENS6_6detail10functional5actorINSJ_9compositeIJNSJ_27transparent_binary_operatorINS6_8equal_toIvEEEENSK_INSJ_8argumentILj0EEEEENSJ_5valueISG_EEEEEEEEENSD_19counting_iterator_tIlEES8_S8_S8_S8_S8_S8_S8_S8_EEEEPS9_S9_NSD_9__find_if7functorIS9_EEEE10hipError_tPvRmT1_T2_T3_mT4_P12ihipStream_tbEUlT_E0_NS1_11comp_targetILNS1_3genE2ELNS1_11target_archE906ELNS1_3gpuE6ELNS1_3repE0EEENS1_30default_config_static_selectorELNS0_4arch9wavefront6targetE1EEEvS19_
	.globl	_ZN7rocprim17ROCPRIM_400000_NS6detail17trampoline_kernelINS0_14default_configENS1_22reduce_config_selectorIN6thrust23THRUST_200600_302600_NS5tupleIblNS6_9null_typeES8_S8_S8_S8_S8_S8_S8_EEEEZNS1_11reduce_implILb1ES3_NS6_12zip_iteratorINS7_INS6_11hip_rocprim26transform_input_iterator_tIbPN3c108BFloat16ENS6_6detail10functional5actorINSJ_9compositeIJNSJ_27transparent_binary_operatorINS6_8equal_toIvEEEENSK_INSJ_8argumentILj0EEEEENSJ_5valueISG_EEEEEEEEENSD_19counting_iterator_tIlEES8_S8_S8_S8_S8_S8_S8_S8_EEEEPS9_S9_NSD_9__find_if7functorIS9_EEEE10hipError_tPvRmT1_T2_T3_mT4_P12ihipStream_tbEUlT_E0_NS1_11comp_targetILNS1_3genE2ELNS1_11target_archE906ELNS1_3gpuE6ELNS1_3repE0EEENS1_30default_config_static_selectorELNS0_4arch9wavefront6targetE1EEEvS19_
	.p2align	8
	.type	_ZN7rocprim17ROCPRIM_400000_NS6detail17trampoline_kernelINS0_14default_configENS1_22reduce_config_selectorIN6thrust23THRUST_200600_302600_NS5tupleIblNS6_9null_typeES8_S8_S8_S8_S8_S8_S8_EEEEZNS1_11reduce_implILb1ES3_NS6_12zip_iteratorINS7_INS6_11hip_rocprim26transform_input_iterator_tIbPN3c108BFloat16ENS6_6detail10functional5actorINSJ_9compositeIJNSJ_27transparent_binary_operatorINS6_8equal_toIvEEEENSK_INSJ_8argumentILj0EEEEENSJ_5valueISG_EEEEEEEEENSD_19counting_iterator_tIlEES8_S8_S8_S8_S8_S8_S8_S8_EEEEPS9_S9_NSD_9__find_if7functorIS9_EEEE10hipError_tPvRmT1_T2_T3_mT4_P12ihipStream_tbEUlT_E0_NS1_11comp_targetILNS1_3genE2ELNS1_11target_archE906ELNS1_3gpuE6ELNS1_3repE0EEENS1_30default_config_static_selectorELNS0_4arch9wavefront6targetE1EEEvS19_,@function
_ZN7rocprim17ROCPRIM_400000_NS6detail17trampoline_kernelINS0_14default_configENS1_22reduce_config_selectorIN6thrust23THRUST_200600_302600_NS5tupleIblNS6_9null_typeES8_S8_S8_S8_S8_S8_S8_EEEEZNS1_11reduce_implILb1ES3_NS6_12zip_iteratorINS7_INS6_11hip_rocprim26transform_input_iterator_tIbPN3c108BFloat16ENS6_6detail10functional5actorINSJ_9compositeIJNSJ_27transparent_binary_operatorINS6_8equal_toIvEEEENSK_INSJ_8argumentILj0EEEEENSJ_5valueISG_EEEEEEEEENSD_19counting_iterator_tIlEES8_S8_S8_S8_S8_S8_S8_S8_EEEEPS9_S9_NSD_9__find_if7functorIS9_EEEE10hipError_tPvRmT1_T2_T3_mT4_P12ihipStream_tbEUlT_E0_NS1_11comp_targetILNS1_3genE2ELNS1_11target_archE906ELNS1_3gpuE6ELNS1_3repE0EEENS1_30default_config_static_selectorELNS0_4arch9wavefront6targetE1EEEvS19_: ; @_ZN7rocprim17ROCPRIM_400000_NS6detail17trampoline_kernelINS0_14default_configENS1_22reduce_config_selectorIN6thrust23THRUST_200600_302600_NS5tupleIblNS6_9null_typeES8_S8_S8_S8_S8_S8_S8_EEEEZNS1_11reduce_implILb1ES3_NS6_12zip_iteratorINS7_INS6_11hip_rocprim26transform_input_iterator_tIbPN3c108BFloat16ENS6_6detail10functional5actorINSJ_9compositeIJNSJ_27transparent_binary_operatorINS6_8equal_toIvEEEENSK_INSJ_8argumentILj0EEEEENSJ_5valueISG_EEEEEEEEENSD_19counting_iterator_tIlEES8_S8_S8_S8_S8_S8_S8_S8_EEEEPS9_S9_NSD_9__find_if7functorIS9_EEEE10hipError_tPvRmT1_T2_T3_mT4_P12ihipStream_tbEUlT_E0_NS1_11comp_targetILNS1_3genE2ELNS1_11target_archE906ELNS1_3gpuE6ELNS1_3repE0EEENS1_30default_config_static_selectorELNS0_4arch9wavefront6targetE1EEEvS19_
; %bb.0:
	.section	.rodata,"a",@progbits
	.p2align	6, 0x0
	.amdhsa_kernel _ZN7rocprim17ROCPRIM_400000_NS6detail17trampoline_kernelINS0_14default_configENS1_22reduce_config_selectorIN6thrust23THRUST_200600_302600_NS5tupleIblNS6_9null_typeES8_S8_S8_S8_S8_S8_S8_EEEEZNS1_11reduce_implILb1ES3_NS6_12zip_iteratorINS7_INS6_11hip_rocprim26transform_input_iterator_tIbPN3c108BFloat16ENS6_6detail10functional5actorINSJ_9compositeIJNSJ_27transparent_binary_operatorINS6_8equal_toIvEEEENSK_INSJ_8argumentILj0EEEEENSJ_5valueISG_EEEEEEEEENSD_19counting_iterator_tIlEES8_S8_S8_S8_S8_S8_S8_S8_EEEEPS9_S9_NSD_9__find_if7functorIS9_EEEE10hipError_tPvRmT1_T2_T3_mT4_P12ihipStream_tbEUlT_E0_NS1_11comp_targetILNS1_3genE2ELNS1_11target_archE906ELNS1_3gpuE6ELNS1_3repE0EEENS1_30default_config_static_selectorELNS0_4arch9wavefront6targetE1EEEvS19_
		.amdhsa_group_segment_fixed_size 0
		.amdhsa_private_segment_fixed_size 0
		.amdhsa_kernarg_size 88
		.amdhsa_user_sgpr_count 6
		.amdhsa_user_sgpr_private_segment_buffer 1
		.amdhsa_user_sgpr_dispatch_ptr 0
		.amdhsa_user_sgpr_queue_ptr 0
		.amdhsa_user_sgpr_kernarg_segment_ptr 1
		.amdhsa_user_sgpr_dispatch_id 0
		.amdhsa_user_sgpr_flat_scratch_init 0
		.amdhsa_user_sgpr_kernarg_preload_length 0
		.amdhsa_user_sgpr_kernarg_preload_offset 0
		.amdhsa_user_sgpr_private_segment_size 0
		.amdhsa_uses_dynamic_stack 0
		.amdhsa_system_sgpr_private_segment_wavefront_offset 0
		.amdhsa_system_sgpr_workgroup_id_x 1
		.amdhsa_system_sgpr_workgroup_id_y 0
		.amdhsa_system_sgpr_workgroup_id_z 0
		.amdhsa_system_sgpr_workgroup_info 0
		.amdhsa_system_vgpr_workitem_id 0
		.amdhsa_next_free_vgpr 1
		.amdhsa_next_free_sgpr 0
		.amdhsa_accum_offset 4
		.amdhsa_reserve_vcc 0
		.amdhsa_reserve_flat_scratch 0
		.amdhsa_float_round_mode_32 0
		.amdhsa_float_round_mode_16_64 0
		.amdhsa_float_denorm_mode_32 3
		.amdhsa_float_denorm_mode_16_64 3
		.amdhsa_dx10_clamp 1
		.amdhsa_ieee_mode 1
		.amdhsa_fp16_overflow 0
		.amdhsa_tg_split 0
		.amdhsa_exception_fp_ieee_invalid_op 0
		.amdhsa_exception_fp_denorm_src 0
		.amdhsa_exception_fp_ieee_div_zero 0
		.amdhsa_exception_fp_ieee_overflow 0
		.amdhsa_exception_fp_ieee_underflow 0
		.amdhsa_exception_fp_ieee_inexact 0
		.amdhsa_exception_int_div_zero 0
	.end_amdhsa_kernel
	.section	.text._ZN7rocprim17ROCPRIM_400000_NS6detail17trampoline_kernelINS0_14default_configENS1_22reduce_config_selectorIN6thrust23THRUST_200600_302600_NS5tupleIblNS6_9null_typeES8_S8_S8_S8_S8_S8_S8_EEEEZNS1_11reduce_implILb1ES3_NS6_12zip_iteratorINS7_INS6_11hip_rocprim26transform_input_iterator_tIbPN3c108BFloat16ENS6_6detail10functional5actorINSJ_9compositeIJNSJ_27transparent_binary_operatorINS6_8equal_toIvEEEENSK_INSJ_8argumentILj0EEEEENSJ_5valueISG_EEEEEEEEENSD_19counting_iterator_tIlEES8_S8_S8_S8_S8_S8_S8_S8_EEEEPS9_S9_NSD_9__find_if7functorIS9_EEEE10hipError_tPvRmT1_T2_T3_mT4_P12ihipStream_tbEUlT_E0_NS1_11comp_targetILNS1_3genE2ELNS1_11target_archE906ELNS1_3gpuE6ELNS1_3repE0EEENS1_30default_config_static_selectorELNS0_4arch9wavefront6targetE1EEEvS19_,"axG",@progbits,_ZN7rocprim17ROCPRIM_400000_NS6detail17trampoline_kernelINS0_14default_configENS1_22reduce_config_selectorIN6thrust23THRUST_200600_302600_NS5tupleIblNS6_9null_typeES8_S8_S8_S8_S8_S8_S8_EEEEZNS1_11reduce_implILb1ES3_NS6_12zip_iteratorINS7_INS6_11hip_rocprim26transform_input_iterator_tIbPN3c108BFloat16ENS6_6detail10functional5actorINSJ_9compositeIJNSJ_27transparent_binary_operatorINS6_8equal_toIvEEEENSK_INSJ_8argumentILj0EEEEENSJ_5valueISG_EEEEEEEEENSD_19counting_iterator_tIlEES8_S8_S8_S8_S8_S8_S8_S8_EEEEPS9_S9_NSD_9__find_if7functorIS9_EEEE10hipError_tPvRmT1_T2_T3_mT4_P12ihipStream_tbEUlT_E0_NS1_11comp_targetILNS1_3genE2ELNS1_11target_archE906ELNS1_3gpuE6ELNS1_3repE0EEENS1_30default_config_static_selectorELNS0_4arch9wavefront6targetE1EEEvS19_,comdat
.Lfunc_end2093:
	.size	_ZN7rocprim17ROCPRIM_400000_NS6detail17trampoline_kernelINS0_14default_configENS1_22reduce_config_selectorIN6thrust23THRUST_200600_302600_NS5tupleIblNS6_9null_typeES8_S8_S8_S8_S8_S8_S8_EEEEZNS1_11reduce_implILb1ES3_NS6_12zip_iteratorINS7_INS6_11hip_rocprim26transform_input_iterator_tIbPN3c108BFloat16ENS6_6detail10functional5actorINSJ_9compositeIJNSJ_27transparent_binary_operatorINS6_8equal_toIvEEEENSK_INSJ_8argumentILj0EEEEENSJ_5valueISG_EEEEEEEEENSD_19counting_iterator_tIlEES8_S8_S8_S8_S8_S8_S8_S8_EEEEPS9_S9_NSD_9__find_if7functorIS9_EEEE10hipError_tPvRmT1_T2_T3_mT4_P12ihipStream_tbEUlT_E0_NS1_11comp_targetILNS1_3genE2ELNS1_11target_archE906ELNS1_3gpuE6ELNS1_3repE0EEENS1_30default_config_static_selectorELNS0_4arch9wavefront6targetE1EEEvS19_, .Lfunc_end2093-_ZN7rocprim17ROCPRIM_400000_NS6detail17trampoline_kernelINS0_14default_configENS1_22reduce_config_selectorIN6thrust23THRUST_200600_302600_NS5tupleIblNS6_9null_typeES8_S8_S8_S8_S8_S8_S8_EEEEZNS1_11reduce_implILb1ES3_NS6_12zip_iteratorINS7_INS6_11hip_rocprim26transform_input_iterator_tIbPN3c108BFloat16ENS6_6detail10functional5actorINSJ_9compositeIJNSJ_27transparent_binary_operatorINS6_8equal_toIvEEEENSK_INSJ_8argumentILj0EEEEENSJ_5valueISG_EEEEEEEEENSD_19counting_iterator_tIlEES8_S8_S8_S8_S8_S8_S8_S8_EEEEPS9_S9_NSD_9__find_if7functorIS9_EEEE10hipError_tPvRmT1_T2_T3_mT4_P12ihipStream_tbEUlT_E0_NS1_11comp_targetILNS1_3genE2ELNS1_11target_archE906ELNS1_3gpuE6ELNS1_3repE0EEENS1_30default_config_static_selectorELNS0_4arch9wavefront6targetE1EEEvS19_
                                        ; -- End function
	.section	.AMDGPU.csdata,"",@progbits
; Kernel info:
; codeLenInByte = 0
; NumSgprs: 4
; NumVgprs: 0
; NumAgprs: 0
; TotalNumVgprs: 0
; ScratchSize: 0
; MemoryBound: 0
; FloatMode: 240
; IeeeMode: 1
; LDSByteSize: 0 bytes/workgroup (compile time only)
; SGPRBlocks: 0
; VGPRBlocks: 0
; NumSGPRsForWavesPerEU: 4
; NumVGPRsForWavesPerEU: 1
; AccumOffset: 4
; Occupancy: 8
; WaveLimiterHint : 0
; COMPUTE_PGM_RSRC2:SCRATCH_EN: 0
; COMPUTE_PGM_RSRC2:USER_SGPR: 6
; COMPUTE_PGM_RSRC2:TRAP_HANDLER: 0
; COMPUTE_PGM_RSRC2:TGID_X_EN: 1
; COMPUTE_PGM_RSRC2:TGID_Y_EN: 0
; COMPUTE_PGM_RSRC2:TGID_Z_EN: 0
; COMPUTE_PGM_RSRC2:TIDIG_COMP_CNT: 0
; COMPUTE_PGM_RSRC3_GFX90A:ACCUM_OFFSET: 0
; COMPUTE_PGM_RSRC3_GFX90A:TG_SPLIT: 0
	.section	.text._ZN7rocprim17ROCPRIM_400000_NS6detail17trampoline_kernelINS0_14default_configENS1_22reduce_config_selectorIN6thrust23THRUST_200600_302600_NS5tupleIblNS6_9null_typeES8_S8_S8_S8_S8_S8_S8_EEEEZNS1_11reduce_implILb1ES3_NS6_12zip_iteratorINS7_INS6_11hip_rocprim26transform_input_iterator_tIbPN3c108BFloat16ENS6_6detail10functional5actorINSJ_9compositeIJNSJ_27transparent_binary_operatorINS6_8equal_toIvEEEENSK_INSJ_8argumentILj0EEEEENSJ_5valueISG_EEEEEEEEENSD_19counting_iterator_tIlEES8_S8_S8_S8_S8_S8_S8_S8_EEEEPS9_S9_NSD_9__find_if7functorIS9_EEEE10hipError_tPvRmT1_T2_T3_mT4_P12ihipStream_tbEUlT_E0_NS1_11comp_targetILNS1_3genE10ELNS1_11target_archE1201ELNS1_3gpuE5ELNS1_3repE0EEENS1_30default_config_static_selectorELNS0_4arch9wavefront6targetE1EEEvS19_,"axG",@progbits,_ZN7rocprim17ROCPRIM_400000_NS6detail17trampoline_kernelINS0_14default_configENS1_22reduce_config_selectorIN6thrust23THRUST_200600_302600_NS5tupleIblNS6_9null_typeES8_S8_S8_S8_S8_S8_S8_EEEEZNS1_11reduce_implILb1ES3_NS6_12zip_iteratorINS7_INS6_11hip_rocprim26transform_input_iterator_tIbPN3c108BFloat16ENS6_6detail10functional5actorINSJ_9compositeIJNSJ_27transparent_binary_operatorINS6_8equal_toIvEEEENSK_INSJ_8argumentILj0EEEEENSJ_5valueISG_EEEEEEEEENSD_19counting_iterator_tIlEES8_S8_S8_S8_S8_S8_S8_S8_EEEEPS9_S9_NSD_9__find_if7functorIS9_EEEE10hipError_tPvRmT1_T2_T3_mT4_P12ihipStream_tbEUlT_E0_NS1_11comp_targetILNS1_3genE10ELNS1_11target_archE1201ELNS1_3gpuE5ELNS1_3repE0EEENS1_30default_config_static_selectorELNS0_4arch9wavefront6targetE1EEEvS19_,comdat
	.protected	_ZN7rocprim17ROCPRIM_400000_NS6detail17trampoline_kernelINS0_14default_configENS1_22reduce_config_selectorIN6thrust23THRUST_200600_302600_NS5tupleIblNS6_9null_typeES8_S8_S8_S8_S8_S8_S8_EEEEZNS1_11reduce_implILb1ES3_NS6_12zip_iteratorINS7_INS6_11hip_rocprim26transform_input_iterator_tIbPN3c108BFloat16ENS6_6detail10functional5actorINSJ_9compositeIJNSJ_27transparent_binary_operatorINS6_8equal_toIvEEEENSK_INSJ_8argumentILj0EEEEENSJ_5valueISG_EEEEEEEEENSD_19counting_iterator_tIlEES8_S8_S8_S8_S8_S8_S8_S8_EEEEPS9_S9_NSD_9__find_if7functorIS9_EEEE10hipError_tPvRmT1_T2_T3_mT4_P12ihipStream_tbEUlT_E0_NS1_11comp_targetILNS1_3genE10ELNS1_11target_archE1201ELNS1_3gpuE5ELNS1_3repE0EEENS1_30default_config_static_selectorELNS0_4arch9wavefront6targetE1EEEvS19_ ; -- Begin function _ZN7rocprim17ROCPRIM_400000_NS6detail17trampoline_kernelINS0_14default_configENS1_22reduce_config_selectorIN6thrust23THRUST_200600_302600_NS5tupleIblNS6_9null_typeES8_S8_S8_S8_S8_S8_S8_EEEEZNS1_11reduce_implILb1ES3_NS6_12zip_iteratorINS7_INS6_11hip_rocprim26transform_input_iterator_tIbPN3c108BFloat16ENS6_6detail10functional5actorINSJ_9compositeIJNSJ_27transparent_binary_operatorINS6_8equal_toIvEEEENSK_INSJ_8argumentILj0EEEEENSJ_5valueISG_EEEEEEEEENSD_19counting_iterator_tIlEES8_S8_S8_S8_S8_S8_S8_S8_EEEEPS9_S9_NSD_9__find_if7functorIS9_EEEE10hipError_tPvRmT1_T2_T3_mT4_P12ihipStream_tbEUlT_E0_NS1_11comp_targetILNS1_3genE10ELNS1_11target_archE1201ELNS1_3gpuE5ELNS1_3repE0EEENS1_30default_config_static_selectorELNS0_4arch9wavefront6targetE1EEEvS19_
	.globl	_ZN7rocprim17ROCPRIM_400000_NS6detail17trampoline_kernelINS0_14default_configENS1_22reduce_config_selectorIN6thrust23THRUST_200600_302600_NS5tupleIblNS6_9null_typeES8_S8_S8_S8_S8_S8_S8_EEEEZNS1_11reduce_implILb1ES3_NS6_12zip_iteratorINS7_INS6_11hip_rocprim26transform_input_iterator_tIbPN3c108BFloat16ENS6_6detail10functional5actorINSJ_9compositeIJNSJ_27transparent_binary_operatorINS6_8equal_toIvEEEENSK_INSJ_8argumentILj0EEEEENSJ_5valueISG_EEEEEEEEENSD_19counting_iterator_tIlEES8_S8_S8_S8_S8_S8_S8_S8_EEEEPS9_S9_NSD_9__find_if7functorIS9_EEEE10hipError_tPvRmT1_T2_T3_mT4_P12ihipStream_tbEUlT_E0_NS1_11comp_targetILNS1_3genE10ELNS1_11target_archE1201ELNS1_3gpuE5ELNS1_3repE0EEENS1_30default_config_static_selectorELNS0_4arch9wavefront6targetE1EEEvS19_
	.p2align	8
	.type	_ZN7rocprim17ROCPRIM_400000_NS6detail17trampoline_kernelINS0_14default_configENS1_22reduce_config_selectorIN6thrust23THRUST_200600_302600_NS5tupleIblNS6_9null_typeES8_S8_S8_S8_S8_S8_S8_EEEEZNS1_11reduce_implILb1ES3_NS6_12zip_iteratorINS7_INS6_11hip_rocprim26transform_input_iterator_tIbPN3c108BFloat16ENS6_6detail10functional5actorINSJ_9compositeIJNSJ_27transparent_binary_operatorINS6_8equal_toIvEEEENSK_INSJ_8argumentILj0EEEEENSJ_5valueISG_EEEEEEEEENSD_19counting_iterator_tIlEES8_S8_S8_S8_S8_S8_S8_S8_EEEEPS9_S9_NSD_9__find_if7functorIS9_EEEE10hipError_tPvRmT1_T2_T3_mT4_P12ihipStream_tbEUlT_E0_NS1_11comp_targetILNS1_3genE10ELNS1_11target_archE1201ELNS1_3gpuE5ELNS1_3repE0EEENS1_30default_config_static_selectorELNS0_4arch9wavefront6targetE1EEEvS19_,@function
_ZN7rocprim17ROCPRIM_400000_NS6detail17trampoline_kernelINS0_14default_configENS1_22reduce_config_selectorIN6thrust23THRUST_200600_302600_NS5tupleIblNS6_9null_typeES8_S8_S8_S8_S8_S8_S8_EEEEZNS1_11reduce_implILb1ES3_NS6_12zip_iteratorINS7_INS6_11hip_rocprim26transform_input_iterator_tIbPN3c108BFloat16ENS6_6detail10functional5actorINSJ_9compositeIJNSJ_27transparent_binary_operatorINS6_8equal_toIvEEEENSK_INSJ_8argumentILj0EEEEENSJ_5valueISG_EEEEEEEEENSD_19counting_iterator_tIlEES8_S8_S8_S8_S8_S8_S8_S8_EEEEPS9_S9_NSD_9__find_if7functorIS9_EEEE10hipError_tPvRmT1_T2_T3_mT4_P12ihipStream_tbEUlT_E0_NS1_11comp_targetILNS1_3genE10ELNS1_11target_archE1201ELNS1_3gpuE5ELNS1_3repE0EEENS1_30default_config_static_selectorELNS0_4arch9wavefront6targetE1EEEvS19_: ; @_ZN7rocprim17ROCPRIM_400000_NS6detail17trampoline_kernelINS0_14default_configENS1_22reduce_config_selectorIN6thrust23THRUST_200600_302600_NS5tupleIblNS6_9null_typeES8_S8_S8_S8_S8_S8_S8_EEEEZNS1_11reduce_implILb1ES3_NS6_12zip_iteratorINS7_INS6_11hip_rocprim26transform_input_iterator_tIbPN3c108BFloat16ENS6_6detail10functional5actorINSJ_9compositeIJNSJ_27transparent_binary_operatorINS6_8equal_toIvEEEENSK_INSJ_8argumentILj0EEEEENSJ_5valueISG_EEEEEEEEENSD_19counting_iterator_tIlEES8_S8_S8_S8_S8_S8_S8_S8_EEEEPS9_S9_NSD_9__find_if7functorIS9_EEEE10hipError_tPvRmT1_T2_T3_mT4_P12ihipStream_tbEUlT_E0_NS1_11comp_targetILNS1_3genE10ELNS1_11target_archE1201ELNS1_3gpuE5ELNS1_3repE0EEENS1_30default_config_static_selectorELNS0_4arch9wavefront6targetE1EEEvS19_
; %bb.0:
	.section	.rodata,"a",@progbits
	.p2align	6, 0x0
	.amdhsa_kernel _ZN7rocprim17ROCPRIM_400000_NS6detail17trampoline_kernelINS0_14default_configENS1_22reduce_config_selectorIN6thrust23THRUST_200600_302600_NS5tupleIblNS6_9null_typeES8_S8_S8_S8_S8_S8_S8_EEEEZNS1_11reduce_implILb1ES3_NS6_12zip_iteratorINS7_INS6_11hip_rocprim26transform_input_iterator_tIbPN3c108BFloat16ENS6_6detail10functional5actorINSJ_9compositeIJNSJ_27transparent_binary_operatorINS6_8equal_toIvEEEENSK_INSJ_8argumentILj0EEEEENSJ_5valueISG_EEEEEEEEENSD_19counting_iterator_tIlEES8_S8_S8_S8_S8_S8_S8_S8_EEEEPS9_S9_NSD_9__find_if7functorIS9_EEEE10hipError_tPvRmT1_T2_T3_mT4_P12ihipStream_tbEUlT_E0_NS1_11comp_targetILNS1_3genE10ELNS1_11target_archE1201ELNS1_3gpuE5ELNS1_3repE0EEENS1_30default_config_static_selectorELNS0_4arch9wavefront6targetE1EEEvS19_
		.amdhsa_group_segment_fixed_size 0
		.amdhsa_private_segment_fixed_size 0
		.amdhsa_kernarg_size 88
		.amdhsa_user_sgpr_count 6
		.amdhsa_user_sgpr_private_segment_buffer 1
		.amdhsa_user_sgpr_dispatch_ptr 0
		.amdhsa_user_sgpr_queue_ptr 0
		.amdhsa_user_sgpr_kernarg_segment_ptr 1
		.amdhsa_user_sgpr_dispatch_id 0
		.amdhsa_user_sgpr_flat_scratch_init 0
		.amdhsa_user_sgpr_kernarg_preload_length 0
		.amdhsa_user_sgpr_kernarg_preload_offset 0
		.amdhsa_user_sgpr_private_segment_size 0
		.amdhsa_uses_dynamic_stack 0
		.amdhsa_system_sgpr_private_segment_wavefront_offset 0
		.amdhsa_system_sgpr_workgroup_id_x 1
		.amdhsa_system_sgpr_workgroup_id_y 0
		.amdhsa_system_sgpr_workgroup_id_z 0
		.amdhsa_system_sgpr_workgroup_info 0
		.amdhsa_system_vgpr_workitem_id 0
		.amdhsa_next_free_vgpr 1
		.amdhsa_next_free_sgpr 0
		.amdhsa_accum_offset 4
		.amdhsa_reserve_vcc 0
		.amdhsa_reserve_flat_scratch 0
		.amdhsa_float_round_mode_32 0
		.amdhsa_float_round_mode_16_64 0
		.amdhsa_float_denorm_mode_32 3
		.amdhsa_float_denorm_mode_16_64 3
		.amdhsa_dx10_clamp 1
		.amdhsa_ieee_mode 1
		.amdhsa_fp16_overflow 0
		.amdhsa_tg_split 0
		.amdhsa_exception_fp_ieee_invalid_op 0
		.amdhsa_exception_fp_denorm_src 0
		.amdhsa_exception_fp_ieee_div_zero 0
		.amdhsa_exception_fp_ieee_overflow 0
		.amdhsa_exception_fp_ieee_underflow 0
		.amdhsa_exception_fp_ieee_inexact 0
		.amdhsa_exception_int_div_zero 0
	.end_amdhsa_kernel
	.section	.text._ZN7rocprim17ROCPRIM_400000_NS6detail17trampoline_kernelINS0_14default_configENS1_22reduce_config_selectorIN6thrust23THRUST_200600_302600_NS5tupleIblNS6_9null_typeES8_S8_S8_S8_S8_S8_S8_EEEEZNS1_11reduce_implILb1ES3_NS6_12zip_iteratorINS7_INS6_11hip_rocprim26transform_input_iterator_tIbPN3c108BFloat16ENS6_6detail10functional5actorINSJ_9compositeIJNSJ_27transparent_binary_operatorINS6_8equal_toIvEEEENSK_INSJ_8argumentILj0EEEEENSJ_5valueISG_EEEEEEEEENSD_19counting_iterator_tIlEES8_S8_S8_S8_S8_S8_S8_S8_EEEEPS9_S9_NSD_9__find_if7functorIS9_EEEE10hipError_tPvRmT1_T2_T3_mT4_P12ihipStream_tbEUlT_E0_NS1_11comp_targetILNS1_3genE10ELNS1_11target_archE1201ELNS1_3gpuE5ELNS1_3repE0EEENS1_30default_config_static_selectorELNS0_4arch9wavefront6targetE1EEEvS19_,"axG",@progbits,_ZN7rocprim17ROCPRIM_400000_NS6detail17trampoline_kernelINS0_14default_configENS1_22reduce_config_selectorIN6thrust23THRUST_200600_302600_NS5tupleIblNS6_9null_typeES8_S8_S8_S8_S8_S8_S8_EEEEZNS1_11reduce_implILb1ES3_NS6_12zip_iteratorINS7_INS6_11hip_rocprim26transform_input_iterator_tIbPN3c108BFloat16ENS6_6detail10functional5actorINSJ_9compositeIJNSJ_27transparent_binary_operatorINS6_8equal_toIvEEEENSK_INSJ_8argumentILj0EEEEENSJ_5valueISG_EEEEEEEEENSD_19counting_iterator_tIlEES8_S8_S8_S8_S8_S8_S8_S8_EEEEPS9_S9_NSD_9__find_if7functorIS9_EEEE10hipError_tPvRmT1_T2_T3_mT4_P12ihipStream_tbEUlT_E0_NS1_11comp_targetILNS1_3genE10ELNS1_11target_archE1201ELNS1_3gpuE5ELNS1_3repE0EEENS1_30default_config_static_selectorELNS0_4arch9wavefront6targetE1EEEvS19_,comdat
.Lfunc_end2094:
	.size	_ZN7rocprim17ROCPRIM_400000_NS6detail17trampoline_kernelINS0_14default_configENS1_22reduce_config_selectorIN6thrust23THRUST_200600_302600_NS5tupleIblNS6_9null_typeES8_S8_S8_S8_S8_S8_S8_EEEEZNS1_11reduce_implILb1ES3_NS6_12zip_iteratorINS7_INS6_11hip_rocprim26transform_input_iterator_tIbPN3c108BFloat16ENS6_6detail10functional5actorINSJ_9compositeIJNSJ_27transparent_binary_operatorINS6_8equal_toIvEEEENSK_INSJ_8argumentILj0EEEEENSJ_5valueISG_EEEEEEEEENSD_19counting_iterator_tIlEES8_S8_S8_S8_S8_S8_S8_S8_EEEEPS9_S9_NSD_9__find_if7functorIS9_EEEE10hipError_tPvRmT1_T2_T3_mT4_P12ihipStream_tbEUlT_E0_NS1_11comp_targetILNS1_3genE10ELNS1_11target_archE1201ELNS1_3gpuE5ELNS1_3repE0EEENS1_30default_config_static_selectorELNS0_4arch9wavefront6targetE1EEEvS19_, .Lfunc_end2094-_ZN7rocprim17ROCPRIM_400000_NS6detail17trampoline_kernelINS0_14default_configENS1_22reduce_config_selectorIN6thrust23THRUST_200600_302600_NS5tupleIblNS6_9null_typeES8_S8_S8_S8_S8_S8_S8_EEEEZNS1_11reduce_implILb1ES3_NS6_12zip_iteratorINS7_INS6_11hip_rocprim26transform_input_iterator_tIbPN3c108BFloat16ENS6_6detail10functional5actorINSJ_9compositeIJNSJ_27transparent_binary_operatorINS6_8equal_toIvEEEENSK_INSJ_8argumentILj0EEEEENSJ_5valueISG_EEEEEEEEENSD_19counting_iterator_tIlEES8_S8_S8_S8_S8_S8_S8_S8_EEEEPS9_S9_NSD_9__find_if7functorIS9_EEEE10hipError_tPvRmT1_T2_T3_mT4_P12ihipStream_tbEUlT_E0_NS1_11comp_targetILNS1_3genE10ELNS1_11target_archE1201ELNS1_3gpuE5ELNS1_3repE0EEENS1_30default_config_static_selectorELNS0_4arch9wavefront6targetE1EEEvS19_
                                        ; -- End function
	.section	.AMDGPU.csdata,"",@progbits
; Kernel info:
; codeLenInByte = 0
; NumSgprs: 4
; NumVgprs: 0
; NumAgprs: 0
; TotalNumVgprs: 0
; ScratchSize: 0
; MemoryBound: 0
; FloatMode: 240
; IeeeMode: 1
; LDSByteSize: 0 bytes/workgroup (compile time only)
; SGPRBlocks: 0
; VGPRBlocks: 0
; NumSGPRsForWavesPerEU: 4
; NumVGPRsForWavesPerEU: 1
; AccumOffset: 4
; Occupancy: 8
; WaveLimiterHint : 0
; COMPUTE_PGM_RSRC2:SCRATCH_EN: 0
; COMPUTE_PGM_RSRC2:USER_SGPR: 6
; COMPUTE_PGM_RSRC2:TRAP_HANDLER: 0
; COMPUTE_PGM_RSRC2:TGID_X_EN: 1
; COMPUTE_PGM_RSRC2:TGID_Y_EN: 0
; COMPUTE_PGM_RSRC2:TGID_Z_EN: 0
; COMPUTE_PGM_RSRC2:TIDIG_COMP_CNT: 0
; COMPUTE_PGM_RSRC3_GFX90A:ACCUM_OFFSET: 0
; COMPUTE_PGM_RSRC3_GFX90A:TG_SPLIT: 0
	.section	.text._ZN7rocprim17ROCPRIM_400000_NS6detail17trampoline_kernelINS0_14default_configENS1_22reduce_config_selectorIN6thrust23THRUST_200600_302600_NS5tupleIblNS6_9null_typeES8_S8_S8_S8_S8_S8_S8_EEEEZNS1_11reduce_implILb1ES3_NS6_12zip_iteratorINS7_INS6_11hip_rocprim26transform_input_iterator_tIbPN3c108BFloat16ENS6_6detail10functional5actorINSJ_9compositeIJNSJ_27transparent_binary_operatorINS6_8equal_toIvEEEENSK_INSJ_8argumentILj0EEEEENSJ_5valueISG_EEEEEEEEENSD_19counting_iterator_tIlEES8_S8_S8_S8_S8_S8_S8_S8_EEEEPS9_S9_NSD_9__find_if7functorIS9_EEEE10hipError_tPvRmT1_T2_T3_mT4_P12ihipStream_tbEUlT_E0_NS1_11comp_targetILNS1_3genE10ELNS1_11target_archE1200ELNS1_3gpuE4ELNS1_3repE0EEENS1_30default_config_static_selectorELNS0_4arch9wavefront6targetE1EEEvS19_,"axG",@progbits,_ZN7rocprim17ROCPRIM_400000_NS6detail17trampoline_kernelINS0_14default_configENS1_22reduce_config_selectorIN6thrust23THRUST_200600_302600_NS5tupleIblNS6_9null_typeES8_S8_S8_S8_S8_S8_S8_EEEEZNS1_11reduce_implILb1ES3_NS6_12zip_iteratorINS7_INS6_11hip_rocprim26transform_input_iterator_tIbPN3c108BFloat16ENS6_6detail10functional5actorINSJ_9compositeIJNSJ_27transparent_binary_operatorINS6_8equal_toIvEEEENSK_INSJ_8argumentILj0EEEEENSJ_5valueISG_EEEEEEEEENSD_19counting_iterator_tIlEES8_S8_S8_S8_S8_S8_S8_S8_EEEEPS9_S9_NSD_9__find_if7functorIS9_EEEE10hipError_tPvRmT1_T2_T3_mT4_P12ihipStream_tbEUlT_E0_NS1_11comp_targetILNS1_3genE10ELNS1_11target_archE1200ELNS1_3gpuE4ELNS1_3repE0EEENS1_30default_config_static_selectorELNS0_4arch9wavefront6targetE1EEEvS19_,comdat
	.protected	_ZN7rocprim17ROCPRIM_400000_NS6detail17trampoline_kernelINS0_14default_configENS1_22reduce_config_selectorIN6thrust23THRUST_200600_302600_NS5tupleIblNS6_9null_typeES8_S8_S8_S8_S8_S8_S8_EEEEZNS1_11reduce_implILb1ES3_NS6_12zip_iteratorINS7_INS6_11hip_rocprim26transform_input_iterator_tIbPN3c108BFloat16ENS6_6detail10functional5actorINSJ_9compositeIJNSJ_27transparent_binary_operatorINS6_8equal_toIvEEEENSK_INSJ_8argumentILj0EEEEENSJ_5valueISG_EEEEEEEEENSD_19counting_iterator_tIlEES8_S8_S8_S8_S8_S8_S8_S8_EEEEPS9_S9_NSD_9__find_if7functorIS9_EEEE10hipError_tPvRmT1_T2_T3_mT4_P12ihipStream_tbEUlT_E0_NS1_11comp_targetILNS1_3genE10ELNS1_11target_archE1200ELNS1_3gpuE4ELNS1_3repE0EEENS1_30default_config_static_selectorELNS0_4arch9wavefront6targetE1EEEvS19_ ; -- Begin function _ZN7rocprim17ROCPRIM_400000_NS6detail17trampoline_kernelINS0_14default_configENS1_22reduce_config_selectorIN6thrust23THRUST_200600_302600_NS5tupleIblNS6_9null_typeES8_S8_S8_S8_S8_S8_S8_EEEEZNS1_11reduce_implILb1ES3_NS6_12zip_iteratorINS7_INS6_11hip_rocprim26transform_input_iterator_tIbPN3c108BFloat16ENS6_6detail10functional5actorINSJ_9compositeIJNSJ_27transparent_binary_operatorINS6_8equal_toIvEEEENSK_INSJ_8argumentILj0EEEEENSJ_5valueISG_EEEEEEEEENSD_19counting_iterator_tIlEES8_S8_S8_S8_S8_S8_S8_S8_EEEEPS9_S9_NSD_9__find_if7functorIS9_EEEE10hipError_tPvRmT1_T2_T3_mT4_P12ihipStream_tbEUlT_E0_NS1_11comp_targetILNS1_3genE10ELNS1_11target_archE1200ELNS1_3gpuE4ELNS1_3repE0EEENS1_30default_config_static_selectorELNS0_4arch9wavefront6targetE1EEEvS19_
	.globl	_ZN7rocprim17ROCPRIM_400000_NS6detail17trampoline_kernelINS0_14default_configENS1_22reduce_config_selectorIN6thrust23THRUST_200600_302600_NS5tupleIblNS6_9null_typeES8_S8_S8_S8_S8_S8_S8_EEEEZNS1_11reduce_implILb1ES3_NS6_12zip_iteratorINS7_INS6_11hip_rocprim26transform_input_iterator_tIbPN3c108BFloat16ENS6_6detail10functional5actorINSJ_9compositeIJNSJ_27transparent_binary_operatorINS6_8equal_toIvEEEENSK_INSJ_8argumentILj0EEEEENSJ_5valueISG_EEEEEEEEENSD_19counting_iterator_tIlEES8_S8_S8_S8_S8_S8_S8_S8_EEEEPS9_S9_NSD_9__find_if7functorIS9_EEEE10hipError_tPvRmT1_T2_T3_mT4_P12ihipStream_tbEUlT_E0_NS1_11comp_targetILNS1_3genE10ELNS1_11target_archE1200ELNS1_3gpuE4ELNS1_3repE0EEENS1_30default_config_static_selectorELNS0_4arch9wavefront6targetE1EEEvS19_
	.p2align	8
	.type	_ZN7rocprim17ROCPRIM_400000_NS6detail17trampoline_kernelINS0_14default_configENS1_22reduce_config_selectorIN6thrust23THRUST_200600_302600_NS5tupleIblNS6_9null_typeES8_S8_S8_S8_S8_S8_S8_EEEEZNS1_11reduce_implILb1ES3_NS6_12zip_iteratorINS7_INS6_11hip_rocprim26transform_input_iterator_tIbPN3c108BFloat16ENS6_6detail10functional5actorINSJ_9compositeIJNSJ_27transparent_binary_operatorINS6_8equal_toIvEEEENSK_INSJ_8argumentILj0EEEEENSJ_5valueISG_EEEEEEEEENSD_19counting_iterator_tIlEES8_S8_S8_S8_S8_S8_S8_S8_EEEEPS9_S9_NSD_9__find_if7functorIS9_EEEE10hipError_tPvRmT1_T2_T3_mT4_P12ihipStream_tbEUlT_E0_NS1_11comp_targetILNS1_3genE10ELNS1_11target_archE1200ELNS1_3gpuE4ELNS1_3repE0EEENS1_30default_config_static_selectorELNS0_4arch9wavefront6targetE1EEEvS19_,@function
_ZN7rocprim17ROCPRIM_400000_NS6detail17trampoline_kernelINS0_14default_configENS1_22reduce_config_selectorIN6thrust23THRUST_200600_302600_NS5tupleIblNS6_9null_typeES8_S8_S8_S8_S8_S8_S8_EEEEZNS1_11reduce_implILb1ES3_NS6_12zip_iteratorINS7_INS6_11hip_rocprim26transform_input_iterator_tIbPN3c108BFloat16ENS6_6detail10functional5actorINSJ_9compositeIJNSJ_27transparent_binary_operatorINS6_8equal_toIvEEEENSK_INSJ_8argumentILj0EEEEENSJ_5valueISG_EEEEEEEEENSD_19counting_iterator_tIlEES8_S8_S8_S8_S8_S8_S8_S8_EEEEPS9_S9_NSD_9__find_if7functorIS9_EEEE10hipError_tPvRmT1_T2_T3_mT4_P12ihipStream_tbEUlT_E0_NS1_11comp_targetILNS1_3genE10ELNS1_11target_archE1200ELNS1_3gpuE4ELNS1_3repE0EEENS1_30default_config_static_selectorELNS0_4arch9wavefront6targetE1EEEvS19_: ; @_ZN7rocprim17ROCPRIM_400000_NS6detail17trampoline_kernelINS0_14default_configENS1_22reduce_config_selectorIN6thrust23THRUST_200600_302600_NS5tupleIblNS6_9null_typeES8_S8_S8_S8_S8_S8_S8_EEEEZNS1_11reduce_implILb1ES3_NS6_12zip_iteratorINS7_INS6_11hip_rocprim26transform_input_iterator_tIbPN3c108BFloat16ENS6_6detail10functional5actorINSJ_9compositeIJNSJ_27transparent_binary_operatorINS6_8equal_toIvEEEENSK_INSJ_8argumentILj0EEEEENSJ_5valueISG_EEEEEEEEENSD_19counting_iterator_tIlEES8_S8_S8_S8_S8_S8_S8_S8_EEEEPS9_S9_NSD_9__find_if7functorIS9_EEEE10hipError_tPvRmT1_T2_T3_mT4_P12ihipStream_tbEUlT_E0_NS1_11comp_targetILNS1_3genE10ELNS1_11target_archE1200ELNS1_3gpuE4ELNS1_3repE0EEENS1_30default_config_static_selectorELNS0_4arch9wavefront6targetE1EEEvS19_
; %bb.0:
	.section	.rodata,"a",@progbits
	.p2align	6, 0x0
	.amdhsa_kernel _ZN7rocprim17ROCPRIM_400000_NS6detail17trampoline_kernelINS0_14default_configENS1_22reduce_config_selectorIN6thrust23THRUST_200600_302600_NS5tupleIblNS6_9null_typeES8_S8_S8_S8_S8_S8_S8_EEEEZNS1_11reduce_implILb1ES3_NS6_12zip_iteratorINS7_INS6_11hip_rocprim26transform_input_iterator_tIbPN3c108BFloat16ENS6_6detail10functional5actorINSJ_9compositeIJNSJ_27transparent_binary_operatorINS6_8equal_toIvEEEENSK_INSJ_8argumentILj0EEEEENSJ_5valueISG_EEEEEEEEENSD_19counting_iterator_tIlEES8_S8_S8_S8_S8_S8_S8_S8_EEEEPS9_S9_NSD_9__find_if7functorIS9_EEEE10hipError_tPvRmT1_T2_T3_mT4_P12ihipStream_tbEUlT_E0_NS1_11comp_targetILNS1_3genE10ELNS1_11target_archE1200ELNS1_3gpuE4ELNS1_3repE0EEENS1_30default_config_static_selectorELNS0_4arch9wavefront6targetE1EEEvS19_
		.amdhsa_group_segment_fixed_size 0
		.amdhsa_private_segment_fixed_size 0
		.amdhsa_kernarg_size 88
		.amdhsa_user_sgpr_count 6
		.amdhsa_user_sgpr_private_segment_buffer 1
		.amdhsa_user_sgpr_dispatch_ptr 0
		.amdhsa_user_sgpr_queue_ptr 0
		.amdhsa_user_sgpr_kernarg_segment_ptr 1
		.amdhsa_user_sgpr_dispatch_id 0
		.amdhsa_user_sgpr_flat_scratch_init 0
		.amdhsa_user_sgpr_kernarg_preload_length 0
		.amdhsa_user_sgpr_kernarg_preload_offset 0
		.amdhsa_user_sgpr_private_segment_size 0
		.amdhsa_uses_dynamic_stack 0
		.amdhsa_system_sgpr_private_segment_wavefront_offset 0
		.amdhsa_system_sgpr_workgroup_id_x 1
		.amdhsa_system_sgpr_workgroup_id_y 0
		.amdhsa_system_sgpr_workgroup_id_z 0
		.amdhsa_system_sgpr_workgroup_info 0
		.amdhsa_system_vgpr_workitem_id 0
		.amdhsa_next_free_vgpr 1
		.amdhsa_next_free_sgpr 0
		.amdhsa_accum_offset 4
		.amdhsa_reserve_vcc 0
		.amdhsa_reserve_flat_scratch 0
		.amdhsa_float_round_mode_32 0
		.amdhsa_float_round_mode_16_64 0
		.amdhsa_float_denorm_mode_32 3
		.amdhsa_float_denorm_mode_16_64 3
		.amdhsa_dx10_clamp 1
		.amdhsa_ieee_mode 1
		.amdhsa_fp16_overflow 0
		.amdhsa_tg_split 0
		.amdhsa_exception_fp_ieee_invalid_op 0
		.amdhsa_exception_fp_denorm_src 0
		.amdhsa_exception_fp_ieee_div_zero 0
		.amdhsa_exception_fp_ieee_overflow 0
		.amdhsa_exception_fp_ieee_underflow 0
		.amdhsa_exception_fp_ieee_inexact 0
		.amdhsa_exception_int_div_zero 0
	.end_amdhsa_kernel
	.section	.text._ZN7rocprim17ROCPRIM_400000_NS6detail17trampoline_kernelINS0_14default_configENS1_22reduce_config_selectorIN6thrust23THRUST_200600_302600_NS5tupleIblNS6_9null_typeES8_S8_S8_S8_S8_S8_S8_EEEEZNS1_11reduce_implILb1ES3_NS6_12zip_iteratorINS7_INS6_11hip_rocprim26transform_input_iterator_tIbPN3c108BFloat16ENS6_6detail10functional5actorINSJ_9compositeIJNSJ_27transparent_binary_operatorINS6_8equal_toIvEEEENSK_INSJ_8argumentILj0EEEEENSJ_5valueISG_EEEEEEEEENSD_19counting_iterator_tIlEES8_S8_S8_S8_S8_S8_S8_S8_EEEEPS9_S9_NSD_9__find_if7functorIS9_EEEE10hipError_tPvRmT1_T2_T3_mT4_P12ihipStream_tbEUlT_E0_NS1_11comp_targetILNS1_3genE10ELNS1_11target_archE1200ELNS1_3gpuE4ELNS1_3repE0EEENS1_30default_config_static_selectorELNS0_4arch9wavefront6targetE1EEEvS19_,"axG",@progbits,_ZN7rocprim17ROCPRIM_400000_NS6detail17trampoline_kernelINS0_14default_configENS1_22reduce_config_selectorIN6thrust23THRUST_200600_302600_NS5tupleIblNS6_9null_typeES8_S8_S8_S8_S8_S8_S8_EEEEZNS1_11reduce_implILb1ES3_NS6_12zip_iteratorINS7_INS6_11hip_rocprim26transform_input_iterator_tIbPN3c108BFloat16ENS6_6detail10functional5actorINSJ_9compositeIJNSJ_27transparent_binary_operatorINS6_8equal_toIvEEEENSK_INSJ_8argumentILj0EEEEENSJ_5valueISG_EEEEEEEEENSD_19counting_iterator_tIlEES8_S8_S8_S8_S8_S8_S8_S8_EEEEPS9_S9_NSD_9__find_if7functorIS9_EEEE10hipError_tPvRmT1_T2_T3_mT4_P12ihipStream_tbEUlT_E0_NS1_11comp_targetILNS1_3genE10ELNS1_11target_archE1200ELNS1_3gpuE4ELNS1_3repE0EEENS1_30default_config_static_selectorELNS0_4arch9wavefront6targetE1EEEvS19_,comdat
.Lfunc_end2095:
	.size	_ZN7rocprim17ROCPRIM_400000_NS6detail17trampoline_kernelINS0_14default_configENS1_22reduce_config_selectorIN6thrust23THRUST_200600_302600_NS5tupleIblNS6_9null_typeES8_S8_S8_S8_S8_S8_S8_EEEEZNS1_11reduce_implILb1ES3_NS6_12zip_iteratorINS7_INS6_11hip_rocprim26transform_input_iterator_tIbPN3c108BFloat16ENS6_6detail10functional5actorINSJ_9compositeIJNSJ_27transparent_binary_operatorINS6_8equal_toIvEEEENSK_INSJ_8argumentILj0EEEEENSJ_5valueISG_EEEEEEEEENSD_19counting_iterator_tIlEES8_S8_S8_S8_S8_S8_S8_S8_EEEEPS9_S9_NSD_9__find_if7functorIS9_EEEE10hipError_tPvRmT1_T2_T3_mT4_P12ihipStream_tbEUlT_E0_NS1_11comp_targetILNS1_3genE10ELNS1_11target_archE1200ELNS1_3gpuE4ELNS1_3repE0EEENS1_30default_config_static_selectorELNS0_4arch9wavefront6targetE1EEEvS19_, .Lfunc_end2095-_ZN7rocprim17ROCPRIM_400000_NS6detail17trampoline_kernelINS0_14default_configENS1_22reduce_config_selectorIN6thrust23THRUST_200600_302600_NS5tupleIblNS6_9null_typeES8_S8_S8_S8_S8_S8_S8_EEEEZNS1_11reduce_implILb1ES3_NS6_12zip_iteratorINS7_INS6_11hip_rocprim26transform_input_iterator_tIbPN3c108BFloat16ENS6_6detail10functional5actorINSJ_9compositeIJNSJ_27transparent_binary_operatorINS6_8equal_toIvEEEENSK_INSJ_8argumentILj0EEEEENSJ_5valueISG_EEEEEEEEENSD_19counting_iterator_tIlEES8_S8_S8_S8_S8_S8_S8_S8_EEEEPS9_S9_NSD_9__find_if7functorIS9_EEEE10hipError_tPvRmT1_T2_T3_mT4_P12ihipStream_tbEUlT_E0_NS1_11comp_targetILNS1_3genE10ELNS1_11target_archE1200ELNS1_3gpuE4ELNS1_3repE0EEENS1_30default_config_static_selectorELNS0_4arch9wavefront6targetE1EEEvS19_
                                        ; -- End function
	.section	.AMDGPU.csdata,"",@progbits
; Kernel info:
; codeLenInByte = 0
; NumSgprs: 4
; NumVgprs: 0
; NumAgprs: 0
; TotalNumVgprs: 0
; ScratchSize: 0
; MemoryBound: 0
; FloatMode: 240
; IeeeMode: 1
; LDSByteSize: 0 bytes/workgroup (compile time only)
; SGPRBlocks: 0
; VGPRBlocks: 0
; NumSGPRsForWavesPerEU: 4
; NumVGPRsForWavesPerEU: 1
; AccumOffset: 4
; Occupancy: 8
; WaveLimiterHint : 0
; COMPUTE_PGM_RSRC2:SCRATCH_EN: 0
; COMPUTE_PGM_RSRC2:USER_SGPR: 6
; COMPUTE_PGM_RSRC2:TRAP_HANDLER: 0
; COMPUTE_PGM_RSRC2:TGID_X_EN: 1
; COMPUTE_PGM_RSRC2:TGID_Y_EN: 0
; COMPUTE_PGM_RSRC2:TGID_Z_EN: 0
; COMPUTE_PGM_RSRC2:TIDIG_COMP_CNT: 0
; COMPUTE_PGM_RSRC3_GFX90A:ACCUM_OFFSET: 0
; COMPUTE_PGM_RSRC3_GFX90A:TG_SPLIT: 0
	.section	.text._ZN7rocprim17ROCPRIM_400000_NS6detail17trampoline_kernelINS0_14default_configENS1_22reduce_config_selectorIN6thrust23THRUST_200600_302600_NS5tupleIblNS6_9null_typeES8_S8_S8_S8_S8_S8_S8_EEEEZNS1_11reduce_implILb1ES3_NS6_12zip_iteratorINS7_INS6_11hip_rocprim26transform_input_iterator_tIbPN3c108BFloat16ENS6_6detail10functional5actorINSJ_9compositeIJNSJ_27transparent_binary_operatorINS6_8equal_toIvEEEENSK_INSJ_8argumentILj0EEEEENSJ_5valueISG_EEEEEEEEENSD_19counting_iterator_tIlEES8_S8_S8_S8_S8_S8_S8_S8_EEEEPS9_S9_NSD_9__find_if7functorIS9_EEEE10hipError_tPvRmT1_T2_T3_mT4_P12ihipStream_tbEUlT_E0_NS1_11comp_targetILNS1_3genE9ELNS1_11target_archE1100ELNS1_3gpuE3ELNS1_3repE0EEENS1_30default_config_static_selectorELNS0_4arch9wavefront6targetE1EEEvS19_,"axG",@progbits,_ZN7rocprim17ROCPRIM_400000_NS6detail17trampoline_kernelINS0_14default_configENS1_22reduce_config_selectorIN6thrust23THRUST_200600_302600_NS5tupleIblNS6_9null_typeES8_S8_S8_S8_S8_S8_S8_EEEEZNS1_11reduce_implILb1ES3_NS6_12zip_iteratorINS7_INS6_11hip_rocprim26transform_input_iterator_tIbPN3c108BFloat16ENS6_6detail10functional5actorINSJ_9compositeIJNSJ_27transparent_binary_operatorINS6_8equal_toIvEEEENSK_INSJ_8argumentILj0EEEEENSJ_5valueISG_EEEEEEEEENSD_19counting_iterator_tIlEES8_S8_S8_S8_S8_S8_S8_S8_EEEEPS9_S9_NSD_9__find_if7functorIS9_EEEE10hipError_tPvRmT1_T2_T3_mT4_P12ihipStream_tbEUlT_E0_NS1_11comp_targetILNS1_3genE9ELNS1_11target_archE1100ELNS1_3gpuE3ELNS1_3repE0EEENS1_30default_config_static_selectorELNS0_4arch9wavefront6targetE1EEEvS19_,comdat
	.protected	_ZN7rocprim17ROCPRIM_400000_NS6detail17trampoline_kernelINS0_14default_configENS1_22reduce_config_selectorIN6thrust23THRUST_200600_302600_NS5tupleIblNS6_9null_typeES8_S8_S8_S8_S8_S8_S8_EEEEZNS1_11reduce_implILb1ES3_NS6_12zip_iteratorINS7_INS6_11hip_rocprim26transform_input_iterator_tIbPN3c108BFloat16ENS6_6detail10functional5actorINSJ_9compositeIJNSJ_27transparent_binary_operatorINS6_8equal_toIvEEEENSK_INSJ_8argumentILj0EEEEENSJ_5valueISG_EEEEEEEEENSD_19counting_iterator_tIlEES8_S8_S8_S8_S8_S8_S8_S8_EEEEPS9_S9_NSD_9__find_if7functorIS9_EEEE10hipError_tPvRmT1_T2_T3_mT4_P12ihipStream_tbEUlT_E0_NS1_11comp_targetILNS1_3genE9ELNS1_11target_archE1100ELNS1_3gpuE3ELNS1_3repE0EEENS1_30default_config_static_selectorELNS0_4arch9wavefront6targetE1EEEvS19_ ; -- Begin function _ZN7rocprim17ROCPRIM_400000_NS6detail17trampoline_kernelINS0_14default_configENS1_22reduce_config_selectorIN6thrust23THRUST_200600_302600_NS5tupleIblNS6_9null_typeES8_S8_S8_S8_S8_S8_S8_EEEEZNS1_11reduce_implILb1ES3_NS6_12zip_iteratorINS7_INS6_11hip_rocprim26transform_input_iterator_tIbPN3c108BFloat16ENS6_6detail10functional5actorINSJ_9compositeIJNSJ_27transparent_binary_operatorINS6_8equal_toIvEEEENSK_INSJ_8argumentILj0EEEEENSJ_5valueISG_EEEEEEEEENSD_19counting_iterator_tIlEES8_S8_S8_S8_S8_S8_S8_S8_EEEEPS9_S9_NSD_9__find_if7functorIS9_EEEE10hipError_tPvRmT1_T2_T3_mT4_P12ihipStream_tbEUlT_E0_NS1_11comp_targetILNS1_3genE9ELNS1_11target_archE1100ELNS1_3gpuE3ELNS1_3repE0EEENS1_30default_config_static_selectorELNS0_4arch9wavefront6targetE1EEEvS19_
	.globl	_ZN7rocprim17ROCPRIM_400000_NS6detail17trampoline_kernelINS0_14default_configENS1_22reduce_config_selectorIN6thrust23THRUST_200600_302600_NS5tupleIblNS6_9null_typeES8_S8_S8_S8_S8_S8_S8_EEEEZNS1_11reduce_implILb1ES3_NS6_12zip_iteratorINS7_INS6_11hip_rocprim26transform_input_iterator_tIbPN3c108BFloat16ENS6_6detail10functional5actorINSJ_9compositeIJNSJ_27transparent_binary_operatorINS6_8equal_toIvEEEENSK_INSJ_8argumentILj0EEEEENSJ_5valueISG_EEEEEEEEENSD_19counting_iterator_tIlEES8_S8_S8_S8_S8_S8_S8_S8_EEEEPS9_S9_NSD_9__find_if7functorIS9_EEEE10hipError_tPvRmT1_T2_T3_mT4_P12ihipStream_tbEUlT_E0_NS1_11comp_targetILNS1_3genE9ELNS1_11target_archE1100ELNS1_3gpuE3ELNS1_3repE0EEENS1_30default_config_static_selectorELNS0_4arch9wavefront6targetE1EEEvS19_
	.p2align	8
	.type	_ZN7rocprim17ROCPRIM_400000_NS6detail17trampoline_kernelINS0_14default_configENS1_22reduce_config_selectorIN6thrust23THRUST_200600_302600_NS5tupleIblNS6_9null_typeES8_S8_S8_S8_S8_S8_S8_EEEEZNS1_11reduce_implILb1ES3_NS6_12zip_iteratorINS7_INS6_11hip_rocprim26transform_input_iterator_tIbPN3c108BFloat16ENS6_6detail10functional5actorINSJ_9compositeIJNSJ_27transparent_binary_operatorINS6_8equal_toIvEEEENSK_INSJ_8argumentILj0EEEEENSJ_5valueISG_EEEEEEEEENSD_19counting_iterator_tIlEES8_S8_S8_S8_S8_S8_S8_S8_EEEEPS9_S9_NSD_9__find_if7functorIS9_EEEE10hipError_tPvRmT1_T2_T3_mT4_P12ihipStream_tbEUlT_E0_NS1_11comp_targetILNS1_3genE9ELNS1_11target_archE1100ELNS1_3gpuE3ELNS1_3repE0EEENS1_30default_config_static_selectorELNS0_4arch9wavefront6targetE1EEEvS19_,@function
_ZN7rocprim17ROCPRIM_400000_NS6detail17trampoline_kernelINS0_14default_configENS1_22reduce_config_selectorIN6thrust23THRUST_200600_302600_NS5tupleIblNS6_9null_typeES8_S8_S8_S8_S8_S8_S8_EEEEZNS1_11reduce_implILb1ES3_NS6_12zip_iteratorINS7_INS6_11hip_rocprim26transform_input_iterator_tIbPN3c108BFloat16ENS6_6detail10functional5actorINSJ_9compositeIJNSJ_27transparent_binary_operatorINS6_8equal_toIvEEEENSK_INSJ_8argumentILj0EEEEENSJ_5valueISG_EEEEEEEEENSD_19counting_iterator_tIlEES8_S8_S8_S8_S8_S8_S8_S8_EEEEPS9_S9_NSD_9__find_if7functorIS9_EEEE10hipError_tPvRmT1_T2_T3_mT4_P12ihipStream_tbEUlT_E0_NS1_11comp_targetILNS1_3genE9ELNS1_11target_archE1100ELNS1_3gpuE3ELNS1_3repE0EEENS1_30default_config_static_selectorELNS0_4arch9wavefront6targetE1EEEvS19_: ; @_ZN7rocprim17ROCPRIM_400000_NS6detail17trampoline_kernelINS0_14default_configENS1_22reduce_config_selectorIN6thrust23THRUST_200600_302600_NS5tupleIblNS6_9null_typeES8_S8_S8_S8_S8_S8_S8_EEEEZNS1_11reduce_implILb1ES3_NS6_12zip_iteratorINS7_INS6_11hip_rocprim26transform_input_iterator_tIbPN3c108BFloat16ENS6_6detail10functional5actorINSJ_9compositeIJNSJ_27transparent_binary_operatorINS6_8equal_toIvEEEENSK_INSJ_8argumentILj0EEEEENSJ_5valueISG_EEEEEEEEENSD_19counting_iterator_tIlEES8_S8_S8_S8_S8_S8_S8_S8_EEEEPS9_S9_NSD_9__find_if7functorIS9_EEEE10hipError_tPvRmT1_T2_T3_mT4_P12ihipStream_tbEUlT_E0_NS1_11comp_targetILNS1_3genE9ELNS1_11target_archE1100ELNS1_3gpuE3ELNS1_3repE0EEENS1_30default_config_static_selectorELNS0_4arch9wavefront6targetE1EEEvS19_
; %bb.0:
	.section	.rodata,"a",@progbits
	.p2align	6, 0x0
	.amdhsa_kernel _ZN7rocprim17ROCPRIM_400000_NS6detail17trampoline_kernelINS0_14default_configENS1_22reduce_config_selectorIN6thrust23THRUST_200600_302600_NS5tupleIblNS6_9null_typeES8_S8_S8_S8_S8_S8_S8_EEEEZNS1_11reduce_implILb1ES3_NS6_12zip_iteratorINS7_INS6_11hip_rocprim26transform_input_iterator_tIbPN3c108BFloat16ENS6_6detail10functional5actorINSJ_9compositeIJNSJ_27transparent_binary_operatorINS6_8equal_toIvEEEENSK_INSJ_8argumentILj0EEEEENSJ_5valueISG_EEEEEEEEENSD_19counting_iterator_tIlEES8_S8_S8_S8_S8_S8_S8_S8_EEEEPS9_S9_NSD_9__find_if7functorIS9_EEEE10hipError_tPvRmT1_T2_T3_mT4_P12ihipStream_tbEUlT_E0_NS1_11comp_targetILNS1_3genE9ELNS1_11target_archE1100ELNS1_3gpuE3ELNS1_3repE0EEENS1_30default_config_static_selectorELNS0_4arch9wavefront6targetE1EEEvS19_
		.amdhsa_group_segment_fixed_size 0
		.amdhsa_private_segment_fixed_size 0
		.amdhsa_kernarg_size 88
		.amdhsa_user_sgpr_count 6
		.amdhsa_user_sgpr_private_segment_buffer 1
		.amdhsa_user_sgpr_dispatch_ptr 0
		.amdhsa_user_sgpr_queue_ptr 0
		.amdhsa_user_sgpr_kernarg_segment_ptr 1
		.amdhsa_user_sgpr_dispatch_id 0
		.amdhsa_user_sgpr_flat_scratch_init 0
		.amdhsa_user_sgpr_kernarg_preload_length 0
		.amdhsa_user_sgpr_kernarg_preload_offset 0
		.amdhsa_user_sgpr_private_segment_size 0
		.amdhsa_uses_dynamic_stack 0
		.amdhsa_system_sgpr_private_segment_wavefront_offset 0
		.amdhsa_system_sgpr_workgroup_id_x 1
		.amdhsa_system_sgpr_workgroup_id_y 0
		.amdhsa_system_sgpr_workgroup_id_z 0
		.amdhsa_system_sgpr_workgroup_info 0
		.amdhsa_system_vgpr_workitem_id 0
		.amdhsa_next_free_vgpr 1
		.amdhsa_next_free_sgpr 0
		.amdhsa_accum_offset 4
		.amdhsa_reserve_vcc 0
		.amdhsa_reserve_flat_scratch 0
		.amdhsa_float_round_mode_32 0
		.amdhsa_float_round_mode_16_64 0
		.amdhsa_float_denorm_mode_32 3
		.amdhsa_float_denorm_mode_16_64 3
		.amdhsa_dx10_clamp 1
		.amdhsa_ieee_mode 1
		.amdhsa_fp16_overflow 0
		.amdhsa_tg_split 0
		.amdhsa_exception_fp_ieee_invalid_op 0
		.amdhsa_exception_fp_denorm_src 0
		.amdhsa_exception_fp_ieee_div_zero 0
		.amdhsa_exception_fp_ieee_overflow 0
		.amdhsa_exception_fp_ieee_underflow 0
		.amdhsa_exception_fp_ieee_inexact 0
		.amdhsa_exception_int_div_zero 0
	.end_amdhsa_kernel
	.section	.text._ZN7rocprim17ROCPRIM_400000_NS6detail17trampoline_kernelINS0_14default_configENS1_22reduce_config_selectorIN6thrust23THRUST_200600_302600_NS5tupleIblNS6_9null_typeES8_S8_S8_S8_S8_S8_S8_EEEEZNS1_11reduce_implILb1ES3_NS6_12zip_iteratorINS7_INS6_11hip_rocprim26transform_input_iterator_tIbPN3c108BFloat16ENS6_6detail10functional5actorINSJ_9compositeIJNSJ_27transparent_binary_operatorINS6_8equal_toIvEEEENSK_INSJ_8argumentILj0EEEEENSJ_5valueISG_EEEEEEEEENSD_19counting_iterator_tIlEES8_S8_S8_S8_S8_S8_S8_S8_EEEEPS9_S9_NSD_9__find_if7functorIS9_EEEE10hipError_tPvRmT1_T2_T3_mT4_P12ihipStream_tbEUlT_E0_NS1_11comp_targetILNS1_3genE9ELNS1_11target_archE1100ELNS1_3gpuE3ELNS1_3repE0EEENS1_30default_config_static_selectorELNS0_4arch9wavefront6targetE1EEEvS19_,"axG",@progbits,_ZN7rocprim17ROCPRIM_400000_NS6detail17trampoline_kernelINS0_14default_configENS1_22reduce_config_selectorIN6thrust23THRUST_200600_302600_NS5tupleIblNS6_9null_typeES8_S8_S8_S8_S8_S8_S8_EEEEZNS1_11reduce_implILb1ES3_NS6_12zip_iteratorINS7_INS6_11hip_rocprim26transform_input_iterator_tIbPN3c108BFloat16ENS6_6detail10functional5actorINSJ_9compositeIJNSJ_27transparent_binary_operatorINS6_8equal_toIvEEEENSK_INSJ_8argumentILj0EEEEENSJ_5valueISG_EEEEEEEEENSD_19counting_iterator_tIlEES8_S8_S8_S8_S8_S8_S8_S8_EEEEPS9_S9_NSD_9__find_if7functorIS9_EEEE10hipError_tPvRmT1_T2_T3_mT4_P12ihipStream_tbEUlT_E0_NS1_11comp_targetILNS1_3genE9ELNS1_11target_archE1100ELNS1_3gpuE3ELNS1_3repE0EEENS1_30default_config_static_selectorELNS0_4arch9wavefront6targetE1EEEvS19_,comdat
.Lfunc_end2096:
	.size	_ZN7rocprim17ROCPRIM_400000_NS6detail17trampoline_kernelINS0_14default_configENS1_22reduce_config_selectorIN6thrust23THRUST_200600_302600_NS5tupleIblNS6_9null_typeES8_S8_S8_S8_S8_S8_S8_EEEEZNS1_11reduce_implILb1ES3_NS6_12zip_iteratorINS7_INS6_11hip_rocprim26transform_input_iterator_tIbPN3c108BFloat16ENS6_6detail10functional5actorINSJ_9compositeIJNSJ_27transparent_binary_operatorINS6_8equal_toIvEEEENSK_INSJ_8argumentILj0EEEEENSJ_5valueISG_EEEEEEEEENSD_19counting_iterator_tIlEES8_S8_S8_S8_S8_S8_S8_S8_EEEEPS9_S9_NSD_9__find_if7functorIS9_EEEE10hipError_tPvRmT1_T2_T3_mT4_P12ihipStream_tbEUlT_E0_NS1_11comp_targetILNS1_3genE9ELNS1_11target_archE1100ELNS1_3gpuE3ELNS1_3repE0EEENS1_30default_config_static_selectorELNS0_4arch9wavefront6targetE1EEEvS19_, .Lfunc_end2096-_ZN7rocprim17ROCPRIM_400000_NS6detail17trampoline_kernelINS0_14default_configENS1_22reduce_config_selectorIN6thrust23THRUST_200600_302600_NS5tupleIblNS6_9null_typeES8_S8_S8_S8_S8_S8_S8_EEEEZNS1_11reduce_implILb1ES3_NS6_12zip_iteratorINS7_INS6_11hip_rocprim26transform_input_iterator_tIbPN3c108BFloat16ENS6_6detail10functional5actorINSJ_9compositeIJNSJ_27transparent_binary_operatorINS6_8equal_toIvEEEENSK_INSJ_8argumentILj0EEEEENSJ_5valueISG_EEEEEEEEENSD_19counting_iterator_tIlEES8_S8_S8_S8_S8_S8_S8_S8_EEEEPS9_S9_NSD_9__find_if7functorIS9_EEEE10hipError_tPvRmT1_T2_T3_mT4_P12ihipStream_tbEUlT_E0_NS1_11comp_targetILNS1_3genE9ELNS1_11target_archE1100ELNS1_3gpuE3ELNS1_3repE0EEENS1_30default_config_static_selectorELNS0_4arch9wavefront6targetE1EEEvS19_
                                        ; -- End function
	.section	.AMDGPU.csdata,"",@progbits
; Kernel info:
; codeLenInByte = 0
; NumSgprs: 4
; NumVgprs: 0
; NumAgprs: 0
; TotalNumVgprs: 0
; ScratchSize: 0
; MemoryBound: 0
; FloatMode: 240
; IeeeMode: 1
; LDSByteSize: 0 bytes/workgroup (compile time only)
; SGPRBlocks: 0
; VGPRBlocks: 0
; NumSGPRsForWavesPerEU: 4
; NumVGPRsForWavesPerEU: 1
; AccumOffset: 4
; Occupancy: 8
; WaveLimiterHint : 0
; COMPUTE_PGM_RSRC2:SCRATCH_EN: 0
; COMPUTE_PGM_RSRC2:USER_SGPR: 6
; COMPUTE_PGM_RSRC2:TRAP_HANDLER: 0
; COMPUTE_PGM_RSRC2:TGID_X_EN: 1
; COMPUTE_PGM_RSRC2:TGID_Y_EN: 0
; COMPUTE_PGM_RSRC2:TGID_Z_EN: 0
; COMPUTE_PGM_RSRC2:TIDIG_COMP_CNT: 0
; COMPUTE_PGM_RSRC3_GFX90A:ACCUM_OFFSET: 0
; COMPUTE_PGM_RSRC3_GFX90A:TG_SPLIT: 0
	.section	.text._ZN7rocprim17ROCPRIM_400000_NS6detail17trampoline_kernelINS0_14default_configENS1_22reduce_config_selectorIN6thrust23THRUST_200600_302600_NS5tupleIblNS6_9null_typeES8_S8_S8_S8_S8_S8_S8_EEEEZNS1_11reduce_implILb1ES3_NS6_12zip_iteratorINS7_INS6_11hip_rocprim26transform_input_iterator_tIbPN3c108BFloat16ENS6_6detail10functional5actorINSJ_9compositeIJNSJ_27transparent_binary_operatorINS6_8equal_toIvEEEENSK_INSJ_8argumentILj0EEEEENSJ_5valueISG_EEEEEEEEENSD_19counting_iterator_tIlEES8_S8_S8_S8_S8_S8_S8_S8_EEEEPS9_S9_NSD_9__find_if7functorIS9_EEEE10hipError_tPvRmT1_T2_T3_mT4_P12ihipStream_tbEUlT_E0_NS1_11comp_targetILNS1_3genE8ELNS1_11target_archE1030ELNS1_3gpuE2ELNS1_3repE0EEENS1_30default_config_static_selectorELNS0_4arch9wavefront6targetE1EEEvS19_,"axG",@progbits,_ZN7rocprim17ROCPRIM_400000_NS6detail17trampoline_kernelINS0_14default_configENS1_22reduce_config_selectorIN6thrust23THRUST_200600_302600_NS5tupleIblNS6_9null_typeES8_S8_S8_S8_S8_S8_S8_EEEEZNS1_11reduce_implILb1ES3_NS6_12zip_iteratorINS7_INS6_11hip_rocprim26transform_input_iterator_tIbPN3c108BFloat16ENS6_6detail10functional5actorINSJ_9compositeIJNSJ_27transparent_binary_operatorINS6_8equal_toIvEEEENSK_INSJ_8argumentILj0EEEEENSJ_5valueISG_EEEEEEEEENSD_19counting_iterator_tIlEES8_S8_S8_S8_S8_S8_S8_S8_EEEEPS9_S9_NSD_9__find_if7functorIS9_EEEE10hipError_tPvRmT1_T2_T3_mT4_P12ihipStream_tbEUlT_E0_NS1_11comp_targetILNS1_3genE8ELNS1_11target_archE1030ELNS1_3gpuE2ELNS1_3repE0EEENS1_30default_config_static_selectorELNS0_4arch9wavefront6targetE1EEEvS19_,comdat
	.protected	_ZN7rocprim17ROCPRIM_400000_NS6detail17trampoline_kernelINS0_14default_configENS1_22reduce_config_selectorIN6thrust23THRUST_200600_302600_NS5tupleIblNS6_9null_typeES8_S8_S8_S8_S8_S8_S8_EEEEZNS1_11reduce_implILb1ES3_NS6_12zip_iteratorINS7_INS6_11hip_rocprim26transform_input_iterator_tIbPN3c108BFloat16ENS6_6detail10functional5actorINSJ_9compositeIJNSJ_27transparent_binary_operatorINS6_8equal_toIvEEEENSK_INSJ_8argumentILj0EEEEENSJ_5valueISG_EEEEEEEEENSD_19counting_iterator_tIlEES8_S8_S8_S8_S8_S8_S8_S8_EEEEPS9_S9_NSD_9__find_if7functorIS9_EEEE10hipError_tPvRmT1_T2_T3_mT4_P12ihipStream_tbEUlT_E0_NS1_11comp_targetILNS1_3genE8ELNS1_11target_archE1030ELNS1_3gpuE2ELNS1_3repE0EEENS1_30default_config_static_selectorELNS0_4arch9wavefront6targetE1EEEvS19_ ; -- Begin function _ZN7rocprim17ROCPRIM_400000_NS6detail17trampoline_kernelINS0_14default_configENS1_22reduce_config_selectorIN6thrust23THRUST_200600_302600_NS5tupleIblNS6_9null_typeES8_S8_S8_S8_S8_S8_S8_EEEEZNS1_11reduce_implILb1ES3_NS6_12zip_iteratorINS7_INS6_11hip_rocprim26transform_input_iterator_tIbPN3c108BFloat16ENS6_6detail10functional5actorINSJ_9compositeIJNSJ_27transparent_binary_operatorINS6_8equal_toIvEEEENSK_INSJ_8argumentILj0EEEEENSJ_5valueISG_EEEEEEEEENSD_19counting_iterator_tIlEES8_S8_S8_S8_S8_S8_S8_S8_EEEEPS9_S9_NSD_9__find_if7functorIS9_EEEE10hipError_tPvRmT1_T2_T3_mT4_P12ihipStream_tbEUlT_E0_NS1_11comp_targetILNS1_3genE8ELNS1_11target_archE1030ELNS1_3gpuE2ELNS1_3repE0EEENS1_30default_config_static_selectorELNS0_4arch9wavefront6targetE1EEEvS19_
	.globl	_ZN7rocprim17ROCPRIM_400000_NS6detail17trampoline_kernelINS0_14default_configENS1_22reduce_config_selectorIN6thrust23THRUST_200600_302600_NS5tupleIblNS6_9null_typeES8_S8_S8_S8_S8_S8_S8_EEEEZNS1_11reduce_implILb1ES3_NS6_12zip_iteratorINS7_INS6_11hip_rocprim26transform_input_iterator_tIbPN3c108BFloat16ENS6_6detail10functional5actorINSJ_9compositeIJNSJ_27transparent_binary_operatorINS6_8equal_toIvEEEENSK_INSJ_8argumentILj0EEEEENSJ_5valueISG_EEEEEEEEENSD_19counting_iterator_tIlEES8_S8_S8_S8_S8_S8_S8_S8_EEEEPS9_S9_NSD_9__find_if7functorIS9_EEEE10hipError_tPvRmT1_T2_T3_mT4_P12ihipStream_tbEUlT_E0_NS1_11comp_targetILNS1_3genE8ELNS1_11target_archE1030ELNS1_3gpuE2ELNS1_3repE0EEENS1_30default_config_static_selectorELNS0_4arch9wavefront6targetE1EEEvS19_
	.p2align	8
	.type	_ZN7rocprim17ROCPRIM_400000_NS6detail17trampoline_kernelINS0_14default_configENS1_22reduce_config_selectorIN6thrust23THRUST_200600_302600_NS5tupleIblNS6_9null_typeES8_S8_S8_S8_S8_S8_S8_EEEEZNS1_11reduce_implILb1ES3_NS6_12zip_iteratorINS7_INS6_11hip_rocprim26transform_input_iterator_tIbPN3c108BFloat16ENS6_6detail10functional5actorINSJ_9compositeIJNSJ_27transparent_binary_operatorINS6_8equal_toIvEEEENSK_INSJ_8argumentILj0EEEEENSJ_5valueISG_EEEEEEEEENSD_19counting_iterator_tIlEES8_S8_S8_S8_S8_S8_S8_S8_EEEEPS9_S9_NSD_9__find_if7functorIS9_EEEE10hipError_tPvRmT1_T2_T3_mT4_P12ihipStream_tbEUlT_E0_NS1_11comp_targetILNS1_3genE8ELNS1_11target_archE1030ELNS1_3gpuE2ELNS1_3repE0EEENS1_30default_config_static_selectorELNS0_4arch9wavefront6targetE1EEEvS19_,@function
_ZN7rocprim17ROCPRIM_400000_NS6detail17trampoline_kernelINS0_14default_configENS1_22reduce_config_selectorIN6thrust23THRUST_200600_302600_NS5tupleIblNS6_9null_typeES8_S8_S8_S8_S8_S8_S8_EEEEZNS1_11reduce_implILb1ES3_NS6_12zip_iteratorINS7_INS6_11hip_rocprim26transform_input_iterator_tIbPN3c108BFloat16ENS6_6detail10functional5actorINSJ_9compositeIJNSJ_27transparent_binary_operatorINS6_8equal_toIvEEEENSK_INSJ_8argumentILj0EEEEENSJ_5valueISG_EEEEEEEEENSD_19counting_iterator_tIlEES8_S8_S8_S8_S8_S8_S8_S8_EEEEPS9_S9_NSD_9__find_if7functorIS9_EEEE10hipError_tPvRmT1_T2_T3_mT4_P12ihipStream_tbEUlT_E0_NS1_11comp_targetILNS1_3genE8ELNS1_11target_archE1030ELNS1_3gpuE2ELNS1_3repE0EEENS1_30default_config_static_selectorELNS0_4arch9wavefront6targetE1EEEvS19_: ; @_ZN7rocprim17ROCPRIM_400000_NS6detail17trampoline_kernelINS0_14default_configENS1_22reduce_config_selectorIN6thrust23THRUST_200600_302600_NS5tupleIblNS6_9null_typeES8_S8_S8_S8_S8_S8_S8_EEEEZNS1_11reduce_implILb1ES3_NS6_12zip_iteratorINS7_INS6_11hip_rocprim26transform_input_iterator_tIbPN3c108BFloat16ENS6_6detail10functional5actorINSJ_9compositeIJNSJ_27transparent_binary_operatorINS6_8equal_toIvEEEENSK_INSJ_8argumentILj0EEEEENSJ_5valueISG_EEEEEEEEENSD_19counting_iterator_tIlEES8_S8_S8_S8_S8_S8_S8_S8_EEEEPS9_S9_NSD_9__find_if7functorIS9_EEEE10hipError_tPvRmT1_T2_T3_mT4_P12ihipStream_tbEUlT_E0_NS1_11comp_targetILNS1_3genE8ELNS1_11target_archE1030ELNS1_3gpuE2ELNS1_3repE0EEENS1_30default_config_static_selectorELNS0_4arch9wavefront6targetE1EEEvS19_
; %bb.0:
	.section	.rodata,"a",@progbits
	.p2align	6, 0x0
	.amdhsa_kernel _ZN7rocprim17ROCPRIM_400000_NS6detail17trampoline_kernelINS0_14default_configENS1_22reduce_config_selectorIN6thrust23THRUST_200600_302600_NS5tupleIblNS6_9null_typeES8_S8_S8_S8_S8_S8_S8_EEEEZNS1_11reduce_implILb1ES3_NS6_12zip_iteratorINS7_INS6_11hip_rocprim26transform_input_iterator_tIbPN3c108BFloat16ENS6_6detail10functional5actorINSJ_9compositeIJNSJ_27transparent_binary_operatorINS6_8equal_toIvEEEENSK_INSJ_8argumentILj0EEEEENSJ_5valueISG_EEEEEEEEENSD_19counting_iterator_tIlEES8_S8_S8_S8_S8_S8_S8_S8_EEEEPS9_S9_NSD_9__find_if7functorIS9_EEEE10hipError_tPvRmT1_T2_T3_mT4_P12ihipStream_tbEUlT_E0_NS1_11comp_targetILNS1_3genE8ELNS1_11target_archE1030ELNS1_3gpuE2ELNS1_3repE0EEENS1_30default_config_static_selectorELNS0_4arch9wavefront6targetE1EEEvS19_
		.amdhsa_group_segment_fixed_size 0
		.amdhsa_private_segment_fixed_size 0
		.amdhsa_kernarg_size 88
		.amdhsa_user_sgpr_count 6
		.amdhsa_user_sgpr_private_segment_buffer 1
		.amdhsa_user_sgpr_dispatch_ptr 0
		.amdhsa_user_sgpr_queue_ptr 0
		.amdhsa_user_sgpr_kernarg_segment_ptr 1
		.amdhsa_user_sgpr_dispatch_id 0
		.amdhsa_user_sgpr_flat_scratch_init 0
		.amdhsa_user_sgpr_kernarg_preload_length 0
		.amdhsa_user_sgpr_kernarg_preload_offset 0
		.amdhsa_user_sgpr_private_segment_size 0
		.amdhsa_uses_dynamic_stack 0
		.amdhsa_system_sgpr_private_segment_wavefront_offset 0
		.amdhsa_system_sgpr_workgroup_id_x 1
		.amdhsa_system_sgpr_workgroup_id_y 0
		.amdhsa_system_sgpr_workgroup_id_z 0
		.amdhsa_system_sgpr_workgroup_info 0
		.amdhsa_system_vgpr_workitem_id 0
		.amdhsa_next_free_vgpr 1
		.amdhsa_next_free_sgpr 0
		.amdhsa_accum_offset 4
		.amdhsa_reserve_vcc 0
		.amdhsa_reserve_flat_scratch 0
		.amdhsa_float_round_mode_32 0
		.amdhsa_float_round_mode_16_64 0
		.amdhsa_float_denorm_mode_32 3
		.amdhsa_float_denorm_mode_16_64 3
		.amdhsa_dx10_clamp 1
		.amdhsa_ieee_mode 1
		.amdhsa_fp16_overflow 0
		.amdhsa_tg_split 0
		.amdhsa_exception_fp_ieee_invalid_op 0
		.amdhsa_exception_fp_denorm_src 0
		.amdhsa_exception_fp_ieee_div_zero 0
		.amdhsa_exception_fp_ieee_overflow 0
		.amdhsa_exception_fp_ieee_underflow 0
		.amdhsa_exception_fp_ieee_inexact 0
		.amdhsa_exception_int_div_zero 0
	.end_amdhsa_kernel
	.section	.text._ZN7rocprim17ROCPRIM_400000_NS6detail17trampoline_kernelINS0_14default_configENS1_22reduce_config_selectorIN6thrust23THRUST_200600_302600_NS5tupleIblNS6_9null_typeES8_S8_S8_S8_S8_S8_S8_EEEEZNS1_11reduce_implILb1ES3_NS6_12zip_iteratorINS7_INS6_11hip_rocprim26transform_input_iterator_tIbPN3c108BFloat16ENS6_6detail10functional5actorINSJ_9compositeIJNSJ_27transparent_binary_operatorINS6_8equal_toIvEEEENSK_INSJ_8argumentILj0EEEEENSJ_5valueISG_EEEEEEEEENSD_19counting_iterator_tIlEES8_S8_S8_S8_S8_S8_S8_S8_EEEEPS9_S9_NSD_9__find_if7functorIS9_EEEE10hipError_tPvRmT1_T2_T3_mT4_P12ihipStream_tbEUlT_E0_NS1_11comp_targetILNS1_3genE8ELNS1_11target_archE1030ELNS1_3gpuE2ELNS1_3repE0EEENS1_30default_config_static_selectorELNS0_4arch9wavefront6targetE1EEEvS19_,"axG",@progbits,_ZN7rocprim17ROCPRIM_400000_NS6detail17trampoline_kernelINS0_14default_configENS1_22reduce_config_selectorIN6thrust23THRUST_200600_302600_NS5tupleIblNS6_9null_typeES8_S8_S8_S8_S8_S8_S8_EEEEZNS1_11reduce_implILb1ES3_NS6_12zip_iteratorINS7_INS6_11hip_rocprim26transform_input_iterator_tIbPN3c108BFloat16ENS6_6detail10functional5actorINSJ_9compositeIJNSJ_27transparent_binary_operatorINS6_8equal_toIvEEEENSK_INSJ_8argumentILj0EEEEENSJ_5valueISG_EEEEEEEEENSD_19counting_iterator_tIlEES8_S8_S8_S8_S8_S8_S8_S8_EEEEPS9_S9_NSD_9__find_if7functorIS9_EEEE10hipError_tPvRmT1_T2_T3_mT4_P12ihipStream_tbEUlT_E0_NS1_11comp_targetILNS1_3genE8ELNS1_11target_archE1030ELNS1_3gpuE2ELNS1_3repE0EEENS1_30default_config_static_selectorELNS0_4arch9wavefront6targetE1EEEvS19_,comdat
.Lfunc_end2097:
	.size	_ZN7rocprim17ROCPRIM_400000_NS6detail17trampoline_kernelINS0_14default_configENS1_22reduce_config_selectorIN6thrust23THRUST_200600_302600_NS5tupleIblNS6_9null_typeES8_S8_S8_S8_S8_S8_S8_EEEEZNS1_11reduce_implILb1ES3_NS6_12zip_iteratorINS7_INS6_11hip_rocprim26transform_input_iterator_tIbPN3c108BFloat16ENS6_6detail10functional5actorINSJ_9compositeIJNSJ_27transparent_binary_operatorINS6_8equal_toIvEEEENSK_INSJ_8argumentILj0EEEEENSJ_5valueISG_EEEEEEEEENSD_19counting_iterator_tIlEES8_S8_S8_S8_S8_S8_S8_S8_EEEEPS9_S9_NSD_9__find_if7functorIS9_EEEE10hipError_tPvRmT1_T2_T3_mT4_P12ihipStream_tbEUlT_E0_NS1_11comp_targetILNS1_3genE8ELNS1_11target_archE1030ELNS1_3gpuE2ELNS1_3repE0EEENS1_30default_config_static_selectorELNS0_4arch9wavefront6targetE1EEEvS19_, .Lfunc_end2097-_ZN7rocprim17ROCPRIM_400000_NS6detail17trampoline_kernelINS0_14default_configENS1_22reduce_config_selectorIN6thrust23THRUST_200600_302600_NS5tupleIblNS6_9null_typeES8_S8_S8_S8_S8_S8_S8_EEEEZNS1_11reduce_implILb1ES3_NS6_12zip_iteratorINS7_INS6_11hip_rocprim26transform_input_iterator_tIbPN3c108BFloat16ENS6_6detail10functional5actorINSJ_9compositeIJNSJ_27transparent_binary_operatorINS6_8equal_toIvEEEENSK_INSJ_8argumentILj0EEEEENSJ_5valueISG_EEEEEEEEENSD_19counting_iterator_tIlEES8_S8_S8_S8_S8_S8_S8_S8_EEEEPS9_S9_NSD_9__find_if7functorIS9_EEEE10hipError_tPvRmT1_T2_T3_mT4_P12ihipStream_tbEUlT_E0_NS1_11comp_targetILNS1_3genE8ELNS1_11target_archE1030ELNS1_3gpuE2ELNS1_3repE0EEENS1_30default_config_static_selectorELNS0_4arch9wavefront6targetE1EEEvS19_
                                        ; -- End function
	.section	.AMDGPU.csdata,"",@progbits
; Kernel info:
; codeLenInByte = 0
; NumSgprs: 4
; NumVgprs: 0
; NumAgprs: 0
; TotalNumVgprs: 0
; ScratchSize: 0
; MemoryBound: 0
; FloatMode: 240
; IeeeMode: 1
; LDSByteSize: 0 bytes/workgroup (compile time only)
; SGPRBlocks: 0
; VGPRBlocks: 0
; NumSGPRsForWavesPerEU: 4
; NumVGPRsForWavesPerEU: 1
; AccumOffset: 4
; Occupancy: 8
; WaveLimiterHint : 0
; COMPUTE_PGM_RSRC2:SCRATCH_EN: 0
; COMPUTE_PGM_RSRC2:USER_SGPR: 6
; COMPUTE_PGM_RSRC2:TRAP_HANDLER: 0
; COMPUTE_PGM_RSRC2:TGID_X_EN: 1
; COMPUTE_PGM_RSRC2:TGID_Y_EN: 0
; COMPUTE_PGM_RSRC2:TGID_Z_EN: 0
; COMPUTE_PGM_RSRC2:TIDIG_COMP_CNT: 0
; COMPUTE_PGM_RSRC3_GFX90A:ACCUM_OFFSET: 0
; COMPUTE_PGM_RSRC3_GFX90A:TG_SPLIT: 0
	.section	.text._ZN7rocprim17ROCPRIM_400000_NS6detail17trampoline_kernelINS0_14default_configENS1_22reduce_config_selectorIN6thrust23THRUST_200600_302600_NS5tupleIblNS6_9null_typeES8_S8_S8_S8_S8_S8_S8_EEEEZNS1_11reduce_implILb1ES3_NS6_12zip_iteratorINS7_INS6_11hip_rocprim26transform_input_iterator_tIbPN3c108BFloat16ENS6_6detail10functional5actorINSJ_9compositeIJNSJ_27transparent_binary_operatorINS6_8equal_toIvEEEENSK_INSJ_8argumentILj0EEEEENSJ_5valueISG_EEEEEEEEENSD_19counting_iterator_tIlEES8_S8_S8_S8_S8_S8_S8_S8_EEEEPS9_S9_NSD_9__find_if7functorIS9_EEEE10hipError_tPvRmT1_T2_T3_mT4_P12ihipStream_tbEUlT_E1_NS1_11comp_targetILNS1_3genE0ELNS1_11target_archE4294967295ELNS1_3gpuE0ELNS1_3repE0EEENS1_30default_config_static_selectorELNS0_4arch9wavefront6targetE1EEEvS19_,"axG",@progbits,_ZN7rocprim17ROCPRIM_400000_NS6detail17trampoline_kernelINS0_14default_configENS1_22reduce_config_selectorIN6thrust23THRUST_200600_302600_NS5tupleIblNS6_9null_typeES8_S8_S8_S8_S8_S8_S8_EEEEZNS1_11reduce_implILb1ES3_NS6_12zip_iteratorINS7_INS6_11hip_rocprim26transform_input_iterator_tIbPN3c108BFloat16ENS6_6detail10functional5actorINSJ_9compositeIJNSJ_27transparent_binary_operatorINS6_8equal_toIvEEEENSK_INSJ_8argumentILj0EEEEENSJ_5valueISG_EEEEEEEEENSD_19counting_iterator_tIlEES8_S8_S8_S8_S8_S8_S8_S8_EEEEPS9_S9_NSD_9__find_if7functorIS9_EEEE10hipError_tPvRmT1_T2_T3_mT4_P12ihipStream_tbEUlT_E1_NS1_11comp_targetILNS1_3genE0ELNS1_11target_archE4294967295ELNS1_3gpuE0ELNS1_3repE0EEENS1_30default_config_static_selectorELNS0_4arch9wavefront6targetE1EEEvS19_,comdat
	.protected	_ZN7rocprim17ROCPRIM_400000_NS6detail17trampoline_kernelINS0_14default_configENS1_22reduce_config_selectorIN6thrust23THRUST_200600_302600_NS5tupleIblNS6_9null_typeES8_S8_S8_S8_S8_S8_S8_EEEEZNS1_11reduce_implILb1ES3_NS6_12zip_iteratorINS7_INS6_11hip_rocprim26transform_input_iterator_tIbPN3c108BFloat16ENS6_6detail10functional5actorINSJ_9compositeIJNSJ_27transparent_binary_operatorINS6_8equal_toIvEEEENSK_INSJ_8argumentILj0EEEEENSJ_5valueISG_EEEEEEEEENSD_19counting_iterator_tIlEES8_S8_S8_S8_S8_S8_S8_S8_EEEEPS9_S9_NSD_9__find_if7functorIS9_EEEE10hipError_tPvRmT1_T2_T3_mT4_P12ihipStream_tbEUlT_E1_NS1_11comp_targetILNS1_3genE0ELNS1_11target_archE4294967295ELNS1_3gpuE0ELNS1_3repE0EEENS1_30default_config_static_selectorELNS0_4arch9wavefront6targetE1EEEvS19_ ; -- Begin function _ZN7rocprim17ROCPRIM_400000_NS6detail17trampoline_kernelINS0_14default_configENS1_22reduce_config_selectorIN6thrust23THRUST_200600_302600_NS5tupleIblNS6_9null_typeES8_S8_S8_S8_S8_S8_S8_EEEEZNS1_11reduce_implILb1ES3_NS6_12zip_iteratorINS7_INS6_11hip_rocprim26transform_input_iterator_tIbPN3c108BFloat16ENS6_6detail10functional5actorINSJ_9compositeIJNSJ_27transparent_binary_operatorINS6_8equal_toIvEEEENSK_INSJ_8argumentILj0EEEEENSJ_5valueISG_EEEEEEEEENSD_19counting_iterator_tIlEES8_S8_S8_S8_S8_S8_S8_S8_EEEEPS9_S9_NSD_9__find_if7functorIS9_EEEE10hipError_tPvRmT1_T2_T3_mT4_P12ihipStream_tbEUlT_E1_NS1_11comp_targetILNS1_3genE0ELNS1_11target_archE4294967295ELNS1_3gpuE0ELNS1_3repE0EEENS1_30default_config_static_selectorELNS0_4arch9wavefront6targetE1EEEvS19_
	.globl	_ZN7rocprim17ROCPRIM_400000_NS6detail17trampoline_kernelINS0_14default_configENS1_22reduce_config_selectorIN6thrust23THRUST_200600_302600_NS5tupleIblNS6_9null_typeES8_S8_S8_S8_S8_S8_S8_EEEEZNS1_11reduce_implILb1ES3_NS6_12zip_iteratorINS7_INS6_11hip_rocprim26transform_input_iterator_tIbPN3c108BFloat16ENS6_6detail10functional5actorINSJ_9compositeIJNSJ_27transparent_binary_operatorINS6_8equal_toIvEEEENSK_INSJ_8argumentILj0EEEEENSJ_5valueISG_EEEEEEEEENSD_19counting_iterator_tIlEES8_S8_S8_S8_S8_S8_S8_S8_EEEEPS9_S9_NSD_9__find_if7functorIS9_EEEE10hipError_tPvRmT1_T2_T3_mT4_P12ihipStream_tbEUlT_E1_NS1_11comp_targetILNS1_3genE0ELNS1_11target_archE4294967295ELNS1_3gpuE0ELNS1_3repE0EEENS1_30default_config_static_selectorELNS0_4arch9wavefront6targetE1EEEvS19_
	.p2align	8
	.type	_ZN7rocprim17ROCPRIM_400000_NS6detail17trampoline_kernelINS0_14default_configENS1_22reduce_config_selectorIN6thrust23THRUST_200600_302600_NS5tupleIblNS6_9null_typeES8_S8_S8_S8_S8_S8_S8_EEEEZNS1_11reduce_implILb1ES3_NS6_12zip_iteratorINS7_INS6_11hip_rocprim26transform_input_iterator_tIbPN3c108BFloat16ENS6_6detail10functional5actorINSJ_9compositeIJNSJ_27transparent_binary_operatorINS6_8equal_toIvEEEENSK_INSJ_8argumentILj0EEEEENSJ_5valueISG_EEEEEEEEENSD_19counting_iterator_tIlEES8_S8_S8_S8_S8_S8_S8_S8_EEEEPS9_S9_NSD_9__find_if7functorIS9_EEEE10hipError_tPvRmT1_T2_T3_mT4_P12ihipStream_tbEUlT_E1_NS1_11comp_targetILNS1_3genE0ELNS1_11target_archE4294967295ELNS1_3gpuE0ELNS1_3repE0EEENS1_30default_config_static_selectorELNS0_4arch9wavefront6targetE1EEEvS19_,@function
_ZN7rocprim17ROCPRIM_400000_NS6detail17trampoline_kernelINS0_14default_configENS1_22reduce_config_selectorIN6thrust23THRUST_200600_302600_NS5tupleIblNS6_9null_typeES8_S8_S8_S8_S8_S8_S8_EEEEZNS1_11reduce_implILb1ES3_NS6_12zip_iteratorINS7_INS6_11hip_rocprim26transform_input_iterator_tIbPN3c108BFloat16ENS6_6detail10functional5actorINSJ_9compositeIJNSJ_27transparent_binary_operatorINS6_8equal_toIvEEEENSK_INSJ_8argumentILj0EEEEENSJ_5valueISG_EEEEEEEEENSD_19counting_iterator_tIlEES8_S8_S8_S8_S8_S8_S8_S8_EEEEPS9_S9_NSD_9__find_if7functorIS9_EEEE10hipError_tPvRmT1_T2_T3_mT4_P12ihipStream_tbEUlT_E1_NS1_11comp_targetILNS1_3genE0ELNS1_11target_archE4294967295ELNS1_3gpuE0ELNS1_3repE0EEENS1_30default_config_static_selectorELNS0_4arch9wavefront6targetE1EEEvS19_: ; @_ZN7rocprim17ROCPRIM_400000_NS6detail17trampoline_kernelINS0_14default_configENS1_22reduce_config_selectorIN6thrust23THRUST_200600_302600_NS5tupleIblNS6_9null_typeES8_S8_S8_S8_S8_S8_S8_EEEEZNS1_11reduce_implILb1ES3_NS6_12zip_iteratorINS7_INS6_11hip_rocprim26transform_input_iterator_tIbPN3c108BFloat16ENS6_6detail10functional5actorINSJ_9compositeIJNSJ_27transparent_binary_operatorINS6_8equal_toIvEEEENSK_INSJ_8argumentILj0EEEEENSJ_5valueISG_EEEEEEEEENSD_19counting_iterator_tIlEES8_S8_S8_S8_S8_S8_S8_S8_EEEEPS9_S9_NSD_9__find_if7functorIS9_EEEE10hipError_tPvRmT1_T2_T3_mT4_P12ihipStream_tbEUlT_E1_NS1_11comp_targetILNS1_3genE0ELNS1_11target_archE4294967295ELNS1_3gpuE0ELNS1_3repE0EEENS1_30default_config_static_selectorELNS0_4arch9wavefront6targetE1EEEvS19_
; %bb.0:
	.section	.rodata,"a",@progbits
	.p2align	6, 0x0
	.amdhsa_kernel _ZN7rocprim17ROCPRIM_400000_NS6detail17trampoline_kernelINS0_14default_configENS1_22reduce_config_selectorIN6thrust23THRUST_200600_302600_NS5tupleIblNS6_9null_typeES8_S8_S8_S8_S8_S8_S8_EEEEZNS1_11reduce_implILb1ES3_NS6_12zip_iteratorINS7_INS6_11hip_rocprim26transform_input_iterator_tIbPN3c108BFloat16ENS6_6detail10functional5actorINSJ_9compositeIJNSJ_27transparent_binary_operatorINS6_8equal_toIvEEEENSK_INSJ_8argumentILj0EEEEENSJ_5valueISG_EEEEEEEEENSD_19counting_iterator_tIlEES8_S8_S8_S8_S8_S8_S8_S8_EEEEPS9_S9_NSD_9__find_if7functorIS9_EEEE10hipError_tPvRmT1_T2_T3_mT4_P12ihipStream_tbEUlT_E1_NS1_11comp_targetILNS1_3genE0ELNS1_11target_archE4294967295ELNS1_3gpuE0ELNS1_3repE0EEENS1_30default_config_static_selectorELNS0_4arch9wavefront6targetE1EEEvS19_
		.amdhsa_group_segment_fixed_size 0
		.amdhsa_private_segment_fixed_size 0
		.amdhsa_kernarg_size 72
		.amdhsa_user_sgpr_count 6
		.amdhsa_user_sgpr_private_segment_buffer 1
		.amdhsa_user_sgpr_dispatch_ptr 0
		.amdhsa_user_sgpr_queue_ptr 0
		.amdhsa_user_sgpr_kernarg_segment_ptr 1
		.amdhsa_user_sgpr_dispatch_id 0
		.amdhsa_user_sgpr_flat_scratch_init 0
		.amdhsa_user_sgpr_kernarg_preload_length 0
		.amdhsa_user_sgpr_kernarg_preload_offset 0
		.amdhsa_user_sgpr_private_segment_size 0
		.amdhsa_uses_dynamic_stack 0
		.amdhsa_system_sgpr_private_segment_wavefront_offset 0
		.amdhsa_system_sgpr_workgroup_id_x 1
		.amdhsa_system_sgpr_workgroup_id_y 0
		.amdhsa_system_sgpr_workgroup_id_z 0
		.amdhsa_system_sgpr_workgroup_info 0
		.amdhsa_system_vgpr_workitem_id 0
		.amdhsa_next_free_vgpr 1
		.amdhsa_next_free_sgpr 0
		.amdhsa_accum_offset 4
		.amdhsa_reserve_vcc 0
		.amdhsa_reserve_flat_scratch 0
		.amdhsa_float_round_mode_32 0
		.amdhsa_float_round_mode_16_64 0
		.amdhsa_float_denorm_mode_32 3
		.amdhsa_float_denorm_mode_16_64 3
		.amdhsa_dx10_clamp 1
		.amdhsa_ieee_mode 1
		.amdhsa_fp16_overflow 0
		.amdhsa_tg_split 0
		.amdhsa_exception_fp_ieee_invalid_op 0
		.amdhsa_exception_fp_denorm_src 0
		.amdhsa_exception_fp_ieee_div_zero 0
		.amdhsa_exception_fp_ieee_overflow 0
		.amdhsa_exception_fp_ieee_underflow 0
		.amdhsa_exception_fp_ieee_inexact 0
		.amdhsa_exception_int_div_zero 0
	.end_amdhsa_kernel
	.section	.text._ZN7rocprim17ROCPRIM_400000_NS6detail17trampoline_kernelINS0_14default_configENS1_22reduce_config_selectorIN6thrust23THRUST_200600_302600_NS5tupleIblNS6_9null_typeES8_S8_S8_S8_S8_S8_S8_EEEEZNS1_11reduce_implILb1ES3_NS6_12zip_iteratorINS7_INS6_11hip_rocprim26transform_input_iterator_tIbPN3c108BFloat16ENS6_6detail10functional5actorINSJ_9compositeIJNSJ_27transparent_binary_operatorINS6_8equal_toIvEEEENSK_INSJ_8argumentILj0EEEEENSJ_5valueISG_EEEEEEEEENSD_19counting_iterator_tIlEES8_S8_S8_S8_S8_S8_S8_S8_EEEEPS9_S9_NSD_9__find_if7functorIS9_EEEE10hipError_tPvRmT1_T2_T3_mT4_P12ihipStream_tbEUlT_E1_NS1_11comp_targetILNS1_3genE0ELNS1_11target_archE4294967295ELNS1_3gpuE0ELNS1_3repE0EEENS1_30default_config_static_selectorELNS0_4arch9wavefront6targetE1EEEvS19_,"axG",@progbits,_ZN7rocprim17ROCPRIM_400000_NS6detail17trampoline_kernelINS0_14default_configENS1_22reduce_config_selectorIN6thrust23THRUST_200600_302600_NS5tupleIblNS6_9null_typeES8_S8_S8_S8_S8_S8_S8_EEEEZNS1_11reduce_implILb1ES3_NS6_12zip_iteratorINS7_INS6_11hip_rocprim26transform_input_iterator_tIbPN3c108BFloat16ENS6_6detail10functional5actorINSJ_9compositeIJNSJ_27transparent_binary_operatorINS6_8equal_toIvEEEENSK_INSJ_8argumentILj0EEEEENSJ_5valueISG_EEEEEEEEENSD_19counting_iterator_tIlEES8_S8_S8_S8_S8_S8_S8_S8_EEEEPS9_S9_NSD_9__find_if7functorIS9_EEEE10hipError_tPvRmT1_T2_T3_mT4_P12ihipStream_tbEUlT_E1_NS1_11comp_targetILNS1_3genE0ELNS1_11target_archE4294967295ELNS1_3gpuE0ELNS1_3repE0EEENS1_30default_config_static_selectorELNS0_4arch9wavefront6targetE1EEEvS19_,comdat
.Lfunc_end2098:
	.size	_ZN7rocprim17ROCPRIM_400000_NS6detail17trampoline_kernelINS0_14default_configENS1_22reduce_config_selectorIN6thrust23THRUST_200600_302600_NS5tupleIblNS6_9null_typeES8_S8_S8_S8_S8_S8_S8_EEEEZNS1_11reduce_implILb1ES3_NS6_12zip_iteratorINS7_INS6_11hip_rocprim26transform_input_iterator_tIbPN3c108BFloat16ENS6_6detail10functional5actorINSJ_9compositeIJNSJ_27transparent_binary_operatorINS6_8equal_toIvEEEENSK_INSJ_8argumentILj0EEEEENSJ_5valueISG_EEEEEEEEENSD_19counting_iterator_tIlEES8_S8_S8_S8_S8_S8_S8_S8_EEEEPS9_S9_NSD_9__find_if7functorIS9_EEEE10hipError_tPvRmT1_T2_T3_mT4_P12ihipStream_tbEUlT_E1_NS1_11comp_targetILNS1_3genE0ELNS1_11target_archE4294967295ELNS1_3gpuE0ELNS1_3repE0EEENS1_30default_config_static_selectorELNS0_4arch9wavefront6targetE1EEEvS19_, .Lfunc_end2098-_ZN7rocprim17ROCPRIM_400000_NS6detail17trampoline_kernelINS0_14default_configENS1_22reduce_config_selectorIN6thrust23THRUST_200600_302600_NS5tupleIblNS6_9null_typeES8_S8_S8_S8_S8_S8_S8_EEEEZNS1_11reduce_implILb1ES3_NS6_12zip_iteratorINS7_INS6_11hip_rocprim26transform_input_iterator_tIbPN3c108BFloat16ENS6_6detail10functional5actorINSJ_9compositeIJNSJ_27transparent_binary_operatorINS6_8equal_toIvEEEENSK_INSJ_8argumentILj0EEEEENSJ_5valueISG_EEEEEEEEENSD_19counting_iterator_tIlEES8_S8_S8_S8_S8_S8_S8_S8_EEEEPS9_S9_NSD_9__find_if7functorIS9_EEEE10hipError_tPvRmT1_T2_T3_mT4_P12ihipStream_tbEUlT_E1_NS1_11comp_targetILNS1_3genE0ELNS1_11target_archE4294967295ELNS1_3gpuE0ELNS1_3repE0EEENS1_30default_config_static_selectorELNS0_4arch9wavefront6targetE1EEEvS19_
                                        ; -- End function
	.section	.AMDGPU.csdata,"",@progbits
; Kernel info:
; codeLenInByte = 0
; NumSgprs: 4
; NumVgprs: 0
; NumAgprs: 0
; TotalNumVgprs: 0
; ScratchSize: 0
; MemoryBound: 0
; FloatMode: 240
; IeeeMode: 1
; LDSByteSize: 0 bytes/workgroup (compile time only)
; SGPRBlocks: 0
; VGPRBlocks: 0
; NumSGPRsForWavesPerEU: 4
; NumVGPRsForWavesPerEU: 1
; AccumOffset: 4
; Occupancy: 8
; WaveLimiterHint : 0
; COMPUTE_PGM_RSRC2:SCRATCH_EN: 0
; COMPUTE_PGM_RSRC2:USER_SGPR: 6
; COMPUTE_PGM_RSRC2:TRAP_HANDLER: 0
; COMPUTE_PGM_RSRC2:TGID_X_EN: 1
; COMPUTE_PGM_RSRC2:TGID_Y_EN: 0
; COMPUTE_PGM_RSRC2:TGID_Z_EN: 0
; COMPUTE_PGM_RSRC2:TIDIG_COMP_CNT: 0
; COMPUTE_PGM_RSRC3_GFX90A:ACCUM_OFFSET: 0
; COMPUTE_PGM_RSRC3_GFX90A:TG_SPLIT: 0
	.section	.text._ZN7rocprim17ROCPRIM_400000_NS6detail17trampoline_kernelINS0_14default_configENS1_22reduce_config_selectorIN6thrust23THRUST_200600_302600_NS5tupleIblNS6_9null_typeES8_S8_S8_S8_S8_S8_S8_EEEEZNS1_11reduce_implILb1ES3_NS6_12zip_iteratorINS7_INS6_11hip_rocprim26transform_input_iterator_tIbPN3c108BFloat16ENS6_6detail10functional5actorINSJ_9compositeIJNSJ_27transparent_binary_operatorINS6_8equal_toIvEEEENSK_INSJ_8argumentILj0EEEEENSJ_5valueISG_EEEEEEEEENSD_19counting_iterator_tIlEES8_S8_S8_S8_S8_S8_S8_S8_EEEEPS9_S9_NSD_9__find_if7functorIS9_EEEE10hipError_tPvRmT1_T2_T3_mT4_P12ihipStream_tbEUlT_E1_NS1_11comp_targetILNS1_3genE5ELNS1_11target_archE942ELNS1_3gpuE9ELNS1_3repE0EEENS1_30default_config_static_selectorELNS0_4arch9wavefront6targetE1EEEvS19_,"axG",@progbits,_ZN7rocprim17ROCPRIM_400000_NS6detail17trampoline_kernelINS0_14default_configENS1_22reduce_config_selectorIN6thrust23THRUST_200600_302600_NS5tupleIblNS6_9null_typeES8_S8_S8_S8_S8_S8_S8_EEEEZNS1_11reduce_implILb1ES3_NS6_12zip_iteratorINS7_INS6_11hip_rocprim26transform_input_iterator_tIbPN3c108BFloat16ENS6_6detail10functional5actorINSJ_9compositeIJNSJ_27transparent_binary_operatorINS6_8equal_toIvEEEENSK_INSJ_8argumentILj0EEEEENSJ_5valueISG_EEEEEEEEENSD_19counting_iterator_tIlEES8_S8_S8_S8_S8_S8_S8_S8_EEEEPS9_S9_NSD_9__find_if7functorIS9_EEEE10hipError_tPvRmT1_T2_T3_mT4_P12ihipStream_tbEUlT_E1_NS1_11comp_targetILNS1_3genE5ELNS1_11target_archE942ELNS1_3gpuE9ELNS1_3repE0EEENS1_30default_config_static_selectorELNS0_4arch9wavefront6targetE1EEEvS19_,comdat
	.protected	_ZN7rocprim17ROCPRIM_400000_NS6detail17trampoline_kernelINS0_14default_configENS1_22reduce_config_selectorIN6thrust23THRUST_200600_302600_NS5tupleIblNS6_9null_typeES8_S8_S8_S8_S8_S8_S8_EEEEZNS1_11reduce_implILb1ES3_NS6_12zip_iteratorINS7_INS6_11hip_rocprim26transform_input_iterator_tIbPN3c108BFloat16ENS6_6detail10functional5actorINSJ_9compositeIJNSJ_27transparent_binary_operatorINS6_8equal_toIvEEEENSK_INSJ_8argumentILj0EEEEENSJ_5valueISG_EEEEEEEEENSD_19counting_iterator_tIlEES8_S8_S8_S8_S8_S8_S8_S8_EEEEPS9_S9_NSD_9__find_if7functorIS9_EEEE10hipError_tPvRmT1_T2_T3_mT4_P12ihipStream_tbEUlT_E1_NS1_11comp_targetILNS1_3genE5ELNS1_11target_archE942ELNS1_3gpuE9ELNS1_3repE0EEENS1_30default_config_static_selectorELNS0_4arch9wavefront6targetE1EEEvS19_ ; -- Begin function _ZN7rocprim17ROCPRIM_400000_NS6detail17trampoline_kernelINS0_14default_configENS1_22reduce_config_selectorIN6thrust23THRUST_200600_302600_NS5tupleIblNS6_9null_typeES8_S8_S8_S8_S8_S8_S8_EEEEZNS1_11reduce_implILb1ES3_NS6_12zip_iteratorINS7_INS6_11hip_rocprim26transform_input_iterator_tIbPN3c108BFloat16ENS6_6detail10functional5actorINSJ_9compositeIJNSJ_27transparent_binary_operatorINS6_8equal_toIvEEEENSK_INSJ_8argumentILj0EEEEENSJ_5valueISG_EEEEEEEEENSD_19counting_iterator_tIlEES8_S8_S8_S8_S8_S8_S8_S8_EEEEPS9_S9_NSD_9__find_if7functorIS9_EEEE10hipError_tPvRmT1_T2_T3_mT4_P12ihipStream_tbEUlT_E1_NS1_11comp_targetILNS1_3genE5ELNS1_11target_archE942ELNS1_3gpuE9ELNS1_3repE0EEENS1_30default_config_static_selectorELNS0_4arch9wavefront6targetE1EEEvS19_
	.globl	_ZN7rocprim17ROCPRIM_400000_NS6detail17trampoline_kernelINS0_14default_configENS1_22reduce_config_selectorIN6thrust23THRUST_200600_302600_NS5tupleIblNS6_9null_typeES8_S8_S8_S8_S8_S8_S8_EEEEZNS1_11reduce_implILb1ES3_NS6_12zip_iteratorINS7_INS6_11hip_rocprim26transform_input_iterator_tIbPN3c108BFloat16ENS6_6detail10functional5actorINSJ_9compositeIJNSJ_27transparent_binary_operatorINS6_8equal_toIvEEEENSK_INSJ_8argumentILj0EEEEENSJ_5valueISG_EEEEEEEEENSD_19counting_iterator_tIlEES8_S8_S8_S8_S8_S8_S8_S8_EEEEPS9_S9_NSD_9__find_if7functorIS9_EEEE10hipError_tPvRmT1_T2_T3_mT4_P12ihipStream_tbEUlT_E1_NS1_11comp_targetILNS1_3genE5ELNS1_11target_archE942ELNS1_3gpuE9ELNS1_3repE0EEENS1_30default_config_static_selectorELNS0_4arch9wavefront6targetE1EEEvS19_
	.p2align	8
	.type	_ZN7rocprim17ROCPRIM_400000_NS6detail17trampoline_kernelINS0_14default_configENS1_22reduce_config_selectorIN6thrust23THRUST_200600_302600_NS5tupleIblNS6_9null_typeES8_S8_S8_S8_S8_S8_S8_EEEEZNS1_11reduce_implILb1ES3_NS6_12zip_iteratorINS7_INS6_11hip_rocprim26transform_input_iterator_tIbPN3c108BFloat16ENS6_6detail10functional5actorINSJ_9compositeIJNSJ_27transparent_binary_operatorINS6_8equal_toIvEEEENSK_INSJ_8argumentILj0EEEEENSJ_5valueISG_EEEEEEEEENSD_19counting_iterator_tIlEES8_S8_S8_S8_S8_S8_S8_S8_EEEEPS9_S9_NSD_9__find_if7functorIS9_EEEE10hipError_tPvRmT1_T2_T3_mT4_P12ihipStream_tbEUlT_E1_NS1_11comp_targetILNS1_3genE5ELNS1_11target_archE942ELNS1_3gpuE9ELNS1_3repE0EEENS1_30default_config_static_selectorELNS0_4arch9wavefront6targetE1EEEvS19_,@function
_ZN7rocprim17ROCPRIM_400000_NS6detail17trampoline_kernelINS0_14default_configENS1_22reduce_config_selectorIN6thrust23THRUST_200600_302600_NS5tupleIblNS6_9null_typeES8_S8_S8_S8_S8_S8_S8_EEEEZNS1_11reduce_implILb1ES3_NS6_12zip_iteratorINS7_INS6_11hip_rocprim26transform_input_iterator_tIbPN3c108BFloat16ENS6_6detail10functional5actorINSJ_9compositeIJNSJ_27transparent_binary_operatorINS6_8equal_toIvEEEENSK_INSJ_8argumentILj0EEEEENSJ_5valueISG_EEEEEEEEENSD_19counting_iterator_tIlEES8_S8_S8_S8_S8_S8_S8_S8_EEEEPS9_S9_NSD_9__find_if7functorIS9_EEEE10hipError_tPvRmT1_T2_T3_mT4_P12ihipStream_tbEUlT_E1_NS1_11comp_targetILNS1_3genE5ELNS1_11target_archE942ELNS1_3gpuE9ELNS1_3repE0EEENS1_30default_config_static_selectorELNS0_4arch9wavefront6targetE1EEEvS19_: ; @_ZN7rocprim17ROCPRIM_400000_NS6detail17trampoline_kernelINS0_14default_configENS1_22reduce_config_selectorIN6thrust23THRUST_200600_302600_NS5tupleIblNS6_9null_typeES8_S8_S8_S8_S8_S8_S8_EEEEZNS1_11reduce_implILb1ES3_NS6_12zip_iteratorINS7_INS6_11hip_rocprim26transform_input_iterator_tIbPN3c108BFloat16ENS6_6detail10functional5actorINSJ_9compositeIJNSJ_27transparent_binary_operatorINS6_8equal_toIvEEEENSK_INSJ_8argumentILj0EEEEENSJ_5valueISG_EEEEEEEEENSD_19counting_iterator_tIlEES8_S8_S8_S8_S8_S8_S8_S8_EEEEPS9_S9_NSD_9__find_if7functorIS9_EEEE10hipError_tPvRmT1_T2_T3_mT4_P12ihipStream_tbEUlT_E1_NS1_11comp_targetILNS1_3genE5ELNS1_11target_archE942ELNS1_3gpuE9ELNS1_3repE0EEENS1_30default_config_static_selectorELNS0_4arch9wavefront6targetE1EEEvS19_
; %bb.0:
	.section	.rodata,"a",@progbits
	.p2align	6, 0x0
	.amdhsa_kernel _ZN7rocprim17ROCPRIM_400000_NS6detail17trampoline_kernelINS0_14default_configENS1_22reduce_config_selectorIN6thrust23THRUST_200600_302600_NS5tupleIblNS6_9null_typeES8_S8_S8_S8_S8_S8_S8_EEEEZNS1_11reduce_implILb1ES3_NS6_12zip_iteratorINS7_INS6_11hip_rocprim26transform_input_iterator_tIbPN3c108BFloat16ENS6_6detail10functional5actorINSJ_9compositeIJNSJ_27transparent_binary_operatorINS6_8equal_toIvEEEENSK_INSJ_8argumentILj0EEEEENSJ_5valueISG_EEEEEEEEENSD_19counting_iterator_tIlEES8_S8_S8_S8_S8_S8_S8_S8_EEEEPS9_S9_NSD_9__find_if7functorIS9_EEEE10hipError_tPvRmT1_T2_T3_mT4_P12ihipStream_tbEUlT_E1_NS1_11comp_targetILNS1_3genE5ELNS1_11target_archE942ELNS1_3gpuE9ELNS1_3repE0EEENS1_30default_config_static_selectorELNS0_4arch9wavefront6targetE1EEEvS19_
		.amdhsa_group_segment_fixed_size 0
		.amdhsa_private_segment_fixed_size 0
		.amdhsa_kernarg_size 72
		.amdhsa_user_sgpr_count 6
		.amdhsa_user_sgpr_private_segment_buffer 1
		.amdhsa_user_sgpr_dispatch_ptr 0
		.amdhsa_user_sgpr_queue_ptr 0
		.amdhsa_user_sgpr_kernarg_segment_ptr 1
		.amdhsa_user_sgpr_dispatch_id 0
		.amdhsa_user_sgpr_flat_scratch_init 0
		.amdhsa_user_sgpr_kernarg_preload_length 0
		.amdhsa_user_sgpr_kernarg_preload_offset 0
		.amdhsa_user_sgpr_private_segment_size 0
		.amdhsa_uses_dynamic_stack 0
		.amdhsa_system_sgpr_private_segment_wavefront_offset 0
		.amdhsa_system_sgpr_workgroup_id_x 1
		.amdhsa_system_sgpr_workgroup_id_y 0
		.amdhsa_system_sgpr_workgroup_id_z 0
		.amdhsa_system_sgpr_workgroup_info 0
		.amdhsa_system_vgpr_workitem_id 0
		.amdhsa_next_free_vgpr 1
		.amdhsa_next_free_sgpr 0
		.amdhsa_accum_offset 4
		.amdhsa_reserve_vcc 0
		.amdhsa_reserve_flat_scratch 0
		.amdhsa_float_round_mode_32 0
		.amdhsa_float_round_mode_16_64 0
		.amdhsa_float_denorm_mode_32 3
		.amdhsa_float_denorm_mode_16_64 3
		.amdhsa_dx10_clamp 1
		.amdhsa_ieee_mode 1
		.amdhsa_fp16_overflow 0
		.amdhsa_tg_split 0
		.amdhsa_exception_fp_ieee_invalid_op 0
		.amdhsa_exception_fp_denorm_src 0
		.amdhsa_exception_fp_ieee_div_zero 0
		.amdhsa_exception_fp_ieee_overflow 0
		.amdhsa_exception_fp_ieee_underflow 0
		.amdhsa_exception_fp_ieee_inexact 0
		.amdhsa_exception_int_div_zero 0
	.end_amdhsa_kernel
	.section	.text._ZN7rocprim17ROCPRIM_400000_NS6detail17trampoline_kernelINS0_14default_configENS1_22reduce_config_selectorIN6thrust23THRUST_200600_302600_NS5tupleIblNS6_9null_typeES8_S8_S8_S8_S8_S8_S8_EEEEZNS1_11reduce_implILb1ES3_NS6_12zip_iteratorINS7_INS6_11hip_rocprim26transform_input_iterator_tIbPN3c108BFloat16ENS6_6detail10functional5actorINSJ_9compositeIJNSJ_27transparent_binary_operatorINS6_8equal_toIvEEEENSK_INSJ_8argumentILj0EEEEENSJ_5valueISG_EEEEEEEEENSD_19counting_iterator_tIlEES8_S8_S8_S8_S8_S8_S8_S8_EEEEPS9_S9_NSD_9__find_if7functorIS9_EEEE10hipError_tPvRmT1_T2_T3_mT4_P12ihipStream_tbEUlT_E1_NS1_11comp_targetILNS1_3genE5ELNS1_11target_archE942ELNS1_3gpuE9ELNS1_3repE0EEENS1_30default_config_static_selectorELNS0_4arch9wavefront6targetE1EEEvS19_,"axG",@progbits,_ZN7rocprim17ROCPRIM_400000_NS6detail17trampoline_kernelINS0_14default_configENS1_22reduce_config_selectorIN6thrust23THRUST_200600_302600_NS5tupleIblNS6_9null_typeES8_S8_S8_S8_S8_S8_S8_EEEEZNS1_11reduce_implILb1ES3_NS6_12zip_iteratorINS7_INS6_11hip_rocprim26transform_input_iterator_tIbPN3c108BFloat16ENS6_6detail10functional5actorINSJ_9compositeIJNSJ_27transparent_binary_operatorINS6_8equal_toIvEEEENSK_INSJ_8argumentILj0EEEEENSJ_5valueISG_EEEEEEEEENSD_19counting_iterator_tIlEES8_S8_S8_S8_S8_S8_S8_S8_EEEEPS9_S9_NSD_9__find_if7functorIS9_EEEE10hipError_tPvRmT1_T2_T3_mT4_P12ihipStream_tbEUlT_E1_NS1_11comp_targetILNS1_3genE5ELNS1_11target_archE942ELNS1_3gpuE9ELNS1_3repE0EEENS1_30default_config_static_selectorELNS0_4arch9wavefront6targetE1EEEvS19_,comdat
.Lfunc_end2099:
	.size	_ZN7rocprim17ROCPRIM_400000_NS6detail17trampoline_kernelINS0_14default_configENS1_22reduce_config_selectorIN6thrust23THRUST_200600_302600_NS5tupleIblNS6_9null_typeES8_S8_S8_S8_S8_S8_S8_EEEEZNS1_11reduce_implILb1ES3_NS6_12zip_iteratorINS7_INS6_11hip_rocprim26transform_input_iterator_tIbPN3c108BFloat16ENS6_6detail10functional5actorINSJ_9compositeIJNSJ_27transparent_binary_operatorINS6_8equal_toIvEEEENSK_INSJ_8argumentILj0EEEEENSJ_5valueISG_EEEEEEEEENSD_19counting_iterator_tIlEES8_S8_S8_S8_S8_S8_S8_S8_EEEEPS9_S9_NSD_9__find_if7functorIS9_EEEE10hipError_tPvRmT1_T2_T3_mT4_P12ihipStream_tbEUlT_E1_NS1_11comp_targetILNS1_3genE5ELNS1_11target_archE942ELNS1_3gpuE9ELNS1_3repE0EEENS1_30default_config_static_selectorELNS0_4arch9wavefront6targetE1EEEvS19_, .Lfunc_end2099-_ZN7rocprim17ROCPRIM_400000_NS6detail17trampoline_kernelINS0_14default_configENS1_22reduce_config_selectorIN6thrust23THRUST_200600_302600_NS5tupleIblNS6_9null_typeES8_S8_S8_S8_S8_S8_S8_EEEEZNS1_11reduce_implILb1ES3_NS6_12zip_iteratorINS7_INS6_11hip_rocprim26transform_input_iterator_tIbPN3c108BFloat16ENS6_6detail10functional5actorINSJ_9compositeIJNSJ_27transparent_binary_operatorINS6_8equal_toIvEEEENSK_INSJ_8argumentILj0EEEEENSJ_5valueISG_EEEEEEEEENSD_19counting_iterator_tIlEES8_S8_S8_S8_S8_S8_S8_S8_EEEEPS9_S9_NSD_9__find_if7functorIS9_EEEE10hipError_tPvRmT1_T2_T3_mT4_P12ihipStream_tbEUlT_E1_NS1_11comp_targetILNS1_3genE5ELNS1_11target_archE942ELNS1_3gpuE9ELNS1_3repE0EEENS1_30default_config_static_selectorELNS0_4arch9wavefront6targetE1EEEvS19_
                                        ; -- End function
	.section	.AMDGPU.csdata,"",@progbits
; Kernel info:
; codeLenInByte = 0
; NumSgprs: 4
; NumVgprs: 0
; NumAgprs: 0
; TotalNumVgprs: 0
; ScratchSize: 0
; MemoryBound: 0
; FloatMode: 240
; IeeeMode: 1
; LDSByteSize: 0 bytes/workgroup (compile time only)
; SGPRBlocks: 0
; VGPRBlocks: 0
; NumSGPRsForWavesPerEU: 4
; NumVGPRsForWavesPerEU: 1
; AccumOffset: 4
; Occupancy: 8
; WaveLimiterHint : 0
; COMPUTE_PGM_RSRC2:SCRATCH_EN: 0
; COMPUTE_PGM_RSRC2:USER_SGPR: 6
; COMPUTE_PGM_RSRC2:TRAP_HANDLER: 0
; COMPUTE_PGM_RSRC2:TGID_X_EN: 1
; COMPUTE_PGM_RSRC2:TGID_Y_EN: 0
; COMPUTE_PGM_RSRC2:TGID_Z_EN: 0
; COMPUTE_PGM_RSRC2:TIDIG_COMP_CNT: 0
; COMPUTE_PGM_RSRC3_GFX90A:ACCUM_OFFSET: 0
; COMPUTE_PGM_RSRC3_GFX90A:TG_SPLIT: 0
	.section	.text._ZN7rocprim17ROCPRIM_400000_NS6detail17trampoline_kernelINS0_14default_configENS1_22reduce_config_selectorIN6thrust23THRUST_200600_302600_NS5tupleIblNS6_9null_typeES8_S8_S8_S8_S8_S8_S8_EEEEZNS1_11reduce_implILb1ES3_NS6_12zip_iteratorINS7_INS6_11hip_rocprim26transform_input_iterator_tIbPN3c108BFloat16ENS6_6detail10functional5actorINSJ_9compositeIJNSJ_27transparent_binary_operatorINS6_8equal_toIvEEEENSK_INSJ_8argumentILj0EEEEENSJ_5valueISG_EEEEEEEEENSD_19counting_iterator_tIlEES8_S8_S8_S8_S8_S8_S8_S8_EEEEPS9_S9_NSD_9__find_if7functorIS9_EEEE10hipError_tPvRmT1_T2_T3_mT4_P12ihipStream_tbEUlT_E1_NS1_11comp_targetILNS1_3genE4ELNS1_11target_archE910ELNS1_3gpuE8ELNS1_3repE0EEENS1_30default_config_static_selectorELNS0_4arch9wavefront6targetE1EEEvS19_,"axG",@progbits,_ZN7rocprim17ROCPRIM_400000_NS6detail17trampoline_kernelINS0_14default_configENS1_22reduce_config_selectorIN6thrust23THRUST_200600_302600_NS5tupleIblNS6_9null_typeES8_S8_S8_S8_S8_S8_S8_EEEEZNS1_11reduce_implILb1ES3_NS6_12zip_iteratorINS7_INS6_11hip_rocprim26transform_input_iterator_tIbPN3c108BFloat16ENS6_6detail10functional5actorINSJ_9compositeIJNSJ_27transparent_binary_operatorINS6_8equal_toIvEEEENSK_INSJ_8argumentILj0EEEEENSJ_5valueISG_EEEEEEEEENSD_19counting_iterator_tIlEES8_S8_S8_S8_S8_S8_S8_S8_EEEEPS9_S9_NSD_9__find_if7functorIS9_EEEE10hipError_tPvRmT1_T2_T3_mT4_P12ihipStream_tbEUlT_E1_NS1_11comp_targetILNS1_3genE4ELNS1_11target_archE910ELNS1_3gpuE8ELNS1_3repE0EEENS1_30default_config_static_selectorELNS0_4arch9wavefront6targetE1EEEvS19_,comdat
	.protected	_ZN7rocprim17ROCPRIM_400000_NS6detail17trampoline_kernelINS0_14default_configENS1_22reduce_config_selectorIN6thrust23THRUST_200600_302600_NS5tupleIblNS6_9null_typeES8_S8_S8_S8_S8_S8_S8_EEEEZNS1_11reduce_implILb1ES3_NS6_12zip_iteratorINS7_INS6_11hip_rocprim26transform_input_iterator_tIbPN3c108BFloat16ENS6_6detail10functional5actorINSJ_9compositeIJNSJ_27transparent_binary_operatorINS6_8equal_toIvEEEENSK_INSJ_8argumentILj0EEEEENSJ_5valueISG_EEEEEEEEENSD_19counting_iterator_tIlEES8_S8_S8_S8_S8_S8_S8_S8_EEEEPS9_S9_NSD_9__find_if7functorIS9_EEEE10hipError_tPvRmT1_T2_T3_mT4_P12ihipStream_tbEUlT_E1_NS1_11comp_targetILNS1_3genE4ELNS1_11target_archE910ELNS1_3gpuE8ELNS1_3repE0EEENS1_30default_config_static_selectorELNS0_4arch9wavefront6targetE1EEEvS19_ ; -- Begin function _ZN7rocprim17ROCPRIM_400000_NS6detail17trampoline_kernelINS0_14default_configENS1_22reduce_config_selectorIN6thrust23THRUST_200600_302600_NS5tupleIblNS6_9null_typeES8_S8_S8_S8_S8_S8_S8_EEEEZNS1_11reduce_implILb1ES3_NS6_12zip_iteratorINS7_INS6_11hip_rocprim26transform_input_iterator_tIbPN3c108BFloat16ENS6_6detail10functional5actorINSJ_9compositeIJNSJ_27transparent_binary_operatorINS6_8equal_toIvEEEENSK_INSJ_8argumentILj0EEEEENSJ_5valueISG_EEEEEEEEENSD_19counting_iterator_tIlEES8_S8_S8_S8_S8_S8_S8_S8_EEEEPS9_S9_NSD_9__find_if7functorIS9_EEEE10hipError_tPvRmT1_T2_T3_mT4_P12ihipStream_tbEUlT_E1_NS1_11comp_targetILNS1_3genE4ELNS1_11target_archE910ELNS1_3gpuE8ELNS1_3repE0EEENS1_30default_config_static_selectorELNS0_4arch9wavefront6targetE1EEEvS19_
	.globl	_ZN7rocprim17ROCPRIM_400000_NS6detail17trampoline_kernelINS0_14default_configENS1_22reduce_config_selectorIN6thrust23THRUST_200600_302600_NS5tupleIblNS6_9null_typeES8_S8_S8_S8_S8_S8_S8_EEEEZNS1_11reduce_implILb1ES3_NS6_12zip_iteratorINS7_INS6_11hip_rocprim26transform_input_iterator_tIbPN3c108BFloat16ENS6_6detail10functional5actorINSJ_9compositeIJNSJ_27transparent_binary_operatorINS6_8equal_toIvEEEENSK_INSJ_8argumentILj0EEEEENSJ_5valueISG_EEEEEEEEENSD_19counting_iterator_tIlEES8_S8_S8_S8_S8_S8_S8_S8_EEEEPS9_S9_NSD_9__find_if7functorIS9_EEEE10hipError_tPvRmT1_T2_T3_mT4_P12ihipStream_tbEUlT_E1_NS1_11comp_targetILNS1_3genE4ELNS1_11target_archE910ELNS1_3gpuE8ELNS1_3repE0EEENS1_30default_config_static_selectorELNS0_4arch9wavefront6targetE1EEEvS19_
	.p2align	8
	.type	_ZN7rocprim17ROCPRIM_400000_NS6detail17trampoline_kernelINS0_14default_configENS1_22reduce_config_selectorIN6thrust23THRUST_200600_302600_NS5tupleIblNS6_9null_typeES8_S8_S8_S8_S8_S8_S8_EEEEZNS1_11reduce_implILb1ES3_NS6_12zip_iteratorINS7_INS6_11hip_rocprim26transform_input_iterator_tIbPN3c108BFloat16ENS6_6detail10functional5actorINSJ_9compositeIJNSJ_27transparent_binary_operatorINS6_8equal_toIvEEEENSK_INSJ_8argumentILj0EEEEENSJ_5valueISG_EEEEEEEEENSD_19counting_iterator_tIlEES8_S8_S8_S8_S8_S8_S8_S8_EEEEPS9_S9_NSD_9__find_if7functorIS9_EEEE10hipError_tPvRmT1_T2_T3_mT4_P12ihipStream_tbEUlT_E1_NS1_11comp_targetILNS1_3genE4ELNS1_11target_archE910ELNS1_3gpuE8ELNS1_3repE0EEENS1_30default_config_static_selectorELNS0_4arch9wavefront6targetE1EEEvS19_,@function
_ZN7rocprim17ROCPRIM_400000_NS6detail17trampoline_kernelINS0_14default_configENS1_22reduce_config_selectorIN6thrust23THRUST_200600_302600_NS5tupleIblNS6_9null_typeES8_S8_S8_S8_S8_S8_S8_EEEEZNS1_11reduce_implILb1ES3_NS6_12zip_iteratorINS7_INS6_11hip_rocprim26transform_input_iterator_tIbPN3c108BFloat16ENS6_6detail10functional5actorINSJ_9compositeIJNSJ_27transparent_binary_operatorINS6_8equal_toIvEEEENSK_INSJ_8argumentILj0EEEEENSJ_5valueISG_EEEEEEEEENSD_19counting_iterator_tIlEES8_S8_S8_S8_S8_S8_S8_S8_EEEEPS9_S9_NSD_9__find_if7functorIS9_EEEE10hipError_tPvRmT1_T2_T3_mT4_P12ihipStream_tbEUlT_E1_NS1_11comp_targetILNS1_3genE4ELNS1_11target_archE910ELNS1_3gpuE8ELNS1_3repE0EEENS1_30default_config_static_selectorELNS0_4arch9wavefront6targetE1EEEvS19_: ; @_ZN7rocprim17ROCPRIM_400000_NS6detail17trampoline_kernelINS0_14default_configENS1_22reduce_config_selectorIN6thrust23THRUST_200600_302600_NS5tupleIblNS6_9null_typeES8_S8_S8_S8_S8_S8_S8_EEEEZNS1_11reduce_implILb1ES3_NS6_12zip_iteratorINS7_INS6_11hip_rocprim26transform_input_iterator_tIbPN3c108BFloat16ENS6_6detail10functional5actorINSJ_9compositeIJNSJ_27transparent_binary_operatorINS6_8equal_toIvEEEENSK_INSJ_8argumentILj0EEEEENSJ_5valueISG_EEEEEEEEENSD_19counting_iterator_tIlEES8_S8_S8_S8_S8_S8_S8_S8_EEEEPS9_S9_NSD_9__find_if7functorIS9_EEEE10hipError_tPvRmT1_T2_T3_mT4_P12ihipStream_tbEUlT_E1_NS1_11comp_targetILNS1_3genE4ELNS1_11target_archE910ELNS1_3gpuE8ELNS1_3repE0EEENS1_30default_config_static_selectorELNS0_4arch9wavefront6targetE1EEEvS19_
; %bb.0:
	s_load_dword s35, s[4:5], 0x4
	s_load_dwordx2 s[24:25], s[4:5], 0x8
	s_load_dword s0, s[4:5], 0x10
	s_load_dwordx4 s[20:23], s[4:5], 0x18
	s_load_dword s33, s[4:5], 0x30
	s_load_dwordx2 s[18:19], s[4:5], 0x38
	s_waitcnt lgkmcnt(0)
	s_lshr_b32 s34, s0, 16
	s_cmp_lt_i32 s35, 4
	s_cbranch_scc1 .LBB2100_21
; %bb.1:
	s_cmp_gt_i32 s35, 7
	s_cbranch_scc0 .LBB2100_22
; %bb.2:
	s_cmp_eq_u32 s35, 8
	s_mov_b64 s[26:27], 0
	s_cbranch_scc0 .LBB2100_23
; %bb.3:
	s_mov_b32 s7, 0
	s_lshl_b32 s30, s6, 11
	s_mov_b32 s31, s7
	s_lshr_b64 s[0:1], s[22:23], 11
	s_lshl_b64 s[2:3], s[30:31], 1
	s_add_u32 s28, s24, s2
	s_addc_u32 s29, s25, s3
	s_add_u32 s36, s20, s30
	s_addc_u32 s37, s21, 0
	s_cmp_lg_u64 s[0:1], s[6:7]
	s_cbranch_scc0 .LBB2100_44
; %bb.4:
	v_lshlrev_b32_e32 v1, 1, v0
	global_load_ushort v2, v1, s[28:29]
	global_load_ushort v3, v1, s[28:29] offset:512
	global_load_ushort v4, v1, s[28:29] offset:1024
	;; [unrolled: 1-line block ×7, first 2 shown]
	v_mov_b32_e32 v1, s37
	v_add_co_u32_e32 v17, vcc, s36, v0
	s_lshl_b32 s16, s34, 16
	v_addc_co_u32_e32 v1, vcc, 0, v1, vcc
	v_mov_b32_e32 v10, 0x200
	v_mov_b32_e32 v11, 0x100
	;; [unrolled: 1-line block ×7, first 2 shown]
	s_waitcnt vmcnt(7)
	v_lshlrev_b32_e32 v2, 16, v2
	s_waitcnt vmcnt(6)
	v_lshlrev_b32_e32 v3, 16, v3
	;; [unrolled: 2-line block ×8, first 2 shown]
	v_cmp_eq_f32_e32 vcc, s16, v4
	v_cmp_eq_f32_e64 s[0:1], s16, v6
	v_cmp_eq_f32_e64 s[2:3], s16, v8
	v_cmp_eq_f32_e64 s[8:9], s16, v9
	v_cmp_eq_f32_e64 s[10:11], s16, v3
	v_cmp_eq_f32_e64 s[12:13], s16, v5
	v_cmp_eq_f32_e64 s[14:15], s16, v7
	v_cmp_eq_f32_e64 s[16:17], s16, v2
	v_cndmask_b32_e64 v3, v10, v11, s[10:11]
	s_or_b64 s[10:11], s[16:17], s[10:11]
	s_or_b64 vcc, s[10:11], vcc
	v_cndmask_b32_e64 v4, v12, v13, s[12:13]
	v_cndmask_b32_e64 v2, v3, 0, s[16:17]
	s_or_b64 s[10:11], vcc, s[12:13]
	v_cndmask_b32_e32 v2, v4, v2, vcc
	s_or_b64 vcc, s[10:11], s[0:1]
	v_cndmask_b32_e64 v5, v14, v15, s[14:15]
	s_or_b64 s[0:1], vcc, s[14:15]
	v_cndmask_b32_e32 v2, v5, v2, vcc
	s_or_b64 vcc, s[0:1], s[2:3]
	v_cndmask_b32_e32 v2, v16, v2, vcc
	v_add_co_u32_e64 v2, s[0:1], v17, v2
	v_addc_co_u32_e64 v3, s[0:1], 0, v1, s[0:1]
	s_or_b64 s[0:1], vcc, s[8:9]
	v_cndmask_b32_e64 v1, 0, 1, s[0:1]
	v_mov_b32_dpp v4, v2 quad_perm:[1,0,3,2] row_mask:0xf bank_mask:0xf bound_ctrl:1
	v_mov_b32_dpp v5, v3 quad_perm:[1,0,3,2] row_mask:0xf bank_mask:0xf bound_ctrl:1
	;; [unrolled: 1-line block ×3, first 2 shown]
	v_and_b32_e32 v7, 1, v6
	v_cmp_eq_u32_e32 vcc, 1, v7
	s_and_saveexec_b64 s[2:3], vcc
; %bb.5:
	v_cmp_lt_i64_e32 vcc, v[2:3], v[4:5]
	v_cndmask_b32_e64 v6, v6, 1, s[0:1]
	s_and_b64 vcc, s[0:1], vcc
	v_cndmask_b32_e32 v2, v4, v2, vcc
	v_and_b32_e32 v4, 1, v6
	v_cndmask_b32_e32 v3, v5, v3, vcc
	v_cmp_eq_u32_e32 vcc, 1, v4
	s_andn2_b64 s[0:1], s[0:1], exec
	s_and_b64 s[8:9], vcc, exec
	v_and_b32_e32 v1, 0xff, v6
	s_or_b64 s[0:1], s[0:1], s[8:9]
; %bb.6:
	s_or_b64 exec, exec, s[2:3]
	v_mov_b32_dpp v6, v1 quad_perm:[2,3,0,1] row_mask:0xf bank_mask:0xf bound_ctrl:1
	v_and_b32_e32 v7, 1, v6
	v_mov_b32_dpp v4, v2 quad_perm:[2,3,0,1] row_mask:0xf bank_mask:0xf bound_ctrl:1
	v_mov_b32_dpp v5, v3 quad_perm:[2,3,0,1] row_mask:0xf bank_mask:0xf bound_ctrl:1
	v_cmp_eq_u32_e32 vcc, 1, v7
	s_and_saveexec_b64 s[2:3], vcc
; %bb.7:
	v_cmp_lt_i64_e32 vcc, v[2:3], v[4:5]
	v_cndmask_b32_e64 v6, v6, 1, s[0:1]
	s_and_b64 vcc, s[0:1], vcc
	v_cndmask_b32_e32 v2, v4, v2, vcc
	v_and_b32_e32 v4, 1, v6
	v_cndmask_b32_e32 v3, v5, v3, vcc
	v_cmp_eq_u32_e32 vcc, 1, v4
	s_andn2_b64 s[0:1], s[0:1], exec
	s_and_b64 s[8:9], vcc, exec
	v_and_b32_e32 v1, 0xff, v6
	s_or_b64 s[0:1], s[0:1], s[8:9]
; %bb.8:
	s_or_b64 exec, exec, s[2:3]
	v_mov_b32_dpp v6, v1 row_ror:4 row_mask:0xf bank_mask:0xf bound_ctrl:1
	v_and_b32_e32 v7, 1, v6
	v_mov_b32_dpp v4, v2 row_ror:4 row_mask:0xf bank_mask:0xf bound_ctrl:1
	v_mov_b32_dpp v5, v3 row_ror:4 row_mask:0xf bank_mask:0xf bound_ctrl:1
	v_cmp_eq_u32_e32 vcc, 1, v7
	s_and_saveexec_b64 s[2:3], vcc
; %bb.9:
	v_cmp_lt_i64_e32 vcc, v[2:3], v[4:5]
	v_cndmask_b32_e64 v6, v6, 1, s[0:1]
	s_and_b64 vcc, s[0:1], vcc
	v_cndmask_b32_e32 v2, v4, v2, vcc
	v_and_b32_e32 v4, 1, v6
	v_cndmask_b32_e32 v3, v5, v3, vcc
	v_cmp_eq_u32_e32 vcc, 1, v4
	s_andn2_b64 s[0:1], s[0:1], exec
	s_and_b64 s[8:9], vcc, exec
	v_and_b32_e32 v1, 0xff, v6
	s_or_b64 s[0:1], s[0:1], s[8:9]
; %bb.10:
	s_or_b64 exec, exec, s[2:3]
	v_mov_b32_dpp v6, v1 row_ror:8 row_mask:0xf bank_mask:0xf bound_ctrl:1
	v_and_b32_e32 v7, 1, v6
	v_mov_b32_dpp v4, v2 row_ror:8 row_mask:0xf bank_mask:0xf bound_ctrl:1
	v_mov_b32_dpp v5, v3 row_ror:8 row_mask:0xf bank_mask:0xf bound_ctrl:1
	v_cmp_eq_u32_e32 vcc, 1, v7
	s_and_saveexec_b64 s[2:3], vcc
; %bb.11:
	v_cmp_lt_i64_e32 vcc, v[2:3], v[4:5]
	v_cndmask_b32_e64 v6, v6, 1, s[0:1]
	s_and_b64 vcc, s[0:1], vcc
	v_cndmask_b32_e32 v2, v4, v2, vcc
	v_and_b32_e32 v4, 1, v6
	v_cndmask_b32_e32 v3, v5, v3, vcc
	v_cmp_eq_u32_e32 vcc, 1, v4
	s_andn2_b64 s[0:1], s[0:1], exec
	s_and_b64 s[8:9], vcc, exec
	v_and_b32_e32 v1, 0xff, v6
	s_or_b64 s[0:1], s[0:1], s[8:9]
; %bb.12:
	s_or_b64 exec, exec, s[2:3]
	v_mov_b32_dpp v6, v1 row_bcast:15 row_mask:0xf bank_mask:0xf bound_ctrl:1
	v_and_b32_e32 v7, 1, v6
	v_mov_b32_dpp v4, v2 row_bcast:15 row_mask:0xf bank_mask:0xf bound_ctrl:1
	v_mov_b32_dpp v5, v3 row_bcast:15 row_mask:0xf bank_mask:0xf bound_ctrl:1
	v_cmp_eq_u32_e32 vcc, 1, v7
	s_and_saveexec_b64 s[2:3], vcc
; %bb.13:
	v_cmp_lt_i64_e32 vcc, v[2:3], v[4:5]
	v_cndmask_b32_e64 v6, v6, 1, s[0:1]
	s_and_b64 vcc, s[0:1], vcc
	v_cndmask_b32_e32 v2, v4, v2, vcc
	v_and_b32_e32 v4, 1, v6
	v_cndmask_b32_e32 v3, v5, v3, vcc
	v_cmp_eq_u32_e32 vcc, 1, v4
	s_andn2_b64 s[0:1], s[0:1], exec
	s_and_b64 s[8:9], vcc, exec
	v_and_b32_e32 v1, 0xff, v6
	s_or_b64 s[0:1], s[0:1], s[8:9]
; %bb.14:
	s_or_b64 exec, exec, s[2:3]
	v_mov_b32_dpp v6, v1 row_bcast:31 row_mask:0xf bank_mask:0xf bound_ctrl:1
	v_and_b32_e32 v7, 1, v6
	v_mov_b32_dpp v4, v2 row_bcast:31 row_mask:0xf bank_mask:0xf bound_ctrl:1
	v_mov_b32_dpp v5, v3 row_bcast:31 row_mask:0xf bank_mask:0xf bound_ctrl:1
	v_cmp_eq_u32_e32 vcc, 1, v7
	s_and_saveexec_b64 s[2:3], vcc
; %bb.15:
	v_cmp_lt_i64_e32 vcc, v[2:3], v[4:5]
	v_and_b32_e32 v1, 0xff, v6
	s_and_b64 vcc, s[0:1], vcc
	v_cndmask_b32_e32 v2, v4, v2, vcc
	v_cndmask_b32_e32 v3, v5, v3, vcc
	v_cndmask_b32_e64 v1, v1, 1, s[0:1]
; %bb.16:
	s_or_b64 exec, exec, s[2:3]
	v_mbcnt_lo_u32_b32 v4, -1, 0
	v_mbcnt_hi_u32_b32 v4, -1, v4
	v_bfrev_b32_e32 v5, 0.5
	v_lshl_or_b32 v5, v4, 2, v5
	ds_bpermute_b32 v7, v5, v1
	ds_bpermute_b32 v2, v5, v2
	;; [unrolled: 1-line block ×3, first 2 shown]
	v_cmp_eq_u32_e32 vcc, 0, v4
	s_and_saveexec_b64 s[0:1], vcc
	s_cbranch_execz .LBB2100_18
; %bb.17:
	v_lshrrev_b32_e32 v1, 2, v0
	v_and_b32_e32 v1, 48, v1
	s_waitcnt lgkmcnt(2)
	ds_write_b8 v1, v7 offset:192
	s_waitcnt lgkmcnt(1)
	ds_write_b64 v1, v[2:3] offset:200
.LBB2100_18:
	s_or_b64 exec, exec, s[0:1]
	v_cmp_gt_u32_e32 vcc, 64, v0
	s_waitcnt lgkmcnt(0)
	s_barrier
	s_and_saveexec_b64 s[2:3], vcc
	s_cbranch_execz .LBB2100_20
; %bb.19:
	v_and_b32_e32 v1, 3, v4
	v_lshlrev_b32_e32 v2, 4, v1
	ds_read_u8 v5, v2 offset:192
	ds_read_b64 v[2:3], v2 offset:200
	v_cmp_ne_u32_e32 vcc, 3, v1
	v_addc_co_u32_e32 v6, vcc, 0, v4, vcc
	s_waitcnt lgkmcnt(1)
	v_and_b32_e32 v7, 0xff, v5
	v_lshlrev_b32_e32 v8, 2, v6
	ds_bpermute_b32 v9, v8, v7
	s_waitcnt lgkmcnt(1)
	ds_bpermute_b32 v6, v8, v2
	ds_bpermute_b32 v7, v8, v3
	v_and_b32_e32 v8, 1, v5
	s_waitcnt lgkmcnt(2)
	v_and_b32_e32 v10, 1, v9
	v_cmp_eq_u32_e64 s[0:1], 1, v10
	s_waitcnt lgkmcnt(0)
	v_cmp_lt_i64_e32 vcc, v[6:7], v[2:3]
	s_and_b64 vcc, s[0:1], vcc
	v_cndmask_b32_e64 v5, v5, 1, s[0:1]
	v_cndmask_b32_e32 v2, v2, v6, vcc
	v_cndmask_b32_e32 v3, v3, v7, vcc
	v_cmp_eq_u32_e32 vcc, 1, v8
	v_cndmask_b32_e32 v8, v9, v5, vcc
	v_cndmask_b32_e32 v3, v7, v3, vcc
	;; [unrolled: 1-line block ×3, first 2 shown]
	v_cmp_gt_u32_e32 vcc, 2, v1
	v_cndmask_b32_e64 v1, 0, 1, vcc
	v_lshlrev_b32_e32 v1, 1, v1
	v_and_b32_e32 v5, 0xff, v8
	v_add_lshl_u32 v1, v1, v4, 2
	ds_bpermute_b32 v6, v1, v5
	ds_bpermute_b32 v4, v1, v2
	;; [unrolled: 1-line block ×3, first 2 shown]
	v_and_b32_e32 v1, 1, v8
	s_waitcnt lgkmcnt(2)
	v_and_b32_e32 v7, 1, v6
	v_cmp_eq_u32_e64 s[0:1], 1, v7
	s_waitcnt lgkmcnt(0)
	v_cmp_lt_i64_e32 vcc, v[4:5], v[2:3]
	s_and_b64 vcc, s[0:1], vcc
	v_cndmask_b32_e64 v7, v8, 1, s[0:1]
	v_cndmask_b32_e32 v2, v2, v4, vcc
	v_cndmask_b32_e32 v3, v3, v5, vcc
	v_cmp_eq_u32_e32 vcc, 1, v1
	v_cndmask_b32_e32 v1, v6, v7, vcc
	v_cndmask_b32_e32 v3, v5, v3, vcc
	;; [unrolled: 1-line block ×3, first 2 shown]
	v_and_b32_e32 v7, 0xff, v1
.LBB2100_20:
	s_or_b64 exec, exec, s[2:3]
	s_branch .LBB2100_89
.LBB2100_21:
	s_mov_b64 s[10:11], 0
                                        ; implicit-def: $vgpr4_vgpr5
                                        ; implicit-def: $vgpr1
	s_cbranch_execnz .LBB2100_133
	s_branch .LBB2100_208
.LBB2100_22:
	s_mov_b64 s[26:27], -1
.LBB2100_23:
	s_mov_b64 s[10:11], 0
                                        ; implicit-def: $vgpr4_vgpr5
                                        ; implicit-def: $vgpr1
	s_and_b64 vcc, exec, s[26:27]
	s_cbranch_vccz .LBB2100_94
.LBB2100_24:
	s_cmp_eq_u32 s35, 4
	s_cbranch_scc0 .LBB2100_43
; %bb.25:
	s_mov_b32 s7, 0
	s_lshl_b32 s14, s6, 10
	s_mov_b32 s15, s7
	s_lshr_b64 s[0:1], s[22:23], 10
	s_lshl_b64 s[2:3], s[14:15], 1
	s_add_u32 s12, s24, s2
	s_addc_u32 s13, s25, s3
	s_add_u32 s16, s20, s14
	s_addc_u32 s17, s21, 0
	s_cmp_lg_u64 s[0:1], s[6:7]
	s_cbranch_scc0 .LBB2100_95
; %bb.26:
	v_lshlrev_b32_e32 v1, 1, v0
	global_load_ushort v2, v1, s[12:13]
	global_load_ushort v3, v1, s[12:13] offset:512
	s_waitcnt lgkmcnt(1)
	global_load_ushort v4, v1, s[12:13] offset:1024
	s_waitcnt lgkmcnt(0)
	global_load_ushort v5, v1, s[12:13] offset:1536
	v_mov_b32_e32 v1, s17
	v_add_co_u32_e32 v9, vcc, s16, v0
	s_lshl_b32 s8, s34, 16
	v_addc_co_u32_e32 v1, vcc, 0, v1, vcc
	v_mov_b32_e32 v6, 0x200
	v_mov_b32_e32 v7, 0x100
	;; [unrolled: 1-line block ×3, first 2 shown]
	s_waitcnt vmcnt(3)
	v_lshlrev_b32_e32 v2, 16, v2
	s_waitcnt vmcnt(2)
	v_lshlrev_b32_e32 v3, 16, v3
	s_waitcnt vmcnt(1)
	v_lshlrev_b32_e32 v4, 16, v4
	s_waitcnt vmcnt(0)
	v_lshlrev_b32_e32 v5, 16, v5
	v_cmp_eq_f32_e32 vcc, s8, v4
	v_cmp_eq_f32_e64 s[0:1], s8, v5
	v_cmp_eq_f32_e64 s[2:3], s8, v3
	;; [unrolled: 1-line block ×3, first 2 shown]
	v_cndmask_b32_e64 v3, v6, v7, s[2:3]
	s_or_b64 s[2:3], s[8:9], s[2:3]
	v_cndmask_b32_e64 v2, v3, 0, s[8:9]
	s_or_b64 vcc, s[2:3], vcc
	v_cndmask_b32_e32 v2, v8, v2, vcc
	v_add_co_u32_e64 v2, s[2:3], v9, v2
	s_or_b64 s[0:1], vcc, s[0:1]
	v_addc_co_u32_e64 v3, s[2:3], 0, v1, s[2:3]
	v_cndmask_b32_e64 v1, 0, 1, s[0:1]
	v_mov_b32_dpp v4, v2 quad_perm:[1,0,3,2] row_mask:0xf bank_mask:0xf bound_ctrl:1
	v_mov_b32_dpp v5, v3 quad_perm:[1,0,3,2] row_mask:0xf bank_mask:0xf bound_ctrl:1
	;; [unrolled: 1-line block ×3, first 2 shown]
	v_and_b32_e32 v7, 1, v6
	v_cmp_eq_u32_e32 vcc, 1, v7
	s_and_saveexec_b64 s[2:3], vcc
; %bb.27:
	v_cmp_lt_i64_e32 vcc, v[2:3], v[4:5]
	v_cndmask_b32_e64 v6, v6, 1, s[0:1]
	s_and_b64 vcc, s[0:1], vcc
	v_cndmask_b32_e32 v2, v4, v2, vcc
	v_and_b32_e32 v4, 1, v6
	v_cndmask_b32_e32 v3, v5, v3, vcc
	v_cmp_eq_u32_e32 vcc, 1, v4
	s_andn2_b64 s[0:1], s[0:1], exec
	s_and_b64 s[8:9], vcc, exec
	v_and_b32_e32 v1, 0xff, v6
	s_or_b64 s[0:1], s[0:1], s[8:9]
; %bb.28:
	s_or_b64 exec, exec, s[2:3]
	v_mov_b32_dpp v6, v1 quad_perm:[2,3,0,1] row_mask:0xf bank_mask:0xf bound_ctrl:1
	v_and_b32_e32 v7, 1, v6
	v_mov_b32_dpp v4, v2 quad_perm:[2,3,0,1] row_mask:0xf bank_mask:0xf bound_ctrl:1
	v_mov_b32_dpp v5, v3 quad_perm:[2,3,0,1] row_mask:0xf bank_mask:0xf bound_ctrl:1
	v_cmp_eq_u32_e32 vcc, 1, v7
	s_and_saveexec_b64 s[2:3], vcc
; %bb.29:
	v_cmp_lt_i64_e32 vcc, v[2:3], v[4:5]
	v_cndmask_b32_e64 v6, v6, 1, s[0:1]
	s_and_b64 vcc, s[0:1], vcc
	v_cndmask_b32_e32 v2, v4, v2, vcc
	v_and_b32_e32 v4, 1, v6
	v_cndmask_b32_e32 v3, v5, v3, vcc
	v_cmp_eq_u32_e32 vcc, 1, v4
	s_andn2_b64 s[0:1], s[0:1], exec
	s_and_b64 s[8:9], vcc, exec
	v_and_b32_e32 v1, 0xff, v6
	s_or_b64 s[0:1], s[0:1], s[8:9]
; %bb.30:
	s_or_b64 exec, exec, s[2:3]
	v_mov_b32_dpp v6, v1 row_ror:4 row_mask:0xf bank_mask:0xf bound_ctrl:1
	v_and_b32_e32 v7, 1, v6
	v_mov_b32_dpp v4, v2 row_ror:4 row_mask:0xf bank_mask:0xf bound_ctrl:1
	v_mov_b32_dpp v5, v3 row_ror:4 row_mask:0xf bank_mask:0xf bound_ctrl:1
	v_cmp_eq_u32_e32 vcc, 1, v7
	s_and_saveexec_b64 s[2:3], vcc
; %bb.31:
	v_cmp_lt_i64_e32 vcc, v[2:3], v[4:5]
	v_cndmask_b32_e64 v6, v6, 1, s[0:1]
	s_and_b64 vcc, s[0:1], vcc
	v_cndmask_b32_e32 v2, v4, v2, vcc
	v_and_b32_e32 v4, 1, v6
	v_cndmask_b32_e32 v3, v5, v3, vcc
	v_cmp_eq_u32_e32 vcc, 1, v4
	s_andn2_b64 s[0:1], s[0:1], exec
	s_and_b64 s[8:9], vcc, exec
	v_and_b32_e32 v1, 0xff, v6
	s_or_b64 s[0:1], s[0:1], s[8:9]
; %bb.32:
	s_or_b64 exec, exec, s[2:3]
	v_mov_b32_dpp v6, v1 row_ror:8 row_mask:0xf bank_mask:0xf bound_ctrl:1
	v_and_b32_e32 v7, 1, v6
	v_mov_b32_dpp v4, v2 row_ror:8 row_mask:0xf bank_mask:0xf bound_ctrl:1
	v_mov_b32_dpp v5, v3 row_ror:8 row_mask:0xf bank_mask:0xf bound_ctrl:1
	v_cmp_eq_u32_e32 vcc, 1, v7
	s_and_saveexec_b64 s[2:3], vcc
; %bb.33:
	v_cmp_lt_i64_e32 vcc, v[2:3], v[4:5]
	v_cndmask_b32_e64 v6, v6, 1, s[0:1]
	s_and_b64 vcc, s[0:1], vcc
	v_cndmask_b32_e32 v2, v4, v2, vcc
	v_and_b32_e32 v4, 1, v6
	v_cndmask_b32_e32 v3, v5, v3, vcc
	v_cmp_eq_u32_e32 vcc, 1, v4
	s_andn2_b64 s[0:1], s[0:1], exec
	s_and_b64 s[8:9], vcc, exec
	v_and_b32_e32 v1, 0xff, v6
	s_or_b64 s[0:1], s[0:1], s[8:9]
; %bb.34:
	s_or_b64 exec, exec, s[2:3]
	v_mov_b32_dpp v6, v1 row_bcast:15 row_mask:0xf bank_mask:0xf bound_ctrl:1
	v_and_b32_e32 v7, 1, v6
	v_mov_b32_dpp v4, v2 row_bcast:15 row_mask:0xf bank_mask:0xf bound_ctrl:1
	v_mov_b32_dpp v5, v3 row_bcast:15 row_mask:0xf bank_mask:0xf bound_ctrl:1
	v_cmp_eq_u32_e32 vcc, 1, v7
	s_and_saveexec_b64 s[2:3], vcc
; %bb.35:
	v_cmp_lt_i64_e32 vcc, v[2:3], v[4:5]
	v_cndmask_b32_e64 v6, v6, 1, s[0:1]
	s_and_b64 vcc, s[0:1], vcc
	v_cndmask_b32_e32 v2, v4, v2, vcc
	v_and_b32_e32 v4, 1, v6
	v_cndmask_b32_e32 v3, v5, v3, vcc
	v_cmp_eq_u32_e32 vcc, 1, v4
	s_andn2_b64 s[0:1], s[0:1], exec
	s_and_b64 s[8:9], vcc, exec
	v_and_b32_e32 v1, 0xff, v6
	s_or_b64 s[0:1], s[0:1], s[8:9]
; %bb.36:
	s_or_b64 exec, exec, s[2:3]
	v_mov_b32_dpp v6, v1 row_bcast:31 row_mask:0xf bank_mask:0xf bound_ctrl:1
	v_and_b32_e32 v7, 1, v6
	v_mov_b32_dpp v4, v2 row_bcast:31 row_mask:0xf bank_mask:0xf bound_ctrl:1
	v_mov_b32_dpp v5, v3 row_bcast:31 row_mask:0xf bank_mask:0xf bound_ctrl:1
	v_cmp_eq_u32_e32 vcc, 1, v7
	s_and_saveexec_b64 s[2:3], vcc
; %bb.37:
	v_cmp_lt_i64_e32 vcc, v[2:3], v[4:5]
	v_and_b32_e32 v1, 0xff, v6
	s_and_b64 vcc, s[0:1], vcc
	v_cndmask_b32_e32 v2, v4, v2, vcc
	v_cndmask_b32_e32 v3, v5, v3, vcc
	v_cndmask_b32_e64 v1, v1, 1, s[0:1]
; %bb.38:
	s_or_b64 exec, exec, s[2:3]
	v_mbcnt_lo_u32_b32 v4, -1, 0
	v_mbcnt_hi_u32_b32 v4, -1, v4
	v_bfrev_b32_e32 v5, 0.5
	v_lshl_or_b32 v5, v4, 2, v5
	ds_bpermute_b32 v6, v5, v1
	ds_bpermute_b32 v2, v5, v2
	ds_bpermute_b32 v3, v5, v3
	v_cmp_eq_u32_e32 vcc, 0, v4
	s_and_saveexec_b64 s[0:1], vcc
	s_cbranch_execz .LBB2100_40
; %bb.39:
	v_lshrrev_b32_e32 v1, 2, v0
	v_and_b32_e32 v1, 48, v1
	s_waitcnt lgkmcnt(2)
	ds_write_b8 v1, v6 offset:128
	s_waitcnt lgkmcnt(1)
	ds_write_b64 v1, v[2:3] offset:136
.LBB2100_40:
	s_or_b64 exec, exec, s[0:1]
	v_cmp_gt_u32_e32 vcc, 64, v0
	s_waitcnt lgkmcnt(0)
	s_barrier
	s_and_saveexec_b64 s[2:3], vcc
	s_cbranch_execz .LBB2100_42
; %bb.41:
	v_and_b32_e32 v1, 3, v4
	v_lshlrev_b32_e32 v2, 4, v1
	ds_read_u8 v5, v2 offset:128
	ds_read_b64 v[2:3], v2 offset:136
	v_cmp_ne_u32_e32 vcc, 3, v1
	v_addc_co_u32_e32 v6, vcc, 0, v4, vcc
	s_waitcnt lgkmcnt(1)
	v_and_b32_e32 v7, 0xff, v5
	v_lshlrev_b32_e32 v8, 2, v6
	ds_bpermute_b32 v9, v8, v7
	s_waitcnt lgkmcnt(1)
	ds_bpermute_b32 v6, v8, v2
	ds_bpermute_b32 v7, v8, v3
	v_and_b32_e32 v8, 1, v5
	s_waitcnt lgkmcnt(2)
	v_and_b32_e32 v10, 1, v9
	v_cmp_eq_u32_e64 s[0:1], 1, v10
	s_waitcnt lgkmcnt(0)
	v_cmp_lt_i64_e32 vcc, v[6:7], v[2:3]
	s_and_b64 vcc, s[0:1], vcc
	v_cndmask_b32_e64 v5, v5, 1, s[0:1]
	v_cndmask_b32_e32 v2, v2, v6, vcc
	v_cndmask_b32_e32 v3, v3, v7, vcc
	v_cmp_eq_u32_e32 vcc, 1, v8
	v_cndmask_b32_e32 v8, v9, v5, vcc
	v_cndmask_b32_e32 v3, v7, v3, vcc
	;; [unrolled: 1-line block ×3, first 2 shown]
	v_cmp_gt_u32_e32 vcc, 2, v1
	v_cndmask_b32_e64 v1, 0, 1, vcc
	v_lshlrev_b32_e32 v1, 1, v1
	v_and_b32_e32 v5, 0xff, v8
	v_add_lshl_u32 v1, v1, v4, 2
	ds_bpermute_b32 v6, v1, v5
	ds_bpermute_b32 v4, v1, v2
	;; [unrolled: 1-line block ×3, first 2 shown]
	v_and_b32_e32 v1, 1, v8
	s_waitcnt lgkmcnt(2)
	v_and_b32_e32 v7, 1, v6
	v_cmp_eq_u32_e64 s[0:1], 1, v7
	s_waitcnt lgkmcnt(0)
	v_cmp_lt_i64_e32 vcc, v[4:5], v[2:3]
	s_and_b64 vcc, s[0:1], vcc
	v_cndmask_b32_e64 v7, v8, 1, s[0:1]
	v_cndmask_b32_e32 v2, v2, v4, vcc
	v_cndmask_b32_e32 v3, v3, v5, vcc
	v_cmp_eq_u32_e32 vcc, 1, v1
	v_cndmask_b32_e32 v1, v6, v7, vcc
	v_cndmask_b32_e32 v3, v5, v3, vcc
	;; [unrolled: 1-line block ×3, first 2 shown]
	v_and_b32_e32 v6, 0xff, v1
.LBB2100_42:
	s_or_b64 exec, exec, s[2:3]
	s_branch .LBB2100_128
.LBB2100_43:
                                        ; implicit-def: $vgpr4_vgpr5
                                        ; implicit-def: $vgpr1
	s_branch .LBB2100_208
.LBB2100_44:
                                        ; implicit-def: $vgpr2_vgpr3
                                        ; implicit-def: $vgpr7
	s_cbranch_execz .LBB2100_89
; %bb.45:
	s_sub_i32 s38, s22, s30
	v_pk_mov_b32 v[10:11], 0, 0
	s_lshl_b32 s39, s34, 16
	v_cmp_gt_u32_e32 vcc, s38, v0
	v_mov_b32_e32 v21, 0
	v_pk_mov_b32 v[2:3], v[10:11], v[10:11] op_sel:[0,1]
	v_mov_b32_e32 v1, 0
	s_and_saveexec_b64 s[0:1], vcc
	s_cbranch_execz .LBB2100_47
; %bb.46:
	v_lshlrev_b32_e32 v1, 1, v0
	global_load_ushort v1, v1, s[28:29]
	v_mov_b32_e32 v3, s37
	v_add_co_u32_e32 v2, vcc, s36, v0
	v_addc_co_u32_e32 v3, vcc, 0, v3, vcc
	s_waitcnt vmcnt(0)
	v_lshlrev_b32_e32 v1, 16, v1
	v_cmp_eq_f32_e32 vcc, s39, v1
	v_cndmask_b32_e64 v1, 0, 1, vcc
.LBB2100_47:
	s_or_b64 exec, exec, s[0:1]
	v_or_b32_e32 v4, 0x100, v0
	v_cmp_gt_u32_e64 s[14:15], s38, v4
	s_and_saveexec_b64 s[0:1], s[14:15]
	s_cbranch_execz .LBB2100_49
; %bb.48:
	v_lshlrev_b32_e32 v5, 1, v0
	global_load_ushort v5, v5, s[28:29] offset:512
	v_mov_b32_e32 v6, s37
	v_add_co_u32_e32 v10, vcc, s36, v4
	v_addc_co_u32_e32 v11, vcc, 0, v6, vcc
	s_waitcnt vmcnt(0)
	v_lshlrev_b32_e32 v4, 16, v5
	v_cmp_eq_f32_e32 vcc, s39, v4
	v_cndmask_b32_e64 v21, 0, 1, vcc
.LBB2100_49:
	s_or_b64 exec, exec, s[0:1]
	v_or_b32_e32 v4, 0x200, v0
	v_pk_mov_b32 v[8:9], 0, 0
	v_cmp_gt_u32_e64 s[10:11], s38, v4
	v_mov_b32_e32 v20, 0
	v_pk_mov_b32 v[16:17], v[8:9], v[8:9] op_sel:[0,1]
	v_mov_b32_e32 v24, 0
	s_and_saveexec_b64 s[0:1], s[10:11]
	s_cbranch_execz .LBB2100_51
; %bb.50:
	v_lshlrev_b32_e32 v5, 1, v0
	global_load_ushort v5, v5, s[28:29] offset:1024
	v_mov_b32_e32 v6, s37
	v_add_co_u32_e32 v16, vcc, s36, v4
	v_addc_co_u32_e32 v17, vcc, 0, v6, vcc
	s_waitcnt vmcnt(0)
	v_lshlrev_b32_e32 v4, 16, v5
	v_cmp_eq_f32_e32 vcc, s39, v4
	v_cndmask_b32_e64 v24, 0, 1, vcc
.LBB2100_51:
	s_or_b64 exec, exec, s[0:1]
	v_or_b32_e32 v4, 0x300, v0
	v_cmp_gt_u32_e64 s[12:13], s38, v4
	s_and_saveexec_b64 s[0:1], s[12:13]
	s_cbranch_execz .LBB2100_53
; %bb.52:
	v_lshlrev_b32_e32 v5, 1, v0
	global_load_ushort v5, v5, s[28:29] offset:1536
	v_mov_b32_e32 v6, s37
	v_add_co_u32_e32 v8, vcc, s36, v4
	v_addc_co_u32_e32 v9, vcc, 0, v6, vcc
	s_waitcnt vmcnt(0)
	v_lshlrev_b32_e32 v4, 16, v5
	v_cmp_eq_f32_e32 vcc, s39, v4
	v_cndmask_b32_e64 v20, 0, 1, vcc
.LBB2100_53:
	s_or_b64 exec, exec, s[0:1]
	v_or_b32_e32 v4, 0x400, v0
	v_pk_mov_b32 v[6:7], 0, 0
	v_cmp_gt_u32_e64 s[2:3], s38, v4
	v_mov_b32_e32 v19, 0
	v_pk_mov_b32 v[14:15], v[6:7], v[6:7] op_sel:[0,1]
	v_mov_b32_e32 v23, 0
	s_and_saveexec_b64 s[0:1], s[2:3]
	s_cbranch_execz .LBB2100_55
; %bb.54:
	v_lshlrev_b32_e32 v5, 1, v0
	global_load_ushort v5, v5, s[28:29] offset:2048
	v_mov_b32_e32 v12, s37
	v_add_co_u32_e32 v14, vcc, s36, v4
	v_addc_co_u32_e32 v15, vcc, 0, v12, vcc
	s_waitcnt vmcnt(0)
	v_lshlrev_b32_e32 v4, 16, v5
	v_cmp_eq_f32_e32 vcc, s39, v4
	v_cndmask_b32_e64 v23, 0, 1, vcc
.LBB2100_55:
	s_or_b64 exec, exec, s[0:1]
	v_or_b32_e32 v4, 0x500, v0
	v_cmp_gt_u32_e64 s[8:9], s38, v4
	s_and_saveexec_b64 s[0:1], s[8:9]
	s_cbranch_execz .LBB2100_57
; %bb.56:
	v_lshlrev_b32_e32 v5, 1, v0
	global_load_ushort v5, v5, s[28:29] offset:2560
	v_mov_b32_e32 v7, s37
	v_add_co_u32_e32 v6, vcc, s36, v4
	v_addc_co_u32_e32 v7, vcc, 0, v7, vcc
	s_waitcnt vmcnt(0)
	v_lshlrev_b32_e32 v4, 16, v5
	v_cmp_eq_f32_e32 vcc, s39, v4
	v_cndmask_b32_e64 v19, 0, 1, vcc
.LBB2100_57:
	s_or_b64 exec, exec, s[0:1]
	v_or_b32_e32 v25, 0x600, v0
	v_pk_mov_b32 v[4:5], 0, 0
	v_cmp_gt_u32_e32 vcc, s38, v25
	v_mov_b32_e32 v18, 0
	v_mov_b32_e32 v22, 0
	v_pk_mov_b32 v[12:13], v[4:5], v[4:5] op_sel:[0,1]
	s_and_saveexec_b64 s[16:17], vcc
	s_cbranch_execz .LBB2100_59
; %bb.58:
	v_lshlrev_b32_e32 v12, 1, v0
	global_load_ushort v22, v12, s[28:29] offset:3072
	v_mov_b32_e32 v13, s37
	v_add_co_u32_e64 v12, s[0:1], s36, v25
	v_addc_co_u32_e64 v13, s[0:1], 0, v13, s[0:1]
	s_waitcnt vmcnt(0)
	v_lshlrev_b32_e32 v22, 16, v22
	v_cmp_eq_f32_e64 s[0:1], s39, v22
	v_cndmask_b32_e64 v22, 0, 1, s[0:1]
.LBB2100_59:
	s_or_b64 exec, exec, s[16:17]
	v_or_b32_e32 v25, 0x700, v0
	v_cmp_gt_u32_e64 s[0:1], s38, v25
	s_and_saveexec_b64 s[30:31], s[0:1]
	s_cbranch_execnz .LBB2100_240
; %bb.60:
	s_or_b64 exec, exec, s[30:31]
	s_and_saveexec_b64 s[28:29], s[14:15]
	s_cbranch_execnz .LBB2100_241
.LBB2100_61:
	s_or_b64 exec, exec, s[28:29]
	s_and_saveexec_b64 s[16:17], s[10:11]
	s_cbranch_execnz .LBB2100_242
.LBB2100_62:
	s_or_b64 exec, exec, s[16:17]
	s_and_saveexec_b64 s[14:15], s[12:13]
	s_cbranch_execnz .LBB2100_243
.LBB2100_63:
	s_or_b64 exec, exec, s[14:15]
	s_and_saveexec_b64 s[12:13], s[2:3]
	s_cbranch_execnz .LBB2100_244
.LBB2100_64:
	s_or_b64 exec, exec, s[12:13]
	s_and_saveexec_b64 s[10:11], s[8:9]
	s_cbranch_execnz .LBB2100_245
.LBB2100_65:
	s_or_b64 exec, exec, s[10:11]
	s_and_saveexec_b64 s[8:9], vcc
	s_cbranch_execnz .LBB2100_246
.LBB2100_66:
	s_or_b64 exec, exec, s[8:9]
	s_and_saveexec_b64 s[2:3], s[0:1]
	s_cbranch_execz .LBB2100_68
.LBB2100_67:
	v_and_b32_e32 v7, 1, v18
	v_cmp_lt_i64_e32 vcc, v[4:5], v[2:3]
	v_cmp_eq_u32_e64 s[0:1], 1, v7
	v_and_b32_e32 v6, 1, v1
	s_and_b64 vcc, s[0:1], vcc
	v_cndmask_b32_e64 v1, v1, 1, s[0:1]
	v_cndmask_b32_e32 v2, v2, v4, vcc
	v_cndmask_b32_e32 v3, v3, v5, vcc
	v_cmp_eq_u32_e32 vcc, 1, v6
	v_cndmask_b32_e32 v1, v18, v1, vcc
	v_cndmask_b32_e32 v3, v5, v3, vcc
	;; [unrolled: 1-line block ×3, first 2 shown]
.LBB2100_68:
	s_or_b64 exec, exec, s[2:3]
	v_mbcnt_lo_u32_b32 v4, -1, 0
	v_mbcnt_hi_u32_b32 v6, -1, v4
	v_and_b32_e32 v8, 63, v6
	v_cmp_ne_u32_e32 vcc, 63, v8
	v_addc_co_u32_e32 v4, vcc, 0, v6, vcc
	v_and_b32_e32 v7, 0xffff, v1
	v_lshlrev_b32_e32 v5, 2, v4
	ds_bpermute_b32 v11, v5, v7
	ds_bpermute_b32 v4, v5, v2
	;; [unrolled: 1-line block ×3, first 2 shown]
	s_min_u32 s8, s38, 0x100
	v_and_b32_e32 v9, 0xc0, v0
	v_sub_u32_e64 v10, s8, v9 clamp
	v_add_u32_e32 v9, 1, v8
	v_cmp_lt_u32_e32 vcc, v9, v10
	v_mov_b32_e32 v9, v7
	s_and_saveexec_b64 s[0:1], vcc
	s_xor_b64 s[2:3], exec, s[0:1]
	s_cbranch_execz .LBB2100_70
; %bb.69:
	s_waitcnt lgkmcnt(2)
	v_and_b32_e32 v9, 1, v11
	s_waitcnt lgkmcnt(0)
	v_cmp_lt_i64_e32 vcc, v[4:5], v[2:3]
	v_cmp_eq_u32_e64 s[0:1], 1, v9
	v_and_b32_e32 v1, 1, v1
	s_and_b64 vcc, s[0:1], vcc
	v_cndmask_b32_e64 v7, v7, 1, s[0:1]
	v_cndmask_b32_e32 v2, v2, v4, vcc
	v_cndmask_b32_e32 v3, v3, v5, vcc
	v_cmp_eq_u32_e32 vcc, 1, v1
	v_cndmask_b32_e32 v9, v11, v7, vcc
	v_cndmask_b32_e32 v3, v5, v3, vcc
	;; [unrolled: 1-line block ×3, first 2 shown]
	v_and_b32_e32 v7, 0xff, v9
.LBB2100_70:
	s_or_b64 exec, exec, s[2:3]
	v_cmp_gt_u32_e32 vcc, 62, v8
	v_cndmask_b32_e64 v1, 0, 1, vcc
	v_lshlrev_b32_e32 v1, 1, v1
	s_waitcnt lgkmcnt(0)
	v_add_lshl_u32 v5, v1, v6, 2
	ds_bpermute_b32 v1, v5, v7
	ds_bpermute_b32 v4, v5, v2
	ds_bpermute_b32 v5, v5, v3
	v_add_u32_e32 v11, 2, v8
	v_cmp_lt_u32_e32 vcc, v11, v10
	s_and_saveexec_b64 s[2:3], vcc
	s_cbranch_execz .LBB2100_72
; %bb.71:
	s_waitcnt lgkmcnt(2)
	v_and_b32_e32 v11, 1, v1
	s_waitcnt lgkmcnt(0)
	v_cmp_lt_i64_e32 vcc, v[4:5], v[2:3]
	v_cmp_eq_u32_e64 s[0:1], 1, v11
	v_and_b32_e32 v7, 1, v9
	s_and_b64 vcc, s[0:1], vcc
	v_cndmask_b32_e64 v9, v9, 1, s[0:1]
	v_cndmask_b32_e32 v2, v2, v4, vcc
	v_cndmask_b32_e32 v3, v3, v5, vcc
	v_cmp_eq_u32_e32 vcc, 1, v7
	v_cndmask_b32_e32 v9, v1, v9, vcc
	v_cndmask_b32_e32 v3, v5, v3, vcc
	v_cndmask_b32_e32 v2, v4, v2, vcc
	v_and_b32_e32 v7, 0xff, v9
.LBB2100_72:
	s_or_b64 exec, exec, s[2:3]
	v_cmp_gt_u32_e32 vcc, 60, v8
	s_waitcnt lgkmcnt(2)
	v_cndmask_b32_e64 v1, 0, 1, vcc
	v_lshlrev_b32_e32 v1, 2, v1
	s_waitcnt lgkmcnt(0)
	v_add_lshl_u32 v5, v1, v6, 2
	ds_bpermute_b32 v1, v5, v7
	ds_bpermute_b32 v4, v5, v2
	ds_bpermute_b32 v5, v5, v3
	v_add_u32_e32 v11, 4, v8
	v_cmp_lt_u32_e32 vcc, v11, v10
	s_and_saveexec_b64 s[2:3], vcc
	s_cbranch_execz .LBB2100_74
; %bb.73:
	s_waitcnt lgkmcnt(2)
	v_and_b32_e32 v11, 1, v1
	s_waitcnt lgkmcnt(0)
	v_cmp_lt_i64_e32 vcc, v[4:5], v[2:3]
	v_cmp_eq_u32_e64 s[0:1], 1, v11
	v_and_b32_e32 v7, 1, v9
	s_and_b64 vcc, s[0:1], vcc
	v_cndmask_b32_e64 v9, v9, 1, s[0:1]
	v_cndmask_b32_e32 v2, v2, v4, vcc
	v_cndmask_b32_e32 v3, v3, v5, vcc
	v_cmp_eq_u32_e32 vcc, 1, v7
	v_cndmask_b32_e32 v9, v1, v9, vcc
	v_cndmask_b32_e32 v3, v5, v3, vcc
	v_cndmask_b32_e32 v2, v4, v2, vcc
	v_and_b32_e32 v7, 0xff, v9
.LBB2100_74:
	s_or_b64 exec, exec, s[2:3]
	v_cmp_gt_u32_e32 vcc, 56, v8
	s_waitcnt lgkmcnt(2)
	v_cndmask_b32_e64 v1, 0, 1, vcc
	v_lshlrev_b32_e32 v1, 3, v1
	s_waitcnt lgkmcnt(0)
	v_add_lshl_u32 v5, v1, v6, 2
	ds_bpermute_b32 v1, v5, v7
	ds_bpermute_b32 v4, v5, v2
	ds_bpermute_b32 v5, v5, v3
	v_add_u32_e32 v11, 8, v8
	v_cmp_lt_u32_e32 vcc, v11, v10
	s_and_saveexec_b64 s[2:3], vcc
	s_cbranch_execz .LBB2100_76
; %bb.75:
	s_waitcnt lgkmcnt(2)
	v_and_b32_e32 v11, 1, v1
	s_waitcnt lgkmcnt(0)
	v_cmp_lt_i64_e32 vcc, v[4:5], v[2:3]
	v_cmp_eq_u32_e64 s[0:1], 1, v11
	v_and_b32_e32 v7, 1, v9
	s_and_b64 vcc, s[0:1], vcc
	v_cndmask_b32_e64 v9, v9, 1, s[0:1]
	v_cndmask_b32_e32 v2, v2, v4, vcc
	v_cndmask_b32_e32 v3, v3, v5, vcc
	v_cmp_eq_u32_e32 vcc, 1, v7
	v_cndmask_b32_e32 v9, v1, v9, vcc
	v_cndmask_b32_e32 v3, v5, v3, vcc
	v_cndmask_b32_e32 v2, v4, v2, vcc
	v_and_b32_e32 v7, 0xff, v9
.LBB2100_76:
	s_or_b64 exec, exec, s[2:3]
	v_cmp_gt_u32_e32 vcc, 48, v8
	s_waitcnt lgkmcnt(2)
	v_cndmask_b32_e64 v1, 0, 1, vcc
	v_lshlrev_b32_e32 v1, 4, v1
	s_waitcnt lgkmcnt(0)
	v_add_lshl_u32 v5, v1, v6, 2
	ds_bpermute_b32 v1, v5, v7
	ds_bpermute_b32 v4, v5, v2
	ds_bpermute_b32 v5, v5, v3
	v_add_u32_e32 v11, 16, v8
	v_cmp_lt_u32_e32 vcc, v11, v10
	s_and_saveexec_b64 s[2:3], vcc
	s_cbranch_execz .LBB2100_78
; %bb.77:
	s_waitcnt lgkmcnt(2)
	v_and_b32_e32 v11, 1, v1
	s_waitcnt lgkmcnt(0)
	v_cmp_lt_i64_e32 vcc, v[4:5], v[2:3]
	v_cmp_eq_u32_e64 s[0:1], 1, v11
	v_and_b32_e32 v7, 1, v9
	s_and_b64 vcc, s[0:1], vcc
	v_cndmask_b32_e64 v9, v9, 1, s[0:1]
	v_cndmask_b32_e32 v2, v2, v4, vcc
	v_cndmask_b32_e32 v3, v3, v5, vcc
	v_cmp_eq_u32_e32 vcc, 1, v7
	v_cndmask_b32_e32 v9, v1, v9, vcc
	v_cndmask_b32_e32 v3, v5, v3, vcc
	v_cndmask_b32_e32 v2, v4, v2, vcc
	v_and_b32_e32 v7, 0xff, v9
.LBB2100_78:
	s_or_b64 exec, exec, s[2:3]
	v_cmp_gt_u32_e32 vcc, 32, v8
	s_waitcnt lgkmcnt(2)
	v_cndmask_b32_e64 v1, 0, 1, vcc
	v_lshlrev_b32_e32 v1, 5, v1
	s_waitcnt lgkmcnt(0)
	v_add_lshl_u32 v5, v1, v6, 2
	ds_bpermute_b32 v1, v5, v7
	ds_bpermute_b32 v4, v5, v2
	;; [unrolled: 1-line block ×3, first 2 shown]
	v_add_u32_e32 v8, 32, v8
	v_cmp_lt_u32_e32 vcc, v8, v10
	s_and_saveexec_b64 s[2:3], vcc
	s_cbranch_execz .LBB2100_80
; %bb.79:
	s_waitcnt lgkmcnt(2)
	v_and_b32_e32 v8, 1, v1
	s_waitcnt lgkmcnt(0)
	v_cmp_lt_i64_e32 vcc, v[4:5], v[2:3]
	v_cmp_eq_u32_e64 s[0:1], 1, v8
	v_and_b32_e32 v7, 1, v9
	s_and_b64 vcc, s[0:1], vcc
	v_cndmask_b32_e64 v8, v9, 1, s[0:1]
	v_cndmask_b32_e32 v2, v2, v4, vcc
	v_cndmask_b32_e32 v3, v3, v5, vcc
	v_cmp_eq_u32_e32 vcc, 1, v7
	v_cndmask_b32_e32 v9, v1, v8, vcc
	v_cndmask_b32_e32 v3, v5, v3, vcc
	;; [unrolled: 1-line block ×3, first 2 shown]
	v_and_b32_e32 v7, 0xff, v9
.LBB2100_80:
	s_or_b64 exec, exec, s[2:3]
	v_cmp_eq_u32_e32 vcc, 0, v6
	s_and_saveexec_b64 s[0:1], vcc
	s_cbranch_execz .LBB2100_82
; %bb.81:
	s_waitcnt lgkmcnt(2)
	v_lshrrev_b32_e32 v1, 2, v0
	v_and_b32_e32 v1, 48, v1
	ds_write_b8 v1, v9 offset:256
	ds_write_b64 v1, v[2:3] offset:264
.LBB2100_82:
	s_or_b64 exec, exec, s[0:1]
	v_cmp_gt_u32_e32 vcc, 4, v0
	s_waitcnt lgkmcnt(0)
	s_barrier
	s_and_saveexec_b64 s[2:3], vcc
	s_cbranch_execz .LBB2100_88
; %bb.83:
	v_lshlrev_b32_e32 v2, 4, v6
	ds_read_u8 v1, v2 offset:256
	ds_read_b64 v[2:3], v2 offset:264
	v_and_b32_e32 v8, 3, v6
	v_cmp_ne_u32_e32 vcc, 3, v8
	v_addc_co_u32_e32 v4, vcc, 0, v6, vcc
	s_waitcnt lgkmcnt(1)
	v_and_b32_e32 v7, 0xff, v1
	v_lshlrev_b32_e32 v5, 2, v4
	ds_bpermute_b32 v9, v5, v7
	s_waitcnt lgkmcnt(1)
	ds_bpermute_b32 v4, v5, v2
	ds_bpermute_b32 v5, v5, v3
	s_add_i32 s8, s8, 63
	s_lshr_b32 s10, s8, 6
	v_add_u32_e32 v10, 1, v8
	v_cmp_gt_u32_e32 vcc, s10, v10
	s_and_saveexec_b64 s[8:9], vcc
	s_cbranch_execz .LBB2100_85
; %bb.84:
	s_waitcnt lgkmcnt(2)
	v_and_b32_e32 v10, 1, v9
	s_waitcnt lgkmcnt(0)
	v_cmp_lt_i64_e32 vcc, v[4:5], v[2:3]
	v_cmp_eq_u32_e64 s[0:1], 1, v10
	v_and_b32_e32 v7, 1, v1
	s_and_b64 vcc, s[0:1], vcc
	v_cndmask_b32_e64 v1, v1, 1, s[0:1]
	v_cndmask_b32_e32 v2, v2, v4, vcc
	v_cndmask_b32_e32 v3, v3, v5, vcc
	v_cmp_eq_u32_e32 vcc, 1, v7
	v_cndmask_b32_e32 v1, v9, v1, vcc
	v_cndmask_b32_e32 v3, v5, v3, vcc
	;; [unrolled: 1-line block ×3, first 2 shown]
	v_and_b32_e32 v7, 0xff, v1
.LBB2100_85:
	s_or_b64 exec, exec, s[8:9]
	v_cmp_gt_u32_e32 vcc, 2, v8
	s_waitcnt lgkmcnt(1)
	v_cndmask_b32_e64 v4, 0, 1, vcc
	v_lshlrev_b32_e32 v4, 1, v4
	s_waitcnt lgkmcnt(0)
	v_add_lshl_u32 v5, v4, v6, 2
	ds_bpermute_b32 v6, v5, v7
	ds_bpermute_b32 v4, v5, v2
	;; [unrolled: 1-line block ×3, first 2 shown]
	v_add_u32_e32 v8, 2, v8
	v_cmp_gt_u32_e32 vcc, s10, v8
	s_and_saveexec_b64 s[8:9], vcc
	s_cbranch_execz .LBB2100_87
; %bb.86:
	s_waitcnt lgkmcnt(2)
	v_and_b32_e32 v8, 1, v6
	s_waitcnt lgkmcnt(0)
	v_cmp_lt_i64_e32 vcc, v[4:5], v[2:3]
	v_cmp_eq_u32_e64 s[0:1], 1, v8
	v_and_b32_e32 v7, 1, v1
	s_and_b64 vcc, s[0:1], vcc
	v_cndmask_b32_e64 v1, v1, 1, s[0:1]
	v_cndmask_b32_e32 v2, v2, v4, vcc
	v_cndmask_b32_e32 v3, v3, v5, vcc
	v_cmp_eq_u32_e32 vcc, 1, v7
	v_cndmask_b32_e32 v1, v6, v1, vcc
	v_cndmask_b32_e32 v3, v5, v3, vcc
	;; [unrolled: 1-line block ×3, first 2 shown]
	v_and_b32_e32 v7, 0xff, v1
.LBB2100_87:
	s_or_b64 exec, exec, s[8:9]
.LBB2100_88:
	s_or_b64 exec, exec, s[2:3]
.LBB2100_89:
	v_cmp_eq_u32_e32 vcc, 0, v0
	s_mov_b64 s[10:11], 0
                                        ; implicit-def: $vgpr4_vgpr5
                                        ; implicit-def: $vgpr1
	s_and_saveexec_b64 s[0:1], vcc
	s_xor_b64 s[8:9], exec, s[0:1]
	s_cbranch_execz .LBB2100_93
; %bb.90:
	s_cmp_eq_u64 s[22:23], 0
	s_waitcnt lgkmcnt(0)
	v_pk_mov_b32 v[4:5], s[18:19], s[18:19] op_sel:[0,1]
	v_mov_b32_e32 v1, s33
	s_cbranch_scc1 .LBB2100_92
; %bb.91:
	v_and_b32_e32 v1, 1, v7
	s_bitcmp1_b32 s33, 0
	v_mov_b32_e32 v4, s33
	v_cmp_eq_u32_e32 vcc, 1, v1
	v_cmp_gt_i64_e64 s[2:3], s[18:19], v[2:3]
	v_cndmask_b32_e64 v1, v4, 1, vcc
	s_cselect_b64 s[0:1], -1, 0
	v_mov_b32_e32 v4, s18
	s_and_b64 vcc, vcc, s[2:3]
	v_mov_b32_e32 v5, s19
	v_cndmask_b32_e32 v4, v4, v2, vcc
	v_cndmask_b32_e32 v5, v5, v3, vcc
	v_cndmask_b32_e64 v1, v7, v1, s[0:1]
	v_cndmask_b32_e64 v5, v3, v5, s[0:1]
	v_cndmask_b32_e64 v4, v2, v4, s[0:1]
.LBB2100_92:
	s_mov_b64 s[10:11], exec
.LBB2100_93:
	s_or_b64 exec, exec, s[8:9]
	s_and_b64 vcc, exec, s[26:27]
	s_cbranch_vccnz .LBB2100_24
.LBB2100_94:
	s_branch .LBB2100_208
.LBB2100_95:
                                        ; implicit-def: $vgpr2_vgpr3
                                        ; implicit-def: $vgpr6
	s_cbranch_execz .LBB2100_128
; %bb.96:
	s_sub_i32 s26, s22, s14
	s_waitcnt lgkmcnt(2)
	v_pk_mov_b32 v[6:7], 0, 0
	s_lshl_b32 s27, s34, 16
	v_cmp_gt_u32_e32 vcc, s26, v0
	v_mov_b32_e32 v11, 0
	v_pk_mov_b32 v[2:3], v[6:7], v[6:7] op_sel:[0,1]
	v_mov_b32_e32 v10, 0
	s_and_saveexec_b64 s[0:1], vcc
	s_cbranch_execz .LBB2100_98
; %bb.97:
	v_lshlrev_b32_e32 v1, 1, v0
	global_load_ushort v1, v1, s[12:13]
	v_mov_b32_e32 v3, s17
	v_add_co_u32_e32 v2, vcc, s16, v0
	v_addc_co_u32_e32 v3, vcc, 0, v3, vcc
	s_waitcnt vmcnt(0)
	v_lshlrev_b32_e32 v1, 16, v1
	v_cmp_eq_f32_e32 vcc, s27, v1
	v_cndmask_b32_e64 v10, 0, 1, vcc
.LBB2100_98:
	s_or_b64 exec, exec, s[0:1]
	v_or_b32_e32 v1, 0x100, v0
	v_cmp_gt_u32_e64 s[2:3], s26, v1
	s_and_saveexec_b64 s[0:1], s[2:3]
	s_cbranch_execz .LBB2100_100
; %bb.99:
	s_waitcnt lgkmcnt(1)
	v_lshlrev_b32_e32 v4, 1, v0
	global_load_ushort v4, v4, s[12:13] offset:512
	s_waitcnt lgkmcnt(0)
	v_mov_b32_e32 v5, s17
	v_add_co_u32_e32 v6, vcc, s16, v1
	v_addc_co_u32_e32 v7, vcc, 0, v5, vcc
	s_waitcnt vmcnt(0)
	v_lshlrev_b32_e32 v1, 16, v4
	v_cmp_eq_f32_e32 vcc, s27, v1
	v_cndmask_b32_e64 v11, 0, 1, vcc
.LBB2100_100:
	s_or_b64 exec, exec, s[0:1]
	v_or_b32_e32 v13, 0x200, v0
	s_waitcnt lgkmcnt(0)
	v_pk_mov_b32 v[4:5], 0, 0
	v_cmp_gt_u32_e32 vcc, s26, v13
	v_mov_b32_e32 v1, 0
	v_pk_mov_b32 v[8:9], v[4:5], v[4:5] op_sel:[0,1]
	v_mov_b32_e32 v12, 0
	s_and_saveexec_b64 s[8:9], vcc
	s_cbranch_execz .LBB2100_102
; %bb.101:
	v_lshlrev_b32_e32 v8, 1, v0
	global_load_ushort v12, v8, s[12:13] offset:1024
	v_mov_b32_e32 v9, s17
	v_add_co_u32_e64 v8, s[0:1], s16, v13
	v_addc_co_u32_e64 v9, s[0:1], 0, v9, s[0:1]
	s_waitcnt vmcnt(0)
	v_lshlrev_b32_e32 v12, 16, v12
	v_cmp_eq_f32_e64 s[0:1], s27, v12
	v_cndmask_b32_e64 v12, 0, 1, s[0:1]
.LBB2100_102:
	s_or_b64 exec, exec, s[8:9]
	v_or_b32_e32 v13, 0x300, v0
	v_cmp_gt_u32_e64 s[0:1], s26, v13
	s_and_saveexec_b64 s[14:15], s[0:1]
	s_cbranch_execnz .LBB2100_247
; %bb.103:
	s_or_b64 exec, exec, s[14:15]
	s_and_saveexec_b64 s[12:13], s[2:3]
	s_cbranch_execnz .LBB2100_248
.LBB2100_104:
	s_or_b64 exec, exec, s[12:13]
	s_and_saveexec_b64 s[8:9], vcc
	s_cbranch_execnz .LBB2100_249
.LBB2100_105:
	s_or_b64 exec, exec, s[8:9]
	s_and_saveexec_b64 s[2:3], s[0:1]
	s_cbranch_execz .LBB2100_107
.LBB2100_106:
	v_and_b32_e32 v7, 1, v1
	v_cmp_lt_i64_e32 vcc, v[4:5], v[2:3]
	v_cmp_eq_u32_e64 s[0:1], 1, v7
	v_and_b32_e32 v6, 1, v10
	s_and_b64 vcc, s[0:1], vcc
	v_cndmask_b32_e64 v7, v10, 1, s[0:1]
	v_cndmask_b32_e32 v2, v2, v4, vcc
	v_cndmask_b32_e32 v3, v3, v5, vcc
	v_cmp_eq_u32_e32 vcc, 1, v6
	v_cndmask_b32_e32 v10, v1, v7, vcc
	v_cndmask_b32_e32 v3, v5, v3, vcc
	;; [unrolled: 1-line block ×3, first 2 shown]
.LBB2100_107:
	s_or_b64 exec, exec, s[2:3]
	v_mbcnt_lo_u32_b32 v1, -1, 0
	v_mbcnt_hi_u32_b32 v1, -1, v1
	v_and_b32_e32 v7, 63, v1
	v_cmp_ne_u32_e32 vcc, 63, v7
	v_addc_co_u32_e32 v4, vcc, 0, v1, vcc
	v_and_b32_e32 v6, 0xffff, v10
	v_lshlrev_b32_e32 v5, 2, v4
	ds_bpermute_b32 v11, v5, v6
	ds_bpermute_b32 v4, v5, v2
	;; [unrolled: 1-line block ×3, first 2 shown]
	s_min_u32 s8, s26, 0x100
	v_and_b32_e32 v8, 0xc0, v0
	v_sub_u32_e64 v9, s8, v8 clamp
	v_add_u32_e32 v8, 1, v7
	v_cmp_lt_u32_e32 vcc, v8, v9
	v_mov_b32_e32 v8, v6
	s_and_saveexec_b64 s[0:1], vcc
	s_xor_b64 s[2:3], exec, s[0:1]
	s_cbranch_execz .LBB2100_109
; %bb.108:
	v_and_b32_e32 v8, 1, v10
	s_waitcnt lgkmcnt(2)
	v_and_b32_e32 v10, 1, v11
	s_waitcnt lgkmcnt(0)
	v_cmp_lt_i64_e32 vcc, v[4:5], v[2:3]
	v_cmp_eq_u32_e64 s[0:1], 1, v10
	s_and_b64 vcc, s[0:1], vcc
	v_cndmask_b32_e64 v6, v6, 1, s[0:1]
	v_cndmask_b32_e32 v2, v2, v4, vcc
	v_cndmask_b32_e32 v3, v3, v5, vcc
	v_cmp_eq_u32_e32 vcc, 1, v8
	v_cndmask_b32_e32 v8, v11, v6, vcc
	v_cndmask_b32_e32 v3, v5, v3, vcc
	;; [unrolled: 1-line block ×3, first 2 shown]
	v_and_b32_e32 v6, 0xff, v8
.LBB2100_109:
	s_or_b64 exec, exec, s[2:3]
	v_cmp_gt_u32_e32 vcc, 62, v7
	s_waitcnt lgkmcnt(1)
	v_cndmask_b32_e64 v4, 0, 1, vcc
	v_lshlrev_b32_e32 v4, 1, v4
	s_waitcnt lgkmcnt(0)
	v_add_lshl_u32 v5, v4, v1, 2
	ds_bpermute_b32 v10, v5, v6
	ds_bpermute_b32 v4, v5, v2
	ds_bpermute_b32 v5, v5, v3
	v_add_u32_e32 v11, 2, v7
	v_cmp_lt_u32_e32 vcc, v11, v9
	s_and_saveexec_b64 s[2:3], vcc
	s_cbranch_execz .LBB2100_111
; %bb.110:
	s_waitcnt lgkmcnt(2)
	v_and_b32_e32 v11, 1, v10
	s_waitcnt lgkmcnt(0)
	v_cmp_lt_i64_e32 vcc, v[4:5], v[2:3]
	v_cmp_eq_u32_e64 s[0:1], 1, v11
	v_and_b32_e32 v6, 1, v8
	s_and_b64 vcc, s[0:1], vcc
	v_cndmask_b32_e64 v8, v8, 1, s[0:1]
	v_cndmask_b32_e32 v2, v2, v4, vcc
	v_cndmask_b32_e32 v3, v3, v5, vcc
	v_cmp_eq_u32_e32 vcc, 1, v6
	v_cndmask_b32_e32 v8, v10, v8, vcc
	v_cndmask_b32_e32 v3, v5, v3, vcc
	v_cndmask_b32_e32 v2, v4, v2, vcc
	v_and_b32_e32 v6, 0xff, v8
.LBB2100_111:
	s_or_b64 exec, exec, s[2:3]
	v_cmp_gt_u32_e32 vcc, 60, v7
	s_waitcnt lgkmcnt(1)
	v_cndmask_b32_e64 v4, 0, 1, vcc
	v_lshlrev_b32_e32 v4, 2, v4
	s_waitcnt lgkmcnt(0)
	v_add_lshl_u32 v5, v4, v1, 2
	ds_bpermute_b32 v10, v5, v6
	ds_bpermute_b32 v4, v5, v2
	ds_bpermute_b32 v5, v5, v3
	v_add_u32_e32 v11, 4, v7
	v_cmp_lt_u32_e32 vcc, v11, v9
	s_and_saveexec_b64 s[2:3], vcc
	s_cbranch_execz .LBB2100_113
; %bb.112:
	s_waitcnt lgkmcnt(2)
	v_and_b32_e32 v11, 1, v10
	s_waitcnt lgkmcnt(0)
	v_cmp_lt_i64_e32 vcc, v[4:5], v[2:3]
	v_cmp_eq_u32_e64 s[0:1], 1, v11
	v_and_b32_e32 v6, 1, v8
	s_and_b64 vcc, s[0:1], vcc
	v_cndmask_b32_e64 v8, v8, 1, s[0:1]
	v_cndmask_b32_e32 v2, v2, v4, vcc
	v_cndmask_b32_e32 v3, v3, v5, vcc
	v_cmp_eq_u32_e32 vcc, 1, v6
	v_cndmask_b32_e32 v8, v10, v8, vcc
	v_cndmask_b32_e32 v3, v5, v3, vcc
	v_cndmask_b32_e32 v2, v4, v2, vcc
	v_and_b32_e32 v6, 0xff, v8
.LBB2100_113:
	;; [unrolled: 31-line block ×5, first 2 shown]
	s_or_b64 exec, exec, s[2:3]
	v_cmp_eq_u32_e32 vcc, 0, v1
	s_and_saveexec_b64 s[0:1], vcc
	s_cbranch_execz .LBB2100_121
; %bb.120:
	s_waitcnt lgkmcnt(1)
	v_lshrrev_b32_e32 v4, 2, v0
	v_and_b32_e32 v4, 48, v4
	ds_write_b8 v4, v8 offset:256
	ds_write_b64 v4, v[2:3] offset:264
.LBB2100_121:
	s_or_b64 exec, exec, s[0:1]
	v_cmp_gt_u32_e32 vcc, 4, v0
	s_waitcnt lgkmcnt(0)
	s_barrier
	s_and_saveexec_b64 s[2:3], vcc
	s_cbranch_execz .LBB2100_127
; %bb.122:
	v_lshlrev_b32_e32 v2, 4, v1
	ds_read_u8 v7, v2 offset:256
	ds_read_b64 v[2:3], v2 offset:264
	v_and_b32_e32 v8, 3, v1
	v_cmp_ne_u32_e32 vcc, 3, v8
	v_addc_co_u32_e32 v4, vcc, 0, v1, vcc
	s_waitcnt lgkmcnt(1)
	v_and_b32_e32 v6, 0xff, v7
	v_lshlrev_b32_e32 v5, 2, v4
	ds_bpermute_b32 v9, v5, v6
	s_waitcnt lgkmcnt(1)
	ds_bpermute_b32 v4, v5, v2
	ds_bpermute_b32 v5, v5, v3
	s_add_i32 s8, s8, 63
	s_lshr_b32 s12, s8, 6
	v_add_u32_e32 v10, 1, v8
	v_cmp_gt_u32_e32 vcc, s12, v10
	s_and_saveexec_b64 s[8:9], vcc
	s_cbranch_execz .LBB2100_124
; %bb.123:
	s_waitcnt lgkmcnt(2)
	v_and_b32_e32 v10, 1, v9
	s_waitcnt lgkmcnt(0)
	v_cmp_lt_i64_e32 vcc, v[4:5], v[2:3]
	v_cmp_eq_u32_e64 s[0:1], 1, v10
	v_and_b32_e32 v6, 1, v7
	s_and_b64 vcc, s[0:1], vcc
	v_cndmask_b32_e64 v7, v7, 1, s[0:1]
	v_cndmask_b32_e32 v2, v2, v4, vcc
	v_cndmask_b32_e32 v3, v3, v5, vcc
	v_cmp_eq_u32_e32 vcc, 1, v6
	v_cndmask_b32_e32 v7, v9, v7, vcc
	v_cndmask_b32_e32 v3, v5, v3, vcc
	;; [unrolled: 1-line block ×3, first 2 shown]
	v_and_b32_e32 v6, 0xff, v7
.LBB2100_124:
	s_or_b64 exec, exec, s[8:9]
	v_cmp_gt_u32_e32 vcc, 2, v8
	s_waitcnt lgkmcnt(1)
	v_cndmask_b32_e64 v4, 0, 1, vcc
	v_lshlrev_b32_e32 v4, 1, v4
	s_waitcnt lgkmcnt(0)
	v_add_lshl_u32 v5, v4, v1, 2
	ds_bpermute_b32 v1, v5, v6
	ds_bpermute_b32 v4, v5, v2
	;; [unrolled: 1-line block ×3, first 2 shown]
	v_add_u32_e32 v8, 2, v8
	v_cmp_gt_u32_e32 vcc, s12, v8
	s_and_saveexec_b64 s[8:9], vcc
	s_cbranch_execz .LBB2100_126
; %bb.125:
	s_waitcnt lgkmcnt(2)
	v_and_b32_e32 v8, 1, v1
	s_waitcnt lgkmcnt(0)
	v_cmp_lt_i64_e32 vcc, v[4:5], v[2:3]
	v_cmp_eq_u32_e64 s[0:1], 1, v8
	v_and_b32_e32 v6, 1, v7
	s_and_b64 vcc, s[0:1], vcc
	v_cndmask_b32_e64 v7, v7, 1, s[0:1]
	v_cndmask_b32_e32 v2, v2, v4, vcc
	v_cndmask_b32_e32 v3, v3, v5, vcc
	v_cmp_eq_u32_e32 vcc, 1, v6
	v_cndmask_b32_e32 v1, v1, v7, vcc
	v_cndmask_b32_e32 v3, v5, v3, vcc
	v_cndmask_b32_e32 v2, v4, v2, vcc
	v_and_b32_e32 v6, 0xff, v1
.LBB2100_126:
	s_or_b64 exec, exec, s[8:9]
.LBB2100_127:
	s_or_b64 exec, exec, s[2:3]
.LBB2100_128:
	v_cmp_eq_u32_e32 vcc, 0, v0
                                        ; implicit-def: $vgpr4_vgpr5
                                        ; implicit-def: $vgpr1
	s_and_saveexec_b64 s[0:1], vcc
	s_xor_b64 s[8:9], exec, s[0:1]
	s_cbranch_execz .LBB2100_132
; %bb.129:
	s_cmp_eq_u64 s[22:23], 0
	s_waitcnt lgkmcnt(0)
	v_pk_mov_b32 v[4:5], s[18:19], s[18:19] op_sel:[0,1]
	v_mov_b32_e32 v1, s33
	s_cbranch_scc1 .LBB2100_131
; %bb.130:
	v_and_b32_e32 v1, 1, v6
	s_bitcmp1_b32 s33, 0
	v_mov_b32_e32 v4, s33
	v_cmp_eq_u32_e32 vcc, 1, v1
	v_cmp_gt_i64_e64 s[2:3], s[18:19], v[2:3]
	v_cndmask_b32_e64 v1, v4, 1, vcc
	s_cselect_b64 s[0:1], -1, 0
	v_mov_b32_e32 v4, s18
	s_and_b64 vcc, vcc, s[2:3]
	v_mov_b32_e32 v5, s19
	v_cndmask_b32_e32 v4, v4, v2, vcc
	v_cndmask_b32_e32 v5, v5, v3, vcc
	v_cndmask_b32_e64 v1, v6, v1, s[0:1]
	v_cndmask_b32_e64 v5, v3, v5, s[0:1]
	v_cndmask_b32_e64 v4, v2, v4, s[0:1]
.LBB2100_131:
	s_or_b64 s[10:11], s[10:11], exec
.LBB2100_132:
	s_or_b64 exec, exec, s[8:9]
	s_branch .LBB2100_208
.LBB2100_133:
	s_cmp_gt_i32 s35, 1
	s_cbranch_scc0 .LBB2100_153
; %bb.134:
	s_cmp_eq_u32 s35, 2
	s_cbranch_scc0 .LBB2100_154
; %bb.135:
	s_mov_b32 s7, 0
	s_lshl_b32 s8, s6, 9
	s_mov_b32 s9, s7
	s_lshr_b64 s[0:1], s[22:23], 9
	s_lshl_b64 s[2:3], s[8:9], 1
	s_add_u32 s2, s24, s2
	s_addc_u32 s3, s25, s3
	s_add_u32 s14, s20, s8
	s_addc_u32 s15, s21, 0
	s_cmp_lg_u64 s[0:1], s[6:7]
	s_cbranch_scc0 .LBB2100_155
; %bb.136:
	s_waitcnt lgkmcnt(2)
	v_lshlrev_b32_e32 v1, 1, v0
	global_load_ushort v2, v1, s[2:3]
	global_load_ushort v3, v1, s[2:3] offset:512
	v_mov_b32_e32 v1, s15
	s_waitcnt lgkmcnt(1)
	v_add_co_u32_e32 v4, vcc, s14, v0
	v_addc_co_u32_e32 v1, vcc, 0, v1, vcc
	s_waitcnt lgkmcnt(0)
	v_add_co_u32_e32 v5, vcc, 0x100, v4
	s_lshl_b32 s0, s34, 16
	v_addc_co_u32_e32 v6, vcc, 0, v1, vcc
	s_waitcnt vmcnt(1)
	v_lshlrev_b32_e32 v2, 16, v2
	s_waitcnt vmcnt(0)
	v_lshlrev_b32_e32 v3, 16, v3
	v_cmp_eq_f32_e32 vcc, s0, v3
	v_cmp_eq_f32_e64 s[0:1], s0, v2
	v_cndmask_b32_e64 v3, v6, v1, s[0:1]
	v_cndmask_b32_e64 v2, v5, v4, s[0:1]
	s_or_b64 s[0:1], s[0:1], vcc
	v_cndmask_b32_e64 v1, 0, 1, s[0:1]
	v_mov_b32_dpp v4, v2 quad_perm:[1,0,3,2] row_mask:0xf bank_mask:0xf bound_ctrl:1
	v_mov_b32_dpp v5, v3 quad_perm:[1,0,3,2] row_mask:0xf bank_mask:0xf bound_ctrl:1
	v_mov_b32_dpp v6, v1 quad_perm:[1,0,3,2] row_mask:0xf bank_mask:0xf bound_ctrl:1
	v_and_b32_e32 v7, 1, v6
	v_cmp_eq_u32_e32 vcc, 1, v7
	s_and_saveexec_b64 s[12:13], vcc
; %bb.137:
	v_cmp_lt_i64_e32 vcc, v[2:3], v[4:5]
	v_cndmask_b32_e64 v6, v6, 1, s[0:1]
	s_and_b64 vcc, s[0:1], vcc
	v_cndmask_b32_e32 v2, v4, v2, vcc
	v_and_b32_e32 v4, 1, v6
	v_cndmask_b32_e32 v3, v5, v3, vcc
	v_cmp_eq_u32_e32 vcc, 1, v4
	s_andn2_b64 s[0:1], s[0:1], exec
	s_and_b64 s[16:17], vcc, exec
	v_and_b32_e32 v1, 0xff, v6
	s_or_b64 s[0:1], s[0:1], s[16:17]
; %bb.138:
	s_or_b64 exec, exec, s[12:13]
	v_mov_b32_dpp v6, v1 quad_perm:[2,3,0,1] row_mask:0xf bank_mask:0xf bound_ctrl:1
	v_and_b32_e32 v7, 1, v6
	v_mov_b32_dpp v4, v2 quad_perm:[2,3,0,1] row_mask:0xf bank_mask:0xf bound_ctrl:1
	v_mov_b32_dpp v5, v3 quad_perm:[2,3,0,1] row_mask:0xf bank_mask:0xf bound_ctrl:1
	v_cmp_eq_u32_e32 vcc, 1, v7
	s_and_saveexec_b64 s[12:13], vcc
; %bb.139:
	v_cmp_lt_i64_e32 vcc, v[2:3], v[4:5]
	v_cndmask_b32_e64 v6, v6, 1, s[0:1]
	s_and_b64 vcc, s[0:1], vcc
	v_cndmask_b32_e32 v2, v4, v2, vcc
	v_and_b32_e32 v4, 1, v6
	v_cndmask_b32_e32 v3, v5, v3, vcc
	v_cmp_eq_u32_e32 vcc, 1, v4
	s_andn2_b64 s[0:1], s[0:1], exec
	s_and_b64 s[16:17], vcc, exec
	v_and_b32_e32 v1, 0xff, v6
	s_or_b64 s[0:1], s[0:1], s[16:17]
; %bb.140:
	s_or_b64 exec, exec, s[12:13]
	v_mov_b32_dpp v6, v1 row_ror:4 row_mask:0xf bank_mask:0xf bound_ctrl:1
	v_and_b32_e32 v7, 1, v6
	v_mov_b32_dpp v4, v2 row_ror:4 row_mask:0xf bank_mask:0xf bound_ctrl:1
	v_mov_b32_dpp v5, v3 row_ror:4 row_mask:0xf bank_mask:0xf bound_ctrl:1
	v_cmp_eq_u32_e32 vcc, 1, v7
	s_and_saveexec_b64 s[12:13], vcc
; %bb.141:
	v_cmp_lt_i64_e32 vcc, v[2:3], v[4:5]
	v_cndmask_b32_e64 v6, v6, 1, s[0:1]
	s_and_b64 vcc, s[0:1], vcc
	v_cndmask_b32_e32 v2, v4, v2, vcc
	v_and_b32_e32 v4, 1, v6
	v_cndmask_b32_e32 v3, v5, v3, vcc
	v_cmp_eq_u32_e32 vcc, 1, v4
	s_andn2_b64 s[0:1], s[0:1], exec
	s_and_b64 s[16:17], vcc, exec
	v_and_b32_e32 v1, 0xff, v6
	s_or_b64 s[0:1], s[0:1], s[16:17]
; %bb.142:
	s_or_b64 exec, exec, s[12:13]
	v_mov_b32_dpp v6, v1 row_ror:8 row_mask:0xf bank_mask:0xf bound_ctrl:1
	v_and_b32_e32 v7, 1, v6
	v_mov_b32_dpp v4, v2 row_ror:8 row_mask:0xf bank_mask:0xf bound_ctrl:1
	v_mov_b32_dpp v5, v3 row_ror:8 row_mask:0xf bank_mask:0xf bound_ctrl:1
	v_cmp_eq_u32_e32 vcc, 1, v7
	s_and_saveexec_b64 s[12:13], vcc
; %bb.143:
	v_cmp_lt_i64_e32 vcc, v[2:3], v[4:5]
	v_cndmask_b32_e64 v6, v6, 1, s[0:1]
	s_and_b64 vcc, s[0:1], vcc
	v_cndmask_b32_e32 v2, v4, v2, vcc
	v_and_b32_e32 v4, 1, v6
	v_cndmask_b32_e32 v3, v5, v3, vcc
	v_cmp_eq_u32_e32 vcc, 1, v4
	s_andn2_b64 s[0:1], s[0:1], exec
	s_and_b64 s[16:17], vcc, exec
	v_and_b32_e32 v1, 0xff, v6
	s_or_b64 s[0:1], s[0:1], s[16:17]
; %bb.144:
	s_or_b64 exec, exec, s[12:13]
	v_mov_b32_dpp v6, v1 row_bcast:15 row_mask:0xf bank_mask:0xf bound_ctrl:1
	v_and_b32_e32 v7, 1, v6
	v_mov_b32_dpp v4, v2 row_bcast:15 row_mask:0xf bank_mask:0xf bound_ctrl:1
	v_mov_b32_dpp v5, v3 row_bcast:15 row_mask:0xf bank_mask:0xf bound_ctrl:1
	v_cmp_eq_u32_e32 vcc, 1, v7
	s_and_saveexec_b64 s[12:13], vcc
; %bb.145:
	v_cmp_lt_i64_e32 vcc, v[2:3], v[4:5]
	v_cndmask_b32_e64 v6, v6, 1, s[0:1]
	s_and_b64 vcc, s[0:1], vcc
	v_cndmask_b32_e32 v2, v4, v2, vcc
	v_and_b32_e32 v4, 1, v6
	v_cndmask_b32_e32 v3, v5, v3, vcc
	v_cmp_eq_u32_e32 vcc, 1, v4
	s_andn2_b64 s[0:1], s[0:1], exec
	s_and_b64 s[16:17], vcc, exec
	v_and_b32_e32 v1, 0xff, v6
	s_or_b64 s[0:1], s[0:1], s[16:17]
; %bb.146:
	s_or_b64 exec, exec, s[12:13]
	v_mov_b32_dpp v6, v1 row_bcast:31 row_mask:0xf bank_mask:0xf bound_ctrl:1
	v_and_b32_e32 v7, 1, v6
	v_mov_b32_dpp v4, v2 row_bcast:31 row_mask:0xf bank_mask:0xf bound_ctrl:1
	v_mov_b32_dpp v5, v3 row_bcast:31 row_mask:0xf bank_mask:0xf bound_ctrl:1
	v_cmp_eq_u32_e32 vcc, 1, v7
	s_and_saveexec_b64 s[12:13], vcc
; %bb.147:
	v_cmp_lt_i64_e32 vcc, v[2:3], v[4:5]
	v_and_b32_e32 v1, 0xff, v6
	s_and_b64 vcc, s[0:1], vcc
	v_cndmask_b32_e32 v2, v4, v2, vcc
	v_cndmask_b32_e32 v3, v5, v3, vcc
	v_cndmask_b32_e64 v1, v1, 1, s[0:1]
; %bb.148:
	s_or_b64 exec, exec, s[12:13]
	v_mbcnt_lo_u32_b32 v4, -1, 0
	v_mbcnt_hi_u32_b32 v4, -1, v4
	v_bfrev_b32_e32 v5, 0.5
	v_lshl_or_b32 v5, v4, 2, v5
	ds_bpermute_b32 v6, v5, v1
	ds_bpermute_b32 v2, v5, v2
	;; [unrolled: 1-line block ×3, first 2 shown]
	v_cmp_eq_u32_e32 vcc, 0, v4
	s_and_saveexec_b64 s[0:1], vcc
	s_cbranch_execz .LBB2100_150
; %bb.149:
	v_lshrrev_b32_e32 v1, 2, v0
	v_and_b32_e32 v1, 48, v1
	s_waitcnt lgkmcnt(2)
	ds_write_b8 v1, v6 offset:64
	s_waitcnt lgkmcnt(1)
	ds_write_b64 v1, v[2:3] offset:72
.LBB2100_150:
	s_or_b64 exec, exec, s[0:1]
	v_cmp_gt_u32_e32 vcc, 64, v0
	s_waitcnt lgkmcnt(0)
	s_barrier
	s_and_saveexec_b64 s[12:13], vcc
	s_cbranch_execz .LBB2100_152
; %bb.151:
	v_and_b32_e32 v1, 3, v4
	v_lshlrev_b32_e32 v2, 4, v1
	ds_read_u8 v5, v2 offset:64
	ds_read_b64 v[2:3], v2 offset:72
	v_cmp_ne_u32_e32 vcc, 3, v1
	v_addc_co_u32_e32 v6, vcc, 0, v4, vcc
	s_waitcnt lgkmcnt(1)
	v_and_b32_e32 v7, 0xff, v5
	v_lshlrev_b32_e32 v8, 2, v6
	ds_bpermute_b32 v9, v8, v7
	s_waitcnt lgkmcnt(1)
	ds_bpermute_b32 v6, v8, v2
	ds_bpermute_b32 v7, v8, v3
	v_and_b32_e32 v8, 1, v5
	s_waitcnt lgkmcnt(2)
	v_and_b32_e32 v10, 1, v9
	v_cmp_eq_u32_e64 s[0:1], 1, v10
	s_waitcnt lgkmcnt(0)
	v_cmp_lt_i64_e32 vcc, v[6:7], v[2:3]
	s_and_b64 vcc, s[0:1], vcc
	v_cndmask_b32_e64 v5, v5, 1, s[0:1]
	v_cndmask_b32_e32 v2, v2, v6, vcc
	v_cndmask_b32_e32 v3, v3, v7, vcc
	v_cmp_eq_u32_e32 vcc, 1, v8
	v_cndmask_b32_e32 v8, v9, v5, vcc
	v_cndmask_b32_e32 v3, v7, v3, vcc
	;; [unrolled: 1-line block ×3, first 2 shown]
	v_cmp_gt_u32_e32 vcc, 2, v1
	v_cndmask_b32_e64 v1, 0, 1, vcc
	v_lshlrev_b32_e32 v1, 1, v1
	v_and_b32_e32 v5, 0xff, v8
	v_add_lshl_u32 v1, v1, v4, 2
	ds_bpermute_b32 v6, v1, v5
	ds_bpermute_b32 v4, v1, v2
	;; [unrolled: 1-line block ×3, first 2 shown]
	v_and_b32_e32 v1, 1, v8
	s_waitcnt lgkmcnt(2)
	v_and_b32_e32 v7, 1, v6
	v_cmp_eq_u32_e64 s[0:1], 1, v7
	s_waitcnt lgkmcnt(0)
	v_cmp_lt_i64_e32 vcc, v[4:5], v[2:3]
	s_and_b64 vcc, s[0:1], vcc
	v_cndmask_b32_e64 v7, v8, 1, s[0:1]
	v_cndmask_b32_e32 v2, v2, v4, vcc
	v_cndmask_b32_e32 v3, v3, v5, vcc
	v_cmp_eq_u32_e32 vcc, 1, v1
	v_cndmask_b32_e32 v1, v6, v7, vcc
	v_cndmask_b32_e32 v3, v5, v3, vcc
	;; [unrolled: 1-line block ×3, first 2 shown]
	v_and_b32_e32 v6, 0xff, v1
.LBB2100_152:
	s_or_b64 exec, exec, s[12:13]
	s_branch .LBB2100_183
.LBB2100_153:
                                        ; implicit-def: $vgpr4_vgpr5
                                        ; implicit-def: $vgpr1
	s_cbranch_execnz .LBB2100_188
	s_branch .LBB2100_208
.LBB2100_154:
                                        ; implicit-def: $vgpr4_vgpr5
                                        ; implicit-def: $vgpr1
	s_branch .LBB2100_208
.LBB2100_155:
                                        ; implicit-def: $vgpr2_vgpr3
                                        ; implicit-def: $vgpr6
	s_cbranch_execz .LBB2100_183
; %bb.156:
	s_sub_i32 s12, s22, s8
	s_waitcnt lgkmcnt(0)
	v_pk_mov_b32 v[4:5], 0, 0
	s_lshl_b32 s13, s34, 16
	v_cmp_gt_u32_e32 vcc, s12, v0
	v_mov_b32_e32 v1, 0
	v_pk_mov_b32 v[2:3], v[4:5], v[4:5] op_sel:[0,1]
	v_mov_b32_e32 v7, 0
	s_and_saveexec_b64 s[0:1], vcc
	s_cbranch_execz .LBB2100_158
; %bb.157:
	v_lshlrev_b32_e32 v2, 1, v0
	global_load_ushort v6, v2, s[2:3]
	v_mov_b32_e32 v3, s15
	v_add_co_u32_e32 v2, vcc, s14, v0
	v_addc_co_u32_e32 v3, vcc, 0, v3, vcc
	s_waitcnt vmcnt(0)
	v_lshlrev_b32_e32 v6, 16, v6
	v_cmp_eq_f32_e32 vcc, s13, v6
	v_cndmask_b32_e64 v7, 0, 1, vcc
.LBB2100_158:
	s_or_b64 exec, exec, s[0:1]
	v_or_b32_e32 v6, 0x100, v0
	v_cmp_gt_u32_e32 vcc, s12, v6
	s_and_saveexec_b64 s[8:9], vcc
	s_cbranch_execz .LBB2100_160
; %bb.159:
	v_lshlrev_b32_e32 v1, 1, v0
	global_load_ushort v1, v1, s[2:3] offset:512
	v_mov_b32_e32 v5, s15
	v_add_co_u32_e64 v4, s[0:1], s14, v6
	v_addc_co_u32_e64 v5, s[0:1], 0, v5, s[0:1]
	s_waitcnt vmcnt(0)
	v_lshlrev_b32_e32 v1, 16, v1
	v_cmp_eq_f32_e64 s[0:1], s13, v1
	v_cndmask_b32_e64 v1, 0, 1, s[0:1]
.LBB2100_160:
	s_or_b64 exec, exec, s[8:9]
	s_and_saveexec_b64 s[2:3], vcc
	s_cbranch_execz .LBB2100_162
; %bb.161:
	v_and_b32_e32 v8, 1, v1
	v_cmp_lt_i64_e32 vcc, v[4:5], v[2:3]
	v_cmp_eq_u32_e64 s[0:1], 1, v8
	v_and_b32_e32 v6, 1, v7
	s_and_b64 vcc, s[0:1], vcc
	v_cndmask_b32_e64 v7, v7, 1, s[0:1]
	v_cndmask_b32_e32 v2, v2, v4, vcc
	v_cndmask_b32_e32 v3, v3, v5, vcc
	v_cmp_eq_u32_e32 vcc, 1, v6
	v_cndmask_b32_e32 v7, v1, v7, vcc
	v_cndmask_b32_e32 v3, v5, v3, vcc
	;; [unrolled: 1-line block ×3, first 2 shown]
.LBB2100_162:
	s_or_b64 exec, exec, s[2:3]
	v_mbcnt_lo_u32_b32 v1, -1, 0
	v_mbcnt_hi_u32_b32 v1, -1, v1
	v_and_b32_e32 v8, 63, v1
	v_cmp_ne_u32_e32 vcc, 63, v8
	v_addc_co_u32_e32 v4, vcc, 0, v1, vcc
	v_and_b32_e32 v6, 0xffff, v7
	v_lshlrev_b32_e32 v5, 2, v4
	ds_bpermute_b32 v10, v5, v6
	ds_bpermute_b32 v4, v5, v2
	;; [unrolled: 1-line block ×3, first 2 shown]
	s_min_u32 s8, s12, 0x100
	v_and_b32_e32 v9, 0xc0, v0
	v_sub_u32_e64 v9, s8, v9 clamp
	v_add_u32_e32 v11, 1, v8
	v_cmp_lt_u32_e32 vcc, v11, v9
	s_and_saveexec_b64 s[2:3], vcc
	s_cbranch_execz .LBB2100_164
; %bb.163:
	s_waitcnt lgkmcnt(2)
	v_and_b32_e32 v11, 1, v10
	s_waitcnt lgkmcnt(0)
	v_cmp_lt_i64_e32 vcc, v[4:5], v[2:3]
	v_cmp_eq_u32_e64 s[0:1], 1, v11
	v_and_b32_e32 v6, 1, v7
	s_and_b64 vcc, s[0:1], vcc
	v_cndmask_b32_e64 v7, v7, 1, s[0:1]
	v_cndmask_b32_e32 v2, v2, v4, vcc
	v_cndmask_b32_e32 v3, v3, v5, vcc
	v_cmp_eq_u32_e32 vcc, 1, v6
	v_cndmask_b32_e32 v7, v10, v7, vcc
	v_cndmask_b32_e32 v3, v5, v3, vcc
	v_cndmask_b32_e32 v2, v4, v2, vcc
	v_and_b32_e32 v6, 0xff, v7
.LBB2100_164:
	s_or_b64 exec, exec, s[2:3]
	v_cmp_gt_u32_e32 vcc, 62, v8
	s_waitcnt lgkmcnt(1)
	v_cndmask_b32_e64 v4, 0, 1, vcc
	v_lshlrev_b32_e32 v4, 1, v4
	s_waitcnt lgkmcnt(0)
	v_add_lshl_u32 v5, v4, v1, 2
	ds_bpermute_b32 v10, v5, v6
	ds_bpermute_b32 v4, v5, v2
	ds_bpermute_b32 v5, v5, v3
	v_add_u32_e32 v11, 2, v8
	v_cmp_lt_u32_e32 vcc, v11, v9
	s_and_saveexec_b64 s[2:3], vcc
	s_cbranch_execz .LBB2100_166
; %bb.165:
	s_waitcnt lgkmcnt(2)
	v_and_b32_e32 v11, 1, v10
	s_waitcnt lgkmcnt(0)
	v_cmp_lt_i64_e32 vcc, v[4:5], v[2:3]
	v_cmp_eq_u32_e64 s[0:1], 1, v11
	v_and_b32_e32 v6, 1, v7
	s_and_b64 vcc, s[0:1], vcc
	v_cndmask_b32_e64 v7, v7, 1, s[0:1]
	v_cndmask_b32_e32 v2, v2, v4, vcc
	v_cndmask_b32_e32 v3, v3, v5, vcc
	v_cmp_eq_u32_e32 vcc, 1, v6
	v_cndmask_b32_e32 v7, v10, v7, vcc
	v_cndmask_b32_e32 v3, v5, v3, vcc
	v_cndmask_b32_e32 v2, v4, v2, vcc
	v_and_b32_e32 v6, 0xff, v7
.LBB2100_166:
	s_or_b64 exec, exec, s[2:3]
	v_cmp_gt_u32_e32 vcc, 60, v8
	s_waitcnt lgkmcnt(1)
	v_cndmask_b32_e64 v4, 0, 1, vcc
	v_lshlrev_b32_e32 v4, 2, v4
	s_waitcnt lgkmcnt(0)
	v_add_lshl_u32 v5, v4, v1, 2
	ds_bpermute_b32 v10, v5, v6
	ds_bpermute_b32 v4, v5, v2
	ds_bpermute_b32 v5, v5, v3
	;; [unrolled: 31-line block ×5, first 2 shown]
	v_add_u32_e32 v8, 32, v8
	v_cmp_lt_u32_e32 vcc, v8, v9
	s_and_saveexec_b64 s[2:3], vcc
	s_cbranch_execz .LBB2100_174
; %bb.173:
	s_waitcnt lgkmcnt(2)
	v_and_b32_e32 v8, 1, v10
	s_waitcnt lgkmcnt(0)
	v_cmp_lt_i64_e32 vcc, v[4:5], v[2:3]
	v_cmp_eq_u32_e64 s[0:1], 1, v8
	v_and_b32_e32 v6, 1, v7
	s_and_b64 vcc, s[0:1], vcc
	v_cndmask_b32_e64 v7, v7, 1, s[0:1]
	v_cndmask_b32_e32 v2, v2, v4, vcc
	v_cndmask_b32_e32 v3, v3, v5, vcc
	v_cmp_eq_u32_e32 vcc, 1, v6
	v_cndmask_b32_e32 v7, v10, v7, vcc
	v_cndmask_b32_e32 v3, v5, v3, vcc
	;; [unrolled: 1-line block ×3, first 2 shown]
	v_and_b32_e32 v6, 0xff, v7
.LBB2100_174:
	s_or_b64 exec, exec, s[2:3]
	v_cmp_eq_u32_e32 vcc, 0, v1
	s_and_saveexec_b64 s[0:1], vcc
	s_cbranch_execz .LBB2100_176
; %bb.175:
	s_waitcnt lgkmcnt(1)
	v_lshrrev_b32_e32 v4, 2, v0
	v_and_b32_e32 v4, 48, v4
	ds_write_b8 v4, v7 offset:256
	ds_write_b64 v4, v[2:3] offset:264
.LBB2100_176:
	s_or_b64 exec, exec, s[0:1]
	v_cmp_gt_u32_e32 vcc, 4, v0
	s_waitcnt lgkmcnt(0)
	s_barrier
	s_and_saveexec_b64 s[2:3], vcc
	s_cbranch_execz .LBB2100_182
; %bb.177:
	v_lshlrev_b32_e32 v2, 4, v1
	ds_read_u8 v7, v2 offset:256
	ds_read_b64 v[2:3], v2 offset:264
	v_and_b32_e32 v8, 3, v1
	v_cmp_ne_u32_e32 vcc, 3, v8
	v_addc_co_u32_e32 v4, vcc, 0, v1, vcc
	s_waitcnt lgkmcnt(1)
	v_and_b32_e32 v6, 0xff, v7
	v_lshlrev_b32_e32 v5, 2, v4
	ds_bpermute_b32 v9, v5, v6
	s_waitcnt lgkmcnt(1)
	ds_bpermute_b32 v4, v5, v2
	ds_bpermute_b32 v5, v5, v3
	s_add_i32 s8, s8, 63
	s_lshr_b32 s12, s8, 6
	v_add_u32_e32 v10, 1, v8
	v_cmp_gt_u32_e32 vcc, s12, v10
	s_and_saveexec_b64 s[8:9], vcc
	s_cbranch_execz .LBB2100_179
; %bb.178:
	s_waitcnt lgkmcnt(2)
	v_and_b32_e32 v10, 1, v9
	s_waitcnt lgkmcnt(0)
	v_cmp_lt_i64_e32 vcc, v[4:5], v[2:3]
	v_cmp_eq_u32_e64 s[0:1], 1, v10
	v_and_b32_e32 v6, 1, v7
	s_and_b64 vcc, s[0:1], vcc
	v_cndmask_b32_e64 v7, v7, 1, s[0:1]
	v_cndmask_b32_e32 v2, v2, v4, vcc
	v_cndmask_b32_e32 v3, v3, v5, vcc
	v_cmp_eq_u32_e32 vcc, 1, v6
	v_cndmask_b32_e32 v7, v9, v7, vcc
	v_cndmask_b32_e32 v3, v5, v3, vcc
	;; [unrolled: 1-line block ×3, first 2 shown]
	v_and_b32_e32 v6, 0xff, v7
.LBB2100_179:
	s_or_b64 exec, exec, s[8:9]
	v_cmp_gt_u32_e32 vcc, 2, v8
	s_waitcnt lgkmcnt(1)
	v_cndmask_b32_e64 v4, 0, 1, vcc
	v_lshlrev_b32_e32 v4, 1, v4
	s_waitcnt lgkmcnt(0)
	v_add_lshl_u32 v5, v4, v1, 2
	ds_bpermute_b32 v1, v5, v6
	ds_bpermute_b32 v4, v5, v2
	;; [unrolled: 1-line block ×3, first 2 shown]
	v_add_u32_e32 v8, 2, v8
	v_cmp_gt_u32_e32 vcc, s12, v8
	s_and_saveexec_b64 s[8:9], vcc
	s_cbranch_execz .LBB2100_181
; %bb.180:
	s_waitcnt lgkmcnt(2)
	v_and_b32_e32 v8, 1, v1
	s_waitcnt lgkmcnt(0)
	v_cmp_lt_i64_e32 vcc, v[4:5], v[2:3]
	v_cmp_eq_u32_e64 s[0:1], 1, v8
	v_and_b32_e32 v6, 1, v7
	s_and_b64 vcc, s[0:1], vcc
	v_cndmask_b32_e64 v7, v7, 1, s[0:1]
	v_cndmask_b32_e32 v2, v2, v4, vcc
	v_cndmask_b32_e32 v3, v3, v5, vcc
	v_cmp_eq_u32_e32 vcc, 1, v6
	v_cndmask_b32_e32 v1, v1, v7, vcc
	v_cndmask_b32_e32 v3, v5, v3, vcc
	;; [unrolled: 1-line block ×3, first 2 shown]
	v_and_b32_e32 v6, 0xff, v1
.LBB2100_181:
	s_or_b64 exec, exec, s[8:9]
.LBB2100_182:
	s_or_b64 exec, exec, s[2:3]
.LBB2100_183:
	v_cmp_eq_u32_e32 vcc, 0, v0
                                        ; implicit-def: $vgpr4_vgpr5
                                        ; implicit-def: $vgpr1
	s_and_saveexec_b64 s[0:1], vcc
	s_xor_b64 s[8:9], exec, s[0:1]
	s_cbranch_execz .LBB2100_187
; %bb.184:
	s_cmp_eq_u64 s[22:23], 0
	s_waitcnt lgkmcnt(0)
	v_pk_mov_b32 v[4:5], s[18:19], s[18:19] op_sel:[0,1]
	v_mov_b32_e32 v1, s33
	s_cbranch_scc1 .LBB2100_186
; %bb.185:
	v_and_b32_e32 v1, 1, v6
	s_bitcmp1_b32 s33, 0
	v_mov_b32_e32 v4, s33
	v_cmp_eq_u32_e32 vcc, 1, v1
	v_cmp_gt_i64_e64 s[2:3], s[18:19], v[2:3]
	v_cndmask_b32_e64 v1, v4, 1, vcc
	s_cselect_b64 s[0:1], -1, 0
	v_mov_b32_e32 v4, s18
	s_and_b64 vcc, vcc, s[2:3]
	v_mov_b32_e32 v5, s19
	v_cndmask_b32_e32 v4, v4, v2, vcc
	v_cndmask_b32_e32 v5, v5, v3, vcc
	v_cndmask_b32_e64 v1, v6, v1, s[0:1]
	v_cndmask_b32_e64 v5, v3, v5, s[0:1]
	;; [unrolled: 1-line block ×3, first 2 shown]
.LBB2100_186:
	s_or_b64 s[10:11], s[10:11], exec
.LBB2100_187:
	s_or_b64 exec, exec, s[8:9]
	s_branch .LBB2100_208
.LBB2100_188:
	s_cmp_eq_u32 s35, 1
	s_cbranch_scc0 .LBB2100_207
; %bb.189:
	s_mov_b32 s3, 0
	s_lshl_b32 s2, s6, 8
	s_mov_b32 s7, s3
	s_lshr_b64 s[0:1], s[22:23], 8
	s_cmp_lg_u64 s[0:1], s[6:7]
	s_cbranch_scc0 .LBB2100_211
; %bb.190:
	s_lshl_b64 s[0:1], s[2:3], 1
	s_add_u32 s0, s24, s0
	s_addc_u32 s1, s25, s1
	s_waitcnt lgkmcnt(2)
	v_lshlrev_b32_e32 v1, 1, v0
	global_load_ushort v1, v1, s[0:1]
	s_add_u32 s0, s20, s2
	s_addc_u32 s1, s21, 0
	v_mov_b32_e32 v3, s1
	v_add_co_u32_e32 v2, vcc, s0, v0
	s_lshl_b32 s8, s34, 16
	v_addc_co_u32_e32 v3, vcc, 0, v3, vcc
	s_waitcnt lgkmcnt(1)
	v_mov_b32_dpp v4, v2 quad_perm:[1,0,3,2] row_mask:0xf bank_mask:0xf bound_ctrl:1
	s_waitcnt lgkmcnt(0)
	v_mov_b32_dpp v5, v3 quad_perm:[1,0,3,2] row_mask:0xf bank_mask:0xf bound_ctrl:1
	s_waitcnt vmcnt(0)
	v_lshlrev_b32_e32 v1, 16, v1
	v_cmp_eq_f32_e32 vcc, s8, v1
	v_cndmask_b32_e64 v1, 0, 1, vcc
	v_cndmask_b32_e64 v6, 0, 1, vcc
	s_nop 0
	v_mov_b32_dpp v1, v1 quad_perm:[1,0,3,2] row_mask:0xf bank_mask:0xf bound_ctrl:1
	v_and_b32_e32 v7, 1, v1
	v_cmp_eq_u32_e64 s[0:1], 1, v7
	s_and_saveexec_b64 s[8:9], s[0:1]
; %bb.191:
	v_cmp_lt_i64_e64 s[0:1], v[2:3], v[4:5]
	v_cndmask_b32_e64 v6, v1, 1, vcc
	s_and_b64 vcc, vcc, s[0:1]
	v_cndmask_b32_e32 v3, v5, v3, vcc
	v_cndmask_b32_e32 v2, v4, v2, vcc
; %bb.192:
	s_or_b64 exec, exec, s[8:9]
	v_and_b32_e32 v1, 0xff, v6
	v_and_b32_e32 v6, 1, v6
	v_mov_b32_dpp v4, v2 quad_perm:[2,3,0,1] row_mask:0xf bank_mask:0xf bound_ctrl:1
	v_mov_b32_dpp v7, v1 quad_perm:[2,3,0,1] row_mask:0xf bank_mask:0xf bound_ctrl:1
	v_and_b32_e32 v8, 1, v7
	v_mov_b32_dpp v5, v3 quad_perm:[2,3,0,1] row_mask:0xf bank_mask:0xf bound_ctrl:1
	v_cmp_eq_u32_e32 vcc, 1, v8
	v_cmp_eq_u32_e64 s[0:1], 1, v6
	s_and_saveexec_b64 s[8:9], vcc
; %bb.193:
	v_cmp_lt_i64_e32 vcc, v[2:3], v[4:5]
	v_cndmask_b32_e64 v6, v7, 1, s[0:1]
	s_and_b64 vcc, s[0:1], vcc
	v_cndmask_b32_e32 v2, v4, v2, vcc
	v_and_b32_e32 v4, 1, v6
	v_cndmask_b32_e32 v3, v5, v3, vcc
	v_cmp_eq_u32_e32 vcc, 1, v4
	s_andn2_b64 s[0:1], s[0:1], exec
	s_and_b64 s[12:13], vcc, exec
	v_and_b32_e32 v1, 0xff, v6
	s_or_b64 s[0:1], s[0:1], s[12:13]
; %bb.194:
	s_or_b64 exec, exec, s[8:9]
	v_mov_b32_dpp v6, v1 row_ror:4 row_mask:0xf bank_mask:0xf bound_ctrl:1
	v_and_b32_e32 v7, 1, v6
	v_mov_b32_dpp v4, v2 row_ror:4 row_mask:0xf bank_mask:0xf bound_ctrl:1
	v_mov_b32_dpp v5, v3 row_ror:4 row_mask:0xf bank_mask:0xf bound_ctrl:1
	v_cmp_eq_u32_e32 vcc, 1, v7
	s_and_saveexec_b64 s[8:9], vcc
; %bb.195:
	v_cmp_lt_i64_e32 vcc, v[2:3], v[4:5]
	v_cndmask_b32_e64 v6, v6, 1, s[0:1]
	s_and_b64 vcc, s[0:1], vcc
	v_cndmask_b32_e32 v2, v4, v2, vcc
	v_and_b32_e32 v4, 1, v6
	v_cndmask_b32_e32 v3, v5, v3, vcc
	v_cmp_eq_u32_e32 vcc, 1, v4
	s_andn2_b64 s[0:1], s[0:1], exec
	s_and_b64 s[12:13], vcc, exec
	v_and_b32_e32 v1, 0xff, v6
	s_or_b64 s[0:1], s[0:1], s[12:13]
; %bb.196:
	s_or_b64 exec, exec, s[8:9]
	v_mov_b32_dpp v6, v1 row_ror:8 row_mask:0xf bank_mask:0xf bound_ctrl:1
	v_and_b32_e32 v7, 1, v6
	v_mov_b32_dpp v4, v2 row_ror:8 row_mask:0xf bank_mask:0xf bound_ctrl:1
	v_mov_b32_dpp v5, v3 row_ror:8 row_mask:0xf bank_mask:0xf bound_ctrl:1
	v_cmp_eq_u32_e32 vcc, 1, v7
	s_and_saveexec_b64 s[8:9], vcc
; %bb.197:
	v_cmp_lt_i64_e32 vcc, v[2:3], v[4:5]
	v_cndmask_b32_e64 v6, v6, 1, s[0:1]
	s_and_b64 vcc, s[0:1], vcc
	v_cndmask_b32_e32 v2, v4, v2, vcc
	v_and_b32_e32 v4, 1, v6
	v_cndmask_b32_e32 v3, v5, v3, vcc
	v_cmp_eq_u32_e32 vcc, 1, v4
	s_andn2_b64 s[0:1], s[0:1], exec
	s_and_b64 s[12:13], vcc, exec
	v_and_b32_e32 v1, 0xff, v6
	s_or_b64 s[0:1], s[0:1], s[12:13]
; %bb.198:
	s_or_b64 exec, exec, s[8:9]
	v_mov_b32_dpp v6, v1 row_bcast:15 row_mask:0xf bank_mask:0xf bound_ctrl:1
	v_and_b32_e32 v7, 1, v6
	v_mov_b32_dpp v4, v2 row_bcast:15 row_mask:0xf bank_mask:0xf bound_ctrl:1
	v_mov_b32_dpp v5, v3 row_bcast:15 row_mask:0xf bank_mask:0xf bound_ctrl:1
	v_cmp_eq_u32_e32 vcc, 1, v7
	s_and_saveexec_b64 s[8:9], vcc
; %bb.199:
	v_cmp_lt_i64_e32 vcc, v[2:3], v[4:5]
	v_cndmask_b32_e64 v6, v6, 1, s[0:1]
	s_and_b64 vcc, s[0:1], vcc
	v_cndmask_b32_e32 v2, v4, v2, vcc
	v_and_b32_e32 v4, 1, v6
	v_cndmask_b32_e32 v3, v5, v3, vcc
	v_cmp_eq_u32_e32 vcc, 1, v4
	s_andn2_b64 s[0:1], s[0:1], exec
	s_and_b64 s[12:13], vcc, exec
	v_and_b32_e32 v1, 0xff, v6
	s_or_b64 s[0:1], s[0:1], s[12:13]
; %bb.200:
	s_or_b64 exec, exec, s[8:9]
	v_mov_b32_dpp v6, v1 row_bcast:31 row_mask:0xf bank_mask:0xf bound_ctrl:1
	v_and_b32_e32 v7, 1, v6
	v_mov_b32_dpp v4, v2 row_bcast:31 row_mask:0xf bank_mask:0xf bound_ctrl:1
	v_mov_b32_dpp v5, v3 row_bcast:31 row_mask:0xf bank_mask:0xf bound_ctrl:1
	v_cmp_eq_u32_e32 vcc, 1, v7
	s_and_saveexec_b64 s[8:9], vcc
; %bb.201:
	v_cmp_lt_i64_e32 vcc, v[2:3], v[4:5]
	v_and_b32_e32 v1, 0xff, v6
	s_and_b64 vcc, s[0:1], vcc
	v_cndmask_b32_e32 v2, v4, v2, vcc
	v_cndmask_b32_e32 v3, v5, v3, vcc
	v_cndmask_b32_e64 v1, v1, 1, s[0:1]
; %bb.202:
	s_or_b64 exec, exec, s[8:9]
	v_mbcnt_lo_u32_b32 v4, -1, 0
	v_mbcnt_hi_u32_b32 v4, -1, v4
	v_bfrev_b32_e32 v5, 0.5
	v_lshl_or_b32 v5, v4, 2, v5
	ds_bpermute_b32 v6, v5, v1
	ds_bpermute_b32 v2, v5, v2
	;; [unrolled: 1-line block ×3, first 2 shown]
	v_cmp_eq_u32_e32 vcc, 0, v4
	s_and_saveexec_b64 s[0:1], vcc
	s_cbranch_execz .LBB2100_204
; %bb.203:
	v_lshrrev_b32_e32 v1, 2, v0
	v_and_b32_e32 v1, 48, v1
	s_waitcnt lgkmcnt(2)
	ds_write_b8 v1, v6
	s_waitcnt lgkmcnt(1)
	ds_write_b64 v1, v[2:3] offset:8
.LBB2100_204:
	s_or_b64 exec, exec, s[0:1]
	v_cmp_gt_u32_e32 vcc, 64, v0
	s_waitcnt lgkmcnt(0)
	s_barrier
	s_and_saveexec_b64 s[8:9], vcc
	s_cbranch_execz .LBB2100_206
; %bb.205:
	v_and_b32_e32 v1, 3, v4
	v_lshlrev_b32_e32 v2, 4, v1
	ds_read_u8 v5, v2
	ds_read_b64 v[2:3], v2 offset:8
	v_cmp_ne_u32_e32 vcc, 3, v1
	v_addc_co_u32_e32 v6, vcc, 0, v4, vcc
	s_waitcnt lgkmcnt(1)
	v_and_b32_e32 v7, 0xff, v5
	v_lshlrev_b32_e32 v8, 2, v6
	ds_bpermute_b32 v9, v8, v7
	s_waitcnt lgkmcnt(1)
	ds_bpermute_b32 v6, v8, v2
	ds_bpermute_b32 v7, v8, v3
	v_and_b32_e32 v8, 1, v5
	s_waitcnt lgkmcnt(2)
	v_and_b32_e32 v10, 1, v9
	v_cmp_eq_u32_e64 s[0:1], 1, v10
	s_waitcnt lgkmcnt(0)
	v_cmp_lt_i64_e32 vcc, v[6:7], v[2:3]
	s_and_b64 vcc, s[0:1], vcc
	v_cndmask_b32_e64 v5, v5, 1, s[0:1]
	v_cndmask_b32_e32 v2, v2, v6, vcc
	v_cndmask_b32_e32 v3, v3, v7, vcc
	v_cmp_eq_u32_e32 vcc, 1, v8
	v_cndmask_b32_e32 v8, v9, v5, vcc
	v_cndmask_b32_e32 v3, v7, v3, vcc
	;; [unrolled: 1-line block ×3, first 2 shown]
	v_cmp_gt_u32_e32 vcc, 2, v1
	v_cndmask_b32_e64 v1, 0, 1, vcc
	v_lshlrev_b32_e32 v1, 1, v1
	v_and_b32_e32 v5, 0xff, v8
	v_add_lshl_u32 v1, v1, v4, 2
	ds_bpermute_b32 v6, v1, v5
	ds_bpermute_b32 v4, v1, v2
	;; [unrolled: 1-line block ×3, first 2 shown]
	v_and_b32_e32 v1, 1, v8
	s_waitcnt lgkmcnt(2)
	v_and_b32_e32 v7, 1, v6
	v_cmp_eq_u32_e64 s[0:1], 1, v7
	s_waitcnt lgkmcnt(0)
	v_cmp_lt_i64_e32 vcc, v[4:5], v[2:3]
	s_and_b64 vcc, s[0:1], vcc
	v_cndmask_b32_e64 v7, v8, 1, s[0:1]
	v_cndmask_b32_e32 v2, v2, v4, vcc
	v_cndmask_b32_e32 v3, v3, v5, vcc
	v_cmp_eq_u32_e32 vcc, 1, v1
	v_cndmask_b32_e32 v1, v6, v7, vcc
	v_cndmask_b32_e32 v3, v5, v3, vcc
	;; [unrolled: 1-line block ×3, first 2 shown]
	v_and_b32_e32 v6, 0xff, v1
.LBB2100_206:
	s_or_b64 exec, exec, s[8:9]
	s_branch .LBB2100_235
.LBB2100_207:
                                        ; implicit-def: $vgpr4_vgpr5
                                        ; implicit-def: $vgpr1
                                        ; implicit-def: $sgpr6_sgpr7
.LBB2100_208:
	s_and_saveexec_b64 s[0:1], s[10:11]
	s_cbranch_execz .LBB2100_210
.LBB2100_209:
	s_load_dwordx2 s[0:1], s[4:5], 0x28
	s_lshl_b64 s[2:3], s[6:7], 4
	v_mov_b32_e32 v0, 0
	s_waitcnt lgkmcnt(0)
	s_add_u32 s0, s0, s2
	s_addc_u32 s1, s1, s3
	global_store_byte v0, v1, s[0:1]
	global_store_dwordx2 v0, v[4:5], s[0:1] offset:8
.LBB2100_210:
	s_endpgm
.LBB2100_211:
                                        ; implicit-def: $vgpr2_vgpr3
                                        ; implicit-def: $vgpr6
	s_cbranch_execz .LBB2100_235
; %bb.212:
	s_sub_i32 s8, s22, s2
	v_cmp_gt_u32_e32 vcc, s8, v0
	v_pk_mov_b32 v[2:3], 0, 0
	v_mov_b32_e32 v7, 0
	s_and_saveexec_b64 s[0:1], vcc
	s_cbranch_execz .LBB2100_214
; %bb.213:
	s_lshl_b64 s[12:13], s[2:3], 1
	s_add_u32 s12, s24, s12
	s_addc_u32 s13, s25, s13
	s_waitcnt lgkmcnt(2)
	v_lshlrev_b32_e32 v1, 1, v0
	global_load_ushort v1, v1, s[12:13]
	s_add_u32 s2, s20, s2
	s_addc_u32 s3, s21, 0
	v_mov_b32_e32 v3, s3
	v_add_co_u32_e32 v2, vcc, s2, v0
	s_lshl_b32 s9, s34, 16
	v_addc_co_u32_e32 v3, vcc, 0, v3, vcc
	s_waitcnt vmcnt(0)
	v_lshlrev_b32_e32 v1, 16, v1
	v_cmp_eq_f32_e32 vcc, s9, v1
	v_cndmask_b32_e64 v7, 0, 1, vcc
.LBB2100_214:
	s_or_b64 exec, exec, s[0:1]
	s_waitcnt lgkmcnt(2)
	v_mbcnt_lo_u32_b32 v1, -1, 0
	v_mbcnt_hi_u32_b32 v1, -1, v1
	v_and_b32_e32 v8, 63, v1
	v_cmp_ne_u32_e32 vcc, 63, v8
	s_waitcnt lgkmcnt(1)
	v_addc_co_u32_e32 v4, vcc, 0, v1, vcc
	v_and_b32_e32 v6, 0xffff, v7
	s_waitcnt lgkmcnt(0)
	v_lshlrev_b32_e32 v5, 2, v4
	ds_bpermute_b32 v10, v5, v6
	ds_bpermute_b32 v4, v5, v2
	;; [unrolled: 1-line block ×3, first 2 shown]
	s_min_u32 s8, s8, 0x100
	v_and_b32_e32 v9, 0xc0, v0
	v_sub_u32_e64 v9, s8, v9 clamp
	v_add_u32_e32 v11, 1, v8
	v_cmp_lt_u32_e32 vcc, v11, v9
	s_and_saveexec_b64 s[2:3], vcc
	s_cbranch_execz .LBB2100_216
; %bb.215:
	s_waitcnt lgkmcnt(2)
	v_and_b32_e32 v11, 1, v10
	s_waitcnt lgkmcnt(0)
	v_cmp_lt_i64_e32 vcc, v[4:5], v[2:3]
	v_cmp_eq_u32_e64 s[0:1], 1, v11
	v_and_b32_e32 v6, 1, v7
	s_and_b64 vcc, s[0:1], vcc
	v_cndmask_b32_e64 v7, v7, 1, s[0:1]
	v_cndmask_b32_e32 v2, v2, v4, vcc
	v_cndmask_b32_e32 v3, v3, v5, vcc
	v_cmp_eq_u32_e32 vcc, 1, v6
	v_cndmask_b32_e32 v7, v10, v7, vcc
	v_cndmask_b32_e32 v3, v5, v3, vcc
	v_cndmask_b32_e32 v2, v4, v2, vcc
	v_and_b32_e32 v6, 0xff, v7
.LBB2100_216:
	s_or_b64 exec, exec, s[2:3]
	v_cmp_gt_u32_e32 vcc, 62, v8
	s_waitcnt lgkmcnt(1)
	v_cndmask_b32_e64 v4, 0, 1, vcc
	v_lshlrev_b32_e32 v4, 1, v4
	s_waitcnt lgkmcnt(0)
	v_add_lshl_u32 v5, v4, v1, 2
	ds_bpermute_b32 v10, v5, v6
	ds_bpermute_b32 v4, v5, v2
	ds_bpermute_b32 v5, v5, v3
	v_add_u32_e32 v11, 2, v8
	v_cmp_lt_u32_e32 vcc, v11, v9
	s_and_saveexec_b64 s[2:3], vcc
	s_cbranch_execz .LBB2100_218
; %bb.217:
	s_waitcnt lgkmcnt(2)
	v_and_b32_e32 v11, 1, v10
	s_waitcnt lgkmcnt(0)
	v_cmp_lt_i64_e32 vcc, v[4:5], v[2:3]
	v_cmp_eq_u32_e64 s[0:1], 1, v11
	v_and_b32_e32 v6, 1, v7
	s_and_b64 vcc, s[0:1], vcc
	v_cndmask_b32_e64 v7, v7, 1, s[0:1]
	v_cndmask_b32_e32 v2, v2, v4, vcc
	v_cndmask_b32_e32 v3, v3, v5, vcc
	v_cmp_eq_u32_e32 vcc, 1, v6
	v_cndmask_b32_e32 v7, v10, v7, vcc
	v_cndmask_b32_e32 v3, v5, v3, vcc
	v_cndmask_b32_e32 v2, v4, v2, vcc
	v_and_b32_e32 v6, 0xff, v7
.LBB2100_218:
	s_or_b64 exec, exec, s[2:3]
	v_cmp_gt_u32_e32 vcc, 60, v8
	s_waitcnt lgkmcnt(1)
	v_cndmask_b32_e64 v4, 0, 1, vcc
	v_lshlrev_b32_e32 v4, 2, v4
	s_waitcnt lgkmcnt(0)
	v_add_lshl_u32 v5, v4, v1, 2
	ds_bpermute_b32 v10, v5, v6
	ds_bpermute_b32 v4, v5, v2
	ds_bpermute_b32 v5, v5, v3
	;; [unrolled: 31-line block ×5, first 2 shown]
	v_add_u32_e32 v8, 32, v8
	v_cmp_lt_u32_e32 vcc, v8, v9
	s_and_saveexec_b64 s[2:3], vcc
	s_cbranch_execz .LBB2100_226
; %bb.225:
	s_waitcnt lgkmcnt(2)
	v_and_b32_e32 v8, 1, v10
	s_waitcnt lgkmcnt(0)
	v_cmp_lt_i64_e32 vcc, v[4:5], v[2:3]
	v_cmp_eq_u32_e64 s[0:1], 1, v8
	v_and_b32_e32 v6, 1, v7
	s_and_b64 vcc, s[0:1], vcc
	v_cndmask_b32_e64 v7, v7, 1, s[0:1]
	v_cndmask_b32_e32 v2, v2, v4, vcc
	v_cndmask_b32_e32 v3, v3, v5, vcc
	v_cmp_eq_u32_e32 vcc, 1, v6
	v_cndmask_b32_e32 v7, v10, v7, vcc
	v_cndmask_b32_e32 v3, v5, v3, vcc
	;; [unrolled: 1-line block ×3, first 2 shown]
	v_and_b32_e32 v6, 0xff, v7
.LBB2100_226:
	s_or_b64 exec, exec, s[2:3]
	v_cmp_eq_u32_e32 vcc, 0, v1
	s_and_saveexec_b64 s[0:1], vcc
	s_cbranch_execz .LBB2100_228
; %bb.227:
	s_waitcnt lgkmcnt(1)
	v_lshrrev_b32_e32 v4, 2, v0
	v_and_b32_e32 v4, 48, v4
	ds_write_b8 v4, v7 offset:256
	ds_write_b64 v4, v[2:3] offset:264
.LBB2100_228:
	s_or_b64 exec, exec, s[0:1]
	v_cmp_gt_u32_e32 vcc, 4, v0
	s_waitcnt lgkmcnt(0)
	s_barrier
	s_and_saveexec_b64 s[2:3], vcc
	s_cbranch_execz .LBB2100_234
; %bb.229:
	v_lshlrev_b32_e32 v2, 4, v1
	ds_read_u8 v7, v2 offset:256
	ds_read_b64 v[2:3], v2 offset:264
	v_and_b32_e32 v8, 3, v1
	v_cmp_ne_u32_e32 vcc, 3, v8
	v_addc_co_u32_e32 v4, vcc, 0, v1, vcc
	s_waitcnt lgkmcnt(1)
	v_and_b32_e32 v6, 0xff, v7
	v_lshlrev_b32_e32 v5, 2, v4
	ds_bpermute_b32 v9, v5, v6
	s_waitcnt lgkmcnt(1)
	ds_bpermute_b32 v4, v5, v2
	ds_bpermute_b32 v5, v5, v3
	s_add_i32 s8, s8, 63
	s_lshr_b32 s12, s8, 6
	v_add_u32_e32 v10, 1, v8
	v_cmp_gt_u32_e32 vcc, s12, v10
	s_and_saveexec_b64 s[8:9], vcc
	s_cbranch_execz .LBB2100_231
; %bb.230:
	s_waitcnt lgkmcnt(2)
	v_and_b32_e32 v10, 1, v9
	s_waitcnt lgkmcnt(0)
	v_cmp_lt_i64_e32 vcc, v[4:5], v[2:3]
	v_cmp_eq_u32_e64 s[0:1], 1, v10
	v_and_b32_e32 v6, 1, v7
	s_and_b64 vcc, s[0:1], vcc
	v_cndmask_b32_e64 v7, v7, 1, s[0:1]
	v_cndmask_b32_e32 v2, v2, v4, vcc
	v_cndmask_b32_e32 v3, v3, v5, vcc
	v_cmp_eq_u32_e32 vcc, 1, v6
	v_cndmask_b32_e32 v7, v9, v7, vcc
	v_cndmask_b32_e32 v3, v5, v3, vcc
	;; [unrolled: 1-line block ×3, first 2 shown]
	v_and_b32_e32 v6, 0xff, v7
.LBB2100_231:
	s_or_b64 exec, exec, s[8:9]
	v_cmp_gt_u32_e32 vcc, 2, v8
	s_waitcnt lgkmcnt(1)
	v_cndmask_b32_e64 v4, 0, 1, vcc
	v_lshlrev_b32_e32 v4, 1, v4
	s_waitcnt lgkmcnt(0)
	v_add_lshl_u32 v5, v4, v1, 2
	ds_bpermute_b32 v1, v5, v6
	ds_bpermute_b32 v4, v5, v2
	;; [unrolled: 1-line block ×3, first 2 shown]
	v_add_u32_e32 v8, 2, v8
	v_cmp_gt_u32_e32 vcc, s12, v8
	s_and_saveexec_b64 s[8:9], vcc
	s_cbranch_execz .LBB2100_233
; %bb.232:
	s_waitcnt lgkmcnt(2)
	v_and_b32_e32 v8, 1, v1
	s_waitcnt lgkmcnt(0)
	v_cmp_lt_i64_e32 vcc, v[4:5], v[2:3]
	v_cmp_eq_u32_e64 s[0:1], 1, v8
	v_and_b32_e32 v6, 1, v7
	s_and_b64 vcc, s[0:1], vcc
	v_cndmask_b32_e64 v7, v7, 1, s[0:1]
	v_cndmask_b32_e32 v2, v2, v4, vcc
	v_cndmask_b32_e32 v3, v3, v5, vcc
	v_cmp_eq_u32_e32 vcc, 1, v6
	v_cndmask_b32_e32 v1, v1, v7, vcc
	v_cndmask_b32_e32 v3, v5, v3, vcc
	;; [unrolled: 1-line block ×3, first 2 shown]
	v_and_b32_e32 v6, 0xff, v1
.LBB2100_233:
	s_or_b64 exec, exec, s[8:9]
.LBB2100_234:
	s_or_b64 exec, exec, s[2:3]
.LBB2100_235:
	v_cmp_eq_u32_e32 vcc, 0, v0
                                        ; implicit-def: $vgpr4_vgpr5
                                        ; implicit-def: $vgpr1
	s_and_saveexec_b64 s[8:9], vcc
	s_cbranch_execz .LBB2100_239
; %bb.236:
	s_cmp_eq_u64 s[22:23], 0
	s_waitcnt lgkmcnt(0)
	v_pk_mov_b32 v[4:5], s[18:19], s[18:19] op_sel:[0,1]
	v_mov_b32_e32 v1, s33
	s_cbranch_scc1 .LBB2100_238
; %bb.237:
	v_and_b32_e32 v0, 1, v6
	s_bitcmp1_b32 s33, 0
	v_mov_b32_e32 v1, s33
	v_cmp_eq_u32_e32 vcc, 1, v0
	v_cmp_gt_i64_e64 s[2:3], s[18:19], v[2:3]
	v_cndmask_b32_e64 v0, v1, 1, vcc
	s_cselect_b64 s[0:1], -1, 0
	v_mov_b32_e32 v1, s18
	s_and_b64 vcc, vcc, s[2:3]
	v_cndmask_b32_e32 v4, v1, v2, vcc
	v_mov_b32_e32 v1, s19
	v_cndmask_b32_e32 v5, v1, v3, vcc
	v_cndmask_b32_e64 v1, v6, v0, s[0:1]
	v_cndmask_b32_e64 v5, v3, v5, s[0:1]
	;; [unrolled: 1-line block ×3, first 2 shown]
.LBB2100_238:
	s_or_b64 s[10:11], s[10:11], exec
.LBB2100_239:
	s_or_b64 exec, exec, s[8:9]
	s_and_saveexec_b64 s[0:1], s[10:11]
	s_cbranch_execnz .LBB2100_209
	s_branch .LBB2100_210
.LBB2100_240:
	v_lshlrev_b32_e32 v4, 1, v0
	global_load_ushort v18, v4, s[28:29] offset:3584
	v_mov_b32_e32 v5, s37
	v_add_co_u32_e64 v4, s[16:17], s36, v25
	v_addc_co_u32_e64 v5, s[16:17], 0, v5, s[16:17]
	s_waitcnt vmcnt(0)
	v_lshlrev_b32_e32 v18, 16, v18
	v_cmp_eq_f32_e64 s[16:17], s39, v18
	v_cndmask_b32_e64 v18, 0, 1, s[16:17]
	s_or_b64 exec, exec, s[30:31]
	s_and_saveexec_b64 s[28:29], s[14:15]
	s_cbranch_execz .LBB2100_61
.LBB2100_241:
	v_and_b32_e32 v26, 1, v21
	v_cmp_lt_i64_e64 s[14:15], v[10:11], v[2:3]
	v_cmp_eq_u32_e64 s[16:17], 1, v26
	v_and_b32_e32 v25, 1, v1
	s_and_b64 s[14:15], s[16:17], s[14:15]
	v_cndmask_b32_e64 v1, v1, 1, s[16:17]
	v_cndmask_b32_e64 v2, v2, v10, s[14:15]
	;; [unrolled: 1-line block ×3, first 2 shown]
	v_cmp_eq_u32_e64 s[14:15], 1, v25
	v_cndmask_b32_e64 v1, v21, v1, s[14:15]
	v_cndmask_b32_e64 v3, v11, v3, s[14:15]
	;; [unrolled: 1-line block ×3, first 2 shown]
	s_or_b64 exec, exec, s[28:29]
	s_and_saveexec_b64 s[16:17], s[10:11]
	s_cbranch_execz .LBB2100_62
.LBB2100_242:
	v_and_b32_e32 v11, 1, v24
	v_cmp_lt_i64_e64 s[10:11], v[16:17], v[2:3]
	v_cmp_eq_u32_e64 s[14:15], 1, v11
	v_and_b32_e32 v10, 1, v1
	s_and_b64 s[10:11], s[14:15], s[10:11]
	v_cndmask_b32_e64 v1, v1, 1, s[14:15]
	v_cndmask_b32_e64 v2, v2, v16, s[10:11]
	;; [unrolled: 1-line block ×3, first 2 shown]
	v_cmp_eq_u32_e64 s[10:11], 1, v10
	v_cndmask_b32_e64 v1, v24, v1, s[10:11]
	v_cndmask_b32_e64 v3, v17, v3, s[10:11]
	;; [unrolled: 1-line block ×3, first 2 shown]
	s_or_b64 exec, exec, s[16:17]
	s_and_saveexec_b64 s[14:15], s[12:13]
	s_cbranch_execz .LBB2100_63
.LBB2100_243:
	v_and_b32_e32 v11, 1, v20
	v_cmp_lt_i64_e64 s[10:11], v[8:9], v[2:3]
	v_cmp_eq_u32_e64 s[12:13], 1, v11
	v_and_b32_e32 v10, 1, v1
	s_and_b64 s[10:11], s[12:13], s[10:11]
	v_cndmask_b32_e64 v1, v1, 1, s[12:13]
	v_cndmask_b32_e64 v2, v2, v8, s[10:11]
	;; [unrolled: 1-line block ×3, first 2 shown]
	v_cmp_eq_u32_e64 s[10:11], 1, v10
	v_cndmask_b32_e64 v1, v20, v1, s[10:11]
	v_cndmask_b32_e64 v3, v9, v3, s[10:11]
	;; [unrolled: 1-line block ×3, first 2 shown]
	s_or_b64 exec, exec, s[14:15]
	s_and_saveexec_b64 s[12:13], s[2:3]
	s_cbranch_execz .LBB2100_64
.LBB2100_244:
	v_and_b32_e32 v9, 1, v23
	v_cmp_lt_i64_e64 s[2:3], v[14:15], v[2:3]
	v_cmp_eq_u32_e64 s[10:11], 1, v9
	v_and_b32_e32 v8, 1, v1
	s_and_b64 s[2:3], s[10:11], s[2:3]
	v_cndmask_b32_e64 v1, v1, 1, s[10:11]
	v_cndmask_b32_e64 v2, v2, v14, s[2:3]
	;; [unrolled: 1-line block ×3, first 2 shown]
	v_cmp_eq_u32_e64 s[2:3], 1, v8
	v_cndmask_b32_e64 v1, v23, v1, s[2:3]
	v_cndmask_b32_e64 v3, v15, v3, s[2:3]
	;; [unrolled: 1-line block ×3, first 2 shown]
	s_or_b64 exec, exec, s[12:13]
	s_and_saveexec_b64 s[10:11], s[8:9]
	s_cbranch_execz .LBB2100_65
.LBB2100_245:
	v_and_b32_e32 v9, 1, v19
	v_cmp_lt_i64_e64 s[2:3], v[6:7], v[2:3]
	v_cmp_eq_u32_e64 s[8:9], 1, v9
	v_and_b32_e32 v8, 1, v1
	s_and_b64 s[2:3], s[8:9], s[2:3]
	v_cndmask_b32_e64 v1, v1, 1, s[8:9]
	v_cndmask_b32_e64 v2, v2, v6, s[2:3]
	v_cndmask_b32_e64 v3, v3, v7, s[2:3]
	v_cmp_eq_u32_e64 s[2:3], 1, v8
	v_cndmask_b32_e64 v1, v19, v1, s[2:3]
	v_cndmask_b32_e64 v3, v7, v3, s[2:3]
	;; [unrolled: 1-line block ×3, first 2 shown]
	s_or_b64 exec, exec, s[10:11]
	s_and_saveexec_b64 s[8:9], vcc
	s_cbranch_execz .LBB2100_66
.LBB2100_246:
	v_and_b32_e32 v7, 1, v22
	v_cmp_lt_i64_e32 vcc, v[12:13], v[2:3]
	v_cmp_eq_u32_e64 s[2:3], 1, v7
	v_and_b32_e32 v6, 1, v1
	s_and_b64 vcc, s[2:3], vcc
	v_cndmask_b32_e64 v1, v1, 1, s[2:3]
	v_cndmask_b32_e32 v2, v2, v12, vcc
	v_cndmask_b32_e32 v3, v3, v13, vcc
	v_cmp_eq_u32_e32 vcc, 1, v6
	v_cndmask_b32_e32 v1, v22, v1, vcc
	v_cndmask_b32_e32 v3, v13, v3, vcc
	;; [unrolled: 1-line block ×3, first 2 shown]
	s_or_b64 exec, exec, s[8:9]
	s_and_saveexec_b64 s[2:3], s[0:1]
	s_cbranch_execnz .LBB2100_67
	s_branch .LBB2100_68
.LBB2100_247:
	v_lshlrev_b32_e32 v1, 1, v0
	global_load_ushort v1, v1, s[12:13] offset:1536
	v_mov_b32_e32 v5, s17
	v_add_co_u32_e64 v4, s[8:9], s16, v13
	v_addc_co_u32_e64 v5, s[8:9], 0, v5, s[8:9]
	s_waitcnt vmcnt(0)
	v_lshlrev_b32_e32 v1, 16, v1
	v_cmp_eq_f32_e64 s[8:9], s27, v1
	v_cndmask_b32_e64 v1, 0, 1, s[8:9]
	s_or_b64 exec, exec, s[14:15]
	s_and_saveexec_b64 s[12:13], s[2:3]
	s_cbranch_execz .LBB2100_104
.LBB2100_248:
	v_and_b32_e32 v14, 1, v11
	v_cmp_lt_i64_e64 s[2:3], v[6:7], v[2:3]
	v_cmp_eq_u32_e64 s[8:9], 1, v14
	v_and_b32_e32 v13, 1, v10
	s_and_b64 s[2:3], s[8:9], s[2:3]
	v_cndmask_b32_e64 v10, v10, 1, s[8:9]
	v_cndmask_b32_e64 v2, v2, v6, s[2:3]
	;; [unrolled: 1-line block ×3, first 2 shown]
	v_cmp_eq_u32_e64 s[2:3], 1, v13
	v_cndmask_b32_e64 v10, v11, v10, s[2:3]
	v_cndmask_b32_e64 v3, v7, v3, s[2:3]
	;; [unrolled: 1-line block ×3, first 2 shown]
	s_or_b64 exec, exec, s[12:13]
	s_and_saveexec_b64 s[8:9], vcc
	s_cbranch_execz .LBB2100_105
.LBB2100_249:
	v_and_b32_e32 v7, 1, v12
	v_cmp_lt_i64_e32 vcc, v[8:9], v[2:3]
	v_cmp_eq_u32_e64 s[2:3], 1, v7
	v_and_b32_e32 v6, 1, v10
	s_and_b64 vcc, s[2:3], vcc
	v_cndmask_b32_e64 v7, v10, 1, s[2:3]
	v_cndmask_b32_e32 v2, v2, v8, vcc
	v_cndmask_b32_e32 v3, v3, v9, vcc
	v_cmp_eq_u32_e32 vcc, 1, v6
	v_cndmask_b32_e32 v10, v12, v7, vcc
	v_cndmask_b32_e32 v3, v9, v3, vcc
	;; [unrolled: 1-line block ×3, first 2 shown]
	s_or_b64 exec, exec, s[8:9]
	s_and_saveexec_b64 s[2:3], s[0:1]
	s_cbranch_execnz .LBB2100_106
	s_branch .LBB2100_107
	.section	.rodata,"a",@progbits
	.p2align	6, 0x0
	.amdhsa_kernel _ZN7rocprim17ROCPRIM_400000_NS6detail17trampoline_kernelINS0_14default_configENS1_22reduce_config_selectorIN6thrust23THRUST_200600_302600_NS5tupleIblNS6_9null_typeES8_S8_S8_S8_S8_S8_S8_EEEEZNS1_11reduce_implILb1ES3_NS6_12zip_iteratorINS7_INS6_11hip_rocprim26transform_input_iterator_tIbPN3c108BFloat16ENS6_6detail10functional5actorINSJ_9compositeIJNSJ_27transparent_binary_operatorINS6_8equal_toIvEEEENSK_INSJ_8argumentILj0EEEEENSJ_5valueISG_EEEEEEEEENSD_19counting_iterator_tIlEES8_S8_S8_S8_S8_S8_S8_S8_EEEEPS9_S9_NSD_9__find_if7functorIS9_EEEE10hipError_tPvRmT1_T2_T3_mT4_P12ihipStream_tbEUlT_E1_NS1_11comp_targetILNS1_3genE4ELNS1_11target_archE910ELNS1_3gpuE8ELNS1_3repE0EEENS1_30default_config_static_selectorELNS0_4arch9wavefront6targetE1EEEvS19_
		.amdhsa_group_segment_fixed_size 320
		.amdhsa_private_segment_fixed_size 0
		.amdhsa_kernarg_size 72
		.amdhsa_user_sgpr_count 6
		.amdhsa_user_sgpr_private_segment_buffer 1
		.amdhsa_user_sgpr_dispatch_ptr 0
		.amdhsa_user_sgpr_queue_ptr 0
		.amdhsa_user_sgpr_kernarg_segment_ptr 1
		.amdhsa_user_sgpr_dispatch_id 0
		.amdhsa_user_sgpr_flat_scratch_init 0
		.amdhsa_user_sgpr_kernarg_preload_length 0
		.amdhsa_user_sgpr_kernarg_preload_offset 0
		.amdhsa_user_sgpr_private_segment_size 0
		.amdhsa_uses_dynamic_stack 0
		.amdhsa_system_sgpr_private_segment_wavefront_offset 0
		.amdhsa_system_sgpr_workgroup_id_x 1
		.amdhsa_system_sgpr_workgroup_id_y 0
		.amdhsa_system_sgpr_workgroup_id_z 0
		.amdhsa_system_sgpr_workgroup_info 0
		.amdhsa_system_vgpr_workitem_id 0
		.amdhsa_next_free_vgpr 27
		.amdhsa_next_free_sgpr 40
		.amdhsa_accum_offset 28
		.amdhsa_reserve_vcc 1
		.amdhsa_reserve_flat_scratch 0
		.amdhsa_float_round_mode_32 0
		.amdhsa_float_round_mode_16_64 0
		.amdhsa_float_denorm_mode_32 3
		.amdhsa_float_denorm_mode_16_64 3
		.amdhsa_dx10_clamp 1
		.amdhsa_ieee_mode 1
		.amdhsa_fp16_overflow 0
		.amdhsa_tg_split 0
		.amdhsa_exception_fp_ieee_invalid_op 0
		.amdhsa_exception_fp_denorm_src 0
		.amdhsa_exception_fp_ieee_div_zero 0
		.amdhsa_exception_fp_ieee_overflow 0
		.amdhsa_exception_fp_ieee_underflow 0
		.amdhsa_exception_fp_ieee_inexact 0
		.amdhsa_exception_int_div_zero 0
	.end_amdhsa_kernel
	.section	.text._ZN7rocprim17ROCPRIM_400000_NS6detail17trampoline_kernelINS0_14default_configENS1_22reduce_config_selectorIN6thrust23THRUST_200600_302600_NS5tupleIblNS6_9null_typeES8_S8_S8_S8_S8_S8_S8_EEEEZNS1_11reduce_implILb1ES3_NS6_12zip_iteratorINS7_INS6_11hip_rocprim26transform_input_iterator_tIbPN3c108BFloat16ENS6_6detail10functional5actorINSJ_9compositeIJNSJ_27transparent_binary_operatorINS6_8equal_toIvEEEENSK_INSJ_8argumentILj0EEEEENSJ_5valueISG_EEEEEEEEENSD_19counting_iterator_tIlEES8_S8_S8_S8_S8_S8_S8_S8_EEEEPS9_S9_NSD_9__find_if7functorIS9_EEEE10hipError_tPvRmT1_T2_T3_mT4_P12ihipStream_tbEUlT_E1_NS1_11comp_targetILNS1_3genE4ELNS1_11target_archE910ELNS1_3gpuE8ELNS1_3repE0EEENS1_30default_config_static_selectorELNS0_4arch9wavefront6targetE1EEEvS19_,"axG",@progbits,_ZN7rocprim17ROCPRIM_400000_NS6detail17trampoline_kernelINS0_14default_configENS1_22reduce_config_selectorIN6thrust23THRUST_200600_302600_NS5tupleIblNS6_9null_typeES8_S8_S8_S8_S8_S8_S8_EEEEZNS1_11reduce_implILb1ES3_NS6_12zip_iteratorINS7_INS6_11hip_rocprim26transform_input_iterator_tIbPN3c108BFloat16ENS6_6detail10functional5actorINSJ_9compositeIJNSJ_27transparent_binary_operatorINS6_8equal_toIvEEEENSK_INSJ_8argumentILj0EEEEENSJ_5valueISG_EEEEEEEEENSD_19counting_iterator_tIlEES8_S8_S8_S8_S8_S8_S8_S8_EEEEPS9_S9_NSD_9__find_if7functorIS9_EEEE10hipError_tPvRmT1_T2_T3_mT4_P12ihipStream_tbEUlT_E1_NS1_11comp_targetILNS1_3genE4ELNS1_11target_archE910ELNS1_3gpuE8ELNS1_3repE0EEENS1_30default_config_static_selectorELNS0_4arch9wavefront6targetE1EEEvS19_,comdat
.Lfunc_end2100:
	.size	_ZN7rocprim17ROCPRIM_400000_NS6detail17trampoline_kernelINS0_14default_configENS1_22reduce_config_selectorIN6thrust23THRUST_200600_302600_NS5tupleIblNS6_9null_typeES8_S8_S8_S8_S8_S8_S8_EEEEZNS1_11reduce_implILb1ES3_NS6_12zip_iteratorINS7_INS6_11hip_rocprim26transform_input_iterator_tIbPN3c108BFloat16ENS6_6detail10functional5actorINSJ_9compositeIJNSJ_27transparent_binary_operatorINS6_8equal_toIvEEEENSK_INSJ_8argumentILj0EEEEENSJ_5valueISG_EEEEEEEEENSD_19counting_iterator_tIlEES8_S8_S8_S8_S8_S8_S8_S8_EEEEPS9_S9_NSD_9__find_if7functorIS9_EEEE10hipError_tPvRmT1_T2_T3_mT4_P12ihipStream_tbEUlT_E1_NS1_11comp_targetILNS1_3genE4ELNS1_11target_archE910ELNS1_3gpuE8ELNS1_3repE0EEENS1_30default_config_static_selectorELNS0_4arch9wavefront6targetE1EEEvS19_, .Lfunc_end2100-_ZN7rocprim17ROCPRIM_400000_NS6detail17trampoline_kernelINS0_14default_configENS1_22reduce_config_selectorIN6thrust23THRUST_200600_302600_NS5tupleIblNS6_9null_typeES8_S8_S8_S8_S8_S8_S8_EEEEZNS1_11reduce_implILb1ES3_NS6_12zip_iteratorINS7_INS6_11hip_rocprim26transform_input_iterator_tIbPN3c108BFloat16ENS6_6detail10functional5actorINSJ_9compositeIJNSJ_27transparent_binary_operatorINS6_8equal_toIvEEEENSK_INSJ_8argumentILj0EEEEENSJ_5valueISG_EEEEEEEEENSD_19counting_iterator_tIlEES8_S8_S8_S8_S8_S8_S8_S8_EEEEPS9_S9_NSD_9__find_if7functorIS9_EEEE10hipError_tPvRmT1_T2_T3_mT4_P12ihipStream_tbEUlT_E1_NS1_11comp_targetILNS1_3genE4ELNS1_11target_archE910ELNS1_3gpuE8ELNS1_3repE0EEENS1_30default_config_static_selectorELNS0_4arch9wavefront6targetE1EEEvS19_
                                        ; -- End function
	.section	.AMDGPU.csdata,"",@progbits
; Kernel info:
; codeLenInByte = 13064
; NumSgprs: 44
; NumVgprs: 27
; NumAgprs: 0
; TotalNumVgprs: 27
; ScratchSize: 0
; MemoryBound: 0
; FloatMode: 240
; IeeeMode: 1
; LDSByteSize: 320 bytes/workgroup (compile time only)
; SGPRBlocks: 5
; VGPRBlocks: 3
; NumSGPRsForWavesPerEU: 44
; NumVGPRsForWavesPerEU: 27
; AccumOffset: 28
; Occupancy: 8
; WaveLimiterHint : 1
; COMPUTE_PGM_RSRC2:SCRATCH_EN: 0
; COMPUTE_PGM_RSRC2:USER_SGPR: 6
; COMPUTE_PGM_RSRC2:TRAP_HANDLER: 0
; COMPUTE_PGM_RSRC2:TGID_X_EN: 1
; COMPUTE_PGM_RSRC2:TGID_Y_EN: 0
; COMPUTE_PGM_RSRC2:TGID_Z_EN: 0
; COMPUTE_PGM_RSRC2:TIDIG_COMP_CNT: 0
; COMPUTE_PGM_RSRC3_GFX90A:ACCUM_OFFSET: 6
; COMPUTE_PGM_RSRC3_GFX90A:TG_SPLIT: 0
	.section	.text._ZN7rocprim17ROCPRIM_400000_NS6detail17trampoline_kernelINS0_14default_configENS1_22reduce_config_selectorIN6thrust23THRUST_200600_302600_NS5tupleIblNS6_9null_typeES8_S8_S8_S8_S8_S8_S8_EEEEZNS1_11reduce_implILb1ES3_NS6_12zip_iteratorINS7_INS6_11hip_rocprim26transform_input_iterator_tIbPN3c108BFloat16ENS6_6detail10functional5actorINSJ_9compositeIJNSJ_27transparent_binary_operatorINS6_8equal_toIvEEEENSK_INSJ_8argumentILj0EEEEENSJ_5valueISG_EEEEEEEEENSD_19counting_iterator_tIlEES8_S8_S8_S8_S8_S8_S8_S8_EEEEPS9_S9_NSD_9__find_if7functorIS9_EEEE10hipError_tPvRmT1_T2_T3_mT4_P12ihipStream_tbEUlT_E1_NS1_11comp_targetILNS1_3genE3ELNS1_11target_archE908ELNS1_3gpuE7ELNS1_3repE0EEENS1_30default_config_static_selectorELNS0_4arch9wavefront6targetE1EEEvS19_,"axG",@progbits,_ZN7rocprim17ROCPRIM_400000_NS6detail17trampoline_kernelINS0_14default_configENS1_22reduce_config_selectorIN6thrust23THRUST_200600_302600_NS5tupleIblNS6_9null_typeES8_S8_S8_S8_S8_S8_S8_EEEEZNS1_11reduce_implILb1ES3_NS6_12zip_iteratorINS7_INS6_11hip_rocprim26transform_input_iterator_tIbPN3c108BFloat16ENS6_6detail10functional5actorINSJ_9compositeIJNSJ_27transparent_binary_operatorINS6_8equal_toIvEEEENSK_INSJ_8argumentILj0EEEEENSJ_5valueISG_EEEEEEEEENSD_19counting_iterator_tIlEES8_S8_S8_S8_S8_S8_S8_S8_EEEEPS9_S9_NSD_9__find_if7functorIS9_EEEE10hipError_tPvRmT1_T2_T3_mT4_P12ihipStream_tbEUlT_E1_NS1_11comp_targetILNS1_3genE3ELNS1_11target_archE908ELNS1_3gpuE7ELNS1_3repE0EEENS1_30default_config_static_selectorELNS0_4arch9wavefront6targetE1EEEvS19_,comdat
	.protected	_ZN7rocprim17ROCPRIM_400000_NS6detail17trampoline_kernelINS0_14default_configENS1_22reduce_config_selectorIN6thrust23THRUST_200600_302600_NS5tupleIblNS6_9null_typeES8_S8_S8_S8_S8_S8_S8_EEEEZNS1_11reduce_implILb1ES3_NS6_12zip_iteratorINS7_INS6_11hip_rocprim26transform_input_iterator_tIbPN3c108BFloat16ENS6_6detail10functional5actorINSJ_9compositeIJNSJ_27transparent_binary_operatorINS6_8equal_toIvEEEENSK_INSJ_8argumentILj0EEEEENSJ_5valueISG_EEEEEEEEENSD_19counting_iterator_tIlEES8_S8_S8_S8_S8_S8_S8_S8_EEEEPS9_S9_NSD_9__find_if7functorIS9_EEEE10hipError_tPvRmT1_T2_T3_mT4_P12ihipStream_tbEUlT_E1_NS1_11comp_targetILNS1_3genE3ELNS1_11target_archE908ELNS1_3gpuE7ELNS1_3repE0EEENS1_30default_config_static_selectorELNS0_4arch9wavefront6targetE1EEEvS19_ ; -- Begin function _ZN7rocprim17ROCPRIM_400000_NS6detail17trampoline_kernelINS0_14default_configENS1_22reduce_config_selectorIN6thrust23THRUST_200600_302600_NS5tupleIblNS6_9null_typeES8_S8_S8_S8_S8_S8_S8_EEEEZNS1_11reduce_implILb1ES3_NS6_12zip_iteratorINS7_INS6_11hip_rocprim26transform_input_iterator_tIbPN3c108BFloat16ENS6_6detail10functional5actorINSJ_9compositeIJNSJ_27transparent_binary_operatorINS6_8equal_toIvEEEENSK_INSJ_8argumentILj0EEEEENSJ_5valueISG_EEEEEEEEENSD_19counting_iterator_tIlEES8_S8_S8_S8_S8_S8_S8_S8_EEEEPS9_S9_NSD_9__find_if7functorIS9_EEEE10hipError_tPvRmT1_T2_T3_mT4_P12ihipStream_tbEUlT_E1_NS1_11comp_targetILNS1_3genE3ELNS1_11target_archE908ELNS1_3gpuE7ELNS1_3repE0EEENS1_30default_config_static_selectorELNS0_4arch9wavefront6targetE1EEEvS19_
	.globl	_ZN7rocprim17ROCPRIM_400000_NS6detail17trampoline_kernelINS0_14default_configENS1_22reduce_config_selectorIN6thrust23THRUST_200600_302600_NS5tupleIblNS6_9null_typeES8_S8_S8_S8_S8_S8_S8_EEEEZNS1_11reduce_implILb1ES3_NS6_12zip_iteratorINS7_INS6_11hip_rocprim26transform_input_iterator_tIbPN3c108BFloat16ENS6_6detail10functional5actorINSJ_9compositeIJNSJ_27transparent_binary_operatorINS6_8equal_toIvEEEENSK_INSJ_8argumentILj0EEEEENSJ_5valueISG_EEEEEEEEENSD_19counting_iterator_tIlEES8_S8_S8_S8_S8_S8_S8_S8_EEEEPS9_S9_NSD_9__find_if7functorIS9_EEEE10hipError_tPvRmT1_T2_T3_mT4_P12ihipStream_tbEUlT_E1_NS1_11comp_targetILNS1_3genE3ELNS1_11target_archE908ELNS1_3gpuE7ELNS1_3repE0EEENS1_30default_config_static_selectorELNS0_4arch9wavefront6targetE1EEEvS19_
	.p2align	8
	.type	_ZN7rocprim17ROCPRIM_400000_NS6detail17trampoline_kernelINS0_14default_configENS1_22reduce_config_selectorIN6thrust23THRUST_200600_302600_NS5tupleIblNS6_9null_typeES8_S8_S8_S8_S8_S8_S8_EEEEZNS1_11reduce_implILb1ES3_NS6_12zip_iteratorINS7_INS6_11hip_rocprim26transform_input_iterator_tIbPN3c108BFloat16ENS6_6detail10functional5actorINSJ_9compositeIJNSJ_27transparent_binary_operatorINS6_8equal_toIvEEEENSK_INSJ_8argumentILj0EEEEENSJ_5valueISG_EEEEEEEEENSD_19counting_iterator_tIlEES8_S8_S8_S8_S8_S8_S8_S8_EEEEPS9_S9_NSD_9__find_if7functorIS9_EEEE10hipError_tPvRmT1_T2_T3_mT4_P12ihipStream_tbEUlT_E1_NS1_11comp_targetILNS1_3genE3ELNS1_11target_archE908ELNS1_3gpuE7ELNS1_3repE0EEENS1_30default_config_static_selectorELNS0_4arch9wavefront6targetE1EEEvS19_,@function
_ZN7rocprim17ROCPRIM_400000_NS6detail17trampoline_kernelINS0_14default_configENS1_22reduce_config_selectorIN6thrust23THRUST_200600_302600_NS5tupleIblNS6_9null_typeES8_S8_S8_S8_S8_S8_S8_EEEEZNS1_11reduce_implILb1ES3_NS6_12zip_iteratorINS7_INS6_11hip_rocprim26transform_input_iterator_tIbPN3c108BFloat16ENS6_6detail10functional5actorINSJ_9compositeIJNSJ_27transparent_binary_operatorINS6_8equal_toIvEEEENSK_INSJ_8argumentILj0EEEEENSJ_5valueISG_EEEEEEEEENSD_19counting_iterator_tIlEES8_S8_S8_S8_S8_S8_S8_S8_EEEEPS9_S9_NSD_9__find_if7functorIS9_EEEE10hipError_tPvRmT1_T2_T3_mT4_P12ihipStream_tbEUlT_E1_NS1_11comp_targetILNS1_3genE3ELNS1_11target_archE908ELNS1_3gpuE7ELNS1_3repE0EEENS1_30default_config_static_selectorELNS0_4arch9wavefront6targetE1EEEvS19_: ; @_ZN7rocprim17ROCPRIM_400000_NS6detail17trampoline_kernelINS0_14default_configENS1_22reduce_config_selectorIN6thrust23THRUST_200600_302600_NS5tupleIblNS6_9null_typeES8_S8_S8_S8_S8_S8_S8_EEEEZNS1_11reduce_implILb1ES3_NS6_12zip_iteratorINS7_INS6_11hip_rocprim26transform_input_iterator_tIbPN3c108BFloat16ENS6_6detail10functional5actorINSJ_9compositeIJNSJ_27transparent_binary_operatorINS6_8equal_toIvEEEENSK_INSJ_8argumentILj0EEEEENSJ_5valueISG_EEEEEEEEENSD_19counting_iterator_tIlEES8_S8_S8_S8_S8_S8_S8_S8_EEEEPS9_S9_NSD_9__find_if7functorIS9_EEEE10hipError_tPvRmT1_T2_T3_mT4_P12ihipStream_tbEUlT_E1_NS1_11comp_targetILNS1_3genE3ELNS1_11target_archE908ELNS1_3gpuE7ELNS1_3repE0EEENS1_30default_config_static_selectorELNS0_4arch9wavefront6targetE1EEEvS19_
; %bb.0:
	.section	.rodata,"a",@progbits
	.p2align	6, 0x0
	.amdhsa_kernel _ZN7rocprim17ROCPRIM_400000_NS6detail17trampoline_kernelINS0_14default_configENS1_22reduce_config_selectorIN6thrust23THRUST_200600_302600_NS5tupleIblNS6_9null_typeES8_S8_S8_S8_S8_S8_S8_EEEEZNS1_11reduce_implILb1ES3_NS6_12zip_iteratorINS7_INS6_11hip_rocprim26transform_input_iterator_tIbPN3c108BFloat16ENS6_6detail10functional5actorINSJ_9compositeIJNSJ_27transparent_binary_operatorINS6_8equal_toIvEEEENSK_INSJ_8argumentILj0EEEEENSJ_5valueISG_EEEEEEEEENSD_19counting_iterator_tIlEES8_S8_S8_S8_S8_S8_S8_S8_EEEEPS9_S9_NSD_9__find_if7functorIS9_EEEE10hipError_tPvRmT1_T2_T3_mT4_P12ihipStream_tbEUlT_E1_NS1_11comp_targetILNS1_3genE3ELNS1_11target_archE908ELNS1_3gpuE7ELNS1_3repE0EEENS1_30default_config_static_selectorELNS0_4arch9wavefront6targetE1EEEvS19_
		.amdhsa_group_segment_fixed_size 0
		.amdhsa_private_segment_fixed_size 0
		.amdhsa_kernarg_size 72
		.amdhsa_user_sgpr_count 6
		.amdhsa_user_sgpr_private_segment_buffer 1
		.amdhsa_user_sgpr_dispatch_ptr 0
		.amdhsa_user_sgpr_queue_ptr 0
		.amdhsa_user_sgpr_kernarg_segment_ptr 1
		.amdhsa_user_sgpr_dispatch_id 0
		.amdhsa_user_sgpr_flat_scratch_init 0
		.amdhsa_user_sgpr_kernarg_preload_length 0
		.amdhsa_user_sgpr_kernarg_preload_offset 0
		.amdhsa_user_sgpr_private_segment_size 0
		.amdhsa_uses_dynamic_stack 0
		.amdhsa_system_sgpr_private_segment_wavefront_offset 0
		.amdhsa_system_sgpr_workgroup_id_x 1
		.amdhsa_system_sgpr_workgroup_id_y 0
		.amdhsa_system_sgpr_workgroup_id_z 0
		.amdhsa_system_sgpr_workgroup_info 0
		.amdhsa_system_vgpr_workitem_id 0
		.amdhsa_next_free_vgpr 1
		.amdhsa_next_free_sgpr 0
		.amdhsa_accum_offset 4
		.amdhsa_reserve_vcc 0
		.amdhsa_reserve_flat_scratch 0
		.amdhsa_float_round_mode_32 0
		.amdhsa_float_round_mode_16_64 0
		.amdhsa_float_denorm_mode_32 3
		.amdhsa_float_denorm_mode_16_64 3
		.amdhsa_dx10_clamp 1
		.amdhsa_ieee_mode 1
		.amdhsa_fp16_overflow 0
		.amdhsa_tg_split 0
		.amdhsa_exception_fp_ieee_invalid_op 0
		.amdhsa_exception_fp_denorm_src 0
		.amdhsa_exception_fp_ieee_div_zero 0
		.amdhsa_exception_fp_ieee_overflow 0
		.amdhsa_exception_fp_ieee_underflow 0
		.amdhsa_exception_fp_ieee_inexact 0
		.amdhsa_exception_int_div_zero 0
	.end_amdhsa_kernel
	.section	.text._ZN7rocprim17ROCPRIM_400000_NS6detail17trampoline_kernelINS0_14default_configENS1_22reduce_config_selectorIN6thrust23THRUST_200600_302600_NS5tupleIblNS6_9null_typeES8_S8_S8_S8_S8_S8_S8_EEEEZNS1_11reduce_implILb1ES3_NS6_12zip_iteratorINS7_INS6_11hip_rocprim26transform_input_iterator_tIbPN3c108BFloat16ENS6_6detail10functional5actorINSJ_9compositeIJNSJ_27transparent_binary_operatorINS6_8equal_toIvEEEENSK_INSJ_8argumentILj0EEEEENSJ_5valueISG_EEEEEEEEENSD_19counting_iterator_tIlEES8_S8_S8_S8_S8_S8_S8_S8_EEEEPS9_S9_NSD_9__find_if7functorIS9_EEEE10hipError_tPvRmT1_T2_T3_mT4_P12ihipStream_tbEUlT_E1_NS1_11comp_targetILNS1_3genE3ELNS1_11target_archE908ELNS1_3gpuE7ELNS1_3repE0EEENS1_30default_config_static_selectorELNS0_4arch9wavefront6targetE1EEEvS19_,"axG",@progbits,_ZN7rocprim17ROCPRIM_400000_NS6detail17trampoline_kernelINS0_14default_configENS1_22reduce_config_selectorIN6thrust23THRUST_200600_302600_NS5tupleIblNS6_9null_typeES8_S8_S8_S8_S8_S8_S8_EEEEZNS1_11reduce_implILb1ES3_NS6_12zip_iteratorINS7_INS6_11hip_rocprim26transform_input_iterator_tIbPN3c108BFloat16ENS6_6detail10functional5actorINSJ_9compositeIJNSJ_27transparent_binary_operatorINS6_8equal_toIvEEEENSK_INSJ_8argumentILj0EEEEENSJ_5valueISG_EEEEEEEEENSD_19counting_iterator_tIlEES8_S8_S8_S8_S8_S8_S8_S8_EEEEPS9_S9_NSD_9__find_if7functorIS9_EEEE10hipError_tPvRmT1_T2_T3_mT4_P12ihipStream_tbEUlT_E1_NS1_11comp_targetILNS1_3genE3ELNS1_11target_archE908ELNS1_3gpuE7ELNS1_3repE0EEENS1_30default_config_static_selectorELNS0_4arch9wavefront6targetE1EEEvS19_,comdat
.Lfunc_end2101:
	.size	_ZN7rocprim17ROCPRIM_400000_NS6detail17trampoline_kernelINS0_14default_configENS1_22reduce_config_selectorIN6thrust23THRUST_200600_302600_NS5tupleIblNS6_9null_typeES8_S8_S8_S8_S8_S8_S8_EEEEZNS1_11reduce_implILb1ES3_NS6_12zip_iteratorINS7_INS6_11hip_rocprim26transform_input_iterator_tIbPN3c108BFloat16ENS6_6detail10functional5actorINSJ_9compositeIJNSJ_27transparent_binary_operatorINS6_8equal_toIvEEEENSK_INSJ_8argumentILj0EEEEENSJ_5valueISG_EEEEEEEEENSD_19counting_iterator_tIlEES8_S8_S8_S8_S8_S8_S8_S8_EEEEPS9_S9_NSD_9__find_if7functorIS9_EEEE10hipError_tPvRmT1_T2_T3_mT4_P12ihipStream_tbEUlT_E1_NS1_11comp_targetILNS1_3genE3ELNS1_11target_archE908ELNS1_3gpuE7ELNS1_3repE0EEENS1_30default_config_static_selectorELNS0_4arch9wavefront6targetE1EEEvS19_, .Lfunc_end2101-_ZN7rocprim17ROCPRIM_400000_NS6detail17trampoline_kernelINS0_14default_configENS1_22reduce_config_selectorIN6thrust23THRUST_200600_302600_NS5tupleIblNS6_9null_typeES8_S8_S8_S8_S8_S8_S8_EEEEZNS1_11reduce_implILb1ES3_NS6_12zip_iteratorINS7_INS6_11hip_rocprim26transform_input_iterator_tIbPN3c108BFloat16ENS6_6detail10functional5actorINSJ_9compositeIJNSJ_27transparent_binary_operatorINS6_8equal_toIvEEEENSK_INSJ_8argumentILj0EEEEENSJ_5valueISG_EEEEEEEEENSD_19counting_iterator_tIlEES8_S8_S8_S8_S8_S8_S8_S8_EEEEPS9_S9_NSD_9__find_if7functorIS9_EEEE10hipError_tPvRmT1_T2_T3_mT4_P12ihipStream_tbEUlT_E1_NS1_11comp_targetILNS1_3genE3ELNS1_11target_archE908ELNS1_3gpuE7ELNS1_3repE0EEENS1_30default_config_static_selectorELNS0_4arch9wavefront6targetE1EEEvS19_
                                        ; -- End function
	.section	.AMDGPU.csdata,"",@progbits
; Kernel info:
; codeLenInByte = 0
; NumSgprs: 4
; NumVgprs: 0
; NumAgprs: 0
; TotalNumVgprs: 0
; ScratchSize: 0
; MemoryBound: 0
; FloatMode: 240
; IeeeMode: 1
; LDSByteSize: 0 bytes/workgroup (compile time only)
; SGPRBlocks: 0
; VGPRBlocks: 0
; NumSGPRsForWavesPerEU: 4
; NumVGPRsForWavesPerEU: 1
; AccumOffset: 4
; Occupancy: 8
; WaveLimiterHint : 0
; COMPUTE_PGM_RSRC2:SCRATCH_EN: 0
; COMPUTE_PGM_RSRC2:USER_SGPR: 6
; COMPUTE_PGM_RSRC2:TRAP_HANDLER: 0
; COMPUTE_PGM_RSRC2:TGID_X_EN: 1
; COMPUTE_PGM_RSRC2:TGID_Y_EN: 0
; COMPUTE_PGM_RSRC2:TGID_Z_EN: 0
; COMPUTE_PGM_RSRC2:TIDIG_COMP_CNT: 0
; COMPUTE_PGM_RSRC3_GFX90A:ACCUM_OFFSET: 0
; COMPUTE_PGM_RSRC3_GFX90A:TG_SPLIT: 0
	.section	.text._ZN7rocprim17ROCPRIM_400000_NS6detail17trampoline_kernelINS0_14default_configENS1_22reduce_config_selectorIN6thrust23THRUST_200600_302600_NS5tupleIblNS6_9null_typeES8_S8_S8_S8_S8_S8_S8_EEEEZNS1_11reduce_implILb1ES3_NS6_12zip_iteratorINS7_INS6_11hip_rocprim26transform_input_iterator_tIbPN3c108BFloat16ENS6_6detail10functional5actorINSJ_9compositeIJNSJ_27transparent_binary_operatorINS6_8equal_toIvEEEENSK_INSJ_8argumentILj0EEEEENSJ_5valueISG_EEEEEEEEENSD_19counting_iterator_tIlEES8_S8_S8_S8_S8_S8_S8_S8_EEEEPS9_S9_NSD_9__find_if7functorIS9_EEEE10hipError_tPvRmT1_T2_T3_mT4_P12ihipStream_tbEUlT_E1_NS1_11comp_targetILNS1_3genE2ELNS1_11target_archE906ELNS1_3gpuE6ELNS1_3repE0EEENS1_30default_config_static_selectorELNS0_4arch9wavefront6targetE1EEEvS19_,"axG",@progbits,_ZN7rocprim17ROCPRIM_400000_NS6detail17trampoline_kernelINS0_14default_configENS1_22reduce_config_selectorIN6thrust23THRUST_200600_302600_NS5tupleIblNS6_9null_typeES8_S8_S8_S8_S8_S8_S8_EEEEZNS1_11reduce_implILb1ES3_NS6_12zip_iteratorINS7_INS6_11hip_rocprim26transform_input_iterator_tIbPN3c108BFloat16ENS6_6detail10functional5actorINSJ_9compositeIJNSJ_27transparent_binary_operatorINS6_8equal_toIvEEEENSK_INSJ_8argumentILj0EEEEENSJ_5valueISG_EEEEEEEEENSD_19counting_iterator_tIlEES8_S8_S8_S8_S8_S8_S8_S8_EEEEPS9_S9_NSD_9__find_if7functorIS9_EEEE10hipError_tPvRmT1_T2_T3_mT4_P12ihipStream_tbEUlT_E1_NS1_11comp_targetILNS1_3genE2ELNS1_11target_archE906ELNS1_3gpuE6ELNS1_3repE0EEENS1_30default_config_static_selectorELNS0_4arch9wavefront6targetE1EEEvS19_,comdat
	.protected	_ZN7rocprim17ROCPRIM_400000_NS6detail17trampoline_kernelINS0_14default_configENS1_22reduce_config_selectorIN6thrust23THRUST_200600_302600_NS5tupleIblNS6_9null_typeES8_S8_S8_S8_S8_S8_S8_EEEEZNS1_11reduce_implILb1ES3_NS6_12zip_iteratorINS7_INS6_11hip_rocprim26transform_input_iterator_tIbPN3c108BFloat16ENS6_6detail10functional5actorINSJ_9compositeIJNSJ_27transparent_binary_operatorINS6_8equal_toIvEEEENSK_INSJ_8argumentILj0EEEEENSJ_5valueISG_EEEEEEEEENSD_19counting_iterator_tIlEES8_S8_S8_S8_S8_S8_S8_S8_EEEEPS9_S9_NSD_9__find_if7functorIS9_EEEE10hipError_tPvRmT1_T2_T3_mT4_P12ihipStream_tbEUlT_E1_NS1_11comp_targetILNS1_3genE2ELNS1_11target_archE906ELNS1_3gpuE6ELNS1_3repE0EEENS1_30default_config_static_selectorELNS0_4arch9wavefront6targetE1EEEvS19_ ; -- Begin function _ZN7rocprim17ROCPRIM_400000_NS6detail17trampoline_kernelINS0_14default_configENS1_22reduce_config_selectorIN6thrust23THRUST_200600_302600_NS5tupleIblNS6_9null_typeES8_S8_S8_S8_S8_S8_S8_EEEEZNS1_11reduce_implILb1ES3_NS6_12zip_iteratorINS7_INS6_11hip_rocprim26transform_input_iterator_tIbPN3c108BFloat16ENS6_6detail10functional5actorINSJ_9compositeIJNSJ_27transparent_binary_operatorINS6_8equal_toIvEEEENSK_INSJ_8argumentILj0EEEEENSJ_5valueISG_EEEEEEEEENSD_19counting_iterator_tIlEES8_S8_S8_S8_S8_S8_S8_S8_EEEEPS9_S9_NSD_9__find_if7functorIS9_EEEE10hipError_tPvRmT1_T2_T3_mT4_P12ihipStream_tbEUlT_E1_NS1_11comp_targetILNS1_3genE2ELNS1_11target_archE906ELNS1_3gpuE6ELNS1_3repE0EEENS1_30default_config_static_selectorELNS0_4arch9wavefront6targetE1EEEvS19_
	.globl	_ZN7rocprim17ROCPRIM_400000_NS6detail17trampoline_kernelINS0_14default_configENS1_22reduce_config_selectorIN6thrust23THRUST_200600_302600_NS5tupleIblNS6_9null_typeES8_S8_S8_S8_S8_S8_S8_EEEEZNS1_11reduce_implILb1ES3_NS6_12zip_iteratorINS7_INS6_11hip_rocprim26transform_input_iterator_tIbPN3c108BFloat16ENS6_6detail10functional5actorINSJ_9compositeIJNSJ_27transparent_binary_operatorINS6_8equal_toIvEEEENSK_INSJ_8argumentILj0EEEEENSJ_5valueISG_EEEEEEEEENSD_19counting_iterator_tIlEES8_S8_S8_S8_S8_S8_S8_S8_EEEEPS9_S9_NSD_9__find_if7functorIS9_EEEE10hipError_tPvRmT1_T2_T3_mT4_P12ihipStream_tbEUlT_E1_NS1_11comp_targetILNS1_3genE2ELNS1_11target_archE906ELNS1_3gpuE6ELNS1_3repE0EEENS1_30default_config_static_selectorELNS0_4arch9wavefront6targetE1EEEvS19_
	.p2align	8
	.type	_ZN7rocprim17ROCPRIM_400000_NS6detail17trampoline_kernelINS0_14default_configENS1_22reduce_config_selectorIN6thrust23THRUST_200600_302600_NS5tupleIblNS6_9null_typeES8_S8_S8_S8_S8_S8_S8_EEEEZNS1_11reduce_implILb1ES3_NS6_12zip_iteratorINS7_INS6_11hip_rocprim26transform_input_iterator_tIbPN3c108BFloat16ENS6_6detail10functional5actorINSJ_9compositeIJNSJ_27transparent_binary_operatorINS6_8equal_toIvEEEENSK_INSJ_8argumentILj0EEEEENSJ_5valueISG_EEEEEEEEENSD_19counting_iterator_tIlEES8_S8_S8_S8_S8_S8_S8_S8_EEEEPS9_S9_NSD_9__find_if7functorIS9_EEEE10hipError_tPvRmT1_T2_T3_mT4_P12ihipStream_tbEUlT_E1_NS1_11comp_targetILNS1_3genE2ELNS1_11target_archE906ELNS1_3gpuE6ELNS1_3repE0EEENS1_30default_config_static_selectorELNS0_4arch9wavefront6targetE1EEEvS19_,@function
_ZN7rocprim17ROCPRIM_400000_NS6detail17trampoline_kernelINS0_14default_configENS1_22reduce_config_selectorIN6thrust23THRUST_200600_302600_NS5tupleIblNS6_9null_typeES8_S8_S8_S8_S8_S8_S8_EEEEZNS1_11reduce_implILb1ES3_NS6_12zip_iteratorINS7_INS6_11hip_rocprim26transform_input_iterator_tIbPN3c108BFloat16ENS6_6detail10functional5actorINSJ_9compositeIJNSJ_27transparent_binary_operatorINS6_8equal_toIvEEEENSK_INSJ_8argumentILj0EEEEENSJ_5valueISG_EEEEEEEEENSD_19counting_iterator_tIlEES8_S8_S8_S8_S8_S8_S8_S8_EEEEPS9_S9_NSD_9__find_if7functorIS9_EEEE10hipError_tPvRmT1_T2_T3_mT4_P12ihipStream_tbEUlT_E1_NS1_11comp_targetILNS1_3genE2ELNS1_11target_archE906ELNS1_3gpuE6ELNS1_3repE0EEENS1_30default_config_static_selectorELNS0_4arch9wavefront6targetE1EEEvS19_: ; @_ZN7rocprim17ROCPRIM_400000_NS6detail17trampoline_kernelINS0_14default_configENS1_22reduce_config_selectorIN6thrust23THRUST_200600_302600_NS5tupleIblNS6_9null_typeES8_S8_S8_S8_S8_S8_S8_EEEEZNS1_11reduce_implILb1ES3_NS6_12zip_iteratorINS7_INS6_11hip_rocprim26transform_input_iterator_tIbPN3c108BFloat16ENS6_6detail10functional5actorINSJ_9compositeIJNSJ_27transparent_binary_operatorINS6_8equal_toIvEEEENSK_INSJ_8argumentILj0EEEEENSJ_5valueISG_EEEEEEEEENSD_19counting_iterator_tIlEES8_S8_S8_S8_S8_S8_S8_S8_EEEEPS9_S9_NSD_9__find_if7functorIS9_EEEE10hipError_tPvRmT1_T2_T3_mT4_P12ihipStream_tbEUlT_E1_NS1_11comp_targetILNS1_3genE2ELNS1_11target_archE906ELNS1_3gpuE6ELNS1_3repE0EEENS1_30default_config_static_selectorELNS0_4arch9wavefront6targetE1EEEvS19_
; %bb.0:
	.section	.rodata,"a",@progbits
	.p2align	6, 0x0
	.amdhsa_kernel _ZN7rocprim17ROCPRIM_400000_NS6detail17trampoline_kernelINS0_14default_configENS1_22reduce_config_selectorIN6thrust23THRUST_200600_302600_NS5tupleIblNS6_9null_typeES8_S8_S8_S8_S8_S8_S8_EEEEZNS1_11reduce_implILb1ES3_NS6_12zip_iteratorINS7_INS6_11hip_rocprim26transform_input_iterator_tIbPN3c108BFloat16ENS6_6detail10functional5actorINSJ_9compositeIJNSJ_27transparent_binary_operatorINS6_8equal_toIvEEEENSK_INSJ_8argumentILj0EEEEENSJ_5valueISG_EEEEEEEEENSD_19counting_iterator_tIlEES8_S8_S8_S8_S8_S8_S8_S8_EEEEPS9_S9_NSD_9__find_if7functorIS9_EEEE10hipError_tPvRmT1_T2_T3_mT4_P12ihipStream_tbEUlT_E1_NS1_11comp_targetILNS1_3genE2ELNS1_11target_archE906ELNS1_3gpuE6ELNS1_3repE0EEENS1_30default_config_static_selectorELNS0_4arch9wavefront6targetE1EEEvS19_
		.amdhsa_group_segment_fixed_size 0
		.amdhsa_private_segment_fixed_size 0
		.amdhsa_kernarg_size 72
		.amdhsa_user_sgpr_count 6
		.amdhsa_user_sgpr_private_segment_buffer 1
		.amdhsa_user_sgpr_dispatch_ptr 0
		.amdhsa_user_sgpr_queue_ptr 0
		.amdhsa_user_sgpr_kernarg_segment_ptr 1
		.amdhsa_user_sgpr_dispatch_id 0
		.amdhsa_user_sgpr_flat_scratch_init 0
		.amdhsa_user_sgpr_kernarg_preload_length 0
		.amdhsa_user_sgpr_kernarg_preload_offset 0
		.amdhsa_user_sgpr_private_segment_size 0
		.amdhsa_uses_dynamic_stack 0
		.amdhsa_system_sgpr_private_segment_wavefront_offset 0
		.amdhsa_system_sgpr_workgroup_id_x 1
		.amdhsa_system_sgpr_workgroup_id_y 0
		.amdhsa_system_sgpr_workgroup_id_z 0
		.amdhsa_system_sgpr_workgroup_info 0
		.amdhsa_system_vgpr_workitem_id 0
		.amdhsa_next_free_vgpr 1
		.amdhsa_next_free_sgpr 0
		.amdhsa_accum_offset 4
		.amdhsa_reserve_vcc 0
		.amdhsa_reserve_flat_scratch 0
		.amdhsa_float_round_mode_32 0
		.amdhsa_float_round_mode_16_64 0
		.amdhsa_float_denorm_mode_32 3
		.amdhsa_float_denorm_mode_16_64 3
		.amdhsa_dx10_clamp 1
		.amdhsa_ieee_mode 1
		.amdhsa_fp16_overflow 0
		.amdhsa_tg_split 0
		.amdhsa_exception_fp_ieee_invalid_op 0
		.amdhsa_exception_fp_denorm_src 0
		.amdhsa_exception_fp_ieee_div_zero 0
		.amdhsa_exception_fp_ieee_overflow 0
		.amdhsa_exception_fp_ieee_underflow 0
		.amdhsa_exception_fp_ieee_inexact 0
		.amdhsa_exception_int_div_zero 0
	.end_amdhsa_kernel
	.section	.text._ZN7rocprim17ROCPRIM_400000_NS6detail17trampoline_kernelINS0_14default_configENS1_22reduce_config_selectorIN6thrust23THRUST_200600_302600_NS5tupleIblNS6_9null_typeES8_S8_S8_S8_S8_S8_S8_EEEEZNS1_11reduce_implILb1ES3_NS6_12zip_iteratorINS7_INS6_11hip_rocprim26transform_input_iterator_tIbPN3c108BFloat16ENS6_6detail10functional5actorINSJ_9compositeIJNSJ_27transparent_binary_operatorINS6_8equal_toIvEEEENSK_INSJ_8argumentILj0EEEEENSJ_5valueISG_EEEEEEEEENSD_19counting_iterator_tIlEES8_S8_S8_S8_S8_S8_S8_S8_EEEEPS9_S9_NSD_9__find_if7functorIS9_EEEE10hipError_tPvRmT1_T2_T3_mT4_P12ihipStream_tbEUlT_E1_NS1_11comp_targetILNS1_3genE2ELNS1_11target_archE906ELNS1_3gpuE6ELNS1_3repE0EEENS1_30default_config_static_selectorELNS0_4arch9wavefront6targetE1EEEvS19_,"axG",@progbits,_ZN7rocprim17ROCPRIM_400000_NS6detail17trampoline_kernelINS0_14default_configENS1_22reduce_config_selectorIN6thrust23THRUST_200600_302600_NS5tupleIblNS6_9null_typeES8_S8_S8_S8_S8_S8_S8_EEEEZNS1_11reduce_implILb1ES3_NS6_12zip_iteratorINS7_INS6_11hip_rocprim26transform_input_iterator_tIbPN3c108BFloat16ENS6_6detail10functional5actorINSJ_9compositeIJNSJ_27transparent_binary_operatorINS6_8equal_toIvEEEENSK_INSJ_8argumentILj0EEEEENSJ_5valueISG_EEEEEEEEENSD_19counting_iterator_tIlEES8_S8_S8_S8_S8_S8_S8_S8_EEEEPS9_S9_NSD_9__find_if7functorIS9_EEEE10hipError_tPvRmT1_T2_T3_mT4_P12ihipStream_tbEUlT_E1_NS1_11comp_targetILNS1_3genE2ELNS1_11target_archE906ELNS1_3gpuE6ELNS1_3repE0EEENS1_30default_config_static_selectorELNS0_4arch9wavefront6targetE1EEEvS19_,comdat
.Lfunc_end2102:
	.size	_ZN7rocprim17ROCPRIM_400000_NS6detail17trampoline_kernelINS0_14default_configENS1_22reduce_config_selectorIN6thrust23THRUST_200600_302600_NS5tupleIblNS6_9null_typeES8_S8_S8_S8_S8_S8_S8_EEEEZNS1_11reduce_implILb1ES3_NS6_12zip_iteratorINS7_INS6_11hip_rocprim26transform_input_iterator_tIbPN3c108BFloat16ENS6_6detail10functional5actorINSJ_9compositeIJNSJ_27transparent_binary_operatorINS6_8equal_toIvEEEENSK_INSJ_8argumentILj0EEEEENSJ_5valueISG_EEEEEEEEENSD_19counting_iterator_tIlEES8_S8_S8_S8_S8_S8_S8_S8_EEEEPS9_S9_NSD_9__find_if7functorIS9_EEEE10hipError_tPvRmT1_T2_T3_mT4_P12ihipStream_tbEUlT_E1_NS1_11comp_targetILNS1_3genE2ELNS1_11target_archE906ELNS1_3gpuE6ELNS1_3repE0EEENS1_30default_config_static_selectorELNS0_4arch9wavefront6targetE1EEEvS19_, .Lfunc_end2102-_ZN7rocprim17ROCPRIM_400000_NS6detail17trampoline_kernelINS0_14default_configENS1_22reduce_config_selectorIN6thrust23THRUST_200600_302600_NS5tupleIblNS6_9null_typeES8_S8_S8_S8_S8_S8_S8_EEEEZNS1_11reduce_implILb1ES3_NS6_12zip_iteratorINS7_INS6_11hip_rocprim26transform_input_iterator_tIbPN3c108BFloat16ENS6_6detail10functional5actorINSJ_9compositeIJNSJ_27transparent_binary_operatorINS6_8equal_toIvEEEENSK_INSJ_8argumentILj0EEEEENSJ_5valueISG_EEEEEEEEENSD_19counting_iterator_tIlEES8_S8_S8_S8_S8_S8_S8_S8_EEEEPS9_S9_NSD_9__find_if7functorIS9_EEEE10hipError_tPvRmT1_T2_T3_mT4_P12ihipStream_tbEUlT_E1_NS1_11comp_targetILNS1_3genE2ELNS1_11target_archE906ELNS1_3gpuE6ELNS1_3repE0EEENS1_30default_config_static_selectorELNS0_4arch9wavefront6targetE1EEEvS19_
                                        ; -- End function
	.section	.AMDGPU.csdata,"",@progbits
; Kernel info:
; codeLenInByte = 0
; NumSgprs: 4
; NumVgprs: 0
; NumAgprs: 0
; TotalNumVgprs: 0
; ScratchSize: 0
; MemoryBound: 0
; FloatMode: 240
; IeeeMode: 1
; LDSByteSize: 0 bytes/workgroup (compile time only)
; SGPRBlocks: 0
; VGPRBlocks: 0
; NumSGPRsForWavesPerEU: 4
; NumVGPRsForWavesPerEU: 1
; AccumOffset: 4
; Occupancy: 8
; WaveLimiterHint : 0
; COMPUTE_PGM_RSRC2:SCRATCH_EN: 0
; COMPUTE_PGM_RSRC2:USER_SGPR: 6
; COMPUTE_PGM_RSRC2:TRAP_HANDLER: 0
; COMPUTE_PGM_RSRC2:TGID_X_EN: 1
; COMPUTE_PGM_RSRC2:TGID_Y_EN: 0
; COMPUTE_PGM_RSRC2:TGID_Z_EN: 0
; COMPUTE_PGM_RSRC2:TIDIG_COMP_CNT: 0
; COMPUTE_PGM_RSRC3_GFX90A:ACCUM_OFFSET: 0
; COMPUTE_PGM_RSRC3_GFX90A:TG_SPLIT: 0
	.section	.text._ZN7rocprim17ROCPRIM_400000_NS6detail17trampoline_kernelINS0_14default_configENS1_22reduce_config_selectorIN6thrust23THRUST_200600_302600_NS5tupleIblNS6_9null_typeES8_S8_S8_S8_S8_S8_S8_EEEEZNS1_11reduce_implILb1ES3_NS6_12zip_iteratorINS7_INS6_11hip_rocprim26transform_input_iterator_tIbPN3c108BFloat16ENS6_6detail10functional5actorINSJ_9compositeIJNSJ_27transparent_binary_operatorINS6_8equal_toIvEEEENSK_INSJ_8argumentILj0EEEEENSJ_5valueISG_EEEEEEEEENSD_19counting_iterator_tIlEES8_S8_S8_S8_S8_S8_S8_S8_EEEEPS9_S9_NSD_9__find_if7functorIS9_EEEE10hipError_tPvRmT1_T2_T3_mT4_P12ihipStream_tbEUlT_E1_NS1_11comp_targetILNS1_3genE10ELNS1_11target_archE1201ELNS1_3gpuE5ELNS1_3repE0EEENS1_30default_config_static_selectorELNS0_4arch9wavefront6targetE1EEEvS19_,"axG",@progbits,_ZN7rocprim17ROCPRIM_400000_NS6detail17trampoline_kernelINS0_14default_configENS1_22reduce_config_selectorIN6thrust23THRUST_200600_302600_NS5tupleIblNS6_9null_typeES8_S8_S8_S8_S8_S8_S8_EEEEZNS1_11reduce_implILb1ES3_NS6_12zip_iteratorINS7_INS6_11hip_rocprim26transform_input_iterator_tIbPN3c108BFloat16ENS6_6detail10functional5actorINSJ_9compositeIJNSJ_27transparent_binary_operatorINS6_8equal_toIvEEEENSK_INSJ_8argumentILj0EEEEENSJ_5valueISG_EEEEEEEEENSD_19counting_iterator_tIlEES8_S8_S8_S8_S8_S8_S8_S8_EEEEPS9_S9_NSD_9__find_if7functorIS9_EEEE10hipError_tPvRmT1_T2_T3_mT4_P12ihipStream_tbEUlT_E1_NS1_11comp_targetILNS1_3genE10ELNS1_11target_archE1201ELNS1_3gpuE5ELNS1_3repE0EEENS1_30default_config_static_selectorELNS0_4arch9wavefront6targetE1EEEvS19_,comdat
	.protected	_ZN7rocprim17ROCPRIM_400000_NS6detail17trampoline_kernelINS0_14default_configENS1_22reduce_config_selectorIN6thrust23THRUST_200600_302600_NS5tupleIblNS6_9null_typeES8_S8_S8_S8_S8_S8_S8_EEEEZNS1_11reduce_implILb1ES3_NS6_12zip_iteratorINS7_INS6_11hip_rocprim26transform_input_iterator_tIbPN3c108BFloat16ENS6_6detail10functional5actorINSJ_9compositeIJNSJ_27transparent_binary_operatorINS6_8equal_toIvEEEENSK_INSJ_8argumentILj0EEEEENSJ_5valueISG_EEEEEEEEENSD_19counting_iterator_tIlEES8_S8_S8_S8_S8_S8_S8_S8_EEEEPS9_S9_NSD_9__find_if7functorIS9_EEEE10hipError_tPvRmT1_T2_T3_mT4_P12ihipStream_tbEUlT_E1_NS1_11comp_targetILNS1_3genE10ELNS1_11target_archE1201ELNS1_3gpuE5ELNS1_3repE0EEENS1_30default_config_static_selectorELNS0_4arch9wavefront6targetE1EEEvS19_ ; -- Begin function _ZN7rocprim17ROCPRIM_400000_NS6detail17trampoline_kernelINS0_14default_configENS1_22reduce_config_selectorIN6thrust23THRUST_200600_302600_NS5tupleIblNS6_9null_typeES8_S8_S8_S8_S8_S8_S8_EEEEZNS1_11reduce_implILb1ES3_NS6_12zip_iteratorINS7_INS6_11hip_rocprim26transform_input_iterator_tIbPN3c108BFloat16ENS6_6detail10functional5actorINSJ_9compositeIJNSJ_27transparent_binary_operatorINS6_8equal_toIvEEEENSK_INSJ_8argumentILj0EEEEENSJ_5valueISG_EEEEEEEEENSD_19counting_iterator_tIlEES8_S8_S8_S8_S8_S8_S8_S8_EEEEPS9_S9_NSD_9__find_if7functorIS9_EEEE10hipError_tPvRmT1_T2_T3_mT4_P12ihipStream_tbEUlT_E1_NS1_11comp_targetILNS1_3genE10ELNS1_11target_archE1201ELNS1_3gpuE5ELNS1_3repE0EEENS1_30default_config_static_selectorELNS0_4arch9wavefront6targetE1EEEvS19_
	.globl	_ZN7rocprim17ROCPRIM_400000_NS6detail17trampoline_kernelINS0_14default_configENS1_22reduce_config_selectorIN6thrust23THRUST_200600_302600_NS5tupleIblNS6_9null_typeES8_S8_S8_S8_S8_S8_S8_EEEEZNS1_11reduce_implILb1ES3_NS6_12zip_iteratorINS7_INS6_11hip_rocprim26transform_input_iterator_tIbPN3c108BFloat16ENS6_6detail10functional5actorINSJ_9compositeIJNSJ_27transparent_binary_operatorINS6_8equal_toIvEEEENSK_INSJ_8argumentILj0EEEEENSJ_5valueISG_EEEEEEEEENSD_19counting_iterator_tIlEES8_S8_S8_S8_S8_S8_S8_S8_EEEEPS9_S9_NSD_9__find_if7functorIS9_EEEE10hipError_tPvRmT1_T2_T3_mT4_P12ihipStream_tbEUlT_E1_NS1_11comp_targetILNS1_3genE10ELNS1_11target_archE1201ELNS1_3gpuE5ELNS1_3repE0EEENS1_30default_config_static_selectorELNS0_4arch9wavefront6targetE1EEEvS19_
	.p2align	8
	.type	_ZN7rocprim17ROCPRIM_400000_NS6detail17trampoline_kernelINS0_14default_configENS1_22reduce_config_selectorIN6thrust23THRUST_200600_302600_NS5tupleIblNS6_9null_typeES8_S8_S8_S8_S8_S8_S8_EEEEZNS1_11reduce_implILb1ES3_NS6_12zip_iteratorINS7_INS6_11hip_rocprim26transform_input_iterator_tIbPN3c108BFloat16ENS6_6detail10functional5actorINSJ_9compositeIJNSJ_27transparent_binary_operatorINS6_8equal_toIvEEEENSK_INSJ_8argumentILj0EEEEENSJ_5valueISG_EEEEEEEEENSD_19counting_iterator_tIlEES8_S8_S8_S8_S8_S8_S8_S8_EEEEPS9_S9_NSD_9__find_if7functorIS9_EEEE10hipError_tPvRmT1_T2_T3_mT4_P12ihipStream_tbEUlT_E1_NS1_11comp_targetILNS1_3genE10ELNS1_11target_archE1201ELNS1_3gpuE5ELNS1_3repE0EEENS1_30default_config_static_selectorELNS0_4arch9wavefront6targetE1EEEvS19_,@function
_ZN7rocprim17ROCPRIM_400000_NS6detail17trampoline_kernelINS0_14default_configENS1_22reduce_config_selectorIN6thrust23THRUST_200600_302600_NS5tupleIblNS6_9null_typeES8_S8_S8_S8_S8_S8_S8_EEEEZNS1_11reduce_implILb1ES3_NS6_12zip_iteratorINS7_INS6_11hip_rocprim26transform_input_iterator_tIbPN3c108BFloat16ENS6_6detail10functional5actorINSJ_9compositeIJNSJ_27transparent_binary_operatorINS6_8equal_toIvEEEENSK_INSJ_8argumentILj0EEEEENSJ_5valueISG_EEEEEEEEENSD_19counting_iterator_tIlEES8_S8_S8_S8_S8_S8_S8_S8_EEEEPS9_S9_NSD_9__find_if7functorIS9_EEEE10hipError_tPvRmT1_T2_T3_mT4_P12ihipStream_tbEUlT_E1_NS1_11comp_targetILNS1_3genE10ELNS1_11target_archE1201ELNS1_3gpuE5ELNS1_3repE0EEENS1_30default_config_static_selectorELNS0_4arch9wavefront6targetE1EEEvS19_: ; @_ZN7rocprim17ROCPRIM_400000_NS6detail17trampoline_kernelINS0_14default_configENS1_22reduce_config_selectorIN6thrust23THRUST_200600_302600_NS5tupleIblNS6_9null_typeES8_S8_S8_S8_S8_S8_S8_EEEEZNS1_11reduce_implILb1ES3_NS6_12zip_iteratorINS7_INS6_11hip_rocprim26transform_input_iterator_tIbPN3c108BFloat16ENS6_6detail10functional5actorINSJ_9compositeIJNSJ_27transparent_binary_operatorINS6_8equal_toIvEEEENSK_INSJ_8argumentILj0EEEEENSJ_5valueISG_EEEEEEEEENSD_19counting_iterator_tIlEES8_S8_S8_S8_S8_S8_S8_S8_EEEEPS9_S9_NSD_9__find_if7functorIS9_EEEE10hipError_tPvRmT1_T2_T3_mT4_P12ihipStream_tbEUlT_E1_NS1_11comp_targetILNS1_3genE10ELNS1_11target_archE1201ELNS1_3gpuE5ELNS1_3repE0EEENS1_30default_config_static_selectorELNS0_4arch9wavefront6targetE1EEEvS19_
; %bb.0:
	.section	.rodata,"a",@progbits
	.p2align	6, 0x0
	.amdhsa_kernel _ZN7rocprim17ROCPRIM_400000_NS6detail17trampoline_kernelINS0_14default_configENS1_22reduce_config_selectorIN6thrust23THRUST_200600_302600_NS5tupleIblNS6_9null_typeES8_S8_S8_S8_S8_S8_S8_EEEEZNS1_11reduce_implILb1ES3_NS6_12zip_iteratorINS7_INS6_11hip_rocprim26transform_input_iterator_tIbPN3c108BFloat16ENS6_6detail10functional5actorINSJ_9compositeIJNSJ_27transparent_binary_operatorINS6_8equal_toIvEEEENSK_INSJ_8argumentILj0EEEEENSJ_5valueISG_EEEEEEEEENSD_19counting_iterator_tIlEES8_S8_S8_S8_S8_S8_S8_S8_EEEEPS9_S9_NSD_9__find_if7functorIS9_EEEE10hipError_tPvRmT1_T2_T3_mT4_P12ihipStream_tbEUlT_E1_NS1_11comp_targetILNS1_3genE10ELNS1_11target_archE1201ELNS1_3gpuE5ELNS1_3repE0EEENS1_30default_config_static_selectorELNS0_4arch9wavefront6targetE1EEEvS19_
		.amdhsa_group_segment_fixed_size 0
		.amdhsa_private_segment_fixed_size 0
		.amdhsa_kernarg_size 72
		.amdhsa_user_sgpr_count 6
		.amdhsa_user_sgpr_private_segment_buffer 1
		.amdhsa_user_sgpr_dispatch_ptr 0
		.amdhsa_user_sgpr_queue_ptr 0
		.amdhsa_user_sgpr_kernarg_segment_ptr 1
		.amdhsa_user_sgpr_dispatch_id 0
		.amdhsa_user_sgpr_flat_scratch_init 0
		.amdhsa_user_sgpr_kernarg_preload_length 0
		.amdhsa_user_sgpr_kernarg_preload_offset 0
		.amdhsa_user_sgpr_private_segment_size 0
		.amdhsa_uses_dynamic_stack 0
		.amdhsa_system_sgpr_private_segment_wavefront_offset 0
		.amdhsa_system_sgpr_workgroup_id_x 1
		.amdhsa_system_sgpr_workgroup_id_y 0
		.amdhsa_system_sgpr_workgroup_id_z 0
		.amdhsa_system_sgpr_workgroup_info 0
		.amdhsa_system_vgpr_workitem_id 0
		.amdhsa_next_free_vgpr 1
		.amdhsa_next_free_sgpr 0
		.amdhsa_accum_offset 4
		.amdhsa_reserve_vcc 0
		.amdhsa_reserve_flat_scratch 0
		.amdhsa_float_round_mode_32 0
		.amdhsa_float_round_mode_16_64 0
		.amdhsa_float_denorm_mode_32 3
		.amdhsa_float_denorm_mode_16_64 3
		.amdhsa_dx10_clamp 1
		.amdhsa_ieee_mode 1
		.amdhsa_fp16_overflow 0
		.amdhsa_tg_split 0
		.amdhsa_exception_fp_ieee_invalid_op 0
		.amdhsa_exception_fp_denorm_src 0
		.amdhsa_exception_fp_ieee_div_zero 0
		.amdhsa_exception_fp_ieee_overflow 0
		.amdhsa_exception_fp_ieee_underflow 0
		.amdhsa_exception_fp_ieee_inexact 0
		.amdhsa_exception_int_div_zero 0
	.end_amdhsa_kernel
	.section	.text._ZN7rocprim17ROCPRIM_400000_NS6detail17trampoline_kernelINS0_14default_configENS1_22reduce_config_selectorIN6thrust23THRUST_200600_302600_NS5tupleIblNS6_9null_typeES8_S8_S8_S8_S8_S8_S8_EEEEZNS1_11reduce_implILb1ES3_NS6_12zip_iteratorINS7_INS6_11hip_rocprim26transform_input_iterator_tIbPN3c108BFloat16ENS6_6detail10functional5actorINSJ_9compositeIJNSJ_27transparent_binary_operatorINS6_8equal_toIvEEEENSK_INSJ_8argumentILj0EEEEENSJ_5valueISG_EEEEEEEEENSD_19counting_iterator_tIlEES8_S8_S8_S8_S8_S8_S8_S8_EEEEPS9_S9_NSD_9__find_if7functorIS9_EEEE10hipError_tPvRmT1_T2_T3_mT4_P12ihipStream_tbEUlT_E1_NS1_11comp_targetILNS1_3genE10ELNS1_11target_archE1201ELNS1_3gpuE5ELNS1_3repE0EEENS1_30default_config_static_selectorELNS0_4arch9wavefront6targetE1EEEvS19_,"axG",@progbits,_ZN7rocprim17ROCPRIM_400000_NS6detail17trampoline_kernelINS0_14default_configENS1_22reduce_config_selectorIN6thrust23THRUST_200600_302600_NS5tupleIblNS6_9null_typeES8_S8_S8_S8_S8_S8_S8_EEEEZNS1_11reduce_implILb1ES3_NS6_12zip_iteratorINS7_INS6_11hip_rocprim26transform_input_iterator_tIbPN3c108BFloat16ENS6_6detail10functional5actorINSJ_9compositeIJNSJ_27transparent_binary_operatorINS6_8equal_toIvEEEENSK_INSJ_8argumentILj0EEEEENSJ_5valueISG_EEEEEEEEENSD_19counting_iterator_tIlEES8_S8_S8_S8_S8_S8_S8_S8_EEEEPS9_S9_NSD_9__find_if7functorIS9_EEEE10hipError_tPvRmT1_T2_T3_mT4_P12ihipStream_tbEUlT_E1_NS1_11comp_targetILNS1_3genE10ELNS1_11target_archE1201ELNS1_3gpuE5ELNS1_3repE0EEENS1_30default_config_static_selectorELNS0_4arch9wavefront6targetE1EEEvS19_,comdat
.Lfunc_end2103:
	.size	_ZN7rocprim17ROCPRIM_400000_NS6detail17trampoline_kernelINS0_14default_configENS1_22reduce_config_selectorIN6thrust23THRUST_200600_302600_NS5tupleIblNS6_9null_typeES8_S8_S8_S8_S8_S8_S8_EEEEZNS1_11reduce_implILb1ES3_NS6_12zip_iteratorINS7_INS6_11hip_rocprim26transform_input_iterator_tIbPN3c108BFloat16ENS6_6detail10functional5actorINSJ_9compositeIJNSJ_27transparent_binary_operatorINS6_8equal_toIvEEEENSK_INSJ_8argumentILj0EEEEENSJ_5valueISG_EEEEEEEEENSD_19counting_iterator_tIlEES8_S8_S8_S8_S8_S8_S8_S8_EEEEPS9_S9_NSD_9__find_if7functorIS9_EEEE10hipError_tPvRmT1_T2_T3_mT4_P12ihipStream_tbEUlT_E1_NS1_11comp_targetILNS1_3genE10ELNS1_11target_archE1201ELNS1_3gpuE5ELNS1_3repE0EEENS1_30default_config_static_selectorELNS0_4arch9wavefront6targetE1EEEvS19_, .Lfunc_end2103-_ZN7rocprim17ROCPRIM_400000_NS6detail17trampoline_kernelINS0_14default_configENS1_22reduce_config_selectorIN6thrust23THRUST_200600_302600_NS5tupleIblNS6_9null_typeES8_S8_S8_S8_S8_S8_S8_EEEEZNS1_11reduce_implILb1ES3_NS6_12zip_iteratorINS7_INS6_11hip_rocprim26transform_input_iterator_tIbPN3c108BFloat16ENS6_6detail10functional5actorINSJ_9compositeIJNSJ_27transparent_binary_operatorINS6_8equal_toIvEEEENSK_INSJ_8argumentILj0EEEEENSJ_5valueISG_EEEEEEEEENSD_19counting_iterator_tIlEES8_S8_S8_S8_S8_S8_S8_S8_EEEEPS9_S9_NSD_9__find_if7functorIS9_EEEE10hipError_tPvRmT1_T2_T3_mT4_P12ihipStream_tbEUlT_E1_NS1_11comp_targetILNS1_3genE10ELNS1_11target_archE1201ELNS1_3gpuE5ELNS1_3repE0EEENS1_30default_config_static_selectorELNS0_4arch9wavefront6targetE1EEEvS19_
                                        ; -- End function
	.section	.AMDGPU.csdata,"",@progbits
; Kernel info:
; codeLenInByte = 0
; NumSgprs: 4
; NumVgprs: 0
; NumAgprs: 0
; TotalNumVgprs: 0
; ScratchSize: 0
; MemoryBound: 0
; FloatMode: 240
; IeeeMode: 1
; LDSByteSize: 0 bytes/workgroup (compile time only)
; SGPRBlocks: 0
; VGPRBlocks: 0
; NumSGPRsForWavesPerEU: 4
; NumVGPRsForWavesPerEU: 1
; AccumOffset: 4
; Occupancy: 8
; WaveLimiterHint : 0
; COMPUTE_PGM_RSRC2:SCRATCH_EN: 0
; COMPUTE_PGM_RSRC2:USER_SGPR: 6
; COMPUTE_PGM_RSRC2:TRAP_HANDLER: 0
; COMPUTE_PGM_RSRC2:TGID_X_EN: 1
; COMPUTE_PGM_RSRC2:TGID_Y_EN: 0
; COMPUTE_PGM_RSRC2:TGID_Z_EN: 0
; COMPUTE_PGM_RSRC2:TIDIG_COMP_CNT: 0
; COMPUTE_PGM_RSRC3_GFX90A:ACCUM_OFFSET: 0
; COMPUTE_PGM_RSRC3_GFX90A:TG_SPLIT: 0
	.section	.text._ZN7rocprim17ROCPRIM_400000_NS6detail17trampoline_kernelINS0_14default_configENS1_22reduce_config_selectorIN6thrust23THRUST_200600_302600_NS5tupleIblNS6_9null_typeES8_S8_S8_S8_S8_S8_S8_EEEEZNS1_11reduce_implILb1ES3_NS6_12zip_iteratorINS7_INS6_11hip_rocprim26transform_input_iterator_tIbPN3c108BFloat16ENS6_6detail10functional5actorINSJ_9compositeIJNSJ_27transparent_binary_operatorINS6_8equal_toIvEEEENSK_INSJ_8argumentILj0EEEEENSJ_5valueISG_EEEEEEEEENSD_19counting_iterator_tIlEES8_S8_S8_S8_S8_S8_S8_S8_EEEEPS9_S9_NSD_9__find_if7functorIS9_EEEE10hipError_tPvRmT1_T2_T3_mT4_P12ihipStream_tbEUlT_E1_NS1_11comp_targetILNS1_3genE10ELNS1_11target_archE1200ELNS1_3gpuE4ELNS1_3repE0EEENS1_30default_config_static_selectorELNS0_4arch9wavefront6targetE1EEEvS19_,"axG",@progbits,_ZN7rocprim17ROCPRIM_400000_NS6detail17trampoline_kernelINS0_14default_configENS1_22reduce_config_selectorIN6thrust23THRUST_200600_302600_NS5tupleIblNS6_9null_typeES8_S8_S8_S8_S8_S8_S8_EEEEZNS1_11reduce_implILb1ES3_NS6_12zip_iteratorINS7_INS6_11hip_rocprim26transform_input_iterator_tIbPN3c108BFloat16ENS6_6detail10functional5actorINSJ_9compositeIJNSJ_27transparent_binary_operatorINS6_8equal_toIvEEEENSK_INSJ_8argumentILj0EEEEENSJ_5valueISG_EEEEEEEEENSD_19counting_iterator_tIlEES8_S8_S8_S8_S8_S8_S8_S8_EEEEPS9_S9_NSD_9__find_if7functorIS9_EEEE10hipError_tPvRmT1_T2_T3_mT4_P12ihipStream_tbEUlT_E1_NS1_11comp_targetILNS1_3genE10ELNS1_11target_archE1200ELNS1_3gpuE4ELNS1_3repE0EEENS1_30default_config_static_selectorELNS0_4arch9wavefront6targetE1EEEvS19_,comdat
	.protected	_ZN7rocprim17ROCPRIM_400000_NS6detail17trampoline_kernelINS0_14default_configENS1_22reduce_config_selectorIN6thrust23THRUST_200600_302600_NS5tupleIblNS6_9null_typeES8_S8_S8_S8_S8_S8_S8_EEEEZNS1_11reduce_implILb1ES3_NS6_12zip_iteratorINS7_INS6_11hip_rocprim26transform_input_iterator_tIbPN3c108BFloat16ENS6_6detail10functional5actorINSJ_9compositeIJNSJ_27transparent_binary_operatorINS6_8equal_toIvEEEENSK_INSJ_8argumentILj0EEEEENSJ_5valueISG_EEEEEEEEENSD_19counting_iterator_tIlEES8_S8_S8_S8_S8_S8_S8_S8_EEEEPS9_S9_NSD_9__find_if7functorIS9_EEEE10hipError_tPvRmT1_T2_T3_mT4_P12ihipStream_tbEUlT_E1_NS1_11comp_targetILNS1_3genE10ELNS1_11target_archE1200ELNS1_3gpuE4ELNS1_3repE0EEENS1_30default_config_static_selectorELNS0_4arch9wavefront6targetE1EEEvS19_ ; -- Begin function _ZN7rocprim17ROCPRIM_400000_NS6detail17trampoline_kernelINS0_14default_configENS1_22reduce_config_selectorIN6thrust23THRUST_200600_302600_NS5tupleIblNS6_9null_typeES8_S8_S8_S8_S8_S8_S8_EEEEZNS1_11reduce_implILb1ES3_NS6_12zip_iteratorINS7_INS6_11hip_rocprim26transform_input_iterator_tIbPN3c108BFloat16ENS6_6detail10functional5actorINSJ_9compositeIJNSJ_27transparent_binary_operatorINS6_8equal_toIvEEEENSK_INSJ_8argumentILj0EEEEENSJ_5valueISG_EEEEEEEEENSD_19counting_iterator_tIlEES8_S8_S8_S8_S8_S8_S8_S8_EEEEPS9_S9_NSD_9__find_if7functorIS9_EEEE10hipError_tPvRmT1_T2_T3_mT4_P12ihipStream_tbEUlT_E1_NS1_11comp_targetILNS1_3genE10ELNS1_11target_archE1200ELNS1_3gpuE4ELNS1_3repE0EEENS1_30default_config_static_selectorELNS0_4arch9wavefront6targetE1EEEvS19_
	.globl	_ZN7rocprim17ROCPRIM_400000_NS6detail17trampoline_kernelINS0_14default_configENS1_22reduce_config_selectorIN6thrust23THRUST_200600_302600_NS5tupleIblNS6_9null_typeES8_S8_S8_S8_S8_S8_S8_EEEEZNS1_11reduce_implILb1ES3_NS6_12zip_iteratorINS7_INS6_11hip_rocprim26transform_input_iterator_tIbPN3c108BFloat16ENS6_6detail10functional5actorINSJ_9compositeIJNSJ_27transparent_binary_operatorINS6_8equal_toIvEEEENSK_INSJ_8argumentILj0EEEEENSJ_5valueISG_EEEEEEEEENSD_19counting_iterator_tIlEES8_S8_S8_S8_S8_S8_S8_S8_EEEEPS9_S9_NSD_9__find_if7functorIS9_EEEE10hipError_tPvRmT1_T2_T3_mT4_P12ihipStream_tbEUlT_E1_NS1_11comp_targetILNS1_3genE10ELNS1_11target_archE1200ELNS1_3gpuE4ELNS1_3repE0EEENS1_30default_config_static_selectorELNS0_4arch9wavefront6targetE1EEEvS19_
	.p2align	8
	.type	_ZN7rocprim17ROCPRIM_400000_NS6detail17trampoline_kernelINS0_14default_configENS1_22reduce_config_selectorIN6thrust23THRUST_200600_302600_NS5tupleIblNS6_9null_typeES8_S8_S8_S8_S8_S8_S8_EEEEZNS1_11reduce_implILb1ES3_NS6_12zip_iteratorINS7_INS6_11hip_rocprim26transform_input_iterator_tIbPN3c108BFloat16ENS6_6detail10functional5actorINSJ_9compositeIJNSJ_27transparent_binary_operatorINS6_8equal_toIvEEEENSK_INSJ_8argumentILj0EEEEENSJ_5valueISG_EEEEEEEEENSD_19counting_iterator_tIlEES8_S8_S8_S8_S8_S8_S8_S8_EEEEPS9_S9_NSD_9__find_if7functorIS9_EEEE10hipError_tPvRmT1_T2_T3_mT4_P12ihipStream_tbEUlT_E1_NS1_11comp_targetILNS1_3genE10ELNS1_11target_archE1200ELNS1_3gpuE4ELNS1_3repE0EEENS1_30default_config_static_selectorELNS0_4arch9wavefront6targetE1EEEvS19_,@function
_ZN7rocprim17ROCPRIM_400000_NS6detail17trampoline_kernelINS0_14default_configENS1_22reduce_config_selectorIN6thrust23THRUST_200600_302600_NS5tupleIblNS6_9null_typeES8_S8_S8_S8_S8_S8_S8_EEEEZNS1_11reduce_implILb1ES3_NS6_12zip_iteratorINS7_INS6_11hip_rocprim26transform_input_iterator_tIbPN3c108BFloat16ENS6_6detail10functional5actorINSJ_9compositeIJNSJ_27transparent_binary_operatorINS6_8equal_toIvEEEENSK_INSJ_8argumentILj0EEEEENSJ_5valueISG_EEEEEEEEENSD_19counting_iterator_tIlEES8_S8_S8_S8_S8_S8_S8_S8_EEEEPS9_S9_NSD_9__find_if7functorIS9_EEEE10hipError_tPvRmT1_T2_T3_mT4_P12ihipStream_tbEUlT_E1_NS1_11comp_targetILNS1_3genE10ELNS1_11target_archE1200ELNS1_3gpuE4ELNS1_3repE0EEENS1_30default_config_static_selectorELNS0_4arch9wavefront6targetE1EEEvS19_: ; @_ZN7rocprim17ROCPRIM_400000_NS6detail17trampoline_kernelINS0_14default_configENS1_22reduce_config_selectorIN6thrust23THRUST_200600_302600_NS5tupleIblNS6_9null_typeES8_S8_S8_S8_S8_S8_S8_EEEEZNS1_11reduce_implILb1ES3_NS6_12zip_iteratorINS7_INS6_11hip_rocprim26transform_input_iterator_tIbPN3c108BFloat16ENS6_6detail10functional5actorINSJ_9compositeIJNSJ_27transparent_binary_operatorINS6_8equal_toIvEEEENSK_INSJ_8argumentILj0EEEEENSJ_5valueISG_EEEEEEEEENSD_19counting_iterator_tIlEES8_S8_S8_S8_S8_S8_S8_S8_EEEEPS9_S9_NSD_9__find_if7functorIS9_EEEE10hipError_tPvRmT1_T2_T3_mT4_P12ihipStream_tbEUlT_E1_NS1_11comp_targetILNS1_3genE10ELNS1_11target_archE1200ELNS1_3gpuE4ELNS1_3repE0EEENS1_30default_config_static_selectorELNS0_4arch9wavefront6targetE1EEEvS19_
; %bb.0:
	.section	.rodata,"a",@progbits
	.p2align	6, 0x0
	.amdhsa_kernel _ZN7rocprim17ROCPRIM_400000_NS6detail17trampoline_kernelINS0_14default_configENS1_22reduce_config_selectorIN6thrust23THRUST_200600_302600_NS5tupleIblNS6_9null_typeES8_S8_S8_S8_S8_S8_S8_EEEEZNS1_11reduce_implILb1ES3_NS6_12zip_iteratorINS7_INS6_11hip_rocprim26transform_input_iterator_tIbPN3c108BFloat16ENS6_6detail10functional5actorINSJ_9compositeIJNSJ_27transparent_binary_operatorINS6_8equal_toIvEEEENSK_INSJ_8argumentILj0EEEEENSJ_5valueISG_EEEEEEEEENSD_19counting_iterator_tIlEES8_S8_S8_S8_S8_S8_S8_S8_EEEEPS9_S9_NSD_9__find_if7functorIS9_EEEE10hipError_tPvRmT1_T2_T3_mT4_P12ihipStream_tbEUlT_E1_NS1_11comp_targetILNS1_3genE10ELNS1_11target_archE1200ELNS1_3gpuE4ELNS1_3repE0EEENS1_30default_config_static_selectorELNS0_4arch9wavefront6targetE1EEEvS19_
		.amdhsa_group_segment_fixed_size 0
		.amdhsa_private_segment_fixed_size 0
		.amdhsa_kernarg_size 72
		.amdhsa_user_sgpr_count 6
		.amdhsa_user_sgpr_private_segment_buffer 1
		.amdhsa_user_sgpr_dispatch_ptr 0
		.amdhsa_user_sgpr_queue_ptr 0
		.amdhsa_user_sgpr_kernarg_segment_ptr 1
		.amdhsa_user_sgpr_dispatch_id 0
		.amdhsa_user_sgpr_flat_scratch_init 0
		.amdhsa_user_sgpr_kernarg_preload_length 0
		.amdhsa_user_sgpr_kernarg_preload_offset 0
		.amdhsa_user_sgpr_private_segment_size 0
		.amdhsa_uses_dynamic_stack 0
		.amdhsa_system_sgpr_private_segment_wavefront_offset 0
		.amdhsa_system_sgpr_workgroup_id_x 1
		.amdhsa_system_sgpr_workgroup_id_y 0
		.amdhsa_system_sgpr_workgroup_id_z 0
		.amdhsa_system_sgpr_workgroup_info 0
		.amdhsa_system_vgpr_workitem_id 0
		.amdhsa_next_free_vgpr 1
		.amdhsa_next_free_sgpr 0
		.amdhsa_accum_offset 4
		.amdhsa_reserve_vcc 0
		.amdhsa_reserve_flat_scratch 0
		.amdhsa_float_round_mode_32 0
		.amdhsa_float_round_mode_16_64 0
		.amdhsa_float_denorm_mode_32 3
		.amdhsa_float_denorm_mode_16_64 3
		.amdhsa_dx10_clamp 1
		.amdhsa_ieee_mode 1
		.amdhsa_fp16_overflow 0
		.amdhsa_tg_split 0
		.amdhsa_exception_fp_ieee_invalid_op 0
		.amdhsa_exception_fp_denorm_src 0
		.amdhsa_exception_fp_ieee_div_zero 0
		.amdhsa_exception_fp_ieee_overflow 0
		.amdhsa_exception_fp_ieee_underflow 0
		.amdhsa_exception_fp_ieee_inexact 0
		.amdhsa_exception_int_div_zero 0
	.end_amdhsa_kernel
	.section	.text._ZN7rocprim17ROCPRIM_400000_NS6detail17trampoline_kernelINS0_14default_configENS1_22reduce_config_selectorIN6thrust23THRUST_200600_302600_NS5tupleIblNS6_9null_typeES8_S8_S8_S8_S8_S8_S8_EEEEZNS1_11reduce_implILb1ES3_NS6_12zip_iteratorINS7_INS6_11hip_rocprim26transform_input_iterator_tIbPN3c108BFloat16ENS6_6detail10functional5actorINSJ_9compositeIJNSJ_27transparent_binary_operatorINS6_8equal_toIvEEEENSK_INSJ_8argumentILj0EEEEENSJ_5valueISG_EEEEEEEEENSD_19counting_iterator_tIlEES8_S8_S8_S8_S8_S8_S8_S8_EEEEPS9_S9_NSD_9__find_if7functorIS9_EEEE10hipError_tPvRmT1_T2_T3_mT4_P12ihipStream_tbEUlT_E1_NS1_11comp_targetILNS1_3genE10ELNS1_11target_archE1200ELNS1_3gpuE4ELNS1_3repE0EEENS1_30default_config_static_selectorELNS0_4arch9wavefront6targetE1EEEvS19_,"axG",@progbits,_ZN7rocprim17ROCPRIM_400000_NS6detail17trampoline_kernelINS0_14default_configENS1_22reduce_config_selectorIN6thrust23THRUST_200600_302600_NS5tupleIblNS6_9null_typeES8_S8_S8_S8_S8_S8_S8_EEEEZNS1_11reduce_implILb1ES3_NS6_12zip_iteratorINS7_INS6_11hip_rocprim26transform_input_iterator_tIbPN3c108BFloat16ENS6_6detail10functional5actorINSJ_9compositeIJNSJ_27transparent_binary_operatorINS6_8equal_toIvEEEENSK_INSJ_8argumentILj0EEEEENSJ_5valueISG_EEEEEEEEENSD_19counting_iterator_tIlEES8_S8_S8_S8_S8_S8_S8_S8_EEEEPS9_S9_NSD_9__find_if7functorIS9_EEEE10hipError_tPvRmT1_T2_T3_mT4_P12ihipStream_tbEUlT_E1_NS1_11comp_targetILNS1_3genE10ELNS1_11target_archE1200ELNS1_3gpuE4ELNS1_3repE0EEENS1_30default_config_static_selectorELNS0_4arch9wavefront6targetE1EEEvS19_,comdat
.Lfunc_end2104:
	.size	_ZN7rocprim17ROCPRIM_400000_NS6detail17trampoline_kernelINS0_14default_configENS1_22reduce_config_selectorIN6thrust23THRUST_200600_302600_NS5tupleIblNS6_9null_typeES8_S8_S8_S8_S8_S8_S8_EEEEZNS1_11reduce_implILb1ES3_NS6_12zip_iteratorINS7_INS6_11hip_rocprim26transform_input_iterator_tIbPN3c108BFloat16ENS6_6detail10functional5actorINSJ_9compositeIJNSJ_27transparent_binary_operatorINS6_8equal_toIvEEEENSK_INSJ_8argumentILj0EEEEENSJ_5valueISG_EEEEEEEEENSD_19counting_iterator_tIlEES8_S8_S8_S8_S8_S8_S8_S8_EEEEPS9_S9_NSD_9__find_if7functorIS9_EEEE10hipError_tPvRmT1_T2_T3_mT4_P12ihipStream_tbEUlT_E1_NS1_11comp_targetILNS1_3genE10ELNS1_11target_archE1200ELNS1_3gpuE4ELNS1_3repE0EEENS1_30default_config_static_selectorELNS0_4arch9wavefront6targetE1EEEvS19_, .Lfunc_end2104-_ZN7rocprim17ROCPRIM_400000_NS6detail17trampoline_kernelINS0_14default_configENS1_22reduce_config_selectorIN6thrust23THRUST_200600_302600_NS5tupleIblNS6_9null_typeES8_S8_S8_S8_S8_S8_S8_EEEEZNS1_11reduce_implILb1ES3_NS6_12zip_iteratorINS7_INS6_11hip_rocprim26transform_input_iterator_tIbPN3c108BFloat16ENS6_6detail10functional5actorINSJ_9compositeIJNSJ_27transparent_binary_operatorINS6_8equal_toIvEEEENSK_INSJ_8argumentILj0EEEEENSJ_5valueISG_EEEEEEEEENSD_19counting_iterator_tIlEES8_S8_S8_S8_S8_S8_S8_S8_EEEEPS9_S9_NSD_9__find_if7functorIS9_EEEE10hipError_tPvRmT1_T2_T3_mT4_P12ihipStream_tbEUlT_E1_NS1_11comp_targetILNS1_3genE10ELNS1_11target_archE1200ELNS1_3gpuE4ELNS1_3repE0EEENS1_30default_config_static_selectorELNS0_4arch9wavefront6targetE1EEEvS19_
                                        ; -- End function
	.section	.AMDGPU.csdata,"",@progbits
; Kernel info:
; codeLenInByte = 0
; NumSgprs: 4
; NumVgprs: 0
; NumAgprs: 0
; TotalNumVgprs: 0
; ScratchSize: 0
; MemoryBound: 0
; FloatMode: 240
; IeeeMode: 1
; LDSByteSize: 0 bytes/workgroup (compile time only)
; SGPRBlocks: 0
; VGPRBlocks: 0
; NumSGPRsForWavesPerEU: 4
; NumVGPRsForWavesPerEU: 1
; AccumOffset: 4
; Occupancy: 8
; WaveLimiterHint : 0
; COMPUTE_PGM_RSRC2:SCRATCH_EN: 0
; COMPUTE_PGM_RSRC2:USER_SGPR: 6
; COMPUTE_PGM_RSRC2:TRAP_HANDLER: 0
; COMPUTE_PGM_RSRC2:TGID_X_EN: 1
; COMPUTE_PGM_RSRC2:TGID_Y_EN: 0
; COMPUTE_PGM_RSRC2:TGID_Z_EN: 0
; COMPUTE_PGM_RSRC2:TIDIG_COMP_CNT: 0
; COMPUTE_PGM_RSRC3_GFX90A:ACCUM_OFFSET: 0
; COMPUTE_PGM_RSRC3_GFX90A:TG_SPLIT: 0
	.section	.text._ZN7rocprim17ROCPRIM_400000_NS6detail17trampoline_kernelINS0_14default_configENS1_22reduce_config_selectorIN6thrust23THRUST_200600_302600_NS5tupleIblNS6_9null_typeES8_S8_S8_S8_S8_S8_S8_EEEEZNS1_11reduce_implILb1ES3_NS6_12zip_iteratorINS7_INS6_11hip_rocprim26transform_input_iterator_tIbPN3c108BFloat16ENS6_6detail10functional5actorINSJ_9compositeIJNSJ_27transparent_binary_operatorINS6_8equal_toIvEEEENSK_INSJ_8argumentILj0EEEEENSJ_5valueISG_EEEEEEEEENSD_19counting_iterator_tIlEES8_S8_S8_S8_S8_S8_S8_S8_EEEEPS9_S9_NSD_9__find_if7functorIS9_EEEE10hipError_tPvRmT1_T2_T3_mT4_P12ihipStream_tbEUlT_E1_NS1_11comp_targetILNS1_3genE9ELNS1_11target_archE1100ELNS1_3gpuE3ELNS1_3repE0EEENS1_30default_config_static_selectorELNS0_4arch9wavefront6targetE1EEEvS19_,"axG",@progbits,_ZN7rocprim17ROCPRIM_400000_NS6detail17trampoline_kernelINS0_14default_configENS1_22reduce_config_selectorIN6thrust23THRUST_200600_302600_NS5tupleIblNS6_9null_typeES8_S8_S8_S8_S8_S8_S8_EEEEZNS1_11reduce_implILb1ES3_NS6_12zip_iteratorINS7_INS6_11hip_rocprim26transform_input_iterator_tIbPN3c108BFloat16ENS6_6detail10functional5actorINSJ_9compositeIJNSJ_27transparent_binary_operatorINS6_8equal_toIvEEEENSK_INSJ_8argumentILj0EEEEENSJ_5valueISG_EEEEEEEEENSD_19counting_iterator_tIlEES8_S8_S8_S8_S8_S8_S8_S8_EEEEPS9_S9_NSD_9__find_if7functorIS9_EEEE10hipError_tPvRmT1_T2_T3_mT4_P12ihipStream_tbEUlT_E1_NS1_11comp_targetILNS1_3genE9ELNS1_11target_archE1100ELNS1_3gpuE3ELNS1_3repE0EEENS1_30default_config_static_selectorELNS0_4arch9wavefront6targetE1EEEvS19_,comdat
	.protected	_ZN7rocprim17ROCPRIM_400000_NS6detail17trampoline_kernelINS0_14default_configENS1_22reduce_config_selectorIN6thrust23THRUST_200600_302600_NS5tupleIblNS6_9null_typeES8_S8_S8_S8_S8_S8_S8_EEEEZNS1_11reduce_implILb1ES3_NS6_12zip_iteratorINS7_INS6_11hip_rocprim26transform_input_iterator_tIbPN3c108BFloat16ENS6_6detail10functional5actorINSJ_9compositeIJNSJ_27transparent_binary_operatorINS6_8equal_toIvEEEENSK_INSJ_8argumentILj0EEEEENSJ_5valueISG_EEEEEEEEENSD_19counting_iterator_tIlEES8_S8_S8_S8_S8_S8_S8_S8_EEEEPS9_S9_NSD_9__find_if7functorIS9_EEEE10hipError_tPvRmT1_T2_T3_mT4_P12ihipStream_tbEUlT_E1_NS1_11comp_targetILNS1_3genE9ELNS1_11target_archE1100ELNS1_3gpuE3ELNS1_3repE0EEENS1_30default_config_static_selectorELNS0_4arch9wavefront6targetE1EEEvS19_ ; -- Begin function _ZN7rocprim17ROCPRIM_400000_NS6detail17trampoline_kernelINS0_14default_configENS1_22reduce_config_selectorIN6thrust23THRUST_200600_302600_NS5tupleIblNS6_9null_typeES8_S8_S8_S8_S8_S8_S8_EEEEZNS1_11reduce_implILb1ES3_NS6_12zip_iteratorINS7_INS6_11hip_rocprim26transform_input_iterator_tIbPN3c108BFloat16ENS6_6detail10functional5actorINSJ_9compositeIJNSJ_27transparent_binary_operatorINS6_8equal_toIvEEEENSK_INSJ_8argumentILj0EEEEENSJ_5valueISG_EEEEEEEEENSD_19counting_iterator_tIlEES8_S8_S8_S8_S8_S8_S8_S8_EEEEPS9_S9_NSD_9__find_if7functorIS9_EEEE10hipError_tPvRmT1_T2_T3_mT4_P12ihipStream_tbEUlT_E1_NS1_11comp_targetILNS1_3genE9ELNS1_11target_archE1100ELNS1_3gpuE3ELNS1_3repE0EEENS1_30default_config_static_selectorELNS0_4arch9wavefront6targetE1EEEvS19_
	.globl	_ZN7rocprim17ROCPRIM_400000_NS6detail17trampoline_kernelINS0_14default_configENS1_22reduce_config_selectorIN6thrust23THRUST_200600_302600_NS5tupleIblNS6_9null_typeES8_S8_S8_S8_S8_S8_S8_EEEEZNS1_11reduce_implILb1ES3_NS6_12zip_iteratorINS7_INS6_11hip_rocprim26transform_input_iterator_tIbPN3c108BFloat16ENS6_6detail10functional5actorINSJ_9compositeIJNSJ_27transparent_binary_operatorINS6_8equal_toIvEEEENSK_INSJ_8argumentILj0EEEEENSJ_5valueISG_EEEEEEEEENSD_19counting_iterator_tIlEES8_S8_S8_S8_S8_S8_S8_S8_EEEEPS9_S9_NSD_9__find_if7functorIS9_EEEE10hipError_tPvRmT1_T2_T3_mT4_P12ihipStream_tbEUlT_E1_NS1_11comp_targetILNS1_3genE9ELNS1_11target_archE1100ELNS1_3gpuE3ELNS1_3repE0EEENS1_30default_config_static_selectorELNS0_4arch9wavefront6targetE1EEEvS19_
	.p2align	8
	.type	_ZN7rocprim17ROCPRIM_400000_NS6detail17trampoline_kernelINS0_14default_configENS1_22reduce_config_selectorIN6thrust23THRUST_200600_302600_NS5tupleIblNS6_9null_typeES8_S8_S8_S8_S8_S8_S8_EEEEZNS1_11reduce_implILb1ES3_NS6_12zip_iteratorINS7_INS6_11hip_rocprim26transform_input_iterator_tIbPN3c108BFloat16ENS6_6detail10functional5actorINSJ_9compositeIJNSJ_27transparent_binary_operatorINS6_8equal_toIvEEEENSK_INSJ_8argumentILj0EEEEENSJ_5valueISG_EEEEEEEEENSD_19counting_iterator_tIlEES8_S8_S8_S8_S8_S8_S8_S8_EEEEPS9_S9_NSD_9__find_if7functorIS9_EEEE10hipError_tPvRmT1_T2_T3_mT4_P12ihipStream_tbEUlT_E1_NS1_11comp_targetILNS1_3genE9ELNS1_11target_archE1100ELNS1_3gpuE3ELNS1_3repE0EEENS1_30default_config_static_selectorELNS0_4arch9wavefront6targetE1EEEvS19_,@function
_ZN7rocprim17ROCPRIM_400000_NS6detail17trampoline_kernelINS0_14default_configENS1_22reduce_config_selectorIN6thrust23THRUST_200600_302600_NS5tupleIblNS6_9null_typeES8_S8_S8_S8_S8_S8_S8_EEEEZNS1_11reduce_implILb1ES3_NS6_12zip_iteratorINS7_INS6_11hip_rocprim26transform_input_iterator_tIbPN3c108BFloat16ENS6_6detail10functional5actorINSJ_9compositeIJNSJ_27transparent_binary_operatorINS6_8equal_toIvEEEENSK_INSJ_8argumentILj0EEEEENSJ_5valueISG_EEEEEEEEENSD_19counting_iterator_tIlEES8_S8_S8_S8_S8_S8_S8_S8_EEEEPS9_S9_NSD_9__find_if7functorIS9_EEEE10hipError_tPvRmT1_T2_T3_mT4_P12ihipStream_tbEUlT_E1_NS1_11comp_targetILNS1_3genE9ELNS1_11target_archE1100ELNS1_3gpuE3ELNS1_3repE0EEENS1_30default_config_static_selectorELNS0_4arch9wavefront6targetE1EEEvS19_: ; @_ZN7rocprim17ROCPRIM_400000_NS6detail17trampoline_kernelINS0_14default_configENS1_22reduce_config_selectorIN6thrust23THRUST_200600_302600_NS5tupleIblNS6_9null_typeES8_S8_S8_S8_S8_S8_S8_EEEEZNS1_11reduce_implILb1ES3_NS6_12zip_iteratorINS7_INS6_11hip_rocprim26transform_input_iterator_tIbPN3c108BFloat16ENS6_6detail10functional5actorINSJ_9compositeIJNSJ_27transparent_binary_operatorINS6_8equal_toIvEEEENSK_INSJ_8argumentILj0EEEEENSJ_5valueISG_EEEEEEEEENSD_19counting_iterator_tIlEES8_S8_S8_S8_S8_S8_S8_S8_EEEEPS9_S9_NSD_9__find_if7functorIS9_EEEE10hipError_tPvRmT1_T2_T3_mT4_P12ihipStream_tbEUlT_E1_NS1_11comp_targetILNS1_3genE9ELNS1_11target_archE1100ELNS1_3gpuE3ELNS1_3repE0EEENS1_30default_config_static_selectorELNS0_4arch9wavefront6targetE1EEEvS19_
; %bb.0:
	.section	.rodata,"a",@progbits
	.p2align	6, 0x0
	.amdhsa_kernel _ZN7rocprim17ROCPRIM_400000_NS6detail17trampoline_kernelINS0_14default_configENS1_22reduce_config_selectorIN6thrust23THRUST_200600_302600_NS5tupleIblNS6_9null_typeES8_S8_S8_S8_S8_S8_S8_EEEEZNS1_11reduce_implILb1ES3_NS6_12zip_iteratorINS7_INS6_11hip_rocprim26transform_input_iterator_tIbPN3c108BFloat16ENS6_6detail10functional5actorINSJ_9compositeIJNSJ_27transparent_binary_operatorINS6_8equal_toIvEEEENSK_INSJ_8argumentILj0EEEEENSJ_5valueISG_EEEEEEEEENSD_19counting_iterator_tIlEES8_S8_S8_S8_S8_S8_S8_S8_EEEEPS9_S9_NSD_9__find_if7functorIS9_EEEE10hipError_tPvRmT1_T2_T3_mT4_P12ihipStream_tbEUlT_E1_NS1_11comp_targetILNS1_3genE9ELNS1_11target_archE1100ELNS1_3gpuE3ELNS1_3repE0EEENS1_30default_config_static_selectorELNS0_4arch9wavefront6targetE1EEEvS19_
		.amdhsa_group_segment_fixed_size 0
		.amdhsa_private_segment_fixed_size 0
		.amdhsa_kernarg_size 72
		.amdhsa_user_sgpr_count 6
		.amdhsa_user_sgpr_private_segment_buffer 1
		.amdhsa_user_sgpr_dispatch_ptr 0
		.amdhsa_user_sgpr_queue_ptr 0
		.amdhsa_user_sgpr_kernarg_segment_ptr 1
		.amdhsa_user_sgpr_dispatch_id 0
		.amdhsa_user_sgpr_flat_scratch_init 0
		.amdhsa_user_sgpr_kernarg_preload_length 0
		.amdhsa_user_sgpr_kernarg_preload_offset 0
		.amdhsa_user_sgpr_private_segment_size 0
		.amdhsa_uses_dynamic_stack 0
		.amdhsa_system_sgpr_private_segment_wavefront_offset 0
		.amdhsa_system_sgpr_workgroup_id_x 1
		.amdhsa_system_sgpr_workgroup_id_y 0
		.amdhsa_system_sgpr_workgroup_id_z 0
		.amdhsa_system_sgpr_workgroup_info 0
		.amdhsa_system_vgpr_workitem_id 0
		.amdhsa_next_free_vgpr 1
		.amdhsa_next_free_sgpr 0
		.amdhsa_accum_offset 4
		.amdhsa_reserve_vcc 0
		.amdhsa_reserve_flat_scratch 0
		.amdhsa_float_round_mode_32 0
		.amdhsa_float_round_mode_16_64 0
		.amdhsa_float_denorm_mode_32 3
		.amdhsa_float_denorm_mode_16_64 3
		.amdhsa_dx10_clamp 1
		.amdhsa_ieee_mode 1
		.amdhsa_fp16_overflow 0
		.amdhsa_tg_split 0
		.amdhsa_exception_fp_ieee_invalid_op 0
		.amdhsa_exception_fp_denorm_src 0
		.amdhsa_exception_fp_ieee_div_zero 0
		.amdhsa_exception_fp_ieee_overflow 0
		.amdhsa_exception_fp_ieee_underflow 0
		.amdhsa_exception_fp_ieee_inexact 0
		.amdhsa_exception_int_div_zero 0
	.end_amdhsa_kernel
	.section	.text._ZN7rocprim17ROCPRIM_400000_NS6detail17trampoline_kernelINS0_14default_configENS1_22reduce_config_selectorIN6thrust23THRUST_200600_302600_NS5tupleIblNS6_9null_typeES8_S8_S8_S8_S8_S8_S8_EEEEZNS1_11reduce_implILb1ES3_NS6_12zip_iteratorINS7_INS6_11hip_rocprim26transform_input_iterator_tIbPN3c108BFloat16ENS6_6detail10functional5actorINSJ_9compositeIJNSJ_27transparent_binary_operatorINS6_8equal_toIvEEEENSK_INSJ_8argumentILj0EEEEENSJ_5valueISG_EEEEEEEEENSD_19counting_iterator_tIlEES8_S8_S8_S8_S8_S8_S8_S8_EEEEPS9_S9_NSD_9__find_if7functorIS9_EEEE10hipError_tPvRmT1_T2_T3_mT4_P12ihipStream_tbEUlT_E1_NS1_11comp_targetILNS1_3genE9ELNS1_11target_archE1100ELNS1_3gpuE3ELNS1_3repE0EEENS1_30default_config_static_selectorELNS0_4arch9wavefront6targetE1EEEvS19_,"axG",@progbits,_ZN7rocprim17ROCPRIM_400000_NS6detail17trampoline_kernelINS0_14default_configENS1_22reduce_config_selectorIN6thrust23THRUST_200600_302600_NS5tupleIblNS6_9null_typeES8_S8_S8_S8_S8_S8_S8_EEEEZNS1_11reduce_implILb1ES3_NS6_12zip_iteratorINS7_INS6_11hip_rocprim26transform_input_iterator_tIbPN3c108BFloat16ENS6_6detail10functional5actorINSJ_9compositeIJNSJ_27transparent_binary_operatorINS6_8equal_toIvEEEENSK_INSJ_8argumentILj0EEEEENSJ_5valueISG_EEEEEEEEENSD_19counting_iterator_tIlEES8_S8_S8_S8_S8_S8_S8_S8_EEEEPS9_S9_NSD_9__find_if7functorIS9_EEEE10hipError_tPvRmT1_T2_T3_mT4_P12ihipStream_tbEUlT_E1_NS1_11comp_targetILNS1_3genE9ELNS1_11target_archE1100ELNS1_3gpuE3ELNS1_3repE0EEENS1_30default_config_static_selectorELNS0_4arch9wavefront6targetE1EEEvS19_,comdat
.Lfunc_end2105:
	.size	_ZN7rocprim17ROCPRIM_400000_NS6detail17trampoline_kernelINS0_14default_configENS1_22reduce_config_selectorIN6thrust23THRUST_200600_302600_NS5tupleIblNS6_9null_typeES8_S8_S8_S8_S8_S8_S8_EEEEZNS1_11reduce_implILb1ES3_NS6_12zip_iteratorINS7_INS6_11hip_rocprim26transform_input_iterator_tIbPN3c108BFloat16ENS6_6detail10functional5actorINSJ_9compositeIJNSJ_27transparent_binary_operatorINS6_8equal_toIvEEEENSK_INSJ_8argumentILj0EEEEENSJ_5valueISG_EEEEEEEEENSD_19counting_iterator_tIlEES8_S8_S8_S8_S8_S8_S8_S8_EEEEPS9_S9_NSD_9__find_if7functorIS9_EEEE10hipError_tPvRmT1_T2_T3_mT4_P12ihipStream_tbEUlT_E1_NS1_11comp_targetILNS1_3genE9ELNS1_11target_archE1100ELNS1_3gpuE3ELNS1_3repE0EEENS1_30default_config_static_selectorELNS0_4arch9wavefront6targetE1EEEvS19_, .Lfunc_end2105-_ZN7rocprim17ROCPRIM_400000_NS6detail17trampoline_kernelINS0_14default_configENS1_22reduce_config_selectorIN6thrust23THRUST_200600_302600_NS5tupleIblNS6_9null_typeES8_S8_S8_S8_S8_S8_S8_EEEEZNS1_11reduce_implILb1ES3_NS6_12zip_iteratorINS7_INS6_11hip_rocprim26transform_input_iterator_tIbPN3c108BFloat16ENS6_6detail10functional5actorINSJ_9compositeIJNSJ_27transparent_binary_operatorINS6_8equal_toIvEEEENSK_INSJ_8argumentILj0EEEEENSJ_5valueISG_EEEEEEEEENSD_19counting_iterator_tIlEES8_S8_S8_S8_S8_S8_S8_S8_EEEEPS9_S9_NSD_9__find_if7functorIS9_EEEE10hipError_tPvRmT1_T2_T3_mT4_P12ihipStream_tbEUlT_E1_NS1_11comp_targetILNS1_3genE9ELNS1_11target_archE1100ELNS1_3gpuE3ELNS1_3repE0EEENS1_30default_config_static_selectorELNS0_4arch9wavefront6targetE1EEEvS19_
                                        ; -- End function
	.section	.AMDGPU.csdata,"",@progbits
; Kernel info:
; codeLenInByte = 0
; NumSgprs: 4
; NumVgprs: 0
; NumAgprs: 0
; TotalNumVgprs: 0
; ScratchSize: 0
; MemoryBound: 0
; FloatMode: 240
; IeeeMode: 1
; LDSByteSize: 0 bytes/workgroup (compile time only)
; SGPRBlocks: 0
; VGPRBlocks: 0
; NumSGPRsForWavesPerEU: 4
; NumVGPRsForWavesPerEU: 1
; AccumOffset: 4
; Occupancy: 8
; WaveLimiterHint : 0
; COMPUTE_PGM_RSRC2:SCRATCH_EN: 0
; COMPUTE_PGM_RSRC2:USER_SGPR: 6
; COMPUTE_PGM_RSRC2:TRAP_HANDLER: 0
; COMPUTE_PGM_RSRC2:TGID_X_EN: 1
; COMPUTE_PGM_RSRC2:TGID_Y_EN: 0
; COMPUTE_PGM_RSRC2:TGID_Z_EN: 0
; COMPUTE_PGM_RSRC2:TIDIG_COMP_CNT: 0
; COMPUTE_PGM_RSRC3_GFX90A:ACCUM_OFFSET: 0
; COMPUTE_PGM_RSRC3_GFX90A:TG_SPLIT: 0
	.section	.text._ZN7rocprim17ROCPRIM_400000_NS6detail17trampoline_kernelINS0_14default_configENS1_22reduce_config_selectorIN6thrust23THRUST_200600_302600_NS5tupleIblNS6_9null_typeES8_S8_S8_S8_S8_S8_S8_EEEEZNS1_11reduce_implILb1ES3_NS6_12zip_iteratorINS7_INS6_11hip_rocprim26transform_input_iterator_tIbPN3c108BFloat16ENS6_6detail10functional5actorINSJ_9compositeIJNSJ_27transparent_binary_operatorINS6_8equal_toIvEEEENSK_INSJ_8argumentILj0EEEEENSJ_5valueISG_EEEEEEEEENSD_19counting_iterator_tIlEES8_S8_S8_S8_S8_S8_S8_S8_EEEEPS9_S9_NSD_9__find_if7functorIS9_EEEE10hipError_tPvRmT1_T2_T3_mT4_P12ihipStream_tbEUlT_E1_NS1_11comp_targetILNS1_3genE8ELNS1_11target_archE1030ELNS1_3gpuE2ELNS1_3repE0EEENS1_30default_config_static_selectorELNS0_4arch9wavefront6targetE1EEEvS19_,"axG",@progbits,_ZN7rocprim17ROCPRIM_400000_NS6detail17trampoline_kernelINS0_14default_configENS1_22reduce_config_selectorIN6thrust23THRUST_200600_302600_NS5tupleIblNS6_9null_typeES8_S8_S8_S8_S8_S8_S8_EEEEZNS1_11reduce_implILb1ES3_NS6_12zip_iteratorINS7_INS6_11hip_rocprim26transform_input_iterator_tIbPN3c108BFloat16ENS6_6detail10functional5actorINSJ_9compositeIJNSJ_27transparent_binary_operatorINS6_8equal_toIvEEEENSK_INSJ_8argumentILj0EEEEENSJ_5valueISG_EEEEEEEEENSD_19counting_iterator_tIlEES8_S8_S8_S8_S8_S8_S8_S8_EEEEPS9_S9_NSD_9__find_if7functorIS9_EEEE10hipError_tPvRmT1_T2_T3_mT4_P12ihipStream_tbEUlT_E1_NS1_11comp_targetILNS1_3genE8ELNS1_11target_archE1030ELNS1_3gpuE2ELNS1_3repE0EEENS1_30default_config_static_selectorELNS0_4arch9wavefront6targetE1EEEvS19_,comdat
	.protected	_ZN7rocprim17ROCPRIM_400000_NS6detail17trampoline_kernelINS0_14default_configENS1_22reduce_config_selectorIN6thrust23THRUST_200600_302600_NS5tupleIblNS6_9null_typeES8_S8_S8_S8_S8_S8_S8_EEEEZNS1_11reduce_implILb1ES3_NS6_12zip_iteratorINS7_INS6_11hip_rocprim26transform_input_iterator_tIbPN3c108BFloat16ENS6_6detail10functional5actorINSJ_9compositeIJNSJ_27transparent_binary_operatorINS6_8equal_toIvEEEENSK_INSJ_8argumentILj0EEEEENSJ_5valueISG_EEEEEEEEENSD_19counting_iterator_tIlEES8_S8_S8_S8_S8_S8_S8_S8_EEEEPS9_S9_NSD_9__find_if7functorIS9_EEEE10hipError_tPvRmT1_T2_T3_mT4_P12ihipStream_tbEUlT_E1_NS1_11comp_targetILNS1_3genE8ELNS1_11target_archE1030ELNS1_3gpuE2ELNS1_3repE0EEENS1_30default_config_static_selectorELNS0_4arch9wavefront6targetE1EEEvS19_ ; -- Begin function _ZN7rocprim17ROCPRIM_400000_NS6detail17trampoline_kernelINS0_14default_configENS1_22reduce_config_selectorIN6thrust23THRUST_200600_302600_NS5tupleIblNS6_9null_typeES8_S8_S8_S8_S8_S8_S8_EEEEZNS1_11reduce_implILb1ES3_NS6_12zip_iteratorINS7_INS6_11hip_rocprim26transform_input_iterator_tIbPN3c108BFloat16ENS6_6detail10functional5actorINSJ_9compositeIJNSJ_27transparent_binary_operatorINS6_8equal_toIvEEEENSK_INSJ_8argumentILj0EEEEENSJ_5valueISG_EEEEEEEEENSD_19counting_iterator_tIlEES8_S8_S8_S8_S8_S8_S8_S8_EEEEPS9_S9_NSD_9__find_if7functorIS9_EEEE10hipError_tPvRmT1_T2_T3_mT4_P12ihipStream_tbEUlT_E1_NS1_11comp_targetILNS1_3genE8ELNS1_11target_archE1030ELNS1_3gpuE2ELNS1_3repE0EEENS1_30default_config_static_selectorELNS0_4arch9wavefront6targetE1EEEvS19_
	.globl	_ZN7rocprim17ROCPRIM_400000_NS6detail17trampoline_kernelINS0_14default_configENS1_22reduce_config_selectorIN6thrust23THRUST_200600_302600_NS5tupleIblNS6_9null_typeES8_S8_S8_S8_S8_S8_S8_EEEEZNS1_11reduce_implILb1ES3_NS6_12zip_iteratorINS7_INS6_11hip_rocprim26transform_input_iterator_tIbPN3c108BFloat16ENS6_6detail10functional5actorINSJ_9compositeIJNSJ_27transparent_binary_operatorINS6_8equal_toIvEEEENSK_INSJ_8argumentILj0EEEEENSJ_5valueISG_EEEEEEEEENSD_19counting_iterator_tIlEES8_S8_S8_S8_S8_S8_S8_S8_EEEEPS9_S9_NSD_9__find_if7functorIS9_EEEE10hipError_tPvRmT1_T2_T3_mT4_P12ihipStream_tbEUlT_E1_NS1_11comp_targetILNS1_3genE8ELNS1_11target_archE1030ELNS1_3gpuE2ELNS1_3repE0EEENS1_30default_config_static_selectorELNS0_4arch9wavefront6targetE1EEEvS19_
	.p2align	8
	.type	_ZN7rocprim17ROCPRIM_400000_NS6detail17trampoline_kernelINS0_14default_configENS1_22reduce_config_selectorIN6thrust23THRUST_200600_302600_NS5tupleIblNS6_9null_typeES8_S8_S8_S8_S8_S8_S8_EEEEZNS1_11reduce_implILb1ES3_NS6_12zip_iteratorINS7_INS6_11hip_rocprim26transform_input_iterator_tIbPN3c108BFloat16ENS6_6detail10functional5actorINSJ_9compositeIJNSJ_27transparent_binary_operatorINS6_8equal_toIvEEEENSK_INSJ_8argumentILj0EEEEENSJ_5valueISG_EEEEEEEEENSD_19counting_iterator_tIlEES8_S8_S8_S8_S8_S8_S8_S8_EEEEPS9_S9_NSD_9__find_if7functorIS9_EEEE10hipError_tPvRmT1_T2_T3_mT4_P12ihipStream_tbEUlT_E1_NS1_11comp_targetILNS1_3genE8ELNS1_11target_archE1030ELNS1_3gpuE2ELNS1_3repE0EEENS1_30default_config_static_selectorELNS0_4arch9wavefront6targetE1EEEvS19_,@function
_ZN7rocprim17ROCPRIM_400000_NS6detail17trampoline_kernelINS0_14default_configENS1_22reduce_config_selectorIN6thrust23THRUST_200600_302600_NS5tupleIblNS6_9null_typeES8_S8_S8_S8_S8_S8_S8_EEEEZNS1_11reduce_implILb1ES3_NS6_12zip_iteratorINS7_INS6_11hip_rocprim26transform_input_iterator_tIbPN3c108BFloat16ENS6_6detail10functional5actorINSJ_9compositeIJNSJ_27transparent_binary_operatorINS6_8equal_toIvEEEENSK_INSJ_8argumentILj0EEEEENSJ_5valueISG_EEEEEEEEENSD_19counting_iterator_tIlEES8_S8_S8_S8_S8_S8_S8_S8_EEEEPS9_S9_NSD_9__find_if7functorIS9_EEEE10hipError_tPvRmT1_T2_T3_mT4_P12ihipStream_tbEUlT_E1_NS1_11comp_targetILNS1_3genE8ELNS1_11target_archE1030ELNS1_3gpuE2ELNS1_3repE0EEENS1_30default_config_static_selectorELNS0_4arch9wavefront6targetE1EEEvS19_: ; @_ZN7rocprim17ROCPRIM_400000_NS6detail17trampoline_kernelINS0_14default_configENS1_22reduce_config_selectorIN6thrust23THRUST_200600_302600_NS5tupleIblNS6_9null_typeES8_S8_S8_S8_S8_S8_S8_EEEEZNS1_11reduce_implILb1ES3_NS6_12zip_iteratorINS7_INS6_11hip_rocprim26transform_input_iterator_tIbPN3c108BFloat16ENS6_6detail10functional5actorINSJ_9compositeIJNSJ_27transparent_binary_operatorINS6_8equal_toIvEEEENSK_INSJ_8argumentILj0EEEEENSJ_5valueISG_EEEEEEEEENSD_19counting_iterator_tIlEES8_S8_S8_S8_S8_S8_S8_S8_EEEEPS9_S9_NSD_9__find_if7functorIS9_EEEE10hipError_tPvRmT1_T2_T3_mT4_P12ihipStream_tbEUlT_E1_NS1_11comp_targetILNS1_3genE8ELNS1_11target_archE1030ELNS1_3gpuE2ELNS1_3repE0EEENS1_30default_config_static_selectorELNS0_4arch9wavefront6targetE1EEEvS19_
; %bb.0:
	.section	.rodata,"a",@progbits
	.p2align	6, 0x0
	.amdhsa_kernel _ZN7rocprim17ROCPRIM_400000_NS6detail17trampoline_kernelINS0_14default_configENS1_22reduce_config_selectorIN6thrust23THRUST_200600_302600_NS5tupleIblNS6_9null_typeES8_S8_S8_S8_S8_S8_S8_EEEEZNS1_11reduce_implILb1ES3_NS6_12zip_iteratorINS7_INS6_11hip_rocprim26transform_input_iterator_tIbPN3c108BFloat16ENS6_6detail10functional5actorINSJ_9compositeIJNSJ_27transparent_binary_operatorINS6_8equal_toIvEEEENSK_INSJ_8argumentILj0EEEEENSJ_5valueISG_EEEEEEEEENSD_19counting_iterator_tIlEES8_S8_S8_S8_S8_S8_S8_S8_EEEEPS9_S9_NSD_9__find_if7functorIS9_EEEE10hipError_tPvRmT1_T2_T3_mT4_P12ihipStream_tbEUlT_E1_NS1_11comp_targetILNS1_3genE8ELNS1_11target_archE1030ELNS1_3gpuE2ELNS1_3repE0EEENS1_30default_config_static_selectorELNS0_4arch9wavefront6targetE1EEEvS19_
		.amdhsa_group_segment_fixed_size 0
		.amdhsa_private_segment_fixed_size 0
		.amdhsa_kernarg_size 72
		.amdhsa_user_sgpr_count 6
		.amdhsa_user_sgpr_private_segment_buffer 1
		.amdhsa_user_sgpr_dispatch_ptr 0
		.amdhsa_user_sgpr_queue_ptr 0
		.amdhsa_user_sgpr_kernarg_segment_ptr 1
		.amdhsa_user_sgpr_dispatch_id 0
		.amdhsa_user_sgpr_flat_scratch_init 0
		.amdhsa_user_sgpr_kernarg_preload_length 0
		.amdhsa_user_sgpr_kernarg_preload_offset 0
		.amdhsa_user_sgpr_private_segment_size 0
		.amdhsa_uses_dynamic_stack 0
		.amdhsa_system_sgpr_private_segment_wavefront_offset 0
		.amdhsa_system_sgpr_workgroup_id_x 1
		.amdhsa_system_sgpr_workgroup_id_y 0
		.amdhsa_system_sgpr_workgroup_id_z 0
		.amdhsa_system_sgpr_workgroup_info 0
		.amdhsa_system_vgpr_workitem_id 0
		.amdhsa_next_free_vgpr 1
		.amdhsa_next_free_sgpr 0
		.amdhsa_accum_offset 4
		.amdhsa_reserve_vcc 0
		.amdhsa_reserve_flat_scratch 0
		.amdhsa_float_round_mode_32 0
		.amdhsa_float_round_mode_16_64 0
		.amdhsa_float_denorm_mode_32 3
		.amdhsa_float_denorm_mode_16_64 3
		.amdhsa_dx10_clamp 1
		.amdhsa_ieee_mode 1
		.amdhsa_fp16_overflow 0
		.amdhsa_tg_split 0
		.amdhsa_exception_fp_ieee_invalid_op 0
		.amdhsa_exception_fp_denorm_src 0
		.amdhsa_exception_fp_ieee_div_zero 0
		.amdhsa_exception_fp_ieee_overflow 0
		.amdhsa_exception_fp_ieee_underflow 0
		.amdhsa_exception_fp_ieee_inexact 0
		.amdhsa_exception_int_div_zero 0
	.end_amdhsa_kernel
	.section	.text._ZN7rocprim17ROCPRIM_400000_NS6detail17trampoline_kernelINS0_14default_configENS1_22reduce_config_selectorIN6thrust23THRUST_200600_302600_NS5tupleIblNS6_9null_typeES8_S8_S8_S8_S8_S8_S8_EEEEZNS1_11reduce_implILb1ES3_NS6_12zip_iteratorINS7_INS6_11hip_rocprim26transform_input_iterator_tIbPN3c108BFloat16ENS6_6detail10functional5actorINSJ_9compositeIJNSJ_27transparent_binary_operatorINS6_8equal_toIvEEEENSK_INSJ_8argumentILj0EEEEENSJ_5valueISG_EEEEEEEEENSD_19counting_iterator_tIlEES8_S8_S8_S8_S8_S8_S8_S8_EEEEPS9_S9_NSD_9__find_if7functorIS9_EEEE10hipError_tPvRmT1_T2_T3_mT4_P12ihipStream_tbEUlT_E1_NS1_11comp_targetILNS1_3genE8ELNS1_11target_archE1030ELNS1_3gpuE2ELNS1_3repE0EEENS1_30default_config_static_selectorELNS0_4arch9wavefront6targetE1EEEvS19_,"axG",@progbits,_ZN7rocprim17ROCPRIM_400000_NS6detail17trampoline_kernelINS0_14default_configENS1_22reduce_config_selectorIN6thrust23THRUST_200600_302600_NS5tupleIblNS6_9null_typeES8_S8_S8_S8_S8_S8_S8_EEEEZNS1_11reduce_implILb1ES3_NS6_12zip_iteratorINS7_INS6_11hip_rocprim26transform_input_iterator_tIbPN3c108BFloat16ENS6_6detail10functional5actorINSJ_9compositeIJNSJ_27transparent_binary_operatorINS6_8equal_toIvEEEENSK_INSJ_8argumentILj0EEEEENSJ_5valueISG_EEEEEEEEENSD_19counting_iterator_tIlEES8_S8_S8_S8_S8_S8_S8_S8_EEEEPS9_S9_NSD_9__find_if7functorIS9_EEEE10hipError_tPvRmT1_T2_T3_mT4_P12ihipStream_tbEUlT_E1_NS1_11comp_targetILNS1_3genE8ELNS1_11target_archE1030ELNS1_3gpuE2ELNS1_3repE0EEENS1_30default_config_static_selectorELNS0_4arch9wavefront6targetE1EEEvS19_,comdat
.Lfunc_end2106:
	.size	_ZN7rocprim17ROCPRIM_400000_NS6detail17trampoline_kernelINS0_14default_configENS1_22reduce_config_selectorIN6thrust23THRUST_200600_302600_NS5tupleIblNS6_9null_typeES8_S8_S8_S8_S8_S8_S8_EEEEZNS1_11reduce_implILb1ES3_NS6_12zip_iteratorINS7_INS6_11hip_rocprim26transform_input_iterator_tIbPN3c108BFloat16ENS6_6detail10functional5actorINSJ_9compositeIJNSJ_27transparent_binary_operatorINS6_8equal_toIvEEEENSK_INSJ_8argumentILj0EEEEENSJ_5valueISG_EEEEEEEEENSD_19counting_iterator_tIlEES8_S8_S8_S8_S8_S8_S8_S8_EEEEPS9_S9_NSD_9__find_if7functorIS9_EEEE10hipError_tPvRmT1_T2_T3_mT4_P12ihipStream_tbEUlT_E1_NS1_11comp_targetILNS1_3genE8ELNS1_11target_archE1030ELNS1_3gpuE2ELNS1_3repE0EEENS1_30default_config_static_selectorELNS0_4arch9wavefront6targetE1EEEvS19_, .Lfunc_end2106-_ZN7rocprim17ROCPRIM_400000_NS6detail17trampoline_kernelINS0_14default_configENS1_22reduce_config_selectorIN6thrust23THRUST_200600_302600_NS5tupleIblNS6_9null_typeES8_S8_S8_S8_S8_S8_S8_EEEEZNS1_11reduce_implILb1ES3_NS6_12zip_iteratorINS7_INS6_11hip_rocprim26transform_input_iterator_tIbPN3c108BFloat16ENS6_6detail10functional5actorINSJ_9compositeIJNSJ_27transparent_binary_operatorINS6_8equal_toIvEEEENSK_INSJ_8argumentILj0EEEEENSJ_5valueISG_EEEEEEEEENSD_19counting_iterator_tIlEES8_S8_S8_S8_S8_S8_S8_S8_EEEEPS9_S9_NSD_9__find_if7functorIS9_EEEE10hipError_tPvRmT1_T2_T3_mT4_P12ihipStream_tbEUlT_E1_NS1_11comp_targetILNS1_3genE8ELNS1_11target_archE1030ELNS1_3gpuE2ELNS1_3repE0EEENS1_30default_config_static_selectorELNS0_4arch9wavefront6targetE1EEEvS19_
                                        ; -- End function
	.section	.AMDGPU.csdata,"",@progbits
; Kernel info:
; codeLenInByte = 0
; NumSgprs: 4
; NumVgprs: 0
; NumAgprs: 0
; TotalNumVgprs: 0
; ScratchSize: 0
; MemoryBound: 0
; FloatMode: 240
; IeeeMode: 1
; LDSByteSize: 0 bytes/workgroup (compile time only)
; SGPRBlocks: 0
; VGPRBlocks: 0
; NumSGPRsForWavesPerEU: 4
; NumVGPRsForWavesPerEU: 1
; AccumOffset: 4
; Occupancy: 8
; WaveLimiterHint : 0
; COMPUTE_PGM_RSRC2:SCRATCH_EN: 0
; COMPUTE_PGM_RSRC2:USER_SGPR: 6
; COMPUTE_PGM_RSRC2:TRAP_HANDLER: 0
; COMPUTE_PGM_RSRC2:TGID_X_EN: 1
; COMPUTE_PGM_RSRC2:TGID_Y_EN: 0
; COMPUTE_PGM_RSRC2:TGID_Z_EN: 0
; COMPUTE_PGM_RSRC2:TIDIG_COMP_CNT: 0
; COMPUTE_PGM_RSRC3_GFX90A:ACCUM_OFFSET: 0
; COMPUTE_PGM_RSRC3_GFX90A:TG_SPLIT: 0
	.section	.text._ZN7rocprim17ROCPRIM_400000_NS6detail44device_merge_sort_compile_time_verifier_archINS1_11comp_targetILNS1_3genE0ELNS1_11target_archE4294967295ELNS1_3gpuE0ELNS1_3repE0EEES8_NS0_14default_configES9_NS1_37merge_sort_block_sort_config_selectorIN3c104HalfElEENS1_38merge_sort_block_merge_config_selectorISC_lEEEEvv,"axG",@progbits,_ZN7rocprim17ROCPRIM_400000_NS6detail44device_merge_sort_compile_time_verifier_archINS1_11comp_targetILNS1_3genE0ELNS1_11target_archE4294967295ELNS1_3gpuE0ELNS1_3repE0EEES8_NS0_14default_configES9_NS1_37merge_sort_block_sort_config_selectorIN3c104HalfElEENS1_38merge_sort_block_merge_config_selectorISC_lEEEEvv,comdat
	.protected	_ZN7rocprim17ROCPRIM_400000_NS6detail44device_merge_sort_compile_time_verifier_archINS1_11comp_targetILNS1_3genE0ELNS1_11target_archE4294967295ELNS1_3gpuE0ELNS1_3repE0EEES8_NS0_14default_configES9_NS1_37merge_sort_block_sort_config_selectorIN3c104HalfElEENS1_38merge_sort_block_merge_config_selectorISC_lEEEEvv ; -- Begin function _ZN7rocprim17ROCPRIM_400000_NS6detail44device_merge_sort_compile_time_verifier_archINS1_11comp_targetILNS1_3genE0ELNS1_11target_archE4294967295ELNS1_3gpuE0ELNS1_3repE0EEES8_NS0_14default_configES9_NS1_37merge_sort_block_sort_config_selectorIN3c104HalfElEENS1_38merge_sort_block_merge_config_selectorISC_lEEEEvv
	.globl	_ZN7rocprim17ROCPRIM_400000_NS6detail44device_merge_sort_compile_time_verifier_archINS1_11comp_targetILNS1_3genE0ELNS1_11target_archE4294967295ELNS1_3gpuE0ELNS1_3repE0EEES8_NS0_14default_configES9_NS1_37merge_sort_block_sort_config_selectorIN3c104HalfElEENS1_38merge_sort_block_merge_config_selectorISC_lEEEEvv
	.p2align	8
	.type	_ZN7rocprim17ROCPRIM_400000_NS6detail44device_merge_sort_compile_time_verifier_archINS1_11comp_targetILNS1_3genE0ELNS1_11target_archE4294967295ELNS1_3gpuE0ELNS1_3repE0EEES8_NS0_14default_configES9_NS1_37merge_sort_block_sort_config_selectorIN3c104HalfElEENS1_38merge_sort_block_merge_config_selectorISC_lEEEEvv,@function
_ZN7rocprim17ROCPRIM_400000_NS6detail44device_merge_sort_compile_time_verifier_archINS1_11comp_targetILNS1_3genE0ELNS1_11target_archE4294967295ELNS1_3gpuE0ELNS1_3repE0EEES8_NS0_14default_configES9_NS1_37merge_sort_block_sort_config_selectorIN3c104HalfElEENS1_38merge_sort_block_merge_config_selectorISC_lEEEEvv: ; @_ZN7rocprim17ROCPRIM_400000_NS6detail44device_merge_sort_compile_time_verifier_archINS1_11comp_targetILNS1_3genE0ELNS1_11target_archE4294967295ELNS1_3gpuE0ELNS1_3repE0EEES8_NS0_14default_configES9_NS1_37merge_sort_block_sort_config_selectorIN3c104HalfElEENS1_38merge_sort_block_merge_config_selectorISC_lEEEEvv
; %bb.0:
	s_endpgm
	.section	.rodata,"a",@progbits
	.p2align	6, 0x0
	.amdhsa_kernel _ZN7rocprim17ROCPRIM_400000_NS6detail44device_merge_sort_compile_time_verifier_archINS1_11comp_targetILNS1_3genE0ELNS1_11target_archE4294967295ELNS1_3gpuE0ELNS1_3repE0EEES8_NS0_14default_configES9_NS1_37merge_sort_block_sort_config_selectorIN3c104HalfElEENS1_38merge_sort_block_merge_config_selectorISC_lEEEEvv
		.amdhsa_group_segment_fixed_size 0
		.amdhsa_private_segment_fixed_size 0
		.amdhsa_kernarg_size 0
		.amdhsa_user_sgpr_count 4
		.amdhsa_user_sgpr_private_segment_buffer 1
		.amdhsa_user_sgpr_dispatch_ptr 0
		.amdhsa_user_sgpr_queue_ptr 0
		.amdhsa_user_sgpr_kernarg_segment_ptr 0
		.amdhsa_user_sgpr_dispatch_id 0
		.amdhsa_user_sgpr_flat_scratch_init 0
		.amdhsa_user_sgpr_kernarg_preload_length 0
		.amdhsa_user_sgpr_kernarg_preload_offset 0
		.amdhsa_user_sgpr_private_segment_size 0
		.amdhsa_uses_dynamic_stack 0
		.amdhsa_system_sgpr_private_segment_wavefront_offset 0
		.amdhsa_system_sgpr_workgroup_id_x 1
		.amdhsa_system_sgpr_workgroup_id_y 0
		.amdhsa_system_sgpr_workgroup_id_z 0
		.amdhsa_system_sgpr_workgroup_info 0
		.amdhsa_system_vgpr_workitem_id 0
		.amdhsa_next_free_vgpr 1
		.amdhsa_next_free_sgpr 0
		.amdhsa_accum_offset 4
		.amdhsa_reserve_vcc 0
		.amdhsa_reserve_flat_scratch 0
		.amdhsa_float_round_mode_32 0
		.amdhsa_float_round_mode_16_64 0
		.amdhsa_float_denorm_mode_32 3
		.amdhsa_float_denorm_mode_16_64 3
		.amdhsa_dx10_clamp 1
		.amdhsa_ieee_mode 1
		.amdhsa_fp16_overflow 0
		.amdhsa_tg_split 0
		.amdhsa_exception_fp_ieee_invalid_op 0
		.amdhsa_exception_fp_denorm_src 0
		.amdhsa_exception_fp_ieee_div_zero 0
		.amdhsa_exception_fp_ieee_overflow 0
		.amdhsa_exception_fp_ieee_underflow 0
		.amdhsa_exception_fp_ieee_inexact 0
		.amdhsa_exception_int_div_zero 0
	.end_amdhsa_kernel
	.section	.text._ZN7rocprim17ROCPRIM_400000_NS6detail44device_merge_sort_compile_time_verifier_archINS1_11comp_targetILNS1_3genE0ELNS1_11target_archE4294967295ELNS1_3gpuE0ELNS1_3repE0EEES8_NS0_14default_configES9_NS1_37merge_sort_block_sort_config_selectorIN3c104HalfElEENS1_38merge_sort_block_merge_config_selectorISC_lEEEEvv,"axG",@progbits,_ZN7rocprim17ROCPRIM_400000_NS6detail44device_merge_sort_compile_time_verifier_archINS1_11comp_targetILNS1_3genE0ELNS1_11target_archE4294967295ELNS1_3gpuE0ELNS1_3repE0EEES8_NS0_14default_configES9_NS1_37merge_sort_block_sort_config_selectorIN3c104HalfElEENS1_38merge_sort_block_merge_config_selectorISC_lEEEEvv,comdat
.Lfunc_end2107:
	.size	_ZN7rocprim17ROCPRIM_400000_NS6detail44device_merge_sort_compile_time_verifier_archINS1_11comp_targetILNS1_3genE0ELNS1_11target_archE4294967295ELNS1_3gpuE0ELNS1_3repE0EEES8_NS0_14default_configES9_NS1_37merge_sort_block_sort_config_selectorIN3c104HalfElEENS1_38merge_sort_block_merge_config_selectorISC_lEEEEvv, .Lfunc_end2107-_ZN7rocprim17ROCPRIM_400000_NS6detail44device_merge_sort_compile_time_verifier_archINS1_11comp_targetILNS1_3genE0ELNS1_11target_archE4294967295ELNS1_3gpuE0ELNS1_3repE0EEES8_NS0_14default_configES9_NS1_37merge_sort_block_sort_config_selectorIN3c104HalfElEENS1_38merge_sort_block_merge_config_selectorISC_lEEEEvv
                                        ; -- End function
	.section	.AMDGPU.csdata,"",@progbits
; Kernel info:
; codeLenInByte = 4
; NumSgprs: 4
; NumVgprs: 0
; NumAgprs: 0
; TotalNumVgprs: 0
; ScratchSize: 0
; MemoryBound: 0
; FloatMode: 240
; IeeeMode: 1
; LDSByteSize: 0 bytes/workgroup (compile time only)
; SGPRBlocks: 0
; VGPRBlocks: 0
; NumSGPRsForWavesPerEU: 4
; NumVGPRsForWavesPerEU: 1
; AccumOffset: 4
; Occupancy: 8
; WaveLimiterHint : 0
; COMPUTE_PGM_RSRC2:SCRATCH_EN: 0
; COMPUTE_PGM_RSRC2:USER_SGPR: 4
; COMPUTE_PGM_RSRC2:TRAP_HANDLER: 0
; COMPUTE_PGM_RSRC2:TGID_X_EN: 1
; COMPUTE_PGM_RSRC2:TGID_Y_EN: 0
; COMPUTE_PGM_RSRC2:TGID_Z_EN: 0
; COMPUTE_PGM_RSRC2:TIDIG_COMP_CNT: 0
; COMPUTE_PGM_RSRC3_GFX90A:ACCUM_OFFSET: 0
; COMPUTE_PGM_RSRC3_GFX90A:TG_SPLIT: 0
	.section	.text._ZN7rocprim17ROCPRIM_400000_NS6detail44device_merge_sort_compile_time_verifier_archINS1_11comp_targetILNS1_3genE5ELNS1_11target_archE942ELNS1_3gpuE9ELNS1_3repE0EEES8_NS0_14default_configES9_NS1_37merge_sort_block_sort_config_selectorIN3c104HalfElEENS1_38merge_sort_block_merge_config_selectorISC_lEEEEvv,"axG",@progbits,_ZN7rocprim17ROCPRIM_400000_NS6detail44device_merge_sort_compile_time_verifier_archINS1_11comp_targetILNS1_3genE5ELNS1_11target_archE942ELNS1_3gpuE9ELNS1_3repE0EEES8_NS0_14default_configES9_NS1_37merge_sort_block_sort_config_selectorIN3c104HalfElEENS1_38merge_sort_block_merge_config_selectorISC_lEEEEvv,comdat
	.protected	_ZN7rocprim17ROCPRIM_400000_NS6detail44device_merge_sort_compile_time_verifier_archINS1_11comp_targetILNS1_3genE5ELNS1_11target_archE942ELNS1_3gpuE9ELNS1_3repE0EEES8_NS0_14default_configES9_NS1_37merge_sort_block_sort_config_selectorIN3c104HalfElEENS1_38merge_sort_block_merge_config_selectorISC_lEEEEvv ; -- Begin function _ZN7rocprim17ROCPRIM_400000_NS6detail44device_merge_sort_compile_time_verifier_archINS1_11comp_targetILNS1_3genE5ELNS1_11target_archE942ELNS1_3gpuE9ELNS1_3repE0EEES8_NS0_14default_configES9_NS1_37merge_sort_block_sort_config_selectorIN3c104HalfElEENS1_38merge_sort_block_merge_config_selectorISC_lEEEEvv
	.globl	_ZN7rocprim17ROCPRIM_400000_NS6detail44device_merge_sort_compile_time_verifier_archINS1_11comp_targetILNS1_3genE5ELNS1_11target_archE942ELNS1_3gpuE9ELNS1_3repE0EEES8_NS0_14default_configES9_NS1_37merge_sort_block_sort_config_selectorIN3c104HalfElEENS1_38merge_sort_block_merge_config_selectorISC_lEEEEvv
	.p2align	8
	.type	_ZN7rocprim17ROCPRIM_400000_NS6detail44device_merge_sort_compile_time_verifier_archINS1_11comp_targetILNS1_3genE5ELNS1_11target_archE942ELNS1_3gpuE9ELNS1_3repE0EEES8_NS0_14default_configES9_NS1_37merge_sort_block_sort_config_selectorIN3c104HalfElEENS1_38merge_sort_block_merge_config_selectorISC_lEEEEvv,@function
_ZN7rocprim17ROCPRIM_400000_NS6detail44device_merge_sort_compile_time_verifier_archINS1_11comp_targetILNS1_3genE5ELNS1_11target_archE942ELNS1_3gpuE9ELNS1_3repE0EEES8_NS0_14default_configES9_NS1_37merge_sort_block_sort_config_selectorIN3c104HalfElEENS1_38merge_sort_block_merge_config_selectorISC_lEEEEvv: ; @_ZN7rocprim17ROCPRIM_400000_NS6detail44device_merge_sort_compile_time_verifier_archINS1_11comp_targetILNS1_3genE5ELNS1_11target_archE942ELNS1_3gpuE9ELNS1_3repE0EEES8_NS0_14default_configES9_NS1_37merge_sort_block_sort_config_selectorIN3c104HalfElEENS1_38merge_sort_block_merge_config_selectorISC_lEEEEvv
; %bb.0:
	s_endpgm
	.section	.rodata,"a",@progbits
	.p2align	6, 0x0
	.amdhsa_kernel _ZN7rocprim17ROCPRIM_400000_NS6detail44device_merge_sort_compile_time_verifier_archINS1_11comp_targetILNS1_3genE5ELNS1_11target_archE942ELNS1_3gpuE9ELNS1_3repE0EEES8_NS0_14default_configES9_NS1_37merge_sort_block_sort_config_selectorIN3c104HalfElEENS1_38merge_sort_block_merge_config_selectorISC_lEEEEvv
		.amdhsa_group_segment_fixed_size 0
		.amdhsa_private_segment_fixed_size 0
		.amdhsa_kernarg_size 0
		.amdhsa_user_sgpr_count 4
		.amdhsa_user_sgpr_private_segment_buffer 1
		.amdhsa_user_sgpr_dispatch_ptr 0
		.amdhsa_user_sgpr_queue_ptr 0
		.amdhsa_user_sgpr_kernarg_segment_ptr 0
		.amdhsa_user_sgpr_dispatch_id 0
		.amdhsa_user_sgpr_flat_scratch_init 0
		.amdhsa_user_sgpr_kernarg_preload_length 0
		.amdhsa_user_sgpr_kernarg_preload_offset 0
		.amdhsa_user_sgpr_private_segment_size 0
		.amdhsa_uses_dynamic_stack 0
		.amdhsa_system_sgpr_private_segment_wavefront_offset 0
		.amdhsa_system_sgpr_workgroup_id_x 1
		.amdhsa_system_sgpr_workgroup_id_y 0
		.amdhsa_system_sgpr_workgroup_id_z 0
		.amdhsa_system_sgpr_workgroup_info 0
		.amdhsa_system_vgpr_workitem_id 0
		.amdhsa_next_free_vgpr 1
		.amdhsa_next_free_sgpr 0
		.amdhsa_accum_offset 4
		.amdhsa_reserve_vcc 0
		.amdhsa_reserve_flat_scratch 0
		.amdhsa_float_round_mode_32 0
		.amdhsa_float_round_mode_16_64 0
		.amdhsa_float_denorm_mode_32 3
		.amdhsa_float_denorm_mode_16_64 3
		.amdhsa_dx10_clamp 1
		.amdhsa_ieee_mode 1
		.amdhsa_fp16_overflow 0
		.amdhsa_tg_split 0
		.amdhsa_exception_fp_ieee_invalid_op 0
		.amdhsa_exception_fp_denorm_src 0
		.amdhsa_exception_fp_ieee_div_zero 0
		.amdhsa_exception_fp_ieee_overflow 0
		.amdhsa_exception_fp_ieee_underflow 0
		.amdhsa_exception_fp_ieee_inexact 0
		.amdhsa_exception_int_div_zero 0
	.end_amdhsa_kernel
	.section	.text._ZN7rocprim17ROCPRIM_400000_NS6detail44device_merge_sort_compile_time_verifier_archINS1_11comp_targetILNS1_3genE5ELNS1_11target_archE942ELNS1_3gpuE9ELNS1_3repE0EEES8_NS0_14default_configES9_NS1_37merge_sort_block_sort_config_selectorIN3c104HalfElEENS1_38merge_sort_block_merge_config_selectorISC_lEEEEvv,"axG",@progbits,_ZN7rocprim17ROCPRIM_400000_NS6detail44device_merge_sort_compile_time_verifier_archINS1_11comp_targetILNS1_3genE5ELNS1_11target_archE942ELNS1_3gpuE9ELNS1_3repE0EEES8_NS0_14default_configES9_NS1_37merge_sort_block_sort_config_selectorIN3c104HalfElEENS1_38merge_sort_block_merge_config_selectorISC_lEEEEvv,comdat
.Lfunc_end2108:
	.size	_ZN7rocprim17ROCPRIM_400000_NS6detail44device_merge_sort_compile_time_verifier_archINS1_11comp_targetILNS1_3genE5ELNS1_11target_archE942ELNS1_3gpuE9ELNS1_3repE0EEES8_NS0_14default_configES9_NS1_37merge_sort_block_sort_config_selectorIN3c104HalfElEENS1_38merge_sort_block_merge_config_selectorISC_lEEEEvv, .Lfunc_end2108-_ZN7rocprim17ROCPRIM_400000_NS6detail44device_merge_sort_compile_time_verifier_archINS1_11comp_targetILNS1_3genE5ELNS1_11target_archE942ELNS1_3gpuE9ELNS1_3repE0EEES8_NS0_14default_configES9_NS1_37merge_sort_block_sort_config_selectorIN3c104HalfElEENS1_38merge_sort_block_merge_config_selectorISC_lEEEEvv
                                        ; -- End function
	.section	.AMDGPU.csdata,"",@progbits
; Kernel info:
; codeLenInByte = 4
; NumSgprs: 4
; NumVgprs: 0
; NumAgprs: 0
; TotalNumVgprs: 0
; ScratchSize: 0
; MemoryBound: 0
; FloatMode: 240
; IeeeMode: 1
; LDSByteSize: 0 bytes/workgroup (compile time only)
; SGPRBlocks: 0
; VGPRBlocks: 0
; NumSGPRsForWavesPerEU: 4
; NumVGPRsForWavesPerEU: 1
; AccumOffset: 4
; Occupancy: 8
; WaveLimiterHint : 0
; COMPUTE_PGM_RSRC2:SCRATCH_EN: 0
; COMPUTE_PGM_RSRC2:USER_SGPR: 4
; COMPUTE_PGM_RSRC2:TRAP_HANDLER: 0
; COMPUTE_PGM_RSRC2:TGID_X_EN: 1
; COMPUTE_PGM_RSRC2:TGID_Y_EN: 0
; COMPUTE_PGM_RSRC2:TGID_Z_EN: 0
; COMPUTE_PGM_RSRC2:TIDIG_COMP_CNT: 0
; COMPUTE_PGM_RSRC3_GFX90A:ACCUM_OFFSET: 0
; COMPUTE_PGM_RSRC3_GFX90A:TG_SPLIT: 0
	.section	.text._ZN7rocprim17ROCPRIM_400000_NS6detail44device_merge_sort_compile_time_verifier_archINS1_11comp_targetILNS1_3genE4ELNS1_11target_archE910ELNS1_3gpuE8ELNS1_3repE0EEES8_NS0_14default_configES9_NS1_37merge_sort_block_sort_config_selectorIN3c104HalfElEENS1_38merge_sort_block_merge_config_selectorISC_lEEEEvv,"axG",@progbits,_ZN7rocprim17ROCPRIM_400000_NS6detail44device_merge_sort_compile_time_verifier_archINS1_11comp_targetILNS1_3genE4ELNS1_11target_archE910ELNS1_3gpuE8ELNS1_3repE0EEES8_NS0_14default_configES9_NS1_37merge_sort_block_sort_config_selectorIN3c104HalfElEENS1_38merge_sort_block_merge_config_selectorISC_lEEEEvv,comdat
	.protected	_ZN7rocprim17ROCPRIM_400000_NS6detail44device_merge_sort_compile_time_verifier_archINS1_11comp_targetILNS1_3genE4ELNS1_11target_archE910ELNS1_3gpuE8ELNS1_3repE0EEES8_NS0_14default_configES9_NS1_37merge_sort_block_sort_config_selectorIN3c104HalfElEENS1_38merge_sort_block_merge_config_selectorISC_lEEEEvv ; -- Begin function _ZN7rocprim17ROCPRIM_400000_NS6detail44device_merge_sort_compile_time_verifier_archINS1_11comp_targetILNS1_3genE4ELNS1_11target_archE910ELNS1_3gpuE8ELNS1_3repE0EEES8_NS0_14default_configES9_NS1_37merge_sort_block_sort_config_selectorIN3c104HalfElEENS1_38merge_sort_block_merge_config_selectorISC_lEEEEvv
	.globl	_ZN7rocprim17ROCPRIM_400000_NS6detail44device_merge_sort_compile_time_verifier_archINS1_11comp_targetILNS1_3genE4ELNS1_11target_archE910ELNS1_3gpuE8ELNS1_3repE0EEES8_NS0_14default_configES9_NS1_37merge_sort_block_sort_config_selectorIN3c104HalfElEENS1_38merge_sort_block_merge_config_selectorISC_lEEEEvv
	.p2align	8
	.type	_ZN7rocprim17ROCPRIM_400000_NS6detail44device_merge_sort_compile_time_verifier_archINS1_11comp_targetILNS1_3genE4ELNS1_11target_archE910ELNS1_3gpuE8ELNS1_3repE0EEES8_NS0_14default_configES9_NS1_37merge_sort_block_sort_config_selectorIN3c104HalfElEENS1_38merge_sort_block_merge_config_selectorISC_lEEEEvv,@function
_ZN7rocprim17ROCPRIM_400000_NS6detail44device_merge_sort_compile_time_verifier_archINS1_11comp_targetILNS1_3genE4ELNS1_11target_archE910ELNS1_3gpuE8ELNS1_3repE0EEES8_NS0_14default_configES9_NS1_37merge_sort_block_sort_config_selectorIN3c104HalfElEENS1_38merge_sort_block_merge_config_selectorISC_lEEEEvv: ; @_ZN7rocprim17ROCPRIM_400000_NS6detail44device_merge_sort_compile_time_verifier_archINS1_11comp_targetILNS1_3genE4ELNS1_11target_archE910ELNS1_3gpuE8ELNS1_3repE0EEES8_NS0_14default_configES9_NS1_37merge_sort_block_sort_config_selectorIN3c104HalfElEENS1_38merge_sort_block_merge_config_selectorISC_lEEEEvv
; %bb.0:
	s_endpgm
	.section	.rodata,"a",@progbits
	.p2align	6, 0x0
	.amdhsa_kernel _ZN7rocprim17ROCPRIM_400000_NS6detail44device_merge_sort_compile_time_verifier_archINS1_11comp_targetILNS1_3genE4ELNS1_11target_archE910ELNS1_3gpuE8ELNS1_3repE0EEES8_NS0_14default_configES9_NS1_37merge_sort_block_sort_config_selectorIN3c104HalfElEENS1_38merge_sort_block_merge_config_selectorISC_lEEEEvv
		.amdhsa_group_segment_fixed_size 0
		.amdhsa_private_segment_fixed_size 0
		.amdhsa_kernarg_size 0
		.amdhsa_user_sgpr_count 4
		.amdhsa_user_sgpr_private_segment_buffer 1
		.amdhsa_user_sgpr_dispatch_ptr 0
		.amdhsa_user_sgpr_queue_ptr 0
		.amdhsa_user_sgpr_kernarg_segment_ptr 0
		.amdhsa_user_sgpr_dispatch_id 0
		.amdhsa_user_sgpr_flat_scratch_init 0
		.amdhsa_user_sgpr_kernarg_preload_length 0
		.amdhsa_user_sgpr_kernarg_preload_offset 0
		.amdhsa_user_sgpr_private_segment_size 0
		.amdhsa_uses_dynamic_stack 0
		.amdhsa_system_sgpr_private_segment_wavefront_offset 0
		.amdhsa_system_sgpr_workgroup_id_x 1
		.amdhsa_system_sgpr_workgroup_id_y 0
		.amdhsa_system_sgpr_workgroup_id_z 0
		.amdhsa_system_sgpr_workgroup_info 0
		.amdhsa_system_vgpr_workitem_id 0
		.amdhsa_next_free_vgpr 1
		.amdhsa_next_free_sgpr 0
		.amdhsa_accum_offset 4
		.amdhsa_reserve_vcc 0
		.amdhsa_reserve_flat_scratch 0
		.amdhsa_float_round_mode_32 0
		.amdhsa_float_round_mode_16_64 0
		.amdhsa_float_denorm_mode_32 3
		.amdhsa_float_denorm_mode_16_64 3
		.amdhsa_dx10_clamp 1
		.amdhsa_ieee_mode 1
		.amdhsa_fp16_overflow 0
		.amdhsa_tg_split 0
		.amdhsa_exception_fp_ieee_invalid_op 0
		.amdhsa_exception_fp_denorm_src 0
		.amdhsa_exception_fp_ieee_div_zero 0
		.amdhsa_exception_fp_ieee_overflow 0
		.amdhsa_exception_fp_ieee_underflow 0
		.amdhsa_exception_fp_ieee_inexact 0
		.amdhsa_exception_int_div_zero 0
	.end_amdhsa_kernel
	.section	.text._ZN7rocprim17ROCPRIM_400000_NS6detail44device_merge_sort_compile_time_verifier_archINS1_11comp_targetILNS1_3genE4ELNS1_11target_archE910ELNS1_3gpuE8ELNS1_3repE0EEES8_NS0_14default_configES9_NS1_37merge_sort_block_sort_config_selectorIN3c104HalfElEENS1_38merge_sort_block_merge_config_selectorISC_lEEEEvv,"axG",@progbits,_ZN7rocprim17ROCPRIM_400000_NS6detail44device_merge_sort_compile_time_verifier_archINS1_11comp_targetILNS1_3genE4ELNS1_11target_archE910ELNS1_3gpuE8ELNS1_3repE0EEES8_NS0_14default_configES9_NS1_37merge_sort_block_sort_config_selectorIN3c104HalfElEENS1_38merge_sort_block_merge_config_selectorISC_lEEEEvv,comdat
.Lfunc_end2109:
	.size	_ZN7rocprim17ROCPRIM_400000_NS6detail44device_merge_sort_compile_time_verifier_archINS1_11comp_targetILNS1_3genE4ELNS1_11target_archE910ELNS1_3gpuE8ELNS1_3repE0EEES8_NS0_14default_configES9_NS1_37merge_sort_block_sort_config_selectorIN3c104HalfElEENS1_38merge_sort_block_merge_config_selectorISC_lEEEEvv, .Lfunc_end2109-_ZN7rocprim17ROCPRIM_400000_NS6detail44device_merge_sort_compile_time_verifier_archINS1_11comp_targetILNS1_3genE4ELNS1_11target_archE910ELNS1_3gpuE8ELNS1_3repE0EEES8_NS0_14default_configES9_NS1_37merge_sort_block_sort_config_selectorIN3c104HalfElEENS1_38merge_sort_block_merge_config_selectorISC_lEEEEvv
                                        ; -- End function
	.section	.AMDGPU.csdata,"",@progbits
; Kernel info:
; codeLenInByte = 4
; NumSgprs: 4
; NumVgprs: 0
; NumAgprs: 0
; TotalNumVgprs: 0
; ScratchSize: 0
; MemoryBound: 0
; FloatMode: 240
; IeeeMode: 1
; LDSByteSize: 0 bytes/workgroup (compile time only)
; SGPRBlocks: 0
; VGPRBlocks: 0
; NumSGPRsForWavesPerEU: 4
; NumVGPRsForWavesPerEU: 1
; AccumOffset: 4
; Occupancy: 8
; WaveLimiterHint : 0
; COMPUTE_PGM_RSRC2:SCRATCH_EN: 0
; COMPUTE_PGM_RSRC2:USER_SGPR: 4
; COMPUTE_PGM_RSRC2:TRAP_HANDLER: 0
; COMPUTE_PGM_RSRC2:TGID_X_EN: 1
; COMPUTE_PGM_RSRC2:TGID_Y_EN: 0
; COMPUTE_PGM_RSRC2:TGID_Z_EN: 0
; COMPUTE_PGM_RSRC2:TIDIG_COMP_CNT: 0
; COMPUTE_PGM_RSRC3_GFX90A:ACCUM_OFFSET: 0
; COMPUTE_PGM_RSRC3_GFX90A:TG_SPLIT: 0
	.section	.text._ZN7rocprim17ROCPRIM_400000_NS6detail44device_merge_sort_compile_time_verifier_archINS1_11comp_targetILNS1_3genE3ELNS1_11target_archE908ELNS1_3gpuE7ELNS1_3repE0EEES8_NS0_14default_configES9_NS1_37merge_sort_block_sort_config_selectorIN3c104HalfElEENS1_38merge_sort_block_merge_config_selectorISC_lEEEEvv,"axG",@progbits,_ZN7rocprim17ROCPRIM_400000_NS6detail44device_merge_sort_compile_time_verifier_archINS1_11comp_targetILNS1_3genE3ELNS1_11target_archE908ELNS1_3gpuE7ELNS1_3repE0EEES8_NS0_14default_configES9_NS1_37merge_sort_block_sort_config_selectorIN3c104HalfElEENS1_38merge_sort_block_merge_config_selectorISC_lEEEEvv,comdat
	.protected	_ZN7rocprim17ROCPRIM_400000_NS6detail44device_merge_sort_compile_time_verifier_archINS1_11comp_targetILNS1_3genE3ELNS1_11target_archE908ELNS1_3gpuE7ELNS1_3repE0EEES8_NS0_14default_configES9_NS1_37merge_sort_block_sort_config_selectorIN3c104HalfElEENS1_38merge_sort_block_merge_config_selectorISC_lEEEEvv ; -- Begin function _ZN7rocprim17ROCPRIM_400000_NS6detail44device_merge_sort_compile_time_verifier_archINS1_11comp_targetILNS1_3genE3ELNS1_11target_archE908ELNS1_3gpuE7ELNS1_3repE0EEES8_NS0_14default_configES9_NS1_37merge_sort_block_sort_config_selectorIN3c104HalfElEENS1_38merge_sort_block_merge_config_selectorISC_lEEEEvv
	.globl	_ZN7rocprim17ROCPRIM_400000_NS6detail44device_merge_sort_compile_time_verifier_archINS1_11comp_targetILNS1_3genE3ELNS1_11target_archE908ELNS1_3gpuE7ELNS1_3repE0EEES8_NS0_14default_configES9_NS1_37merge_sort_block_sort_config_selectorIN3c104HalfElEENS1_38merge_sort_block_merge_config_selectorISC_lEEEEvv
	.p2align	8
	.type	_ZN7rocprim17ROCPRIM_400000_NS6detail44device_merge_sort_compile_time_verifier_archINS1_11comp_targetILNS1_3genE3ELNS1_11target_archE908ELNS1_3gpuE7ELNS1_3repE0EEES8_NS0_14default_configES9_NS1_37merge_sort_block_sort_config_selectorIN3c104HalfElEENS1_38merge_sort_block_merge_config_selectorISC_lEEEEvv,@function
_ZN7rocprim17ROCPRIM_400000_NS6detail44device_merge_sort_compile_time_verifier_archINS1_11comp_targetILNS1_3genE3ELNS1_11target_archE908ELNS1_3gpuE7ELNS1_3repE0EEES8_NS0_14default_configES9_NS1_37merge_sort_block_sort_config_selectorIN3c104HalfElEENS1_38merge_sort_block_merge_config_selectorISC_lEEEEvv: ; @_ZN7rocprim17ROCPRIM_400000_NS6detail44device_merge_sort_compile_time_verifier_archINS1_11comp_targetILNS1_3genE3ELNS1_11target_archE908ELNS1_3gpuE7ELNS1_3repE0EEES8_NS0_14default_configES9_NS1_37merge_sort_block_sort_config_selectorIN3c104HalfElEENS1_38merge_sort_block_merge_config_selectorISC_lEEEEvv
; %bb.0:
	s_endpgm
	.section	.rodata,"a",@progbits
	.p2align	6, 0x0
	.amdhsa_kernel _ZN7rocprim17ROCPRIM_400000_NS6detail44device_merge_sort_compile_time_verifier_archINS1_11comp_targetILNS1_3genE3ELNS1_11target_archE908ELNS1_3gpuE7ELNS1_3repE0EEES8_NS0_14default_configES9_NS1_37merge_sort_block_sort_config_selectorIN3c104HalfElEENS1_38merge_sort_block_merge_config_selectorISC_lEEEEvv
		.amdhsa_group_segment_fixed_size 0
		.amdhsa_private_segment_fixed_size 0
		.amdhsa_kernarg_size 0
		.amdhsa_user_sgpr_count 4
		.amdhsa_user_sgpr_private_segment_buffer 1
		.amdhsa_user_sgpr_dispatch_ptr 0
		.amdhsa_user_sgpr_queue_ptr 0
		.amdhsa_user_sgpr_kernarg_segment_ptr 0
		.amdhsa_user_sgpr_dispatch_id 0
		.amdhsa_user_sgpr_flat_scratch_init 0
		.amdhsa_user_sgpr_kernarg_preload_length 0
		.amdhsa_user_sgpr_kernarg_preload_offset 0
		.amdhsa_user_sgpr_private_segment_size 0
		.amdhsa_uses_dynamic_stack 0
		.amdhsa_system_sgpr_private_segment_wavefront_offset 0
		.amdhsa_system_sgpr_workgroup_id_x 1
		.amdhsa_system_sgpr_workgroup_id_y 0
		.amdhsa_system_sgpr_workgroup_id_z 0
		.amdhsa_system_sgpr_workgroup_info 0
		.amdhsa_system_vgpr_workitem_id 0
		.amdhsa_next_free_vgpr 1
		.amdhsa_next_free_sgpr 0
		.amdhsa_accum_offset 4
		.amdhsa_reserve_vcc 0
		.amdhsa_reserve_flat_scratch 0
		.amdhsa_float_round_mode_32 0
		.amdhsa_float_round_mode_16_64 0
		.amdhsa_float_denorm_mode_32 3
		.amdhsa_float_denorm_mode_16_64 3
		.amdhsa_dx10_clamp 1
		.amdhsa_ieee_mode 1
		.amdhsa_fp16_overflow 0
		.amdhsa_tg_split 0
		.amdhsa_exception_fp_ieee_invalid_op 0
		.amdhsa_exception_fp_denorm_src 0
		.amdhsa_exception_fp_ieee_div_zero 0
		.amdhsa_exception_fp_ieee_overflow 0
		.amdhsa_exception_fp_ieee_underflow 0
		.amdhsa_exception_fp_ieee_inexact 0
		.amdhsa_exception_int_div_zero 0
	.end_amdhsa_kernel
	.section	.text._ZN7rocprim17ROCPRIM_400000_NS6detail44device_merge_sort_compile_time_verifier_archINS1_11comp_targetILNS1_3genE3ELNS1_11target_archE908ELNS1_3gpuE7ELNS1_3repE0EEES8_NS0_14default_configES9_NS1_37merge_sort_block_sort_config_selectorIN3c104HalfElEENS1_38merge_sort_block_merge_config_selectorISC_lEEEEvv,"axG",@progbits,_ZN7rocprim17ROCPRIM_400000_NS6detail44device_merge_sort_compile_time_verifier_archINS1_11comp_targetILNS1_3genE3ELNS1_11target_archE908ELNS1_3gpuE7ELNS1_3repE0EEES8_NS0_14default_configES9_NS1_37merge_sort_block_sort_config_selectorIN3c104HalfElEENS1_38merge_sort_block_merge_config_selectorISC_lEEEEvv,comdat
.Lfunc_end2110:
	.size	_ZN7rocprim17ROCPRIM_400000_NS6detail44device_merge_sort_compile_time_verifier_archINS1_11comp_targetILNS1_3genE3ELNS1_11target_archE908ELNS1_3gpuE7ELNS1_3repE0EEES8_NS0_14default_configES9_NS1_37merge_sort_block_sort_config_selectorIN3c104HalfElEENS1_38merge_sort_block_merge_config_selectorISC_lEEEEvv, .Lfunc_end2110-_ZN7rocprim17ROCPRIM_400000_NS6detail44device_merge_sort_compile_time_verifier_archINS1_11comp_targetILNS1_3genE3ELNS1_11target_archE908ELNS1_3gpuE7ELNS1_3repE0EEES8_NS0_14default_configES9_NS1_37merge_sort_block_sort_config_selectorIN3c104HalfElEENS1_38merge_sort_block_merge_config_selectorISC_lEEEEvv
                                        ; -- End function
	.section	.AMDGPU.csdata,"",@progbits
; Kernel info:
; codeLenInByte = 4
; NumSgprs: 4
; NumVgprs: 0
; NumAgprs: 0
; TotalNumVgprs: 0
; ScratchSize: 0
; MemoryBound: 0
; FloatMode: 240
; IeeeMode: 1
; LDSByteSize: 0 bytes/workgroup (compile time only)
; SGPRBlocks: 0
; VGPRBlocks: 0
; NumSGPRsForWavesPerEU: 4
; NumVGPRsForWavesPerEU: 1
; AccumOffset: 4
; Occupancy: 8
; WaveLimiterHint : 0
; COMPUTE_PGM_RSRC2:SCRATCH_EN: 0
; COMPUTE_PGM_RSRC2:USER_SGPR: 4
; COMPUTE_PGM_RSRC2:TRAP_HANDLER: 0
; COMPUTE_PGM_RSRC2:TGID_X_EN: 1
; COMPUTE_PGM_RSRC2:TGID_Y_EN: 0
; COMPUTE_PGM_RSRC2:TGID_Z_EN: 0
; COMPUTE_PGM_RSRC2:TIDIG_COMP_CNT: 0
; COMPUTE_PGM_RSRC3_GFX90A:ACCUM_OFFSET: 0
; COMPUTE_PGM_RSRC3_GFX90A:TG_SPLIT: 0
	.section	.text._ZN7rocprim17ROCPRIM_400000_NS6detail44device_merge_sort_compile_time_verifier_archINS1_11comp_targetILNS1_3genE2ELNS1_11target_archE906ELNS1_3gpuE6ELNS1_3repE0EEES8_NS0_14default_configES9_NS1_37merge_sort_block_sort_config_selectorIN3c104HalfElEENS1_38merge_sort_block_merge_config_selectorISC_lEEEEvv,"axG",@progbits,_ZN7rocprim17ROCPRIM_400000_NS6detail44device_merge_sort_compile_time_verifier_archINS1_11comp_targetILNS1_3genE2ELNS1_11target_archE906ELNS1_3gpuE6ELNS1_3repE0EEES8_NS0_14default_configES9_NS1_37merge_sort_block_sort_config_selectorIN3c104HalfElEENS1_38merge_sort_block_merge_config_selectorISC_lEEEEvv,comdat
	.protected	_ZN7rocprim17ROCPRIM_400000_NS6detail44device_merge_sort_compile_time_verifier_archINS1_11comp_targetILNS1_3genE2ELNS1_11target_archE906ELNS1_3gpuE6ELNS1_3repE0EEES8_NS0_14default_configES9_NS1_37merge_sort_block_sort_config_selectorIN3c104HalfElEENS1_38merge_sort_block_merge_config_selectorISC_lEEEEvv ; -- Begin function _ZN7rocprim17ROCPRIM_400000_NS6detail44device_merge_sort_compile_time_verifier_archINS1_11comp_targetILNS1_3genE2ELNS1_11target_archE906ELNS1_3gpuE6ELNS1_3repE0EEES8_NS0_14default_configES9_NS1_37merge_sort_block_sort_config_selectorIN3c104HalfElEENS1_38merge_sort_block_merge_config_selectorISC_lEEEEvv
	.globl	_ZN7rocprim17ROCPRIM_400000_NS6detail44device_merge_sort_compile_time_verifier_archINS1_11comp_targetILNS1_3genE2ELNS1_11target_archE906ELNS1_3gpuE6ELNS1_3repE0EEES8_NS0_14default_configES9_NS1_37merge_sort_block_sort_config_selectorIN3c104HalfElEENS1_38merge_sort_block_merge_config_selectorISC_lEEEEvv
	.p2align	8
	.type	_ZN7rocprim17ROCPRIM_400000_NS6detail44device_merge_sort_compile_time_verifier_archINS1_11comp_targetILNS1_3genE2ELNS1_11target_archE906ELNS1_3gpuE6ELNS1_3repE0EEES8_NS0_14default_configES9_NS1_37merge_sort_block_sort_config_selectorIN3c104HalfElEENS1_38merge_sort_block_merge_config_selectorISC_lEEEEvv,@function
_ZN7rocprim17ROCPRIM_400000_NS6detail44device_merge_sort_compile_time_verifier_archINS1_11comp_targetILNS1_3genE2ELNS1_11target_archE906ELNS1_3gpuE6ELNS1_3repE0EEES8_NS0_14default_configES9_NS1_37merge_sort_block_sort_config_selectorIN3c104HalfElEENS1_38merge_sort_block_merge_config_selectorISC_lEEEEvv: ; @_ZN7rocprim17ROCPRIM_400000_NS6detail44device_merge_sort_compile_time_verifier_archINS1_11comp_targetILNS1_3genE2ELNS1_11target_archE906ELNS1_3gpuE6ELNS1_3repE0EEES8_NS0_14default_configES9_NS1_37merge_sort_block_sort_config_selectorIN3c104HalfElEENS1_38merge_sort_block_merge_config_selectorISC_lEEEEvv
; %bb.0:
	s_endpgm
	.section	.rodata,"a",@progbits
	.p2align	6, 0x0
	.amdhsa_kernel _ZN7rocprim17ROCPRIM_400000_NS6detail44device_merge_sort_compile_time_verifier_archINS1_11comp_targetILNS1_3genE2ELNS1_11target_archE906ELNS1_3gpuE6ELNS1_3repE0EEES8_NS0_14default_configES9_NS1_37merge_sort_block_sort_config_selectorIN3c104HalfElEENS1_38merge_sort_block_merge_config_selectorISC_lEEEEvv
		.amdhsa_group_segment_fixed_size 0
		.amdhsa_private_segment_fixed_size 0
		.amdhsa_kernarg_size 0
		.amdhsa_user_sgpr_count 4
		.amdhsa_user_sgpr_private_segment_buffer 1
		.amdhsa_user_sgpr_dispatch_ptr 0
		.amdhsa_user_sgpr_queue_ptr 0
		.amdhsa_user_sgpr_kernarg_segment_ptr 0
		.amdhsa_user_sgpr_dispatch_id 0
		.amdhsa_user_sgpr_flat_scratch_init 0
		.amdhsa_user_sgpr_kernarg_preload_length 0
		.amdhsa_user_sgpr_kernarg_preload_offset 0
		.amdhsa_user_sgpr_private_segment_size 0
		.amdhsa_uses_dynamic_stack 0
		.amdhsa_system_sgpr_private_segment_wavefront_offset 0
		.amdhsa_system_sgpr_workgroup_id_x 1
		.amdhsa_system_sgpr_workgroup_id_y 0
		.amdhsa_system_sgpr_workgroup_id_z 0
		.amdhsa_system_sgpr_workgroup_info 0
		.amdhsa_system_vgpr_workitem_id 0
		.amdhsa_next_free_vgpr 1
		.amdhsa_next_free_sgpr 0
		.amdhsa_accum_offset 4
		.amdhsa_reserve_vcc 0
		.amdhsa_reserve_flat_scratch 0
		.amdhsa_float_round_mode_32 0
		.amdhsa_float_round_mode_16_64 0
		.amdhsa_float_denorm_mode_32 3
		.amdhsa_float_denorm_mode_16_64 3
		.amdhsa_dx10_clamp 1
		.amdhsa_ieee_mode 1
		.amdhsa_fp16_overflow 0
		.amdhsa_tg_split 0
		.amdhsa_exception_fp_ieee_invalid_op 0
		.amdhsa_exception_fp_denorm_src 0
		.amdhsa_exception_fp_ieee_div_zero 0
		.amdhsa_exception_fp_ieee_overflow 0
		.amdhsa_exception_fp_ieee_underflow 0
		.amdhsa_exception_fp_ieee_inexact 0
		.amdhsa_exception_int_div_zero 0
	.end_amdhsa_kernel
	.section	.text._ZN7rocprim17ROCPRIM_400000_NS6detail44device_merge_sort_compile_time_verifier_archINS1_11comp_targetILNS1_3genE2ELNS1_11target_archE906ELNS1_3gpuE6ELNS1_3repE0EEES8_NS0_14default_configES9_NS1_37merge_sort_block_sort_config_selectorIN3c104HalfElEENS1_38merge_sort_block_merge_config_selectorISC_lEEEEvv,"axG",@progbits,_ZN7rocprim17ROCPRIM_400000_NS6detail44device_merge_sort_compile_time_verifier_archINS1_11comp_targetILNS1_3genE2ELNS1_11target_archE906ELNS1_3gpuE6ELNS1_3repE0EEES8_NS0_14default_configES9_NS1_37merge_sort_block_sort_config_selectorIN3c104HalfElEENS1_38merge_sort_block_merge_config_selectorISC_lEEEEvv,comdat
.Lfunc_end2111:
	.size	_ZN7rocprim17ROCPRIM_400000_NS6detail44device_merge_sort_compile_time_verifier_archINS1_11comp_targetILNS1_3genE2ELNS1_11target_archE906ELNS1_3gpuE6ELNS1_3repE0EEES8_NS0_14default_configES9_NS1_37merge_sort_block_sort_config_selectorIN3c104HalfElEENS1_38merge_sort_block_merge_config_selectorISC_lEEEEvv, .Lfunc_end2111-_ZN7rocprim17ROCPRIM_400000_NS6detail44device_merge_sort_compile_time_verifier_archINS1_11comp_targetILNS1_3genE2ELNS1_11target_archE906ELNS1_3gpuE6ELNS1_3repE0EEES8_NS0_14default_configES9_NS1_37merge_sort_block_sort_config_selectorIN3c104HalfElEENS1_38merge_sort_block_merge_config_selectorISC_lEEEEvv
                                        ; -- End function
	.section	.AMDGPU.csdata,"",@progbits
; Kernel info:
; codeLenInByte = 4
; NumSgprs: 4
; NumVgprs: 0
; NumAgprs: 0
; TotalNumVgprs: 0
; ScratchSize: 0
; MemoryBound: 0
; FloatMode: 240
; IeeeMode: 1
; LDSByteSize: 0 bytes/workgroup (compile time only)
; SGPRBlocks: 0
; VGPRBlocks: 0
; NumSGPRsForWavesPerEU: 4
; NumVGPRsForWavesPerEU: 1
; AccumOffset: 4
; Occupancy: 8
; WaveLimiterHint : 0
; COMPUTE_PGM_RSRC2:SCRATCH_EN: 0
; COMPUTE_PGM_RSRC2:USER_SGPR: 4
; COMPUTE_PGM_RSRC2:TRAP_HANDLER: 0
; COMPUTE_PGM_RSRC2:TGID_X_EN: 1
; COMPUTE_PGM_RSRC2:TGID_Y_EN: 0
; COMPUTE_PGM_RSRC2:TGID_Z_EN: 0
; COMPUTE_PGM_RSRC2:TIDIG_COMP_CNT: 0
; COMPUTE_PGM_RSRC3_GFX90A:ACCUM_OFFSET: 0
; COMPUTE_PGM_RSRC3_GFX90A:TG_SPLIT: 0
	.section	.text._ZN7rocprim17ROCPRIM_400000_NS6detail44device_merge_sort_compile_time_verifier_archINS1_11comp_targetILNS1_3genE10ELNS1_11target_archE1201ELNS1_3gpuE5ELNS1_3repE0EEES8_NS0_14default_configES9_NS1_37merge_sort_block_sort_config_selectorIN3c104HalfElEENS1_38merge_sort_block_merge_config_selectorISC_lEEEEvv,"axG",@progbits,_ZN7rocprim17ROCPRIM_400000_NS6detail44device_merge_sort_compile_time_verifier_archINS1_11comp_targetILNS1_3genE10ELNS1_11target_archE1201ELNS1_3gpuE5ELNS1_3repE0EEES8_NS0_14default_configES9_NS1_37merge_sort_block_sort_config_selectorIN3c104HalfElEENS1_38merge_sort_block_merge_config_selectorISC_lEEEEvv,comdat
	.protected	_ZN7rocprim17ROCPRIM_400000_NS6detail44device_merge_sort_compile_time_verifier_archINS1_11comp_targetILNS1_3genE10ELNS1_11target_archE1201ELNS1_3gpuE5ELNS1_3repE0EEES8_NS0_14default_configES9_NS1_37merge_sort_block_sort_config_selectorIN3c104HalfElEENS1_38merge_sort_block_merge_config_selectorISC_lEEEEvv ; -- Begin function _ZN7rocprim17ROCPRIM_400000_NS6detail44device_merge_sort_compile_time_verifier_archINS1_11comp_targetILNS1_3genE10ELNS1_11target_archE1201ELNS1_3gpuE5ELNS1_3repE0EEES8_NS0_14default_configES9_NS1_37merge_sort_block_sort_config_selectorIN3c104HalfElEENS1_38merge_sort_block_merge_config_selectorISC_lEEEEvv
	.globl	_ZN7rocprim17ROCPRIM_400000_NS6detail44device_merge_sort_compile_time_verifier_archINS1_11comp_targetILNS1_3genE10ELNS1_11target_archE1201ELNS1_3gpuE5ELNS1_3repE0EEES8_NS0_14default_configES9_NS1_37merge_sort_block_sort_config_selectorIN3c104HalfElEENS1_38merge_sort_block_merge_config_selectorISC_lEEEEvv
	.p2align	8
	.type	_ZN7rocprim17ROCPRIM_400000_NS6detail44device_merge_sort_compile_time_verifier_archINS1_11comp_targetILNS1_3genE10ELNS1_11target_archE1201ELNS1_3gpuE5ELNS1_3repE0EEES8_NS0_14default_configES9_NS1_37merge_sort_block_sort_config_selectorIN3c104HalfElEENS1_38merge_sort_block_merge_config_selectorISC_lEEEEvv,@function
_ZN7rocprim17ROCPRIM_400000_NS6detail44device_merge_sort_compile_time_verifier_archINS1_11comp_targetILNS1_3genE10ELNS1_11target_archE1201ELNS1_3gpuE5ELNS1_3repE0EEES8_NS0_14default_configES9_NS1_37merge_sort_block_sort_config_selectorIN3c104HalfElEENS1_38merge_sort_block_merge_config_selectorISC_lEEEEvv: ; @_ZN7rocprim17ROCPRIM_400000_NS6detail44device_merge_sort_compile_time_verifier_archINS1_11comp_targetILNS1_3genE10ELNS1_11target_archE1201ELNS1_3gpuE5ELNS1_3repE0EEES8_NS0_14default_configES9_NS1_37merge_sort_block_sort_config_selectorIN3c104HalfElEENS1_38merge_sort_block_merge_config_selectorISC_lEEEEvv
; %bb.0:
	s_endpgm
	.section	.rodata,"a",@progbits
	.p2align	6, 0x0
	.amdhsa_kernel _ZN7rocprim17ROCPRIM_400000_NS6detail44device_merge_sort_compile_time_verifier_archINS1_11comp_targetILNS1_3genE10ELNS1_11target_archE1201ELNS1_3gpuE5ELNS1_3repE0EEES8_NS0_14default_configES9_NS1_37merge_sort_block_sort_config_selectorIN3c104HalfElEENS1_38merge_sort_block_merge_config_selectorISC_lEEEEvv
		.amdhsa_group_segment_fixed_size 0
		.amdhsa_private_segment_fixed_size 0
		.amdhsa_kernarg_size 0
		.amdhsa_user_sgpr_count 4
		.amdhsa_user_sgpr_private_segment_buffer 1
		.amdhsa_user_sgpr_dispatch_ptr 0
		.amdhsa_user_sgpr_queue_ptr 0
		.amdhsa_user_sgpr_kernarg_segment_ptr 0
		.amdhsa_user_sgpr_dispatch_id 0
		.amdhsa_user_sgpr_flat_scratch_init 0
		.amdhsa_user_sgpr_kernarg_preload_length 0
		.amdhsa_user_sgpr_kernarg_preload_offset 0
		.amdhsa_user_sgpr_private_segment_size 0
		.amdhsa_uses_dynamic_stack 0
		.amdhsa_system_sgpr_private_segment_wavefront_offset 0
		.amdhsa_system_sgpr_workgroup_id_x 1
		.amdhsa_system_sgpr_workgroup_id_y 0
		.amdhsa_system_sgpr_workgroup_id_z 0
		.amdhsa_system_sgpr_workgroup_info 0
		.amdhsa_system_vgpr_workitem_id 0
		.amdhsa_next_free_vgpr 1
		.amdhsa_next_free_sgpr 0
		.amdhsa_accum_offset 4
		.amdhsa_reserve_vcc 0
		.amdhsa_reserve_flat_scratch 0
		.amdhsa_float_round_mode_32 0
		.amdhsa_float_round_mode_16_64 0
		.amdhsa_float_denorm_mode_32 3
		.amdhsa_float_denorm_mode_16_64 3
		.amdhsa_dx10_clamp 1
		.amdhsa_ieee_mode 1
		.amdhsa_fp16_overflow 0
		.amdhsa_tg_split 0
		.amdhsa_exception_fp_ieee_invalid_op 0
		.amdhsa_exception_fp_denorm_src 0
		.amdhsa_exception_fp_ieee_div_zero 0
		.amdhsa_exception_fp_ieee_overflow 0
		.amdhsa_exception_fp_ieee_underflow 0
		.amdhsa_exception_fp_ieee_inexact 0
		.amdhsa_exception_int_div_zero 0
	.end_amdhsa_kernel
	.section	.text._ZN7rocprim17ROCPRIM_400000_NS6detail44device_merge_sort_compile_time_verifier_archINS1_11comp_targetILNS1_3genE10ELNS1_11target_archE1201ELNS1_3gpuE5ELNS1_3repE0EEES8_NS0_14default_configES9_NS1_37merge_sort_block_sort_config_selectorIN3c104HalfElEENS1_38merge_sort_block_merge_config_selectorISC_lEEEEvv,"axG",@progbits,_ZN7rocprim17ROCPRIM_400000_NS6detail44device_merge_sort_compile_time_verifier_archINS1_11comp_targetILNS1_3genE10ELNS1_11target_archE1201ELNS1_3gpuE5ELNS1_3repE0EEES8_NS0_14default_configES9_NS1_37merge_sort_block_sort_config_selectorIN3c104HalfElEENS1_38merge_sort_block_merge_config_selectorISC_lEEEEvv,comdat
.Lfunc_end2112:
	.size	_ZN7rocprim17ROCPRIM_400000_NS6detail44device_merge_sort_compile_time_verifier_archINS1_11comp_targetILNS1_3genE10ELNS1_11target_archE1201ELNS1_3gpuE5ELNS1_3repE0EEES8_NS0_14default_configES9_NS1_37merge_sort_block_sort_config_selectorIN3c104HalfElEENS1_38merge_sort_block_merge_config_selectorISC_lEEEEvv, .Lfunc_end2112-_ZN7rocprim17ROCPRIM_400000_NS6detail44device_merge_sort_compile_time_verifier_archINS1_11comp_targetILNS1_3genE10ELNS1_11target_archE1201ELNS1_3gpuE5ELNS1_3repE0EEES8_NS0_14default_configES9_NS1_37merge_sort_block_sort_config_selectorIN3c104HalfElEENS1_38merge_sort_block_merge_config_selectorISC_lEEEEvv
                                        ; -- End function
	.section	.AMDGPU.csdata,"",@progbits
; Kernel info:
; codeLenInByte = 4
; NumSgprs: 4
; NumVgprs: 0
; NumAgprs: 0
; TotalNumVgprs: 0
; ScratchSize: 0
; MemoryBound: 0
; FloatMode: 240
; IeeeMode: 1
; LDSByteSize: 0 bytes/workgroup (compile time only)
; SGPRBlocks: 0
; VGPRBlocks: 0
; NumSGPRsForWavesPerEU: 4
; NumVGPRsForWavesPerEU: 1
; AccumOffset: 4
; Occupancy: 8
; WaveLimiterHint : 0
; COMPUTE_PGM_RSRC2:SCRATCH_EN: 0
; COMPUTE_PGM_RSRC2:USER_SGPR: 4
; COMPUTE_PGM_RSRC2:TRAP_HANDLER: 0
; COMPUTE_PGM_RSRC2:TGID_X_EN: 1
; COMPUTE_PGM_RSRC2:TGID_Y_EN: 0
; COMPUTE_PGM_RSRC2:TGID_Z_EN: 0
; COMPUTE_PGM_RSRC2:TIDIG_COMP_CNT: 0
; COMPUTE_PGM_RSRC3_GFX90A:ACCUM_OFFSET: 0
; COMPUTE_PGM_RSRC3_GFX90A:TG_SPLIT: 0
	.section	.text._ZN7rocprim17ROCPRIM_400000_NS6detail44device_merge_sort_compile_time_verifier_archINS1_11comp_targetILNS1_3genE10ELNS1_11target_archE1200ELNS1_3gpuE4ELNS1_3repE0EEENS3_ILS4_10ELS5_1201ELS6_5ELS7_0EEENS0_14default_configESA_NS1_37merge_sort_block_sort_config_selectorIN3c104HalfElEENS1_38merge_sort_block_merge_config_selectorISD_lEEEEvv,"axG",@progbits,_ZN7rocprim17ROCPRIM_400000_NS6detail44device_merge_sort_compile_time_verifier_archINS1_11comp_targetILNS1_3genE10ELNS1_11target_archE1200ELNS1_3gpuE4ELNS1_3repE0EEENS3_ILS4_10ELS5_1201ELS6_5ELS7_0EEENS0_14default_configESA_NS1_37merge_sort_block_sort_config_selectorIN3c104HalfElEENS1_38merge_sort_block_merge_config_selectorISD_lEEEEvv,comdat
	.protected	_ZN7rocprim17ROCPRIM_400000_NS6detail44device_merge_sort_compile_time_verifier_archINS1_11comp_targetILNS1_3genE10ELNS1_11target_archE1200ELNS1_3gpuE4ELNS1_3repE0EEENS3_ILS4_10ELS5_1201ELS6_5ELS7_0EEENS0_14default_configESA_NS1_37merge_sort_block_sort_config_selectorIN3c104HalfElEENS1_38merge_sort_block_merge_config_selectorISD_lEEEEvv ; -- Begin function _ZN7rocprim17ROCPRIM_400000_NS6detail44device_merge_sort_compile_time_verifier_archINS1_11comp_targetILNS1_3genE10ELNS1_11target_archE1200ELNS1_3gpuE4ELNS1_3repE0EEENS3_ILS4_10ELS5_1201ELS6_5ELS7_0EEENS0_14default_configESA_NS1_37merge_sort_block_sort_config_selectorIN3c104HalfElEENS1_38merge_sort_block_merge_config_selectorISD_lEEEEvv
	.globl	_ZN7rocprim17ROCPRIM_400000_NS6detail44device_merge_sort_compile_time_verifier_archINS1_11comp_targetILNS1_3genE10ELNS1_11target_archE1200ELNS1_3gpuE4ELNS1_3repE0EEENS3_ILS4_10ELS5_1201ELS6_5ELS7_0EEENS0_14default_configESA_NS1_37merge_sort_block_sort_config_selectorIN3c104HalfElEENS1_38merge_sort_block_merge_config_selectorISD_lEEEEvv
	.p2align	8
	.type	_ZN7rocprim17ROCPRIM_400000_NS6detail44device_merge_sort_compile_time_verifier_archINS1_11comp_targetILNS1_3genE10ELNS1_11target_archE1200ELNS1_3gpuE4ELNS1_3repE0EEENS3_ILS4_10ELS5_1201ELS6_5ELS7_0EEENS0_14default_configESA_NS1_37merge_sort_block_sort_config_selectorIN3c104HalfElEENS1_38merge_sort_block_merge_config_selectorISD_lEEEEvv,@function
_ZN7rocprim17ROCPRIM_400000_NS6detail44device_merge_sort_compile_time_verifier_archINS1_11comp_targetILNS1_3genE10ELNS1_11target_archE1200ELNS1_3gpuE4ELNS1_3repE0EEENS3_ILS4_10ELS5_1201ELS6_5ELS7_0EEENS0_14default_configESA_NS1_37merge_sort_block_sort_config_selectorIN3c104HalfElEENS1_38merge_sort_block_merge_config_selectorISD_lEEEEvv: ; @_ZN7rocprim17ROCPRIM_400000_NS6detail44device_merge_sort_compile_time_verifier_archINS1_11comp_targetILNS1_3genE10ELNS1_11target_archE1200ELNS1_3gpuE4ELNS1_3repE0EEENS3_ILS4_10ELS5_1201ELS6_5ELS7_0EEENS0_14default_configESA_NS1_37merge_sort_block_sort_config_selectorIN3c104HalfElEENS1_38merge_sort_block_merge_config_selectorISD_lEEEEvv
; %bb.0:
	s_endpgm
	.section	.rodata,"a",@progbits
	.p2align	6, 0x0
	.amdhsa_kernel _ZN7rocprim17ROCPRIM_400000_NS6detail44device_merge_sort_compile_time_verifier_archINS1_11comp_targetILNS1_3genE10ELNS1_11target_archE1200ELNS1_3gpuE4ELNS1_3repE0EEENS3_ILS4_10ELS5_1201ELS6_5ELS7_0EEENS0_14default_configESA_NS1_37merge_sort_block_sort_config_selectorIN3c104HalfElEENS1_38merge_sort_block_merge_config_selectorISD_lEEEEvv
		.amdhsa_group_segment_fixed_size 0
		.amdhsa_private_segment_fixed_size 0
		.amdhsa_kernarg_size 0
		.amdhsa_user_sgpr_count 4
		.amdhsa_user_sgpr_private_segment_buffer 1
		.amdhsa_user_sgpr_dispatch_ptr 0
		.amdhsa_user_sgpr_queue_ptr 0
		.amdhsa_user_sgpr_kernarg_segment_ptr 0
		.amdhsa_user_sgpr_dispatch_id 0
		.amdhsa_user_sgpr_flat_scratch_init 0
		.amdhsa_user_sgpr_kernarg_preload_length 0
		.amdhsa_user_sgpr_kernarg_preload_offset 0
		.amdhsa_user_sgpr_private_segment_size 0
		.amdhsa_uses_dynamic_stack 0
		.amdhsa_system_sgpr_private_segment_wavefront_offset 0
		.amdhsa_system_sgpr_workgroup_id_x 1
		.amdhsa_system_sgpr_workgroup_id_y 0
		.amdhsa_system_sgpr_workgroup_id_z 0
		.amdhsa_system_sgpr_workgroup_info 0
		.amdhsa_system_vgpr_workitem_id 0
		.amdhsa_next_free_vgpr 1
		.amdhsa_next_free_sgpr 0
		.amdhsa_accum_offset 4
		.amdhsa_reserve_vcc 0
		.amdhsa_reserve_flat_scratch 0
		.amdhsa_float_round_mode_32 0
		.amdhsa_float_round_mode_16_64 0
		.amdhsa_float_denorm_mode_32 3
		.amdhsa_float_denorm_mode_16_64 3
		.amdhsa_dx10_clamp 1
		.amdhsa_ieee_mode 1
		.amdhsa_fp16_overflow 0
		.amdhsa_tg_split 0
		.amdhsa_exception_fp_ieee_invalid_op 0
		.amdhsa_exception_fp_denorm_src 0
		.amdhsa_exception_fp_ieee_div_zero 0
		.amdhsa_exception_fp_ieee_overflow 0
		.amdhsa_exception_fp_ieee_underflow 0
		.amdhsa_exception_fp_ieee_inexact 0
		.amdhsa_exception_int_div_zero 0
	.end_amdhsa_kernel
	.section	.text._ZN7rocprim17ROCPRIM_400000_NS6detail44device_merge_sort_compile_time_verifier_archINS1_11comp_targetILNS1_3genE10ELNS1_11target_archE1200ELNS1_3gpuE4ELNS1_3repE0EEENS3_ILS4_10ELS5_1201ELS6_5ELS7_0EEENS0_14default_configESA_NS1_37merge_sort_block_sort_config_selectorIN3c104HalfElEENS1_38merge_sort_block_merge_config_selectorISD_lEEEEvv,"axG",@progbits,_ZN7rocprim17ROCPRIM_400000_NS6detail44device_merge_sort_compile_time_verifier_archINS1_11comp_targetILNS1_3genE10ELNS1_11target_archE1200ELNS1_3gpuE4ELNS1_3repE0EEENS3_ILS4_10ELS5_1201ELS6_5ELS7_0EEENS0_14default_configESA_NS1_37merge_sort_block_sort_config_selectorIN3c104HalfElEENS1_38merge_sort_block_merge_config_selectorISD_lEEEEvv,comdat
.Lfunc_end2113:
	.size	_ZN7rocprim17ROCPRIM_400000_NS6detail44device_merge_sort_compile_time_verifier_archINS1_11comp_targetILNS1_3genE10ELNS1_11target_archE1200ELNS1_3gpuE4ELNS1_3repE0EEENS3_ILS4_10ELS5_1201ELS6_5ELS7_0EEENS0_14default_configESA_NS1_37merge_sort_block_sort_config_selectorIN3c104HalfElEENS1_38merge_sort_block_merge_config_selectorISD_lEEEEvv, .Lfunc_end2113-_ZN7rocprim17ROCPRIM_400000_NS6detail44device_merge_sort_compile_time_verifier_archINS1_11comp_targetILNS1_3genE10ELNS1_11target_archE1200ELNS1_3gpuE4ELNS1_3repE0EEENS3_ILS4_10ELS5_1201ELS6_5ELS7_0EEENS0_14default_configESA_NS1_37merge_sort_block_sort_config_selectorIN3c104HalfElEENS1_38merge_sort_block_merge_config_selectorISD_lEEEEvv
                                        ; -- End function
	.section	.AMDGPU.csdata,"",@progbits
; Kernel info:
; codeLenInByte = 4
; NumSgprs: 4
; NumVgprs: 0
; NumAgprs: 0
; TotalNumVgprs: 0
; ScratchSize: 0
; MemoryBound: 0
; FloatMode: 240
; IeeeMode: 1
; LDSByteSize: 0 bytes/workgroup (compile time only)
; SGPRBlocks: 0
; VGPRBlocks: 0
; NumSGPRsForWavesPerEU: 4
; NumVGPRsForWavesPerEU: 1
; AccumOffset: 4
; Occupancy: 8
; WaveLimiterHint : 0
; COMPUTE_PGM_RSRC2:SCRATCH_EN: 0
; COMPUTE_PGM_RSRC2:USER_SGPR: 4
; COMPUTE_PGM_RSRC2:TRAP_HANDLER: 0
; COMPUTE_PGM_RSRC2:TGID_X_EN: 1
; COMPUTE_PGM_RSRC2:TGID_Y_EN: 0
; COMPUTE_PGM_RSRC2:TGID_Z_EN: 0
; COMPUTE_PGM_RSRC2:TIDIG_COMP_CNT: 0
; COMPUTE_PGM_RSRC3_GFX90A:ACCUM_OFFSET: 0
; COMPUTE_PGM_RSRC3_GFX90A:TG_SPLIT: 0
	.section	.text._ZN7rocprim17ROCPRIM_400000_NS6detail44device_merge_sort_compile_time_verifier_archINS1_11comp_targetILNS1_3genE9ELNS1_11target_archE1100ELNS1_3gpuE3ELNS1_3repE0EEES8_NS0_14default_configES9_NS1_37merge_sort_block_sort_config_selectorIN3c104HalfElEENS1_38merge_sort_block_merge_config_selectorISC_lEEEEvv,"axG",@progbits,_ZN7rocprim17ROCPRIM_400000_NS6detail44device_merge_sort_compile_time_verifier_archINS1_11comp_targetILNS1_3genE9ELNS1_11target_archE1100ELNS1_3gpuE3ELNS1_3repE0EEES8_NS0_14default_configES9_NS1_37merge_sort_block_sort_config_selectorIN3c104HalfElEENS1_38merge_sort_block_merge_config_selectorISC_lEEEEvv,comdat
	.protected	_ZN7rocprim17ROCPRIM_400000_NS6detail44device_merge_sort_compile_time_verifier_archINS1_11comp_targetILNS1_3genE9ELNS1_11target_archE1100ELNS1_3gpuE3ELNS1_3repE0EEES8_NS0_14default_configES9_NS1_37merge_sort_block_sort_config_selectorIN3c104HalfElEENS1_38merge_sort_block_merge_config_selectorISC_lEEEEvv ; -- Begin function _ZN7rocprim17ROCPRIM_400000_NS6detail44device_merge_sort_compile_time_verifier_archINS1_11comp_targetILNS1_3genE9ELNS1_11target_archE1100ELNS1_3gpuE3ELNS1_3repE0EEES8_NS0_14default_configES9_NS1_37merge_sort_block_sort_config_selectorIN3c104HalfElEENS1_38merge_sort_block_merge_config_selectorISC_lEEEEvv
	.globl	_ZN7rocprim17ROCPRIM_400000_NS6detail44device_merge_sort_compile_time_verifier_archINS1_11comp_targetILNS1_3genE9ELNS1_11target_archE1100ELNS1_3gpuE3ELNS1_3repE0EEES8_NS0_14default_configES9_NS1_37merge_sort_block_sort_config_selectorIN3c104HalfElEENS1_38merge_sort_block_merge_config_selectorISC_lEEEEvv
	.p2align	8
	.type	_ZN7rocprim17ROCPRIM_400000_NS6detail44device_merge_sort_compile_time_verifier_archINS1_11comp_targetILNS1_3genE9ELNS1_11target_archE1100ELNS1_3gpuE3ELNS1_3repE0EEES8_NS0_14default_configES9_NS1_37merge_sort_block_sort_config_selectorIN3c104HalfElEENS1_38merge_sort_block_merge_config_selectorISC_lEEEEvv,@function
_ZN7rocprim17ROCPRIM_400000_NS6detail44device_merge_sort_compile_time_verifier_archINS1_11comp_targetILNS1_3genE9ELNS1_11target_archE1100ELNS1_3gpuE3ELNS1_3repE0EEES8_NS0_14default_configES9_NS1_37merge_sort_block_sort_config_selectorIN3c104HalfElEENS1_38merge_sort_block_merge_config_selectorISC_lEEEEvv: ; @_ZN7rocprim17ROCPRIM_400000_NS6detail44device_merge_sort_compile_time_verifier_archINS1_11comp_targetILNS1_3genE9ELNS1_11target_archE1100ELNS1_3gpuE3ELNS1_3repE0EEES8_NS0_14default_configES9_NS1_37merge_sort_block_sort_config_selectorIN3c104HalfElEENS1_38merge_sort_block_merge_config_selectorISC_lEEEEvv
; %bb.0:
	s_endpgm
	.section	.rodata,"a",@progbits
	.p2align	6, 0x0
	.amdhsa_kernel _ZN7rocprim17ROCPRIM_400000_NS6detail44device_merge_sort_compile_time_verifier_archINS1_11comp_targetILNS1_3genE9ELNS1_11target_archE1100ELNS1_3gpuE3ELNS1_3repE0EEES8_NS0_14default_configES9_NS1_37merge_sort_block_sort_config_selectorIN3c104HalfElEENS1_38merge_sort_block_merge_config_selectorISC_lEEEEvv
		.amdhsa_group_segment_fixed_size 0
		.amdhsa_private_segment_fixed_size 0
		.amdhsa_kernarg_size 0
		.amdhsa_user_sgpr_count 4
		.amdhsa_user_sgpr_private_segment_buffer 1
		.amdhsa_user_sgpr_dispatch_ptr 0
		.amdhsa_user_sgpr_queue_ptr 0
		.amdhsa_user_sgpr_kernarg_segment_ptr 0
		.amdhsa_user_sgpr_dispatch_id 0
		.amdhsa_user_sgpr_flat_scratch_init 0
		.amdhsa_user_sgpr_kernarg_preload_length 0
		.amdhsa_user_sgpr_kernarg_preload_offset 0
		.amdhsa_user_sgpr_private_segment_size 0
		.amdhsa_uses_dynamic_stack 0
		.amdhsa_system_sgpr_private_segment_wavefront_offset 0
		.amdhsa_system_sgpr_workgroup_id_x 1
		.amdhsa_system_sgpr_workgroup_id_y 0
		.amdhsa_system_sgpr_workgroup_id_z 0
		.amdhsa_system_sgpr_workgroup_info 0
		.amdhsa_system_vgpr_workitem_id 0
		.amdhsa_next_free_vgpr 1
		.amdhsa_next_free_sgpr 0
		.amdhsa_accum_offset 4
		.amdhsa_reserve_vcc 0
		.amdhsa_reserve_flat_scratch 0
		.amdhsa_float_round_mode_32 0
		.amdhsa_float_round_mode_16_64 0
		.amdhsa_float_denorm_mode_32 3
		.amdhsa_float_denorm_mode_16_64 3
		.amdhsa_dx10_clamp 1
		.amdhsa_ieee_mode 1
		.amdhsa_fp16_overflow 0
		.amdhsa_tg_split 0
		.amdhsa_exception_fp_ieee_invalid_op 0
		.amdhsa_exception_fp_denorm_src 0
		.amdhsa_exception_fp_ieee_div_zero 0
		.amdhsa_exception_fp_ieee_overflow 0
		.amdhsa_exception_fp_ieee_underflow 0
		.amdhsa_exception_fp_ieee_inexact 0
		.amdhsa_exception_int_div_zero 0
	.end_amdhsa_kernel
	.section	.text._ZN7rocprim17ROCPRIM_400000_NS6detail44device_merge_sort_compile_time_verifier_archINS1_11comp_targetILNS1_3genE9ELNS1_11target_archE1100ELNS1_3gpuE3ELNS1_3repE0EEES8_NS0_14default_configES9_NS1_37merge_sort_block_sort_config_selectorIN3c104HalfElEENS1_38merge_sort_block_merge_config_selectorISC_lEEEEvv,"axG",@progbits,_ZN7rocprim17ROCPRIM_400000_NS6detail44device_merge_sort_compile_time_verifier_archINS1_11comp_targetILNS1_3genE9ELNS1_11target_archE1100ELNS1_3gpuE3ELNS1_3repE0EEES8_NS0_14default_configES9_NS1_37merge_sort_block_sort_config_selectorIN3c104HalfElEENS1_38merge_sort_block_merge_config_selectorISC_lEEEEvv,comdat
.Lfunc_end2114:
	.size	_ZN7rocprim17ROCPRIM_400000_NS6detail44device_merge_sort_compile_time_verifier_archINS1_11comp_targetILNS1_3genE9ELNS1_11target_archE1100ELNS1_3gpuE3ELNS1_3repE0EEES8_NS0_14default_configES9_NS1_37merge_sort_block_sort_config_selectorIN3c104HalfElEENS1_38merge_sort_block_merge_config_selectorISC_lEEEEvv, .Lfunc_end2114-_ZN7rocprim17ROCPRIM_400000_NS6detail44device_merge_sort_compile_time_verifier_archINS1_11comp_targetILNS1_3genE9ELNS1_11target_archE1100ELNS1_3gpuE3ELNS1_3repE0EEES8_NS0_14default_configES9_NS1_37merge_sort_block_sort_config_selectorIN3c104HalfElEENS1_38merge_sort_block_merge_config_selectorISC_lEEEEvv
                                        ; -- End function
	.section	.AMDGPU.csdata,"",@progbits
; Kernel info:
; codeLenInByte = 4
; NumSgprs: 4
; NumVgprs: 0
; NumAgprs: 0
; TotalNumVgprs: 0
; ScratchSize: 0
; MemoryBound: 0
; FloatMode: 240
; IeeeMode: 1
; LDSByteSize: 0 bytes/workgroup (compile time only)
; SGPRBlocks: 0
; VGPRBlocks: 0
; NumSGPRsForWavesPerEU: 4
; NumVGPRsForWavesPerEU: 1
; AccumOffset: 4
; Occupancy: 8
; WaveLimiterHint : 0
; COMPUTE_PGM_RSRC2:SCRATCH_EN: 0
; COMPUTE_PGM_RSRC2:USER_SGPR: 4
; COMPUTE_PGM_RSRC2:TRAP_HANDLER: 0
; COMPUTE_PGM_RSRC2:TGID_X_EN: 1
; COMPUTE_PGM_RSRC2:TGID_Y_EN: 0
; COMPUTE_PGM_RSRC2:TGID_Z_EN: 0
; COMPUTE_PGM_RSRC2:TIDIG_COMP_CNT: 0
; COMPUTE_PGM_RSRC3_GFX90A:ACCUM_OFFSET: 0
; COMPUTE_PGM_RSRC3_GFX90A:TG_SPLIT: 0
	.section	.text._ZN7rocprim17ROCPRIM_400000_NS6detail44device_merge_sort_compile_time_verifier_archINS1_11comp_targetILNS1_3genE8ELNS1_11target_archE1030ELNS1_3gpuE2ELNS1_3repE0EEES8_NS0_14default_configES9_NS1_37merge_sort_block_sort_config_selectorIN3c104HalfElEENS1_38merge_sort_block_merge_config_selectorISC_lEEEEvv,"axG",@progbits,_ZN7rocprim17ROCPRIM_400000_NS6detail44device_merge_sort_compile_time_verifier_archINS1_11comp_targetILNS1_3genE8ELNS1_11target_archE1030ELNS1_3gpuE2ELNS1_3repE0EEES8_NS0_14default_configES9_NS1_37merge_sort_block_sort_config_selectorIN3c104HalfElEENS1_38merge_sort_block_merge_config_selectorISC_lEEEEvv,comdat
	.protected	_ZN7rocprim17ROCPRIM_400000_NS6detail44device_merge_sort_compile_time_verifier_archINS1_11comp_targetILNS1_3genE8ELNS1_11target_archE1030ELNS1_3gpuE2ELNS1_3repE0EEES8_NS0_14default_configES9_NS1_37merge_sort_block_sort_config_selectorIN3c104HalfElEENS1_38merge_sort_block_merge_config_selectorISC_lEEEEvv ; -- Begin function _ZN7rocprim17ROCPRIM_400000_NS6detail44device_merge_sort_compile_time_verifier_archINS1_11comp_targetILNS1_3genE8ELNS1_11target_archE1030ELNS1_3gpuE2ELNS1_3repE0EEES8_NS0_14default_configES9_NS1_37merge_sort_block_sort_config_selectorIN3c104HalfElEENS1_38merge_sort_block_merge_config_selectorISC_lEEEEvv
	.globl	_ZN7rocprim17ROCPRIM_400000_NS6detail44device_merge_sort_compile_time_verifier_archINS1_11comp_targetILNS1_3genE8ELNS1_11target_archE1030ELNS1_3gpuE2ELNS1_3repE0EEES8_NS0_14default_configES9_NS1_37merge_sort_block_sort_config_selectorIN3c104HalfElEENS1_38merge_sort_block_merge_config_selectorISC_lEEEEvv
	.p2align	8
	.type	_ZN7rocprim17ROCPRIM_400000_NS6detail44device_merge_sort_compile_time_verifier_archINS1_11comp_targetILNS1_3genE8ELNS1_11target_archE1030ELNS1_3gpuE2ELNS1_3repE0EEES8_NS0_14default_configES9_NS1_37merge_sort_block_sort_config_selectorIN3c104HalfElEENS1_38merge_sort_block_merge_config_selectorISC_lEEEEvv,@function
_ZN7rocprim17ROCPRIM_400000_NS6detail44device_merge_sort_compile_time_verifier_archINS1_11comp_targetILNS1_3genE8ELNS1_11target_archE1030ELNS1_3gpuE2ELNS1_3repE0EEES8_NS0_14default_configES9_NS1_37merge_sort_block_sort_config_selectorIN3c104HalfElEENS1_38merge_sort_block_merge_config_selectorISC_lEEEEvv: ; @_ZN7rocprim17ROCPRIM_400000_NS6detail44device_merge_sort_compile_time_verifier_archINS1_11comp_targetILNS1_3genE8ELNS1_11target_archE1030ELNS1_3gpuE2ELNS1_3repE0EEES8_NS0_14default_configES9_NS1_37merge_sort_block_sort_config_selectorIN3c104HalfElEENS1_38merge_sort_block_merge_config_selectorISC_lEEEEvv
; %bb.0:
	s_endpgm
	.section	.rodata,"a",@progbits
	.p2align	6, 0x0
	.amdhsa_kernel _ZN7rocprim17ROCPRIM_400000_NS6detail44device_merge_sort_compile_time_verifier_archINS1_11comp_targetILNS1_3genE8ELNS1_11target_archE1030ELNS1_3gpuE2ELNS1_3repE0EEES8_NS0_14default_configES9_NS1_37merge_sort_block_sort_config_selectorIN3c104HalfElEENS1_38merge_sort_block_merge_config_selectorISC_lEEEEvv
		.amdhsa_group_segment_fixed_size 0
		.amdhsa_private_segment_fixed_size 0
		.amdhsa_kernarg_size 0
		.amdhsa_user_sgpr_count 4
		.amdhsa_user_sgpr_private_segment_buffer 1
		.amdhsa_user_sgpr_dispatch_ptr 0
		.amdhsa_user_sgpr_queue_ptr 0
		.amdhsa_user_sgpr_kernarg_segment_ptr 0
		.amdhsa_user_sgpr_dispatch_id 0
		.amdhsa_user_sgpr_flat_scratch_init 0
		.amdhsa_user_sgpr_kernarg_preload_length 0
		.amdhsa_user_sgpr_kernarg_preload_offset 0
		.amdhsa_user_sgpr_private_segment_size 0
		.amdhsa_uses_dynamic_stack 0
		.amdhsa_system_sgpr_private_segment_wavefront_offset 0
		.amdhsa_system_sgpr_workgroup_id_x 1
		.amdhsa_system_sgpr_workgroup_id_y 0
		.amdhsa_system_sgpr_workgroup_id_z 0
		.amdhsa_system_sgpr_workgroup_info 0
		.amdhsa_system_vgpr_workitem_id 0
		.amdhsa_next_free_vgpr 1
		.amdhsa_next_free_sgpr 0
		.amdhsa_accum_offset 4
		.amdhsa_reserve_vcc 0
		.amdhsa_reserve_flat_scratch 0
		.amdhsa_float_round_mode_32 0
		.amdhsa_float_round_mode_16_64 0
		.amdhsa_float_denorm_mode_32 3
		.amdhsa_float_denorm_mode_16_64 3
		.amdhsa_dx10_clamp 1
		.amdhsa_ieee_mode 1
		.amdhsa_fp16_overflow 0
		.amdhsa_tg_split 0
		.amdhsa_exception_fp_ieee_invalid_op 0
		.amdhsa_exception_fp_denorm_src 0
		.amdhsa_exception_fp_ieee_div_zero 0
		.amdhsa_exception_fp_ieee_overflow 0
		.amdhsa_exception_fp_ieee_underflow 0
		.amdhsa_exception_fp_ieee_inexact 0
		.amdhsa_exception_int_div_zero 0
	.end_amdhsa_kernel
	.section	.text._ZN7rocprim17ROCPRIM_400000_NS6detail44device_merge_sort_compile_time_verifier_archINS1_11comp_targetILNS1_3genE8ELNS1_11target_archE1030ELNS1_3gpuE2ELNS1_3repE0EEES8_NS0_14default_configES9_NS1_37merge_sort_block_sort_config_selectorIN3c104HalfElEENS1_38merge_sort_block_merge_config_selectorISC_lEEEEvv,"axG",@progbits,_ZN7rocprim17ROCPRIM_400000_NS6detail44device_merge_sort_compile_time_verifier_archINS1_11comp_targetILNS1_3genE8ELNS1_11target_archE1030ELNS1_3gpuE2ELNS1_3repE0EEES8_NS0_14default_configES9_NS1_37merge_sort_block_sort_config_selectorIN3c104HalfElEENS1_38merge_sort_block_merge_config_selectorISC_lEEEEvv,comdat
.Lfunc_end2115:
	.size	_ZN7rocprim17ROCPRIM_400000_NS6detail44device_merge_sort_compile_time_verifier_archINS1_11comp_targetILNS1_3genE8ELNS1_11target_archE1030ELNS1_3gpuE2ELNS1_3repE0EEES8_NS0_14default_configES9_NS1_37merge_sort_block_sort_config_selectorIN3c104HalfElEENS1_38merge_sort_block_merge_config_selectorISC_lEEEEvv, .Lfunc_end2115-_ZN7rocprim17ROCPRIM_400000_NS6detail44device_merge_sort_compile_time_verifier_archINS1_11comp_targetILNS1_3genE8ELNS1_11target_archE1030ELNS1_3gpuE2ELNS1_3repE0EEES8_NS0_14default_configES9_NS1_37merge_sort_block_sort_config_selectorIN3c104HalfElEENS1_38merge_sort_block_merge_config_selectorISC_lEEEEvv
                                        ; -- End function
	.section	.AMDGPU.csdata,"",@progbits
; Kernel info:
; codeLenInByte = 4
; NumSgprs: 4
; NumVgprs: 0
; NumAgprs: 0
; TotalNumVgprs: 0
; ScratchSize: 0
; MemoryBound: 0
; FloatMode: 240
; IeeeMode: 1
; LDSByteSize: 0 bytes/workgroup (compile time only)
; SGPRBlocks: 0
; VGPRBlocks: 0
; NumSGPRsForWavesPerEU: 4
; NumVGPRsForWavesPerEU: 1
; AccumOffset: 4
; Occupancy: 8
; WaveLimiterHint : 0
; COMPUTE_PGM_RSRC2:SCRATCH_EN: 0
; COMPUTE_PGM_RSRC2:USER_SGPR: 4
; COMPUTE_PGM_RSRC2:TRAP_HANDLER: 0
; COMPUTE_PGM_RSRC2:TGID_X_EN: 1
; COMPUTE_PGM_RSRC2:TGID_Y_EN: 0
; COMPUTE_PGM_RSRC2:TGID_Z_EN: 0
; COMPUTE_PGM_RSRC2:TIDIG_COMP_CNT: 0
; COMPUTE_PGM_RSRC3_GFX90A:ACCUM_OFFSET: 0
; COMPUTE_PGM_RSRC3_GFX90A:TG_SPLIT: 0
	.section	.text._ZN7rocprim17ROCPRIM_400000_NS6detail17trampoline_kernelINS0_14default_configENS1_37merge_sort_block_sort_config_selectorIN3c104HalfElEEZNS1_21merge_sort_block_sortIS3_PS6_S9_N6thrust23THRUST_200600_302600_NS10device_ptrIlEESD_NSB_4lessIS6_EEEE10hipError_tT0_T1_T2_T3_mRjT4_P12ihipStream_tbNS1_7vsmem_tEEUlT_E_NS1_11comp_targetILNS1_3genE0ELNS1_11target_archE4294967295ELNS1_3gpuE0ELNS1_3repE0EEENS1_30default_config_static_selectorELNS0_4arch9wavefront6targetE1EEEvSI_,"axG",@progbits,_ZN7rocprim17ROCPRIM_400000_NS6detail17trampoline_kernelINS0_14default_configENS1_37merge_sort_block_sort_config_selectorIN3c104HalfElEEZNS1_21merge_sort_block_sortIS3_PS6_S9_N6thrust23THRUST_200600_302600_NS10device_ptrIlEESD_NSB_4lessIS6_EEEE10hipError_tT0_T1_T2_T3_mRjT4_P12ihipStream_tbNS1_7vsmem_tEEUlT_E_NS1_11comp_targetILNS1_3genE0ELNS1_11target_archE4294967295ELNS1_3gpuE0ELNS1_3repE0EEENS1_30default_config_static_selectorELNS0_4arch9wavefront6targetE1EEEvSI_,comdat
	.protected	_ZN7rocprim17ROCPRIM_400000_NS6detail17trampoline_kernelINS0_14default_configENS1_37merge_sort_block_sort_config_selectorIN3c104HalfElEEZNS1_21merge_sort_block_sortIS3_PS6_S9_N6thrust23THRUST_200600_302600_NS10device_ptrIlEESD_NSB_4lessIS6_EEEE10hipError_tT0_T1_T2_T3_mRjT4_P12ihipStream_tbNS1_7vsmem_tEEUlT_E_NS1_11comp_targetILNS1_3genE0ELNS1_11target_archE4294967295ELNS1_3gpuE0ELNS1_3repE0EEENS1_30default_config_static_selectorELNS0_4arch9wavefront6targetE1EEEvSI_ ; -- Begin function _ZN7rocprim17ROCPRIM_400000_NS6detail17trampoline_kernelINS0_14default_configENS1_37merge_sort_block_sort_config_selectorIN3c104HalfElEEZNS1_21merge_sort_block_sortIS3_PS6_S9_N6thrust23THRUST_200600_302600_NS10device_ptrIlEESD_NSB_4lessIS6_EEEE10hipError_tT0_T1_T2_T3_mRjT4_P12ihipStream_tbNS1_7vsmem_tEEUlT_E_NS1_11comp_targetILNS1_3genE0ELNS1_11target_archE4294967295ELNS1_3gpuE0ELNS1_3repE0EEENS1_30default_config_static_selectorELNS0_4arch9wavefront6targetE1EEEvSI_
	.globl	_ZN7rocprim17ROCPRIM_400000_NS6detail17trampoline_kernelINS0_14default_configENS1_37merge_sort_block_sort_config_selectorIN3c104HalfElEEZNS1_21merge_sort_block_sortIS3_PS6_S9_N6thrust23THRUST_200600_302600_NS10device_ptrIlEESD_NSB_4lessIS6_EEEE10hipError_tT0_T1_T2_T3_mRjT4_P12ihipStream_tbNS1_7vsmem_tEEUlT_E_NS1_11comp_targetILNS1_3genE0ELNS1_11target_archE4294967295ELNS1_3gpuE0ELNS1_3repE0EEENS1_30default_config_static_selectorELNS0_4arch9wavefront6targetE1EEEvSI_
	.p2align	8
	.type	_ZN7rocprim17ROCPRIM_400000_NS6detail17trampoline_kernelINS0_14default_configENS1_37merge_sort_block_sort_config_selectorIN3c104HalfElEEZNS1_21merge_sort_block_sortIS3_PS6_S9_N6thrust23THRUST_200600_302600_NS10device_ptrIlEESD_NSB_4lessIS6_EEEE10hipError_tT0_T1_T2_T3_mRjT4_P12ihipStream_tbNS1_7vsmem_tEEUlT_E_NS1_11comp_targetILNS1_3genE0ELNS1_11target_archE4294967295ELNS1_3gpuE0ELNS1_3repE0EEENS1_30default_config_static_selectorELNS0_4arch9wavefront6targetE1EEEvSI_,@function
_ZN7rocprim17ROCPRIM_400000_NS6detail17trampoline_kernelINS0_14default_configENS1_37merge_sort_block_sort_config_selectorIN3c104HalfElEEZNS1_21merge_sort_block_sortIS3_PS6_S9_N6thrust23THRUST_200600_302600_NS10device_ptrIlEESD_NSB_4lessIS6_EEEE10hipError_tT0_T1_T2_T3_mRjT4_P12ihipStream_tbNS1_7vsmem_tEEUlT_E_NS1_11comp_targetILNS1_3genE0ELNS1_11target_archE4294967295ELNS1_3gpuE0ELNS1_3repE0EEENS1_30default_config_static_selectorELNS0_4arch9wavefront6targetE1EEEvSI_: ; @_ZN7rocprim17ROCPRIM_400000_NS6detail17trampoline_kernelINS0_14default_configENS1_37merge_sort_block_sort_config_selectorIN3c104HalfElEEZNS1_21merge_sort_block_sortIS3_PS6_S9_N6thrust23THRUST_200600_302600_NS10device_ptrIlEESD_NSB_4lessIS6_EEEE10hipError_tT0_T1_T2_T3_mRjT4_P12ihipStream_tbNS1_7vsmem_tEEUlT_E_NS1_11comp_targetILNS1_3genE0ELNS1_11target_archE4294967295ELNS1_3gpuE0ELNS1_3repE0EEENS1_30default_config_static_selectorELNS0_4arch9wavefront6targetE1EEEvSI_
; %bb.0:
	.section	.rodata,"a",@progbits
	.p2align	6, 0x0
	.amdhsa_kernel _ZN7rocprim17ROCPRIM_400000_NS6detail17trampoline_kernelINS0_14default_configENS1_37merge_sort_block_sort_config_selectorIN3c104HalfElEEZNS1_21merge_sort_block_sortIS3_PS6_S9_N6thrust23THRUST_200600_302600_NS10device_ptrIlEESD_NSB_4lessIS6_EEEE10hipError_tT0_T1_T2_T3_mRjT4_P12ihipStream_tbNS1_7vsmem_tEEUlT_E_NS1_11comp_targetILNS1_3genE0ELNS1_11target_archE4294967295ELNS1_3gpuE0ELNS1_3repE0EEENS1_30default_config_static_selectorELNS0_4arch9wavefront6targetE1EEEvSI_
		.amdhsa_group_segment_fixed_size 0
		.amdhsa_private_segment_fixed_size 0
		.amdhsa_kernarg_size 64
		.amdhsa_user_sgpr_count 6
		.amdhsa_user_sgpr_private_segment_buffer 1
		.amdhsa_user_sgpr_dispatch_ptr 0
		.amdhsa_user_sgpr_queue_ptr 0
		.amdhsa_user_sgpr_kernarg_segment_ptr 1
		.amdhsa_user_sgpr_dispatch_id 0
		.amdhsa_user_sgpr_flat_scratch_init 0
		.amdhsa_user_sgpr_kernarg_preload_length 0
		.amdhsa_user_sgpr_kernarg_preload_offset 0
		.amdhsa_user_sgpr_private_segment_size 0
		.amdhsa_uses_dynamic_stack 0
		.amdhsa_system_sgpr_private_segment_wavefront_offset 0
		.amdhsa_system_sgpr_workgroup_id_x 1
		.amdhsa_system_sgpr_workgroup_id_y 0
		.amdhsa_system_sgpr_workgroup_id_z 0
		.amdhsa_system_sgpr_workgroup_info 0
		.amdhsa_system_vgpr_workitem_id 0
		.amdhsa_next_free_vgpr 1
		.amdhsa_next_free_sgpr 0
		.amdhsa_accum_offset 4
		.amdhsa_reserve_vcc 0
		.amdhsa_reserve_flat_scratch 0
		.amdhsa_float_round_mode_32 0
		.amdhsa_float_round_mode_16_64 0
		.amdhsa_float_denorm_mode_32 3
		.amdhsa_float_denorm_mode_16_64 3
		.amdhsa_dx10_clamp 1
		.amdhsa_ieee_mode 1
		.amdhsa_fp16_overflow 0
		.amdhsa_tg_split 0
		.amdhsa_exception_fp_ieee_invalid_op 0
		.amdhsa_exception_fp_denorm_src 0
		.amdhsa_exception_fp_ieee_div_zero 0
		.amdhsa_exception_fp_ieee_overflow 0
		.amdhsa_exception_fp_ieee_underflow 0
		.amdhsa_exception_fp_ieee_inexact 0
		.amdhsa_exception_int_div_zero 0
	.end_amdhsa_kernel
	.section	.text._ZN7rocprim17ROCPRIM_400000_NS6detail17trampoline_kernelINS0_14default_configENS1_37merge_sort_block_sort_config_selectorIN3c104HalfElEEZNS1_21merge_sort_block_sortIS3_PS6_S9_N6thrust23THRUST_200600_302600_NS10device_ptrIlEESD_NSB_4lessIS6_EEEE10hipError_tT0_T1_T2_T3_mRjT4_P12ihipStream_tbNS1_7vsmem_tEEUlT_E_NS1_11comp_targetILNS1_3genE0ELNS1_11target_archE4294967295ELNS1_3gpuE0ELNS1_3repE0EEENS1_30default_config_static_selectorELNS0_4arch9wavefront6targetE1EEEvSI_,"axG",@progbits,_ZN7rocprim17ROCPRIM_400000_NS6detail17trampoline_kernelINS0_14default_configENS1_37merge_sort_block_sort_config_selectorIN3c104HalfElEEZNS1_21merge_sort_block_sortIS3_PS6_S9_N6thrust23THRUST_200600_302600_NS10device_ptrIlEESD_NSB_4lessIS6_EEEE10hipError_tT0_T1_T2_T3_mRjT4_P12ihipStream_tbNS1_7vsmem_tEEUlT_E_NS1_11comp_targetILNS1_3genE0ELNS1_11target_archE4294967295ELNS1_3gpuE0ELNS1_3repE0EEENS1_30default_config_static_selectorELNS0_4arch9wavefront6targetE1EEEvSI_,comdat
.Lfunc_end2116:
	.size	_ZN7rocprim17ROCPRIM_400000_NS6detail17trampoline_kernelINS0_14default_configENS1_37merge_sort_block_sort_config_selectorIN3c104HalfElEEZNS1_21merge_sort_block_sortIS3_PS6_S9_N6thrust23THRUST_200600_302600_NS10device_ptrIlEESD_NSB_4lessIS6_EEEE10hipError_tT0_T1_T2_T3_mRjT4_P12ihipStream_tbNS1_7vsmem_tEEUlT_E_NS1_11comp_targetILNS1_3genE0ELNS1_11target_archE4294967295ELNS1_3gpuE0ELNS1_3repE0EEENS1_30default_config_static_selectorELNS0_4arch9wavefront6targetE1EEEvSI_, .Lfunc_end2116-_ZN7rocprim17ROCPRIM_400000_NS6detail17trampoline_kernelINS0_14default_configENS1_37merge_sort_block_sort_config_selectorIN3c104HalfElEEZNS1_21merge_sort_block_sortIS3_PS6_S9_N6thrust23THRUST_200600_302600_NS10device_ptrIlEESD_NSB_4lessIS6_EEEE10hipError_tT0_T1_T2_T3_mRjT4_P12ihipStream_tbNS1_7vsmem_tEEUlT_E_NS1_11comp_targetILNS1_3genE0ELNS1_11target_archE4294967295ELNS1_3gpuE0ELNS1_3repE0EEENS1_30default_config_static_selectorELNS0_4arch9wavefront6targetE1EEEvSI_
                                        ; -- End function
	.section	.AMDGPU.csdata,"",@progbits
; Kernel info:
; codeLenInByte = 0
; NumSgprs: 4
; NumVgprs: 0
; NumAgprs: 0
; TotalNumVgprs: 0
; ScratchSize: 0
; MemoryBound: 0
; FloatMode: 240
; IeeeMode: 1
; LDSByteSize: 0 bytes/workgroup (compile time only)
; SGPRBlocks: 0
; VGPRBlocks: 0
; NumSGPRsForWavesPerEU: 4
; NumVGPRsForWavesPerEU: 1
; AccumOffset: 4
; Occupancy: 8
; WaveLimiterHint : 0
; COMPUTE_PGM_RSRC2:SCRATCH_EN: 0
; COMPUTE_PGM_RSRC2:USER_SGPR: 6
; COMPUTE_PGM_RSRC2:TRAP_HANDLER: 0
; COMPUTE_PGM_RSRC2:TGID_X_EN: 1
; COMPUTE_PGM_RSRC2:TGID_Y_EN: 0
; COMPUTE_PGM_RSRC2:TGID_Z_EN: 0
; COMPUTE_PGM_RSRC2:TIDIG_COMP_CNT: 0
; COMPUTE_PGM_RSRC3_GFX90A:ACCUM_OFFSET: 0
; COMPUTE_PGM_RSRC3_GFX90A:TG_SPLIT: 0
	.section	.text._ZN7rocprim17ROCPRIM_400000_NS6detail17trampoline_kernelINS0_14default_configENS1_37merge_sort_block_sort_config_selectorIN3c104HalfElEEZNS1_21merge_sort_block_sortIS3_PS6_S9_N6thrust23THRUST_200600_302600_NS10device_ptrIlEESD_NSB_4lessIS6_EEEE10hipError_tT0_T1_T2_T3_mRjT4_P12ihipStream_tbNS1_7vsmem_tEEUlT_E_NS1_11comp_targetILNS1_3genE5ELNS1_11target_archE942ELNS1_3gpuE9ELNS1_3repE0EEENS1_30default_config_static_selectorELNS0_4arch9wavefront6targetE1EEEvSI_,"axG",@progbits,_ZN7rocprim17ROCPRIM_400000_NS6detail17trampoline_kernelINS0_14default_configENS1_37merge_sort_block_sort_config_selectorIN3c104HalfElEEZNS1_21merge_sort_block_sortIS3_PS6_S9_N6thrust23THRUST_200600_302600_NS10device_ptrIlEESD_NSB_4lessIS6_EEEE10hipError_tT0_T1_T2_T3_mRjT4_P12ihipStream_tbNS1_7vsmem_tEEUlT_E_NS1_11comp_targetILNS1_3genE5ELNS1_11target_archE942ELNS1_3gpuE9ELNS1_3repE0EEENS1_30default_config_static_selectorELNS0_4arch9wavefront6targetE1EEEvSI_,comdat
	.protected	_ZN7rocprim17ROCPRIM_400000_NS6detail17trampoline_kernelINS0_14default_configENS1_37merge_sort_block_sort_config_selectorIN3c104HalfElEEZNS1_21merge_sort_block_sortIS3_PS6_S9_N6thrust23THRUST_200600_302600_NS10device_ptrIlEESD_NSB_4lessIS6_EEEE10hipError_tT0_T1_T2_T3_mRjT4_P12ihipStream_tbNS1_7vsmem_tEEUlT_E_NS1_11comp_targetILNS1_3genE5ELNS1_11target_archE942ELNS1_3gpuE9ELNS1_3repE0EEENS1_30default_config_static_selectorELNS0_4arch9wavefront6targetE1EEEvSI_ ; -- Begin function _ZN7rocprim17ROCPRIM_400000_NS6detail17trampoline_kernelINS0_14default_configENS1_37merge_sort_block_sort_config_selectorIN3c104HalfElEEZNS1_21merge_sort_block_sortIS3_PS6_S9_N6thrust23THRUST_200600_302600_NS10device_ptrIlEESD_NSB_4lessIS6_EEEE10hipError_tT0_T1_T2_T3_mRjT4_P12ihipStream_tbNS1_7vsmem_tEEUlT_E_NS1_11comp_targetILNS1_3genE5ELNS1_11target_archE942ELNS1_3gpuE9ELNS1_3repE0EEENS1_30default_config_static_selectorELNS0_4arch9wavefront6targetE1EEEvSI_
	.globl	_ZN7rocprim17ROCPRIM_400000_NS6detail17trampoline_kernelINS0_14default_configENS1_37merge_sort_block_sort_config_selectorIN3c104HalfElEEZNS1_21merge_sort_block_sortIS3_PS6_S9_N6thrust23THRUST_200600_302600_NS10device_ptrIlEESD_NSB_4lessIS6_EEEE10hipError_tT0_T1_T2_T3_mRjT4_P12ihipStream_tbNS1_7vsmem_tEEUlT_E_NS1_11comp_targetILNS1_3genE5ELNS1_11target_archE942ELNS1_3gpuE9ELNS1_3repE0EEENS1_30default_config_static_selectorELNS0_4arch9wavefront6targetE1EEEvSI_
	.p2align	8
	.type	_ZN7rocprim17ROCPRIM_400000_NS6detail17trampoline_kernelINS0_14default_configENS1_37merge_sort_block_sort_config_selectorIN3c104HalfElEEZNS1_21merge_sort_block_sortIS3_PS6_S9_N6thrust23THRUST_200600_302600_NS10device_ptrIlEESD_NSB_4lessIS6_EEEE10hipError_tT0_T1_T2_T3_mRjT4_P12ihipStream_tbNS1_7vsmem_tEEUlT_E_NS1_11comp_targetILNS1_3genE5ELNS1_11target_archE942ELNS1_3gpuE9ELNS1_3repE0EEENS1_30default_config_static_selectorELNS0_4arch9wavefront6targetE1EEEvSI_,@function
_ZN7rocprim17ROCPRIM_400000_NS6detail17trampoline_kernelINS0_14default_configENS1_37merge_sort_block_sort_config_selectorIN3c104HalfElEEZNS1_21merge_sort_block_sortIS3_PS6_S9_N6thrust23THRUST_200600_302600_NS10device_ptrIlEESD_NSB_4lessIS6_EEEE10hipError_tT0_T1_T2_T3_mRjT4_P12ihipStream_tbNS1_7vsmem_tEEUlT_E_NS1_11comp_targetILNS1_3genE5ELNS1_11target_archE942ELNS1_3gpuE9ELNS1_3repE0EEENS1_30default_config_static_selectorELNS0_4arch9wavefront6targetE1EEEvSI_: ; @_ZN7rocprim17ROCPRIM_400000_NS6detail17trampoline_kernelINS0_14default_configENS1_37merge_sort_block_sort_config_selectorIN3c104HalfElEEZNS1_21merge_sort_block_sortIS3_PS6_S9_N6thrust23THRUST_200600_302600_NS10device_ptrIlEESD_NSB_4lessIS6_EEEE10hipError_tT0_T1_T2_T3_mRjT4_P12ihipStream_tbNS1_7vsmem_tEEUlT_E_NS1_11comp_targetILNS1_3genE5ELNS1_11target_archE942ELNS1_3gpuE9ELNS1_3repE0EEENS1_30default_config_static_selectorELNS0_4arch9wavefront6targetE1EEEvSI_
; %bb.0:
	.section	.rodata,"a",@progbits
	.p2align	6, 0x0
	.amdhsa_kernel _ZN7rocprim17ROCPRIM_400000_NS6detail17trampoline_kernelINS0_14default_configENS1_37merge_sort_block_sort_config_selectorIN3c104HalfElEEZNS1_21merge_sort_block_sortIS3_PS6_S9_N6thrust23THRUST_200600_302600_NS10device_ptrIlEESD_NSB_4lessIS6_EEEE10hipError_tT0_T1_T2_T3_mRjT4_P12ihipStream_tbNS1_7vsmem_tEEUlT_E_NS1_11comp_targetILNS1_3genE5ELNS1_11target_archE942ELNS1_3gpuE9ELNS1_3repE0EEENS1_30default_config_static_selectorELNS0_4arch9wavefront6targetE1EEEvSI_
		.amdhsa_group_segment_fixed_size 0
		.amdhsa_private_segment_fixed_size 0
		.amdhsa_kernarg_size 64
		.amdhsa_user_sgpr_count 6
		.amdhsa_user_sgpr_private_segment_buffer 1
		.amdhsa_user_sgpr_dispatch_ptr 0
		.amdhsa_user_sgpr_queue_ptr 0
		.amdhsa_user_sgpr_kernarg_segment_ptr 1
		.amdhsa_user_sgpr_dispatch_id 0
		.amdhsa_user_sgpr_flat_scratch_init 0
		.amdhsa_user_sgpr_kernarg_preload_length 0
		.amdhsa_user_sgpr_kernarg_preload_offset 0
		.amdhsa_user_sgpr_private_segment_size 0
		.amdhsa_uses_dynamic_stack 0
		.amdhsa_system_sgpr_private_segment_wavefront_offset 0
		.amdhsa_system_sgpr_workgroup_id_x 1
		.amdhsa_system_sgpr_workgroup_id_y 0
		.amdhsa_system_sgpr_workgroup_id_z 0
		.amdhsa_system_sgpr_workgroup_info 0
		.amdhsa_system_vgpr_workitem_id 0
		.amdhsa_next_free_vgpr 1
		.amdhsa_next_free_sgpr 0
		.amdhsa_accum_offset 4
		.amdhsa_reserve_vcc 0
		.amdhsa_reserve_flat_scratch 0
		.amdhsa_float_round_mode_32 0
		.amdhsa_float_round_mode_16_64 0
		.amdhsa_float_denorm_mode_32 3
		.amdhsa_float_denorm_mode_16_64 3
		.amdhsa_dx10_clamp 1
		.amdhsa_ieee_mode 1
		.amdhsa_fp16_overflow 0
		.amdhsa_tg_split 0
		.amdhsa_exception_fp_ieee_invalid_op 0
		.amdhsa_exception_fp_denorm_src 0
		.amdhsa_exception_fp_ieee_div_zero 0
		.amdhsa_exception_fp_ieee_overflow 0
		.amdhsa_exception_fp_ieee_underflow 0
		.amdhsa_exception_fp_ieee_inexact 0
		.amdhsa_exception_int_div_zero 0
	.end_amdhsa_kernel
	.section	.text._ZN7rocprim17ROCPRIM_400000_NS6detail17trampoline_kernelINS0_14default_configENS1_37merge_sort_block_sort_config_selectorIN3c104HalfElEEZNS1_21merge_sort_block_sortIS3_PS6_S9_N6thrust23THRUST_200600_302600_NS10device_ptrIlEESD_NSB_4lessIS6_EEEE10hipError_tT0_T1_T2_T3_mRjT4_P12ihipStream_tbNS1_7vsmem_tEEUlT_E_NS1_11comp_targetILNS1_3genE5ELNS1_11target_archE942ELNS1_3gpuE9ELNS1_3repE0EEENS1_30default_config_static_selectorELNS0_4arch9wavefront6targetE1EEEvSI_,"axG",@progbits,_ZN7rocprim17ROCPRIM_400000_NS6detail17trampoline_kernelINS0_14default_configENS1_37merge_sort_block_sort_config_selectorIN3c104HalfElEEZNS1_21merge_sort_block_sortIS3_PS6_S9_N6thrust23THRUST_200600_302600_NS10device_ptrIlEESD_NSB_4lessIS6_EEEE10hipError_tT0_T1_T2_T3_mRjT4_P12ihipStream_tbNS1_7vsmem_tEEUlT_E_NS1_11comp_targetILNS1_3genE5ELNS1_11target_archE942ELNS1_3gpuE9ELNS1_3repE0EEENS1_30default_config_static_selectorELNS0_4arch9wavefront6targetE1EEEvSI_,comdat
.Lfunc_end2117:
	.size	_ZN7rocprim17ROCPRIM_400000_NS6detail17trampoline_kernelINS0_14default_configENS1_37merge_sort_block_sort_config_selectorIN3c104HalfElEEZNS1_21merge_sort_block_sortIS3_PS6_S9_N6thrust23THRUST_200600_302600_NS10device_ptrIlEESD_NSB_4lessIS6_EEEE10hipError_tT0_T1_T2_T3_mRjT4_P12ihipStream_tbNS1_7vsmem_tEEUlT_E_NS1_11comp_targetILNS1_3genE5ELNS1_11target_archE942ELNS1_3gpuE9ELNS1_3repE0EEENS1_30default_config_static_selectorELNS0_4arch9wavefront6targetE1EEEvSI_, .Lfunc_end2117-_ZN7rocprim17ROCPRIM_400000_NS6detail17trampoline_kernelINS0_14default_configENS1_37merge_sort_block_sort_config_selectorIN3c104HalfElEEZNS1_21merge_sort_block_sortIS3_PS6_S9_N6thrust23THRUST_200600_302600_NS10device_ptrIlEESD_NSB_4lessIS6_EEEE10hipError_tT0_T1_T2_T3_mRjT4_P12ihipStream_tbNS1_7vsmem_tEEUlT_E_NS1_11comp_targetILNS1_3genE5ELNS1_11target_archE942ELNS1_3gpuE9ELNS1_3repE0EEENS1_30default_config_static_selectorELNS0_4arch9wavefront6targetE1EEEvSI_
                                        ; -- End function
	.section	.AMDGPU.csdata,"",@progbits
; Kernel info:
; codeLenInByte = 0
; NumSgprs: 4
; NumVgprs: 0
; NumAgprs: 0
; TotalNumVgprs: 0
; ScratchSize: 0
; MemoryBound: 0
; FloatMode: 240
; IeeeMode: 1
; LDSByteSize: 0 bytes/workgroup (compile time only)
; SGPRBlocks: 0
; VGPRBlocks: 0
; NumSGPRsForWavesPerEU: 4
; NumVGPRsForWavesPerEU: 1
; AccumOffset: 4
; Occupancy: 8
; WaveLimiterHint : 0
; COMPUTE_PGM_RSRC2:SCRATCH_EN: 0
; COMPUTE_PGM_RSRC2:USER_SGPR: 6
; COMPUTE_PGM_RSRC2:TRAP_HANDLER: 0
; COMPUTE_PGM_RSRC2:TGID_X_EN: 1
; COMPUTE_PGM_RSRC2:TGID_Y_EN: 0
; COMPUTE_PGM_RSRC2:TGID_Z_EN: 0
; COMPUTE_PGM_RSRC2:TIDIG_COMP_CNT: 0
; COMPUTE_PGM_RSRC3_GFX90A:ACCUM_OFFSET: 0
; COMPUTE_PGM_RSRC3_GFX90A:TG_SPLIT: 0
	.text
	.p2align	2                               ; -- Begin function _ZN7rocprim17ROCPRIM_400000_NS6detail15block_sort_implIN3c104HalfElLj256ELj8ELNS0_4arch9wavefront6targetE1EvE4sortIPS4_SA_N6thrust23THRUST_200600_302600_NS10device_ptrIlEESE_NSC_4lessIS4_EEEEvjbT_T0_T1_T2_T3_RNS8_12storage_typeE
	.type	_ZN7rocprim17ROCPRIM_400000_NS6detail15block_sort_implIN3c104HalfElLj256ELj8ELNS0_4arch9wavefront6targetE1EvE4sortIPS4_SA_N6thrust23THRUST_200600_302600_NS10device_ptrIlEESE_NSC_4lessIS4_EEEEvjbT_T0_T1_T2_T3_RNS8_12storage_typeE,@function
_ZN7rocprim17ROCPRIM_400000_NS6detail15block_sort_implIN3c104HalfElLj256ELj8ELNS0_4arch9wavefront6targetE1EvE4sortIPS4_SA_N6thrust23THRUST_200600_302600_NS10device_ptrIlEESE_NSC_4lessIS4_EEEEvjbT_T0_T1_T2_T3_RNS8_12storage_typeE: ; @_ZN7rocprim17ROCPRIM_400000_NS6detail15block_sort_implIN3c104HalfElLj256ELj8ELNS0_4arch9wavefront6targetE1EvE4sortIPS4_SA_N6thrust23THRUST_200600_302600_NS10device_ptrIlEESE_NSC_4lessIS4_EEEEvjbT_T0_T1_T2_T3_RNS8_12storage_typeE
; %bb.0:
	s_waitcnt vmcnt(0) expcnt(0) lgkmcnt(0)
	s_or_saveexec_b64 s[4:5], -1
	buffer_store_dword v40, off, s[0:3], s32 ; 4-byte Folded Spill
	s_mov_b64 exec, s[4:5]
	v_writelane_b32 v40, s34, 0
	v_writelane_b32 v40, s35, 1
	;; [unrolled: 1-line block ×18, first 2 shown]
	v_and_b32_e32 v1, 1, v1
	v_and_b32_e32 v34, 0x3ff, v31
	v_cmp_eq_u32_e32 vcc, 1, v1
	v_lshlrev_b32_e32 v38, 3, v34
	s_xor_b64 s[4:5], vcc, -1
	v_or_b32_e32 v19, 1, v38
	v_or_b32_e32 v20, 2, v38
	;; [unrolled: 1-line block ×7, first 2 shown]
	s_mov_b64 s[40:41], 0
	v_bfe_u32 v18, v31, 10, 10
	v_bfe_u32 v31, v31, 20, 10
	v_lshlrev_b32_e32 v128, 1, v34
	v_lshrrev_b32_e32 v1, 4, v34
	v_lshrrev_b32_e32 v39, 2, v34
                                        ; implicit-def: $vgpr10_vgpr11
	s_and_saveexec_b64 s[6:7], s[4:5]
	s_xor_b64 s[24:25], exec, s[6:7]
	s_cbranch_execnz .LBB2118_5
; %bb.1:
	s_andn2_saveexec_b64 s[42:43], s[24:25]
	s_cbranch_execnz .LBB2118_90
.LBB2118_2:
	s_or_b64 exec, exec, s[42:43]
	s_and_saveexec_b64 s[4:5], s[40:41]
	s_cbranch_execz .LBB2118_4
.LBB2118_3:
	s_waitcnt lgkmcnt(0)
	v_lshlrev_b64 v[0:1], 3, v[34:35]
	v_add_co_u32_e32 v0, vcc, v8, v0
	v_addc_co_u32_e32 v1, vcc, v9, v1, vcc
	v_add_co_u32_e32 v0, vcc, 0x3000, v0
	v_addc_co_u32_e32 v1, vcc, 0, v1, vcc
	flat_store_dwordx2 v[0:1], v[10:11] offset:2048
.LBB2118_4:
	s_or_b64 exec, exec, s[4:5]
	v_readlane_b32 s30, v40, 16
	v_readlane_b32 s31, v40, 17
	v_readlane_b32 s49, v40, 15
	v_readlane_b32 s48, v40, 14
	v_readlane_b32 s47, v40, 13
	v_readlane_b32 s46, v40, 12
	v_readlane_b32 s45, v40, 11
	v_readlane_b32 s44, v40, 10
	v_readlane_b32 s43, v40, 9
	v_readlane_b32 s42, v40, 8
	v_readlane_b32 s41, v40, 7
	v_readlane_b32 s40, v40, 6
	v_readlane_b32 s39, v40, 5
	v_readlane_b32 s38, v40, 4
	v_readlane_b32 s37, v40, 3
	v_readlane_b32 s36, v40, 2
	v_readlane_b32 s35, v40, 1
	v_readlane_b32 s34, v40, 0
	s_or_saveexec_b64 s[4:5], -1
	buffer_load_dword v40, off, s[0:3], s32 ; 4-byte Folded Reload
	s_mov_b64 exec, s[4:5]
	s_waitcnt vmcnt(0) lgkmcnt(0)
	s_setpc_b64 s[30:31]
.LBB2118_5:
	v_add_co_u32_e32 v2, vcc, v2, v128
	v_addc_co_u32_e32 v3, vcc, 0, v3, vcc
	flat_load_ushort v0, v[2:3]
	flat_load_ushort v32, v[2:3] offset:512
	flat_load_ushort v33, v[2:3] offset:1024
	;; [unrolled: 1-line block ×7, first 2 shown]
	v_and_b32_e32 v1, 60, v1
	v_add_u32_e32 v27, 0x100, v34
	v_add_u32_e32 v28, 0x200, v34
	;; [unrolled: 1-line block ×3, first 2 shown]
	v_or_b32_e32 v30, 0x400, v34
	v_add_u32_e32 v65, 0x500, v34
	v_add_u32_e32 v66, 0x600, v34
	v_add_u32_e32 v67, 0x700, v34
	v_and_b32_e32 v11, 0xfe, v39
	v_add_u32_e32 v10, v1, v128
	v_lshrrev_b32_e32 v1, 4, v27
	v_lshrrev_b32_e32 v2, 4, v28
	;; [unrolled: 1-line block ×7, first 2 shown]
	v_add_lshl_u32 v50, v11, v38, 1
	v_and_b32_e32 v1, 0x7c, v1
	v_and_b32_e32 v2, 0x7c, v2
	;; [unrolled: 1-line block ×7, first 2 shown]
	v_add_u32_e32 v12, v1, v128
	v_add_u32_e32 v13, v2, v128
	;; [unrolled: 1-line block ×7, first 2 shown]
	s_movk_i32 s20, 0x800
	s_waitcnt vmcnt(0) lgkmcnt(0)
	ds_write_b16 v10, v0
	ds_write_b16 v12, v32 offset:512
	ds_write_b16 v13, v33 offset:1024
	;; [unrolled: 1-line block ×7, first 2 shown]
	s_waitcnt lgkmcnt(0)
	s_barrier
	ds_read2_b32 v[0:1], v50 offset1:1
	ds_read2_b32 v[2:3], v50 offset0:2 offset1:3
	s_waitcnt lgkmcnt(0)
	s_barrier
	s_load_dwordx2 s[4:5], s[8:9], 0x0
	v_mov_b32_e32 v35, 0
	v_lshrrev_b32_e32 v51, 16, v3
	v_lshrrev_b32_e32 v49, 16, v2
	;; [unrolled: 1-line block ×3, first 2 shown]
	s_waitcnt lgkmcnt(0)
	s_cmp_lt_u32 s12, s4
	s_cselect_b32 s6, 12, 18
	s_cmp_lt_u32 s13, s5
	s_cselect_b32 s4, 14, 20
	s_add_u32 s4, s8, s4
	s_addc_u32 s5, s9, 0
	s_add_u32 s6, s8, s6
	s_addc_u32 s7, s9, 0
	global_load_ushort v32, v35, s[4:5]
	global_load_ushort v33, v35, s[6:7]
	v_lshrrev_b32_e32 v37, 16, v0
	s_waitcnt vmcnt(1)
	v_mad_u32_u24 v18, v31, v32, v18
	s_waitcnt vmcnt(0)
	v_mul_lo_u32 v18, v18, v33
	v_add_lshl_u32 v31, v18, v34, 3
	v_cmp_gt_u32_e32 vcc, s20, v31
	v_mov_b32_e32 v18, v38
	s_and_saveexec_b64 s[16:17], vcc
	s_cbranch_execz .LBB2118_9
; %bb.6:
	v_cmp_lt_f16_e32 vcc, v37, v0
	v_cndmask_b32_e32 v18, v0, v37, vcc
	v_cndmask_b32_e32 v0, v37, v0, vcc
	v_cndmask_b32_e32 v32, v38, v19, vcc
	v_cndmask_b32_e32 v19, v19, v38, vcc
	v_cmp_lt_f16_e32 vcc, v48, v1
	v_cndmask_b32_e32 v33, v1, v48, vcc
	v_cndmask_b32_e32 v1, v48, v1, vcc
	v_cndmask_b32_e32 v36, v21, v20, vcc
	v_cndmask_b32_e32 v20, v20, v21, vcc
	;; [unrolled: 5-line block ×20, first 2 shown]
	v_cmp_lt_f16_e32 vcc, v48, v21
	v_cndmask_b32_e32 v23, v21, v48, vcc
	v_cmp_lt_f16_e64 s[4:5], v20, v24
	v_cndmask_b32_e32 v32, v48, v21, vcc
	v_cndmask_b32_e32 v21, v3, v33, vcc
	;; [unrolled: 1-line block ×3, first 2 shown]
	v_cmp_lt_f16_e32 vcc, v2, v0
	v_cndmask_b32_e64 v48, v24, v20, s[4:5]
	v_cndmask_b32_e64 v36, v20, v24, s[4:5]
	;; [unrolled: 1-line block ×4, first 2 shown]
	v_cmp_lt_f16_e64 s[4:5], v23, v49
	v_cndmask_b32_e32 v33, v2, v0, vcc
	v_cndmask_b32_e64 v50, v49, v23, s[4:5]
	v_cndmask_b32_e64 v49, v23, v49, s[4:5]
	v_cndmask_b32_e64 v23, v3, v52, s[4:5]
	v_cndmask_b32_e64 v3, v52, v3, s[4:5]
	v_cmp_lt_f16_e64 s[4:5], v1, v32
	v_cndmask_b32_e32 v18, v37, v19, vcc
	v_cndmask_b32_e32 v19, v19, v37, vcc
	v_cndmask_b32_e64 v37, v32, v1, s[4:5]
	v_cmp_lt_f16_e64 s[6:7], v48, v33
	v_cmp_lt_f16_e64 s[10:11], v50, v36
	v_cndmask_b32_e64 v25, v51, v21, s[4:5]
	v_cndmask_b32_e64 v24, v21, v51, s[4:5]
	;; [unrolled: 1-line block ×6, first 2 shown]
	v_cmp_lt_f16_e64 s[14:15], v37, v49
	v_mov_b32_e32 v3, v37
	s_and_saveexec_b64 s[18:19], s[14:15]
; %bb.7:
	v_mov_b32_e32 v3, v24
	v_swap_b32 v24, v23
	v_mov_b32_e32 v3, v49
	v_mov_b32_e32 v49, v37
; %bb.8:
	s_or_b64 exec, exec, s[18:19]
	v_cndmask_b32_e32 v0, v0, v2, vcc
	v_cndmask_b32_e64 v51, v1, v32, s[4:5]
	v_cndmask_b32_e64 v37, v33, v48, s[6:7]
	;; [unrolled: 1-line block ×5, first 2 shown]
.LBB2118_9:
	s_or_b64 exec, exec, s[16:17]
	v_mbcnt_lo_u32_b32 v32, -1, 0
	v_and_b32_e32 v31, 0xfffffe00, v31
	v_mbcnt_hi_u32_b32 v32, -1, v32
	v_lshlrev_b32_e32 v52, 1, v31
	v_add_u32_e32 v50, v52, v52
	v_lshlrev_b32_e32 v54, 3, v32
	s_mov_b32 s4, 0x5040100
	v_sub_u32_e64 v53, s20, v31 clamp
	v_lshl_add_u32 v55, v32, 4, v52
	v_lshl_add_u32 v64, v32, 5, v50
	v_perm_b32 v71, v51, v3, s4
	v_perm_b32 v70, v49, v2, s4
	;; [unrolled: 1-line block ×4, first 2 shown]
	v_or_b32_e32 v31, 8, v54
	ds_write_b128 v64, v[18:21] offset:4096
	ds_write_b128 v55, v[68:71]
	ds_write_b128 v64, v[22:25] offset:4112
	v_min_u32_e32 v68, v53, v31
	v_add_u32_e32 v31, 8, v68
	v_and_b32_e32 v80, 0x3f0, v54
	v_min_u32_e32 v69, v53, v31
	v_and_b32_e32 v31, 8, v54
	v_min_u32_e32 v81, v53, v31
	v_sub_u32_e32 v31, v68, v80
	v_sub_u32_e32 v32, v69, v68
	v_sub_u32_e64 v71, v81, v32 clamp
	v_min_u32_e32 v31, v81, v31
	v_lshl_add_u32 v70, v80, 1, v52
	v_cmp_lt_u32_e32 vcc, v71, v31
	; wave barrier
	s_and_saveexec_b64 s[4:5], vcc
	s_cbranch_execz .LBB2118_13
; %bb.10:
	v_lshlrev_b32_e32 v32, 1, v68
	v_lshlrev_b32_e32 v33, 1, v81
	v_add3_u32 v32, v52, v32, v33
	s_mov_b64 s[6:7], 0
.LBB2118_11:                            ; =>This Inner Loop Header: Depth=1
	v_add_u32_e32 v33, v31, v71
	v_lshrrev_b32_e32 v36, 1, v33
	v_and_b32_e32 v33, -2, v33
	v_not_b32_e32 v82, v36
	v_add_u32_e32 v33, v70, v33
	v_lshl_add_u32 v82, v82, 1, v32
	ds_read_u16 v33, v33
	ds_read_u16 v82, v82
	v_add_u32_e32 v83, 1, v36
	s_waitcnt lgkmcnt(0)
	v_cmp_lt_f16_e32 vcc, v82, v33
	v_cndmask_b32_e32 v31, v31, v36, vcc
	v_cndmask_b32_e32 v71, v83, v71, vcc
	v_cmp_ge_u32_e32 vcc, v71, v31
	s_or_b64 s[6:7], vcc, s[6:7]
	s_andn2_b64 exec, exec, s[6:7]
	s_cbranch_execnz .LBB2118_11
; %bb.12:
	s_or_b64 exec, exec, s[6:7]
.LBB2118_13:
	s_or_b64 exec, exec, s[4:5]
	v_lshrrev_b32_e32 v33, 5, v27
	v_lshrrev_b32_e32 v27, 5, v67
	v_add_u32_e32 v67, v68, v81
	v_lshrrev_b32_e32 v32, 5, v28
	v_lshrrev_b32_e32 v28, 5, v66
	v_add_u32_e32 v66, v71, v80
	v_sub_u32_e32 v67, v67, v71
	v_cmp_le_u32_e32 vcc, v66, v68
	v_cmp_le_u32_e64 s[4:5], v67, v69
	v_lshrrev_b32_e32 v36, 5, v34
	v_lshrrev_b32_e32 v31, 5, v29
	v_lshrrev_b32_e32 v30, 5, v30
	v_lshrrev_b32_e32 v29, 5, v65
	v_add_u32_e32 v65, 0x1000, v64
	s_or_b64 s[4:5], vcc, s[4:5]
	s_and_saveexec_b64 s[26:27], s[4:5]
	s_cbranch_execz .LBB2118_19
; %bb.14:
	v_cmp_lt_u32_e32 vcc, v66, v68
                                        ; implicit-def: $vgpr0
	s_and_saveexec_b64 s[4:5], vcc
	s_cbranch_execz .LBB2118_16
; %bb.15:
	v_lshl_add_u32 v0, v71, 1, v70
	ds_read_u16 v0, v0
.LBB2118_16:
	s_or_b64 exec, exec, s[4:5]
	v_cmp_ge_u32_e64 s[4:5], v67, v69
	v_cmp_lt_u32_e64 s[6:7], v67, v69
                                        ; implicit-def: $vgpr1
	s_and_saveexec_b64 s[10:11], s[6:7]
	s_cbranch_execz .LBB2118_18
; %bb.17:
	v_lshl_add_u32 v1, v67, 1, v52
	ds_read_u16 v1, v1
.LBB2118_18:
	s_or_b64 exec, exec, s[10:11]
	s_waitcnt lgkmcnt(0)
	v_cmp_nlt_f16_e64 s[6:7], v1, v0
	s_and_b64 s[6:7], vcc, s[6:7]
	s_or_b64 vcc, s[4:5], s[6:7]
	v_cndmask_b32_e32 v2, v67, v66, vcc
	v_cndmask_b32_e32 v3, v69, v68, vcc
	v_add_u32_e32 v18, 1, v2
	v_add_u32_e32 v3, -1, v3
	v_min_u32_e32 v3, v18, v3
	v_lshl_add_u32 v3, v3, 1, v52
	ds_read_u16 v3, v3
	v_cndmask_b32_e32 v19, v18, v67, vcc
	v_cndmask_b32_e32 v18, v66, v18, vcc
	v_cmp_lt_u32_e64 s[6:7], v18, v68
	v_cmp_ge_u32_e64 s[4:5], v19, v69
	s_waitcnt lgkmcnt(0)
	v_cndmask_b32_e32 v25, v3, v1, vcc
	v_cndmask_b32_e32 v3, v0, v3, vcc
	v_cmp_nlt_f16_e64 s[10:11], v25, v3
	s_and_b64 s[6:7], s[6:7], s[10:11]
	s_or_b64 s[4:5], s[4:5], s[6:7]
	v_cndmask_b32_e64 v20, v19, v18, s[4:5]
	v_cndmask_b32_e64 v21, v69, v68, s[4:5]
	v_add_u32_e32 v22, 1, v20
	v_add_u32_e32 v21, -1, v21
	v_min_u32_e32 v21, v22, v21
	v_lshl_add_u32 v21, v21, 1, v52
	ds_read_u16 v21, v21
	v_cndmask_b32_e64 v18, v18, v22, s[4:5]
	v_cndmask_b32_e64 v19, v22, v19, s[4:5]
	v_cmp_lt_u32_e64 s[10:11], v18, v68
	v_cmp_ge_u32_e64 s[6:7], v19, v69
	s_waitcnt lgkmcnt(0)
	v_cndmask_b32_e64 v48, v21, v25, s[4:5]
	v_cndmask_b32_e64 v49, v3, v21, s[4:5]
	v_cmp_nlt_f16_e64 s[14:15], v48, v49
	s_and_b64 s[10:11], s[10:11], s[14:15]
	s_or_b64 s[6:7], s[6:7], s[10:11]
	v_cndmask_b32_e64 v21, v19, v18, s[6:7]
	v_cndmask_b32_e64 v22, v69, v68, s[6:7]
	v_add_u32_e32 v23, 1, v21
	v_add_u32_e32 v22, -1, v22
	v_min_u32_e32 v22, v23, v22
	v_lshl_add_u32 v22, v22, 1, v52
	ds_read_u16 v22, v22
	v_lshl_add_u32 v2, v2, 2, v50
	v_cndmask_b32_e32 v0, v1, v0, vcc
	v_cndmask_b32_e64 v1, v48, v49, s[6:7]
	s_waitcnt lgkmcnt(0)
	v_cndmask_b32_e64 v51, v22, v48, s[6:7]
	v_cndmask_b32_e64 v66, v49, v22, s[6:7]
	;; [unrolled: 1-line block ×4, first 2 shown]
	v_cmp_lt_u32_e64 s[14:15], v23, v68
	v_cmp_nlt_f16_e64 s[16:17], v51, v66
	v_cmp_ge_u32_e64 s[10:11], v22, v69
	s_and_b64 s[14:15], s[14:15], s[16:17]
	s_or_b64 s[10:11], s[10:11], s[14:15]
	v_cndmask_b32_e64 v24, v22, v23, s[10:11]
	v_cndmask_b32_e64 v18, v69, v68, s[10:11]
	v_add_u32_e32 v37, 1, v24
	v_add_u32_e32 v18, -1, v18
	v_min_u32_e32 v18, v37, v18
	v_lshl_add_u32 v18, v18, 1, v52
	ds_read_u16 v67, v18
	ds_read_b32 v18, v2 offset:4096
	v_lshl_add_u32 v2, v20, 2, v50
	ds_read_b32 v19, v2 offset:4096
	v_cndmask_b32_e64 v23, v23, v37, s[10:11]
	s_waitcnt lgkmcnt(2)
	v_cndmask_b32_e64 v2, v67, v51, s[10:11]
	v_cndmask_b32_e64 v67, v66, v67, s[10:11]
	;; [unrolled: 1-line block ×3, first 2 shown]
	v_cmp_lt_u32_e64 s[16:17], v23, v68
	v_cmp_nlt_f16_e64 s[18:19], v2, v67
	v_cmp_ge_u32_e64 s[14:15], v22, v69
	s_and_b64 s[16:17], s[16:17], s[18:19]
	s_or_b64 s[14:15], s[14:15], s[16:17]
	v_cndmask_b32_e64 v37, v22, v23, s[14:15]
	v_cndmask_b32_e64 v20, v69, v68, s[14:15]
	v_add_u32_e32 v70, 1, v37
	v_add_u32_e32 v20, -1, v20
	v_min_u32_e32 v20, v70, v20
	v_lshl_add_u32 v20, v20, 1, v52
	ds_read_u16 v71, v20
	v_lshl_add_u32 v20, v21, 2, v50
	v_lshl_add_u32 v21, v24, 2, v50
	v_cndmask_b32_e64 v24, v70, v22, s[14:15]
	v_cndmask_b32_e64 v70, v23, v70, s[14:15]
	s_waitcnt lgkmcnt(0)
	v_cndmask_b32_e64 v80, v71, v2, s[14:15]
	v_cndmask_b32_e64 v71, v67, v71, s[14:15]
	v_cmp_lt_u32_e64 s[18:19], v70, v68
	v_cmp_nlt_f16_e64 s[20:21], v80, v71
	v_cmp_ge_u32_e64 s[16:17], v24, v69
	s_and_b64 s[18:19], s[18:19], s[20:21]
	s_or_b64 s[16:17], s[16:17], s[18:19]
	v_cndmask_b32_e64 v23, v24, v70, s[16:17]
	v_cndmask_b32_e64 v22, v69, v68, s[16:17]
	v_add_u32_e32 v81, 1, v23
	v_add_u32_e32 v22, -1, v22
	v_min_u32_e32 v22, v81, v22
	v_lshl_add_u32 v22, v22, 1, v52
	ds_read_b32 v20, v20 offset:4096
	ds_read_b32 v21, v21 offset:4096
	ds_read_u16 v82, v22
	v_lshl_add_u32 v23, v23, 2, v50
	ds_read_b32 v23, v23 offset:4096
	v_cndmask_b32_e64 v70, v70, v81, s[16:17]
	v_cndmask_b32_e64 v84, v81, v24, s[16:17]
	s_waitcnt lgkmcnt(1)
	v_cndmask_b32_e64 v83, v82, v80, s[16:17]
	v_cndmask_b32_e64 v82, v71, v82, s[16:17]
	v_cmp_lt_u32_e64 s[20:21], v70, v68
	v_cmp_nlt_f16_e64 s[22:23], v83, v82
	v_cmp_ge_u32_e64 s[18:19], v84, v69
	s_and_b64 s[20:21], s[20:21], s[22:23]
	s_or_b64 s[18:19], s[18:19], s[20:21]
	v_lshl_add_u32 v22, v37, 2, v50
	v_cndmask_b32_e64 v24, v84, v70, s[18:19]
	v_cndmask_b32_e64 v37, v69, v68, s[18:19]
	v_lshl_add_u32 v81, v24, 2, v50
	v_add_u32_e32 v85, 1, v24
	v_add_u32_e32 v24, -1, v37
	v_min_u32_e32 v24, v85, v24
	ds_read_b32 v22, v22 offset:4096
	v_lshl_add_u32 v37, v24, 1, v52
	ds_read_b32 v24, v81 offset:4096
	ds_read_u16 v81, v37
	v_cndmask_b32_e64 v37, v25, v3, s[4:5]
	v_cndmask_b32_e64 v48, v51, v66, s[10:11]
	;; [unrolled: 1-line block ×4, first 2 shown]
	s_waitcnt lgkmcnt(0)
	v_cndmask_b32_e64 v51, v81, v83, s[18:19]
	v_cndmask_b32_e64 v66, v82, v81, s[18:19]
	v_cmp_lt_u32_e64 s[4:5], v25, v68
	v_cmp_nlt_f16_e64 s[6:7], v51, v66
	v_cmp_ge_u32_e32 vcc, v3, v69
	s_and_b64 s[4:5], s[4:5], s[6:7]
	s_or_b64 vcc, vcc, s[4:5]
	v_cndmask_b32_e32 v3, v3, v25, vcc
	v_lshl_add_u32 v3, v3, 2, v50
	ds_read_b32 v25, v3 offset:4096
	v_cndmask_b32_e64 v2, v2, v67, s[14:15]
	v_cndmask_b32_e64 v49, v80, v71, s[16:17]
	;; [unrolled: 1-line block ×3, first 2 shown]
	v_cndmask_b32_e32 v51, v51, v66, vcc
.LBB2118_19:
	s_or_b64 exec, exec, s[26:27]
	s_mov_b32 s4, 0x5040100
	v_perm_b32 v69, v51, v3, s4
	v_perm_b32 v68, v49, v2, s4
	;; [unrolled: 1-line block ×4, first 2 shown]
	v_and_b32_e32 v70, 0x3e0, v54
	; wave barrier
	ds_write_b128 v64, v[18:21] offset:4096
	ds_write_b128 v55, v[66:69]
	s_waitcnt lgkmcnt(2)
	ds_write_b128 v65, v[22:25] offset:16
	v_or_b32_e32 v66, 16, v70
	v_min_u32_e32 v66, v53, v66
	v_add_u32_e32 v67, 16, v66
	v_min_u32_e32 v67, v53, v67
	v_and_b32_e32 v68, 24, v54
	v_min_u32_e32 v71, v53, v68
	v_sub_u32_e32 v80, v66, v70
	v_sub_u32_e32 v69, v67, v66
	v_sub_u32_e64 v69, v71, v69 clamp
	v_min_u32_e32 v80, v71, v80
	v_lshl_add_u32 v68, v70, 1, v52
	v_cmp_lt_u32_e32 vcc, v69, v80
	; wave barrier
	s_and_saveexec_b64 s[4:5], vcc
	s_cbranch_execz .LBB2118_23
; %bb.20:
	v_lshlrev_b32_e32 v81, 1, v66
	v_lshlrev_b32_e32 v82, 1, v71
	v_add3_u32 v81, v52, v81, v82
	s_mov_b64 s[6:7], 0
.LBB2118_21:                            ; =>This Inner Loop Header: Depth=1
	v_add_u32_e32 v82, v80, v69
	v_lshrrev_b32_e32 v83, 1, v82
	v_and_b32_e32 v82, -2, v82
	v_not_b32_e32 v84, v83
	v_add_u32_e32 v82, v68, v82
	v_lshl_add_u32 v84, v84, 1, v81
	ds_read_u16 v82, v82
	ds_read_u16 v84, v84
	v_add_u32_e32 v85, 1, v83
	s_waitcnt lgkmcnt(0)
	v_cmp_lt_f16_e32 vcc, v84, v82
	v_cndmask_b32_e32 v80, v80, v83, vcc
	v_cndmask_b32_e32 v69, v85, v69, vcc
	v_cmp_ge_u32_e32 vcc, v69, v80
	s_or_b64 s[6:7], vcc, s[6:7]
	s_andn2_b64 exec, exec, s[6:7]
	s_cbranch_execnz .LBB2118_21
; %bb.22:
	s_or_b64 exec, exec, s[6:7]
.LBB2118_23:
	s_or_b64 exec, exec, s[4:5]
	v_add_u32_e32 v71, v66, v71
	v_add_u32_e32 v70, v69, v70
	v_sub_u32_e32 v71, v71, v69
	v_cmp_le_u32_e32 vcc, v70, v66
	v_cmp_le_u32_e64 s[4:5], v71, v67
	s_or_b64 s[4:5], vcc, s[4:5]
	s_and_saveexec_b64 s[26:27], s[4:5]
	s_cbranch_execz .LBB2118_29
; %bb.24:
	v_cmp_lt_u32_e32 vcc, v70, v66
                                        ; implicit-def: $vgpr0
	s_and_saveexec_b64 s[4:5], vcc
	s_cbranch_execz .LBB2118_26
; %bb.25:
	v_lshl_add_u32 v0, v69, 1, v68
	ds_read_u16 v0, v0
.LBB2118_26:
	s_or_b64 exec, exec, s[4:5]
	v_cmp_ge_u32_e64 s[4:5], v71, v67
	v_cmp_lt_u32_e64 s[6:7], v71, v67
                                        ; implicit-def: $vgpr1
	s_and_saveexec_b64 s[10:11], s[6:7]
	s_cbranch_execz .LBB2118_28
; %bb.27:
	v_lshl_add_u32 v1, v71, 1, v52
	ds_read_u16 v1, v1
.LBB2118_28:
	s_or_b64 exec, exec, s[10:11]
	s_waitcnt lgkmcnt(0)
	v_cmp_nlt_f16_e64 s[6:7], v1, v0
	s_and_b64 s[6:7], vcc, s[6:7]
	s_or_b64 vcc, s[4:5], s[6:7]
	v_cndmask_b32_e32 v2, v71, v70, vcc
	v_cndmask_b32_e32 v3, v67, v66, vcc
	v_add_u32_e32 v18, 1, v2
	v_add_u32_e32 v3, -1, v3
	v_min_u32_e32 v3, v18, v3
	v_lshl_add_u32 v3, v3, 1, v52
	ds_read_u16 v3, v3
	v_cndmask_b32_e32 v19, v18, v71, vcc
	v_cndmask_b32_e32 v18, v70, v18, vcc
	v_cmp_lt_u32_e64 s[6:7], v18, v66
	v_cmp_ge_u32_e64 s[4:5], v19, v67
	s_waitcnt lgkmcnt(0)
	v_cndmask_b32_e32 v25, v3, v1, vcc
	v_cndmask_b32_e32 v3, v0, v3, vcc
	v_cmp_nlt_f16_e64 s[10:11], v25, v3
	s_and_b64 s[6:7], s[6:7], s[10:11]
	s_or_b64 s[4:5], s[4:5], s[6:7]
	v_cndmask_b32_e64 v20, v19, v18, s[4:5]
	v_cndmask_b32_e64 v21, v67, v66, s[4:5]
	v_add_u32_e32 v22, 1, v20
	v_add_u32_e32 v21, -1, v21
	v_min_u32_e32 v21, v22, v21
	v_lshl_add_u32 v21, v21, 1, v52
	ds_read_u16 v21, v21
	v_cndmask_b32_e64 v18, v18, v22, s[4:5]
	v_cndmask_b32_e64 v19, v22, v19, s[4:5]
	v_cmp_lt_u32_e64 s[10:11], v18, v66
	v_cmp_ge_u32_e64 s[6:7], v19, v67
	s_waitcnt lgkmcnt(0)
	v_cndmask_b32_e64 v48, v21, v25, s[4:5]
	v_cndmask_b32_e64 v49, v3, v21, s[4:5]
	v_cmp_nlt_f16_e64 s[14:15], v48, v49
	s_and_b64 s[10:11], s[10:11], s[14:15]
	s_or_b64 s[6:7], s[6:7], s[10:11]
	v_cndmask_b32_e64 v21, v19, v18, s[6:7]
	v_cndmask_b32_e64 v22, v67, v66, s[6:7]
	v_add_u32_e32 v23, 1, v21
	v_add_u32_e32 v22, -1, v22
	v_min_u32_e32 v22, v23, v22
	v_lshl_add_u32 v22, v22, 1, v52
	ds_read_u16 v22, v22
	v_lshl_add_u32 v2, v2, 2, v50
	v_cndmask_b32_e32 v0, v1, v0, vcc
	v_cndmask_b32_e64 v1, v48, v49, s[6:7]
	s_waitcnt lgkmcnt(0)
	v_cndmask_b32_e64 v51, v22, v48, s[6:7]
	v_cndmask_b32_e64 v68, v49, v22, s[6:7]
	;; [unrolled: 1-line block ×4, first 2 shown]
	v_cmp_lt_u32_e64 s[14:15], v23, v66
	v_cmp_nlt_f16_e64 s[16:17], v51, v68
	v_cmp_ge_u32_e64 s[10:11], v22, v67
	s_and_b64 s[14:15], s[14:15], s[16:17]
	s_or_b64 s[10:11], s[10:11], s[14:15]
	v_cndmask_b32_e64 v24, v22, v23, s[10:11]
	v_cndmask_b32_e64 v18, v67, v66, s[10:11]
	v_add_u32_e32 v37, 1, v24
	v_add_u32_e32 v18, -1, v18
	v_min_u32_e32 v18, v37, v18
	v_lshl_add_u32 v18, v18, 1, v52
	ds_read_u16 v69, v18
	ds_read_b32 v18, v2 offset:4096
	v_lshl_add_u32 v2, v20, 2, v50
	ds_read_b32 v19, v2 offset:4096
	v_cndmask_b32_e64 v23, v23, v37, s[10:11]
	s_waitcnt lgkmcnt(2)
	v_cndmask_b32_e64 v2, v69, v51, s[10:11]
	v_cndmask_b32_e64 v69, v68, v69, s[10:11]
	;; [unrolled: 1-line block ×3, first 2 shown]
	v_cmp_lt_u32_e64 s[16:17], v23, v66
	v_cmp_nlt_f16_e64 s[18:19], v2, v69
	v_cmp_ge_u32_e64 s[14:15], v22, v67
	s_and_b64 s[16:17], s[16:17], s[18:19]
	s_or_b64 s[14:15], s[14:15], s[16:17]
	v_cndmask_b32_e64 v37, v22, v23, s[14:15]
	v_cndmask_b32_e64 v20, v67, v66, s[14:15]
	v_add_u32_e32 v70, 1, v37
	v_add_u32_e32 v20, -1, v20
	v_min_u32_e32 v20, v70, v20
	v_lshl_add_u32 v20, v20, 1, v52
	ds_read_u16 v71, v20
	v_lshl_add_u32 v20, v21, 2, v50
	v_lshl_add_u32 v21, v24, 2, v50
	v_cndmask_b32_e64 v24, v70, v22, s[14:15]
	v_cndmask_b32_e64 v70, v23, v70, s[14:15]
	s_waitcnt lgkmcnt(0)
	v_cndmask_b32_e64 v80, v71, v2, s[14:15]
	v_cndmask_b32_e64 v71, v69, v71, s[14:15]
	v_cmp_lt_u32_e64 s[18:19], v70, v66
	v_cmp_nlt_f16_e64 s[20:21], v80, v71
	v_cmp_ge_u32_e64 s[16:17], v24, v67
	s_and_b64 s[18:19], s[18:19], s[20:21]
	s_or_b64 s[16:17], s[16:17], s[18:19]
	v_cndmask_b32_e64 v23, v24, v70, s[16:17]
	v_cndmask_b32_e64 v22, v67, v66, s[16:17]
	v_add_u32_e32 v81, 1, v23
	v_add_u32_e32 v22, -1, v22
	v_min_u32_e32 v22, v81, v22
	v_lshl_add_u32 v22, v22, 1, v52
	ds_read_b32 v20, v20 offset:4096
	ds_read_b32 v21, v21 offset:4096
	ds_read_u16 v82, v22
	v_lshl_add_u32 v23, v23, 2, v50
	ds_read_b32 v23, v23 offset:4096
	v_cndmask_b32_e64 v70, v70, v81, s[16:17]
	v_cndmask_b32_e64 v84, v81, v24, s[16:17]
	s_waitcnt lgkmcnt(1)
	v_cndmask_b32_e64 v83, v82, v80, s[16:17]
	v_cndmask_b32_e64 v82, v71, v82, s[16:17]
	v_cmp_lt_u32_e64 s[20:21], v70, v66
	v_cmp_nlt_f16_e64 s[22:23], v83, v82
	v_cmp_ge_u32_e64 s[18:19], v84, v67
	s_and_b64 s[20:21], s[20:21], s[22:23]
	s_or_b64 s[18:19], s[18:19], s[20:21]
	v_lshl_add_u32 v22, v37, 2, v50
	v_cndmask_b32_e64 v24, v84, v70, s[18:19]
	v_cndmask_b32_e64 v37, v67, v66, s[18:19]
	v_lshl_add_u32 v81, v24, 2, v50
	v_add_u32_e32 v85, 1, v24
	v_add_u32_e32 v24, -1, v37
	v_min_u32_e32 v24, v85, v24
	ds_read_b32 v22, v22 offset:4096
	v_lshl_add_u32 v37, v24, 1, v52
	ds_read_b32 v24, v81 offset:4096
	ds_read_u16 v81, v37
	v_cndmask_b32_e64 v37, v25, v3, s[4:5]
	v_cndmask_b32_e64 v48, v51, v68, s[10:11]
	;; [unrolled: 1-line block ×4, first 2 shown]
	s_waitcnt lgkmcnt(0)
	v_cndmask_b32_e64 v51, v81, v83, s[18:19]
	v_cndmask_b32_e64 v68, v82, v81, s[18:19]
	v_cmp_lt_u32_e64 s[4:5], v25, v66
	v_cmp_nlt_f16_e64 s[6:7], v51, v68
	v_cmp_ge_u32_e32 vcc, v3, v67
	s_and_b64 s[4:5], s[4:5], s[6:7]
	s_or_b64 vcc, vcc, s[4:5]
	v_cndmask_b32_e32 v3, v3, v25, vcc
	v_lshl_add_u32 v3, v3, 2, v50
	ds_read_b32 v25, v3 offset:4096
	v_cndmask_b32_e64 v2, v2, v69, s[14:15]
	v_cndmask_b32_e64 v49, v80, v71, s[16:17]
	;; [unrolled: 1-line block ×3, first 2 shown]
	v_cndmask_b32_e32 v51, v51, v68, vcc
.LBB2118_29:
	s_or_b64 exec, exec, s[26:27]
	s_mov_b32 s4, 0x5040100
	v_perm_b32 v69, v51, v3, s4
	v_perm_b32 v68, v49, v2, s4
	;; [unrolled: 1-line block ×4, first 2 shown]
	v_and_b32_e32 v70, 0x3c0, v54
	; wave barrier
	ds_write_b128 v64, v[18:21] offset:4096
	ds_write_b128 v55, v[66:69]
	s_waitcnt lgkmcnt(2)
	ds_write_b128 v65, v[22:25] offset:16
	v_or_b32_e32 v66, 32, v70
	v_min_u32_e32 v66, v53, v66
	v_add_u32_e32 v67, 32, v66
	v_min_u32_e32 v67, v53, v67
	v_and_b32_e32 v68, 56, v54
	v_min_u32_e32 v71, v53, v68
	v_sub_u32_e32 v80, v66, v70
	v_sub_u32_e32 v69, v67, v66
	v_sub_u32_e64 v69, v71, v69 clamp
	v_min_u32_e32 v80, v71, v80
	v_lshl_add_u32 v68, v70, 1, v52
	v_cmp_lt_u32_e32 vcc, v69, v80
	; wave barrier
	s_and_saveexec_b64 s[4:5], vcc
	s_cbranch_execz .LBB2118_33
; %bb.30:
	v_lshlrev_b32_e32 v81, 1, v66
	v_lshlrev_b32_e32 v82, 1, v71
	v_add3_u32 v81, v52, v81, v82
	s_mov_b64 s[6:7], 0
.LBB2118_31:                            ; =>This Inner Loop Header: Depth=1
	v_add_u32_e32 v82, v80, v69
	v_lshrrev_b32_e32 v83, 1, v82
	v_and_b32_e32 v82, -2, v82
	v_not_b32_e32 v84, v83
	v_add_u32_e32 v82, v68, v82
	v_lshl_add_u32 v84, v84, 1, v81
	ds_read_u16 v82, v82
	ds_read_u16 v84, v84
	v_add_u32_e32 v85, 1, v83
	s_waitcnt lgkmcnt(0)
	v_cmp_lt_f16_e32 vcc, v84, v82
	v_cndmask_b32_e32 v80, v80, v83, vcc
	v_cndmask_b32_e32 v69, v85, v69, vcc
	v_cmp_ge_u32_e32 vcc, v69, v80
	s_or_b64 s[6:7], vcc, s[6:7]
	s_andn2_b64 exec, exec, s[6:7]
	s_cbranch_execnz .LBB2118_31
; %bb.32:
	s_or_b64 exec, exec, s[6:7]
.LBB2118_33:
	s_or_b64 exec, exec, s[4:5]
	v_add_u32_e32 v71, v66, v71
	v_add_u32_e32 v70, v69, v70
	v_sub_u32_e32 v71, v71, v69
	v_cmp_le_u32_e32 vcc, v70, v66
	v_cmp_le_u32_e64 s[4:5], v71, v67
	s_or_b64 s[4:5], vcc, s[4:5]
	s_and_saveexec_b64 s[26:27], s[4:5]
	s_cbranch_execz .LBB2118_39
; %bb.34:
	v_cmp_lt_u32_e32 vcc, v70, v66
                                        ; implicit-def: $vgpr0
	s_and_saveexec_b64 s[4:5], vcc
	s_cbranch_execz .LBB2118_36
; %bb.35:
	v_lshl_add_u32 v0, v69, 1, v68
	ds_read_u16 v0, v0
.LBB2118_36:
	s_or_b64 exec, exec, s[4:5]
	v_cmp_ge_u32_e64 s[4:5], v71, v67
	v_cmp_lt_u32_e64 s[6:7], v71, v67
                                        ; implicit-def: $vgpr1
	s_and_saveexec_b64 s[10:11], s[6:7]
	s_cbranch_execz .LBB2118_38
; %bb.37:
	v_lshl_add_u32 v1, v71, 1, v52
	ds_read_u16 v1, v1
.LBB2118_38:
	s_or_b64 exec, exec, s[10:11]
	s_waitcnt lgkmcnt(0)
	v_cmp_nlt_f16_e64 s[6:7], v1, v0
	s_and_b64 s[6:7], vcc, s[6:7]
	s_or_b64 vcc, s[4:5], s[6:7]
	v_cndmask_b32_e32 v2, v71, v70, vcc
	v_cndmask_b32_e32 v3, v67, v66, vcc
	v_add_u32_e32 v18, 1, v2
	v_add_u32_e32 v3, -1, v3
	v_min_u32_e32 v3, v18, v3
	v_lshl_add_u32 v3, v3, 1, v52
	ds_read_u16 v3, v3
	v_cndmask_b32_e32 v19, v18, v71, vcc
	v_cndmask_b32_e32 v18, v70, v18, vcc
	v_cmp_lt_u32_e64 s[6:7], v18, v66
	v_cmp_ge_u32_e64 s[4:5], v19, v67
	s_waitcnt lgkmcnt(0)
	v_cndmask_b32_e32 v25, v3, v1, vcc
	v_cndmask_b32_e32 v3, v0, v3, vcc
	v_cmp_nlt_f16_e64 s[10:11], v25, v3
	s_and_b64 s[6:7], s[6:7], s[10:11]
	s_or_b64 s[4:5], s[4:5], s[6:7]
	v_cndmask_b32_e64 v20, v19, v18, s[4:5]
	v_cndmask_b32_e64 v21, v67, v66, s[4:5]
	v_add_u32_e32 v22, 1, v20
	v_add_u32_e32 v21, -1, v21
	v_min_u32_e32 v21, v22, v21
	v_lshl_add_u32 v21, v21, 1, v52
	ds_read_u16 v21, v21
	v_cndmask_b32_e64 v18, v18, v22, s[4:5]
	v_cndmask_b32_e64 v19, v22, v19, s[4:5]
	v_cmp_lt_u32_e64 s[10:11], v18, v66
	v_cmp_ge_u32_e64 s[6:7], v19, v67
	s_waitcnt lgkmcnt(0)
	v_cndmask_b32_e64 v48, v21, v25, s[4:5]
	v_cndmask_b32_e64 v49, v3, v21, s[4:5]
	v_cmp_nlt_f16_e64 s[14:15], v48, v49
	s_and_b64 s[10:11], s[10:11], s[14:15]
	s_or_b64 s[6:7], s[6:7], s[10:11]
	v_cndmask_b32_e64 v21, v19, v18, s[6:7]
	v_cndmask_b32_e64 v22, v67, v66, s[6:7]
	v_add_u32_e32 v23, 1, v21
	v_add_u32_e32 v22, -1, v22
	v_min_u32_e32 v22, v23, v22
	v_lshl_add_u32 v22, v22, 1, v52
	ds_read_u16 v22, v22
	v_lshl_add_u32 v2, v2, 2, v50
	v_cndmask_b32_e32 v0, v1, v0, vcc
	v_cndmask_b32_e64 v1, v48, v49, s[6:7]
	s_waitcnt lgkmcnt(0)
	v_cndmask_b32_e64 v51, v22, v48, s[6:7]
	v_cndmask_b32_e64 v68, v49, v22, s[6:7]
	;; [unrolled: 1-line block ×4, first 2 shown]
	v_cmp_lt_u32_e64 s[14:15], v23, v66
	v_cmp_nlt_f16_e64 s[16:17], v51, v68
	v_cmp_ge_u32_e64 s[10:11], v22, v67
	s_and_b64 s[14:15], s[14:15], s[16:17]
	s_or_b64 s[10:11], s[10:11], s[14:15]
	v_cndmask_b32_e64 v24, v22, v23, s[10:11]
	v_cndmask_b32_e64 v18, v67, v66, s[10:11]
	v_add_u32_e32 v37, 1, v24
	v_add_u32_e32 v18, -1, v18
	v_min_u32_e32 v18, v37, v18
	v_lshl_add_u32 v18, v18, 1, v52
	ds_read_u16 v69, v18
	ds_read_b32 v18, v2 offset:4096
	v_lshl_add_u32 v2, v20, 2, v50
	ds_read_b32 v19, v2 offset:4096
	v_cndmask_b32_e64 v23, v23, v37, s[10:11]
	s_waitcnt lgkmcnt(2)
	v_cndmask_b32_e64 v2, v69, v51, s[10:11]
	v_cndmask_b32_e64 v69, v68, v69, s[10:11]
	;; [unrolled: 1-line block ×3, first 2 shown]
	v_cmp_lt_u32_e64 s[16:17], v23, v66
	v_cmp_nlt_f16_e64 s[18:19], v2, v69
	v_cmp_ge_u32_e64 s[14:15], v22, v67
	s_and_b64 s[16:17], s[16:17], s[18:19]
	s_or_b64 s[14:15], s[14:15], s[16:17]
	v_cndmask_b32_e64 v37, v22, v23, s[14:15]
	v_cndmask_b32_e64 v20, v67, v66, s[14:15]
	v_add_u32_e32 v70, 1, v37
	v_add_u32_e32 v20, -1, v20
	v_min_u32_e32 v20, v70, v20
	v_lshl_add_u32 v20, v20, 1, v52
	ds_read_u16 v71, v20
	v_lshl_add_u32 v20, v21, 2, v50
	v_lshl_add_u32 v21, v24, 2, v50
	v_cndmask_b32_e64 v24, v70, v22, s[14:15]
	v_cndmask_b32_e64 v70, v23, v70, s[14:15]
	s_waitcnt lgkmcnt(0)
	v_cndmask_b32_e64 v80, v71, v2, s[14:15]
	v_cndmask_b32_e64 v71, v69, v71, s[14:15]
	v_cmp_lt_u32_e64 s[18:19], v70, v66
	v_cmp_nlt_f16_e64 s[20:21], v80, v71
	v_cmp_ge_u32_e64 s[16:17], v24, v67
	s_and_b64 s[18:19], s[18:19], s[20:21]
	s_or_b64 s[16:17], s[16:17], s[18:19]
	v_cndmask_b32_e64 v23, v24, v70, s[16:17]
	v_cndmask_b32_e64 v22, v67, v66, s[16:17]
	v_add_u32_e32 v81, 1, v23
	v_add_u32_e32 v22, -1, v22
	v_min_u32_e32 v22, v81, v22
	v_lshl_add_u32 v22, v22, 1, v52
	ds_read_b32 v20, v20 offset:4096
	ds_read_b32 v21, v21 offset:4096
	ds_read_u16 v82, v22
	v_lshl_add_u32 v23, v23, 2, v50
	ds_read_b32 v23, v23 offset:4096
	v_cndmask_b32_e64 v70, v70, v81, s[16:17]
	v_cndmask_b32_e64 v84, v81, v24, s[16:17]
	s_waitcnt lgkmcnt(1)
	v_cndmask_b32_e64 v83, v82, v80, s[16:17]
	v_cndmask_b32_e64 v82, v71, v82, s[16:17]
	v_cmp_lt_u32_e64 s[20:21], v70, v66
	v_cmp_nlt_f16_e64 s[22:23], v83, v82
	v_cmp_ge_u32_e64 s[18:19], v84, v67
	s_and_b64 s[20:21], s[20:21], s[22:23]
	s_or_b64 s[18:19], s[18:19], s[20:21]
	v_lshl_add_u32 v22, v37, 2, v50
	v_cndmask_b32_e64 v24, v84, v70, s[18:19]
	v_cndmask_b32_e64 v37, v67, v66, s[18:19]
	v_lshl_add_u32 v81, v24, 2, v50
	v_add_u32_e32 v85, 1, v24
	v_add_u32_e32 v24, -1, v37
	v_min_u32_e32 v24, v85, v24
	ds_read_b32 v22, v22 offset:4096
	v_lshl_add_u32 v37, v24, 1, v52
	ds_read_b32 v24, v81 offset:4096
	ds_read_u16 v81, v37
	v_cndmask_b32_e64 v37, v25, v3, s[4:5]
	v_cndmask_b32_e64 v48, v51, v68, s[10:11]
	;; [unrolled: 1-line block ×4, first 2 shown]
	s_waitcnt lgkmcnt(0)
	v_cndmask_b32_e64 v51, v81, v83, s[18:19]
	v_cndmask_b32_e64 v68, v82, v81, s[18:19]
	v_cmp_lt_u32_e64 s[4:5], v25, v66
	v_cmp_nlt_f16_e64 s[6:7], v51, v68
	v_cmp_ge_u32_e32 vcc, v3, v67
	s_and_b64 s[4:5], s[4:5], s[6:7]
	s_or_b64 vcc, vcc, s[4:5]
	v_cndmask_b32_e32 v3, v3, v25, vcc
	v_lshl_add_u32 v3, v3, 2, v50
	ds_read_b32 v25, v3 offset:4096
	v_cndmask_b32_e64 v2, v2, v69, s[14:15]
	v_cndmask_b32_e64 v49, v80, v71, s[16:17]
	;; [unrolled: 1-line block ×3, first 2 shown]
	v_cndmask_b32_e32 v51, v51, v68, vcc
.LBB2118_39:
	s_or_b64 exec, exec, s[26:27]
	s_mov_b32 s4, 0x5040100
	v_perm_b32 v69, v51, v3, s4
	v_perm_b32 v68, v49, v2, s4
	;; [unrolled: 1-line block ×4, first 2 shown]
	; wave barrier
	ds_write_b128 v64, v[18:21] offset:4096
	ds_write_b128 v55, v[66:69]
	s_waitcnt lgkmcnt(2)
	ds_write_b128 v65, v[22:25] offset:16
	v_and_b32_e32 v65, 0x380, v54
	v_or_b32_e32 v55, 64, v65
	v_min_u32_e32 v55, v53, v55
	v_add_u32_e32 v64, 64, v55
	v_min_u32_e32 v64, v53, v64
	v_and_b32_e32 v54, 0x78, v54
	v_min_u32_e32 v66, v53, v54
	v_sub_u32_e32 v67, v55, v65
	v_sub_u32_e32 v54, v64, v55
	v_sub_u32_e64 v54, v66, v54 clamp
	v_min_u32_e32 v67, v66, v67
	v_lshl_add_u32 v53, v65, 1, v52
	v_cmp_lt_u32_e32 vcc, v54, v67
	; wave barrier
	s_and_saveexec_b64 s[4:5], vcc
	s_cbranch_execz .LBB2118_43
; %bb.40:
	v_lshlrev_b32_e32 v68, 1, v55
	v_lshlrev_b32_e32 v69, 1, v66
	v_add3_u32 v68, v52, v68, v69
	s_mov_b64 s[6:7], 0
.LBB2118_41:                            ; =>This Inner Loop Header: Depth=1
	v_add_u32_e32 v69, v67, v54
	v_lshrrev_b32_e32 v70, 1, v69
	v_and_b32_e32 v69, -2, v69
	v_not_b32_e32 v71, v70
	v_add_u32_e32 v69, v53, v69
	v_lshl_add_u32 v71, v71, 1, v68
	ds_read_u16 v69, v69
	ds_read_u16 v71, v71
	v_add_u32_e32 v80, 1, v70
	s_waitcnt lgkmcnt(0)
	v_cmp_lt_f16_e32 vcc, v71, v69
	v_cndmask_b32_e32 v67, v67, v70, vcc
	v_cndmask_b32_e32 v54, v80, v54, vcc
	v_cmp_ge_u32_e32 vcc, v54, v67
	s_or_b64 s[6:7], vcc, s[6:7]
	s_andn2_b64 exec, exec, s[6:7]
	s_cbranch_execnz .LBB2118_41
; %bb.42:
	s_or_b64 exec, exec, s[6:7]
.LBB2118_43:
	s_or_b64 exec, exec, s[4:5]
	v_add_u32_e32 v66, v55, v66
	v_add_u32_e32 v65, v54, v65
	v_sub_u32_e32 v66, v66, v54
	v_cmp_le_u32_e32 vcc, v65, v55
	v_cmp_le_u32_e64 s[4:5], v66, v64
	s_or_b64 s[4:5], vcc, s[4:5]
	s_and_saveexec_b64 s[26:27], s[4:5]
	s_cbranch_execz .LBB2118_49
; %bb.44:
	v_cmp_lt_u32_e32 vcc, v65, v55
                                        ; implicit-def: $vgpr0
	s_and_saveexec_b64 s[4:5], vcc
	s_cbranch_execz .LBB2118_46
; %bb.45:
	v_lshl_add_u32 v0, v54, 1, v53
	ds_read_u16 v0, v0
.LBB2118_46:
	s_or_b64 exec, exec, s[4:5]
	v_cmp_ge_u32_e64 s[4:5], v66, v64
	v_cmp_lt_u32_e64 s[6:7], v66, v64
                                        ; implicit-def: $vgpr1
	s_and_saveexec_b64 s[10:11], s[6:7]
	s_cbranch_execz .LBB2118_48
; %bb.47:
	v_lshl_add_u32 v1, v66, 1, v52
	ds_read_u16 v1, v1
.LBB2118_48:
	s_or_b64 exec, exec, s[10:11]
	s_waitcnt lgkmcnt(0)
	v_cmp_nlt_f16_e64 s[6:7], v1, v0
	s_and_b64 s[6:7], vcc, s[6:7]
	s_or_b64 vcc, s[4:5], s[6:7]
	v_cndmask_b32_e32 v2, v66, v65, vcc
	v_cndmask_b32_e32 v3, v64, v55, vcc
	v_add_u32_e32 v18, 1, v2
	v_add_u32_e32 v3, -1, v3
	v_min_u32_e32 v3, v18, v3
	v_lshl_add_u32 v3, v3, 1, v52
	ds_read_u16 v3, v3
	v_cndmask_b32_e32 v19, v18, v66, vcc
	v_cndmask_b32_e32 v18, v65, v18, vcc
	v_cmp_lt_u32_e64 s[6:7], v18, v55
	v_cmp_ge_u32_e64 s[4:5], v19, v64
	s_waitcnt lgkmcnt(0)
	v_cndmask_b32_e32 v25, v3, v1, vcc
	v_cndmask_b32_e32 v3, v0, v3, vcc
	v_cmp_nlt_f16_e64 s[10:11], v25, v3
	s_and_b64 s[6:7], s[6:7], s[10:11]
	s_or_b64 s[4:5], s[4:5], s[6:7]
	v_cndmask_b32_e64 v20, v19, v18, s[4:5]
	v_cndmask_b32_e64 v21, v64, v55, s[4:5]
	v_add_u32_e32 v22, 1, v20
	v_add_u32_e32 v21, -1, v21
	v_min_u32_e32 v21, v22, v21
	v_lshl_add_u32 v21, v21, 1, v52
	ds_read_u16 v21, v21
	v_cndmask_b32_e64 v18, v18, v22, s[4:5]
	v_cndmask_b32_e64 v19, v22, v19, s[4:5]
	v_cmp_lt_u32_e64 s[10:11], v18, v55
	v_cmp_ge_u32_e64 s[6:7], v19, v64
	s_waitcnt lgkmcnt(0)
	v_cndmask_b32_e64 v48, v21, v25, s[4:5]
	v_cndmask_b32_e64 v49, v3, v21, s[4:5]
	v_cmp_nlt_f16_e64 s[14:15], v48, v49
	s_and_b64 s[10:11], s[10:11], s[14:15]
	s_or_b64 s[6:7], s[6:7], s[10:11]
	v_cndmask_b32_e64 v21, v19, v18, s[6:7]
	v_cndmask_b32_e64 v22, v64, v55, s[6:7]
	v_add_u32_e32 v23, 1, v21
	v_add_u32_e32 v22, -1, v22
	v_min_u32_e32 v22, v23, v22
	v_lshl_add_u32 v22, v22, 1, v52
	ds_read_u16 v22, v22
	v_lshl_add_u32 v2, v2, 2, v50
	v_cndmask_b32_e32 v0, v1, v0, vcc
	v_cndmask_b32_e64 v1, v48, v49, s[6:7]
	s_waitcnt lgkmcnt(0)
	v_cndmask_b32_e64 v51, v22, v48, s[6:7]
	v_cndmask_b32_e64 v53, v49, v22, s[6:7]
	;; [unrolled: 1-line block ×4, first 2 shown]
	v_cmp_lt_u32_e64 s[14:15], v23, v55
	v_cmp_nlt_f16_e64 s[16:17], v51, v53
	v_cmp_ge_u32_e64 s[10:11], v22, v64
	s_and_b64 s[14:15], s[14:15], s[16:17]
	s_or_b64 s[10:11], s[10:11], s[14:15]
	v_cndmask_b32_e64 v24, v22, v23, s[10:11]
	v_cndmask_b32_e64 v18, v64, v55, s[10:11]
	v_add_u32_e32 v37, 1, v24
	v_add_u32_e32 v18, -1, v18
	v_min_u32_e32 v18, v37, v18
	v_lshl_add_u32 v18, v18, 1, v52
	ds_read_u16 v54, v18
	ds_read_b32 v18, v2 offset:4096
	v_lshl_add_u32 v2, v20, 2, v50
	ds_read_b32 v19, v2 offset:4096
	v_cndmask_b32_e64 v23, v23, v37, s[10:11]
	s_waitcnt lgkmcnt(2)
	v_cndmask_b32_e64 v2, v54, v51, s[10:11]
	v_cndmask_b32_e64 v54, v53, v54, s[10:11]
	;; [unrolled: 1-line block ×3, first 2 shown]
	v_cmp_lt_u32_e64 s[16:17], v23, v55
	v_cmp_nlt_f16_e64 s[18:19], v2, v54
	v_cmp_ge_u32_e64 s[14:15], v22, v64
	s_and_b64 s[16:17], s[16:17], s[18:19]
	s_or_b64 s[14:15], s[14:15], s[16:17]
	v_cndmask_b32_e64 v37, v22, v23, s[14:15]
	v_cndmask_b32_e64 v20, v64, v55, s[14:15]
	v_add_u32_e32 v65, 1, v37
	v_add_u32_e32 v20, -1, v20
	v_min_u32_e32 v20, v65, v20
	v_lshl_add_u32 v20, v20, 1, v52
	ds_read_u16 v66, v20
	v_lshl_add_u32 v20, v21, 2, v50
	v_lshl_add_u32 v21, v24, 2, v50
	v_cndmask_b32_e64 v24, v65, v22, s[14:15]
	v_cndmask_b32_e64 v65, v23, v65, s[14:15]
	s_waitcnt lgkmcnt(0)
	v_cndmask_b32_e64 v67, v66, v2, s[14:15]
	v_cndmask_b32_e64 v66, v54, v66, s[14:15]
	v_cmp_lt_u32_e64 s[18:19], v65, v55
	v_cmp_nlt_f16_e64 s[20:21], v67, v66
	v_cmp_ge_u32_e64 s[16:17], v24, v64
	s_and_b64 s[18:19], s[18:19], s[20:21]
	s_or_b64 s[16:17], s[16:17], s[18:19]
	v_cndmask_b32_e64 v23, v24, v65, s[16:17]
	v_cndmask_b32_e64 v22, v64, v55, s[16:17]
	v_add_u32_e32 v68, 1, v23
	v_add_u32_e32 v22, -1, v22
	v_min_u32_e32 v22, v68, v22
	v_lshl_add_u32 v22, v22, 1, v52
	ds_read_b32 v20, v20 offset:4096
	ds_read_b32 v21, v21 offset:4096
	ds_read_u16 v69, v22
	v_lshl_add_u32 v23, v23, 2, v50
	ds_read_b32 v23, v23 offset:4096
	v_cndmask_b32_e64 v65, v65, v68, s[16:17]
	v_cndmask_b32_e64 v71, v68, v24, s[16:17]
	s_waitcnt lgkmcnt(1)
	v_cndmask_b32_e64 v70, v69, v67, s[16:17]
	v_cndmask_b32_e64 v69, v66, v69, s[16:17]
	v_cmp_lt_u32_e64 s[20:21], v65, v55
	v_cmp_nlt_f16_e64 s[22:23], v70, v69
	v_cmp_ge_u32_e64 s[18:19], v71, v64
	s_and_b64 s[20:21], s[20:21], s[22:23]
	s_or_b64 s[18:19], s[18:19], s[20:21]
	v_lshl_add_u32 v22, v37, 2, v50
	v_cndmask_b32_e64 v24, v71, v65, s[18:19]
	v_cndmask_b32_e64 v37, v64, v55, s[18:19]
	v_lshl_add_u32 v68, v24, 2, v50
	v_add_u32_e32 v80, 1, v24
	v_add_u32_e32 v24, -1, v37
	v_min_u32_e32 v24, v80, v24
	ds_read_b32 v22, v22 offset:4096
	v_lshl_add_u32 v37, v24, 1, v52
	ds_read_b32 v24, v68 offset:4096
	ds_read_u16 v52, v37
	v_cndmask_b32_e64 v37, v25, v3, s[4:5]
	v_cndmask_b32_e64 v48, v51, v53, s[10:11]
	;; [unrolled: 1-line block ×4, first 2 shown]
	s_waitcnt lgkmcnt(0)
	v_cndmask_b32_e64 v51, v52, v70, s[18:19]
	v_cndmask_b32_e64 v52, v69, v52, s[18:19]
	v_cmp_lt_u32_e64 s[4:5], v25, v55
	v_cmp_nlt_f16_e64 s[6:7], v51, v52
	v_cmp_ge_u32_e32 vcc, v3, v64
	s_and_b64 s[4:5], s[4:5], s[6:7]
	s_or_b64 vcc, vcc, s[4:5]
	v_cndmask_b32_e32 v3, v3, v25, vcc
	v_lshl_add_u32 v3, v3, 2, v50
	ds_read_b32 v25, v3 offset:4096
	v_cndmask_b32_e64 v2, v2, v54, s[14:15]
	v_cndmask_b32_e64 v49, v67, v66, s[16:17]
	;; [unrolled: 1-line block ×3, first 2 shown]
	v_cndmask_b32_e32 v51, v51, v52, vcc
.LBB2118_49:
	s_or_b64 exec, exec, s[26:27]
	v_lshlrev_b32_e32 v52, 1, v38
	v_lshlrev_b32_e32 v50, 4, v34
	s_mov_b32 s4, 0x5040100
	v_add_u32_e32 v53, v52, v50
	v_perm_b32 v67, v51, v3, s4
	v_perm_b32 v66, v49, v2, s4
	;; [unrolled: 1-line block ×4, first 2 shown]
	; wave barrier
	s_waitcnt lgkmcnt(0)
	s_barrier
	v_lshlrev_b32_e32 v54, 2, v38
	ds_write_b128 v53, v[18:21] offset:4096
	ds_write_b128 v52, v[64:67]
	ds_write_b128 v54, v[22:25] offset:4112
	v_and_b32_e32 v67, 0x1f00, v38
	v_or_b32_e32 v64, 0x80, v67
	v_min_u32_e32 v55, 0x800, v64
	v_min_u32_e32 v64, 0x780, v64
	v_add_u32_e32 v64, 0x80, v64
	v_and_b32_e32 v68, 0xf8, v38
	v_sub_u32_e32 v69, v55, v67
	v_sub_u32_e32 v66, v64, v55
	v_sub_u32_e64 v66, v68, v66 clamp
	v_min_u32_e32 v69, v68, v69
	v_lshlrev_b32_e32 v65, 1, v67
	v_cmp_lt_u32_e32 vcc, v66, v69
	s_waitcnt lgkmcnt(0)
	s_barrier
	s_and_saveexec_b64 s[4:5], vcc
	s_cbranch_execz .LBB2118_53
; %bb.50:
	v_lshlrev_b32_e32 v70, 1, v68
	v_lshl_add_u32 v70, v55, 1, v70
	s_mov_b64 s[6:7], 0
.LBB2118_51:                            ; =>This Inner Loop Header: Depth=1
	v_add_u32_e32 v71, v69, v66
	v_lshrrev_b32_e32 v80, 1, v71
	v_and_b32_e32 v71, -2, v71
	v_not_b32_e32 v81, v80
	v_add_u32_e32 v71, v65, v71
	v_lshl_add_u32 v81, v81, 1, v70
	ds_read_u16 v71, v71
	ds_read_u16 v81, v81
	v_add_u32_e32 v82, 1, v80
	s_waitcnt lgkmcnt(0)
	v_cmp_lt_f16_e32 vcc, v81, v71
	v_cndmask_b32_e32 v69, v69, v80, vcc
	v_cndmask_b32_e32 v66, v82, v66, vcc
	v_cmp_ge_u32_e32 vcc, v66, v69
	s_or_b64 s[6:7], vcc, s[6:7]
	s_andn2_b64 exec, exec, s[6:7]
	s_cbranch_execnz .LBB2118_51
; %bb.52:
	s_or_b64 exec, exec, s[6:7]
.LBB2118_53:
	s_or_b64 exec, exec, s[4:5]
	v_sub_u32_e32 v68, v68, v66
	v_add_u32_e32 v67, v66, v67
	v_add_u32_e32 v68, v68, v55
	v_cmp_le_u32_e32 vcc, v67, v55
	v_cmp_le_u32_e64 s[4:5], v68, v64
	v_add_u32_e32 v54, 0x1000, v54
	s_or_b64 s[4:5], vcc, s[4:5]
	s_and_saveexec_b64 s[26:27], s[4:5]
	s_cbranch_execz .LBB2118_59
; %bb.54:
	v_cmp_lt_u32_e32 vcc, v67, v55
                                        ; implicit-def: $vgpr0
	s_and_saveexec_b64 s[4:5], vcc
	s_cbranch_execz .LBB2118_56
; %bb.55:
	v_lshl_add_u32 v0, v66, 1, v65
	ds_read_u16 v0, v0
.LBB2118_56:
	s_or_b64 exec, exec, s[4:5]
	v_cmp_ge_u32_e64 s[4:5], v68, v64
	v_cmp_lt_u32_e64 s[6:7], v68, v64
                                        ; implicit-def: $vgpr1
	s_and_saveexec_b64 s[10:11], s[6:7]
	s_cbranch_execz .LBB2118_58
; %bb.57:
	v_lshlrev_b32_e32 v1, 1, v68
	ds_read_u16 v1, v1
.LBB2118_58:
	s_or_b64 exec, exec, s[10:11]
	s_waitcnt lgkmcnt(0)
	v_cmp_nlt_f16_e64 s[6:7], v1, v0
	s_and_b64 s[6:7], vcc, s[6:7]
	s_or_b64 vcc, s[4:5], s[6:7]
	v_cndmask_b32_e32 v2, v68, v67, vcc
	v_cndmask_b32_e32 v3, v64, v55, vcc
	v_add_u32_e32 v18, 1, v2
	v_add_u32_e32 v3, -1, v3
	v_min_u32_e32 v3, v18, v3
	v_lshlrev_b32_e32 v3, 1, v3
	ds_read_u16 v3, v3
	v_cndmask_b32_e32 v19, v18, v68, vcc
	v_cndmask_b32_e32 v18, v67, v18, vcc
	v_cmp_lt_u32_e64 s[6:7], v18, v55
	v_cmp_ge_u32_e64 s[4:5], v19, v64
	s_waitcnt lgkmcnt(0)
	v_cndmask_b32_e32 v25, v3, v1, vcc
	v_cndmask_b32_e32 v3, v0, v3, vcc
	v_cmp_nlt_f16_e64 s[10:11], v25, v3
	s_and_b64 s[6:7], s[6:7], s[10:11]
	s_or_b64 s[4:5], s[4:5], s[6:7]
	v_cndmask_b32_e64 v20, v19, v18, s[4:5]
	v_cndmask_b32_e64 v21, v64, v55, s[4:5]
	v_add_u32_e32 v22, 1, v20
	v_add_u32_e32 v21, -1, v21
	v_min_u32_e32 v21, v22, v21
	v_lshlrev_b32_e32 v21, 1, v21
	ds_read_u16 v21, v21
	v_cndmask_b32_e64 v18, v18, v22, s[4:5]
	v_cndmask_b32_e64 v19, v22, v19, s[4:5]
	v_cmp_lt_u32_e64 s[10:11], v18, v55
	v_cmp_ge_u32_e64 s[6:7], v19, v64
	s_waitcnt lgkmcnt(0)
	v_cndmask_b32_e64 v48, v21, v25, s[4:5]
	v_cndmask_b32_e64 v49, v3, v21, s[4:5]
	v_cmp_nlt_f16_e64 s[14:15], v48, v49
	s_and_b64 s[10:11], s[10:11], s[14:15]
	s_or_b64 s[6:7], s[6:7], s[10:11]
	v_cndmask_b32_e64 v21, v19, v18, s[6:7]
	v_cndmask_b32_e64 v22, v64, v55, s[6:7]
	v_add_u32_e32 v23, 1, v21
	v_add_u32_e32 v22, -1, v22
	v_min_u32_e32 v22, v23, v22
	v_lshlrev_b32_e32 v22, 1, v22
	ds_read_u16 v22, v22
	v_lshlrev_b32_e32 v2, 2, v2
	v_cndmask_b32_e32 v0, v1, v0, vcc
	v_cndmask_b32_e64 v1, v48, v49, s[6:7]
	s_waitcnt lgkmcnt(0)
	v_cndmask_b32_e64 v51, v22, v48, s[6:7]
	v_cndmask_b32_e64 v65, v49, v22, s[6:7]
	;; [unrolled: 1-line block ×4, first 2 shown]
	v_cmp_lt_u32_e64 s[14:15], v23, v55
	v_cmp_nlt_f16_e64 s[16:17], v51, v65
	v_cmp_ge_u32_e64 s[10:11], v22, v64
	s_and_b64 s[14:15], s[14:15], s[16:17]
	s_or_b64 s[10:11], s[10:11], s[14:15]
	v_cndmask_b32_e64 v24, v22, v23, s[10:11]
	v_cndmask_b32_e64 v18, v64, v55, s[10:11]
	v_add_u32_e32 v37, 1, v24
	v_add_u32_e32 v18, -1, v18
	v_min_u32_e32 v18, v37, v18
	v_lshlrev_b32_e32 v18, 1, v18
	ds_read_u16 v66, v18
	ds_read_b32 v18, v2 offset:4096
	v_lshlrev_b32_e32 v2, 2, v20
	ds_read_b32 v19, v2 offset:4096
	v_cndmask_b32_e64 v23, v23, v37, s[10:11]
	s_waitcnt lgkmcnt(2)
	v_cndmask_b32_e64 v2, v66, v51, s[10:11]
	v_cndmask_b32_e64 v66, v65, v66, s[10:11]
	;; [unrolled: 1-line block ×3, first 2 shown]
	v_cmp_lt_u32_e64 s[16:17], v23, v55
	v_cmp_nlt_f16_e64 s[18:19], v2, v66
	v_cmp_ge_u32_e64 s[14:15], v22, v64
	s_and_b64 s[16:17], s[16:17], s[18:19]
	s_or_b64 s[14:15], s[14:15], s[16:17]
	v_cndmask_b32_e64 v37, v22, v23, s[14:15]
	v_cndmask_b32_e64 v20, v64, v55, s[14:15]
	v_add_u32_e32 v67, 1, v37
	v_add_u32_e32 v20, -1, v20
	v_min_u32_e32 v20, v67, v20
	v_lshlrev_b32_e32 v20, 1, v20
	ds_read_u16 v68, v20
	v_lshlrev_b32_e32 v20, 2, v21
	v_lshlrev_b32_e32 v21, 2, v24
	v_cndmask_b32_e64 v24, v67, v22, s[14:15]
	v_cndmask_b32_e64 v67, v23, v67, s[14:15]
	s_waitcnt lgkmcnt(0)
	v_cndmask_b32_e64 v69, v68, v2, s[14:15]
	v_cndmask_b32_e64 v68, v66, v68, s[14:15]
	v_cmp_lt_u32_e64 s[18:19], v67, v55
	v_cmp_nlt_f16_e64 s[20:21], v69, v68
	v_cmp_ge_u32_e64 s[16:17], v24, v64
	s_and_b64 s[18:19], s[18:19], s[20:21]
	s_or_b64 s[16:17], s[16:17], s[18:19]
	v_cndmask_b32_e64 v23, v24, v67, s[16:17]
	v_cndmask_b32_e64 v22, v64, v55, s[16:17]
	v_add_u32_e32 v70, 1, v23
	v_add_u32_e32 v22, -1, v22
	v_min_u32_e32 v22, v70, v22
	v_lshlrev_b32_e32 v22, 1, v22
	ds_read_b32 v20, v20 offset:4096
	ds_read_b32 v21, v21 offset:4096
	ds_read_u16 v71, v22
	v_lshlrev_b32_e32 v23, 2, v23
	ds_read_b32 v23, v23 offset:4096
	v_cndmask_b32_e64 v67, v67, v70, s[16:17]
	v_cndmask_b32_e64 v81, v70, v24, s[16:17]
	s_waitcnt lgkmcnt(1)
	v_cndmask_b32_e64 v80, v71, v69, s[16:17]
	v_cndmask_b32_e64 v71, v68, v71, s[16:17]
	v_cmp_lt_u32_e64 s[20:21], v67, v55
	v_cmp_nlt_f16_e64 s[22:23], v80, v71
	v_cmp_ge_u32_e64 s[18:19], v81, v64
	s_and_b64 s[20:21], s[20:21], s[22:23]
	s_or_b64 s[18:19], s[18:19], s[20:21]
	v_lshlrev_b32_e32 v22, 2, v37
	v_cndmask_b32_e64 v24, v81, v67, s[18:19]
	v_cndmask_b32_e64 v37, v64, v55, s[18:19]
	v_lshlrev_b32_e32 v70, 2, v24
	v_add_u32_e32 v82, 1, v24
	v_add_u32_e32 v24, -1, v37
	v_min_u32_e32 v24, v82, v24
	ds_read_b32 v22, v22 offset:4096
	v_lshlrev_b32_e32 v37, 1, v24
	ds_read_b32 v24, v70 offset:4096
	ds_read_u16 v70, v37
	v_cndmask_b32_e64 v37, v25, v3, s[4:5]
	v_cndmask_b32_e64 v48, v51, v65, s[10:11]
	;; [unrolled: 1-line block ×4, first 2 shown]
	s_waitcnt lgkmcnt(0)
	v_cndmask_b32_e64 v51, v70, v80, s[18:19]
	v_cndmask_b32_e64 v65, v71, v70, s[18:19]
	v_cmp_lt_u32_e64 s[4:5], v25, v55
	v_cmp_nlt_f16_e64 s[6:7], v51, v65
	v_cmp_ge_u32_e32 vcc, v3, v64
	s_and_b64 s[4:5], s[4:5], s[6:7]
	s_or_b64 vcc, vcc, s[4:5]
	v_cndmask_b32_e32 v3, v3, v25, vcc
	v_lshlrev_b32_e32 v3, 2, v3
	ds_read_b32 v25, v3 offset:4096
	v_cndmask_b32_e64 v2, v2, v66, s[14:15]
	v_cndmask_b32_e64 v49, v69, v68, s[16:17]
	;; [unrolled: 1-line block ×3, first 2 shown]
	v_cndmask_b32_e32 v51, v51, v65, vcc
.LBB2118_59:
	s_or_b64 exec, exec, s[26:27]
	s_mov_b32 s4, 0x5040100
	v_perm_b32 v67, v51, v3, s4
	v_perm_b32 v66, v49, v2, s4
	;; [unrolled: 1-line block ×4, first 2 shown]
	s_waitcnt lgkmcnt(0)
	s_barrier
	ds_write_b128 v53, v[18:21] offset:4096
	ds_write_b128 v52, v[64:67]
	ds_write_b128 v54, v[22:25] offset:16
	v_and_b32_e32 v67, 0x1e00, v38
	v_or_b32_e32 v64, 0x100, v67
	v_min_u32_e32 v55, 0x800, v64
	v_min_u32_e32 v64, 0x700, v64
	v_add_u32_e32 v64, 0x100, v64
	v_and_b32_e32 v68, 0x1f8, v38
	v_sub_u32_e32 v69, v55, v67
	v_sub_u32_e32 v66, v64, v55
	v_sub_u32_e64 v66, v68, v66 clamp
	v_min_u32_e32 v69, v68, v69
	v_lshlrev_b32_e32 v65, 1, v67
	v_cmp_lt_u32_e32 vcc, v66, v69
	s_waitcnt lgkmcnt(0)
	s_barrier
	s_and_saveexec_b64 s[4:5], vcc
	s_cbranch_execz .LBB2118_63
; %bb.60:
	v_lshlrev_b32_e32 v70, 1, v68
	v_lshl_add_u32 v70, v55, 1, v70
	s_mov_b64 s[6:7], 0
.LBB2118_61:                            ; =>This Inner Loop Header: Depth=1
	v_add_u32_e32 v71, v69, v66
	v_lshrrev_b32_e32 v80, 1, v71
	v_and_b32_e32 v71, -2, v71
	v_not_b32_e32 v81, v80
	v_add_u32_e32 v71, v65, v71
	v_lshl_add_u32 v81, v81, 1, v70
	ds_read_u16 v71, v71
	ds_read_u16 v81, v81
	v_add_u32_e32 v82, 1, v80
	s_waitcnt lgkmcnt(0)
	v_cmp_lt_f16_e32 vcc, v81, v71
	v_cndmask_b32_e32 v69, v69, v80, vcc
	v_cndmask_b32_e32 v66, v82, v66, vcc
	v_cmp_ge_u32_e32 vcc, v66, v69
	s_or_b64 s[6:7], vcc, s[6:7]
	s_andn2_b64 exec, exec, s[6:7]
	s_cbranch_execnz .LBB2118_61
; %bb.62:
	s_or_b64 exec, exec, s[6:7]
.LBB2118_63:
	s_or_b64 exec, exec, s[4:5]
	v_sub_u32_e32 v68, v68, v66
	v_add_u32_e32 v67, v66, v67
	v_add_u32_e32 v68, v68, v55
	v_cmp_le_u32_e32 vcc, v67, v55
	v_cmp_le_u32_e64 s[4:5], v68, v64
	s_or_b64 s[4:5], vcc, s[4:5]
	s_and_saveexec_b64 s[26:27], s[4:5]
	s_cbranch_execz .LBB2118_69
; %bb.64:
	v_cmp_lt_u32_e32 vcc, v67, v55
                                        ; implicit-def: $vgpr0
	s_and_saveexec_b64 s[4:5], vcc
	s_cbranch_execz .LBB2118_66
; %bb.65:
	v_lshl_add_u32 v0, v66, 1, v65
	ds_read_u16 v0, v0
.LBB2118_66:
	s_or_b64 exec, exec, s[4:5]
	v_cmp_ge_u32_e64 s[4:5], v68, v64
	v_cmp_lt_u32_e64 s[6:7], v68, v64
                                        ; implicit-def: $vgpr1
	s_and_saveexec_b64 s[10:11], s[6:7]
	s_cbranch_execz .LBB2118_68
; %bb.67:
	v_lshlrev_b32_e32 v1, 1, v68
	ds_read_u16 v1, v1
.LBB2118_68:
	s_or_b64 exec, exec, s[10:11]
	s_waitcnt lgkmcnt(0)
	v_cmp_nlt_f16_e64 s[6:7], v1, v0
	s_and_b64 s[6:7], vcc, s[6:7]
	s_or_b64 vcc, s[4:5], s[6:7]
	v_cndmask_b32_e32 v2, v68, v67, vcc
	v_cndmask_b32_e32 v3, v64, v55, vcc
	v_add_u32_e32 v18, 1, v2
	v_add_u32_e32 v3, -1, v3
	v_min_u32_e32 v3, v18, v3
	v_lshlrev_b32_e32 v3, 1, v3
	ds_read_u16 v3, v3
	v_cndmask_b32_e32 v19, v18, v68, vcc
	v_cndmask_b32_e32 v18, v67, v18, vcc
	v_cmp_lt_u32_e64 s[6:7], v18, v55
	v_cmp_ge_u32_e64 s[4:5], v19, v64
	s_waitcnt lgkmcnt(0)
	v_cndmask_b32_e32 v25, v3, v1, vcc
	v_cndmask_b32_e32 v3, v0, v3, vcc
	v_cmp_nlt_f16_e64 s[10:11], v25, v3
	s_and_b64 s[6:7], s[6:7], s[10:11]
	s_or_b64 s[4:5], s[4:5], s[6:7]
	v_cndmask_b32_e64 v20, v19, v18, s[4:5]
	v_cndmask_b32_e64 v21, v64, v55, s[4:5]
	v_add_u32_e32 v22, 1, v20
	v_add_u32_e32 v21, -1, v21
	v_min_u32_e32 v21, v22, v21
	v_lshlrev_b32_e32 v21, 1, v21
	ds_read_u16 v21, v21
	v_cndmask_b32_e64 v18, v18, v22, s[4:5]
	v_cndmask_b32_e64 v19, v22, v19, s[4:5]
	v_cmp_lt_u32_e64 s[10:11], v18, v55
	v_cmp_ge_u32_e64 s[6:7], v19, v64
	s_waitcnt lgkmcnt(0)
	v_cndmask_b32_e64 v48, v21, v25, s[4:5]
	v_cndmask_b32_e64 v49, v3, v21, s[4:5]
	v_cmp_nlt_f16_e64 s[14:15], v48, v49
	s_and_b64 s[10:11], s[10:11], s[14:15]
	s_or_b64 s[6:7], s[6:7], s[10:11]
	v_cndmask_b32_e64 v21, v19, v18, s[6:7]
	v_cndmask_b32_e64 v22, v64, v55, s[6:7]
	v_add_u32_e32 v23, 1, v21
	v_add_u32_e32 v22, -1, v22
	v_min_u32_e32 v22, v23, v22
	v_lshlrev_b32_e32 v22, 1, v22
	ds_read_u16 v22, v22
	v_lshlrev_b32_e32 v2, 2, v2
	v_cndmask_b32_e32 v0, v1, v0, vcc
	v_cndmask_b32_e64 v1, v48, v49, s[6:7]
	s_waitcnt lgkmcnt(0)
	v_cndmask_b32_e64 v51, v22, v48, s[6:7]
	v_cndmask_b32_e64 v65, v49, v22, s[6:7]
	v_cndmask_b32_e64 v22, v23, v19, s[6:7]
	v_cndmask_b32_e64 v23, v18, v23, s[6:7]
	v_cmp_lt_u32_e64 s[14:15], v23, v55
	v_cmp_nlt_f16_e64 s[16:17], v51, v65
	v_cmp_ge_u32_e64 s[10:11], v22, v64
	s_and_b64 s[14:15], s[14:15], s[16:17]
	s_or_b64 s[10:11], s[10:11], s[14:15]
	v_cndmask_b32_e64 v24, v22, v23, s[10:11]
	v_cndmask_b32_e64 v18, v64, v55, s[10:11]
	v_add_u32_e32 v37, 1, v24
	v_add_u32_e32 v18, -1, v18
	v_min_u32_e32 v18, v37, v18
	v_lshlrev_b32_e32 v18, 1, v18
	ds_read_u16 v66, v18
	ds_read_b32 v18, v2 offset:4096
	v_lshlrev_b32_e32 v2, 2, v20
	ds_read_b32 v19, v2 offset:4096
	v_cndmask_b32_e64 v23, v23, v37, s[10:11]
	s_waitcnt lgkmcnt(2)
	v_cndmask_b32_e64 v2, v66, v51, s[10:11]
	v_cndmask_b32_e64 v66, v65, v66, s[10:11]
	;; [unrolled: 1-line block ×3, first 2 shown]
	v_cmp_lt_u32_e64 s[16:17], v23, v55
	v_cmp_nlt_f16_e64 s[18:19], v2, v66
	v_cmp_ge_u32_e64 s[14:15], v22, v64
	s_and_b64 s[16:17], s[16:17], s[18:19]
	s_or_b64 s[14:15], s[14:15], s[16:17]
	v_cndmask_b32_e64 v37, v22, v23, s[14:15]
	v_cndmask_b32_e64 v20, v64, v55, s[14:15]
	v_add_u32_e32 v67, 1, v37
	v_add_u32_e32 v20, -1, v20
	v_min_u32_e32 v20, v67, v20
	v_lshlrev_b32_e32 v20, 1, v20
	ds_read_u16 v68, v20
	v_lshlrev_b32_e32 v20, 2, v21
	v_lshlrev_b32_e32 v21, 2, v24
	v_cndmask_b32_e64 v24, v67, v22, s[14:15]
	v_cndmask_b32_e64 v67, v23, v67, s[14:15]
	s_waitcnt lgkmcnt(0)
	v_cndmask_b32_e64 v69, v68, v2, s[14:15]
	v_cndmask_b32_e64 v68, v66, v68, s[14:15]
	v_cmp_lt_u32_e64 s[18:19], v67, v55
	v_cmp_nlt_f16_e64 s[20:21], v69, v68
	v_cmp_ge_u32_e64 s[16:17], v24, v64
	s_and_b64 s[18:19], s[18:19], s[20:21]
	s_or_b64 s[16:17], s[16:17], s[18:19]
	v_cndmask_b32_e64 v23, v24, v67, s[16:17]
	v_cndmask_b32_e64 v22, v64, v55, s[16:17]
	v_add_u32_e32 v70, 1, v23
	v_add_u32_e32 v22, -1, v22
	v_min_u32_e32 v22, v70, v22
	v_lshlrev_b32_e32 v22, 1, v22
	ds_read_b32 v20, v20 offset:4096
	ds_read_b32 v21, v21 offset:4096
	ds_read_u16 v71, v22
	v_lshlrev_b32_e32 v23, 2, v23
	ds_read_b32 v23, v23 offset:4096
	v_cndmask_b32_e64 v67, v67, v70, s[16:17]
	v_cndmask_b32_e64 v81, v70, v24, s[16:17]
	s_waitcnt lgkmcnt(1)
	v_cndmask_b32_e64 v80, v71, v69, s[16:17]
	v_cndmask_b32_e64 v71, v68, v71, s[16:17]
	v_cmp_lt_u32_e64 s[20:21], v67, v55
	v_cmp_nlt_f16_e64 s[22:23], v80, v71
	v_cmp_ge_u32_e64 s[18:19], v81, v64
	s_and_b64 s[20:21], s[20:21], s[22:23]
	s_or_b64 s[18:19], s[18:19], s[20:21]
	v_lshlrev_b32_e32 v22, 2, v37
	v_cndmask_b32_e64 v24, v81, v67, s[18:19]
	v_cndmask_b32_e64 v37, v64, v55, s[18:19]
	v_lshlrev_b32_e32 v70, 2, v24
	v_add_u32_e32 v82, 1, v24
	v_add_u32_e32 v24, -1, v37
	v_min_u32_e32 v24, v82, v24
	ds_read_b32 v22, v22 offset:4096
	v_lshlrev_b32_e32 v37, 1, v24
	ds_read_b32 v24, v70 offset:4096
	ds_read_u16 v70, v37
	v_cndmask_b32_e64 v37, v25, v3, s[4:5]
	v_cndmask_b32_e64 v48, v51, v65, s[10:11]
	;; [unrolled: 1-line block ×4, first 2 shown]
	s_waitcnt lgkmcnt(0)
	v_cndmask_b32_e64 v51, v70, v80, s[18:19]
	v_cndmask_b32_e64 v65, v71, v70, s[18:19]
	v_cmp_lt_u32_e64 s[4:5], v25, v55
	v_cmp_nlt_f16_e64 s[6:7], v51, v65
	v_cmp_ge_u32_e32 vcc, v3, v64
	s_and_b64 s[4:5], s[4:5], s[6:7]
	s_or_b64 vcc, vcc, s[4:5]
	v_cndmask_b32_e32 v3, v3, v25, vcc
	v_lshlrev_b32_e32 v3, 2, v3
	ds_read_b32 v25, v3 offset:4096
	v_cndmask_b32_e64 v2, v2, v66, s[14:15]
	v_cndmask_b32_e64 v49, v69, v68, s[16:17]
	;; [unrolled: 1-line block ×3, first 2 shown]
	v_cndmask_b32_e32 v51, v51, v65, vcc
.LBB2118_69:
	s_or_b64 exec, exec, s[26:27]
	s_mov_b32 s4, 0x5040100
	v_perm_b32 v67, v51, v3, s4
	v_perm_b32 v66, v49, v2, s4
	;; [unrolled: 1-line block ×4, first 2 shown]
	s_waitcnt lgkmcnt(0)
	s_barrier
	ds_write_b128 v53, v[18:21] offset:4096
	ds_write_b128 v52, v[64:67]
	ds_write_b128 v54, v[22:25] offset:16
	v_and_b32_e32 v67, 0x1c00, v38
	v_or_b32_e32 v64, 0x200, v67
	v_min_u32_e32 v55, 0x800, v64
	v_min_u32_e32 v64, 0x600, v64
	v_add_u32_e32 v64, 0x200, v64
	v_and_b32_e32 v68, 0x3f8, v38
	v_sub_u32_e32 v69, v55, v67
	v_sub_u32_e32 v66, v64, v55
	v_sub_u32_e64 v66, v68, v66 clamp
	v_min_u32_e32 v69, v68, v69
	v_lshlrev_b32_e32 v65, 1, v67
	v_cmp_lt_u32_e32 vcc, v66, v69
	s_waitcnt lgkmcnt(0)
	s_barrier
	s_and_saveexec_b64 s[4:5], vcc
	s_cbranch_execz .LBB2118_73
; %bb.70:
	v_lshlrev_b32_e32 v70, 1, v68
	v_lshl_add_u32 v70, v55, 1, v70
	s_mov_b64 s[6:7], 0
.LBB2118_71:                            ; =>This Inner Loop Header: Depth=1
	v_add_u32_e32 v71, v69, v66
	v_lshrrev_b32_e32 v80, 1, v71
	v_and_b32_e32 v71, -2, v71
	v_not_b32_e32 v81, v80
	v_add_u32_e32 v71, v65, v71
	v_lshl_add_u32 v81, v81, 1, v70
	ds_read_u16 v71, v71
	ds_read_u16 v81, v81
	v_add_u32_e32 v82, 1, v80
	s_waitcnt lgkmcnt(0)
	v_cmp_lt_f16_e32 vcc, v81, v71
	v_cndmask_b32_e32 v69, v69, v80, vcc
	v_cndmask_b32_e32 v66, v82, v66, vcc
	v_cmp_ge_u32_e32 vcc, v66, v69
	s_or_b64 s[6:7], vcc, s[6:7]
	s_andn2_b64 exec, exec, s[6:7]
	s_cbranch_execnz .LBB2118_71
; %bb.72:
	s_or_b64 exec, exec, s[6:7]
.LBB2118_73:
	s_or_b64 exec, exec, s[4:5]
	v_sub_u32_e32 v68, v68, v66
	v_add_u32_e32 v67, v66, v67
	v_add_u32_e32 v68, v68, v55
	v_cmp_le_u32_e32 vcc, v67, v55
	v_cmp_le_u32_e64 s[4:5], v68, v64
	s_or_b64 s[4:5], vcc, s[4:5]
	s_and_saveexec_b64 s[26:27], s[4:5]
	s_cbranch_execz .LBB2118_79
; %bb.74:
	v_cmp_lt_u32_e32 vcc, v67, v55
                                        ; implicit-def: $vgpr0
	s_and_saveexec_b64 s[4:5], vcc
	s_cbranch_execz .LBB2118_76
; %bb.75:
	v_lshl_add_u32 v0, v66, 1, v65
	ds_read_u16 v0, v0
.LBB2118_76:
	s_or_b64 exec, exec, s[4:5]
	v_cmp_ge_u32_e64 s[4:5], v68, v64
	v_cmp_lt_u32_e64 s[6:7], v68, v64
                                        ; implicit-def: $vgpr1
	s_and_saveexec_b64 s[10:11], s[6:7]
	s_cbranch_execz .LBB2118_78
; %bb.77:
	v_lshlrev_b32_e32 v1, 1, v68
	ds_read_u16 v1, v1
.LBB2118_78:
	s_or_b64 exec, exec, s[10:11]
	s_waitcnt lgkmcnt(0)
	v_cmp_nlt_f16_e64 s[6:7], v1, v0
	s_and_b64 s[6:7], vcc, s[6:7]
	s_or_b64 vcc, s[4:5], s[6:7]
	v_cndmask_b32_e32 v2, v68, v67, vcc
	v_cndmask_b32_e32 v3, v64, v55, vcc
	v_add_u32_e32 v18, 1, v2
	v_add_u32_e32 v3, -1, v3
	v_min_u32_e32 v3, v18, v3
	v_lshlrev_b32_e32 v3, 1, v3
	ds_read_u16 v3, v3
	v_cndmask_b32_e32 v19, v18, v68, vcc
	v_cndmask_b32_e32 v18, v67, v18, vcc
	v_cmp_lt_u32_e64 s[6:7], v18, v55
	v_cmp_ge_u32_e64 s[4:5], v19, v64
	s_waitcnt lgkmcnt(0)
	v_cndmask_b32_e32 v25, v3, v1, vcc
	v_cndmask_b32_e32 v3, v0, v3, vcc
	v_cmp_nlt_f16_e64 s[10:11], v25, v3
	s_and_b64 s[6:7], s[6:7], s[10:11]
	s_or_b64 s[4:5], s[4:5], s[6:7]
	v_cndmask_b32_e64 v20, v19, v18, s[4:5]
	v_cndmask_b32_e64 v21, v64, v55, s[4:5]
	v_add_u32_e32 v22, 1, v20
	v_add_u32_e32 v21, -1, v21
	v_min_u32_e32 v21, v22, v21
	v_lshlrev_b32_e32 v21, 1, v21
	ds_read_u16 v21, v21
	v_cndmask_b32_e64 v18, v18, v22, s[4:5]
	v_cndmask_b32_e64 v19, v22, v19, s[4:5]
	v_cmp_lt_u32_e64 s[10:11], v18, v55
	v_cmp_ge_u32_e64 s[6:7], v19, v64
	s_waitcnt lgkmcnt(0)
	v_cndmask_b32_e64 v48, v21, v25, s[4:5]
	v_cndmask_b32_e64 v49, v3, v21, s[4:5]
	v_cmp_nlt_f16_e64 s[14:15], v48, v49
	s_and_b64 s[10:11], s[10:11], s[14:15]
	s_or_b64 s[6:7], s[6:7], s[10:11]
	v_cndmask_b32_e64 v21, v19, v18, s[6:7]
	v_cndmask_b32_e64 v22, v64, v55, s[6:7]
	v_add_u32_e32 v23, 1, v21
	v_add_u32_e32 v22, -1, v22
	v_min_u32_e32 v22, v23, v22
	v_lshlrev_b32_e32 v22, 1, v22
	ds_read_u16 v22, v22
	v_lshlrev_b32_e32 v2, 2, v2
	v_cndmask_b32_e32 v0, v1, v0, vcc
	v_cndmask_b32_e64 v1, v48, v49, s[6:7]
	s_waitcnt lgkmcnt(0)
	v_cndmask_b32_e64 v51, v22, v48, s[6:7]
	v_cndmask_b32_e64 v65, v49, v22, s[6:7]
	;; [unrolled: 1-line block ×4, first 2 shown]
	v_cmp_lt_u32_e64 s[14:15], v23, v55
	v_cmp_nlt_f16_e64 s[16:17], v51, v65
	v_cmp_ge_u32_e64 s[10:11], v22, v64
	s_and_b64 s[14:15], s[14:15], s[16:17]
	s_or_b64 s[10:11], s[10:11], s[14:15]
	v_cndmask_b32_e64 v24, v22, v23, s[10:11]
	v_cndmask_b32_e64 v18, v64, v55, s[10:11]
	v_add_u32_e32 v37, 1, v24
	v_add_u32_e32 v18, -1, v18
	v_min_u32_e32 v18, v37, v18
	v_lshlrev_b32_e32 v18, 1, v18
	ds_read_u16 v66, v18
	ds_read_b32 v18, v2 offset:4096
	v_lshlrev_b32_e32 v2, 2, v20
	ds_read_b32 v19, v2 offset:4096
	v_cndmask_b32_e64 v23, v23, v37, s[10:11]
	s_waitcnt lgkmcnt(2)
	v_cndmask_b32_e64 v2, v66, v51, s[10:11]
	v_cndmask_b32_e64 v66, v65, v66, s[10:11]
	v_cndmask_b32_e64 v22, v37, v22, s[10:11]
	v_cmp_lt_u32_e64 s[16:17], v23, v55
	v_cmp_nlt_f16_e64 s[18:19], v2, v66
	v_cmp_ge_u32_e64 s[14:15], v22, v64
	s_and_b64 s[16:17], s[16:17], s[18:19]
	s_or_b64 s[14:15], s[14:15], s[16:17]
	v_cndmask_b32_e64 v37, v22, v23, s[14:15]
	v_cndmask_b32_e64 v20, v64, v55, s[14:15]
	v_add_u32_e32 v67, 1, v37
	v_add_u32_e32 v20, -1, v20
	v_min_u32_e32 v20, v67, v20
	v_lshlrev_b32_e32 v20, 1, v20
	ds_read_u16 v68, v20
	v_lshlrev_b32_e32 v20, 2, v21
	v_lshlrev_b32_e32 v21, 2, v24
	v_cndmask_b32_e64 v24, v67, v22, s[14:15]
	v_cndmask_b32_e64 v67, v23, v67, s[14:15]
	s_waitcnt lgkmcnt(0)
	v_cndmask_b32_e64 v69, v68, v2, s[14:15]
	v_cndmask_b32_e64 v68, v66, v68, s[14:15]
	v_cmp_lt_u32_e64 s[18:19], v67, v55
	v_cmp_nlt_f16_e64 s[20:21], v69, v68
	v_cmp_ge_u32_e64 s[16:17], v24, v64
	s_and_b64 s[18:19], s[18:19], s[20:21]
	s_or_b64 s[16:17], s[16:17], s[18:19]
	v_cndmask_b32_e64 v23, v24, v67, s[16:17]
	v_cndmask_b32_e64 v22, v64, v55, s[16:17]
	v_add_u32_e32 v70, 1, v23
	v_add_u32_e32 v22, -1, v22
	v_min_u32_e32 v22, v70, v22
	v_lshlrev_b32_e32 v22, 1, v22
	ds_read_b32 v20, v20 offset:4096
	ds_read_b32 v21, v21 offset:4096
	ds_read_u16 v71, v22
	v_lshlrev_b32_e32 v23, 2, v23
	ds_read_b32 v23, v23 offset:4096
	v_cndmask_b32_e64 v67, v67, v70, s[16:17]
	v_cndmask_b32_e64 v81, v70, v24, s[16:17]
	s_waitcnt lgkmcnt(1)
	v_cndmask_b32_e64 v80, v71, v69, s[16:17]
	v_cndmask_b32_e64 v71, v68, v71, s[16:17]
	v_cmp_lt_u32_e64 s[20:21], v67, v55
	v_cmp_nlt_f16_e64 s[22:23], v80, v71
	v_cmp_ge_u32_e64 s[18:19], v81, v64
	s_and_b64 s[20:21], s[20:21], s[22:23]
	s_or_b64 s[18:19], s[18:19], s[20:21]
	v_lshlrev_b32_e32 v22, 2, v37
	v_cndmask_b32_e64 v24, v81, v67, s[18:19]
	v_cndmask_b32_e64 v37, v64, v55, s[18:19]
	v_lshlrev_b32_e32 v70, 2, v24
	v_add_u32_e32 v82, 1, v24
	v_add_u32_e32 v24, -1, v37
	v_min_u32_e32 v24, v82, v24
	ds_read_b32 v22, v22 offset:4096
	v_lshlrev_b32_e32 v37, 1, v24
	ds_read_b32 v24, v70 offset:4096
	ds_read_u16 v70, v37
	v_cndmask_b32_e64 v37, v25, v3, s[4:5]
	v_cndmask_b32_e64 v48, v51, v65, s[10:11]
	;; [unrolled: 1-line block ×4, first 2 shown]
	s_waitcnt lgkmcnt(0)
	v_cndmask_b32_e64 v51, v70, v80, s[18:19]
	v_cndmask_b32_e64 v65, v71, v70, s[18:19]
	v_cmp_lt_u32_e64 s[4:5], v25, v55
	v_cmp_nlt_f16_e64 s[6:7], v51, v65
	v_cmp_ge_u32_e32 vcc, v3, v64
	s_and_b64 s[4:5], s[4:5], s[6:7]
	s_or_b64 vcc, vcc, s[4:5]
	v_cndmask_b32_e32 v3, v3, v25, vcc
	v_lshlrev_b32_e32 v3, 2, v3
	ds_read_b32 v25, v3 offset:4096
	v_cndmask_b32_e64 v2, v2, v66, s[14:15]
	v_cndmask_b32_e64 v49, v69, v68, s[16:17]
	;; [unrolled: 1-line block ×3, first 2 shown]
	v_cndmask_b32_e32 v51, v51, v65, vcc
.LBB2118_79:
	s_or_b64 exec, exec, s[26:27]
	s_mov_b32 s4, 0x5040100
	v_perm_b32 v67, v51, v3, s4
	v_perm_b32 v66, v49, v2, s4
	;; [unrolled: 1-line block ×4, first 2 shown]
	v_and_b32_e32 v55, 0x1800, v38
	s_waitcnt lgkmcnt(0)
	s_barrier
	ds_write_b128 v53, v[18:21] offset:4096
	ds_write_b128 v52, v[64:67]
	ds_write_b128 v54, v[22:25] offset:16
	v_or_b32_e32 v52, 0x400, v55
	v_min_u32_e32 v52, 0x800, v52
	v_and_b32_e32 v64, 0x7f8, v38
	v_sub_u32_e32 v65, v52, v55
	v_sub_u32_e32 v54, 0x800, v52
	v_sub_u32_e64 v54, v64, v54 clamp
	v_min_u32_e32 v65, v64, v65
	v_lshlrev_b32_e32 v53, 1, v55
	v_cmp_lt_u32_e32 vcc, v54, v65
	s_waitcnt lgkmcnt(0)
	s_barrier
	s_and_saveexec_b64 s[4:5], vcc
	s_cbranch_execz .LBB2118_83
; %bb.80:
	v_lshlrev_b32_e32 v66, 1, v64
	v_lshl_add_u32 v66, v52, 1, v66
	s_mov_b64 s[6:7], 0
.LBB2118_81:                            ; =>This Inner Loop Header: Depth=1
	v_add_u32_e32 v67, v65, v54
	v_lshrrev_b32_e32 v68, 1, v67
	v_and_b32_e32 v67, -2, v67
	v_not_b32_e32 v69, v68
	v_add_u32_e32 v67, v53, v67
	v_lshl_add_u32 v69, v69, 1, v66
	ds_read_u16 v67, v67
	ds_read_u16 v69, v69
	v_add_u32_e32 v70, 1, v68
	s_waitcnt lgkmcnt(0)
	v_cmp_lt_f16_e32 vcc, v69, v67
	v_cndmask_b32_e32 v65, v65, v68, vcc
	v_cndmask_b32_e32 v54, v70, v54, vcc
	v_cmp_ge_u32_e32 vcc, v54, v65
	s_or_b64 s[6:7], vcc, s[6:7]
	s_andn2_b64 exec, exec, s[6:7]
	s_cbranch_execnz .LBB2118_81
; %bb.82:
	s_or_b64 exec, exec, s[6:7]
.LBB2118_83:
	s_or_b64 exec, exec, s[4:5]
	v_sub_u32_e32 v64, v64, v54
	v_add_u32_e32 v55, v54, v55
	v_add_u32_e32 v64, v64, v52
	s_movk_i32 s4, 0x801
	v_cmp_le_u32_e32 vcc, v55, v52
	v_cmp_gt_u32_e64 s[4:5], s4, v64
	s_or_b64 s[4:5], vcc, s[4:5]
	s_and_saveexec_b64 s[26:27], s[4:5]
	s_cbranch_execz .LBB2118_89
; %bb.84:
	v_cmp_lt_u32_e32 vcc, v55, v52
                                        ; implicit-def: $vgpr0
	s_and_saveexec_b64 s[4:5], vcc
	s_cbranch_execz .LBB2118_86
; %bb.85:
	v_lshl_add_u32 v0, v54, 1, v53
	ds_read_u16 v0, v0
.LBB2118_86:
	s_or_b64 exec, exec, s[4:5]
	s_movk_i32 s28, 0x7ff
	s_movk_i32 s6, 0x800
	v_cmp_lt_u32_e64 s[4:5], s28, v64
	v_cmp_gt_u32_e64 s[6:7], s6, v64
                                        ; implicit-def: $vgpr1
	s_and_saveexec_b64 s[10:11], s[6:7]
	s_cbranch_execz .LBB2118_88
; %bb.87:
	v_lshlrev_b32_e32 v1, 1, v64
	ds_read_u16 v1, v1
.LBB2118_88:
	s_or_b64 exec, exec, s[10:11]
	s_waitcnt lgkmcnt(0)
	v_cmp_nlt_f16_e64 s[6:7], v1, v0
	s_and_b64 s[6:7], vcc, s[6:7]
	s_or_b64 vcc, s[4:5], s[6:7]
	v_cndmask_b32_e32 v2, v64, v55, vcc
	v_add_u32_e32 v3, -1, v52
	v_mov_b32_e32 v24, 0x7ff
	v_add_u32_e32 v18, 1, v2
	v_cndmask_b32_e32 v19, v24, v3, vcc
	v_min_u32_e32 v19, v18, v19
	v_lshlrev_b32_e32 v19, 1, v19
	ds_read_u16 v19, v19
	v_lshlrev_b32_e32 v2, 2, v2
	s_waitcnt lgkmcnt(0)
	v_cndmask_b32_e32 v25, v19, v1, vcc
	v_cndmask_b32_e32 v37, v0, v19, vcc
	v_cndmask_b32_e32 v19, v18, v64, vcc
	v_cndmask_b32_e32 v18, v55, v18, vcc
	v_cmp_lt_u32_e64 s[6:7], v18, v52
	v_cmp_nlt_f16_e64 s[10:11], v25, v37
	v_cmp_lt_u32_e64 s[4:5], s28, v19
	s_and_b64 s[6:7], s[6:7], s[10:11]
	s_or_b64 s[4:5], s[4:5], s[6:7]
	v_cndmask_b32_e64 v20, v19, v18, s[4:5]
	v_add_u32_e32 v21, 1, v20
	v_cndmask_b32_e64 v22, v24, v3, s[4:5]
	v_min_u32_e32 v22, v21, v22
	v_lshlrev_b32_e32 v22, 1, v22
	ds_read_u16 v22, v22
	v_cndmask_b32_e64 v18, v18, v21, s[4:5]
	v_cndmask_b32_e64 v19, v21, v19, s[4:5]
	v_cmp_lt_u32_e64 s[10:11], v18, v52
	v_cmp_lt_u32_e64 s[6:7], s28, v19
	s_waitcnt lgkmcnt(0)
	v_cndmask_b32_e64 v48, v22, v25, s[4:5]
	v_cndmask_b32_e64 v49, v37, v22, s[4:5]
	v_cmp_nlt_f16_e64 s[14:15], v48, v49
	s_and_b64 s[10:11], s[10:11], s[14:15]
	s_or_b64 s[6:7], s[6:7], s[10:11]
	v_cndmask_b32_e64 v21, v19, v18, s[6:7]
	v_add_u32_e32 v22, 1, v21
	v_cndmask_b32_e64 v23, v24, v3, s[6:7]
	v_min_u32_e32 v23, v22, v23
	v_lshlrev_b32_e32 v23, 1, v23
	ds_read_u16 v23, v23
	v_cndmask_b32_e32 v0, v1, v0, vcc
	v_cndmask_b32_e64 v37, v25, v37, s[4:5]
	v_cndmask_b32_e64 v1, v48, v49, s[6:7]
	s_waitcnt lgkmcnt(0)
	v_cndmask_b32_e64 v51, v23, v48, s[6:7]
	v_cndmask_b32_e64 v53, v49, v23, s[6:7]
	;; [unrolled: 1-line block ×4, first 2 shown]
	v_cmp_lt_u32_e64 s[14:15], v22, v52
	v_cmp_nlt_f16_e64 s[16:17], v51, v53
	v_cmp_lt_u32_e64 s[10:11], s28, v23
	s_and_b64 s[14:15], s[14:15], s[16:17]
	s_or_b64 s[10:11], s[10:11], s[14:15]
	v_cndmask_b32_e64 v54, v23, v22, s[10:11]
	v_add_u32_e32 v55, 1, v54
	v_cndmask_b32_e64 v18, v24, v3, s[10:11]
	v_min_u32_e32 v18, v55, v18
	v_lshlrev_b32_e32 v18, 1, v18
	ds_read_u16 v64, v18
	ds_read_b32 v18, v2 offset:4096
	v_lshlrev_b32_e32 v2, 2, v20
	ds_read_b32 v19, v2 offset:4096
	v_cndmask_b32_e64 v22, v22, v55, s[10:11]
	s_waitcnt lgkmcnt(2)
	v_cndmask_b32_e64 v2, v64, v51, s[10:11]
	v_cndmask_b32_e64 v64, v53, v64, s[10:11]
	;; [unrolled: 1-line block ×3, first 2 shown]
	v_cmp_lt_u32_e64 s[16:17], v22, v52
	v_cmp_nlt_f16_e64 s[18:19], v2, v64
	v_cmp_lt_u32_e64 s[14:15], s28, v23
	s_and_b64 s[16:17], s[16:17], s[18:19]
	s_or_b64 s[14:15], s[14:15], s[16:17]
	v_cndmask_b32_e64 v55, v23, v22, s[14:15]
	v_add_u32_e32 v65, 1, v55
	v_cndmask_b32_e64 v20, v24, v3, s[14:15]
	v_min_u32_e32 v20, v65, v20
	v_lshlrev_b32_e32 v20, 1, v20
	ds_read_u16 v66, v20
	v_lshlrev_b32_e32 v20, 2, v21
	v_lshlrev_b32_e32 v21, 2, v54
	v_cndmask_b32_e64 v67, v65, v23, s[14:15]
	v_cndmask_b32_e64 v65, v22, v65, s[14:15]
	s_waitcnt lgkmcnt(0)
	v_cndmask_b32_e64 v54, v66, v2, s[14:15]
	v_cndmask_b32_e64 v66, v64, v66, s[14:15]
	v_cmp_lt_u32_e64 s[18:19], v65, v52
	v_cmp_nlt_f16_e64 s[20:21], v54, v66
	v_cmp_lt_u32_e64 s[16:17], s28, v67
	s_and_b64 s[18:19], s[18:19], s[20:21]
	s_or_b64 s[16:17], s[16:17], s[18:19]
	v_cndmask_b32_e64 v23, v67, v65, s[16:17]
	v_add_u32_e32 v68, 1, v23
	v_cndmask_b32_e64 v22, v24, v3, s[16:17]
	v_min_u32_e32 v22, v68, v22
	v_lshlrev_b32_e32 v22, 1, v22
	ds_read_b32 v20, v20 offset:4096
	ds_read_b32 v21, v21 offset:4096
	ds_read_u16 v69, v22
	v_lshlrev_b32_e32 v23, 2, v23
	ds_read_b32 v23, v23 offset:4096
	v_lshlrev_b32_e32 v22, 2, v55
	v_cndmask_b32_e64 v65, v65, v68, s[16:17]
	s_waitcnt lgkmcnt(1)
	v_cndmask_b32_e64 v55, v69, v54, s[16:17]
	v_cndmask_b32_e64 v69, v66, v69, s[16:17]
	;; [unrolled: 1-line block ×3, first 2 shown]
	v_cmp_lt_u32_e64 s[20:21], v65, v52
	v_cmp_nlt_f16_e64 s[22:23], v55, v69
	v_cmp_lt_u32_e64 s[18:19], s28, v67
	s_and_b64 s[20:21], s[20:21], s[22:23]
	s_or_b64 s[18:19], s[18:19], s[20:21]
	v_cndmask_b32_e64 v68, v67, v65, s[18:19]
	v_lshlrev_b32_e32 v70, 2, v68
	v_add_u32_e32 v68, 1, v68
	v_cndmask_b32_e64 v3, v24, v3, s[18:19]
	v_min_u32_e32 v3, v68, v3
	v_lshlrev_b32_e32 v3, 1, v3
	ds_read_b32 v22, v22 offset:4096
	ds_read_b32 v24, v70 offset:4096
	ds_read_u16 v3, v3
	v_cndmask_b32_e64 v48, v51, v53, s[10:11]
	v_cndmask_b32_e64 v25, v65, v68, s[18:19]
	v_cmp_lt_u32_e64 s[4:5], v25, v52
	v_cndmask_b32_e64 v2, v2, v64, s[14:15]
	s_waitcnt lgkmcnt(0)
	v_cndmask_b32_e64 v51, v3, v55, s[18:19]
	v_cndmask_b32_e64 v53, v69, v3, s[18:19]
	;; [unrolled: 1-line block ×3, first 2 shown]
	v_cmp_nlt_f16_e64 s[6:7], v51, v53
	v_cmp_lt_u32_e32 vcc, s28, v3
	s_and_b64 s[4:5], s[4:5], s[6:7]
	s_or_b64 vcc, vcc, s[4:5]
	v_cndmask_b32_e32 v3, v3, v25, vcc
	v_lshlrev_b32_e32 v3, 2, v3
	ds_read_b32 v25, v3 offset:4096
	v_cndmask_b32_e64 v49, v54, v66, s[16:17]
	v_cndmask_b32_e64 v3, v55, v69, s[18:19]
	v_cndmask_b32_e32 v51, v51, v53, vcc
.LBB2118_89:
	s_or_b64 exec, exec, s[26:27]
	s_mov_b32 s4, 0x5040100
	v_lshl_add_u32 v11, v11, 1, v50
	v_perm_b32 v1, v48, v1, s4
	v_perm_b32 v0, v37, v0, s4
	s_waitcnt lgkmcnt(0)
	s_barrier
	s_barrier
	ds_write2_b32 v11, v0, v1 offset1:1
	v_perm_b32 v0, v51, v3, s4
	v_perm_b32 v1, v49, v2, s4
	ds_write2_b32 v11, v1, v0 offset0:2 offset1:3
	s_waitcnt lgkmcnt(0)
	s_barrier
	ds_read_u16 v2, v10
	ds_read_u16 v3, v12 offset:512
	ds_read_u16 v10, v13 offset:1024
	;; [unrolled: 1-line block ×7, first 2 shown]
	v_add_co_u32_e32 v0, vcc, v4, v128
	v_addc_co_u32_e32 v1, vcc, 0, v5, vcc
	s_waitcnt lgkmcnt(7)
	flat_store_short v[0:1], v2
	s_waitcnt lgkmcnt(0)
	flat_store_short v[0:1], v3 offset:512
	flat_store_short v[0:1], v10 offset:1024
	;; [unrolled: 1-line block ×7, first 2 shown]
	v_add_co_u32_e32 v0, vcc, v6, v38
	v_addc_co_u32_e32 v1, vcc, 0, v7, vcc
	s_movk_i32 s4, 0x1000
	v_add_co_u32_e32 v2, vcc, s4, v0
	v_addc_co_u32_e32 v3, vcc, 0, v1, vcc
	s_movk_i32 s5, 0x2000
	s_waitcnt lgkmcnt(0)
	s_barrier
	flat_load_dwordx2 v[4:5], v[0:1]
	flat_load_dwordx2 v[6:7], v[0:1] offset:2048
	flat_load_dwordx2 v[10:11], v[2:3]
	flat_load_dwordx2 v[12:13], v[2:3] offset:2048
	v_add_co_u32_e32 v2, vcc, s5, v0
	v_addc_co_u32_e32 v3, vcc, 0, v1, vcc
	s_movk_i32 s5, 0x3000
	v_add_co_u32_e32 v0, vcc, s5, v0
	v_addc_co_u32_e32 v1, vcc, 0, v1, vcc
	flat_load_dwordx2 v[14:15], v[2:3]
	flat_load_dwordx2 v[16:17], v[2:3] offset:2048
	flat_load_dwordx2 v[48:49], v[0:1]
	flat_load_dwordx2 v[50:51], v[0:1] offset:2048
	v_lshl_add_u32 v26, v36, 3, v38
	v_lshl_add_u32 v33, v33, 3, v38
	v_lshl_add_u32 v32, v32, 3, v38
	v_lshl_add_u32 v31, v31, 3, v38
	v_lshl_add_u32 v30, v30, 3, v38
	v_lshl_add_u32 v29, v29, 3, v38
	v_lshl_add_u32 v28, v28, 3, v38
	v_lshl_add_u32 v27, v27, 3, v38
	v_lshrrev_b32_e32 v1, 5, v19
	v_add_lshl_u32 v2, v1, v19, 3
	v_lshrrev_b32_e32 v1, 5, v20
	v_lshrrev_b32_e32 v0, 5, v18
	v_add_lshl_u32 v0, v0, v18, 3
	v_lshlrev_b32_e32 v18, 3, v38
	v_lshl_add_u32 v18, v39, 3, v18
	s_mov_b64 s[40:41], exec
                                        ; implicit-def: $vgpr128
                                        ; implicit-def: $vgpr39
	s_waitcnt vmcnt(0) lgkmcnt(0)
	ds_write_b64 v26, v[4:5]
	ds_write_b64 v33, v[6:7] offset:2048
	ds_write_b64 v32, v[10:11] offset:4096
	;; [unrolled: 1-line block ×7, first 2 shown]
	v_lshrrev_b32_e32 v11, 5, v23
	v_add_lshl_u32 v12, v11, v23, 3
	v_lshrrev_b32_e32 v11, 5, v24
	v_add_lshl_u32 v4, v1, v20, 3
	v_lshrrev_b32_e32 v1, 5, v21
	v_lshrrev_b32_e32 v10, 5, v22
	v_add_lshl_u32 v14, v11, v24, 3
	v_lshrrev_b32_e32 v11, 5, v25
	v_add_lshl_u32 v6, v1, v21, 3
	v_add_lshl_u32 v10, v10, v22, 3
	;; [unrolled: 1-line block ×3, first 2 shown]
	s_waitcnt lgkmcnt(0)
	s_barrier
	ds_read_b64 v[0:1], v0
	ds_read_b64 v[2:3], v2
	;; [unrolled: 1-line block ×8, first 2 shown]
	s_waitcnt lgkmcnt(0)
	s_barrier
	ds_write2_b64 v18, v[0:1], v[2:3] offset1:1
	ds_write2_b64 v18, v[4:5], v[6:7] offset0:2 offset1:3
	ds_write2_b64 v18, v[10:11], v[12:13] offset0:4 offset1:5
	;; [unrolled: 1-line block ×3, first 2 shown]
	v_add_co_u32_e32 v18, vcc, v8, v38
	s_waitcnt lgkmcnt(0)
	s_barrier
	ds_read_b64 v[0:1], v26
	ds_read_b64 v[2:3], v33 offset:2048
	ds_read_b64 v[4:5], v32 offset:4096
	;; [unrolled: 1-line block ×7, first 2 shown]
	v_addc_co_u32_e32 v19, vcc, 0, v9, vcc
	s_waitcnt lgkmcnt(7)
	flat_store_dwordx2 v[18:19], v[0:1]
	s_waitcnt lgkmcnt(0)
	flat_store_dwordx2 v[18:19], v[2:3] offset:2048
	v_add_co_u32_e32 v0, vcc, s4, v18
	v_addc_co_u32_e32 v1, vcc, 0, v19, vcc
	flat_store_dwordx2 v[0:1], v[4:5]
	flat_store_dwordx2 v[0:1], v[6:7] offset:2048
	v_add_co_u32_e32 v0, vcc, 0x2000, v18
	v_addc_co_u32_e32 v1, vcc, 0, v19, vcc
	flat_store_dwordx2 v[0:1], v[12:13]
	;; [unrolled: 4-line block ×3, first 2 shown]
                                        ; implicit-def: $vgpr38
                                        ; implicit-def: $vgpr19
                                        ; implicit-def: $vgpr22
                                        ; implicit-def: $vgpr0
                                        ; implicit-def: $vgpr2
                                        ; implicit-def: $vgpr3
                                        ; implicit-def: $vgpr4
                                        ; implicit-def: $vgpr5
                                        ; implicit-def: $vgpr6
                                        ; implicit-def: $vgpr7
                                        ; implicit-def: $vgpr18
                                        ; implicit-def: $vgpr31
                                        ; implicit-def: $vgpr1
	s_andn2_saveexec_b64 s[42:43], s[24:25]
	s_cbranch_execz .LBB2118_2
.LBB2118_90:
	v_cmp_lt_u32_e32 vcc, v34, v0
                                        ; implicit-def: $vgpr10
	s_and_saveexec_b64 s[6:7], vcc
	s_cbranch_execz .LBB2118_92
; %bb.91:
	v_add_co_u32_e64 v10, s[4:5], v2, v128
	v_addc_co_u32_e64 v11, s[4:5], 0, v3, s[4:5]
	flat_load_ushort v10, v[10:11]
.LBB2118_92:
	s_or_b64 exec, exec, s[6:7]
	v_add_u32_e32 v163, 0x100, v34
	v_cmp_lt_u32_e64 s[4:5], v163, v0
                                        ; implicit-def: $vgpr11
	s_and_saveexec_b64 s[10:11], s[4:5]
	s_cbranch_execz .LBB2118_94
; %bb.93:
	v_add_co_u32_e64 v12, s[6:7], v2, v128
	v_addc_co_u32_e64 v13, s[6:7], 0, v3, s[6:7]
	flat_load_ushort v11, v[12:13] offset:512
.LBB2118_94:
	s_or_b64 exec, exec, s[10:11]
	v_add_u32_e32 v129, 0x200, v34
	v_cmp_lt_u32_e64 s[6:7], v129, v0
                                        ; implicit-def: $vgpr12
	s_and_saveexec_b64 s[14:15], s[6:7]
	s_cbranch_execz .LBB2118_96
; %bb.95:
	v_add_co_u32_e64 v12, s[10:11], v2, v128
	v_addc_co_u32_e64 v13, s[10:11], 0, v3, s[10:11]
	flat_load_ushort v12, v[12:13] offset:1024
.LBB2118_96:
	s_or_b64 exec, exec, s[14:15]
	v_add_u32_e32 v130, 0x300, v34
	v_cmp_lt_u32_e64 s[18:19], v130, v0
                                        ; implicit-def: $vgpr13
	s_and_saveexec_b64 s[14:15], s[18:19]
	s_cbranch_execz .LBB2118_98
; %bb.97:
	v_add_co_u32_e64 v14, s[10:11], v2, v128
	v_addc_co_u32_e64 v15, s[10:11], 0, v3, s[10:11]
	flat_load_ushort v13, v[14:15] offset:1536
.LBB2118_98:
	s_or_b64 exec, exec, s[14:15]
	v_or_b32_e32 v131, 0x400, v34
	v_cmp_lt_u32_e64 s[10:11], v131, v0
                                        ; implicit-def: $vgpr14
	s_and_saveexec_b64 s[16:17], s[10:11]
	s_cbranch_execz .LBB2118_100
; %bb.99:
	v_add_co_u32_e64 v14, s[14:15], v2, v128
	v_addc_co_u32_e64 v15, s[14:15], 0, v3, s[14:15]
	flat_load_ushort v14, v[14:15] offset:2048
.LBB2118_100:
	s_or_b64 exec, exec, s[16:17]
	v_add_u32_e32 v132, 0x500, v34
	v_cmp_lt_u32_e64 s[38:39], v132, v0
                                        ; implicit-def: $vgpr15
	s_and_saveexec_b64 s[16:17], s[38:39]
	s_cbranch_execz .LBB2118_102
; %bb.101:
	v_add_co_u32_e64 v16, s[14:15], v2, v128
	v_addc_co_u32_e64 v17, s[14:15], 0, v3, s[14:15]
	flat_load_ushort v15, v[16:17] offset:2560
.LBB2118_102:
	s_or_b64 exec, exec, s[16:17]
	v_add_u32_e32 v133, 0x600, v34
	v_cmp_lt_u32_e64 s[14:15], v133, v0
                                        ; implicit-def: $vgpr16
	s_and_saveexec_b64 s[20:21], s[14:15]
	s_cbranch_execz .LBB2118_104
; %bb.103:
	v_add_co_u32_e64 v16, s[16:17], v2, v128
	v_addc_co_u32_e64 v17, s[16:17], 0, v3, s[16:17]
	flat_load_ushort v16, v[16:17] offset:3072
.LBB2118_104:
	s_or_b64 exec, exec, s[20:21]
	v_add_u32_e32 v134, 0x700, v34
	v_cmp_lt_u32_e64 s[16:17], v134, v0
                                        ; implicit-def: $vgpr17
	s_and_saveexec_b64 s[22:23], s[16:17]
	s_cbranch_execz .LBB2118_106
; %bb.105:
	v_add_co_u32_e64 v2, s[20:21], v2, v128
	v_addc_co_u32_e64 v3, s[20:21], 0, v3, s[20:21]
	flat_load_ushort v17, v[2:3] offset:3584
.LBB2118_106:
	s_or_b64 exec, exec, s[22:23]
	v_lshrrev_b32_e32 v2, 4, v129
	v_and_b32_e32 v2, 0x7c, v2
	v_add_u32_e32 v35, v2, v128
	v_lshrrev_b32_e32 v2, 4, v130
	v_and_b32_e32 v2, 0x7c, v2
	v_add_u32_e32 v144, v2, v128
	;; [unrolled: 3-line block ×4, first 2 shown]
	v_lshrrev_b32_e32 v2, 4, v133
	v_and_b32_e32 v1, 60, v1
	v_and_b32_e32 v2, 0xfc, v2
	v_add_u32_e32 v135, v1, v128
	v_lshrrev_b32_e32 v1, 4, v163
	v_add_u32_e32 v147, v2, v128
	v_lshrrev_b32_e32 v2, 4, v134
	v_and_b32_e32 v1, 0x7c, v1
	v_and_b32_e32 v2, 0xfc, v2
	;; [unrolled: 1-line block ×3, first 2 shown]
	v_add_u32_e32 v1, v1, v128
	v_add_u32_e32 v148, v2, v128
	v_add_lshl_u32 v2, v149, v38, 1
	s_waitcnt vmcnt(0) lgkmcnt(0)
	ds_write_b16 v135, v10
	ds_write_b16 v1, v11 offset:512
	ds_write_b16 v35, v12 offset:1024
	;; [unrolled: 1-line block ×7, first 2 shown]
	s_waitcnt lgkmcnt(0)
	s_barrier
	ds_read2_b32 v[36:37], v2 offset1:1
	ds_read2_b32 v[2:3], v2 offset0:2 offset1:3
	s_waitcnt lgkmcnt(0)
	s_barrier
	s_load_dwordx2 s[20:21], s[8:9], 0x0
	v_mov_b32_e32 v10, 0
	v_lshrrev_b32_e32 v48, 16, v36
	v_lshrrev_b32_e32 v26, 16, v37
	;; [unrolled: 1-line block ×3, first 2 shown]
	s_waitcnt lgkmcnt(0)
	s_cmp_lt_u32 s12, s20
	s_cselect_b32 s20, 12, 18
	s_cmp_lt_u32 s13, s21
	s_cselect_b32 s12, 14, 20
	s_add_u32 s12, s8, s12
	s_addc_u32 s13, s9, 0
	s_add_u32 s8, s8, s20
	s_addc_u32 s9, s9, 0
	global_load_ushort v11, v10, s[12:13]
	global_load_ushort v12, v10, s[8:9]
	v_cmp_lt_f16_sdwa s[34:35], v3, v3 src0_sel:WORD_1 src1_sel:DWORD
	v_cmp_lt_f16_e64 s[8:9], v48, v36
	v_cmp_lt_f16_e64 s[12:13], v26, v37
	;; [unrolled: 1-line block ×3, first 2 shown]
	v_lshrrev_b32_e32 v165, 16, v3
	s_waitcnt vmcnt(1)
	v_mad_u32_u24 v10, v31, v11, v18
	s_waitcnt vmcnt(0)
	v_mul_lo_u32 v10, v10, v12
	v_add_lshl_u32 v164, v10, v34, 3
	v_sub_u32_e64 v50, v0, v164 clamp
	v_cmp_lt_u32_e64 s[30:31], 1, v50
	v_cmp_lt_u32_e64 s[28:29], 3, v50
	;; [unrolled: 1-line block ×4, first 2 shown]
	s_and_b64 s[36:37], s[30:31], s[8:9]
	s_and_b64 s[20:21], s[28:29], s[12:13]
	;; [unrolled: 1-line block ×4, first 2 shown]
	v_cndmask_b32_e64 v150, v48, v36, s[36:37]
	v_cndmask_b32_e64 v151, v37, v26, s[20:21]
	;; [unrolled: 1-line block ×10, first 2 shown]
	v_cmp_lt_u32_e64 s[8:9], 2, v50
	s_and_saveexec_b64 s[44:45], s[8:9]
	s_cbranch_execz .LBB2118_110
; %bb.107:
	v_cmp_lt_f16_e64 s[12:13], v151, v150
	s_and_saveexec_b64 s[46:47], s[12:13]
; %bb.108:
	v_mov_b32_e32 v18, v12
	v_swap_b32 v12, v11
	v_mov_b32_e32 v18, v150
	v_swap_b32 v150, v151
; %bb.109:
	s_or_b64 exec, exec, s[46:47]
.LBB2118_110:
	s_or_b64 exec, exec, s[44:45]
	v_cndmask_b32_e64 v37, v26, v37, s[20:21]
	v_pk_mov_b32 v[24:25], v[16:17], v[16:17] op_sel:[0,1]
	v_pk_mov_b32 v[86:87], v[16:17], v[16:17] op_sel:[0,1]
	;; [unrolled: 1-line block ×4, first 2 shown]
	v_cndmask_b32_e64 v160, v2, v49, s[24:25]
	v_pk_mov_b32 v[22:23], v[14:15], v[14:15] op_sel:[0,1]
	v_pk_mov_b32 v[20:21], v[12:13], v[12:13] op_sel:[0,1]
	;; [unrolled: 1-line block ×3, first 2 shown]
	v_cmp_lt_u32_e64 s[20:21], 4, v50
	v_pk_mov_b32 v[84:85], v[14:15], v[14:15] op_sel:[0,1]
	v_pk_mov_b32 v[82:83], v[12:13], v[12:13] op_sel:[0,1]
	;; [unrolled: 1-line block ×9, first 2 shown]
	s_and_saveexec_b64 s[44:45], s[20:21]
	s_cbranch_execz .LBB2118_114
; %bb.111:
	v_pk_mov_b32 v[102:103], v[16:17], v[16:17] op_sel:[0,1]
	v_pk_mov_b32 v[32:33], v[16:17], v[16:17] op_sel:[0,1]
	;; [unrolled: 1-line block ×3, first 2 shown]
	v_cmp_lt_f16_e64 s[12:13], v160, v37
	v_mov_b32_e32 v51, v14
	v_pk_mov_b32 v[100:101], v[14:15], v[14:15] op_sel:[0,1]
	v_pk_mov_b32 v[98:99], v[12:13], v[12:13] op_sel:[0,1]
	v_pk_mov_b32 v[96:97], v[10:11], v[10:11] op_sel:[0,1]
	v_pk_mov_b32 v[30:31], v[14:15], v[14:15] op_sel:[0,1]
	v_pk_mov_b32 v[28:29], v[12:13], v[12:13] op_sel:[0,1]
	v_pk_mov_b32 v[26:27], v[10:11], v[10:11] op_sel:[0,1]
	v_pk_mov_b32 v[84:85], v[14:15], v[14:15] op_sel:[0,1]
	v_pk_mov_b32 v[82:83], v[12:13], v[12:13] op_sel:[0,1]
	v_pk_mov_b32 v[80:81], v[10:11], v[10:11] op_sel:[0,1]
	s_and_saveexec_b64 s[46:47], s[12:13]
	s_cbranch_execz .LBB2118_113
; %bb.112:
	v_pk_mov_b32 v[102:103], v[16:17], v[16:17] op_sel:[0,1]
	v_pk_mov_b32 v[98:99], v[12:13], v[12:13] op_sel:[0,1]
	v_pk_mov_b32 v[96:97], v[10:11], v[10:11] op_sel:[0,1]
	v_pk_mov_b32 v[100:101], v[14:15], v[14:15] op_sel:[0,1]
	v_mov_b32_e32 v99, v14
	v_pk_mov_b32 v[26:27], v[96:97], v[96:97] op_sel:[0,1]
	v_pk_mov_b32 v[30:31], v[100:101], v[100:101] op_sel:[0,1]
	v_pk_mov_b32 v[32:33], v[102:103], v[102:103] op_sel:[0,1]
	v_pk_mov_b32 v[28:29], v[98:99], v[98:99] op_sel:[0,1]
	v_mov_b32_e32 v30, v13
	v_pk_mov_b32 v[86:87], v[32:33], v[32:33] op_sel:[0,1]
	v_pk_mov_b32 v[84:85], v[30:31], v[30:31] op_sel:[0,1]
	v_pk_mov_b32 v[80:81], v[26:27], v[26:27] op_sel:[0,1]
	v_pk_mov_b32 v[82:83], v[28:29], v[28:29] op_sel:[0,1]
	v_mov_b32_e32 v85, v15
	v_pk_mov_b32 v[18:19], v[80:81], v[80:81] op_sel:[0,1]
	v_pk_mov_b32 v[24:25], v[86:87], v[86:87] op_sel:[0,1]
	v_pk_mov_b32 v[20:21], v[82:83], v[82:83] op_sel:[0,1]
	v_pk_mov_b32 v[22:23], v[84:85], v[84:85] op_sel:[0,1]
	v_mov_b32_e32 v24, v16
	v_mov_b32_e32 v25, v17
	v_mov_b32_e32 v51, v13
	;; [unrolled: 1-line block ×4, first 2 shown]
	v_swap_b32 v37, v160
.LBB2118_113:
	s_or_b64 exec, exec, s[46:47]
	v_mov_b32_e32 v14, v51
.LBB2118_114:
	s_or_b64 exec, exec, s[44:45]
	v_cndmask_b32_e64 v161, v49, v2, s[24:25]
	v_cndmask_b32_e64 v162, v3, v165, s[34:35]
	v_cmp_lt_u32_e64 s[24:25], 6, v50
	s_and_saveexec_b64 s[44:45], s[24:25]
	s_cbranch_execz .LBB2118_118
; %bb.115:
	v_cmp_lt_f16_e64 s[12:13], v162, v161
	v_mov_b32_e32 v2, v16
	s_and_saveexec_b64 s[46:47], s[12:13]
	s_cbranch_execz .LBB2118_117
; %bb.116:
	v_pk_mov_b32 v[86:87], v[32:33], v[32:33] op_sel:[0,1]
	v_pk_mov_b32 v[84:85], v[30:31], v[30:31] op_sel:[0,1]
	;; [unrolled: 1-line block ×4, first 2 shown]
	v_mov_b32_e32 v85, v16
	v_pk_mov_b32 v[18:19], v[80:81], v[80:81] op_sel:[0,1]
	v_pk_mov_b32 v[24:25], v[86:87], v[86:87] op_sel:[0,1]
	;; [unrolled: 1-line block ×4, first 2 shown]
	v_mov_b32_e32 v24, v15
	v_mov_b32_e32 v25, v17
	;; [unrolled: 1-line block ×5, first 2 shown]
	v_swap_b32 v161, v162
.LBB2118_117:
	s_or_b64 exec, exec, s[46:47]
	v_mov_b32_e32 v16, v2
.LBB2118_118:
	s_or_b64 exec, exec, s[44:45]
	v_cndmask_b32_e64 v2, v36, v48, s[36:37]
	v_pk_mov_b32 v[70:71], v[16:17], v[16:17] op_sel:[0,1]
	v_pk_mov_b32 v[118:119], v[16:17], v[16:17] op_sel:[0,1]
	;; [unrolled: 1-line block ×12, first 2 shown]
	s_and_saveexec_b64 s[36:37], s[30:31]
	s_cbranch_execnz .LBB2118_139
; %bb.119:
	s_or_b64 exec, exec, s[36:37]
	s_and_saveexec_b64 s[36:37], s[28:29]
	s_cbranch_execnz .LBB2118_142
.LBB2118_120:
	s_or_b64 exec, exec, s[36:37]
	s_and_saveexec_b64 s[36:37], s[26:27]
	s_cbranch_execnz .LBB2118_145
.LBB2118_121:
	s_or_b64 exec, exec, s[36:37]
	v_cndmask_b32_e64 v3, v165, v3, s[34:35]
	s_and_saveexec_b64 s[34:35], s[22:23]
	s_cbranch_execnz .LBB2118_148
.LBB2118_122:
	s_or_b64 exec, exec, s[34:35]
	s_and_saveexec_b64 s[34:35], s[8:9]
	s_cbranch_execnz .LBB2118_151
.LBB2118_123:
	s_or_b64 exec, exec, s[34:35]
	s_and_saveexec_b64 s[34:35], s[20:21]
	s_cbranch_execnz .LBB2118_154
.LBB2118_124:
	s_or_b64 exec, exec, s[34:35]
	s_and_saveexec_b64 s[34:35], s[24:25]
	s_cbranch_execnz .LBB2118_157
.LBB2118_125:
	s_or_b64 exec, exec, s[34:35]
	s_and_saveexec_b64 s[34:35], s[30:31]
	s_cbranch_execnz .LBB2118_160
.LBB2118_126:
	s_or_b64 exec, exec, s[34:35]
	s_and_saveexec_b64 s[34:35], s[28:29]
	s_cbranch_execnz .LBB2118_163
.LBB2118_127:
	s_or_b64 exec, exec, s[34:35]
	s_and_saveexec_b64 s[34:35], s[26:27]
	s_cbranch_execnz .LBB2118_166
.LBB2118_128:
	s_or_b64 exec, exec, s[34:35]
	s_and_saveexec_b64 s[34:35], s[22:23]
	s_cbranch_execnz .LBB2118_169
.LBB2118_129:
	s_or_b64 exec, exec, s[34:35]
	s_and_saveexec_b64 s[34:35], s[8:9]
	s_cbranch_execnz .LBB2118_172
.LBB2118_130:
	s_or_b64 exec, exec, s[34:35]
	s_and_saveexec_b64 s[34:35], s[20:21]
	s_cbranch_execnz .LBB2118_175
.LBB2118_131:
	s_or_b64 exec, exec, s[34:35]
	s_and_saveexec_b64 s[34:35], s[24:25]
	s_cbranch_execnz .LBB2118_178
.LBB2118_132:
	s_or_b64 exec, exec, s[34:35]
	s_and_saveexec_b64 s[34:35], s[30:31]
	s_cbranch_execnz .LBB2118_181
.LBB2118_133:
	s_or_b64 exec, exec, s[34:35]
	s_and_saveexec_b64 s[30:31], s[28:29]
	s_cbranch_execnz .LBB2118_184
.LBB2118_134:
	s_or_b64 exec, exec, s[30:31]
	s_and_saveexec_b64 s[28:29], s[26:27]
	s_cbranch_execnz .LBB2118_187
.LBB2118_135:
	s_or_b64 exec, exec, s[28:29]
	s_and_saveexec_b64 s[26:27], s[22:23]
	s_cbranch_execnz .LBB2118_190
.LBB2118_136:
	s_or_b64 exec, exec, s[26:27]
	s_and_saveexec_b64 s[12:13], s[8:9]
	s_cbranch_execnz .LBB2118_193
.LBB2118_137:
	s_or_b64 exec, exec, s[12:13]
	s_and_saveexec_b64 s[12:13], s[20:21]
	s_cbranch_execnz .LBB2118_196
.LBB2118_138:
	s_or_b64 exec, exec, s[12:13]
	s_and_saveexec_b64 s[12:13], s[24:25]
	s_cbranch_execnz .LBB2118_199
	s_branch .LBB2118_202
.LBB2118_139:
	v_pk_mov_b32 v[54:55], v[16:17], v[16:17] op_sel:[0,1]
	v_pk_mov_b32 v[118:119], v[16:17], v[16:17] op_sel:[0,1]
	;; [unrolled: 1-line block ×3, first 2 shown]
	v_cmp_lt_f16_e64 s[12:13], v150, v2
	v_mov_b32_e32 v36, v11
	v_pk_mov_b32 v[52:53], v[14:15], v[14:15] op_sel:[0,1]
	v_pk_mov_b32 v[50:51], v[12:13], v[12:13] op_sel:[0,1]
	;; [unrolled: 1-line block ×9, first 2 shown]
	s_and_saveexec_b64 s[44:45], s[12:13]
	s_cbranch_execz .LBB2118_141
; %bb.140:
	v_mov_b32_e32 v48, v11
	v_mov_b32_e32 v49, v10
	;; [unrolled: 1-line block ×11, first 2 shown]
	v_pk_mov_b32 v[118:119], v[54:55], v[54:55] op_sel:[0,1]
	v_pk_mov_b32 v[70:71], v[54:55], v[54:55] op_sel:[0,1]
	;; [unrolled: 1-line block ×6, first 2 shown]
	v_mov_b32_e32 v2, v150
	v_pk_mov_b32 v[116:117], v[52:53], v[52:53] op_sel:[0,1]
	v_pk_mov_b32 v[114:115], v[50:51], v[50:51] op_sel:[0,1]
	;; [unrolled: 1-line block ×18, first 2 shown]
	v_mov_b32_e32 v150, v11
.LBB2118_141:
	s_or_b64 exec, exec, s[44:45]
	v_mov_b32_e32 v11, v36
	s_or_b64 exec, exec, s[36:37]
	s_and_saveexec_b64 s[36:37], s[28:29]
	s_cbranch_execz .LBB2118_120
.LBB2118_142:
	v_cmp_lt_f16_e64 s[12:13], v37, v151
	v_mov_b32_e32 v36, v13
	s_and_saveexec_b64 s[44:45], s[12:13]
	s_cbranch_execz .LBB2118_144
; %bb.143:
	v_pk_mov_b32 v[64:65], v[112:113], v[112:113] op_sel:[0,1]
	v_pk_mov_b32 v[66:67], v[114:115], v[114:115] op_sel:[0,1]
	v_pk_mov_b32 v[70:71], v[118:119], v[118:119] op_sel:[0,1]
	v_pk_mov_b32 v[68:69], v[116:117], v[116:117] op_sel:[0,1]
	v_mov_b32_e32 v66, v13
	v_pk_mov_b32 v[102:103], v[70:71], v[70:71] op_sel:[0,1]
	v_pk_mov_b32 v[98:99], v[66:67], v[66:67] op_sel:[0,1]
	v_pk_mov_b32 v[96:97], v[64:65], v[64:65] op_sel:[0,1]
	v_pk_mov_b32 v[100:101], v[68:69], v[68:69] op_sel:[0,1]
	v_mov_b32_e32 v99, v12
	;; [unrolled: 5-line block ×5, first 2 shown]
	v_mov_b32_e32 v25, v17
	v_mov_b32_e32 v36, v12
	;; [unrolled: 1-line block ×4, first 2 shown]
	v_swap_b32 v151, v37
.LBB2118_144:
	s_or_b64 exec, exec, s[44:45]
	v_mov_b32_e32 v13, v36
	s_or_b64 exec, exec, s[36:37]
	s_and_saveexec_b64 s[36:37], s[26:27]
	s_cbranch_execz .LBB2118_121
.LBB2118_145:
	v_cmp_lt_f16_e64 s[12:13], v161, v160
	v_mov_b32_e32 v36, v15
	s_and_saveexec_b64 s[44:45], s[12:13]
	s_cbranch_execz .LBB2118_147
; %bb.146:
	v_pk_mov_b32 v[26:27], v[96:97], v[96:97] op_sel:[0,1]
	v_pk_mov_b32 v[30:31], v[100:101], v[100:101] op_sel:[0,1]
	v_pk_mov_b32 v[32:33], v[102:103], v[102:103] op_sel:[0,1]
	v_pk_mov_b32 v[28:29], v[98:99], v[98:99] op_sel:[0,1]
	v_mov_b32_e32 v30, v15
	v_pk_mov_b32 v[86:87], v[32:33], v[32:33] op_sel:[0,1]
	v_pk_mov_b32 v[84:85], v[30:31], v[30:31] op_sel:[0,1]
	v_pk_mov_b32 v[80:81], v[26:27], v[26:27] op_sel:[0,1]
	v_pk_mov_b32 v[82:83], v[28:29], v[28:29] op_sel:[0,1]
	v_mov_b32_e32 v85, v14
	;; [unrolled: 5-line block ×3, first 2 shown]
	v_mov_b32_e32 v25, v17
	v_mov_b32_e32 v36, v14
	;; [unrolled: 1-line block ×4, first 2 shown]
	v_swap_b32 v160, v161
.LBB2118_147:
	s_or_b64 exec, exec, s[44:45]
	v_mov_b32_e32 v15, v36
	s_or_b64 exec, exec, s[36:37]
	v_cndmask_b32_e64 v3, v165, v3, s[34:35]
	s_and_saveexec_b64 s[34:35], s[22:23]
	s_cbranch_execz .LBB2118_122
.LBB2118_148:
	v_cmp_lt_f16_e64 s[12:13], v3, v162
	v_mov_b32_e32 v36, v17
	s_and_saveexec_b64 s[36:37], s[12:13]
; %bb.149:
	v_pk_mov_b32 v[18:19], v[80:81], v[80:81] op_sel:[0,1]
	v_pk_mov_b32 v[24:25], v[86:87], v[86:87] op_sel:[0,1]
	;; [unrolled: 1-line block ×4, first 2 shown]
	v_mov_b32_e32 v24, v17
	v_mov_b32_e32 v25, v16
	;; [unrolled: 1-line block ×5, first 2 shown]
	v_swap_b32 v162, v3
; %bb.150:
	s_or_b64 exec, exec, s[36:37]
	v_mov_b32_e32 v17, v36
	s_or_b64 exec, exec, s[34:35]
	s_and_saveexec_b64 s[34:35], s[8:9]
	s_cbranch_execz .LBB2118_123
.LBB2118_151:
	v_cmp_lt_f16_e64 s[12:13], v151, v150
	v_mov_b32_e32 v36, v12
	s_and_saveexec_b64 s[36:37], s[12:13]
	s_cbranch_execz .LBB2118_153
; %bb.152:
	v_pk_mov_b32 v[118:119], v[54:55], v[54:55] op_sel:[0,1]
	v_pk_mov_b32 v[112:113], v[48:49], v[48:49] op_sel:[0,1]
	v_mov_b32_e32 v113, v12
	v_pk_mov_b32 v[116:117], v[52:53], v[52:53] op_sel:[0,1]
	v_pk_mov_b32 v[114:115], v[50:51], v[50:51] op_sel:[0,1]
	v_pk_mov_b32 v[64:65], v[112:113], v[112:113] op_sel:[0,1]
	v_pk_mov_b32 v[66:67], v[114:115], v[114:115] op_sel:[0,1]
	v_pk_mov_b32 v[70:71], v[118:119], v[118:119] op_sel:[0,1]
	v_pk_mov_b32 v[68:69], v[116:117], v[116:117] op_sel:[0,1]
	v_mov_b32_e32 v66, v11
	v_pk_mov_b32 v[102:103], v[70:71], v[70:71] op_sel:[0,1]
	v_pk_mov_b32 v[98:99], v[66:67], v[66:67] op_sel:[0,1]
	v_pk_mov_b32 v[96:97], v[64:65], v[64:65] op_sel:[0,1]
	v_pk_mov_b32 v[100:101], v[68:69], v[68:69] op_sel:[0,1]
	v_mov_b32_e32 v99, v13
	v_pk_mov_b32 v[26:27], v[96:97], v[96:97] op_sel:[0,1]
	v_pk_mov_b32 v[30:31], v[100:101], v[100:101] op_sel:[0,1]
	v_pk_mov_b32 v[32:33], v[102:103], v[102:103] op_sel:[0,1]
	v_pk_mov_b32 v[28:29], v[98:99], v[98:99] op_sel:[0,1]
	;; [unrolled: 5-line block ×4, first 2 shown]
	v_mov_b32_e32 v24, v16
	v_mov_b32_e32 v25, v17
	;; [unrolled: 1-line block ×5, first 2 shown]
	v_swap_b32 v150, v151
.LBB2118_153:
	s_or_b64 exec, exec, s[36:37]
	v_mov_b32_e32 v12, v36
	s_or_b64 exec, exec, s[34:35]
	s_and_saveexec_b64 s[34:35], s[20:21]
	s_cbranch_execz .LBB2118_124
.LBB2118_154:
	v_cmp_lt_f16_e64 s[12:13], v160, v37
	v_mov_b32_e32 v36, v14
	s_and_saveexec_b64 s[36:37], s[12:13]
	s_cbranch_execz .LBB2118_156
; %bb.155:
	v_pk_mov_b32 v[102:103], v[70:71], v[70:71] op_sel:[0,1]
	v_pk_mov_b32 v[98:99], v[66:67], v[66:67] op_sel:[0,1]
	v_pk_mov_b32 v[96:97], v[64:65], v[64:65] op_sel:[0,1]
	v_pk_mov_b32 v[100:101], v[68:69], v[68:69] op_sel:[0,1]
	v_mov_b32_e32 v99, v14
	v_pk_mov_b32 v[26:27], v[96:97], v[96:97] op_sel:[0,1]
	v_pk_mov_b32 v[30:31], v[100:101], v[100:101] op_sel:[0,1]
	v_pk_mov_b32 v[32:33], v[102:103], v[102:103] op_sel:[0,1]
	v_pk_mov_b32 v[28:29], v[98:99], v[98:99] op_sel:[0,1]
	v_mov_b32_e32 v30, v13
	;; [unrolled: 5-line block ×4, first 2 shown]
	v_mov_b32_e32 v25, v17
	v_mov_b32_e32 v36, v13
	;; [unrolled: 1-line block ×4, first 2 shown]
	v_swap_b32 v37, v160
.LBB2118_156:
	s_or_b64 exec, exec, s[36:37]
	v_mov_b32_e32 v14, v36
	s_or_b64 exec, exec, s[34:35]
	s_and_saveexec_b64 s[34:35], s[24:25]
	s_cbranch_execz .LBB2118_125
.LBB2118_157:
	v_cmp_lt_f16_e64 s[12:13], v162, v161
	v_mov_b32_e32 v36, v16
	s_and_saveexec_b64 s[36:37], s[12:13]
	s_cbranch_execz .LBB2118_159
; %bb.158:
	v_pk_mov_b32 v[86:87], v[32:33], v[32:33] op_sel:[0,1]
	v_pk_mov_b32 v[84:85], v[30:31], v[30:31] op_sel:[0,1]
	;; [unrolled: 1-line block ×4, first 2 shown]
	v_mov_b32_e32 v85, v16
	v_pk_mov_b32 v[18:19], v[80:81], v[80:81] op_sel:[0,1]
	v_pk_mov_b32 v[24:25], v[86:87], v[86:87] op_sel:[0,1]
	;; [unrolled: 1-line block ×4, first 2 shown]
	v_mov_b32_e32 v24, v15
	v_mov_b32_e32 v25, v17
	v_mov_b32_e32 v36, v15
	v_mov_b32_e32 v15, v16
	v_mov_b32_e32 v16, v161
	v_swap_b32 v161, v162
.LBB2118_159:
	s_or_b64 exec, exec, s[36:37]
	v_mov_b32_e32 v16, v36
	s_or_b64 exec, exec, s[34:35]
	s_and_saveexec_b64 s[34:35], s[30:31]
	s_cbranch_execz .LBB2118_126
.LBB2118_160:
	v_cmp_lt_f16_e64 s[12:13], v150, v2
	v_mov_b32_e32 v36, v11
	s_and_saveexec_b64 s[36:37], s[12:13]
	s_cbranch_execz .LBB2118_162
; %bb.161:
	v_mov_b32_e32 v48, v11
	v_mov_b32_e32 v49, v10
	;; [unrolled: 1-line block ×11, first 2 shown]
	v_pk_mov_b32 v[118:119], v[54:55], v[54:55] op_sel:[0,1]
	v_pk_mov_b32 v[70:71], v[54:55], v[54:55] op_sel:[0,1]
	;; [unrolled: 1-line block ×6, first 2 shown]
	v_mov_b32_e32 v2, v150
	v_pk_mov_b32 v[116:117], v[52:53], v[52:53] op_sel:[0,1]
	v_pk_mov_b32 v[114:115], v[50:51], v[50:51] op_sel:[0,1]
	;; [unrolled: 1-line block ×18, first 2 shown]
	v_mov_b32_e32 v150, v11
.LBB2118_162:
	s_or_b64 exec, exec, s[36:37]
	v_mov_b32_e32 v11, v36
	s_or_b64 exec, exec, s[34:35]
	s_and_saveexec_b64 s[34:35], s[28:29]
	s_cbranch_execz .LBB2118_127
.LBB2118_163:
	v_cmp_lt_f16_e64 s[12:13], v37, v151
	v_mov_b32_e32 v36, v13
	s_and_saveexec_b64 s[36:37], s[12:13]
	s_cbranch_execz .LBB2118_165
; %bb.164:
	v_pk_mov_b32 v[64:65], v[112:113], v[112:113] op_sel:[0,1]
	v_pk_mov_b32 v[66:67], v[114:115], v[114:115] op_sel:[0,1]
	v_pk_mov_b32 v[70:71], v[118:119], v[118:119] op_sel:[0,1]
	v_pk_mov_b32 v[68:69], v[116:117], v[116:117] op_sel:[0,1]
	v_mov_b32_e32 v66, v13
	v_pk_mov_b32 v[102:103], v[70:71], v[70:71] op_sel:[0,1]
	v_pk_mov_b32 v[98:99], v[66:67], v[66:67] op_sel:[0,1]
	v_pk_mov_b32 v[96:97], v[64:65], v[64:65] op_sel:[0,1]
	v_pk_mov_b32 v[100:101], v[68:69], v[68:69] op_sel:[0,1]
	v_mov_b32_e32 v99, v12
	;; [unrolled: 5-line block ×5, first 2 shown]
	v_mov_b32_e32 v25, v17
	v_mov_b32_e32 v36, v12
	;; [unrolled: 1-line block ×4, first 2 shown]
	v_swap_b32 v151, v37
.LBB2118_165:
	s_or_b64 exec, exec, s[36:37]
	v_mov_b32_e32 v13, v36
	s_or_b64 exec, exec, s[34:35]
	s_and_saveexec_b64 s[34:35], s[26:27]
	s_cbranch_execz .LBB2118_128
.LBB2118_166:
	v_cmp_lt_f16_e64 s[12:13], v161, v160
	v_mov_b32_e32 v36, v15
	s_and_saveexec_b64 s[36:37], s[12:13]
	s_cbranch_execz .LBB2118_168
; %bb.167:
	v_pk_mov_b32 v[26:27], v[96:97], v[96:97] op_sel:[0,1]
	v_pk_mov_b32 v[30:31], v[100:101], v[100:101] op_sel:[0,1]
	v_pk_mov_b32 v[32:33], v[102:103], v[102:103] op_sel:[0,1]
	v_pk_mov_b32 v[28:29], v[98:99], v[98:99] op_sel:[0,1]
	v_mov_b32_e32 v30, v15
	v_pk_mov_b32 v[86:87], v[32:33], v[32:33] op_sel:[0,1]
	v_pk_mov_b32 v[84:85], v[30:31], v[30:31] op_sel:[0,1]
	v_pk_mov_b32 v[80:81], v[26:27], v[26:27] op_sel:[0,1]
	v_pk_mov_b32 v[82:83], v[28:29], v[28:29] op_sel:[0,1]
	v_mov_b32_e32 v85, v14
	;; [unrolled: 5-line block ×3, first 2 shown]
	v_mov_b32_e32 v25, v17
	v_mov_b32_e32 v36, v14
	;; [unrolled: 1-line block ×4, first 2 shown]
	v_swap_b32 v160, v161
.LBB2118_168:
	s_or_b64 exec, exec, s[36:37]
	v_mov_b32_e32 v15, v36
	s_or_b64 exec, exec, s[34:35]
	s_and_saveexec_b64 s[34:35], s[22:23]
	s_cbranch_execz .LBB2118_129
.LBB2118_169:
	v_cmp_lt_f16_e64 s[12:13], v3, v162
	v_mov_b32_e32 v36, v17
	s_and_saveexec_b64 s[36:37], s[12:13]
; %bb.170:
	v_pk_mov_b32 v[18:19], v[80:81], v[80:81] op_sel:[0,1]
	v_pk_mov_b32 v[24:25], v[86:87], v[86:87] op_sel:[0,1]
	v_pk_mov_b32 v[20:21], v[82:83], v[82:83] op_sel:[0,1]
	v_pk_mov_b32 v[22:23], v[84:85], v[84:85] op_sel:[0,1]
	v_mov_b32_e32 v24, v17
	v_mov_b32_e32 v25, v16
	;; [unrolled: 1-line block ×5, first 2 shown]
	v_swap_b32 v162, v3
; %bb.171:
	s_or_b64 exec, exec, s[36:37]
	v_mov_b32_e32 v17, v36
	s_or_b64 exec, exec, s[34:35]
	s_and_saveexec_b64 s[34:35], s[8:9]
	s_cbranch_execz .LBB2118_130
.LBB2118_172:
	v_cmp_lt_f16_e64 s[12:13], v151, v150
	v_mov_b32_e32 v36, v12
	s_and_saveexec_b64 s[36:37], s[12:13]
	s_cbranch_execz .LBB2118_174
; %bb.173:
	v_pk_mov_b32 v[118:119], v[54:55], v[54:55] op_sel:[0,1]
	v_pk_mov_b32 v[112:113], v[48:49], v[48:49] op_sel:[0,1]
	v_mov_b32_e32 v113, v12
	v_pk_mov_b32 v[116:117], v[52:53], v[52:53] op_sel:[0,1]
	v_pk_mov_b32 v[114:115], v[50:51], v[50:51] op_sel:[0,1]
	v_pk_mov_b32 v[64:65], v[112:113], v[112:113] op_sel:[0,1]
	v_pk_mov_b32 v[66:67], v[114:115], v[114:115] op_sel:[0,1]
	v_pk_mov_b32 v[70:71], v[118:119], v[118:119] op_sel:[0,1]
	v_pk_mov_b32 v[68:69], v[116:117], v[116:117] op_sel:[0,1]
	v_mov_b32_e32 v66, v11
	v_pk_mov_b32 v[102:103], v[70:71], v[70:71] op_sel:[0,1]
	v_pk_mov_b32 v[98:99], v[66:67], v[66:67] op_sel:[0,1]
	v_pk_mov_b32 v[96:97], v[64:65], v[64:65] op_sel:[0,1]
	v_pk_mov_b32 v[100:101], v[68:69], v[68:69] op_sel:[0,1]
	v_mov_b32_e32 v99, v13
	v_pk_mov_b32 v[26:27], v[96:97], v[96:97] op_sel:[0,1]
	v_pk_mov_b32 v[30:31], v[100:101], v[100:101] op_sel:[0,1]
	v_pk_mov_b32 v[32:33], v[102:103], v[102:103] op_sel:[0,1]
	v_pk_mov_b32 v[28:29], v[98:99], v[98:99] op_sel:[0,1]
	;; [unrolled: 5-line block ×4, first 2 shown]
	v_mov_b32_e32 v24, v16
	v_mov_b32_e32 v25, v17
	;; [unrolled: 1-line block ×5, first 2 shown]
	v_swap_b32 v150, v151
.LBB2118_174:
	s_or_b64 exec, exec, s[36:37]
	v_mov_b32_e32 v12, v36
	s_or_b64 exec, exec, s[34:35]
	s_and_saveexec_b64 s[34:35], s[20:21]
	s_cbranch_execz .LBB2118_131
.LBB2118_175:
	v_cmp_lt_f16_e64 s[12:13], v160, v37
	v_mov_b32_e32 v36, v14
	s_and_saveexec_b64 s[36:37], s[12:13]
	s_cbranch_execz .LBB2118_177
; %bb.176:
	v_pk_mov_b32 v[102:103], v[70:71], v[70:71] op_sel:[0,1]
	v_pk_mov_b32 v[98:99], v[66:67], v[66:67] op_sel:[0,1]
	v_pk_mov_b32 v[96:97], v[64:65], v[64:65] op_sel:[0,1]
	v_pk_mov_b32 v[100:101], v[68:69], v[68:69] op_sel:[0,1]
	v_mov_b32_e32 v99, v14
	v_pk_mov_b32 v[26:27], v[96:97], v[96:97] op_sel:[0,1]
	v_pk_mov_b32 v[30:31], v[100:101], v[100:101] op_sel:[0,1]
	v_pk_mov_b32 v[32:33], v[102:103], v[102:103] op_sel:[0,1]
	v_pk_mov_b32 v[28:29], v[98:99], v[98:99] op_sel:[0,1]
	v_mov_b32_e32 v30, v13
	;; [unrolled: 5-line block ×4, first 2 shown]
	v_mov_b32_e32 v25, v17
	v_mov_b32_e32 v36, v13
	v_mov_b32_e32 v13, v14
	v_mov_b32_e32 v14, v37
	v_swap_b32 v37, v160
.LBB2118_177:
	s_or_b64 exec, exec, s[36:37]
	v_mov_b32_e32 v14, v36
	s_or_b64 exec, exec, s[34:35]
	s_and_saveexec_b64 s[34:35], s[24:25]
	s_cbranch_execz .LBB2118_132
.LBB2118_178:
	v_cmp_lt_f16_e64 s[12:13], v162, v161
	v_mov_b32_e32 v36, v16
	s_and_saveexec_b64 s[36:37], s[12:13]
	s_cbranch_execz .LBB2118_180
; %bb.179:
	v_pk_mov_b32 v[86:87], v[32:33], v[32:33] op_sel:[0,1]
	v_pk_mov_b32 v[84:85], v[30:31], v[30:31] op_sel:[0,1]
	;; [unrolled: 1-line block ×4, first 2 shown]
	v_mov_b32_e32 v85, v16
	v_pk_mov_b32 v[18:19], v[80:81], v[80:81] op_sel:[0,1]
	v_pk_mov_b32 v[24:25], v[86:87], v[86:87] op_sel:[0,1]
	;; [unrolled: 1-line block ×4, first 2 shown]
	v_mov_b32_e32 v24, v15
	v_mov_b32_e32 v25, v17
	;; [unrolled: 1-line block ×5, first 2 shown]
	v_swap_b32 v161, v162
.LBB2118_180:
	s_or_b64 exec, exec, s[36:37]
	v_mov_b32_e32 v16, v36
	s_or_b64 exec, exec, s[34:35]
	s_and_saveexec_b64 s[34:35], s[30:31]
	s_cbranch_execz .LBB2118_133
.LBB2118_181:
	v_cmp_lt_f16_e64 s[12:13], v150, v2
	v_mov_b32_e32 v36, v11
	s_and_saveexec_b64 s[30:31], s[12:13]
	s_cbranch_execz .LBB2118_183
; %bb.182:
	v_mov_b32_e32 v48, v11
	v_mov_b32_e32 v49, v10
	;; [unrolled: 1-line block ×11, first 2 shown]
	v_pk_mov_b32 v[118:119], v[54:55], v[54:55] op_sel:[0,1]
	v_pk_mov_b32 v[70:71], v[54:55], v[54:55] op_sel:[0,1]
	;; [unrolled: 1-line block ×6, first 2 shown]
	v_mov_b32_e32 v2, v150
	v_pk_mov_b32 v[116:117], v[52:53], v[52:53] op_sel:[0,1]
	v_pk_mov_b32 v[114:115], v[50:51], v[50:51] op_sel:[0,1]
	;; [unrolled: 1-line block ×17, first 2 shown]
	v_mov_b32_e32 v150, v11
	v_pk_mov_b32 v[32:33], v[54:55], v[54:55] op_sel:[0,1]
.LBB2118_183:
	s_or_b64 exec, exec, s[30:31]
	v_mov_b32_e32 v11, v36
	s_or_b64 exec, exec, s[34:35]
	s_and_saveexec_b64 s[30:31], s[28:29]
	s_cbranch_execz .LBB2118_134
.LBB2118_184:
	v_cmp_lt_f16_e64 s[12:13], v37, v151
	v_mov_b32_e32 v31, v13
	s_and_saveexec_b64 s[28:29], s[12:13]
	s_cbranch_execz .LBB2118_186
; %bb.185:
	v_mov_b32_e32 v114, v13
	v_pk_mov_b32 v[96:97], v[112:113], v[112:113] op_sel:[0,1]
	v_pk_mov_b32 v[98:99], v[114:115], v[114:115] op_sel:[0,1]
	v_pk_mov_b32 v[100:101], v[116:117], v[116:117] op_sel:[0,1]
	v_pk_mov_b32 v[102:103], v[118:119], v[118:119] op_sel:[0,1]
	v_mov_b32_e32 v99, v12
	v_pk_mov_b32 v[26:27], v[96:97], v[96:97] op_sel:[0,1]
	v_pk_mov_b32 v[30:31], v[100:101], v[100:101] op_sel:[0,1]
	v_pk_mov_b32 v[32:33], v[102:103], v[102:103] op_sel:[0,1]
	v_pk_mov_b32 v[28:29], v[98:99], v[98:99] op_sel:[0,1]
	;; [unrolled: 5-line block ×4, first 2 shown]
	v_pk_mov_b32 v[22:23], v[84:85], v[84:85] op_sel:[0,1]
	v_mov_b32_e32 v24, v16
	v_mov_b32_e32 v25, v17
	;; [unrolled: 1-line block ×5, first 2 shown]
	v_swap_b32 v151, v37
	v_pk_mov_b32 v[66:67], v[114:115], v[114:115] op_sel:[0,1]
	v_pk_mov_b32 v[68:69], v[116:117], v[116:117] op_sel:[0,1]
	;; [unrolled: 1-line block ×3, first 2 shown]
.LBB2118_186:
	s_or_b64 exec, exec, s[28:29]
	v_mov_b32_e32 v13, v31
	s_or_b64 exec, exec, s[30:31]
	s_and_saveexec_b64 s[28:29], s[26:27]
	s_cbranch_execz .LBB2118_135
.LBB2118_187:
	v_cmp_lt_f16_e64 s[12:13], v161, v160
	v_mov_b32_e32 v36, v15
	s_and_saveexec_b64 s[26:27], s[12:13]
	s_cbranch_execz .LBB2118_189
; %bb.188:
	v_mov_b32_e32 v100, v15
	v_pk_mov_b32 v[80:81], v[96:97], v[96:97] op_sel:[0,1]
	v_pk_mov_b32 v[84:85], v[100:101], v[100:101] op_sel:[0,1]
	;; [unrolled: 1-line block ×4, first 2 shown]
	v_mov_b32_e32 v85, v14
	v_pk_mov_b32 v[18:19], v[80:81], v[80:81] op_sel:[0,1]
	v_pk_mov_b32 v[24:25], v[86:87], v[86:87] op_sel:[0,1]
	;; [unrolled: 1-line block ×5, first 2 shown]
	v_mov_b32_e32 v24, v16
	v_mov_b32_e32 v25, v17
	;; [unrolled: 1-line block ×5, first 2 shown]
	v_swap_b32 v160, v161
	v_pk_mov_b32 v[28:29], v[98:99], v[98:99] op_sel:[0,1]
	v_pk_mov_b32 v[30:31], v[100:101], v[100:101] op_sel:[0,1]
	;; [unrolled: 1-line block ×3, first 2 shown]
.LBB2118_189:
	s_or_b64 exec, exec, s[26:27]
	v_mov_b32_e32 v15, v36
	s_or_b64 exec, exec, s[28:29]
	s_and_saveexec_b64 s[26:27], s[22:23]
	s_cbranch_execz .LBB2118_136
.LBB2118_190:
	v_cmp_lt_f16_e64 s[12:13], v3, v162
	v_mov_b32_e32 v31, v17
	s_and_saveexec_b64 s[22:23], s[12:13]
; %bb.191:
	v_mov_b32_e32 v86, v17
	v_mov_b32_e32 v87, v16
	v_pk_mov_b32 v[18:19], v[80:81], v[80:81] op_sel:[0,1]
	v_mov_b32_e32 v31, v16
	v_mov_b32_e32 v16, v17
	v_mov_b32_e32 v17, v162
	v_swap_b32 v162, v3
	v_pk_mov_b32 v[20:21], v[82:83], v[82:83] op_sel:[0,1]
	v_pk_mov_b32 v[22:23], v[84:85], v[84:85] op_sel:[0,1]
	v_pk_mov_b32 v[24:25], v[86:87], v[86:87] op_sel:[0,1]
; %bb.192:
	s_or_b64 exec, exec, s[22:23]
	v_mov_b32_e32 v17, v31
	s_or_b64 exec, exec, s[26:27]
	s_and_saveexec_b64 s[12:13], s[8:9]
	s_cbranch_execz .LBB2118_137
.LBB2118_193:
	v_cmp_lt_f16_e64 s[8:9], v151, v150
	v_mov_b32_e32 v31, v12
	s_and_saveexec_b64 s[22:23], s[8:9]
	s_cbranch_execz .LBB2118_195
; %bb.194:
	v_mov_b32_e32 v49, v12
	v_mov_b32_e32 v50, v11
	v_pk_mov_b32 v[26:27], v[48:49], v[48:49] op_sel:[0,1]
	v_pk_mov_b32 v[28:29], v[50:51], v[50:51] op_sel:[0,1]
	;; [unrolled: 1-line block ×4, first 2 shown]
	v_mov_b32_e32 v29, v13
	v_mov_b32_e32 v30, v14
	v_pk_mov_b32 v[18:19], v[26:27], v[26:27] op_sel:[0,1]
	v_pk_mov_b32 v[22:23], v[30:31], v[30:31] op_sel:[0,1]
	;; [unrolled: 1-line block ×5, first 2 shown]
	v_mov_b32_e32 v23, v15
	v_mov_b32_e32 v24, v16
	;; [unrolled: 1-line block ×6, first 2 shown]
	v_swap_b32 v150, v151
	v_pk_mov_b32 v[68:69], v[52:53], v[52:53] op_sel:[0,1]
	v_pk_mov_b32 v[66:67], v[50:51], v[50:51] op_sel:[0,1]
	;; [unrolled: 1-line block ×3, first 2 shown]
.LBB2118_195:
	s_or_b64 exec, exec, s[22:23]
	v_mov_b32_e32 v12, v31
	s_or_b64 exec, exec, s[12:13]
	s_and_saveexec_b64 s[12:13], s[20:21]
	s_cbranch_execz .LBB2118_138
.LBB2118_196:
	v_cmp_lt_f16_e64 s[8:9], v160, v37
	v_mov_b32_e32 v36, v14
	s_and_saveexec_b64 s[20:21], s[8:9]
	s_cbranch_execz .LBB2118_198
; %bb.197:
	v_mov_b32_e32 v67, v14
	v_mov_b32_e32 v68, v13
	v_pk_mov_b32 v[18:19], v[64:65], v[64:65] op_sel:[0,1]
	v_pk_mov_b32 v[22:23], v[68:69], v[68:69] op_sel:[0,1]
	;; [unrolled: 1-line block ×5, first 2 shown]
	v_mov_b32_e32 v23, v15
	v_mov_b32_e32 v24, v16
	v_mov_b32_e32 v25, v17
	v_mov_b32_e32 v36, v13
	v_mov_b32_e32 v13, v14
	v_mov_b32_e32 v14, v37
	v_swap_b32 v37, v160
	v_pk_mov_b32 v[28:29], v[66:67], v[66:67] op_sel:[0,1]
	v_pk_mov_b32 v[30:31], v[68:69], v[68:69] op_sel:[0,1]
	;; [unrolled: 1-line block ×3, first 2 shown]
.LBB2118_198:
	s_or_b64 exec, exec, s[20:21]
	v_mov_b32_e32 v14, v36
	s_or_b64 exec, exec, s[12:13]
	s_and_saveexec_b64 s[12:13], s[24:25]
	s_cbranch_execz .LBB2118_202
.LBB2118_199:
	v_cmp_lt_f16_e64 s[8:9], v162, v161
	v_mov_b32_e32 v36, v16
	s_and_saveexec_b64 s[20:21], s[8:9]
; %bb.200:
	v_mov_b32_e32 v31, v16
	v_mov_b32_e32 v32, v15
	;; [unrolled: 1-line block ×3, first 2 shown]
	v_pk_mov_b32 v[18:19], v[26:27], v[26:27] op_sel:[0,1]
	v_mov_b32_e32 v36, v15
	v_mov_b32_e32 v15, v16
	;; [unrolled: 1-line block ×3, first 2 shown]
	v_swap_b32 v161, v162
	v_pk_mov_b32 v[20:21], v[28:29], v[28:29] op_sel:[0,1]
	v_pk_mov_b32 v[22:23], v[30:31], v[30:31] op_sel:[0,1]
	v_pk_mov_b32 v[24:25], v[32:33], v[32:33] op_sel:[0,1]
; %bb.201:
	s_or_b64 exec, exec, s[20:21]
	v_mov_b32_e32 v16, v36
.LBB2118_202:
	s_or_b64 exec, exec, s[12:13]
	v_mbcnt_lo_u32_b32 v26, -1, 0
	v_mbcnt_hi_u32_b32 v28, -1, v26
	v_and_b32_e32 v26, 0xfffffe00, v164
	v_lshlrev_b32_e32 v27, 1, v26
	v_sub_u32_e64 v49, v0, v26 clamp
	v_add_u32_e32 v26, v27, v27
	v_lshl_add_u32 v52, v28, 5, v26
	s_mov_b32 s8, 0x5040100
	v_lshlrev_b32_e32 v50, 3, v28
	v_lshl_add_u32 v51, v28, 4, v27
	ds_write_b128 v52, v[18:21] offset:4096
	v_perm_b32 v21, v3, v162, s8
	v_perm_b32 v20, v161, v160, s8
	;; [unrolled: 1-line block ×4, first 2 shown]
	ds_write_b128 v51, v[18:21]
	ds_write_b128 v52, v[22:25] offset:4112
	v_or_b32_e32 v18, 8, v50
	v_min_u32_e32 v19, v49, v18
	v_add_u32_e32 v18, 8, v19
	v_and_b32_e32 v23, 0x3f0, v50
	v_min_u32_e32 v20, v49, v18
	v_and_b32_e32 v18, 8, v50
	v_min_u32_e32 v24, v49, v18
	v_sub_u32_e32 v18, v19, v23
	v_sub_u32_e32 v22, v20, v19
	v_sub_u32_e64 v22, v24, v22 clamp
	v_min_u32_e32 v18, v24, v18
	v_lshl_add_u32 v21, v23, 1, v27
	v_cmp_lt_u32_e64 s[8:9], v22, v18
	; wave barrier
	s_and_saveexec_b64 s[12:13], s[8:9]
	s_cbranch_execz .LBB2118_206
; %bb.203:
	v_lshlrev_b32_e32 v25, 1, v19
	v_lshlrev_b32_e32 v28, 1, v24
	v_add3_u32 v25, v27, v25, v28
	s_mov_b64 s[20:21], 0
.LBB2118_204:                           ; =>This Inner Loop Header: Depth=1
	v_add_u32_e32 v28, v18, v22
	v_lshrrev_b32_e32 v29, 1, v28
	v_and_b32_e32 v28, -2, v28
	v_not_b32_e32 v30, v29
	v_add_u32_e32 v28, v21, v28
	v_lshl_add_u32 v30, v30, 1, v25
	ds_read_u16 v28, v28
	ds_read_u16 v30, v30
	v_add_u32_e32 v31, 1, v29
	s_waitcnt lgkmcnt(0)
	v_cmp_lt_f16_e64 s[8:9], v30, v28
	v_cndmask_b32_e64 v18, v18, v29, s[8:9]
	v_cndmask_b32_e64 v22, v31, v22, s[8:9]
	v_cmp_ge_u32_e64 s[8:9], v22, v18
	s_or_b64 s[20:21], s[8:9], s[20:21]
	s_andn2_b64 exec, exec, s[20:21]
	s_cbranch_execnz .LBB2118_204
; %bb.205:
	s_or_b64 exec, exec, s[20:21]
.LBB2118_206:
	s_or_b64 exec, exec, s[12:13]
	v_add_u32_e32 v24, v19, v24
	v_add_u32_e32 v23, v22, v23
	v_sub_u32_e32 v24, v24, v22
	v_cmp_le_u32_e64 s[8:9], v23, v19
	v_cmp_le_u32_e64 s[12:13], v24, v20
	v_lshrrev_b32_e32 v48, 5, v34
	v_lshrrev_b32_e32 v36, 5, v163
	;; [unrolled: 1-line block ×8, first 2 shown]
	v_add_u32_e32 v18, 0x1000, v52
	s_or_b64 s[8:9], s[8:9], s[12:13]
	s_and_saveexec_b64 s[36:37], s[8:9]
	s_cbranch_execz .LBB2118_212
; %bb.207:
	v_cmp_lt_u32_e64 s[8:9], v23, v19
                                        ; implicit-def: $vgpr2
	s_and_saveexec_b64 s[12:13], s[8:9]
	s_cbranch_execz .LBB2118_209
; %bb.208:
	v_lshl_add_u32 v2, v22, 1, v21
	ds_read_u16 v2, v2
.LBB2118_209:
	s_or_b64 exec, exec, s[12:13]
	v_cmp_ge_u32_e64 s[20:21], v24, v20
	v_cmp_lt_u32_e64 s[12:13], v24, v20
                                        ; implicit-def: $vgpr3
	s_and_saveexec_b64 s[22:23], s[12:13]
	s_cbranch_execz .LBB2118_211
; %bb.210:
	v_lshl_add_u32 v3, v24, 1, v27
	ds_read_u16 v3, v3
.LBB2118_211:
	s_or_b64 exec, exec, s[22:23]
	s_waitcnt lgkmcnt(0)
	v_cmp_nlt_f16_e64 s[12:13], v3, v2
	s_and_b64 s[8:9], s[8:9], s[12:13]
	s_or_b64 s[8:9], s[20:21], s[8:9]
	v_cndmask_b32_e64 v10, v24, v23, s[8:9]
	v_cndmask_b32_e64 v11, v20, v19, s[8:9]
	v_add_u32_e32 v12, 1, v10
	v_add_u32_e32 v11, -1, v11
	v_min_u32_e32 v11, v12, v11
	v_lshl_add_u32 v11, v11, 1, v27
	ds_read_u16 v11, v11
	v_lshl_add_u32 v10, v10, 2, v26
	ds_read_b32 v10, v10 offset:4096
	v_cndmask_b32_e64 v13, v12, v24, s[8:9]
	v_cmp_ge_u32_e64 s[12:13], v13, v20
	s_waitcnt lgkmcnt(1)
	v_cndmask_b32_e64 v17, v11, v3, s[8:9]
	v_cndmask_b32_e64 v21, v2, v11, s[8:9]
	;; [unrolled: 1-line block ×3, first 2 shown]
	v_cmp_lt_u32_e64 s[20:21], v11, v19
	v_cmp_nlt_f16_e64 s[22:23], v17, v21
	s_and_b64 s[20:21], s[20:21], s[22:23]
	s_or_b64 s[20:21], s[12:13], s[20:21]
	v_cndmask_b32_e64 v12, v13, v11, s[20:21]
	v_cndmask_b32_e64 v14, v20, v19, s[20:21]
	v_add_u32_e32 v15, 1, v12
	v_add_u32_e32 v14, -1, v14
	v_min_u32_e32 v14, v15, v14
	v_lshl_add_u32 v14, v14, 1, v27
	ds_read_u16 v14, v14
	v_cndmask_b32_e64 v11, v11, v15, s[20:21]
	v_cndmask_b32_e64 v13, v15, v13, s[20:21]
	v_cmp_lt_u32_e64 s[22:23], v11, v19
	v_cmp_ge_u32_e64 s[12:13], v13, v20
	s_waitcnt lgkmcnt(0)
	v_cndmask_b32_e64 v22, v14, v17, s[20:21]
	v_cndmask_b32_e64 v23, v21, v14, s[20:21]
	v_cmp_nlt_f16_e64 s[24:25], v22, v23
	s_and_b64 s[22:23], s[22:23], s[24:25]
	s_or_b64 s[22:23], s[12:13], s[22:23]
	v_cndmask_b32_e64 v14, v13, v11, s[22:23]
	v_cndmask_b32_e64 v15, v20, v19, s[22:23]
	v_add_u32_e32 v16, 1, v14
	v_add_u32_e32 v15, -1, v15
	v_min_u32_e32 v15, v16, v15
	v_lshl_add_u32 v15, v15, 1, v27
	ds_read_u16 v15, v15
	v_cndmask_b32_e64 v13, v16, v13, s[22:23]
	v_cmp_ge_u32_e64 s[12:13], v13, v20
	v_cndmask_b32_e64 v2, v3, v2, s[8:9]
	v_cndmask_b32_e64 v150, v17, v21, s[20:21]
	s_waitcnt lgkmcnt(0)
	v_cndmask_b32_e64 v24, v15, v22, s[22:23]
	v_cndmask_b32_e64 v25, v23, v15, s[22:23]
	;; [unrolled: 1-line block ×3, first 2 shown]
	v_cmp_lt_u32_e64 s[24:25], v15, v19
	v_cmp_nlt_f16_e64 s[26:27], v24, v25
	s_and_b64 s[24:25], s[24:25], s[26:27]
	s_or_b64 s[12:13], s[12:13], s[24:25]
	v_cndmask_b32_e64 v16, v13, v15, s[12:13]
	v_cndmask_b32_e64 v11, v20, v19, s[12:13]
	v_add_u32_e32 v37, 1, v16
	v_add_u32_e32 v11, -1, v11
	v_min_u32_e32 v11, v37, v11
	v_lshl_add_u32 v11, v11, 1, v27
	ds_read_u16 v53, v11
	v_cndmask_b32_e64 v55, v37, v13, s[12:13]
	v_lshl_add_u32 v13, v16, 2, v26
	ds_read_b32 v13, v13 offset:4096
	v_cndmask_b32_e64 v15, v15, v37, s[12:13]
	s_waitcnt lgkmcnt(1)
	v_cndmask_b32_e64 v54, v53, v24, s[12:13]
	v_cndmask_b32_e64 v53, v25, v53, s[12:13]
	v_cmp_lt_u32_e64 s[26:27], v15, v19
	v_cmp_nlt_f16_e64 s[28:29], v54, v53
	v_cmp_ge_u32_e64 s[24:25], v55, v20
	s_and_b64 s[26:27], s[26:27], s[28:29]
	s_or_b64 s[24:25], s[24:25], s[26:27]
	v_lshl_add_u32 v11, v12, 2, v26
	v_cndmask_b32_e64 v37, v55, v15, s[24:25]
	v_cndmask_b32_e64 v12, v20, v19, s[24:25]
	v_add_u32_e32 v64, 1, v37
	v_add_u32_e32 v12, -1, v12
	v_min_u32_e32 v12, v64, v12
	v_lshl_add_u32 v12, v12, 1, v27
	ds_read_b32 v11, v11 offset:4096
	ds_read_u16 v65, v12
	v_cndmask_b32_e64 v16, v64, v55, s[24:25]
	v_cndmask_b32_e64 v55, v15, v64, s[24:25]
	v_cmp_lt_u32_e64 s[28:29], v55, v19
	v_cmp_ge_u32_e64 s[26:27], v16, v20
	s_waitcnt lgkmcnt(0)
	v_cndmask_b32_e64 v66, v65, v54, s[24:25]
	v_cndmask_b32_e64 v65, v53, v65, s[24:25]
	v_cmp_nlt_f16_e64 s[30:31], v66, v65
	s_and_b64 s[28:29], s[28:29], s[30:31]
	s_or_b64 s[26:27], s[26:27], s[28:29]
	v_lshl_add_u32 v12, v14, 2, v26
	v_cndmask_b32_e64 v15, v16, v55, s[26:27]
	v_cndmask_b32_e64 v14, v20, v19, s[26:27]
	v_add_u32_e32 v64, 1, v15
	v_add_u32_e32 v14, -1, v14
	v_min_u32_e32 v14, v64, v14
	v_lshl_add_u32 v14, v14, 1, v27
	ds_read_b32 v12, v12 offset:4096
	ds_read_u16 v67, v14
	v_lshl_add_u32 v15, v15, 2, v26
	ds_read_b32 v15, v15 offset:4096
	v_cndmask_b32_e64 v55, v55, v64, s[26:27]
	v_cndmask_b32_e64 v69, v64, v16, s[26:27]
	s_waitcnt lgkmcnt(1)
	v_cndmask_b32_e64 v68, v67, v66, s[26:27]
	v_cndmask_b32_e64 v67, v65, v67, s[26:27]
	v_cmp_lt_u32_e64 s[30:31], v55, v19
	v_cmp_nlt_f16_e64 s[34:35], v68, v67
	v_cmp_ge_u32_e64 s[28:29], v69, v20
	s_and_b64 s[30:31], s[30:31], s[34:35]
	s_or_b64 s[28:29], s[28:29], s[30:31]
	v_lshl_add_u32 v14, v37, 2, v26
	v_cndmask_b32_e64 v16, v69, v55, s[28:29]
	v_cndmask_b32_e64 v37, v20, v19, s[28:29]
	v_lshl_add_u32 v64, v16, 2, v26
	v_add_u32_e32 v70, 1, v16
	v_add_u32_e32 v16, -1, v37
	v_min_u32_e32 v16, v70, v16
	ds_read_b32 v14, v14 offset:4096
	v_lshl_add_u32 v37, v16, 1, v27
	ds_read_b32 v16, v64 offset:4096
	ds_read_u16 v64, v37
	v_cndmask_b32_e64 v151, v22, v23, s[22:23]
	v_cndmask_b32_e64 v22, v55, v70, s[28:29]
	;; [unrolled: 1-line block ×4, first 2 shown]
	s_waitcnt lgkmcnt(0)
	v_cndmask_b32_e64 v3, v64, v68, s[28:29]
	v_cndmask_b32_e64 v21, v67, v64, s[28:29]
	v_cmp_lt_u32_e64 s[12:13], v22, v19
	v_cmp_nlt_f16_e64 s[20:21], v3, v21
	v_cmp_ge_u32_e64 s[8:9], v17, v20
	s_and_b64 s[12:13], s[12:13], s[20:21]
	s_or_b64 s[8:9], s[8:9], s[12:13]
	v_cndmask_b32_e64 v17, v17, v22, s[8:9]
	v_lshl_add_u32 v17, v17, 2, v26
	ds_read_b32 v17, v17 offset:4096
	v_cndmask_b32_e64 v160, v54, v53, s[24:25]
	v_cndmask_b32_e64 v161, v66, v65, s[26:27]
	;; [unrolled: 1-line block ×4, first 2 shown]
.LBB2118_212:
	s_or_b64 exec, exec, s[36:37]
	s_mov_b32 s8, 0x5040100
	v_perm_b32 v23, v3, v162, s8
	v_perm_b32 v22, v161, v160, s8
	;; [unrolled: 1-line block ×4, first 2 shown]
	; wave barrier
	ds_write_b128 v52, v[10:13] offset:4096
	ds_write_b128 v51, v[20:23]
	s_waitcnt lgkmcnt(2)
	ds_write_b128 v18, v[14:17] offset:16
	v_and_b32_e32 v23, 0x3e0, v50
	v_or_b32_e32 v19, 16, v23
	v_min_u32_e32 v19, v49, v19
	v_add_u32_e32 v20, 16, v19
	v_min_u32_e32 v20, v49, v20
	v_and_b32_e32 v21, 24, v50
	v_min_u32_e32 v24, v49, v21
	v_sub_u32_e32 v25, v19, v23
	v_sub_u32_e32 v22, v20, v19
	v_sub_u32_e64 v22, v24, v22 clamp
	v_min_u32_e32 v25, v24, v25
	v_lshl_add_u32 v21, v23, 1, v27
	v_cmp_lt_u32_e64 s[8:9], v22, v25
	; wave barrier
	s_and_saveexec_b64 s[12:13], s[8:9]
	s_cbranch_execz .LBB2118_216
; %bb.213:
	v_lshlrev_b32_e32 v53, 1, v19
	v_lshlrev_b32_e32 v54, 1, v24
	v_add3_u32 v53, v27, v53, v54
	s_mov_b64 s[20:21], 0
.LBB2118_214:                           ; =>This Inner Loop Header: Depth=1
	v_add_u32_e32 v54, v25, v22
	v_lshrrev_b32_e32 v55, 1, v54
	v_and_b32_e32 v54, -2, v54
	v_not_b32_e32 v64, v55
	v_add_u32_e32 v54, v21, v54
	v_lshl_add_u32 v64, v64, 1, v53
	ds_read_u16 v54, v54
	ds_read_u16 v64, v64
	v_add_u32_e32 v65, 1, v55
	s_waitcnt lgkmcnt(0)
	v_cmp_lt_f16_e64 s[8:9], v64, v54
	v_cndmask_b32_e64 v25, v25, v55, s[8:9]
	v_cndmask_b32_e64 v22, v65, v22, s[8:9]
	v_cmp_ge_u32_e64 s[8:9], v22, v25
	s_or_b64 s[20:21], s[8:9], s[20:21]
	s_andn2_b64 exec, exec, s[20:21]
	s_cbranch_execnz .LBB2118_214
; %bb.215:
	s_or_b64 exec, exec, s[20:21]
.LBB2118_216:
	s_or_b64 exec, exec, s[12:13]
	v_add_u32_e32 v24, v19, v24
	v_add_u32_e32 v23, v22, v23
	v_sub_u32_e32 v24, v24, v22
	v_cmp_le_u32_e64 s[8:9], v23, v19
	v_cmp_le_u32_e64 s[12:13], v24, v20
	s_or_b64 s[8:9], s[8:9], s[12:13]
	s_and_saveexec_b64 s[36:37], s[8:9]
	s_cbranch_execz .LBB2118_222
; %bb.217:
	v_cmp_lt_u32_e64 s[8:9], v23, v19
                                        ; implicit-def: $vgpr2
	s_and_saveexec_b64 s[12:13], s[8:9]
	s_cbranch_execz .LBB2118_219
; %bb.218:
	v_lshl_add_u32 v2, v22, 1, v21
	ds_read_u16 v2, v2
.LBB2118_219:
	s_or_b64 exec, exec, s[12:13]
	v_cmp_ge_u32_e64 s[20:21], v24, v20
	v_cmp_lt_u32_e64 s[12:13], v24, v20
                                        ; implicit-def: $vgpr3
	s_and_saveexec_b64 s[22:23], s[12:13]
	s_cbranch_execz .LBB2118_221
; %bb.220:
	v_lshl_add_u32 v3, v24, 1, v27
	ds_read_u16 v3, v3
.LBB2118_221:
	s_or_b64 exec, exec, s[22:23]
	s_waitcnt lgkmcnt(0)
	v_cmp_nlt_f16_e64 s[12:13], v3, v2
	s_and_b64 s[8:9], s[8:9], s[12:13]
	s_or_b64 s[8:9], s[20:21], s[8:9]
	v_cndmask_b32_e64 v10, v24, v23, s[8:9]
	v_cndmask_b32_e64 v11, v20, v19, s[8:9]
	v_add_u32_e32 v12, 1, v10
	v_add_u32_e32 v11, -1, v11
	v_min_u32_e32 v11, v12, v11
	v_lshl_add_u32 v11, v11, 1, v27
	ds_read_u16 v11, v11
	v_lshl_add_u32 v10, v10, 2, v26
	ds_read_b32 v10, v10 offset:4096
	v_cndmask_b32_e64 v13, v12, v24, s[8:9]
	v_cmp_ge_u32_e64 s[12:13], v13, v20
	s_waitcnt lgkmcnt(1)
	v_cndmask_b32_e64 v17, v11, v3, s[8:9]
	v_cndmask_b32_e64 v21, v2, v11, s[8:9]
	;; [unrolled: 1-line block ×3, first 2 shown]
	v_cmp_lt_u32_e64 s[20:21], v11, v19
	v_cmp_nlt_f16_e64 s[22:23], v17, v21
	s_and_b64 s[20:21], s[20:21], s[22:23]
	s_or_b64 s[20:21], s[12:13], s[20:21]
	v_cndmask_b32_e64 v12, v13, v11, s[20:21]
	v_cndmask_b32_e64 v14, v20, v19, s[20:21]
	v_add_u32_e32 v15, 1, v12
	v_add_u32_e32 v14, -1, v14
	v_min_u32_e32 v14, v15, v14
	v_lshl_add_u32 v14, v14, 1, v27
	ds_read_u16 v14, v14
	v_cndmask_b32_e64 v11, v11, v15, s[20:21]
	v_cndmask_b32_e64 v13, v15, v13, s[20:21]
	v_cmp_lt_u32_e64 s[22:23], v11, v19
	v_cmp_ge_u32_e64 s[12:13], v13, v20
	s_waitcnt lgkmcnt(0)
	v_cndmask_b32_e64 v22, v14, v17, s[20:21]
	v_cndmask_b32_e64 v23, v21, v14, s[20:21]
	v_cmp_nlt_f16_e64 s[24:25], v22, v23
	s_and_b64 s[22:23], s[22:23], s[24:25]
	s_or_b64 s[22:23], s[12:13], s[22:23]
	v_cndmask_b32_e64 v14, v13, v11, s[22:23]
	v_cndmask_b32_e64 v15, v20, v19, s[22:23]
	v_add_u32_e32 v16, 1, v14
	v_add_u32_e32 v15, -1, v15
	v_min_u32_e32 v15, v16, v15
	v_lshl_add_u32 v15, v15, 1, v27
	ds_read_u16 v15, v15
	v_cndmask_b32_e64 v13, v16, v13, s[22:23]
	v_cmp_ge_u32_e64 s[12:13], v13, v20
	v_cndmask_b32_e64 v2, v3, v2, s[8:9]
	v_cndmask_b32_e64 v150, v17, v21, s[20:21]
	s_waitcnt lgkmcnt(0)
	v_cndmask_b32_e64 v24, v15, v22, s[22:23]
	v_cndmask_b32_e64 v25, v23, v15, s[22:23]
	;; [unrolled: 1-line block ×3, first 2 shown]
	v_cmp_lt_u32_e64 s[24:25], v15, v19
	v_cmp_nlt_f16_e64 s[26:27], v24, v25
	s_and_b64 s[24:25], s[24:25], s[26:27]
	s_or_b64 s[12:13], s[12:13], s[24:25]
	v_cndmask_b32_e64 v16, v13, v15, s[12:13]
	v_cndmask_b32_e64 v11, v20, v19, s[12:13]
	v_add_u32_e32 v37, 1, v16
	v_add_u32_e32 v11, -1, v11
	v_min_u32_e32 v11, v37, v11
	v_lshl_add_u32 v11, v11, 1, v27
	ds_read_u16 v53, v11
	v_cndmask_b32_e64 v55, v37, v13, s[12:13]
	v_lshl_add_u32 v13, v16, 2, v26
	ds_read_b32 v13, v13 offset:4096
	v_cndmask_b32_e64 v15, v15, v37, s[12:13]
	s_waitcnt lgkmcnt(1)
	v_cndmask_b32_e64 v54, v53, v24, s[12:13]
	v_cndmask_b32_e64 v53, v25, v53, s[12:13]
	v_cmp_lt_u32_e64 s[26:27], v15, v19
	v_cmp_nlt_f16_e64 s[28:29], v54, v53
	v_cmp_ge_u32_e64 s[24:25], v55, v20
	s_and_b64 s[26:27], s[26:27], s[28:29]
	s_or_b64 s[24:25], s[24:25], s[26:27]
	v_lshl_add_u32 v11, v12, 2, v26
	v_cndmask_b32_e64 v37, v55, v15, s[24:25]
	v_cndmask_b32_e64 v12, v20, v19, s[24:25]
	v_add_u32_e32 v64, 1, v37
	v_add_u32_e32 v12, -1, v12
	v_min_u32_e32 v12, v64, v12
	v_lshl_add_u32 v12, v12, 1, v27
	ds_read_b32 v11, v11 offset:4096
	ds_read_u16 v65, v12
	v_cndmask_b32_e64 v16, v64, v55, s[24:25]
	v_cndmask_b32_e64 v55, v15, v64, s[24:25]
	v_cmp_lt_u32_e64 s[28:29], v55, v19
	v_cmp_ge_u32_e64 s[26:27], v16, v20
	s_waitcnt lgkmcnt(0)
	v_cndmask_b32_e64 v66, v65, v54, s[24:25]
	v_cndmask_b32_e64 v65, v53, v65, s[24:25]
	v_cmp_nlt_f16_e64 s[30:31], v66, v65
	s_and_b64 s[28:29], s[28:29], s[30:31]
	s_or_b64 s[26:27], s[26:27], s[28:29]
	v_lshl_add_u32 v12, v14, 2, v26
	v_cndmask_b32_e64 v15, v16, v55, s[26:27]
	v_cndmask_b32_e64 v14, v20, v19, s[26:27]
	v_add_u32_e32 v64, 1, v15
	v_add_u32_e32 v14, -1, v14
	v_min_u32_e32 v14, v64, v14
	v_lshl_add_u32 v14, v14, 1, v27
	ds_read_b32 v12, v12 offset:4096
	ds_read_u16 v67, v14
	v_lshl_add_u32 v15, v15, 2, v26
	ds_read_b32 v15, v15 offset:4096
	v_cndmask_b32_e64 v55, v55, v64, s[26:27]
	v_cndmask_b32_e64 v69, v64, v16, s[26:27]
	s_waitcnt lgkmcnt(1)
	v_cndmask_b32_e64 v68, v67, v66, s[26:27]
	v_cndmask_b32_e64 v67, v65, v67, s[26:27]
	v_cmp_lt_u32_e64 s[30:31], v55, v19
	v_cmp_nlt_f16_e64 s[34:35], v68, v67
	v_cmp_ge_u32_e64 s[28:29], v69, v20
	s_and_b64 s[30:31], s[30:31], s[34:35]
	s_or_b64 s[28:29], s[28:29], s[30:31]
	v_lshl_add_u32 v14, v37, 2, v26
	v_cndmask_b32_e64 v16, v69, v55, s[28:29]
	v_cndmask_b32_e64 v37, v20, v19, s[28:29]
	v_lshl_add_u32 v64, v16, 2, v26
	v_add_u32_e32 v70, 1, v16
	v_add_u32_e32 v16, -1, v37
	v_min_u32_e32 v16, v70, v16
	ds_read_b32 v14, v14 offset:4096
	v_lshl_add_u32 v37, v16, 1, v27
	ds_read_b32 v16, v64 offset:4096
	ds_read_u16 v64, v37
	v_cndmask_b32_e64 v151, v22, v23, s[22:23]
	v_cndmask_b32_e64 v22, v55, v70, s[28:29]
	;; [unrolled: 1-line block ×4, first 2 shown]
	s_waitcnt lgkmcnt(0)
	v_cndmask_b32_e64 v3, v64, v68, s[28:29]
	v_cndmask_b32_e64 v21, v67, v64, s[28:29]
	v_cmp_lt_u32_e64 s[12:13], v22, v19
	v_cmp_nlt_f16_e64 s[20:21], v3, v21
	v_cmp_ge_u32_e64 s[8:9], v17, v20
	s_and_b64 s[12:13], s[12:13], s[20:21]
	s_or_b64 s[8:9], s[8:9], s[12:13]
	v_cndmask_b32_e64 v17, v17, v22, s[8:9]
	v_lshl_add_u32 v17, v17, 2, v26
	ds_read_b32 v17, v17 offset:4096
	v_cndmask_b32_e64 v160, v54, v53, s[24:25]
	v_cndmask_b32_e64 v161, v66, v65, s[26:27]
	;; [unrolled: 1-line block ×4, first 2 shown]
.LBB2118_222:
	s_or_b64 exec, exec, s[36:37]
	s_mov_b32 s8, 0x5040100
	v_perm_b32 v23, v3, v162, s8
	v_perm_b32 v22, v161, v160, s8
	;; [unrolled: 1-line block ×4, first 2 shown]
	; wave barrier
	ds_write_b128 v52, v[10:13] offset:4096
	ds_write_b128 v51, v[20:23]
	s_waitcnt lgkmcnt(2)
	ds_write_b128 v18, v[14:17] offset:16
	v_and_b32_e32 v23, 0x3c0, v50
	v_or_b32_e32 v19, 32, v23
	v_min_u32_e32 v19, v49, v19
	v_add_u32_e32 v20, 32, v19
	v_min_u32_e32 v20, v49, v20
	v_and_b32_e32 v21, 56, v50
	v_min_u32_e32 v24, v49, v21
	v_sub_u32_e32 v25, v19, v23
	v_sub_u32_e32 v22, v20, v19
	v_sub_u32_e64 v22, v24, v22 clamp
	v_min_u32_e32 v25, v24, v25
	v_lshl_add_u32 v21, v23, 1, v27
	v_cmp_lt_u32_e64 s[8:9], v22, v25
	; wave barrier
	s_and_saveexec_b64 s[12:13], s[8:9]
	s_cbranch_execz .LBB2118_226
; %bb.223:
	v_lshlrev_b32_e32 v53, 1, v19
	v_lshlrev_b32_e32 v54, 1, v24
	v_add3_u32 v53, v27, v53, v54
	s_mov_b64 s[20:21], 0
.LBB2118_224:                           ; =>This Inner Loop Header: Depth=1
	v_add_u32_e32 v54, v25, v22
	v_lshrrev_b32_e32 v55, 1, v54
	v_and_b32_e32 v54, -2, v54
	v_not_b32_e32 v64, v55
	v_add_u32_e32 v54, v21, v54
	v_lshl_add_u32 v64, v64, 1, v53
	ds_read_u16 v54, v54
	ds_read_u16 v64, v64
	v_add_u32_e32 v65, 1, v55
	s_waitcnt lgkmcnt(0)
	v_cmp_lt_f16_e64 s[8:9], v64, v54
	v_cndmask_b32_e64 v25, v25, v55, s[8:9]
	v_cndmask_b32_e64 v22, v65, v22, s[8:9]
	v_cmp_ge_u32_e64 s[8:9], v22, v25
	s_or_b64 s[20:21], s[8:9], s[20:21]
	s_andn2_b64 exec, exec, s[20:21]
	s_cbranch_execnz .LBB2118_224
; %bb.225:
	s_or_b64 exec, exec, s[20:21]
.LBB2118_226:
	s_or_b64 exec, exec, s[12:13]
	v_add_u32_e32 v24, v19, v24
	v_add_u32_e32 v23, v22, v23
	v_sub_u32_e32 v24, v24, v22
	v_cmp_le_u32_e64 s[8:9], v23, v19
	v_cmp_le_u32_e64 s[12:13], v24, v20
	s_or_b64 s[8:9], s[8:9], s[12:13]
	s_and_saveexec_b64 s[36:37], s[8:9]
	s_cbranch_execz .LBB2118_232
; %bb.227:
	v_cmp_lt_u32_e64 s[8:9], v23, v19
                                        ; implicit-def: $vgpr2
	s_and_saveexec_b64 s[12:13], s[8:9]
	s_cbranch_execz .LBB2118_229
; %bb.228:
	v_lshl_add_u32 v2, v22, 1, v21
	ds_read_u16 v2, v2
.LBB2118_229:
	s_or_b64 exec, exec, s[12:13]
	v_cmp_ge_u32_e64 s[20:21], v24, v20
	v_cmp_lt_u32_e64 s[12:13], v24, v20
                                        ; implicit-def: $vgpr3
	s_and_saveexec_b64 s[22:23], s[12:13]
	s_cbranch_execz .LBB2118_231
; %bb.230:
	v_lshl_add_u32 v3, v24, 1, v27
	ds_read_u16 v3, v3
.LBB2118_231:
	s_or_b64 exec, exec, s[22:23]
	s_waitcnt lgkmcnt(0)
	v_cmp_nlt_f16_e64 s[12:13], v3, v2
	s_and_b64 s[8:9], s[8:9], s[12:13]
	s_or_b64 s[8:9], s[20:21], s[8:9]
	v_cndmask_b32_e64 v10, v24, v23, s[8:9]
	v_cndmask_b32_e64 v11, v20, v19, s[8:9]
	v_add_u32_e32 v12, 1, v10
	v_add_u32_e32 v11, -1, v11
	v_min_u32_e32 v11, v12, v11
	v_lshl_add_u32 v11, v11, 1, v27
	ds_read_u16 v11, v11
	v_lshl_add_u32 v10, v10, 2, v26
	ds_read_b32 v10, v10 offset:4096
	v_cndmask_b32_e64 v13, v12, v24, s[8:9]
	v_cmp_ge_u32_e64 s[12:13], v13, v20
	s_waitcnt lgkmcnt(1)
	v_cndmask_b32_e64 v17, v11, v3, s[8:9]
	v_cndmask_b32_e64 v21, v2, v11, s[8:9]
	;; [unrolled: 1-line block ×3, first 2 shown]
	v_cmp_lt_u32_e64 s[20:21], v11, v19
	v_cmp_nlt_f16_e64 s[22:23], v17, v21
	s_and_b64 s[20:21], s[20:21], s[22:23]
	s_or_b64 s[20:21], s[12:13], s[20:21]
	v_cndmask_b32_e64 v12, v13, v11, s[20:21]
	v_cndmask_b32_e64 v14, v20, v19, s[20:21]
	v_add_u32_e32 v15, 1, v12
	v_add_u32_e32 v14, -1, v14
	v_min_u32_e32 v14, v15, v14
	v_lshl_add_u32 v14, v14, 1, v27
	ds_read_u16 v14, v14
	v_cndmask_b32_e64 v11, v11, v15, s[20:21]
	v_cndmask_b32_e64 v13, v15, v13, s[20:21]
	v_cmp_lt_u32_e64 s[22:23], v11, v19
	v_cmp_ge_u32_e64 s[12:13], v13, v20
	s_waitcnt lgkmcnt(0)
	v_cndmask_b32_e64 v22, v14, v17, s[20:21]
	v_cndmask_b32_e64 v23, v21, v14, s[20:21]
	v_cmp_nlt_f16_e64 s[24:25], v22, v23
	s_and_b64 s[22:23], s[22:23], s[24:25]
	s_or_b64 s[22:23], s[12:13], s[22:23]
	v_cndmask_b32_e64 v14, v13, v11, s[22:23]
	v_cndmask_b32_e64 v15, v20, v19, s[22:23]
	v_add_u32_e32 v16, 1, v14
	v_add_u32_e32 v15, -1, v15
	v_min_u32_e32 v15, v16, v15
	v_lshl_add_u32 v15, v15, 1, v27
	ds_read_u16 v15, v15
	v_cndmask_b32_e64 v13, v16, v13, s[22:23]
	v_cmp_ge_u32_e64 s[12:13], v13, v20
	v_cndmask_b32_e64 v2, v3, v2, s[8:9]
	v_cndmask_b32_e64 v150, v17, v21, s[20:21]
	s_waitcnt lgkmcnt(0)
	v_cndmask_b32_e64 v24, v15, v22, s[22:23]
	v_cndmask_b32_e64 v25, v23, v15, s[22:23]
	;; [unrolled: 1-line block ×3, first 2 shown]
	v_cmp_lt_u32_e64 s[24:25], v15, v19
	v_cmp_nlt_f16_e64 s[26:27], v24, v25
	s_and_b64 s[24:25], s[24:25], s[26:27]
	s_or_b64 s[12:13], s[12:13], s[24:25]
	v_cndmask_b32_e64 v16, v13, v15, s[12:13]
	v_cndmask_b32_e64 v11, v20, v19, s[12:13]
	v_add_u32_e32 v37, 1, v16
	v_add_u32_e32 v11, -1, v11
	v_min_u32_e32 v11, v37, v11
	v_lshl_add_u32 v11, v11, 1, v27
	ds_read_u16 v53, v11
	v_cndmask_b32_e64 v55, v37, v13, s[12:13]
	v_lshl_add_u32 v13, v16, 2, v26
	ds_read_b32 v13, v13 offset:4096
	v_cndmask_b32_e64 v15, v15, v37, s[12:13]
	s_waitcnt lgkmcnt(1)
	v_cndmask_b32_e64 v54, v53, v24, s[12:13]
	v_cndmask_b32_e64 v53, v25, v53, s[12:13]
	v_cmp_lt_u32_e64 s[26:27], v15, v19
	v_cmp_nlt_f16_e64 s[28:29], v54, v53
	v_cmp_ge_u32_e64 s[24:25], v55, v20
	s_and_b64 s[26:27], s[26:27], s[28:29]
	s_or_b64 s[24:25], s[24:25], s[26:27]
	v_lshl_add_u32 v11, v12, 2, v26
	v_cndmask_b32_e64 v37, v55, v15, s[24:25]
	v_cndmask_b32_e64 v12, v20, v19, s[24:25]
	v_add_u32_e32 v64, 1, v37
	v_add_u32_e32 v12, -1, v12
	v_min_u32_e32 v12, v64, v12
	v_lshl_add_u32 v12, v12, 1, v27
	ds_read_b32 v11, v11 offset:4096
	ds_read_u16 v65, v12
	v_cndmask_b32_e64 v16, v64, v55, s[24:25]
	v_cndmask_b32_e64 v55, v15, v64, s[24:25]
	v_cmp_lt_u32_e64 s[28:29], v55, v19
	v_cmp_ge_u32_e64 s[26:27], v16, v20
	s_waitcnt lgkmcnt(0)
	v_cndmask_b32_e64 v66, v65, v54, s[24:25]
	v_cndmask_b32_e64 v65, v53, v65, s[24:25]
	v_cmp_nlt_f16_e64 s[30:31], v66, v65
	s_and_b64 s[28:29], s[28:29], s[30:31]
	s_or_b64 s[26:27], s[26:27], s[28:29]
	v_lshl_add_u32 v12, v14, 2, v26
	v_cndmask_b32_e64 v15, v16, v55, s[26:27]
	v_cndmask_b32_e64 v14, v20, v19, s[26:27]
	v_add_u32_e32 v64, 1, v15
	v_add_u32_e32 v14, -1, v14
	v_min_u32_e32 v14, v64, v14
	v_lshl_add_u32 v14, v14, 1, v27
	ds_read_b32 v12, v12 offset:4096
	ds_read_u16 v67, v14
	v_lshl_add_u32 v15, v15, 2, v26
	ds_read_b32 v15, v15 offset:4096
	v_cndmask_b32_e64 v55, v55, v64, s[26:27]
	v_cndmask_b32_e64 v69, v64, v16, s[26:27]
	s_waitcnt lgkmcnt(1)
	v_cndmask_b32_e64 v68, v67, v66, s[26:27]
	v_cndmask_b32_e64 v67, v65, v67, s[26:27]
	v_cmp_lt_u32_e64 s[30:31], v55, v19
	v_cmp_nlt_f16_e64 s[34:35], v68, v67
	v_cmp_ge_u32_e64 s[28:29], v69, v20
	s_and_b64 s[30:31], s[30:31], s[34:35]
	s_or_b64 s[28:29], s[28:29], s[30:31]
	v_lshl_add_u32 v14, v37, 2, v26
	v_cndmask_b32_e64 v16, v69, v55, s[28:29]
	v_cndmask_b32_e64 v37, v20, v19, s[28:29]
	v_lshl_add_u32 v64, v16, 2, v26
	v_add_u32_e32 v70, 1, v16
	v_add_u32_e32 v16, -1, v37
	v_min_u32_e32 v16, v70, v16
	ds_read_b32 v14, v14 offset:4096
	v_lshl_add_u32 v37, v16, 1, v27
	ds_read_b32 v16, v64 offset:4096
	ds_read_u16 v64, v37
	v_cndmask_b32_e64 v151, v22, v23, s[22:23]
	v_cndmask_b32_e64 v22, v55, v70, s[28:29]
	;; [unrolled: 1-line block ×4, first 2 shown]
	s_waitcnt lgkmcnt(0)
	v_cndmask_b32_e64 v3, v64, v68, s[28:29]
	v_cndmask_b32_e64 v21, v67, v64, s[28:29]
	v_cmp_lt_u32_e64 s[12:13], v22, v19
	v_cmp_nlt_f16_e64 s[20:21], v3, v21
	v_cmp_ge_u32_e64 s[8:9], v17, v20
	s_and_b64 s[12:13], s[12:13], s[20:21]
	s_or_b64 s[8:9], s[8:9], s[12:13]
	v_cndmask_b32_e64 v17, v17, v22, s[8:9]
	v_lshl_add_u32 v17, v17, 2, v26
	ds_read_b32 v17, v17 offset:4096
	v_cndmask_b32_e64 v160, v54, v53, s[24:25]
	v_cndmask_b32_e64 v161, v66, v65, s[26:27]
	;; [unrolled: 1-line block ×4, first 2 shown]
.LBB2118_232:
	s_or_b64 exec, exec, s[36:37]
	s_mov_b32 s8, 0x5040100
	v_perm_b32 v23, v3, v162, s8
	v_perm_b32 v22, v161, v160, s8
	;; [unrolled: 1-line block ×4, first 2 shown]
	; wave barrier
	ds_write_b128 v52, v[10:13] offset:4096
	ds_write_b128 v51, v[20:23]
	s_waitcnt lgkmcnt(2)
	ds_write_b128 v18, v[14:17] offset:16
	v_and_b32_e32 v22, 0x380, v50
	v_or_b32_e32 v18, 64, v22
	v_min_u32_e32 v18, v49, v18
	v_add_u32_e32 v19, 64, v18
	v_min_u32_e32 v19, v49, v19
	v_and_b32_e32 v20, 0x78, v50
	v_min_u32_e32 v23, v49, v20
	v_sub_u32_e32 v24, v18, v22
	v_sub_u32_e32 v21, v19, v18
	v_sub_u32_e64 v21, v23, v21 clamp
	v_min_u32_e32 v24, v23, v24
	v_lshl_add_u32 v20, v22, 1, v27
	v_cmp_lt_u32_e64 s[8:9], v21, v24
	; wave barrier
	s_and_saveexec_b64 s[12:13], s[8:9]
	s_cbranch_execz .LBB2118_236
; %bb.233:
	v_lshlrev_b32_e32 v25, 1, v18
	v_lshlrev_b32_e32 v49, 1, v23
	v_add3_u32 v25, v27, v25, v49
	s_mov_b64 s[20:21], 0
.LBB2118_234:                           ; =>This Inner Loop Header: Depth=1
	v_add_u32_e32 v49, v24, v21
	v_lshrrev_b32_e32 v50, 1, v49
	v_and_b32_e32 v49, -2, v49
	v_not_b32_e32 v51, v50
	v_add_u32_e32 v49, v20, v49
	v_lshl_add_u32 v51, v51, 1, v25
	ds_read_u16 v49, v49
	ds_read_u16 v51, v51
	v_add_u32_e32 v52, 1, v50
	s_waitcnt lgkmcnt(0)
	v_cmp_lt_f16_e64 s[8:9], v51, v49
	v_cndmask_b32_e64 v24, v24, v50, s[8:9]
	v_cndmask_b32_e64 v21, v52, v21, s[8:9]
	v_cmp_ge_u32_e64 s[8:9], v21, v24
	s_or_b64 s[20:21], s[8:9], s[20:21]
	s_andn2_b64 exec, exec, s[20:21]
	s_cbranch_execnz .LBB2118_234
; %bb.235:
	s_or_b64 exec, exec, s[20:21]
.LBB2118_236:
	s_or_b64 exec, exec, s[12:13]
	v_add_u32_e32 v23, v18, v23
	v_add_u32_e32 v22, v21, v22
	v_sub_u32_e32 v23, v23, v21
	v_cmp_le_u32_e64 s[8:9], v22, v18
	v_cmp_le_u32_e64 s[12:13], v23, v19
	s_or_b64 s[8:9], s[8:9], s[12:13]
	s_and_saveexec_b64 s[36:37], s[8:9]
	s_cbranch_execz .LBB2118_242
; %bb.237:
	v_cmp_lt_u32_e64 s[8:9], v22, v18
                                        ; implicit-def: $vgpr2
	s_and_saveexec_b64 s[12:13], s[8:9]
	s_cbranch_execz .LBB2118_239
; %bb.238:
	v_lshl_add_u32 v2, v21, 1, v20
	ds_read_u16 v2, v2
.LBB2118_239:
	s_or_b64 exec, exec, s[12:13]
	v_cmp_ge_u32_e64 s[20:21], v23, v19
	v_cmp_lt_u32_e64 s[12:13], v23, v19
                                        ; implicit-def: $vgpr3
	s_and_saveexec_b64 s[22:23], s[12:13]
	s_cbranch_execz .LBB2118_241
; %bb.240:
	v_lshl_add_u32 v3, v23, 1, v27
	ds_read_u16 v3, v3
.LBB2118_241:
	s_or_b64 exec, exec, s[22:23]
	s_waitcnt lgkmcnt(0)
	v_cmp_nlt_f16_e64 s[12:13], v3, v2
	s_and_b64 s[8:9], s[8:9], s[12:13]
	s_or_b64 s[8:9], s[20:21], s[8:9]
	v_cndmask_b32_e64 v10, v23, v22, s[8:9]
	v_cndmask_b32_e64 v11, v19, v18, s[8:9]
	v_add_u32_e32 v12, 1, v10
	v_add_u32_e32 v11, -1, v11
	v_min_u32_e32 v11, v12, v11
	v_lshl_add_u32 v11, v11, 1, v27
	ds_read_u16 v11, v11
	v_lshl_add_u32 v10, v10, 2, v26
	ds_read_b32 v10, v10 offset:4096
	v_cndmask_b32_e64 v13, v12, v23, s[8:9]
	v_cmp_ge_u32_e64 s[12:13], v13, v19
	s_waitcnt lgkmcnt(1)
	v_cndmask_b32_e64 v17, v11, v3, s[8:9]
	v_cndmask_b32_e64 v20, v2, v11, s[8:9]
	;; [unrolled: 1-line block ×3, first 2 shown]
	v_cmp_lt_u32_e64 s[20:21], v11, v18
	v_cmp_nlt_f16_e64 s[22:23], v17, v20
	s_and_b64 s[20:21], s[20:21], s[22:23]
	s_or_b64 s[20:21], s[12:13], s[20:21]
	v_cndmask_b32_e64 v12, v13, v11, s[20:21]
	v_cndmask_b32_e64 v14, v19, v18, s[20:21]
	v_add_u32_e32 v15, 1, v12
	v_add_u32_e32 v14, -1, v14
	v_min_u32_e32 v14, v15, v14
	v_lshl_add_u32 v14, v14, 1, v27
	ds_read_u16 v14, v14
	v_cndmask_b32_e64 v11, v11, v15, s[20:21]
	v_cndmask_b32_e64 v13, v15, v13, s[20:21]
	v_cmp_lt_u32_e64 s[22:23], v11, v18
	v_cmp_ge_u32_e64 s[12:13], v13, v19
	s_waitcnt lgkmcnt(0)
	v_cndmask_b32_e64 v21, v14, v17, s[20:21]
	v_cndmask_b32_e64 v22, v20, v14, s[20:21]
	v_cmp_nlt_f16_e64 s[24:25], v21, v22
	s_and_b64 s[22:23], s[22:23], s[24:25]
	s_or_b64 s[22:23], s[12:13], s[22:23]
	v_cndmask_b32_e64 v14, v13, v11, s[22:23]
	v_cndmask_b32_e64 v15, v19, v18, s[22:23]
	v_add_u32_e32 v16, 1, v14
	v_add_u32_e32 v15, -1, v15
	v_min_u32_e32 v15, v16, v15
	v_lshl_add_u32 v15, v15, 1, v27
	ds_read_u16 v15, v15
	v_cndmask_b32_e64 v13, v16, v13, s[22:23]
	v_cmp_ge_u32_e64 s[12:13], v13, v19
	v_cndmask_b32_e64 v2, v3, v2, s[8:9]
	v_cndmask_b32_e64 v150, v17, v20, s[20:21]
	s_waitcnt lgkmcnt(0)
	v_cndmask_b32_e64 v23, v15, v21, s[22:23]
	v_cndmask_b32_e64 v24, v22, v15, s[22:23]
	;; [unrolled: 1-line block ×3, first 2 shown]
	v_cmp_lt_u32_e64 s[24:25], v15, v18
	v_cmp_nlt_f16_e64 s[26:27], v23, v24
	s_and_b64 s[24:25], s[24:25], s[26:27]
	s_or_b64 s[12:13], s[12:13], s[24:25]
	v_cndmask_b32_e64 v16, v13, v15, s[12:13]
	v_cndmask_b32_e64 v11, v19, v18, s[12:13]
	v_add_u32_e32 v25, 1, v16
	v_add_u32_e32 v11, -1, v11
	v_min_u32_e32 v11, v25, v11
	v_lshl_add_u32 v11, v11, 1, v27
	ds_read_u16 v37, v11
	v_cndmask_b32_e64 v15, v15, v25, s[12:13]
	v_cmp_lt_u32_e64 s[26:27], v15, v18
	v_lshl_add_u32 v11, v12, 2, v26
	ds_read_b32 v11, v11 offset:4096
	s_waitcnt lgkmcnt(1)
	v_cndmask_b32_e64 v49, v37, v23, s[12:13]
	v_cndmask_b32_e64 v50, v24, v37, s[12:13]
	;; [unrolled: 1-line block ×3, first 2 shown]
	v_cmp_nlt_f16_e64 s[28:29], v49, v50
	v_cmp_ge_u32_e64 s[24:25], v37, v19
	s_and_b64 s[26:27], s[26:27], s[28:29]
	s_or_b64 s[24:25], s[24:25], s[26:27]
	v_cndmask_b32_e64 v25, v37, v15, s[24:25]
	v_cndmask_b32_e64 v12, v19, v18, s[24:25]
	v_add_u32_e32 v51, 1, v25
	v_add_u32_e32 v12, -1, v12
	v_min_u32_e32 v12, v51, v12
	v_lshl_add_u32 v12, v12, 1, v27
	ds_read_u16 v52, v12
	v_lshl_add_u32 v13, v16, 2, v26
	ds_read_b32 v13, v13 offset:4096
	v_cndmask_b32_e64 v16, v51, v37, s[24:25]
	v_cndmask_b32_e64 v37, v15, v51, s[24:25]
	s_waitcnt lgkmcnt(1)
	v_cndmask_b32_e64 v53, v52, v49, s[24:25]
	v_cndmask_b32_e64 v52, v50, v52, s[24:25]
	v_cmp_lt_u32_e64 s[28:29], v37, v18
	v_cmp_nlt_f16_e64 s[30:31], v53, v52
	v_cmp_ge_u32_e64 s[26:27], v16, v19
	s_and_b64 s[28:29], s[28:29], s[30:31]
	s_or_b64 s[26:27], s[26:27], s[28:29]
	v_lshl_add_u32 v12, v14, 2, v26
	v_cndmask_b32_e64 v15, v16, v37, s[26:27]
	v_cndmask_b32_e64 v14, v19, v18, s[26:27]
	v_add_u32_e32 v51, 1, v15
	v_add_u32_e32 v14, -1, v14
	v_min_u32_e32 v14, v51, v14
	v_lshl_add_u32 v14, v14, 1, v27
	ds_read_b32 v12, v12 offset:4096
	ds_read_u16 v54, v14
	v_lshl_add_u32 v15, v15, 2, v26
	ds_read_b32 v15, v15 offset:4096
	v_lshl_add_u32 v14, v25, 2, v26
	v_cndmask_b32_e64 v55, v51, v16, s[26:27]
	s_waitcnt lgkmcnt(1)
	v_cndmask_b32_e64 v25, v54, v53, s[26:27]
	v_cndmask_b32_e64 v54, v52, v54, s[26:27]
	v_cndmask_b32_e64 v51, v37, v51, s[26:27]
	v_cmp_lt_u32_e64 s[30:31], v51, v18
	v_cmp_nlt_f16_e64 s[34:35], v25, v54
	v_cmp_ge_u32_e64 s[28:29], v55, v19
	s_and_b64 s[30:31], s[30:31], s[34:35]
	s_or_b64 s[28:29], s[28:29], s[30:31]
	v_cndmask_b32_e64 v16, v55, v51, s[28:29]
	v_cndmask_b32_e64 v37, v19, v18, s[28:29]
	v_lshl_add_u32 v64, v16, 2, v26
	v_add_u32_e32 v65, 1, v16
	v_add_u32_e32 v16, -1, v37
	v_min_u32_e32 v16, v65, v16
	v_lshl_add_u32 v27, v16, 1, v27
	ds_read_b32 v14, v14 offset:4096
	ds_read_b32 v16, v64 offset:4096
	ds_read_u16 v27, v27
	v_cndmask_b32_e64 v151, v21, v22, s[22:23]
	v_cndmask_b32_e64 v21, v51, v65, s[28:29]
	v_cndmask_b32_e64 v37, v23, v24, s[12:13]
	v_cndmask_b32_e64 v17, v65, v55, s[28:29]
	s_waitcnt lgkmcnt(0)
	v_cndmask_b32_e64 v3, v27, v25, s[28:29]
	v_cndmask_b32_e64 v20, v54, v27, s[28:29]
	v_cmp_lt_u32_e64 s[12:13], v21, v18
	v_cmp_nlt_f16_e64 s[20:21], v3, v20
	v_cmp_ge_u32_e64 s[8:9], v17, v19
	s_and_b64 s[12:13], s[12:13], s[20:21]
	s_or_b64 s[8:9], s[8:9], s[12:13]
	v_cndmask_b32_e64 v17, v17, v21, s[8:9]
	v_lshl_add_u32 v17, v17, 2, v26
	ds_read_b32 v17, v17 offset:4096
	v_cndmask_b32_e64 v160, v49, v50, s[24:25]
	v_cndmask_b32_e64 v161, v53, v52, s[26:27]
	;; [unrolled: 1-line block ×4, first 2 shown]
.LBB2118_242:
	s_or_b64 exec, exec, s[36:37]
	s_movk_i32 s8, 0x81
	v_cmp_gt_u32_e64 s[8:9], s8, v0
	v_lshlrev_b32_e32 v18, 4, v34
	; wave barrier
	s_waitcnt lgkmcnt(0)
	s_barrier
	s_and_saveexec_b64 s[12:13], s[8:9]
	s_xor_b64 s[8:9], exec, s[12:13]
; %bb.243:
	v_lshlrev_b32_e32 v18, 4, v34
                                        ; implicit-def: $vgpr0
; %bb.244:
	s_andn2_saveexec_b64 s[36:37], s[8:9]
	s_cbranch_execz .LBB2118_258
; %bb.245:
	v_lshlrev_b32_e32 v19, 1, v38
	v_mov_b32_e32 v21, 0x1000
	v_add_u32_e32 v20, v19, v18
	v_lshl_add_u32 v21, v38, 2, v21
	s_movk_i32 s49, 0x80
	s_mov_b64 s[44:45], 0
	s_mov_b32 s48, 0x5040100
	s_branch .LBB2118_248
.LBB2118_246:                           ;   in Loop: Header=BB2118_248 Depth=1
	s_or_b64 exec, exec, s[22:23]
	s_waitcnt lgkmcnt(0)
	v_cmp_nlt_f16_e64 s[12:13], v3, v2
	s_and_b64 s[8:9], s[8:9], s[12:13]
	s_or_b64 s[8:9], s[20:21], s[8:9]
	v_cndmask_b32_e64 v10, v27, v26, s[8:9]
	v_cndmask_b32_e64 v11, v23, v22, s[8:9]
	v_add_u32_e32 v12, 1, v10
	v_add_u32_e32 v11, -1, v11
	v_min_u32_e32 v11, v12, v11
	v_lshlrev_b32_e32 v11, 1, v11
	ds_read_u16 v11, v11
	v_lshlrev_b32_e32 v10, 2, v10
	ds_read_b32 v10, v10 offset:4096
	v_cndmask_b32_e64 v13, v12, v27, s[8:9]
	v_cmp_ge_u32_e64 s[12:13], v13, v23
	s_waitcnt lgkmcnt(1)
	v_cndmask_b32_e64 v17, v11, v3, s[8:9]
	v_cndmask_b32_e64 v24, v2, v11, s[8:9]
	;; [unrolled: 1-line block ×3, first 2 shown]
	v_cmp_lt_u32_e64 s[20:21], v11, v22
	v_cmp_nlt_f16_e64 s[22:23], v17, v24
	s_and_b64 s[20:21], s[20:21], s[22:23]
	s_or_b64 s[20:21], s[12:13], s[20:21]
	v_cndmask_b32_e64 v12, v13, v11, s[20:21]
	v_cndmask_b32_e64 v14, v23, v22, s[20:21]
	v_add_u32_e32 v15, 1, v12
	v_add_u32_e32 v14, -1, v14
	v_min_u32_e32 v14, v15, v14
	v_lshlrev_b32_e32 v14, 1, v14
	ds_read_u16 v14, v14
	v_cndmask_b32_e64 v11, v11, v15, s[20:21]
	v_cndmask_b32_e64 v13, v15, v13, s[20:21]
	v_cmp_lt_u32_e64 s[22:23], v11, v22
	v_cmp_ge_u32_e64 s[12:13], v13, v23
	s_waitcnt lgkmcnt(0)
	v_cndmask_b32_e64 v25, v14, v17, s[20:21]
	v_cndmask_b32_e64 v26, v24, v14, s[20:21]
	v_cmp_nlt_f16_e64 s[24:25], v25, v26
	s_and_b64 s[22:23], s[22:23], s[24:25]
	s_or_b64 s[22:23], s[12:13], s[22:23]
	v_cndmask_b32_e64 v14, v13, v11, s[22:23]
	v_cndmask_b32_e64 v15, v23, v22, s[22:23]
	v_add_u32_e32 v16, 1, v14
	v_add_u32_e32 v15, -1, v15
	v_min_u32_e32 v15, v16, v15
	v_lshlrev_b32_e32 v15, 1, v15
	ds_read_u16 v15, v15
	v_cndmask_b32_e64 v13, v16, v13, s[22:23]
	v_cmp_ge_u32_e64 s[12:13], v13, v23
	v_cndmask_b32_e64 v2, v3, v2, s[8:9]
	v_cndmask_b32_e64 v150, v17, v24, s[20:21]
	s_waitcnt lgkmcnt(0)
	v_cndmask_b32_e64 v27, v15, v25, s[22:23]
	v_cndmask_b32_e64 v37, v26, v15, s[22:23]
	;; [unrolled: 1-line block ×3, first 2 shown]
	v_cmp_lt_u32_e64 s[24:25], v15, v22
	v_cmp_nlt_f16_e64 s[26:27], v27, v37
	s_and_b64 s[24:25], s[24:25], s[26:27]
	s_or_b64 s[12:13], s[12:13], s[24:25]
	v_cndmask_b32_e64 v16, v13, v15, s[12:13]
	v_cndmask_b32_e64 v11, v23, v22, s[12:13]
	v_add_u32_e32 v49, 1, v16
	v_add_u32_e32 v11, -1, v11
	v_min_u32_e32 v11, v49, v11
	v_lshlrev_b32_e32 v11, 1, v11
	ds_read_u16 v50, v11
	v_cndmask_b32_e64 v52, v49, v13, s[12:13]
	v_lshlrev_b32_e32 v13, 2, v16
	ds_read_b32 v13, v13 offset:4096
	v_cndmask_b32_e64 v15, v15, v49, s[12:13]
	s_waitcnt lgkmcnt(1)
	v_cndmask_b32_e64 v51, v50, v27, s[12:13]
	v_cndmask_b32_e64 v50, v37, v50, s[12:13]
	v_cmp_lt_u32_e64 s[26:27], v15, v22
	v_cmp_nlt_f16_e64 s[28:29], v51, v50
	v_cmp_ge_u32_e64 s[24:25], v52, v23
	s_and_b64 s[26:27], s[26:27], s[28:29]
	s_or_b64 s[24:25], s[24:25], s[26:27]
	v_lshlrev_b32_e32 v11, 2, v12
	v_cndmask_b32_e64 v49, v52, v15, s[24:25]
	v_cndmask_b32_e64 v12, v23, v22, s[24:25]
	v_add_u32_e32 v53, 1, v49
	v_add_u32_e32 v12, -1, v12
	v_min_u32_e32 v12, v53, v12
	v_lshlrev_b32_e32 v12, 1, v12
	ds_read_b32 v11, v11 offset:4096
	ds_read_u16 v54, v12
	v_cndmask_b32_e64 v16, v53, v52, s[24:25]
	v_cndmask_b32_e64 v52, v15, v53, s[24:25]
	v_cmp_lt_u32_e64 s[28:29], v52, v22
	v_cmp_ge_u32_e64 s[26:27], v16, v23
	s_waitcnt lgkmcnt(0)
	v_cndmask_b32_e64 v55, v54, v51, s[24:25]
	v_cndmask_b32_e64 v54, v50, v54, s[24:25]
	v_cmp_nlt_f16_e64 s[30:31], v55, v54
	s_and_b64 s[28:29], s[28:29], s[30:31]
	s_or_b64 s[26:27], s[26:27], s[28:29]
	v_lshlrev_b32_e32 v12, 2, v14
	v_cndmask_b32_e64 v15, v16, v52, s[26:27]
	v_cndmask_b32_e64 v14, v23, v22, s[26:27]
	v_add_u32_e32 v53, 1, v15
	v_add_u32_e32 v14, -1, v14
	v_min_u32_e32 v14, v53, v14
	v_lshlrev_b32_e32 v14, 1, v14
	ds_read_b32 v12, v12 offset:4096
	ds_read_u16 v64, v14
	v_lshlrev_b32_e32 v15, 2, v15
	ds_read_b32 v15, v15 offset:4096
	v_lshlrev_b32_e32 v14, 2, v49
	v_cndmask_b32_e64 v52, v52, v53, s[26:27]
	s_waitcnt lgkmcnt(1)
	v_cndmask_b32_e64 v49, v64, v55, s[26:27]
	v_cndmask_b32_e64 v64, v54, v64, s[26:27]
	;; [unrolled: 1-line block ×3, first 2 shown]
	v_cmp_lt_u32_e64 s[30:31], v52, v22
	v_cmp_nlt_f16_e64 s[34:35], v49, v64
	v_cmp_ge_u32_e64 s[28:29], v65, v23
	s_and_b64 s[30:31], s[30:31], s[34:35]
	s_or_b64 s[28:29], s[28:29], s[30:31]
	v_cndmask_b32_e64 v16, v65, v52, s[28:29]
	v_cndmask_b32_e64 v53, v23, v22, s[28:29]
	v_lshlrev_b32_e32 v66, 2, v16
	v_add_u32_e32 v67, 1, v16
	v_add_u32_e32 v16, -1, v53
	v_min_u32_e32 v16, v67, v16
	v_lshlrev_b32_e32 v53, 1, v16
	ds_read_b32 v14, v14 offset:4096
	ds_read_b32 v16, v66 offset:4096
	ds_read_u16 v53, v53
	v_cndmask_b32_e64 v151, v25, v26, s[22:23]
	v_cndmask_b32_e64 v25, v52, v67, s[28:29]
	;; [unrolled: 1-line block ×4, first 2 shown]
	s_waitcnt lgkmcnt(0)
	v_cndmask_b32_e64 v3, v53, v49, s[28:29]
	v_cndmask_b32_e64 v24, v64, v53, s[28:29]
	v_cmp_lt_u32_e64 s[12:13], v25, v22
	v_cmp_nlt_f16_e64 s[20:21], v3, v24
	v_cmp_ge_u32_e64 s[8:9], v17, v23
	s_and_b64 s[12:13], s[12:13], s[20:21]
	s_or_b64 s[8:9], s[8:9], s[12:13]
	v_cndmask_b32_e64 v17, v17, v25, s[8:9]
	v_lshlrev_b32_e32 v17, 2, v17
	ds_read_b32 v17, v17 offset:4096
	v_cndmask_b32_e64 v160, v51, v50, s[24:25]
	v_cndmask_b32_e64 v161, v55, v54, s[26:27]
	;; [unrolled: 1-line block ×4, first 2 shown]
.LBB2118_247:                           ;   in Loop: Header=BB2118_248 Depth=1
	s_or_b64 exec, exec, s[46:47]
	v_cmp_ge_u32_e64 s[8:9], s49, v0
	s_or_b64 s[44:45], s[8:9], s[44:45]
	s_waitcnt lgkmcnt(0)
	s_barrier
	s_andn2_b64 exec, exec, s[44:45]
	s_cbranch_execz .LBB2118_257
.LBB2118_248:                           ; =>This Loop Header: Depth=1
                                        ;     Child Loop BB2118_250 Depth 2
	s_mov_b32 s8, s49
	s_lshl_b32 s49, s49, 1
	s_sub_i32 s12, 0, s49
	v_perm_b32 v25, v3, v162, s48
	v_perm_b32 v24, v161, v160, s48
	;; [unrolled: 1-line block ×4, first 2 shown]
	v_and_b32_e32 v26, s12, v38
	ds_write_b128 v20, v[10:13] offset:4096
	ds_write_b128 v19, v[22:25]
	ds_write_b128 v21, v[14:17] offset:16
	v_add_u32_e32 v22, s8, v26
	v_min_u32_e32 v22, v22, v0
	s_add_i32 s9, s49, -1
	v_add_u32_e32 v23, s8, v22
	v_min_u32_e32 v23, v23, v0
	v_and_b32_e32 v24, s9, v38
	v_min_u32_e32 v27, v24, v0
	v_sub_u32_e32 v49, v22, v26
	v_sub_u32_e32 v25, v23, v22
	v_sub_u32_e64 v25, v27, v25 clamp
	v_min_u32_e32 v49, v27, v49
	v_lshlrev_b32_e32 v24, 1, v26
	v_cmp_lt_u32_e64 s[8:9], v25, v49
	s_waitcnt lgkmcnt(0)
	s_barrier
	s_and_saveexec_b64 s[12:13], s[8:9]
	s_cbranch_execz .LBB2118_252
; %bb.249:                              ;   in Loop: Header=BB2118_248 Depth=1
	v_lshlrev_b32_e32 v50, 1, v27
	v_lshl_add_u32 v50, v22, 1, v50
	s_mov_b64 s[20:21], 0
.LBB2118_250:                           ;   Parent Loop BB2118_248 Depth=1
                                        ; =>  This Inner Loop Header: Depth=2
	v_add_u32_e32 v51, v49, v25
	v_lshrrev_b32_e32 v52, 1, v51
	v_and_b32_e32 v51, -2, v51
	v_not_b32_e32 v53, v52
	v_add_u32_e32 v51, v24, v51
	v_lshl_add_u32 v53, v53, 1, v50
	ds_read_u16 v51, v51
	ds_read_u16 v53, v53
	v_add_u32_e32 v54, 1, v52
	s_waitcnt lgkmcnt(0)
	v_cmp_lt_f16_e64 s[8:9], v53, v51
	v_cndmask_b32_e64 v49, v49, v52, s[8:9]
	v_cndmask_b32_e64 v25, v54, v25, s[8:9]
	v_cmp_ge_u32_e64 s[8:9], v25, v49
	s_or_b64 s[20:21], s[8:9], s[20:21]
	s_andn2_b64 exec, exec, s[20:21]
	s_cbranch_execnz .LBB2118_250
; %bb.251:                              ;   in Loop: Header=BB2118_248 Depth=1
	s_or_b64 exec, exec, s[20:21]
.LBB2118_252:                           ;   in Loop: Header=BB2118_248 Depth=1
	s_or_b64 exec, exec, s[12:13]
	v_sub_u32_e32 v27, v27, v25
	v_add_u32_e32 v26, v25, v26
	v_add_u32_e32 v27, v27, v22
	v_cmp_le_u32_e64 s[8:9], v26, v22
	v_cmp_le_u32_e64 s[12:13], v27, v23
	s_or_b64 s[8:9], s[8:9], s[12:13]
	s_and_saveexec_b64 s[46:47], s[8:9]
	s_cbranch_execz .LBB2118_247
; %bb.253:                              ;   in Loop: Header=BB2118_248 Depth=1
	v_cmp_lt_u32_e64 s[8:9], v26, v22
                                        ; implicit-def: $vgpr2
	s_and_saveexec_b64 s[12:13], s[8:9]
	s_cbranch_execz .LBB2118_255
; %bb.254:                              ;   in Loop: Header=BB2118_248 Depth=1
	v_lshl_add_u32 v2, v25, 1, v24
	ds_read_u16 v2, v2
.LBB2118_255:                           ;   in Loop: Header=BB2118_248 Depth=1
	s_or_b64 exec, exec, s[12:13]
	v_cmp_ge_u32_e64 s[20:21], v27, v23
	v_cmp_lt_u32_e64 s[12:13], v27, v23
                                        ; implicit-def: $vgpr3
	s_and_saveexec_b64 s[22:23], s[12:13]
	s_cbranch_execz .LBB2118_246
; %bb.256:                              ;   in Loop: Header=BB2118_248 Depth=1
	v_lshlrev_b32_e32 v3, 1, v27
	ds_read_u16 v3, v3
	s_branch .LBB2118_246
.LBB2118_257:
	s_or_b64 exec, exec, s[44:45]
.LBB2118_258:
	s_or_b64 exec, exec, s[36:37]
	s_mov_b32 s8, 0x5040100
	v_lshl_add_u32 v0, v149, 1, v18
	v_perm_b32 v18, v37, v151, s8
	v_perm_b32 v2, v150, v2, s8
	s_barrier
	ds_write2_b32 v0, v2, v18 offset1:1
	v_perm_b32 v2, v3, v162, s8
	v_perm_b32 v3, v161, v160, s8
	ds_write2_b32 v0, v3, v2 offset0:2 offset1:3
	s_waitcnt lgkmcnt(0)
	s_barrier
	ds_read_u16 v22, v1 offset:512
	ds_read_u16 v21, v35 offset:1024
	;; [unrolled: 1-line block ×7, first 2 shown]
	v_add_co_u32_e64 v0, s[8:9], v4, v128
	v_mov_b32_e32 v35, 0
	v_addc_co_u32_e64 v1, s[8:9], 0, v5, s[8:9]
	s_and_saveexec_b64 s[8:9], vcc
	s_cbranch_execnz .LBB2118_285
; %bb.259:
	s_or_b64 exec, exec, s[8:9]
	s_and_saveexec_b64 s[8:9], s[4:5]
	s_cbranch_execnz .LBB2118_286
.LBB2118_260:
	s_or_b64 exec, exec, s[8:9]
	s_and_saveexec_b64 s[8:9], s[6:7]
	s_cbranch_execnz .LBB2118_287
.LBB2118_261:
	s_or_b64 exec, exec, s[8:9]
	s_and_saveexec_b64 s[8:9], s[18:19]
	s_cbranch_execnz .LBB2118_288
.LBB2118_262:
	s_or_b64 exec, exec, s[8:9]
	s_and_saveexec_b64 s[8:9], s[10:11]
	s_cbranch_execnz .LBB2118_289
.LBB2118_263:
	s_or_b64 exec, exec, s[8:9]
	s_and_saveexec_b64 s[8:9], s[38:39]
	s_cbranch_execnz .LBB2118_290
.LBB2118_264:
	s_or_b64 exec, exec, s[8:9]
	s_and_saveexec_b64 s[8:9], s[14:15]
	s_cbranch_execnz .LBB2118_291
.LBB2118_265:
	s_or_b64 exec, exec, s[8:9]
	s_and_saveexec_b64 s[8:9], s[16:17]
	s_cbranch_execz .LBB2118_267
.LBB2118_266:
	s_waitcnt lgkmcnt(0)
	flat_store_short v[0:1], v2 offset:3584
.LBB2118_267:
	s_or_b64 exec, exec, s[8:9]
	s_waitcnt lgkmcnt(0)
	s_barrier
	s_waitcnt lgkmcnt(0)
                                        ; implicit-def: $vgpr0_vgpr1
	s_and_saveexec_b64 s[12:13], vcc
	s_cbranch_execnz .LBB2118_292
; %bb.268:
	s_or_b64 exec, exec, s[12:13]
                                        ; implicit-def: $vgpr2_vgpr3
	s_and_saveexec_b64 s[12:13], s[4:5]
	s_cbranch_execnz .LBB2118_293
.LBB2118_269:
	s_or_b64 exec, exec, s[12:13]
                                        ; implicit-def: $vgpr4_vgpr5
	s_and_saveexec_b64 s[12:13], s[6:7]
	s_cbranch_execnz .LBB2118_294
.LBB2118_270:
	s_or_b64 exec, exec, s[12:13]
                                        ; implicit-def: $vgpr18_vgpr19
	s_and_saveexec_b64 s[12:13], s[18:19]
	s_cbranch_execnz .LBB2118_295
.LBB2118_271:
	s_or_b64 exec, exec, s[12:13]
                                        ; implicit-def: $vgpr20_vgpr21
	s_and_saveexec_b64 s[12:13], s[10:11]
	s_cbranch_execnz .LBB2118_296
.LBB2118_272:
	s_or_b64 exec, exec, s[12:13]
                                        ; implicit-def: $vgpr22_vgpr23
	s_and_saveexec_b64 s[12:13], s[38:39]
	s_cbranch_execnz .LBB2118_297
.LBB2118_273:
	s_or_b64 exec, exec, s[12:13]
                                        ; implicit-def: $vgpr24_vgpr25
	s_and_saveexec_b64 s[12:13], s[14:15]
	s_cbranch_execnz .LBB2118_298
.LBB2118_274:
	s_or_b64 exec, exec, s[12:13]
                                        ; implicit-def: $vgpr26_vgpr27
	s_and_saveexec_b64 s[12:13], s[16:17]
	s_cbranch_execz .LBB2118_276
.LBB2118_275:
	v_lshlrev_b32_e32 v26, 3, v134
	v_add_co_u32_e64 v6, s[8:9], v6, v26
	v_addc_co_u32_e64 v7, s[8:9], 0, v7, s[8:9]
	flat_load_dwordx2 v[26:27], v[6:7]
.LBB2118_276:
	s_or_b64 exec, exec, s[12:13]
	v_lshl_add_u32 v37, v48, 3, v38
	s_waitcnt vmcnt(0) lgkmcnt(0)
	ds_write_b64 v37, v[0:1]
	v_lshl_add_u32 v36, v36, 3, v38
	v_lshrrev_b32_e32 v1, 5, v11
	ds_write_b64 v36, v[2:3] offset:2048
	v_lshl_add_u32 v33, v33, 3, v38
	v_lshrrev_b32_e32 v0, 5, v10
	v_add_lshl_u32 v2, v1, v11, 3
	v_lshrrev_b32_e32 v1, 5, v12
	v_lshrrev_b32_e32 v11, 5, v15
	ds_write_b64 v33, v[4:5] offset:4096
	v_lshl_add_u32 v32, v32, 3, v38
	v_add_lshl_u32 v0, v0, v10, 3
	v_add_lshl_u32 v4, v1, v12, 3
	v_lshrrev_b32_e32 v10, 5, v14
	v_add_lshl_u32 v12, v11, v15, 3
	v_lshrrev_b32_e32 v11, 5, v16
	ds_write_b64 v32, v[18:19] offset:6144
	v_lshl_add_u32 v18, v31, 3, v38
	v_lshrrev_b32_e32 v1, 5, v13
	v_add_lshl_u32 v10, v10, v14, 3
	v_add_lshl_u32 v14, v11, v16, 3
	v_lshrrev_b32_e32 v11, 5, v17
	ds_write_b64 v18, v[20:21] offset:8192
	v_lshl_add_u32 v19, v30, 3, v38
	v_lshl_add_u32 v20, v29, 3, v38
	v_lshl_add_u32 v21, v28, 3, v38
	v_add_lshl_u32 v6, v1, v13, 3
	v_add_lshl_u32 v16, v11, v17, 3
	ds_write_b64 v19, v[22:23] offset:10240
	ds_write_b64 v20, v[24:25] offset:12288
	;; [unrolled: 1-line block ×3, first 2 shown]
	s_waitcnt lgkmcnt(0)
	s_barrier
	ds_read_b64 v[0:1], v0
	ds_read_b64 v[2:3], v2
	;; [unrolled: 1-line block ×8, first 2 shown]
	v_lshlrev_b32_e32 v22, 3, v38
	v_lshl_add_u32 v22, v39, 3, v22
	s_waitcnt lgkmcnt(0)
	s_barrier
	ds_write2_b64 v22, v[0:1], v[2:3] offset1:1
	ds_write2_b64 v22, v[4:5], v[6:7] offset0:2 offset1:3
	ds_write2_b64 v22, v[10:11], v[12:13] offset0:4 offset1:5
	;; [unrolled: 1-line block ×3, first 2 shown]
	s_waitcnt lgkmcnt(0)
	s_barrier
	ds_read_b64 v[16:17], v36 offset:2048
	ds_read_b64 v[14:15], v33 offset:4096
	;; [unrolled: 1-line block ×7, first 2 shown]
	v_add_co_u32_e64 v2, s[8:9], v8, v38
	v_addc_co_u32_e64 v3, s[8:9], 0, v9, s[8:9]
	s_and_saveexec_b64 s[8:9], vcc
	s_cbranch_execnz .LBB2118_299
; %bb.277:
	s_or_b64 exec, exec, s[8:9]
	s_and_saveexec_b64 s[8:9], s[4:5]
	s_cbranch_execnz .LBB2118_300
.LBB2118_278:
	s_or_b64 exec, exec, s[8:9]
	s_and_saveexec_b64 s[4:5], s[6:7]
	s_cbranch_execnz .LBB2118_301
.LBB2118_279:
	s_or_b64 exec, exec, s[4:5]
	s_and_saveexec_b64 s[4:5], s[18:19]
	s_cbranch_execnz .LBB2118_302
.LBB2118_280:
	s_or_b64 exec, exec, s[4:5]
	s_and_saveexec_b64 s[4:5], s[10:11]
	s_cbranch_execnz .LBB2118_303
.LBB2118_281:
	s_or_b64 exec, exec, s[4:5]
	s_and_saveexec_b64 s[4:5], s[38:39]
	s_cbranch_execnz .LBB2118_304
.LBB2118_282:
	s_or_b64 exec, exec, s[4:5]
	s_and_saveexec_b64 s[4:5], s[14:15]
	s_cbranch_execz .LBB2118_284
.LBB2118_283:
	v_add_co_u32_e32 v2, vcc, 0x3000, v2
	v_addc_co_u32_e32 v3, vcc, 0, v3, vcc
	s_waitcnt lgkmcnt(0)
	flat_store_dwordx2 v[2:3], v[0:1]
.LBB2118_284:
	s_or_b64 exec, exec, s[4:5]
	s_andn2_b64 s[4:5], s[40:41], exec
	s_and_b64 s[6:7], s[16:17], exec
	s_or_b64 s[40:41], s[4:5], s[6:7]
	s_or_b64 exec, exec, s[42:43]
	s_and_saveexec_b64 s[4:5], s[40:41]
	s_cbranch_execnz .LBB2118_3
	s_branch .LBB2118_4
.LBB2118_285:
	ds_read_u16 v4, v135
	s_waitcnt lgkmcnt(0)
	flat_store_short v[0:1], v4
	s_or_b64 exec, exec, s[8:9]
	s_and_saveexec_b64 s[8:9], s[4:5]
	s_cbranch_execz .LBB2118_260
.LBB2118_286:
	s_waitcnt lgkmcnt(0)
	flat_store_short v[0:1], v22 offset:512
	s_or_b64 exec, exec, s[8:9]
	s_and_saveexec_b64 s[8:9], s[6:7]
	s_cbranch_execz .LBB2118_261
.LBB2118_287:
	s_waitcnt lgkmcnt(0)
	flat_store_short v[0:1], v21 offset:1024
	s_or_b64 exec, exec, s[8:9]
	s_and_saveexec_b64 s[8:9], s[18:19]
	s_cbranch_execz .LBB2118_262
.LBB2118_288:
	s_waitcnt lgkmcnt(0)
	flat_store_short v[0:1], v20 offset:1536
	s_or_b64 exec, exec, s[8:9]
	s_and_saveexec_b64 s[8:9], s[10:11]
	s_cbranch_execz .LBB2118_263
.LBB2118_289:
	s_waitcnt lgkmcnt(0)
	flat_store_short v[0:1], v19 offset:2048
	s_or_b64 exec, exec, s[8:9]
	s_and_saveexec_b64 s[8:9], s[38:39]
	s_cbranch_execz .LBB2118_264
.LBB2118_290:
	s_waitcnt lgkmcnt(0)
	flat_store_short v[0:1], v18 offset:2560
	s_or_b64 exec, exec, s[8:9]
	s_and_saveexec_b64 s[8:9], s[14:15]
	s_cbranch_execz .LBB2118_265
.LBB2118_291:
	s_waitcnt lgkmcnt(0)
	flat_store_short v[0:1], v3 offset:3072
	s_or_b64 exec, exec, s[8:9]
	s_and_saveexec_b64 s[8:9], s[16:17]
	s_cbranch_execnz .LBB2118_266
	s_branch .LBB2118_267
.LBB2118_292:
	v_lshlrev_b32_e32 v0, 3, v34
	v_add_co_u32_e64 v0, s[8:9], v6, v0
	v_addc_co_u32_e64 v1, s[8:9], 0, v7, s[8:9]
	flat_load_dwordx2 v[0:1], v[0:1]
	s_or_b64 exec, exec, s[12:13]
                                        ; implicit-def: $vgpr2_vgpr3
	s_and_saveexec_b64 s[12:13], s[4:5]
	s_cbranch_execz .LBB2118_269
.LBB2118_293:
	v_lshlrev_b32_e32 v2, 3, v34
	v_add_co_u32_e64 v2, s[8:9], v6, v2
	v_addc_co_u32_e64 v3, s[8:9], 0, v7, s[8:9]
	flat_load_dwordx2 v[2:3], v[2:3] offset:2048
	s_or_b64 exec, exec, s[12:13]
                                        ; implicit-def: $vgpr4_vgpr5
	s_and_saveexec_b64 s[12:13], s[6:7]
	s_cbranch_execz .LBB2118_270
.LBB2118_294:
	v_lshlrev_b32_e32 v4, 3, v129
	v_add_co_u32_e64 v4, s[8:9], v6, v4
	v_addc_co_u32_e64 v5, s[8:9], 0, v7, s[8:9]
	flat_load_dwordx2 v[4:5], v[4:5]
	s_or_b64 exec, exec, s[12:13]
                                        ; implicit-def: $vgpr18_vgpr19
	s_and_saveexec_b64 s[12:13], s[18:19]
	s_cbranch_execz .LBB2118_271
.LBB2118_295:
	v_lshlrev_b32_e32 v18, 3, v130
	v_add_co_u32_e64 v18, s[8:9], v6, v18
	v_addc_co_u32_e64 v19, s[8:9], 0, v7, s[8:9]
	flat_load_dwordx2 v[18:19], v[18:19]
	s_or_b64 exec, exec, s[12:13]
                                        ; implicit-def: $vgpr20_vgpr21
	s_and_saveexec_b64 s[12:13], s[10:11]
	s_cbranch_execz .LBB2118_272
.LBB2118_296:
	v_lshlrev_b32_e32 v20, 3, v131
	v_add_co_u32_e64 v20, s[8:9], v6, v20
	v_addc_co_u32_e64 v21, s[8:9], 0, v7, s[8:9]
	flat_load_dwordx2 v[20:21], v[20:21]
	s_or_b64 exec, exec, s[12:13]
                                        ; implicit-def: $vgpr22_vgpr23
	s_and_saveexec_b64 s[12:13], s[38:39]
	s_cbranch_execz .LBB2118_273
.LBB2118_297:
	v_lshlrev_b32_e32 v22, 3, v132
	v_add_co_u32_e64 v22, s[8:9], v6, v22
	v_addc_co_u32_e64 v23, s[8:9], 0, v7, s[8:9]
	flat_load_dwordx2 v[22:23], v[22:23]
	s_or_b64 exec, exec, s[12:13]
                                        ; implicit-def: $vgpr24_vgpr25
	s_and_saveexec_b64 s[12:13], s[14:15]
	s_cbranch_execz .LBB2118_274
.LBB2118_298:
	v_lshlrev_b32_e32 v24, 3, v133
	v_add_co_u32_e64 v24, s[8:9], v6, v24
	v_addc_co_u32_e64 v25, s[8:9], 0, v7, s[8:9]
	flat_load_dwordx2 v[24:25], v[24:25]
	s_or_b64 exec, exec, s[12:13]
                                        ; implicit-def: $vgpr26_vgpr27
	s_and_saveexec_b64 s[12:13], s[16:17]
	s_cbranch_execnz .LBB2118_275
	s_branch .LBB2118_276
.LBB2118_299:
	ds_read_b64 v[18:19], v37
	s_waitcnt lgkmcnt(0)
	flat_store_dwordx2 v[2:3], v[18:19]
	s_or_b64 exec, exec, s[8:9]
	s_and_saveexec_b64 s[8:9], s[4:5]
	s_cbranch_execz .LBB2118_278
.LBB2118_300:
	s_waitcnt lgkmcnt(0)
	flat_store_dwordx2 v[2:3], v[16:17] offset:2048
	s_or_b64 exec, exec, s[8:9]
	s_and_saveexec_b64 s[4:5], s[6:7]
	s_cbranch_execz .LBB2118_279
.LBB2118_301:
	s_waitcnt lgkmcnt(0)
	v_add_co_u32_e32 v16, vcc, 0x1000, v2
	v_addc_co_u32_e32 v17, vcc, 0, v3, vcc
	flat_store_dwordx2 v[16:17], v[14:15]
	s_or_b64 exec, exec, s[4:5]
	s_and_saveexec_b64 s[4:5], s[18:19]
	s_cbranch_execz .LBB2118_280
.LBB2118_302:
	s_waitcnt lgkmcnt(0)
	v_add_co_u32_e32 v14, vcc, 0x1000, v2
	v_addc_co_u32_e32 v15, vcc, 0, v3, vcc
	flat_store_dwordx2 v[14:15], v[12:13] offset:2048
	s_or_b64 exec, exec, s[4:5]
	s_and_saveexec_b64 s[4:5], s[10:11]
	s_cbranch_execz .LBB2118_281
.LBB2118_303:
	s_waitcnt lgkmcnt(0)
	v_add_co_u32_e32 v12, vcc, 0x2000, v2
	v_addc_co_u32_e32 v13, vcc, 0, v3, vcc
	flat_store_dwordx2 v[12:13], v[6:7]
	s_or_b64 exec, exec, s[4:5]
	s_and_saveexec_b64 s[4:5], s[38:39]
	s_cbranch_execz .LBB2118_282
.LBB2118_304:
	s_waitcnt lgkmcnt(0)
	v_add_co_u32_e32 v6, vcc, 0x2000, v2
	v_addc_co_u32_e32 v7, vcc, 0, v3, vcc
	flat_store_dwordx2 v[6:7], v[4:5] offset:2048
	s_or_b64 exec, exec, s[4:5]
	s_and_saveexec_b64 s[4:5], s[14:15]
	s_cbranch_execnz .LBB2118_283
	s_branch .LBB2118_284
.Lfunc_end2118:
	.size	_ZN7rocprim17ROCPRIM_400000_NS6detail15block_sort_implIN3c104HalfElLj256ELj8ELNS0_4arch9wavefront6targetE1EvE4sortIPS4_SA_N6thrust23THRUST_200600_302600_NS10device_ptrIlEESE_NSC_4lessIS4_EEEEvjbT_T0_T1_T2_T3_RNS8_12storage_typeE, .Lfunc_end2118-_ZN7rocprim17ROCPRIM_400000_NS6detail15block_sort_implIN3c104HalfElLj256ELj8ELNS0_4arch9wavefront6targetE1EvE4sortIPS4_SA_N6thrust23THRUST_200600_302600_NS10device_ptrIlEESE_NSC_4lessIS4_EEEEvjbT_T0_T1_T2_T3_RNS8_12storage_typeE
                                        ; -- End function
	.section	.AMDGPU.csdata,"",@progbits
; Function info:
; codeLenInByte = 27916
; NumSgprs: 54
; NumVgprs: 166
; NumAgprs: 0
; TotalNumVgprs: 166
; ScratchSize: 8
; MemoryBound: 0
	.section	.text._ZN7rocprim17ROCPRIM_400000_NS6detail17trampoline_kernelINS0_14default_configENS1_37merge_sort_block_sort_config_selectorIN3c104HalfElEEZNS1_21merge_sort_block_sortIS3_PS6_S9_N6thrust23THRUST_200600_302600_NS10device_ptrIlEESD_NSB_4lessIS6_EEEE10hipError_tT0_T1_T2_T3_mRjT4_P12ihipStream_tbNS1_7vsmem_tEEUlT_E_NS1_11comp_targetILNS1_3genE4ELNS1_11target_archE910ELNS1_3gpuE8ELNS1_3repE0EEENS1_30default_config_static_selectorELNS0_4arch9wavefront6targetE1EEEvSI_,"axG",@progbits,_ZN7rocprim17ROCPRIM_400000_NS6detail17trampoline_kernelINS0_14default_configENS1_37merge_sort_block_sort_config_selectorIN3c104HalfElEEZNS1_21merge_sort_block_sortIS3_PS6_S9_N6thrust23THRUST_200600_302600_NS10device_ptrIlEESD_NSB_4lessIS6_EEEE10hipError_tT0_T1_T2_T3_mRjT4_P12ihipStream_tbNS1_7vsmem_tEEUlT_E_NS1_11comp_targetILNS1_3genE4ELNS1_11target_archE910ELNS1_3gpuE8ELNS1_3repE0EEENS1_30default_config_static_selectorELNS0_4arch9wavefront6targetE1EEEvSI_,comdat
	.protected	_ZN7rocprim17ROCPRIM_400000_NS6detail17trampoline_kernelINS0_14default_configENS1_37merge_sort_block_sort_config_selectorIN3c104HalfElEEZNS1_21merge_sort_block_sortIS3_PS6_S9_N6thrust23THRUST_200600_302600_NS10device_ptrIlEESD_NSB_4lessIS6_EEEE10hipError_tT0_T1_T2_T3_mRjT4_P12ihipStream_tbNS1_7vsmem_tEEUlT_E_NS1_11comp_targetILNS1_3genE4ELNS1_11target_archE910ELNS1_3gpuE8ELNS1_3repE0EEENS1_30default_config_static_selectorELNS0_4arch9wavefront6targetE1EEEvSI_ ; -- Begin function _ZN7rocprim17ROCPRIM_400000_NS6detail17trampoline_kernelINS0_14default_configENS1_37merge_sort_block_sort_config_selectorIN3c104HalfElEEZNS1_21merge_sort_block_sortIS3_PS6_S9_N6thrust23THRUST_200600_302600_NS10device_ptrIlEESD_NSB_4lessIS6_EEEE10hipError_tT0_T1_T2_T3_mRjT4_P12ihipStream_tbNS1_7vsmem_tEEUlT_E_NS1_11comp_targetILNS1_3genE4ELNS1_11target_archE910ELNS1_3gpuE8ELNS1_3repE0EEENS1_30default_config_static_selectorELNS0_4arch9wavefront6targetE1EEEvSI_
	.globl	_ZN7rocprim17ROCPRIM_400000_NS6detail17trampoline_kernelINS0_14default_configENS1_37merge_sort_block_sort_config_selectorIN3c104HalfElEEZNS1_21merge_sort_block_sortIS3_PS6_S9_N6thrust23THRUST_200600_302600_NS10device_ptrIlEESD_NSB_4lessIS6_EEEE10hipError_tT0_T1_T2_T3_mRjT4_P12ihipStream_tbNS1_7vsmem_tEEUlT_E_NS1_11comp_targetILNS1_3genE4ELNS1_11target_archE910ELNS1_3gpuE8ELNS1_3repE0EEENS1_30default_config_static_selectorELNS0_4arch9wavefront6targetE1EEEvSI_
	.p2align	8
	.type	_ZN7rocprim17ROCPRIM_400000_NS6detail17trampoline_kernelINS0_14default_configENS1_37merge_sort_block_sort_config_selectorIN3c104HalfElEEZNS1_21merge_sort_block_sortIS3_PS6_S9_N6thrust23THRUST_200600_302600_NS10device_ptrIlEESD_NSB_4lessIS6_EEEE10hipError_tT0_T1_T2_T3_mRjT4_P12ihipStream_tbNS1_7vsmem_tEEUlT_E_NS1_11comp_targetILNS1_3genE4ELNS1_11target_archE910ELNS1_3gpuE8ELNS1_3repE0EEENS1_30default_config_static_selectorELNS0_4arch9wavefront6targetE1EEEvSI_,@function
_ZN7rocprim17ROCPRIM_400000_NS6detail17trampoline_kernelINS0_14default_configENS1_37merge_sort_block_sort_config_selectorIN3c104HalfElEEZNS1_21merge_sort_block_sortIS3_PS6_S9_N6thrust23THRUST_200600_302600_NS10device_ptrIlEESD_NSB_4lessIS6_EEEE10hipError_tT0_T1_T2_T3_mRjT4_P12ihipStream_tbNS1_7vsmem_tEEUlT_E_NS1_11comp_targetILNS1_3genE4ELNS1_11target_archE910ELNS1_3gpuE8ELNS1_3repE0EEENS1_30default_config_static_selectorELNS0_4arch9wavefront6targetE1EEEvSI_: ; @_ZN7rocprim17ROCPRIM_400000_NS6detail17trampoline_kernelINS0_14default_configENS1_37merge_sort_block_sort_config_selectorIN3c104HalfElEEZNS1_21merge_sort_block_sortIS3_PS6_S9_N6thrust23THRUST_200600_302600_NS10device_ptrIlEESD_NSB_4lessIS6_EEEE10hipError_tT0_T1_T2_T3_mRjT4_P12ihipStream_tbNS1_7vsmem_tEEUlT_E_NS1_11comp_targetILNS1_3genE4ELNS1_11target_archE910ELNS1_3gpuE8ELNS1_3repE0EEENS1_30default_config_static_selectorELNS0_4arch9wavefront6targetE1EEEvSI_
; %bb.0:
	s_add_u32 flat_scratch_lo, s6, s11
	s_addc_u32 flat_scratch_hi, s7, 0
	s_mov_b32 s12, s8
	s_load_dwordx2 s[6:7], s[4:5], 0x40
	s_load_dword s8, s[4:5], 0x0
	s_add_u32 s0, s0, s11
	s_addc_u32 s1, s1, 0
	s_mov_b32 s32, 0
	s_waitcnt lgkmcnt(0)
	s_mul_i32 s7, s7, s10
	s_add_i32 s7, s7, s9
	s_mul_i32 s6, s7, s6
	s_add_i32 s6, s6, s12
	s_cmp_ge_u32 s6, s8
	s_cbranch_scc1 .LBB2119_2
; %bb.1:
	s_mov_b32 s13, s9
	s_load_dwordx2 s[8:9], s[4:5], 0x8
	s_load_dwordx8 s[16:23], s[4:5], 0x18
	s_lshl_b32 s10, s6, 11
	s_mov_b32 s7, 0
	v_mov_b32_e32 v31, v0
	s_waitcnt lgkmcnt(0)
	s_sub_i32 s14, s8, s10
	s_lshr_b64 s[8:9], s[8:9], 11
	s_cmp_eq_u64 s[8:9], s[6:7]
	s_cselect_b64 s[8:9], -1, 0
	s_lshl_b64 s[10:11], s[6:7], 12
	s_add_u32 s15, s16, s10
	s_addc_u32 s16, s17, s11
	s_add_u32 s10, s18, s10
	s_addc_u32 s11, s19, s11
	s_lshl_b64 s[6:7], s[6:7], 14
	s_add_u32 s17, s20, s6
	s_addc_u32 s18, s21, s7
	s_add_u32 s6, s22, s6
	s_addc_u32 s7, s23, s7
	v_cndmask_b32_e64 v1, 0, 1, s[8:9]
	s_add_u32 s8, s4, 64
	s_addc_u32 s9, s5, 0
	v_mov_b32_e32 v0, s14
	v_mov_b32_e32 v2, s15
	;; [unrolled: 1-line block ×9, first 2 shown]
	s_getpc_b64 s[4:5]
	s_add_u32 s4, s4, _ZN7rocprim17ROCPRIM_400000_NS6detail15block_sort_implIN3c104HalfElLj256ELj8ELNS0_4arch9wavefront6targetE1EvE4sortIPS4_SA_N6thrust23THRUST_200600_302600_NS10device_ptrIlEESE_NSC_4lessIS4_EEEEvjbT_T0_T1_T2_T3_RNS8_12storage_typeE@rel32@lo+4
	s_addc_u32 s5, s5, _ZN7rocprim17ROCPRIM_400000_NS6detail15block_sort_implIN3c104HalfElLj256ELj8ELNS0_4arch9wavefront6targetE1EvE4sortIPS4_SA_N6thrust23THRUST_200600_302600_NS10device_ptrIlEESE_NSC_4lessIS4_EEEEvjbT_T0_T1_T2_T3_RNS8_12storage_typeE@rel32@hi+12
	s_swappc_b64 s[30:31], s[4:5]
.LBB2119_2:
	s_endpgm
	.section	.rodata,"a",@progbits
	.p2align	6, 0x0
	.amdhsa_kernel _ZN7rocprim17ROCPRIM_400000_NS6detail17trampoline_kernelINS0_14default_configENS1_37merge_sort_block_sort_config_selectorIN3c104HalfElEEZNS1_21merge_sort_block_sortIS3_PS6_S9_N6thrust23THRUST_200600_302600_NS10device_ptrIlEESD_NSB_4lessIS6_EEEE10hipError_tT0_T1_T2_T3_mRjT4_P12ihipStream_tbNS1_7vsmem_tEEUlT_E_NS1_11comp_targetILNS1_3genE4ELNS1_11target_archE910ELNS1_3gpuE8ELNS1_3repE0EEENS1_30default_config_static_selectorELNS0_4arch9wavefront6targetE1EEEvSI_
		.amdhsa_group_segment_fixed_size 16896
		.amdhsa_private_segment_fixed_size 8
		.amdhsa_kernarg_size 320
		.amdhsa_user_sgpr_count 8
		.amdhsa_user_sgpr_private_segment_buffer 1
		.amdhsa_user_sgpr_dispatch_ptr 0
		.amdhsa_user_sgpr_queue_ptr 0
		.amdhsa_user_sgpr_kernarg_segment_ptr 1
		.amdhsa_user_sgpr_dispatch_id 0
		.amdhsa_user_sgpr_flat_scratch_init 1
		.amdhsa_user_sgpr_kernarg_preload_length 0
		.amdhsa_user_sgpr_kernarg_preload_offset 0
		.amdhsa_user_sgpr_private_segment_size 0
		.amdhsa_uses_dynamic_stack 0
		.amdhsa_system_sgpr_private_segment_wavefront_offset 1
		.amdhsa_system_sgpr_workgroup_id_x 1
		.amdhsa_system_sgpr_workgroup_id_y 1
		.amdhsa_system_sgpr_workgroup_id_z 1
		.amdhsa_system_sgpr_workgroup_info 0
		.amdhsa_system_vgpr_workitem_id 2
		.amdhsa_next_free_vgpr 166
		.amdhsa_next_free_sgpr 50
		.amdhsa_accum_offset 168
		.amdhsa_reserve_vcc 1
		.amdhsa_reserve_flat_scratch 1
		.amdhsa_float_round_mode_32 0
		.amdhsa_float_round_mode_16_64 0
		.amdhsa_float_denorm_mode_32 3
		.amdhsa_float_denorm_mode_16_64 3
		.amdhsa_dx10_clamp 1
		.amdhsa_ieee_mode 1
		.amdhsa_fp16_overflow 0
		.amdhsa_tg_split 0
		.amdhsa_exception_fp_ieee_invalid_op 0
		.amdhsa_exception_fp_denorm_src 0
		.amdhsa_exception_fp_ieee_div_zero 0
		.amdhsa_exception_fp_ieee_overflow 0
		.amdhsa_exception_fp_ieee_underflow 0
		.amdhsa_exception_fp_ieee_inexact 0
		.amdhsa_exception_int_div_zero 0
	.end_amdhsa_kernel
	.section	.text._ZN7rocprim17ROCPRIM_400000_NS6detail17trampoline_kernelINS0_14default_configENS1_37merge_sort_block_sort_config_selectorIN3c104HalfElEEZNS1_21merge_sort_block_sortIS3_PS6_S9_N6thrust23THRUST_200600_302600_NS10device_ptrIlEESD_NSB_4lessIS6_EEEE10hipError_tT0_T1_T2_T3_mRjT4_P12ihipStream_tbNS1_7vsmem_tEEUlT_E_NS1_11comp_targetILNS1_3genE4ELNS1_11target_archE910ELNS1_3gpuE8ELNS1_3repE0EEENS1_30default_config_static_selectorELNS0_4arch9wavefront6targetE1EEEvSI_,"axG",@progbits,_ZN7rocprim17ROCPRIM_400000_NS6detail17trampoline_kernelINS0_14default_configENS1_37merge_sort_block_sort_config_selectorIN3c104HalfElEEZNS1_21merge_sort_block_sortIS3_PS6_S9_N6thrust23THRUST_200600_302600_NS10device_ptrIlEESD_NSB_4lessIS6_EEEE10hipError_tT0_T1_T2_T3_mRjT4_P12ihipStream_tbNS1_7vsmem_tEEUlT_E_NS1_11comp_targetILNS1_3genE4ELNS1_11target_archE910ELNS1_3gpuE8ELNS1_3repE0EEENS1_30default_config_static_selectorELNS0_4arch9wavefront6targetE1EEEvSI_,comdat
.Lfunc_end2119:
	.size	_ZN7rocprim17ROCPRIM_400000_NS6detail17trampoline_kernelINS0_14default_configENS1_37merge_sort_block_sort_config_selectorIN3c104HalfElEEZNS1_21merge_sort_block_sortIS3_PS6_S9_N6thrust23THRUST_200600_302600_NS10device_ptrIlEESD_NSB_4lessIS6_EEEE10hipError_tT0_T1_T2_T3_mRjT4_P12ihipStream_tbNS1_7vsmem_tEEUlT_E_NS1_11comp_targetILNS1_3genE4ELNS1_11target_archE910ELNS1_3gpuE8ELNS1_3repE0EEENS1_30default_config_static_selectorELNS0_4arch9wavefront6targetE1EEEvSI_, .Lfunc_end2119-_ZN7rocprim17ROCPRIM_400000_NS6detail17trampoline_kernelINS0_14default_configENS1_37merge_sort_block_sort_config_selectorIN3c104HalfElEEZNS1_21merge_sort_block_sortIS3_PS6_S9_N6thrust23THRUST_200600_302600_NS10device_ptrIlEESD_NSB_4lessIS6_EEEE10hipError_tT0_T1_T2_T3_mRjT4_P12ihipStream_tbNS1_7vsmem_tEEUlT_E_NS1_11comp_targetILNS1_3genE4ELNS1_11target_archE910ELNS1_3gpuE8ELNS1_3repE0EEENS1_30default_config_static_selectorELNS0_4arch9wavefront6targetE1EEEvSI_
                                        ; -- End function
	.section	.AMDGPU.csdata,"",@progbits
; Kernel info:
; codeLenInByte = 240
; NumSgprs: 56
; NumVgprs: 166
; NumAgprs: 0
; TotalNumVgprs: 166
; ScratchSize: 8
; MemoryBound: 0
; FloatMode: 240
; IeeeMode: 1
; LDSByteSize: 16896 bytes/workgroup (compile time only)
; SGPRBlocks: 6
; VGPRBlocks: 20
; NumSGPRsForWavesPerEU: 56
; NumVGPRsForWavesPerEU: 166
; AccumOffset: 168
; Occupancy: 3
; WaveLimiterHint : 1
; COMPUTE_PGM_RSRC2:SCRATCH_EN: 1
; COMPUTE_PGM_RSRC2:USER_SGPR: 8
; COMPUTE_PGM_RSRC2:TRAP_HANDLER: 0
; COMPUTE_PGM_RSRC2:TGID_X_EN: 1
; COMPUTE_PGM_RSRC2:TGID_Y_EN: 1
; COMPUTE_PGM_RSRC2:TGID_Z_EN: 1
; COMPUTE_PGM_RSRC2:TIDIG_COMP_CNT: 2
; COMPUTE_PGM_RSRC3_GFX90A:ACCUM_OFFSET: 41
; COMPUTE_PGM_RSRC3_GFX90A:TG_SPLIT: 0
	.section	.text._ZN7rocprim17ROCPRIM_400000_NS6detail17trampoline_kernelINS0_14default_configENS1_37merge_sort_block_sort_config_selectorIN3c104HalfElEEZNS1_21merge_sort_block_sortIS3_PS6_S9_N6thrust23THRUST_200600_302600_NS10device_ptrIlEESD_NSB_4lessIS6_EEEE10hipError_tT0_T1_T2_T3_mRjT4_P12ihipStream_tbNS1_7vsmem_tEEUlT_E_NS1_11comp_targetILNS1_3genE3ELNS1_11target_archE908ELNS1_3gpuE7ELNS1_3repE0EEENS1_30default_config_static_selectorELNS0_4arch9wavefront6targetE1EEEvSI_,"axG",@progbits,_ZN7rocprim17ROCPRIM_400000_NS6detail17trampoline_kernelINS0_14default_configENS1_37merge_sort_block_sort_config_selectorIN3c104HalfElEEZNS1_21merge_sort_block_sortIS3_PS6_S9_N6thrust23THRUST_200600_302600_NS10device_ptrIlEESD_NSB_4lessIS6_EEEE10hipError_tT0_T1_T2_T3_mRjT4_P12ihipStream_tbNS1_7vsmem_tEEUlT_E_NS1_11comp_targetILNS1_3genE3ELNS1_11target_archE908ELNS1_3gpuE7ELNS1_3repE0EEENS1_30default_config_static_selectorELNS0_4arch9wavefront6targetE1EEEvSI_,comdat
	.protected	_ZN7rocprim17ROCPRIM_400000_NS6detail17trampoline_kernelINS0_14default_configENS1_37merge_sort_block_sort_config_selectorIN3c104HalfElEEZNS1_21merge_sort_block_sortIS3_PS6_S9_N6thrust23THRUST_200600_302600_NS10device_ptrIlEESD_NSB_4lessIS6_EEEE10hipError_tT0_T1_T2_T3_mRjT4_P12ihipStream_tbNS1_7vsmem_tEEUlT_E_NS1_11comp_targetILNS1_3genE3ELNS1_11target_archE908ELNS1_3gpuE7ELNS1_3repE0EEENS1_30default_config_static_selectorELNS0_4arch9wavefront6targetE1EEEvSI_ ; -- Begin function _ZN7rocprim17ROCPRIM_400000_NS6detail17trampoline_kernelINS0_14default_configENS1_37merge_sort_block_sort_config_selectorIN3c104HalfElEEZNS1_21merge_sort_block_sortIS3_PS6_S9_N6thrust23THRUST_200600_302600_NS10device_ptrIlEESD_NSB_4lessIS6_EEEE10hipError_tT0_T1_T2_T3_mRjT4_P12ihipStream_tbNS1_7vsmem_tEEUlT_E_NS1_11comp_targetILNS1_3genE3ELNS1_11target_archE908ELNS1_3gpuE7ELNS1_3repE0EEENS1_30default_config_static_selectorELNS0_4arch9wavefront6targetE1EEEvSI_
	.globl	_ZN7rocprim17ROCPRIM_400000_NS6detail17trampoline_kernelINS0_14default_configENS1_37merge_sort_block_sort_config_selectorIN3c104HalfElEEZNS1_21merge_sort_block_sortIS3_PS6_S9_N6thrust23THRUST_200600_302600_NS10device_ptrIlEESD_NSB_4lessIS6_EEEE10hipError_tT0_T1_T2_T3_mRjT4_P12ihipStream_tbNS1_7vsmem_tEEUlT_E_NS1_11comp_targetILNS1_3genE3ELNS1_11target_archE908ELNS1_3gpuE7ELNS1_3repE0EEENS1_30default_config_static_selectorELNS0_4arch9wavefront6targetE1EEEvSI_
	.p2align	8
	.type	_ZN7rocprim17ROCPRIM_400000_NS6detail17trampoline_kernelINS0_14default_configENS1_37merge_sort_block_sort_config_selectorIN3c104HalfElEEZNS1_21merge_sort_block_sortIS3_PS6_S9_N6thrust23THRUST_200600_302600_NS10device_ptrIlEESD_NSB_4lessIS6_EEEE10hipError_tT0_T1_T2_T3_mRjT4_P12ihipStream_tbNS1_7vsmem_tEEUlT_E_NS1_11comp_targetILNS1_3genE3ELNS1_11target_archE908ELNS1_3gpuE7ELNS1_3repE0EEENS1_30default_config_static_selectorELNS0_4arch9wavefront6targetE1EEEvSI_,@function
_ZN7rocprim17ROCPRIM_400000_NS6detail17trampoline_kernelINS0_14default_configENS1_37merge_sort_block_sort_config_selectorIN3c104HalfElEEZNS1_21merge_sort_block_sortIS3_PS6_S9_N6thrust23THRUST_200600_302600_NS10device_ptrIlEESD_NSB_4lessIS6_EEEE10hipError_tT0_T1_T2_T3_mRjT4_P12ihipStream_tbNS1_7vsmem_tEEUlT_E_NS1_11comp_targetILNS1_3genE3ELNS1_11target_archE908ELNS1_3gpuE7ELNS1_3repE0EEENS1_30default_config_static_selectorELNS0_4arch9wavefront6targetE1EEEvSI_: ; @_ZN7rocprim17ROCPRIM_400000_NS6detail17trampoline_kernelINS0_14default_configENS1_37merge_sort_block_sort_config_selectorIN3c104HalfElEEZNS1_21merge_sort_block_sortIS3_PS6_S9_N6thrust23THRUST_200600_302600_NS10device_ptrIlEESD_NSB_4lessIS6_EEEE10hipError_tT0_T1_T2_T3_mRjT4_P12ihipStream_tbNS1_7vsmem_tEEUlT_E_NS1_11comp_targetILNS1_3genE3ELNS1_11target_archE908ELNS1_3gpuE7ELNS1_3repE0EEENS1_30default_config_static_selectorELNS0_4arch9wavefront6targetE1EEEvSI_
; %bb.0:
	.section	.rodata,"a",@progbits
	.p2align	6, 0x0
	.amdhsa_kernel _ZN7rocprim17ROCPRIM_400000_NS6detail17trampoline_kernelINS0_14default_configENS1_37merge_sort_block_sort_config_selectorIN3c104HalfElEEZNS1_21merge_sort_block_sortIS3_PS6_S9_N6thrust23THRUST_200600_302600_NS10device_ptrIlEESD_NSB_4lessIS6_EEEE10hipError_tT0_T1_T2_T3_mRjT4_P12ihipStream_tbNS1_7vsmem_tEEUlT_E_NS1_11comp_targetILNS1_3genE3ELNS1_11target_archE908ELNS1_3gpuE7ELNS1_3repE0EEENS1_30default_config_static_selectorELNS0_4arch9wavefront6targetE1EEEvSI_
		.amdhsa_group_segment_fixed_size 0
		.amdhsa_private_segment_fixed_size 0
		.amdhsa_kernarg_size 64
		.amdhsa_user_sgpr_count 6
		.amdhsa_user_sgpr_private_segment_buffer 1
		.amdhsa_user_sgpr_dispatch_ptr 0
		.amdhsa_user_sgpr_queue_ptr 0
		.amdhsa_user_sgpr_kernarg_segment_ptr 1
		.amdhsa_user_sgpr_dispatch_id 0
		.amdhsa_user_sgpr_flat_scratch_init 0
		.amdhsa_user_sgpr_kernarg_preload_length 0
		.amdhsa_user_sgpr_kernarg_preload_offset 0
		.amdhsa_user_sgpr_private_segment_size 0
		.amdhsa_uses_dynamic_stack 0
		.amdhsa_system_sgpr_private_segment_wavefront_offset 0
		.amdhsa_system_sgpr_workgroup_id_x 1
		.amdhsa_system_sgpr_workgroup_id_y 0
		.amdhsa_system_sgpr_workgroup_id_z 0
		.amdhsa_system_sgpr_workgroup_info 0
		.amdhsa_system_vgpr_workitem_id 0
		.amdhsa_next_free_vgpr 1
		.amdhsa_next_free_sgpr 0
		.amdhsa_accum_offset 4
		.amdhsa_reserve_vcc 0
		.amdhsa_reserve_flat_scratch 0
		.amdhsa_float_round_mode_32 0
		.amdhsa_float_round_mode_16_64 0
		.amdhsa_float_denorm_mode_32 3
		.amdhsa_float_denorm_mode_16_64 3
		.amdhsa_dx10_clamp 1
		.amdhsa_ieee_mode 1
		.amdhsa_fp16_overflow 0
		.amdhsa_tg_split 0
		.amdhsa_exception_fp_ieee_invalid_op 0
		.amdhsa_exception_fp_denorm_src 0
		.amdhsa_exception_fp_ieee_div_zero 0
		.amdhsa_exception_fp_ieee_overflow 0
		.amdhsa_exception_fp_ieee_underflow 0
		.amdhsa_exception_fp_ieee_inexact 0
		.amdhsa_exception_int_div_zero 0
	.end_amdhsa_kernel
	.section	.text._ZN7rocprim17ROCPRIM_400000_NS6detail17trampoline_kernelINS0_14default_configENS1_37merge_sort_block_sort_config_selectorIN3c104HalfElEEZNS1_21merge_sort_block_sortIS3_PS6_S9_N6thrust23THRUST_200600_302600_NS10device_ptrIlEESD_NSB_4lessIS6_EEEE10hipError_tT0_T1_T2_T3_mRjT4_P12ihipStream_tbNS1_7vsmem_tEEUlT_E_NS1_11comp_targetILNS1_3genE3ELNS1_11target_archE908ELNS1_3gpuE7ELNS1_3repE0EEENS1_30default_config_static_selectorELNS0_4arch9wavefront6targetE1EEEvSI_,"axG",@progbits,_ZN7rocprim17ROCPRIM_400000_NS6detail17trampoline_kernelINS0_14default_configENS1_37merge_sort_block_sort_config_selectorIN3c104HalfElEEZNS1_21merge_sort_block_sortIS3_PS6_S9_N6thrust23THRUST_200600_302600_NS10device_ptrIlEESD_NSB_4lessIS6_EEEE10hipError_tT0_T1_T2_T3_mRjT4_P12ihipStream_tbNS1_7vsmem_tEEUlT_E_NS1_11comp_targetILNS1_3genE3ELNS1_11target_archE908ELNS1_3gpuE7ELNS1_3repE0EEENS1_30default_config_static_selectorELNS0_4arch9wavefront6targetE1EEEvSI_,comdat
.Lfunc_end2120:
	.size	_ZN7rocprim17ROCPRIM_400000_NS6detail17trampoline_kernelINS0_14default_configENS1_37merge_sort_block_sort_config_selectorIN3c104HalfElEEZNS1_21merge_sort_block_sortIS3_PS6_S9_N6thrust23THRUST_200600_302600_NS10device_ptrIlEESD_NSB_4lessIS6_EEEE10hipError_tT0_T1_T2_T3_mRjT4_P12ihipStream_tbNS1_7vsmem_tEEUlT_E_NS1_11comp_targetILNS1_3genE3ELNS1_11target_archE908ELNS1_3gpuE7ELNS1_3repE0EEENS1_30default_config_static_selectorELNS0_4arch9wavefront6targetE1EEEvSI_, .Lfunc_end2120-_ZN7rocprim17ROCPRIM_400000_NS6detail17trampoline_kernelINS0_14default_configENS1_37merge_sort_block_sort_config_selectorIN3c104HalfElEEZNS1_21merge_sort_block_sortIS3_PS6_S9_N6thrust23THRUST_200600_302600_NS10device_ptrIlEESD_NSB_4lessIS6_EEEE10hipError_tT0_T1_T2_T3_mRjT4_P12ihipStream_tbNS1_7vsmem_tEEUlT_E_NS1_11comp_targetILNS1_3genE3ELNS1_11target_archE908ELNS1_3gpuE7ELNS1_3repE0EEENS1_30default_config_static_selectorELNS0_4arch9wavefront6targetE1EEEvSI_
                                        ; -- End function
	.section	.AMDGPU.csdata,"",@progbits
; Kernel info:
; codeLenInByte = 0
; NumSgprs: 4
; NumVgprs: 0
; NumAgprs: 0
; TotalNumVgprs: 0
; ScratchSize: 0
; MemoryBound: 0
; FloatMode: 240
; IeeeMode: 1
; LDSByteSize: 0 bytes/workgroup (compile time only)
; SGPRBlocks: 0
; VGPRBlocks: 0
; NumSGPRsForWavesPerEU: 4
; NumVGPRsForWavesPerEU: 1
; AccumOffset: 4
; Occupancy: 8
; WaveLimiterHint : 0
; COMPUTE_PGM_RSRC2:SCRATCH_EN: 0
; COMPUTE_PGM_RSRC2:USER_SGPR: 6
; COMPUTE_PGM_RSRC2:TRAP_HANDLER: 0
; COMPUTE_PGM_RSRC2:TGID_X_EN: 1
; COMPUTE_PGM_RSRC2:TGID_Y_EN: 0
; COMPUTE_PGM_RSRC2:TGID_Z_EN: 0
; COMPUTE_PGM_RSRC2:TIDIG_COMP_CNT: 0
; COMPUTE_PGM_RSRC3_GFX90A:ACCUM_OFFSET: 0
; COMPUTE_PGM_RSRC3_GFX90A:TG_SPLIT: 0
	.section	.text._ZN7rocprim17ROCPRIM_400000_NS6detail17trampoline_kernelINS0_14default_configENS1_37merge_sort_block_sort_config_selectorIN3c104HalfElEEZNS1_21merge_sort_block_sortIS3_PS6_S9_N6thrust23THRUST_200600_302600_NS10device_ptrIlEESD_NSB_4lessIS6_EEEE10hipError_tT0_T1_T2_T3_mRjT4_P12ihipStream_tbNS1_7vsmem_tEEUlT_E_NS1_11comp_targetILNS1_3genE2ELNS1_11target_archE906ELNS1_3gpuE6ELNS1_3repE0EEENS1_30default_config_static_selectorELNS0_4arch9wavefront6targetE1EEEvSI_,"axG",@progbits,_ZN7rocprim17ROCPRIM_400000_NS6detail17trampoline_kernelINS0_14default_configENS1_37merge_sort_block_sort_config_selectorIN3c104HalfElEEZNS1_21merge_sort_block_sortIS3_PS6_S9_N6thrust23THRUST_200600_302600_NS10device_ptrIlEESD_NSB_4lessIS6_EEEE10hipError_tT0_T1_T2_T3_mRjT4_P12ihipStream_tbNS1_7vsmem_tEEUlT_E_NS1_11comp_targetILNS1_3genE2ELNS1_11target_archE906ELNS1_3gpuE6ELNS1_3repE0EEENS1_30default_config_static_selectorELNS0_4arch9wavefront6targetE1EEEvSI_,comdat
	.protected	_ZN7rocprim17ROCPRIM_400000_NS6detail17trampoline_kernelINS0_14default_configENS1_37merge_sort_block_sort_config_selectorIN3c104HalfElEEZNS1_21merge_sort_block_sortIS3_PS6_S9_N6thrust23THRUST_200600_302600_NS10device_ptrIlEESD_NSB_4lessIS6_EEEE10hipError_tT0_T1_T2_T3_mRjT4_P12ihipStream_tbNS1_7vsmem_tEEUlT_E_NS1_11comp_targetILNS1_3genE2ELNS1_11target_archE906ELNS1_3gpuE6ELNS1_3repE0EEENS1_30default_config_static_selectorELNS0_4arch9wavefront6targetE1EEEvSI_ ; -- Begin function _ZN7rocprim17ROCPRIM_400000_NS6detail17trampoline_kernelINS0_14default_configENS1_37merge_sort_block_sort_config_selectorIN3c104HalfElEEZNS1_21merge_sort_block_sortIS3_PS6_S9_N6thrust23THRUST_200600_302600_NS10device_ptrIlEESD_NSB_4lessIS6_EEEE10hipError_tT0_T1_T2_T3_mRjT4_P12ihipStream_tbNS1_7vsmem_tEEUlT_E_NS1_11comp_targetILNS1_3genE2ELNS1_11target_archE906ELNS1_3gpuE6ELNS1_3repE0EEENS1_30default_config_static_selectorELNS0_4arch9wavefront6targetE1EEEvSI_
	.globl	_ZN7rocprim17ROCPRIM_400000_NS6detail17trampoline_kernelINS0_14default_configENS1_37merge_sort_block_sort_config_selectorIN3c104HalfElEEZNS1_21merge_sort_block_sortIS3_PS6_S9_N6thrust23THRUST_200600_302600_NS10device_ptrIlEESD_NSB_4lessIS6_EEEE10hipError_tT0_T1_T2_T3_mRjT4_P12ihipStream_tbNS1_7vsmem_tEEUlT_E_NS1_11comp_targetILNS1_3genE2ELNS1_11target_archE906ELNS1_3gpuE6ELNS1_3repE0EEENS1_30default_config_static_selectorELNS0_4arch9wavefront6targetE1EEEvSI_
	.p2align	8
	.type	_ZN7rocprim17ROCPRIM_400000_NS6detail17trampoline_kernelINS0_14default_configENS1_37merge_sort_block_sort_config_selectorIN3c104HalfElEEZNS1_21merge_sort_block_sortIS3_PS6_S9_N6thrust23THRUST_200600_302600_NS10device_ptrIlEESD_NSB_4lessIS6_EEEE10hipError_tT0_T1_T2_T3_mRjT4_P12ihipStream_tbNS1_7vsmem_tEEUlT_E_NS1_11comp_targetILNS1_3genE2ELNS1_11target_archE906ELNS1_3gpuE6ELNS1_3repE0EEENS1_30default_config_static_selectorELNS0_4arch9wavefront6targetE1EEEvSI_,@function
_ZN7rocprim17ROCPRIM_400000_NS6detail17trampoline_kernelINS0_14default_configENS1_37merge_sort_block_sort_config_selectorIN3c104HalfElEEZNS1_21merge_sort_block_sortIS3_PS6_S9_N6thrust23THRUST_200600_302600_NS10device_ptrIlEESD_NSB_4lessIS6_EEEE10hipError_tT0_T1_T2_T3_mRjT4_P12ihipStream_tbNS1_7vsmem_tEEUlT_E_NS1_11comp_targetILNS1_3genE2ELNS1_11target_archE906ELNS1_3gpuE6ELNS1_3repE0EEENS1_30default_config_static_selectorELNS0_4arch9wavefront6targetE1EEEvSI_: ; @_ZN7rocprim17ROCPRIM_400000_NS6detail17trampoline_kernelINS0_14default_configENS1_37merge_sort_block_sort_config_selectorIN3c104HalfElEEZNS1_21merge_sort_block_sortIS3_PS6_S9_N6thrust23THRUST_200600_302600_NS10device_ptrIlEESD_NSB_4lessIS6_EEEE10hipError_tT0_T1_T2_T3_mRjT4_P12ihipStream_tbNS1_7vsmem_tEEUlT_E_NS1_11comp_targetILNS1_3genE2ELNS1_11target_archE906ELNS1_3gpuE6ELNS1_3repE0EEENS1_30default_config_static_selectorELNS0_4arch9wavefront6targetE1EEEvSI_
; %bb.0:
	.section	.rodata,"a",@progbits
	.p2align	6, 0x0
	.amdhsa_kernel _ZN7rocprim17ROCPRIM_400000_NS6detail17trampoline_kernelINS0_14default_configENS1_37merge_sort_block_sort_config_selectorIN3c104HalfElEEZNS1_21merge_sort_block_sortIS3_PS6_S9_N6thrust23THRUST_200600_302600_NS10device_ptrIlEESD_NSB_4lessIS6_EEEE10hipError_tT0_T1_T2_T3_mRjT4_P12ihipStream_tbNS1_7vsmem_tEEUlT_E_NS1_11comp_targetILNS1_3genE2ELNS1_11target_archE906ELNS1_3gpuE6ELNS1_3repE0EEENS1_30default_config_static_selectorELNS0_4arch9wavefront6targetE1EEEvSI_
		.amdhsa_group_segment_fixed_size 0
		.amdhsa_private_segment_fixed_size 0
		.amdhsa_kernarg_size 64
		.amdhsa_user_sgpr_count 6
		.amdhsa_user_sgpr_private_segment_buffer 1
		.amdhsa_user_sgpr_dispatch_ptr 0
		.amdhsa_user_sgpr_queue_ptr 0
		.amdhsa_user_sgpr_kernarg_segment_ptr 1
		.amdhsa_user_sgpr_dispatch_id 0
		.amdhsa_user_sgpr_flat_scratch_init 0
		.amdhsa_user_sgpr_kernarg_preload_length 0
		.amdhsa_user_sgpr_kernarg_preload_offset 0
		.amdhsa_user_sgpr_private_segment_size 0
		.amdhsa_uses_dynamic_stack 0
		.amdhsa_system_sgpr_private_segment_wavefront_offset 0
		.amdhsa_system_sgpr_workgroup_id_x 1
		.amdhsa_system_sgpr_workgroup_id_y 0
		.amdhsa_system_sgpr_workgroup_id_z 0
		.amdhsa_system_sgpr_workgroup_info 0
		.amdhsa_system_vgpr_workitem_id 0
		.amdhsa_next_free_vgpr 1
		.amdhsa_next_free_sgpr 0
		.amdhsa_accum_offset 4
		.amdhsa_reserve_vcc 0
		.amdhsa_reserve_flat_scratch 0
		.amdhsa_float_round_mode_32 0
		.amdhsa_float_round_mode_16_64 0
		.amdhsa_float_denorm_mode_32 3
		.amdhsa_float_denorm_mode_16_64 3
		.amdhsa_dx10_clamp 1
		.amdhsa_ieee_mode 1
		.amdhsa_fp16_overflow 0
		.amdhsa_tg_split 0
		.amdhsa_exception_fp_ieee_invalid_op 0
		.amdhsa_exception_fp_denorm_src 0
		.amdhsa_exception_fp_ieee_div_zero 0
		.amdhsa_exception_fp_ieee_overflow 0
		.amdhsa_exception_fp_ieee_underflow 0
		.amdhsa_exception_fp_ieee_inexact 0
		.amdhsa_exception_int_div_zero 0
	.end_amdhsa_kernel
	.section	.text._ZN7rocprim17ROCPRIM_400000_NS6detail17trampoline_kernelINS0_14default_configENS1_37merge_sort_block_sort_config_selectorIN3c104HalfElEEZNS1_21merge_sort_block_sortIS3_PS6_S9_N6thrust23THRUST_200600_302600_NS10device_ptrIlEESD_NSB_4lessIS6_EEEE10hipError_tT0_T1_T2_T3_mRjT4_P12ihipStream_tbNS1_7vsmem_tEEUlT_E_NS1_11comp_targetILNS1_3genE2ELNS1_11target_archE906ELNS1_3gpuE6ELNS1_3repE0EEENS1_30default_config_static_selectorELNS0_4arch9wavefront6targetE1EEEvSI_,"axG",@progbits,_ZN7rocprim17ROCPRIM_400000_NS6detail17trampoline_kernelINS0_14default_configENS1_37merge_sort_block_sort_config_selectorIN3c104HalfElEEZNS1_21merge_sort_block_sortIS3_PS6_S9_N6thrust23THRUST_200600_302600_NS10device_ptrIlEESD_NSB_4lessIS6_EEEE10hipError_tT0_T1_T2_T3_mRjT4_P12ihipStream_tbNS1_7vsmem_tEEUlT_E_NS1_11comp_targetILNS1_3genE2ELNS1_11target_archE906ELNS1_3gpuE6ELNS1_3repE0EEENS1_30default_config_static_selectorELNS0_4arch9wavefront6targetE1EEEvSI_,comdat
.Lfunc_end2121:
	.size	_ZN7rocprim17ROCPRIM_400000_NS6detail17trampoline_kernelINS0_14default_configENS1_37merge_sort_block_sort_config_selectorIN3c104HalfElEEZNS1_21merge_sort_block_sortIS3_PS6_S9_N6thrust23THRUST_200600_302600_NS10device_ptrIlEESD_NSB_4lessIS6_EEEE10hipError_tT0_T1_T2_T3_mRjT4_P12ihipStream_tbNS1_7vsmem_tEEUlT_E_NS1_11comp_targetILNS1_3genE2ELNS1_11target_archE906ELNS1_3gpuE6ELNS1_3repE0EEENS1_30default_config_static_selectorELNS0_4arch9wavefront6targetE1EEEvSI_, .Lfunc_end2121-_ZN7rocprim17ROCPRIM_400000_NS6detail17trampoline_kernelINS0_14default_configENS1_37merge_sort_block_sort_config_selectorIN3c104HalfElEEZNS1_21merge_sort_block_sortIS3_PS6_S9_N6thrust23THRUST_200600_302600_NS10device_ptrIlEESD_NSB_4lessIS6_EEEE10hipError_tT0_T1_T2_T3_mRjT4_P12ihipStream_tbNS1_7vsmem_tEEUlT_E_NS1_11comp_targetILNS1_3genE2ELNS1_11target_archE906ELNS1_3gpuE6ELNS1_3repE0EEENS1_30default_config_static_selectorELNS0_4arch9wavefront6targetE1EEEvSI_
                                        ; -- End function
	.section	.AMDGPU.csdata,"",@progbits
; Kernel info:
; codeLenInByte = 0
; NumSgprs: 4
; NumVgprs: 0
; NumAgprs: 0
; TotalNumVgprs: 0
; ScratchSize: 0
; MemoryBound: 0
; FloatMode: 240
; IeeeMode: 1
; LDSByteSize: 0 bytes/workgroup (compile time only)
; SGPRBlocks: 0
; VGPRBlocks: 0
; NumSGPRsForWavesPerEU: 4
; NumVGPRsForWavesPerEU: 1
; AccumOffset: 4
; Occupancy: 8
; WaveLimiterHint : 0
; COMPUTE_PGM_RSRC2:SCRATCH_EN: 0
; COMPUTE_PGM_RSRC2:USER_SGPR: 6
; COMPUTE_PGM_RSRC2:TRAP_HANDLER: 0
; COMPUTE_PGM_RSRC2:TGID_X_EN: 1
; COMPUTE_PGM_RSRC2:TGID_Y_EN: 0
; COMPUTE_PGM_RSRC2:TGID_Z_EN: 0
; COMPUTE_PGM_RSRC2:TIDIG_COMP_CNT: 0
; COMPUTE_PGM_RSRC3_GFX90A:ACCUM_OFFSET: 0
; COMPUTE_PGM_RSRC3_GFX90A:TG_SPLIT: 0
	.section	.text._ZN7rocprim17ROCPRIM_400000_NS6detail17trampoline_kernelINS0_14default_configENS1_37merge_sort_block_sort_config_selectorIN3c104HalfElEEZNS1_21merge_sort_block_sortIS3_PS6_S9_N6thrust23THRUST_200600_302600_NS10device_ptrIlEESD_NSB_4lessIS6_EEEE10hipError_tT0_T1_T2_T3_mRjT4_P12ihipStream_tbNS1_7vsmem_tEEUlT_E_NS1_11comp_targetILNS1_3genE10ELNS1_11target_archE1201ELNS1_3gpuE5ELNS1_3repE0EEENS1_30default_config_static_selectorELNS0_4arch9wavefront6targetE1EEEvSI_,"axG",@progbits,_ZN7rocprim17ROCPRIM_400000_NS6detail17trampoline_kernelINS0_14default_configENS1_37merge_sort_block_sort_config_selectorIN3c104HalfElEEZNS1_21merge_sort_block_sortIS3_PS6_S9_N6thrust23THRUST_200600_302600_NS10device_ptrIlEESD_NSB_4lessIS6_EEEE10hipError_tT0_T1_T2_T3_mRjT4_P12ihipStream_tbNS1_7vsmem_tEEUlT_E_NS1_11comp_targetILNS1_3genE10ELNS1_11target_archE1201ELNS1_3gpuE5ELNS1_3repE0EEENS1_30default_config_static_selectorELNS0_4arch9wavefront6targetE1EEEvSI_,comdat
	.protected	_ZN7rocprim17ROCPRIM_400000_NS6detail17trampoline_kernelINS0_14default_configENS1_37merge_sort_block_sort_config_selectorIN3c104HalfElEEZNS1_21merge_sort_block_sortIS3_PS6_S9_N6thrust23THRUST_200600_302600_NS10device_ptrIlEESD_NSB_4lessIS6_EEEE10hipError_tT0_T1_T2_T3_mRjT4_P12ihipStream_tbNS1_7vsmem_tEEUlT_E_NS1_11comp_targetILNS1_3genE10ELNS1_11target_archE1201ELNS1_3gpuE5ELNS1_3repE0EEENS1_30default_config_static_selectorELNS0_4arch9wavefront6targetE1EEEvSI_ ; -- Begin function _ZN7rocprim17ROCPRIM_400000_NS6detail17trampoline_kernelINS0_14default_configENS1_37merge_sort_block_sort_config_selectorIN3c104HalfElEEZNS1_21merge_sort_block_sortIS3_PS6_S9_N6thrust23THRUST_200600_302600_NS10device_ptrIlEESD_NSB_4lessIS6_EEEE10hipError_tT0_T1_T2_T3_mRjT4_P12ihipStream_tbNS1_7vsmem_tEEUlT_E_NS1_11comp_targetILNS1_3genE10ELNS1_11target_archE1201ELNS1_3gpuE5ELNS1_3repE0EEENS1_30default_config_static_selectorELNS0_4arch9wavefront6targetE1EEEvSI_
	.globl	_ZN7rocprim17ROCPRIM_400000_NS6detail17trampoline_kernelINS0_14default_configENS1_37merge_sort_block_sort_config_selectorIN3c104HalfElEEZNS1_21merge_sort_block_sortIS3_PS6_S9_N6thrust23THRUST_200600_302600_NS10device_ptrIlEESD_NSB_4lessIS6_EEEE10hipError_tT0_T1_T2_T3_mRjT4_P12ihipStream_tbNS1_7vsmem_tEEUlT_E_NS1_11comp_targetILNS1_3genE10ELNS1_11target_archE1201ELNS1_3gpuE5ELNS1_3repE0EEENS1_30default_config_static_selectorELNS0_4arch9wavefront6targetE1EEEvSI_
	.p2align	8
	.type	_ZN7rocprim17ROCPRIM_400000_NS6detail17trampoline_kernelINS0_14default_configENS1_37merge_sort_block_sort_config_selectorIN3c104HalfElEEZNS1_21merge_sort_block_sortIS3_PS6_S9_N6thrust23THRUST_200600_302600_NS10device_ptrIlEESD_NSB_4lessIS6_EEEE10hipError_tT0_T1_T2_T3_mRjT4_P12ihipStream_tbNS1_7vsmem_tEEUlT_E_NS1_11comp_targetILNS1_3genE10ELNS1_11target_archE1201ELNS1_3gpuE5ELNS1_3repE0EEENS1_30default_config_static_selectorELNS0_4arch9wavefront6targetE1EEEvSI_,@function
_ZN7rocprim17ROCPRIM_400000_NS6detail17trampoline_kernelINS0_14default_configENS1_37merge_sort_block_sort_config_selectorIN3c104HalfElEEZNS1_21merge_sort_block_sortIS3_PS6_S9_N6thrust23THRUST_200600_302600_NS10device_ptrIlEESD_NSB_4lessIS6_EEEE10hipError_tT0_T1_T2_T3_mRjT4_P12ihipStream_tbNS1_7vsmem_tEEUlT_E_NS1_11comp_targetILNS1_3genE10ELNS1_11target_archE1201ELNS1_3gpuE5ELNS1_3repE0EEENS1_30default_config_static_selectorELNS0_4arch9wavefront6targetE1EEEvSI_: ; @_ZN7rocprim17ROCPRIM_400000_NS6detail17trampoline_kernelINS0_14default_configENS1_37merge_sort_block_sort_config_selectorIN3c104HalfElEEZNS1_21merge_sort_block_sortIS3_PS6_S9_N6thrust23THRUST_200600_302600_NS10device_ptrIlEESD_NSB_4lessIS6_EEEE10hipError_tT0_T1_T2_T3_mRjT4_P12ihipStream_tbNS1_7vsmem_tEEUlT_E_NS1_11comp_targetILNS1_3genE10ELNS1_11target_archE1201ELNS1_3gpuE5ELNS1_3repE0EEENS1_30default_config_static_selectorELNS0_4arch9wavefront6targetE1EEEvSI_
; %bb.0:
	.section	.rodata,"a",@progbits
	.p2align	6, 0x0
	.amdhsa_kernel _ZN7rocprim17ROCPRIM_400000_NS6detail17trampoline_kernelINS0_14default_configENS1_37merge_sort_block_sort_config_selectorIN3c104HalfElEEZNS1_21merge_sort_block_sortIS3_PS6_S9_N6thrust23THRUST_200600_302600_NS10device_ptrIlEESD_NSB_4lessIS6_EEEE10hipError_tT0_T1_T2_T3_mRjT4_P12ihipStream_tbNS1_7vsmem_tEEUlT_E_NS1_11comp_targetILNS1_3genE10ELNS1_11target_archE1201ELNS1_3gpuE5ELNS1_3repE0EEENS1_30default_config_static_selectorELNS0_4arch9wavefront6targetE1EEEvSI_
		.amdhsa_group_segment_fixed_size 0
		.amdhsa_private_segment_fixed_size 0
		.amdhsa_kernarg_size 64
		.amdhsa_user_sgpr_count 6
		.amdhsa_user_sgpr_private_segment_buffer 1
		.amdhsa_user_sgpr_dispatch_ptr 0
		.amdhsa_user_sgpr_queue_ptr 0
		.amdhsa_user_sgpr_kernarg_segment_ptr 1
		.amdhsa_user_sgpr_dispatch_id 0
		.amdhsa_user_sgpr_flat_scratch_init 0
		.amdhsa_user_sgpr_kernarg_preload_length 0
		.amdhsa_user_sgpr_kernarg_preload_offset 0
		.amdhsa_user_sgpr_private_segment_size 0
		.amdhsa_uses_dynamic_stack 0
		.amdhsa_system_sgpr_private_segment_wavefront_offset 0
		.amdhsa_system_sgpr_workgroup_id_x 1
		.amdhsa_system_sgpr_workgroup_id_y 0
		.amdhsa_system_sgpr_workgroup_id_z 0
		.amdhsa_system_sgpr_workgroup_info 0
		.amdhsa_system_vgpr_workitem_id 0
		.amdhsa_next_free_vgpr 1
		.amdhsa_next_free_sgpr 0
		.amdhsa_accum_offset 4
		.amdhsa_reserve_vcc 0
		.amdhsa_reserve_flat_scratch 0
		.amdhsa_float_round_mode_32 0
		.amdhsa_float_round_mode_16_64 0
		.amdhsa_float_denorm_mode_32 3
		.amdhsa_float_denorm_mode_16_64 3
		.amdhsa_dx10_clamp 1
		.amdhsa_ieee_mode 1
		.amdhsa_fp16_overflow 0
		.amdhsa_tg_split 0
		.amdhsa_exception_fp_ieee_invalid_op 0
		.amdhsa_exception_fp_denorm_src 0
		.amdhsa_exception_fp_ieee_div_zero 0
		.amdhsa_exception_fp_ieee_overflow 0
		.amdhsa_exception_fp_ieee_underflow 0
		.amdhsa_exception_fp_ieee_inexact 0
		.amdhsa_exception_int_div_zero 0
	.end_amdhsa_kernel
	.section	.text._ZN7rocprim17ROCPRIM_400000_NS6detail17trampoline_kernelINS0_14default_configENS1_37merge_sort_block_sort_config_selectorIN3c104HalfElEEZNS1_21merge_sort_block_sortIS3_PS6_S9_N6thrust23THRUST_200600_302600_NS10device_ptrIlEESD_NSB_4lessIS6_EEEE10hipError_tT0_T1_T2_T3_mRjT4_P12ihipStream_tbNS1_7vsmem_tEEUlT_E_NS1_11comp_targetILNS1_3genE10ELNS1_11target_archE1201ELNS1_3gpuE5ELNS1_3repE0EEENS1_30default_config_static_selectorELNS0_4arch9wavefront6targetE1EEEvSI_,"axG",@progbits,_ZN7rocprim17ROCPRIM_400000_NS6detail17trampoline_kernelINS0_14default_configENS1_37merge_sort_block_sort_config_selectorIN3c104HalfElEEZNS1_21merge_sort_block_sortIS3_PS6_S9_N6thrust23THRUST_200600_302600_NS10device_ptrIlEESD_NSB_4lessIS6_EEEE10hipError_tT0_T1_T2_T3_mRjT4_P12ihipStream_tbNS1_7vsmem_tEEUlT_E_NS1_11comp_targetILNS1_3genE10ELNS1_11target_archE1201ELNS1_3gpuE5ELNS1_3repE0EEENS1_30default_config_static_selectorELNS0_4arch9wavefront6targetE1EEEvSI_,comdat
.Lfunc_end2122:
	.size	_ZN7rocprim17ROCPRIM_400000_NS6detail17trampoline_kernelINS0_14default_configENS1_37merge_sort_block_sort_config_selectorIN3c104HalfElEEZNS1_21merge_sort_block_sortIS3_PS6_S9_N6thrust23THRUST_200600_302600_NS10device_ptrIlEESD_NSB_4lessIS6_EEEE10hipError_tT0_T1_T2_T3_mRjT4_P12ihipStream_tbNS1_7vsmem_tEEUlT_E_NS1_11comp_targetILNS1_3genE10ELNS1_11target_archE1201ELNS1_3gpuE5ELNS1_3repE0EEENS1_30default_config_static_selectorELNS0_4arch9wavefront6targetE1EEEvSI_, .Lfunc_end2122-_ZN7rocprim17ROCPRIM_400000_NS6detail17trampoline_kernelINS0_14default_configENS1_37merge_sort_block_sort_config_selectorIN3c104HalfElEEZNS1_21merge_sort_block_sortIS3_PS6_S9_N6thrust23THRUST_200600_302600_NS10device_ptrIlEESD_NSB_4lessIS6_EEEE10hipError_tT0_T1_T2_T3_mRjT4_P12ihipStream_tbNS1_7vsmem_tEEUlT_E_NS1_11comp_targetILNS1_3genE10ELNS1_11target_archE1201ELNS1_3gpuE5ELNS1_3repE0EEENS1_30default_config_static_selectorELNS0_4arch9wavefront6targetE1EEEvSI_
                                        ; -- End function
	.section	.AMDGPU.csdata,"",@progbits
; Kernel info:
; codeLenInByte = 0
; NumSgprs: 4
; NumVgprs: 0
; NumAgprs: 0
; TotalNumVgprs: 0
; ScratchSize: 0
; MemoryBound: 0
; FloatMode: 240
; IeeeMode: 1
; LDSByteSize: 0 bytes/workgroup (compile time only)
; SGPRBlocks: 0
; VGPRBlocks: 0
; NumSGPRsForWavesPerEU: 4
; NumVGPRsForWavesPerEU: 1
; AccumOffset: 4
; Occupancy: 8
; WaveLimiterHint : 0
; COMPUTE_PGM_RSRC2:SCRATCH_EN: 0
; COMPUTE_PGM_RSRC2:USER_SGPR: 6
; COMPUTE_PGM_RSRC2:TRAP_HANDLER: 0
; COMPUTE_PGM_RSRC2:TGID_X_EN: 1
; COMPUTE_PGM_RSRC2:TGID_Y_EN: 0
; COMPUTE_PGM_RSRC2:TGID_Z_EN: 0
; COMPUTE_PGM_RSRC2:TIDIG_COMP_CNT: 0
; COMPUTE_PGM_RSRC3_GFX90A:ACCUM_OFFSET: 0
; COMPUTE_PGM_RSRC3_GFX90A:TG_SPLIT: 0
	.section	.text._ZN7rocprim17ROCPRIM_400000_NS6detail17trampoline_kernelINS0_14default_configENS1_37merge_sort_block_sort_config_selectorIN3c104HalfElEEZNS1_21merge_sort_block_sortIS3_PS6_S9_N6thrust23THRUST_200600_302600_NS10device_ptrIlEESD_NSB_4lessIS6_EEEE10hipError_tT0_T1_T2_T3_mRjT4_P12ihipStream_tbNS1_7vsmem_tEEUlT_E_NS1_11comp_targetILNS1_3genE10ELNS1_11target_archE1200ELNS1_3gpuE4ELNS1_3repE0EEENS1_30default_config_static_selectorELNS0_4arch9wavefront6targetE1EEEvSI_,"axG",@progbits,_ZN7rocprim17ROCPRIM_400000_NS6detail17trampoline_kernelINS0_14default_configENS1_37merge_sort_block_sort_config_selectorIN3c104HalfElEEZNS1_21merge_sort_block_sortIS3_PS6_S9_N6thrust23THRUST_200600_302600_NS10device_ptrIlEESD_NSB_4lessIS6_EEEE10hipError_tT0_T1_T2_T3_mRjT4_P12ihipStream_tbNS1_7vsmem_tEEUlT_E_NS1_11comp_targetILNS1_3genE10ELNS1_11target_archE1200ELNS1_3gpuE4ELNS1_3repE0EEENS1_30default_config_static_selectorELNS0_4arch9wavefront6targetE1EEEvSI_,comdat
	.protected	_ZN7rocprim17ROCPRIM_400000_NS6detail17trampoline_kernelINS0_14default_configENS1_37merge_sort_block_sort_config_selectorIN3c104HalfElEEZNS1_21merge_sort_block_sortIS3_PS6_S9_N6thrust23THRUST_200600_302600_NS10device_ptrIlEESD_NSB_4lessIS6_EEEE10hipError_tT0_T1_T2_T3_mRjT4_P12ihipStream_tbNS1_7vsmem_tEEUlT_E_NS1_11comp_targetILNS1_3genE10ELNS1_11target_archE1200ELNS1_3gpuE4ELNS1_3repE0EEENS1_30default_config_static_selectorELNS0_4arch9wavefront6targetE1EEEvSI_ ; -- Begin function _ZN7rocprim17ROCPRIM_400000_NS6detail17trampoline_kernelINS0_14default_configENS1_37merge_sort_block_sort_config_selectorIN3c104HalfElEEZNS1_21merge_sort_block_sortIS3_PS6_S9_N6thrust23THRUST_200600_302600_NS10device_ptrIlEESD_NSB_4lessIS6_EEEE10hipError_tT0_T1_T2_T3_mRjT4_P12ihipStream_tbNS1_7vsmem_tEEUlT_E_NS1_11comp_targetILNS1_3genE10ELNS1_11target_archE1200ELNS1_3gpuE4ELNS1_3repE0EEENS1_30default_config_static_selectorELNS0_4arch9wavefront6targetE1EEEvSI_
	.globl	_ZN7rocprim17ROCPRIM_400000_NS6detail17trampoline_kernelINS0_14default_configENS1_37merge_sort_block_sort_config_selectorIN3c104HalfElEEZNS1_21merge_sort_block_sortIS3_PS6_S9_N6thrust23THRUST_200600_302600_NS10device_ptrIlEESD_NSB_4lessIS6_EEEE10hipError_tT0_T1_T2_T3_mRjT4_P12ihipStream_tbNS1_7vsmem_tEEUlT_E_NS1_11comp_targetILNS1_3genE10ELNS1_11target_archE1200ELNS1_3gpuE4ELNS1_3repE0EEENS1_30default_config_static_selectorELNS0_4arch9wavefront6targetE1EEEvSI_
	.p2align	8
	.type	_ZN7rocprim17ROCPRIM_400000_NS6detail17trampoline_kernelINS0_14default_configENS1_37merge_sort_block_sort_config_selectorIN3c104HalfElEEZNS1_21merge_sort_block_sortIS3_PS6_S9_N6thrust23THRUST_200600_302600_NS10device_ptrIlEESD_NSB_4lessIS6_EEEE10hipError_tT0_T1_T2_T3_mRjT4_P12ihipStream_tbNS1_7vsmem_tEEUlT_E_NS1_11comp_targetILNS1_3genE10ELNS1_11target_archE1200ELNS1_3gpuE4ELNS1_3repE0EEENS1_30default_config_static_selectorELNS0_4arch9wavefront6targetE1EEEvSI_,@function
_ZN7rocprim17ROCPRIM_400000_NS6detail17trampoline_kernelINS0_14default_configENS1_37merge_sort_block_sort_config_selectorIN3c104HalfElEEZNS1_21merge_sort_block_sortIS3_PS6_S9_N6thrust23THRUST_200600_302600_NS10device_ptrIlEESD_NSB_4lessIS6_EEEE10hipError_tT0_T1_T2_T3_mRjT4_P12ihipStream_tbNS1_7vsmem_tEEUlT_E_NS1_11comp_targetILNS1_3genE10ELNS1_11target_archE1200ELNS1_3gpuE4ELNS1_3repE0EEENS1_30default_config_static_selectorELNS0_4arch9wavefront6targetE1EEEvSI_: ; @_ZN7rocprim17ROCPRIM_400000_NS6detail17trampoline_kernelINS0_14default_configENS1_37merge_sort_block_sort_config_selectorIN3c104HalfElEEZNS1_21merge_sort_block_sortIS3_PS6_S9_N6thrust23THRUST_200600_302600_NS10device_ptrIlEESD_NSB_4lessIS6_EEEE10hipError_tT0_T1_T2_T3_mRjT4_P12ihipStream_tbNS1_7vsmem_tEEUlT_E_NS1_11comp_targetILNS1_3genE10ELNS1_11target_archE1200ELNS1_3gpuE4ELNS1_3repE0EEENS1_30default_config_static_selectorELNS0_4arch9wavefront6targetE1EEEvSI_
; %bb.0:
	.section	.rodata,"a",@progbits
	.p2align	6, 0x0
	.amdhsa_kernel _ZN7rocprim17ROCPRIM_400000_NS6detail17trampoline_kernelINS0_14default_configENS1_37merge_sort_block_sort_config_selectorIN3c104HalfElEEZNS1_21merge_sort_block_sortIS3_PS6_S9_N6thrust23THRUST_200600_302600_NS10device_ptrIlEESD_NSB_4lessIS6_EEEE10hipError_tT0_T1_T2_T3_mRjT4_P12ihipStream_tbNS1_7vsmem_tEEUlT_E_NS1_11comp_targetILNS1_3genE10ELNS1_11target_archE1200ELNS1_3gpuE4ELNS1_3repE0EEENS1_30default_config_static_selectorELNS0_4arch9wavefront6targetE1EEEvSI_
		.amdhsa_group_segment_fixed_size 0
		.amdhsa_private_segment_fixed_size 0
		.amdhsa_kernarg_size 64
		.amdhsa_user_sgpr_count 6
		.amdhsa_user_sgpr_private_segment_buffer 1
		.amdhsa_user_sgpr_dispatch_ptr 0
		.amdhsa_user_sgpr_queue_ptr 0
		.amdhsa_user_sgpr_kernarg_segment_ptr 1
		.amdhsa_user_sgpr_dispatch_id 0
		.amdhsa_user_sgpr_flat_scratch_init 0
		.amdhsa_user_sgpr_kernarg_preload_length 0
		.amdhsa_user_sgpr_kernarg_preload_offset 0
		.amdhsa_user_sgpr_private_segment_size 0
		.amdhsa_uses_dynamic_stack 0
		.amdhsa_system_sgpr_private_segment_wavefront_offset 0
		.amdhsa_system_sgpr_workgroup_id_x 1
		.amdhsa_system_sgpr_workgroup_id_y 0
		.amdhsa_system_sgpr_workgroup_id_z 0
		.amdhsa_system_sgpr_workgroup_info 0
		.amdhsa_system_vgpr_workitem_id 0
		.amdhsa_next_free_vgpr 1
		.amdhsa_next_free_sgpr 0
		.amdhsa_accum_offset 4
		.amdhsa_reserve_vcc 0
		.amdhsa_reserve_flat_scratch 0
		.amdhsa_float_round_mode_32 0
		.amdhsa_float_round_mode_16_64 0
		.amdhsa_float_denorm_mode_32 3
		.amdhsa_float_denorm_mode_16_64 3
		.amdhsa_dx10_clamp 1
		.amdhsa_ieee_mode 1
		.amdhsa_fp16_overflow 0
		.amdhsa_tg_split 0
		.amdhsa_exception_fp_ieee_invalid_op 0
		.amdhsa_exception_fp_denorm_src 0
		.amdhsa_exception_fp_ieee_div_zero 0
		.amdhsa_exception_fp_ieee_overflow 0
		.amdhsa_exception_fp_ieee_underflow 0
		.amdhsa_exception_fp_ieee_inexact 0
		.amdhsa_exception_int_div_zero 0
	.end_amdhsa_kernel
	.section	.text._ZN7rocprim17ROCPRIM_400000_NS6detail17trampoline_kernelINS0_14default_configENS1_37merge_sort_block_sort_config_selectorIN3c104HalfElEEZNS1_21merge_sort_block_sortIS3_PS6_S9_N6thrust23THRUST_200600_302600_NS10device_ptrIlEESD_NSB_4lessIS6_EEEE10hipError_tT0_T1_T2_T3_mRjT4_P12ihipStream_tbNS1_7vsmem_tEEUlT_E_NS1_11comp_targetILNS1_3genE10ELNS1_11target_archE1200ELNS1_3gpuE4ELNS1_3repE0EEENS1_30default_config_static_selectorELNS0_4arch9wavefront6targetE1EEEvSI_,"axG",@progbits,_ZN7rocprim17ROCPRIM_400000_NS6detail17trampoline_kernelINS0_14default_configENS1_37merge_sort_block_sort_config_selectorIN3c104HalfElEEZNS1_21merge_sort_block_sortIS3_PS6_S9_N6thrust23THRUST_200600_302600_NS10device_ptrIlEESD_NSB_4lessIS6_EEEE10hipError_tT0_T1_T2_T3_mRjT4_P12ihipStream_tbNS1_7vsmem_tEEUlT_E_NS1_11comp_targetILNS1_3genE10ELNS1_11target_archE1200ELNS1_3gpuE4ELNS1_3repE0EEENS1_30default_config_static_selectorELNS0_4arch9wavefront6targetE1EEEvSI_,comdat
.Lfunc_end2123:
	.size	_ZN7rocprim17ROCPRIM_400000_NS6detail17trampoline_kernelINS0_14default_configENS1_37merge_sort_block_sort_config_selectorIN3c104HalfElEEZNS1_21merge_sort_block_sortIS3_PS6_S9_N6thrust23THRUST_200600_302600_NS10device_ptrIlEESD_NSB_4lessIS6_EEEE10hipError_tT0_T1_T2_T3_mRjT4_P12ihipStream_tbNS1_7vsmem_tEEUlT_E_NS1_11comp_targetILNS1_3genE10ELNS1_11target_archE1200ELNS1_3gpuE4ELNS1_3repE0EEENS1_30default_config_static_selectorELNS0_4arch9wavefront6targetE1EEEvSI_, .Lfunc_end2123-_ZN7rocprim17ROCPRIM_400000_NS6detail17trampoline_kernelINS0_14default_configENS1_37merge_sort_block_sort_config_selectorIN3c104HalfElEEZNS1_21merge_sort_block_sortIS3_PS6_S9_N6thrust23THRUST_200600_302600_NS10device_ptrIlEESD_NSB_4lessIS6_EEEE10hipError_tT0_T1_T2_T3_mRjT4_P12ihipStream_tbNS1_7vsmem_tEEUlT_E_NS1_11comp_targetILNS1_3genE10ELNS1_11target_archE1200ELNS1_3gpuE4ELNS1_3repE0EEENS1_30default_config_static_selectorELNS0_4arch9wavefront6targetE1EEEvSI_
                                        ; -- End function
	.section	.AMDGPU.csdata,"",@progbits
; Kernel info:
; codeLenInByte = 0
; NumSgprs: 4
; NumVgprs: 0
; NumAgprs: 0
; TotalNumVgprs: 0
; ScratchSize: 0
; MemoryBound: 0
; FloatMode: 240
; IeeeMode: 1
; LDSByteSize: 0 bytes/workgroup (compile time only)
; SGPRBlocks: 0
; VGPRBlocks: 0
; NumSGPRsForWavesPerEU: 4
; NumVGPRsForWavesPerEU: 1
; AccumOffset: 4
; Occupancy: 8
; WaveLimiterHint : 0
; COMPUTE_PGM_RSRC2:SCRATCH_EN: 0
; COMPUTE_PGM_RSRC2:USER_SGPR: 6
; COMPUTE_PGM_RSRC2:TRAP_HANDLER: 0
; COMPUTE_PGM_RSRC2:TGID_X_EN: 1
; COMPUTE_PGM_RSRC2:TGID_Y_EN: 0
; COMPUTE_PGM_RSRC2:TGID_Z_EN: 0
; COMPUTE_PGM_RSRC2:TIDIG_COMP_CNT: 0
; COMPUTE_PGM_RSRC3_GFX90A:ACCUM_OFFSET: 0
; COMPUTE_PGM_RSRC3_GFX90A:TG_SPLIT: 0
	.section	.text._ZN7rocprim17ROCPRIM_400000_NS6detail17trampoline_kernelINS0_14default_configENS1_37merge_sort_block_sort_config_selectorIN3c104HalfElEEZNS1_21merge_sort_block_sortIS3_PS6_S9_N6thrust23THRUST_200600_302600_NS10device_ptrIlEESD_NSB_4lessIS6_EEEE10hipError_tT0_T1_T2_T3_mRjT4_P12ihipStream_tbNS1_7vsmem_tEEUlT_E_NS1_11comp_targetILNS1_3genE9ELNS1_11target_archE1100ELNS1_3gpuE3ELNS1_3repE0EEENS1_30default_config_static_selectorELNS0_4arch9wavefront6targetE1EEEvSI_,"axG",@progbits,_ZN7rocprim17ROCPRIM_400000_NS6detail17trampoline_kernelINS0_14default_configENS1_37merge_sort_block_sort_config_selectorIN3c104HalfElEEZNS1_21merge_sort_block_sortIS3_PS6_S9_N6thrust23THRUST_200600_302600_NS10device_ptrIlEESD_NSB_4lessIS6_EEEE10hipError_tT0_T1_T2_T3_mRjT4_P12ihipStream_tbNS1_7vsmem_tEEUlT_E_NS1_11comp_targetILNS1_3genE9ELNS1_11target_archE1100ELNS1_3gpuE3ELNS1_3repE0EEENS1_30default_config_static_selectorELNS0_4arch9wavefront6targetE1EEEvSI_,comdat
	.protected	_ZN7rocprim17ROCPRIM_400000_NS6detail17trampoline_kernelINS0_14default_configENS1_37merge_sort_block_sort_config_selectorIN3c104HalfElEEZNS1_21merge_sort_block_sortIS3_PS6_S9_N6thrust23THRUST_200600_302600_NS10device_ptrIlEESD_NSB_4lessIS6_EEEE10hipError_tT0_T1_T2_T3_mRjT4_P12ihipStream_tbNS1_7vsmem_tEEUlT_E_NS1_11comp_targetILNS1_3genE9ELNS1_11target_archE1100ELNS1_3gpuE3ELNS1_3repE0EEENS1_30default_config_static_selectorELNS0_4arch9wavefront6targetE1EEEvSI_ ; -- Begin function _ZN7rocprim17ROCPRIM_400000_NS6detail17trampoline_kernelINS0_14default_configENS1_37merge_sort_block_sort_config_selectorIN3c104HalfElEEZNS1_21merge_sort_block_sortIS3_PS6_S9_N6thrust23THRUST_200600_302600_NS10device_ptrIlEESD_NSB_4lessIS6_EEEE10hipError_tT0_T1_T2_T3_mRjT4_P12ihipStream_tbNS1_7vsmem_tEEUlT_E_NS1_11comp_targetILNS1_3genE9ELNS1_11target_archE1100ELNS1_3gpuE3ELNS1_3repE0EEENS1_30default_config_static_selectorELNS0_4arch9wavefront6targetE1EEEvSI_
	.globl	_ZN7rocprim17ROCPRIM_400000_NS6detail17trampoline_kernelINS0_14default_configENS1_37merge_sort_block_sort_config_selectorIN3c104HalfElEEZNS1_21merge_sort_block_sortIS3_PS6_S9_N6thrust23THRUST_200600_302600_NS10device_ptrIlEESD_NSB_4lessIS6_EEEE10hipError_tT0_T1_T2_T3_mRjT4_P12ihipStream_tbNS1_7vsmem_tEEUlT_E_NS1_11comp_targetILNS1_3genE9ELNS1_11target_archE1100ELNS1_3gpuE3ELNS1_3repE0EEENS1_30default_config_static_selectorELNS0_4arch9wavefront6targetE1EEEvSI_
	.p2align	8
	.type	_ZN7rocprim17ROCPRIM_400000_NS6detail17trampoline_kernelINS0_14default_configENS1_37merge_sort_block_sort_config_selectorIN3c104HalfElEEZNS1_21merge_sort_block_sortIS3_PS6_S9_N6thrust23THRUST_200600_302600_NS10device_ptrIlEESD_NSB_4lessIS6_EEEE10hipError_tT0_T1_T2_T3_mRjT4_P12ihipStream_tbNS1_7vsmem_tEEUlT_E_NS1_11comp_targetILNS1_3genE9ELNS1_11target_archE1100ELNS1_3gpuE3ELNS1_3repE0EEENS1_30default_config_static_selectorELNS0_4arch9wavefront6targetE1EEEvSI_,@function
_ZN7rocprim17ROCPRIM_400000_NS6detail17trampoline_kernelINS0_14default_configENS1_37merge_sort_block_sort_config_selectorIN3c104HalfElEEZNS1_21merge_sort_block_sortIS3_PS6_S9_N6thrust23THRUST_200600_302600_NS10device_ptrIlEESD_NSB_4lessIS6_EEEE10hipError_tT0_T1_T2_T3_mRjT4_P12ihipStream_tbNS1_7vsmem_tEEUlT_E_NS1_11comp_targetILNS1_3genE9ELNS1_11target_archE1100ELNS1_3gpuE3ELNS1_3repE0EEENS1_30default_config_static_selectorELNS0_4arch9wavefront6targetE1EEEvSI_: ; @_ZN7rocprim17ROCPRIM_400000_NS6detail17trampoline_kernelINS0_14default_configENS1_37merge_sort_block_sort_config_selectorIN3c104HalfElEEZNS1_21merge_sort_block_sortIS3_PS6_S9_N6thrust23THRUST_200600_302600_NS10device_ptrIlEESD_NSB_4lessIS6_EEEE10hipError_tT0_T1_T2_T3_mRjT4_P12ihipStream_tbNS1_7vsmem_tEEUlT_E_NS1_11comp_targetILNS1_3genE9ELNS1_11target_archE1100ELNS1_3gpuE3ELNS1_3repE0EEENS1_30default_config_static_selectorELNS0_4arch9wavefront6targetE1EEEvSI_
; %bb.0:
	.section	.rodata,"a",@progbits
	.p2align	6, 0x0
	.amdhsa_kernel _ZN7rocprim17ROCPRIM_400000_NS6detail17trampoline_kernelINS0_14default_configENS1_37merge_sort_block_sort_config_selectorIN3c104HalfElEEZNS1_21merge_sort_block_sortIS3_PS6_S9_N6thrust23THRUST_200600_302600_NS10device_ptrIlEESD_NSB_4lessIS6_EEEE10hipError_tT0_T1_T2_T3_mRjT4_P12ihipStream_tbNS1_7vsmem_tEEUlT_E_NS1_11comp_targetILNS1_3genE9ELNS1_11target_archE1100ELNS1_3gpuE3ELNS1_3repE0EEENS1_30default_config_static_selectorELNS0_4arch9wavefront6targetE1EEEvSI_
		.amdhsa_group_segment_fixed_size 0
		.amdhsa_private_segment_fixed_size 0
		.amdhsa_kernarg_size 64
		.amdhsa_user_sgpr_count 6
		.amdhsa_user_sgpr_private_segment_buffer 1
		.amdhsa_user_sgpr_dispatch_ptr 0
		.amdhsa_user_sgpr_queue_ptr 0
		.amdhsa_user_sgpr_kernarg_segment_ptr 1
		.amdhsa_user_sgpr_dispatch_id 0
		.amdhsa_user_sgpr_flat_scratch_init 0
		.amdhsa_user_sgpr_kernarg_preload_length 0
		.amdhsa_user_sgpr_kernarg_preload_offset 0
		.amdhsa_user_sgpr_private_segment_size 0
		.amdhsa_uses_dynamic_stack 0
		.amdhsa_system_sgpr_private_segment_wavefront_offset 0
		.amdhsa_system_sgpr_workgroup_id_x 1
		.amdhsa_system_sgpr_workgroup_id_y 0
		.amdhsa_system_sgpr_workgroup_id_z 0
		.amdhsa_system_sgpr_workgroup_info 0
		.amdhsa_system_vgpr_workitem_id 0
		.amdhsa_next_free_vgpr 1
		.amdhsa_next_free_sgpr 0
		.amdhsa_accum_offset 4
		.amdhsa_reserve_vcc 0
		.amdhsa_reserve_flat_scratch 0
		.amdhsa_float_round_mode_32 0
		.amdhsa_float_round_mode_16_64 0
		.amdhsa_float_denorm_mode_32 3
		.amdhsa_float_denorm_mode_16_64 3
		.amdhsa_dx10_clamp 1
		.amdhsa_ieee_mode 1
		.amdhsa_fp16_overflow 0
		.amdhsa_tg_split 0
		.amdhsa_exception_fp_ieee_invalid_op 0
		.amdhsa_exception_fp_denorm_src 0
		.amdhsa_exception_fp_ieee_div_zero 0
		.amdhsa_exception_fp_ieee_overflow 0
		.amdhsa_exception_fp_ieee_underflow 0
		.amdhsa_exception_fp_ieee_inexact 0
		.amdhsa_exception_int_div_zero 0
	.end_amdhsa_kernel
	.section	.text._ZN7rocprim17ROCPRIM_400000_NS6detail17trampoline_kernelINS0_14default_configENS1_37merge_sort_block_sort_config_selectorIN3c104HalfElEEZNS1_21merge_sort_block_sortIS3_PS6_S9_N6thrust23THRUST_200600_302600_NS10device_ptrIlEESD_NSB_4lessIS6_EEEE10hipError_tT0_T1_T2_T3_mRjT4_P12ihipStream_tbNS1_7vsmem_tEEUlT_E_NS1_11comp_targetILNS1_3genE9ELNS1_11target_archE1100ELNS1_3gpuE3ELNS1_3repE0EEENS1_30default_config_static_selectorELNS0_4arch9wavefront6targetE1EEEvSI_,"axG",@progbits,_ZN7rocprim17ROCPRIM_400000_NS6detail17trampoline_kernelINS0_14default_configENS1_37merge_sort_block_sort_config_selectorIN3c104HalfElEEZNS1_21merge_sort_block_sortIS3_PS6_S9_N6thrust23THRUST_200600_302600_NS10device_ptrIlEESD_NSB_4lessIS6_EEEE10hipError_tT0_T1_T2_T3_mRjT4_P12ihipStream_tbNS1_7vsmem_tEEUlT_E_NS1_11comp_targetILNS1_3genE9ELNS1_11target_archE1100ELNS1_3gpuE3ELNS1_3repE0EEENS1_30default_config_static_selectorELNS0_4arch9wavefront6targetE1EEEvSI_,comdat
.Lfunc_end2124:
	.size	_ZN7rocprim17ROCPRIM_400000_NS6detail17trampoline_kernelINS0_14default_configENS1_37merge_sort_block_sort_config_selectorIN3c104HalfElEEZNS1_21merge_sort_block_sortIS3_PS6_S9_N6thrust23THRUST_200600_302600_NS10device_ptrIlEESD_NSB_4lessIS6_EEEE10hipError_tT0_T1_T2_T3_mRjT4_P12ihipStream_tbNS1_7vsmem_tEEUlT_E_NS1_11comp_targetILNS1_3genE9ELNS1_11target_archE1100ELNS1_3gpuE3ELNS1_3repE0EEENS1_30default_config_static_selectorELNS0_4arch9wavefront6targetE1EEEvSI_, .Lfunc_end2124-_ZN7rocprim17ROCPRIM_400000_NS6detail17trampoline_kernelINS0_14default_configENS1_37merge_sort_block_sort_config_selectorIN3c104HalfElEEZNS1_21merge_sort_block_sortIS3_PS6_S9_N6thrust23THRUST_200600_302600_NS10device_ptrIlEESD_NSB_4lessIS6_EEEE10hipError_tT0_T1_T2_T3_mRjT4_P12ihipStream_tbNS1_7vsmem_tEEUlT_E_NS1_11comp_targetILNS1_3genE9ELNS1_11target_archE1100ELNS1_3gpuE3ELNS1_3repE0EEENS1_30default_config_static_selectorELNS0_4arch9wavefront6targetE1EEEvSI_
                                        ; -- End function
	.section	.AMDGPU.csdata,"",@progbits
; Kernel info:
; codeLenInByte = 0
; NumSgprs: 4
; NumVgprs: 0
; NumAgprs: 0
; TotalNumVgprs: 0
; ScratchSize: 0
; MemoryBound: 0
; FloatMode: 240
; IeeeMode: 1
; LDSByteSize: 0 bytes/workgroup (compile time only)
; SGPRBlocks: 0
; VGPRBlocks: 0
; NumSGPRsForWavesPerEU: 4
; NumVGPRsForWavesPerEU: 1
; AccumOffset: 4
; Occupancy: 8
; WaveLimiterHint : 0
; COMPUTE_PGM_RSRC2:SCRATCH_EN: 0
; COMPUTE_PGM_RSRC2:USER_SGPR: 6
; COMPUTE_PGM_RSRC2:TRAP_HANDLER: 0
; COMPUTE_PGM_RSRC2:TGID_X_EN: 1
; COMPUTE_PGM_RSRC2:TGID_Y_EN: 0
; COMPUTE_PGM_RSRC2:TGID_Z_EN: 0
; COMPUTE_PGM_RSRC2:TIDIG_COMP_CNT: 0
; COMPUTE_PGM_RSRC3_GFX90A:ACCUM_OFFSET: 0
; COMPUTE_PGM_RSRC3_GFX90A:TG_SPLIT: 0
	.section	.text._ZN7rocprim17ROCPRIM_400000_NS6detail17trampoline_kernelINS0_14default_configENS1_37merge_sort_block_sort_config_selectorIN3c104HalfElEEZNS1_21merge_sort_block_sortIS3_PS6_S9_N6thrust23THRUST_200600_302600_NS10device_ptrIlEESD_NSB_4lessIS6_EEEE10hipError_tT0_T1_T2_T3_mRjT4_P12ihipStream_tbNS1_7vsmem_tEEUlT_E_NS1_11comp_targetILNS1_3genE8ELNS1_11target_archE1030ELNS1_3gpuE2ELNS1_3repE0EEENS1_30default_config_static_selectorELNS0_4arch9wavefront6targetE1EEEvSI_,"axG",@progbits,_ZN7rocprim17ROCPRIM_400000_NS6detail17trampoline_kernelINS0_14default_configENS1_37merge_sort_block_sort_config_selectorIN3c104HalfElEEZNS1_21merge_sort_block_sortIS3_PS6_S9_N6thrust23THRUST_200600_302600_NS10device_ptrIlEESD_NSB_4lessIS6_EEEE10hipError_tT0_T1_T2_T3_mRjT4_P12ihipStream_tbNS1_7vsmem_tEEUlT_E_NS1_11comp_targetILNS1_3genE8ELNS1_11target_archE1030ELNS1_3gpuE2ELNS1_3repE0EEENS1_30default_config_static_selectorELNS0_4arch9wavefront6targetE1EEEvSI_,comdat
	.protected	_ZN7rocprim17ROCPRIM_400000_NS6detail17trampoline_kernelINS0_14default_configENS1_37merge_sort_block_sort_config_selectorIN3c104HalfElEEZNS1_21merge_sort_block_sortIS3_PS6_S9_N6thrust23THRUST_200600_302600_NS10device_ptrIlEESD_NSB_4lessIS6_EEEE10hipError_tT0_T1_T2_T3_mRjT4_P12ihipStream_tbNS1_7vsmem_tEEUlT_E_NS1_11comp_targetILNS1_3genE8ELNS1_11target_archE1030ELNS1_3gpuE2ELNS1_3repE0EEENS1_30default_config_static_selectorELNS0_4arch9wavefront6targetE1EEEvSI_ ; -- Begin function _ZN7rocprim17ROCPRIM_400000_NS6detail17trampoline_kernelINS0_14default_configENS1_37merge_sort_block_sort_config_selectorIN3c104HalfElEEZNS1_21merge_sort_block_sortIS3_PS6_S9_N6thrust23THRUST_200600_302600_NS10device_ptrIlEESD_NSB_4lessIS6_EEEE10hipError_tT0_T1_T2_T3_mRjT4_P12ihipStream_tbNS1_7vsmem_tEEUlT_E_NS1_11comp_targetILNS1_3genE8ELNS1_11target_archE1030ELNS1_3gpuE2ELNS1_3repE0EEENS1_30default_config_static_selectorELNS0_4arch9wavefront6targetE1EEEvSI_
	.globl	_ZN7rocprim17ROCPRIM_400000_NS6detail17trampoline_kernelINS0_14default_configENS1_37merge_sort_block_sort_config_selectorIN3c104HalfElEEZNS1_21merge_sort_block_sortIS3_PS6_S9_N6thrust23THRUST_200600_302600_NS10device_ptrIlEESD_NSB_4lessIS6_EEEE10hipError_tT0_T1_T2_T3_mRjT4_P12ihipStream_tbNS1_7vsmem_tEEUlT_E_NS1_11comp_targetILNS1_3genE8ELNS1_11target_archE1030ELNS1_3gpuE2ELNS1_3repE0EEENS1_30default_config_static_selectorELNS0_4arch9wavefront6targetE1EEEvSI_
	.p2align	8
	.type	_ZN7rocprim17ROCPRIM_400000_NS6detail17trampoline_kernelINS0_14default_configENS1_37merge_sort_block_sort_config_selectorIN3c104HalfElEEZNS1_21merge_sort_block_sortIS3_PS6_S9_N6thrust23THRUST_200600_302600_NS10device_ptrIlEESD_NSB_4lessIS6_EEEE10hipError_tT0_T1_T2_T3_mRjT4_P12ihipStream_tbNS1_7vsmem_tEEUlT_E_NS1_11comp_targetILNS1_3genE8ELNS1_11target_archE1030ELNS1_3gpuE2ELNS1_3repE0EEENS1_30default_config_static_selectorELNS0_4arch9wavefront6targetE1EEEvSI_,@function
_ZN7rocprim17ROCPRIM_400000_NS6detail17trampoline_kernelINS0_14default_configENS1_37merge_sort_block_sort_config_selectorIN3c104HalfElEEZNS1_21merge_sort_block_sortIS3_PS6_S9_N6thrust23THRUST_200600_302600_NS10device_ptrIlEESD_NSB_4lessIS6_EEEE10hipError_tT0_T1_T2_T3_mRjT4_P12ihipStream_tbNS1_7vsmem_tEEUlT_E_NS1_11comp_targetILNS1_3genE8ELNS1_11target_archE1030ELNS1_3gpuE2ELNS1_3repE0EEENS1_30default_config_static_selectorELNS0_4arch9wavefront6targetE1EEEvSI_: ; @_ZN7rocprim17ROCPRIM_400000_NS6detail17trampoline_kernelINS0_14default_configENS1_37merge_sort_block_sort_config_selectorIN3c104HalfElEEZNS1_21merge_sort_block_sortIS3_PS6_S9_N6thrust23THRUST_200600_302600_NS10device_ptrIlEESD_NSB_4lessIS6_EEEE10hipError_tT0_T1_T2_T3_mRjT4_P12ihipStream_tbNS1_7vsmem_tEEUlT_E_NS1_11comp_targetILNS1_3genE8ELNS1_11target_archE1030ELNS1_3gpuE2ELNS1_3repE0EEENS1_30default_config_static_selectorELNS0_4arch9wavefront6targetE1EEEvSI_
; %bb.0:
	.section	.rodata,"a",@progbits
	.p2align	6, 0x0
	.amdhsa_kernel _ZN7rocprim17ROCPRIM_400000_NS6detail17trampoline_kernelINS0_14default_configENS1_37merge_sort_block_sort_config_selectorIN3c104HalfElEEZNS1_21merge_sort_block_sortIS3_PS6_S9_N6thrust23THRUST_200600_302600_NS10device_ptrIlEESD_NSB_4lessIS6_EEEE10hipError_tT0_T1_T2_T3_mRjT4_P12ihipStream_tbNS1_7vsmem_tEEUlT_E_NS1_11comp_targetILNS1_3genE8ELNS1_11target_archE1030ELNS1_3gpuE2ELNS1_3repE0EEENS1_30default_config_static_selectorELNS0_4arch9wavefront6targetE1EEEvSI_
		.amdhsa_group_segment_fixed_size 0
		.amdhsa_private_segment_fixed_size 0
		.amdhsa_kernarg_size 64
		.amdhsa_user_sgpr_count 6
		.amdhsa_user_sgpr_private_segment_buffer 1
		.amdhsa_user_sgpr_dispatch_ptr 0
		.amdhsa_user_sgpr_queue_ptr 0
		.amdhsa_user_sgpr_kernarg_segment_ptr 1
		.amdhsa_user_sgpr_dispatch_id 0
		.amdhsa_user_sgpr_flat_scratch_init 0
		.amdhsa_user_sgpr_kernarg_preload_length 0
		.amdhsa_user_sgpr_kernarg_preload_offset 0
		.amdhsa_user_sgpr_private_segment_size 0
		.amdhsa_uses_dynamic_stack 0
		.amdhsa_system_sgpr_private_segment_wavefront_offset 0
		.amdhsa_system_sgpr_workgroup_id_x 1
		.amdhsa_system_sgpr_workgroup_id_y 0
		.amdhsa_system_sgpr_workgroup_id_z 0
		.amdhsa_system_sgpr_workgroup_info 0
		.amdhsa_system_vgpr_workitem_id 0
		.amdhsa_next_free_vgpr 1
		.amdhsa_next_free_sgpr 0
		.amdhsa_accum_offset 4
		.amdhsa_reserve_vcc 0
		.amdhsa_reserve_flat_scratch 0
		.amdhsa_float_round_mode_32 0
		.amdhsa_float_round_mode_16_64 0
		.amdhsa_float_denorm_mode_32 3
		.amdhsa_float_denorm_mode_16_64 3
		.amdhsa_dx10_clamp 1
		.amdhsa_ieee_mode 1
		.amdhsa_fp16_overflow 0
		.amdhsa_tg_split 0
		.amdhsa_exception_fp_ieee_invalid_op 0
		.amdhsa_exception_fp_denorm_src 0
		.amdhsa_exception_fp_ieee_div_zero 0
		.amdhsa_exception_fp_ieee_overflow 0
		.amdhsa_exception_fp_ieee_underflow 0
		.amdhsa_exception_fp_ieee_inexact 0
		.amdhsa_exception_int_div_zero 0
	.end_amdhsa_kernel
	.section	.text._ZN7rocprim17ROCPRIM_400000_NS6detail17trampoline_kernelINS0_14default_configENS1_37merge_sort_block_sort_config_selectorIN3c104HalfElEEZNS1_21merge_sort_block_sortIS3_PS6_S9_N6thrust23THRUST_200600_302600_NS10device_ptrIlEESD_NSB_4lessIS6_EEEE10hipError_tT0_T1_T2_T3_mRjT4_P12ihipStream_tbNS1_7vsmem_tEEUlT_E_NS1_11comp_targetILNS1_3genE8ELNS1_11target_archE1030ELNS1_3gpuE2ELNS1_3repE0EEENS1_30default_config_static_selectorELNS0_4arch9wavefront6targetE1EEEvSI_,"axG",@progbits,_ZN7rocprim17ROCPRIM_400000_NS6detail17trampoline_kernelINS0_14default_configENS1_37merge_sort_block_sort_config_selectorIN3c104HalfElEEZNS1_21merge_sort_block_sortIS3_PS6_S9_N6thrust23THRUST_200600_302600_NS10device_ptrIlEESD_NSB_4lessIS6_EEEE10hipError_tT0_T1_T2_T3_mRjT4_P12ihipStream_tbNS1_7vsmem_tEEUlT_E_NS1_11comp_targetILNS1_3genE8ELNS1_11target_archE1030ELNS1_3gpuE2ELNS1_3repE0EEENS1_30default_config_static_selectorELNS0_4arch9wavefront6targetE1EEEvSI_,comdat
.Lfunc_end2125:
	.size	_ZN7rocprim17ROCPRIM_400000_NS6detail17trampoline_kernelINS0_14default_configENS1_37merge_sort_block_sort_config_selectorIN3c104HalfElEEZNS1_21merge_sort_block_sortIS3_PS6_S9_N6thrust23THRUST_200600_302600_NS10device_ptrIlEESD_NSB_4lessIS6_EEEE10hipError_tT0_T1_T2_T3_mRjT4_P12ihipStream_tbNS1_7vsmem_tEEUlT_E_NS1_11comp_targetILNS1_3genE8ELNS1_11target_archE1030ELNS1_3gpuE2ELNS1_3repE0EEENS1_30default_config_static_selectorELNS0_4arch9wavefront6targetE1EEEvSI_, .Lfunc_end2125-_ZN7rocprim17ROCPRIM_400000_NS6detail17trampoline_kernelINS0_14default_configENS1_37merge_sort_block_sort_config_selectorIN3c104HalfElEEZNS1_21merge_sort_block_sortIS3_PS6_S9_N6thrust23THRUST_200600_302600_NS10device_ptrIlEESD_NSB_4lessIS6_EEEE10hipError_tT0_T1_T2_T3_mRjT4_P12ihipStream_tbNS1_7vsmem_tEEUlT_E_NS1_11comp_targetILNS1_3genE8ELNS1_11target_archE1030ELNS1_3gpuE2ELNS1_3repE0EEENS1_30default_config_static_selectorELNS0_4arch9wavefront6targetE1EEEvSI_
                                        ; -- End function
	.section	.AMDGPU.csdata,"",@progbits
; Kernel info:
; codeLenInByte = 0
; NumSgprs: 4
; NumVgprs: 0
; NumAgprs: 0
; TotalNumVgprs: 0
; ScratchSize: 0
; MemoryBound: 0
; FloatMode: 240
; IeeeMode: 1
; LDSByteSize: 0 bytes/workgroup (compile time only)
; SGPRBlocks: 0
; VGPRBlocks: 0
; NumSGPRsForWavesPerEU: 4
; NumVGPRsForWavesPerEU: 1
; AccumOffset: 4
; Occupancy: 8
; WaveLimiterHint : 0
; COMPUTE_PGM_RSRC2:SCRATCH_EN: 0
; COMPUTE_PGM_RSRC2:USER_SGPR: 6
; COMPUTE_PGM_RSRC2:TRAP_HANDLER: 0
; COMPUTE_PGM_RSRC2:TGID_X_EN: 1
; COMPUTE_PGM_RSRC2:TGID_Y_EN: 0
; COMPUTE_PGM_RSRC2:TGID_Z_EN: 0
; COMPUTE_PGM_RSRC2:TIDIG_COMP_CNT: 0
; COMPUTE_PGM_RSRC3_GFX90A:ACCUM_OFFSET: 0
; COMPUTE_PGM_RSRC3_GFX90A:TG_SPLIT: 0
	.section	.text._ZN7rocprim17ROCPRIM_400000_NS6detail17trampoline_kernelINS0_14default_configENS1_38merge_sort_block_merge_config_selectorIN3c104HalfElEEZZNS1_27merge_sort_block_merge_implIS3_PS6_N6thrust23THRUST_200600_302600_NS10device_ptrIlEEmNSB_4lessIS6_EEEE10hipError_tT0_T1_T2_jT3_P12ihipStream_tbPNSt15iterator_traitsISH_E10value_typeEPNSN_ISI_E10value_typeEPSJ_NS1_7vsmem_tEENKUlT_SH_SI_SJ_E_clIS9_S9_PlSD_EESG_SW_SH_SI_SJ_EUlSW_E_NS1_11comp_targetILNS1_3genE0ELNS1_11target_archE4294967295ELNS1_3gpuE0ELNS1_3repE0EEENS1_48merge_mergepath_partition_config_static_selectorELNS0_4arch9wavefront6targetE1EEEvSI_,"axG",@progbits,_ZN7rocprim17ROCPRIM_400000_NS6detail17trampoline_kernelINS0_14default_configENS1_38merge_sort_block_merge_config_selectorIN3c104HalfElEEZZNS1_27merge_sort_block_merge_implIS3_PS6_N6thrust23THRUST_200600_302600_NS10device_ptrIlEEmNSB_4lessIS6_EEEE10hipError_tT0_T1_T2_jT3_P12ihipStream_tbPNSt15iterator_traitsISH_E10value_typeEPNSN_ISI_E10value_typeEPSJ_NS1_7vsmem_tEENKUlT_SH_SI_SJ_E_clIS9_S9_PlSD_EESG_SW_SH_SI_SJ_EUlSW_E_NS1_11comp_targetILNS1_3genE0ELNS1_11target_archE4294967295ELNS1_3gpuE0ELNS1_3repE0EEENS1_48merge_mergepath_partition_config_static_selectorELNS0_4arch9wavefront6targetE1EEEvSI_,comdat
	.protected	_ZN7rocprim17ROCPRIM_400000_NS6detail17trampoline_kernelINS0_14default_configENS1_38merge_sort_block_merge_config_selectorIN3c104HalfElEEZZNS1_27merge_sort_block_merge_implIS3_PS6_N6thrust23THRUST_200600_302600_NS10device_ptrIlEEmNSB_4lessIS6_EEEE10hipError_tT0_T1_T2_jT3_P12ihipStream_tbPNSt15iterator_traitsISH_E10value_typeEPNSN_ISI_E10value_typeEPSJ_NS1_7vsmem_tEENKUlT_SH_SI_SJ_E_clIS9_S9_PlSD_EESG_SW_SH_SI_SJ_EUlSW_E_NS1_11comp_targetILNS1_3genE0ELNS1_11target_archE4294967295ELNS1_3gpuE0ELNS1_3repE0EEENS1_48merge_mergepath_partition_config_static_selectorELNS0_4arch9wavefront6targetE1EEEvSI_ ; -- Begin function _ZN7rocprim17ROCPRIM_400000_NS6detail17trampoline_kernelINS0_14default_configENS1_38merge_sort_block_merge_config_selectorIN3c104HalfElEEZZNS1_27merge_sort_block_merge_implIS3_PS6_N6thrust23THRUST_200600_302600_NS10device_ptrIlEEmNSB_4lessIS6_EEEE10hipError_tT0_T1_T2_jT3_P12ihipStream_tbPNSt15iterator_traitsISH_E10value_typeEPNSN_ISI_E10value_typeEPSJ_NS1_7vsmem_tEENKUlT_SH_SI_SJ_E_clIS9_S9_PlSD_EESG_SW_SH_SI_SJ_EUlSW_E_NS1_11comp_targetILNS1_3genE0ELNS1_11target_archE4294967295ELNS1_3gpuE0ELNS1_3repE0EEENS1_48merge_mergepath_partition_config_static_selectorELNS0_4arch9wavefront6targetE1EEEvSI_
	.globl	_ZN7rocprim17ROCPRIM_400000_NS6detail17trampoline_kernelINS0_14default_configENS1_38merge_sort_block_merge_config_selectorIN3c104HalfElEEZZNS1_27merge_sort_block_merge_implIS3_PS6_N6thrust23THRUST_200600_302600_NS10device_ptrIlEEmNSB_4lessIS6_EEEE10hipError_tT0_T1_T2_jT3_P12ihipStream_tbPNSt15iterator_traitsISH_E10value_typeEPNSN_ISI_E10value_typeEPSJ_NS1_7vsmem_tEENKUlT_SH_SI_SJ_E_clIS9_S9_PlSD_EESG_SW_SH_SI_SJ_EUlSW_E_NS1_11comp_targetILNS1_3genE0ELNS1_11target_archE4294967295ELNS1_3gpuE0ELNS1_3repE0EEENS1_48merge_mergepath_partition_config_static_selectorELNS0_4arch9wavefront6targetE1EEEvSI_
	.p2align	8
	.type	_ZN7rocprim17ROCPRIM_400000_NS6detail17trampoline_kernelINS0_14default_configENS1_38merge_sort_block_merge_config_selectorIN3c104HalfElEEZZNS1_27merge_sort_block_merge_implIS3_PS6_N6thrust23THRUST_200600_302600_NS10device_ptrIlEEmNSB_4lessIS6_EEEE10hipError_tT0_T1_T2_jT3_P12ihipStream_tbPNSt15iterator_traitsISH_E10value_typeEPNSN_ISI_E10value_typeEPSJ_NS1_7vsmem_tEENKUlT_SH_SI_SJ_E_clIS9_S9_PlSD_EESG_SW_SH_SI_SJ_EUlSW_E_NS1_11comp_targetILNS1_3genE0ELNS1_11target_archE4294967295ELNS1_3gpuE0ELNS1_3repE0EEENS1_48merge_mergepath_partition_config_static_selectorELNS0_4arch9wavefront6targetE1EEEvSI_,@function
_ZN7rocprim17ROCPRIM_400000_NS6detail17trampoline_kernelINS0_14default_configENS1_38merge_sort_block_merge_config_selectorIN3c104HalfElEEZZNS1_27merge_sort_block_merge_implIS3_PS6_N6thrust23THRUST_200600_302600_NS10device_ptrIlEEmNSB_4lessIS6_EEEE10hipError_tT0_T1_T2_jT3_P12ihipStream_tbPNSt15iterator_traitsISH_E10value_typeEPNSN_ISI_E10value_typeEPSJ_NS1_7vsmem_tEENKUlT_SH_SI_SJ_E_clIS9_S9_PlSD_EESG_SW_SH_SI_SJ_EUlSW_E_NS1_11comp_targetILNS1_3genE0ELNS1_11target_archE4294967295ELNS1_3gpuE0ELNS1_3repE0EEENS1_48merge_mergepath_partition_config_static_selectorELNS0_4arch9wavefront6targetE1EEEvSI_: ; @_ZN7rocprim17ROCPRIM_400000_NS6detail17trampoline_kernelINS0_14default_configENS1_38merge_sort_block_merge_config_selectorIN3c104HalfElEEZZNS1_27merge_sort_block_merge_implIS3_PS6_N6thrust23THRUST_200600_302600_NS10device_ptrIlEEmNSB_4lessIS6_EEEE10hipError_tT0_T1_T2_jT3_P12ihipStream_tbPNSt15iterator_traitsISH_E10value_typeEPNSN_ISI_E10value_typeEPSJ_NS1_7vsmem_tEENKUlT_SH_SI_SJ_E_clIS9_S9_PlSD_EESG_SW_SH_SI_SJ_EUlSW_E_NS1_11comp_targetILNS1_3genE0ELNS1_11target_archE4294967295ELNS1_3gpuE0ELNS1_3repE0EEENS1_48merge_mergepath_partition_config_static_selectorELNS0_4arch9wavefront6targetE1EEEvSI_
; %bb.0:
	.section	.rodata,"a",@progbits
	.p2align	6, 0x0
	.amdhsa_kernel _ZN7rocprim17ROCPRIM_400000_NS6detail17trampoline_kernelINS0_14default_configENS1_38merge_sort_block_merge_config_selectorIN3c104HalfElEEZZNS1_27merge_sort_block_merge_implIS3_PS6_N6thrust23THRUST_200600_302600_NS10device_ptrIlEEmNSB_4lessIS6_EEEE10hipError_tT0_T1_T2_jT3_P12ihipStream_tbPNSt15iterator_traitsISH_E10value_typeEPNSN_ISI_E10value_typeEPSJ_NS1_7vsmem_tEENKUlT_SH_SI_SJ_E_clIS9_S9_PlSD_EESG_SW_SH_SI_SJ_EUlSW_E_NS1_11comp_targetILNS1_3genE0ELNS1_11target_archE4294967295ELNS1_3gpuE0ELNS1_3repE0EEENS1_48merge_mergepath_partition_config_static_selectorELNS0_4arch9wavefront6targetE1EEEvSI_
		.amdhsa_group_segment_fixed_size 0
		.amdhsa_private_segment_fixed_size 0
		.amdhsa_kernarg_size 48
		.amdhsa_user_sgpr_count 6
		.amdhsa_user_sgpr_private_segment_buffer 1
		.amdhsa_user_sgpr_dispatch_ptr 0
		.amdhsa_user_sgpr_queue_ptr 0
		.amdhsa_user_sgpr_kernarg_segment_ptr 1
		.amdhsa_user_sgpr_dispatch_id 0
		.amdhsa_user_sgpr_flat_scratch_init 0
		.amdhsa_user_sgpr_kernarg_preload_length 0
		.amdhsa_user_sgpr_kernarg_preload_offset 0
		.amdhsa_user_sgpr_private_segment_size 0
		.amdhsa_uses_dynamic_stack 0
		.amdhsa_system_sgpr_private_segment_wavefront_offset 0
		.amdhsa_system_sgpr_workgroup_id_x 1
		.amdhsa_system_sgpr_workgroup_id_y 0
		.amdhsa_system_sgpr_workgroup_id_z 0
		.amdhsa_system_sgpr_workgroup_info 0
		.amdhsa_system_vgpr_workitem_id 0
		.amdhsa_next_free_vgpr 1
		.amdhsa_next_free_sgpr 0
		.amdhsa_accum_offset 4
		.amdhsa_reserve_vcc 0
		.amdhsa_reserve_flat_scratch 0
		.amdhsa_float_round_mode_32 0
		.amdhsa_float_round_mode_16_64 0
		.amdhsa_float_denorm_mode_32 3
		.amdhsa_float_denorm_mode_16_64 3
		.amdhsa_dx10_clamp 1
		.amdhsa_ieee_mode 1
		.amdhsa_fp16_overflow 0
		.amdhsa_tg_split 0
		.amdhsa_exception_fp_ieee_invalid_op 0
		.amdhsa_exception_fp_denorm_src 0
		.amdhsa_exception_fp_ieee_div_zero 0
		.amdhsa_exception_fp_ieee_overflow 0
		.amdhsa_exception_fp_ieee_underflow 0
		.amdhsa_exception_fp_ieee_inexact 0
		.amdhsa_exception_int_div_zero 0
	.end_amdhsa_kernel
	.section	.text._ZN7rocprim17ROCPRIM_400000_NS6detail17trampoline_kernelINS0_14default_configENS1_38merge_sort_block_merge_config_selectorIN3c104HalfElEEZZNS1_27merge_sort_block_merge_implIS3_PS6_N6thrust23THRUST_200600_302600_NS10device_ptrIlEEmNSB_4lessIS6_EEEE10hipError_tT0_T1_T2_jT3_P12ihipStream_tbPNSt15iterator_traitsISH_E10value_typeEPNSN_ISI_E10value_typeEPSJ_NS1_7vsmem_tEENKUlT_SH_SI_SJ_E_clIS9_S9_PlSD_EESG_SW_SH_SI_SJ_EUlSW_E_NS1_11comp_targetILNS1_3genE0ELNS1_11target_archE4294967295ELNS1_3gpuE0ELNS1_3repE0EEENS1_48merge_mergepath_partition_config_static_selectorELNS0_4arch9wavefront6targetE1EEEvSI_,"axG",@progbits,_ZN7rocprim17ROCPRIM_400000_NS6detail17trampoline_kernelINS0_14default_configENS1_38merge_sort_block_merge_config_selectorIN3c104HalfElEEZZNS1_27merge_sort_block_merge_implIS3_PS6_N6thrust23THRUST_200600_302600_NS10device_ptrIlEEmNSB_4lessIS6_EEEE10hipError_tT0_T1_T2_jT3_P12ihipStream_tbPNSt15iterator_traitsISH_E10value_typeEPNSN_ISI_E10value_typeEPSJ_NS1_7vsmem_tEENKUlT_SH_SI_SJ_E_clIS9_S9_PlSD_EESG_SW_SH_SI_SJ_EUlSW_E_NS1_11comp_targetILNS1_3genE0ELNS1_11target_archE4294967295ELNS1_3gpuE0ELNS1_3repE0EEENS1_48merge_mergepath_partition_config_static_selectorELNS0_4arch9wavefront6targetE1EEEvSI_,comdat
.Lfunc_end2126:
	.size	_ZN7rocprim17ROCPRIM_400000_NS6detail17trampoline_kernelINS0_14default_configENS1_38merge_sort_block_merge_config_selectorIN3c104HalfElEEZZNS1_27merge_sort_block_merge_implIS3_PS6_N6thrust23THRUST_200600_302600_NS10device_ptrIlEEmNSB_4lessIS6_EEEE10hipError_tT0_T1_T2_jT3_P12ihipStream_tbPNSt15iterator_traitsISH_E10value_typeEPNSN_ISI_E10value_typeEPSJ_NS1_7vsmem_tEENKUlT_SH_SI_SJ_E_clIS9_S9_PlSD_EESG_SW_SH_SI_SJ_EUlSW_E_NS1_11comp_targetILNS1_3genE0ELNS1_11target_archE4294967295ELNS1_3gpuE0ELNS1_3repE0EEENS1_48merge_mergepath_partition_config_static_selectorELNS0_4arch9wavefront6targetE1EEEvSI_, .Lfunc_end2126-_ZN7rocprim17ROCPRIM_400000_NS6detail17trampoline_kernelINS0_14default_configENS1_38merge_sort_block_merge_config_selectorIN3c104HalfElEEZZNS1_27merge_sort_block_merge_implIS3_PS6_N6thrust23THRUST_200600_302600_NS10device_ptrIlEEmNSB_4lessIS6_EEEE10hipError_tT0_T1_T2_jT3_P12ihipStream_tbPNSt15iterator_traitsISH_E10value_typeEPNSN_ISI_E10value_typeEPSJ_NS1_7vsmem_tEENKUlT_SH_SI_SJ_E_clIS9_S9_PlSD_EESG_SW_SH_SI_SJ_EUlSW_E_NS1_11comp_targetILNS1_3genE0ELNS1_11target_archE4294967295ELNS1_3gpuE0ELNS1_3repE0EEENS1_48merge_mergepath_partition_config_static_selectorELNS0_4arch9wavefront6targetE1EEEvSI_
                                        ; -- End function
	.section	.AMDGPU.csdata,"",@progbits
; Kernel info:
; codeLenInByte = 0
; NumSgprs: 4
; NumVgprs: 0
; NumAgprs: 0
; TotalNumVgprs: 0
; ScratchSize: 0
; MemoryBound: 0
; FloatMode: 240
; IeeeMode: 1
; LDSByteSize: 0 bytes/workgroup (compile time only)
; SGPRBlocks: 0
; VGPRBlocks: 0
; NumSGPRsForWavesPerEU: 4
; NumVGPRsForWavesPerEU: 1
; AccumOffset: 4
; Occupancy: 8
; WaveLimiterHint : 0
; COMPUTE_PGM_RSRC2:SCRATCH_EN: 0
; COMPUTE_PGM_RSRC2:USER_SGPR: 6
; COMPUTE_PGM_RSRC2:TRAP_HANDLER: 0
; COMPUTE_PGM_RSRC2:TGID_X_EN: 1
; COMPUTE_PGM_RSRC2:TGID_Y_EN: 0
; COMPUTE_PGM_RSRC2:TGID_Z_EN: 0
; COMPUTE_PGM_RSRC2:TIDIG_COMP_CNT: 0
; COMPUTE_PGM_RSRC3_GFX90A:ACCUM_OFFSET: 0
; COMPUTE_PGM_RSRC3_GFX90A:TG_SPLIT: 0
	.section	.text._ZN7rocprim17ROCPRIM_400000_NS6detail17trampoline_kernelINS0_14default_configENS1_38merge_sort_block_merge_config_selectorIN3c104HalfElEEZZNS1_27merge_sort_block_merge_implIS3_PS6_N6thrust23THRUST_200600_302600_NS10device_ptrIlEEmNSB_4lessIS6_EEEE10hipError_tT0_T1_T2_jT3_P12ihipStream_tbPNSt15iterator_traitsISH_E10value_typeEPNSN_ISI_E10value_typeEPSJ_NS1_7vsmem_tEENKUlT_SH_SI_SJ_E_clIS9_S9_PlSD_EESG_SW_SH_SI_SJ_EUlSW_E_NS1_11comp_targetILNS1_3genE10ELNS1_11target_archE1201ELNS1_3gpuE5ELNS1_3repE0EEENS1_48merge_mergepath_partition_config_static_selectorELNS0_4arch9wavefront6targetE1EEEvSI_,"axG",@progbits,_ZN7rocprim17ROCPRIM_400000_NS6detail17trampoline_kernelINS0_14default_configENS1_38merge_sort_block_merge_config_selectorIN3c104HalfElEEZZNS1_27merge_sort_block_merge_implIS3_PS6_N6thrust23THRUST_200600_302600_NS10device_ptrIlEEmNSB_4lessIS6_EEEE10hipError_tT0_T1_T2_jT3_P12ihipStream_tbPNSt15iterator_traitsISH_E10value_typeEPNSN_ISI_E10value_typeEPSJ_NS1_7vsmem_tEENKUlT_SH_SI_SJ_E_clIS9_S9_PlSD_EESG_SW_SH_SI_SJ_EUlSW_E_NS1_11comp_targetILNS1_3genE10ELNS1_11target_archE1201ELNS1_3gpuE5ELNS1_3repE0EEENS1_48merge_mergepath_partition_config_static_selectorELNS0_4arch9wavefront6targetE1EEEvSI_,comdat
	.protected	_ZN7rocprim17ROCPRIM_400000_NS6detail17trampoline_kernelINS0_14default_configENS1_38merge_sort_block_merge_config_selectorIN3c104HalfElEEZZNS1_27merge_sort_block_merge_implIS3_PS6_N6thrust23THRUST_200600_302600_NS10device_ptrIlEEmNSB_4lessIS6_EEEE10hipError_tT0_T1_T2_jT3_P12ihipStream_tbPNSt15iterator_traitsISH_E10value_typeEPNSN_ISI_E10value_typeEPSJ_NS1_7vsmem_tEENKUlT_SH_SI_SJ_E_clIS9_S9_PlSD_EESG_SW_SH_SI_SJ_EUlSW_E_NS1_11comp_targetILNS1_3genE10ELNS1_11target_archE1201ELNS1_3gpuE5ELNS1_3repE0EEENS1_48merge_mergepath_partition_config_static_selectorELNS0_4arch9wavefront6targetE1EEEvSI_ ; -- Begin function _ZN7rocprim17ROCPRIM_400000_NS6detail17trampoline_kernelINS0_14default_configENS1_38merge_sort_block_merge_config_selectorIN3c104HalfElEEZZNS1_27merge_sort_block_merge_implIS3_PS6_N6thrust23THRUST_200600_302600_NS10device_ptrIlEEmNSB_4lessIS6_EEEE10hipError_tT0_T1_T2_jT3_P12ihipStream_tbPNSt15iterator_traitsISH_E10value_typeEPNSN_ISI_E10value_typeEPSJ_NS1_7vsmem_tEENKUlT_SH_SI_SJ_E_clIS9_S9_PlSD_EESG_SW_SH_SI_SJ_EUlSW_E_NS1_11comp_targetILNS1_3genE10ELNS1_11target_archE1201ELNS1_3gpuE5ELNS1_3repE0EEENS1_48merge_mergepath_partition_config_static_selectorELNS0_4arch9wavefront6targetE1EEEvSI_
	.globl	_ZN7rocprim17ROCPRIM_400000_NS6detail17trampoline_kernelINS0_14default_configENS1_38merge_sort_block_merge_config_selectorIN3c104HalfElEEZZNS1_27merge_sort_block_merge_implIS3_PS6_N6thrust23THRUST_200600_302600_NS10device_ptrIlEEmNSB_4lessIS6_EEEE10hipError_tT0_T1_T2_jT3_P12ihipStream_tbPNSt15iterator_traitsISH_E10value_typeEPNSN_ISI_E10value_typeEPSJ_NS1_7vsmem_tEENKUlT_SH_SI_SJ_E_clIS9_S9_PlSD_EESG_SW_SH_SI_SJ_EUlSW_E_NS1_11comp_targetILNS1_3genE10ELNS1_11target_archE1201ELNS1_3gpuE5ELNS1_3repE0EEENS1_48merge_mergepath_partition_config_static_selectorELNS0_4arch9wavefront6targetE1EEEvSI_
	.p2align	8
	.type	_ZN7rocprim17ROCPRIM_400000_NS6detail17trampoline_kernelINS0_14default_configENS1_38merge_sort_block_merge_config_selectorIN3c104HalfElEEZZNS1_27merge_sort_block_merge_implIS3_PS6_N6thrust23THRUST_200600_302600_NS10device_ptrIlEEmNSB_4lessIS6_EEEE10hipError_tT0_T1_T2_jT3_P12ihipStream_tbPNSt15iterator_traitsISH_E10value_typeEPNSN_ISI_E10value_typeEPSJ_NS1_7vsmem_tEENKUlT_SH_SI_SJ_E_clIS9_S9_PlSD_EESG_SW_SH_SI_SJ_EUlSW_E_NS1_11comp_targetILNS1_3genE10ELNS1_11target_archE1201ELNS1_3gpuE5ELNS1_3repE0EEENS1_48merge_mergepath_partition_config_static_selectorELNS0_4arch9wavefront6targetE1EEEvSI_,@function
_ZN7rocprim17ROCPRIM_400000_NS6detail17trampoline_kernelINS0_14default_configENS1_38merge_sort_block_merge_config_selectorIN3c104HalfElEEZZNS1_27merge_sort_block_merge_implIS3_PS6_N6thrust23THRUST_200600_302600_NS10device_ptrIlEEmNSB_4lessIS6_EEEE10hipError_tT0_T1_T2_jT3_P12ihipStream_tbPNSt15iterator_traitsISH_E10value_typeEPNSN_ISI_E10value_typeEPSJ_NS1_7vsmem_tEENKUlT_SH_SI_SJ_E_clIS9_S9_PlSD_EESG_SW_SH_SI_SJ_EUlSW_E_NS1_11comp_targetILNS1_3genE10ELNS1_11target_archE1201ELNS1_3gpuE5ELNS1_3repE0EEENS1_48merge_mergepath_partition_config_static_selectorELNS0_4arch9wavefront6targetE1EEEvSI_: ; @_ZN7rocprim17ROCPRIM_400000_NS6detail17trampoline_kernelINS0_14default_configENS1_38merge_sort_block_merge_config_selectorIN3c104HalfElEEZZNS1_27merge_sort_block_merge_implIS3_PS6_N6thrust23THRUST_200600_302600_NS10device_ptrIlEEmNSB_4lessIS6_EEEE10hipError_tT0_T1_T2_jT3_P12ihipStream_tbPNSt15iterator_traitsISH_E10value_typeEPNSN_ISI_E10value_typeEPSJ_NS1_7vsmem_tEENKUlT_SH_SI_SJ_E_clIS9_S9_PlSD_EESG_SW_SH_SI_SJ_EUlSW_E_NS1_11comp_targetILNS1_3genE10ELNS1_11target_archE1201ELNS1_3gpuE5ELNS1_3repE0EEENS1_48merge_mergepath_partition_config_static_selectorELNS0_4arch9wavefront6targetE1EEEvSI_
; %bb.0:
	.section	.rodata,"a",@progbits
	.p2align	6, 0x0
	.amdhsa_kernel _ZN7rocprim17ROCPRIM_400000_NS6detail17trampoline_kernelINS0_14default_configENS1_38merge_sort_block_merge_config_selectorIN3c104HalfElEEZZNS1_27merge_sort_block_merge_implIS3_PS6_N6thrust23THRUST_200600_302600_NS10device_ptrIlEEmNSB_4lessIS6_EEEE10hipError_tT0_T1_T2_jT3_P12ihipStream_tbPNSt15iterator_traitsISH_E10value_typeEPNSN_ISI_E10value_typeEPSJ_NS1_7vsmem_tEENKUlT_SH_SI_SJ_E_clIS9_S9_PlSD_EESG_SW_SH_SI_SJ_EUlSW_E_NS1_11comp_targetILNS1_3genE10ELNS1_11target_archE1201ELNS1_3gpuE5ELNS1_3repE0EEENS1_48merge_mergepath_partition_config_static_selectorELNS0_4arch9wavefront6targetE1EEEvSI_
		.amdhsa_group_segment_fixed_size 0
		.amdhsa_private_segment_fixed_size 0
		.amdhsa_kernarg_size 48
		.amdhsa_user_sgpr_count 6
		.amdhsa_user_sgpr_private_segment_buffer 1
		.amdhsa_user_sgpr_dispatch_ptr 0
		.amdhsa_user_sgpr_queue_ptr 0
		.amdhsa_user_sgpr_kernarg_segment_ptr 1
		.amdhsa_user_sgpr_dispatch_id 0
		.amdhsa_user_sgpr_flat_scratch_init 0
		.amdhsa_user_sgpr_kernarg_preload_length 0
		.amdhsa_user_sgpr_kernarg_preload_offset 0
		.amdhsa_user_sgpr_private_segment_size 0
		.amdhsa_uses_dynamic_stack 0
		.amdhsa_system_sgpr_private_segment_wavefront_offset 0
		.amdhsa_system_sgpr_workgroup_id_x 1
		.amdhsa_system_sgpr_workgroup_id_y 0
		.amdhsa_system_sgpr_workgroup_id_z 0
		.amdhsa_system_sgpr_workgroup_info 0
		.amdhsa_system_vgpr_workitem_id 0
		.amdhsa_next_free_vgpr 1
		.amdhsa_next_free_sgpr 0
		.amdhsa_accum_offset 4
		.amdhsa_reserve_vcc 0
		.amdhsa_reserve_flat_scratch 0
		.amdhsa_float_round_mode_32 0
		.amdhsa_float_round_mode_16_64 0
		.amdhsa_float_denorm_mode_32 3
		.amdhsa_float_denorm_mode_16_64 3
		.amdhsa_dx10_clamp 1
		.amdhsa_ieee_mode 1
		.amdhsa_fp16_overflow 0
		.amdhsa_tg_split 0
		.amdhsa_exception_fp_ieee_invalid_op 0
		.amdhsa_exception_fp_denorm_src 0
		.amdhsa_exception_fp_ieee_div_zero 0
		.amdhsa_exception_fp_ieee_overflow 0
		.amdhsa_exception_fp_ieee_underflow 0
		.amdhsa_exception_fp_ieee_inexact 0
		.amdhsa_exception_int_div_zero 0
	.end_amdhsa_kernel
	.section	.text._ZN7rocprim17ROCPRIM_400000_NS6detail17trampoline_kernelINS0_14default_configENS1_38merge_sort_block_merge_config_selectorIN3c104HalfElEEZZNS1_27merge_sort_block_merge_implIS3_PS6_N6thrust23THRUST_200600_302600_NS10device_ptrIlEEmNSB_4lessIS6_EEEE10hipError_tT0_T1_T2_jT3_P12ihipStream_tbPNSt15iterator_traitsISH_E10value_typeEPNSN_ISI_E10value_typeEPSJ_NS1_7vsmem_tEENKUlT_SH_SI_SJ_E_clIS9_S9_PlSD_EESG_SW_SH_SI_SJ_EUlSW_E_NS1_11comp_targetILNS1_3genE10ELNS1_11target_archE1201ELNS1_3gpuE5ELNS1_3repE0EEENS1_48merge_mergepath_partition_config_static_selectorELNS0_4arch9wavefront6targetE1EEEvSI_,"axG",@progbits,_ZN7rocprim17ROCPRIM_400000_NS6detail17trampoline_kernelINS0_14default_configENS1_38merge_sort_block_merge_config_selectorIN3c104HalfElEEZZNS1_27merge_sort_block_merge_implIS3_PS6_N6thrust23THRUST_200600_302600_NS10device_ptrIlEEmNSB_4lessIS6_EEEE10hipError_tT0_T1_T2_jT3_P12ihipStream_tbPNSt15iterator_traitsISH_E10value_typeEPNSN_ISI_E10value_typeEPSJ_NS1_7vsmem_tEENKUlT_SH_SI_SJ_E_clIS9_S9_PlSD_EESG_SW_SH_SI_SJ_EUlSW_E_NS1_11comp_targetILNS1_3genE10ELNS1_11target_archE1201ELNS1_3gpuE5ELNS1_3repE0EEENS1_48merge_mergepath_partition_config_static_selectorELNS0_4arch9wavefront6targetE1EEEvSI_,comdat
.Lfunc_end2127:
	.size	_ZN7rocprim17ROCPRIM_400000_NS6detail17trampoline_kernelINS0_14default_configENS1_38merge_sort_block_merge_config_selectorIN3c104HalfElEEZZNS1_27merge_sort_block_merge_implIS3_PS6_N6thrust23THRUST_200600_302600_NS10device_ptrIlEEmNSB_4lessIS6_EEEE10hipError_tT0_T1_T2_jT3_P12ihipStream_tbPNSt15iterator_traitsISH_E10value_typeEPNSN_ISI_E10value_typeEPSJ_NS1_7vsmem_tEENKUlT_SH_SI_SJ_E_clIS9_S9_PlSD_EESG_SW_SH_SI_SJ_EUlSW_E_NS1_11comp_targetILNS1_3genE10ELNS1_11target_archE1201ELNS1_3gpuE5ELNS1_3repE0EEENS1_48merge_mergepath_partition_config_static_selectorELNS0_4arch9wavefront6targetE1EEEvSI_, .Lfunc_end2127-_ZN7rocprim17ROCPRIM_400000_NS6detail17trampoline_kernelINS0_14default_configENS1_38merge_sort_block_merge_config_selectorIN3c104HalfElEEZZNS1_27merge_sort_block_merge_implIS3_PS6_N6thrust23THRUST_200600_302600_NS10device_ptrIlEEmNSB_4lessIS6_EEEE10hipError_tT0_T1_T2_jT3_P12ihipStream_tbPNSt15iterator_traitsISH_E10value_typeEPNSN_ISI_E10value_typeEPSJ_NS1_7vsmem_tEENKUlT_SH_SI_SJ_E_clIS9_S9_PlSD_EESG_SW_SH_SI_SJ_EUlSW_E_NS1_11comp_targetILNS1_3genE10ELNS1_11target_archE1201ELNS1_3gpuE5ELNS1_3repE0EEENS1_48merge_mergepath_partition_config_static_selectorELNS0_4arch9wavefront6targetE1EEEvSI_
                                        ; -- End function
	.section	.AMDGPU.csdata,"",@progbits
; Kernel info:
; codeLenInByte = 0
; NumSgprs: 4
; NumVgprs: 0
; NumAgprs: 0
; TotalNumVgprs: 0
; ScratchSize: 0
; MemoryBound: 0
; FloatMode: 240
; IeeeMode: 1
; LDSByteSize: 0 bytes/workgroup (compile time only)
; SGPRBlocks: 0
; VGPRBlocks: 0
; NumSGPRsForWavesPerEU: 4
; NumVGPRsForWavesPerEU: 1
; AccumOffset: 4
; Occupancy: 8
; WaveLimiterHint : 0
; COMPUTE_PGM_RSRC2:SCRATCH_EN: 0
; COMPUTE_PGM_RSRC2:USER_SGPR: 6
; COMPUTE_PGM_RSRC2:TRAP_HANDLER: 0
; COMPUTE_PGM_RSRC2:TGID_X_EN: 1
; COMPUTE_PGM_RSRC2:TGID_Y_EN: 0
; COMPUTE_PGM_RSRC2:TGID_Z_EN: 0
; COMPUTE_PGM_RSRC2:TIDIG_COMP_CNT: 0
; COMPUTE_PGM_RSRC3_GFX90A:ACCUM_OFFSET: 0
; COMPUTE_PGM_RSRC3_GFX90A:TG_SPLIT: 0
	.section	.text._ZN7rocprim17ROCPRIM_400000_NS6detail17trampoline_kernelINS0_14default_configENS1_38merge_sort_block_merge_config_selectorIN3c104HalfElEEZZNS1_27merge_sort_block_merge_implIS3_PS6_N6thrust23THRUST_200600_302600_NS10device_ptrIlEEmNSB_4lessIS6_EEEE10hipError_tT0_T1_T2_jT3_P12ihipStream_tbPNSt15iterator_traitsISH_E10value_typeEPNSN_ISI_E10value_typeEPSJ_NS1_7vsmem_tEENKUlT_SH_SI_SJ_E_clIS9_S9_PlSD_EESG_SW_SH_SI_SJ_EUlSW_E_NS1_11comp_targetILNS1_3genE5ELNS1_11target_archE942ELNS1_3gpuE9ELNS1_3repE0EEENS1_48merge_mergepath_partition_config_static_selectorELNS0_4arch9wavefront6targetE1EEEvSI_,"axG",@progbits,_ZN7rocprim17ROCPRIM_400000_NS6detail17trampoline_kernelINS0_14default_configENS1_38merge_sort_block_merge_config_selectorIN3c104HalfElEEZZNS1_27merge_sort_block_merge_implIS3_PS6_N6thrust23THRUST_200600_302600_NS10device_ptrIlEEmNSB_4lessIS6_EEEE10hipError_tT0_T1_T2_jT3_P12ihipStream_tbPNSt15iterator_traitsISH_E10value_typeEPNSN_ISI_E10value_typeEPSJ_NS1_7vsmem_tEENKUlT_SH_SI_SJ_E_clIS9_S9_PlSD_EESG_SW_SH_SI_SJ_EUlSW_E_NS1_11comp_targetILNS1_3genE5ELNS1_11target_archE942ELNS1_3gpuE9ELNS1_3repE0EEENS1_48merge_mergepath_partition_config_static_selectorELNS0_4arch9wavefront6targetE1EEEvSI_,comdat
	.protected	_ZN7rocprim17ROCPRIM_400000_NS6detail17trampoline_kernelINS0_14default_configENS1_38merge_sort_block_merge_config_selectorIN3c104HalfElEEZZNS1_27merge_sort_block_merge_implIS3_PS6_N6thrust23THRUST_200600_302600_NS10device_ptrIlEEmNSB_4lessIS6_EEEE10hipError_tT0_T1_T2_jT3_P12ihipStream_tbPNSt15iterator_traitsISH_E10value_typeEPNSN_ISI_E10value_typeEPSJ_NS1_7vsmem_tEENKUlT_SH_SI_SJ_E_clIS9_S9_PlSD_EESG_SW_SH_SI_SJ_EUlSW_E_NS1_11comp_targetILNS1_3genE5ELNS1_11target_archE942ELNS1_3gpuE9ELNS1_3repE0EEENS1_48merge_mergepath_partition_config_static_selectorELNS0_4arch9wavefront6targetE1EEEvSI_ ; -- Begin function _ZN7rocprim17ROCPRIM_400000_NS6detail17trampoline_kernelINS0_14default_configENS1_38merge_sort_block_merge_config_selectorIN3c104HalfElEEZZNS1_27merge_sort_block_merge_implIS3_PS6_N6thrust23THRUST_200600_302600_NS10device_ptrIlEEmNSB_4lessIS6_EEEE10hipError_tT0_T1_T2_jT3_P12ihipStream_tbPNSt15iterator_traitsISH_E10value_typeEPNSN_ISI_E10value_typeEPSJ_NS1_7vsmem_tEENKUlT_SH_SI_SJ_E_clIS9_S9_PlSD_EESG_SW_SH_SI_SJ_EUlSW_E_NS1_11comp_targetILNS1_3genE5ELNS1_11target_archE942ELNS1_3gpuE9ELNS1_3repE0EEENS1_48merge_mergepath_partition_config_static_selectorELNS0_4arch9wavefront6targetE1EEEvSI_
	.globl	_ZN7rocprim17ROCPRIM_400000_NS6detail17trampoline_kernelINS0_14default_configENS1_38merge_sort_block_merge_config_selectorIN3c104HalfElEEZZNS1_27merge_sort_block_merge_implIS3_PS6_N6thrust23THRUST_200600_302600_NS10device_ptrIlEEmNSB_4lessIS6_EEEE10hipError_tT0_T1_T2_jT3_P12ihipStream_tbPNSt15iterator_traitsISH_E10value_typeEPNSN_ISI_E10value_typeEPSJ_NS1_7vsmem_tEENKUlT_SH_SI_SJ_E_clIS9_S9_PlSD_EESG_SW_SH_SI_SJ_EUlSW_E_NS1_11comp_targetILNS1_3genE5ELNS1_11target_archE942ELNS1_3gpuE9ELNS1_3repE0EEENS1_48merge_mergepath_partition_config_static_selectorELNS0_4arch9wavefront6targetE1EEEvSI_
	.p2align	8
	.type	_ZN7rocprim17ROCPRIM_400000_NS6detail17trampoline_kernelINS0_14default_configENS1_38merge_sort_block_merge_config_selectorIN3c104HalfElEEZZNS1_27merge_sort_block_merge_implIS3_PS6_N6thrust23THRUST_200600_302600_NS10device_ptrIlEEmNSB_4lessIS6_EEEE10hipError_tT0_T1_T2_jT3_P12ihipStream_tbPNSt15iterator_traitsISH_E10value_typeEPNSN_ISI_E10value_typeEPSJ_NS1_7vsmem_tEENKUlT_SH_SI_SJ_E_clIS9_S9_PlSD_EESG_SW_SH_SI_SJ_EUlSW_E_NS1_11comp_targetILNS1_3genE5ELNS1_11target_archE942ELNS1_3gpuE9ELNS1_3repE0EEENS1_48merge_mergepath_partition_config_static_selectorELNS0_4arch9wavefront6targetE1EEEvSI_,@function
_ZN7rocprim17ROCPRIM_400000_NS6detail17trampoline_kernelINS0_14default_configENS1_38merge_sort_block_merge_config_selectorIN3c104HalfElEEZZNS1_27merge_sort_block_merge_implIS3_PS6_N6thrust23THRUST_200600_302600_NS10device_ptrIlEEmNSB_4lessIS6_EEEE10hipError_tT0_T1_T2_jT3_P12ihipStream_tbPNSt15iterator_traitsISH_E10value_typeEPNSN_ISI_E10value_typeEPSJ_NS1_7vsmem_tEENKUlT_SH_SI_SJ_E_clIS9_S9_PlSD_EESG_SW_SH_SI_SJ_EUlSW_E_NS1_11comp_targetILNS1_3genE5ELNS1_11target_archE942ELNS1_3gpuE9ELNS1_3repE0EEENS1_48merge_mergepath_partition_config_static_selectorELNS0_4arch9wavefront6targetE1EEEvSI_: ; @_ZN7rocprim17ROCPRIM_400000_NS6detail17trampoline_kernelINS0_14default_configENS1_38merge_sort_block_merge_config_selectorIN3c104HalfElEEZZNS1_27merge_sort_block_merge_implIS3_PS6_N6thrust23THRUST_200600_302600_NS10device_ptrIlEEmNSB_4lessIS6_EEEE10hipError_tT0_T1_T2_jT3_P12ihipStream_tbPNSt15iterator_traitsISH_E10value_typeEPNSN_ISI_E10value_typeEPSJ_NS1_7vsmem_tEENKUlT_SH_SI_SJ_E_clIS9_S9_PlSD_EESG_SW_SH_SI_SJ_EUlSW_E_NS1_11comp_targetILNS1_3genE5ELNS1_11target_archE942ELNS1_3gpuE9ELNS1_3repE0EEENS1_48merge_mergepath_partition_config_static_selectorELNS0_4arch9wavefront6targetE1EEEvSI_
; %bb.0:
	.section	.rodata,"a",@progbits
	.p2align	6, 0x0
	.amdhsa_kernel _ZN7rocprim17ROCPRIM_400000_NS6detail17trampoline_kernelINS0_14default_configENS1_38merge_sort_block_merge_config_selectorIN3c104HalfElEEZZNS1_27merge_sort_block_merge_implIS3_PS6_N6thrust23THRUST_200600_302600_NS10device_ptrIlEEmNSB_4lessIS6_EEEE10hipError_tT0_T1_T2_jT3_P12ihipStream_tbPNSt15iterator_traitsISH_E10value_typeEPNSN_ISI_E10value_typeEPSJ_NS1_7vsmem_tEENKUlT_SH_SI_SJ_E_clIS9_S9_PlSD_EESG_SW_SH_SI_SJ_EUlSW_E_NS1_11comp_targetILNS1_3genE5ELNS1_11target_archE942ELNS1_3gpuE9ELNS1_3repE0EEENS1_48merge_mergepath_partition_config_static_selectorELNS0_4arch9wavefront6targetE1EEEvSI_
		.amdhsa_group_segment_fixed_size 0
		.amdhsa_private_segment_fixed_size 0
		.amdhsa_kernarg_size 48
		.amdhsa_user_sgpr_count 6
		.amdhsa_user_sgpr_private_segment_buffer 1
		.amdhsa_user_sgpr_dispatch_ptr 0
		.amdhsa_user_sgpr_queue_ptr 0
		.amdhsa_user_sgpr_kernarg_segment_ptr 1
		.amdhsa_user_sgpr_dispatch_id 0
		.amdhsa_user_sgpr_flat_scratch_init 0
		.amdhsa_user_sgpr_kernarg_preload_length 0
		.amdhsa_user_sgpr_kernarg_preload_offset 0
		.amdhsa_user_sgpr_private_segment_size 0
		.amdhsa_uses_dynamic_stack 0
		.amdhsa_system_sgpr_private_segment_wavefront_offset 0
		.amdhsa_system_sgpr_workgroup_id_x 1
		.amdhsa_system_sgpr_workgroup_id_y 0
		.amdhsa_system_sgpr_workgroup_id_z 0
		.amdhsa_system_sgpr_workgroup_info 0
		.amdhsa_system_vgpr_workitem_id 0
		.amdhsa_next_free_vgpr 1
		.amdhsa_next_free_sgpr 0
		.amdhsa_accum_offset 4
		.amdhsa_reserve_vcc 0
		.amdhsa_reserve_flat_scratch 0
		.amdhsa_float_round_mode_32 0
		.amdhsa_float_round_mode_16_64 0
		.amdhsa_float_denorm_mode_32 3
		.amdhsa_float_denorm_mode_16_64 3
		.amdhsa_dx10_clamp 1
		.amdhsa_ieee_mode 1
		.amdhsa_fp16_overflow 0
		.amdhsa_tg_split 0
		.amdhsa_exception_fp_ieee_invalid_op 0
		.amdhsa_exception_fp_denorm_src 0
		.amdhsa_exception_fp_ieee_div_zero 0
		.amdhsa_exception_fp_ieee_overflow 0
		.amdhsa_exception_fp_ieee_underflow 0
		.amdhsa_exception_fp_ieee_inexact 0
		.amdhsa_exception_int_div_zero 0
	.end_amdhsa_kernel
	.section	.text._ZN7rocprim17ROCPRIM_400000_NS6detail17trampoline_kernelINS0_14default_configENS1_38merge_sort_block_merge_config_selectorIN3c104HalfElEEZZNS1_27merge_sort_block_merge_implIS3_PS6_N6thrust23THRUST_200600_302600_NS10device_ptrIlEEmNSB_4lessIS6_EEEE10hipError_tT0_T1_T2_jT3_P12ihipStream_tbPNSt15iterator_traitsISH_E10value_typeEPNSN_ISI_E10value_typeEPSJ_NS1_7vsmem_tEENKUlT_SH_SI_SJ_E_clIS9_S9_PlSD_EESG_SW_SH_SI_SJ_EUlSW_E_NS1_11comp_targetILNS1_3genE5ELNS1_11target_archE942ELNS1_3gpuE9ELNS1_3repE0EEENS1_48merge_mergepath_partition_config_static_selectorELNS0_4arch9wavefront6targetE1EEEvSI_,"axG",@progbits,_ZN7rocprim17ROCPRIM_400000_NS6detail17trampoline_kernelINS0_14default_configENS1_38merge_sort_block_merge_config_selectorIN3c104HalfElEEZZNS1_27merge_sort_block_merge_implIS3_PS6_N6thrust23THRUST_200600_302600_NS10device_ptrIlEEmNSB_4lessIS6_EEEE10hipError_tT0_T1_T2_jT3_P12ihipStream_tbPNSt15iterator_traitsISH_E10value_typeEPNSN_ISI_E10value_typeEPSJ_NS1_7vsmem_tEENKUlT_SH_SI_SJ_E_clIS9_S9_PlSD_EESG_SW_SH_SI_SJ_EUlSW_E_NS1_11comp_targetILNS1_3genE5ELNS1_11target_archE942ELNS1_3gpuE9ELNS1_3repE0EEENS1_48merge_mergepath_partition_config_static_selectorELNS0_4arch9wavefront6targetE1EEEvSI_,comdat
.Lfunc_end2128:
	.size	_ZN7rocprim17ROCPRIM_400000_NS6detail17trampoline_kernelINS0_14default_configENS1_38merge_sort_block_merge_config_selectorIN3c104HalfElEEZZNS1_27merge_sort_block_merge_implIS3_PS6_N6thrust23THRUST_200600_302600_NS10device_ptrIlEEmNSB_4lessIS6_EEEE10hipError_tT0_T1_T2_jT3_P12ihipStream_tbPNSt15iterator_traitsISH_E10value_typeEPNSN_ISI_E10value_typeEPSJ_NS1_7vsmem_tEENKUlT_SH_SI_SJ_E_clIS9_S9_PlSD_EESG_SW_SH_SI_SJ_EUlSW_E_NS1_11comp_targetILNS1_3genE5ELNS1_11target_archE942ELNS1_3gpuE9ELNS1_3repE0EEENS1_48merge_mergepath_partition_config_static_selectorELNS0_4arch9wavefront6targetE1EEEvSI_, .Lfunc_end2128-_ZN7rocprim17ROCPRIM_400000_NS6detail17trampoline_kernelINS0_14default_configENS1_38merge_sort_block_merge_config_selectorIN3c104HalfElEEZZNS1_27merge_sort_block_merge_implIS3_PS6_N6thrust23THRUST_200600_302600_NS10device_ptrIlEEmNSB_4lessIS6_EEEE10hipError_tT0_T1_T2_jT3_P12ihipStream_tbPNSt15iterator_traitsISH_E10value_typeEPNSN_ISI_E10value_typeEPSJ_NS1_7vsmem_tEENKUlT_SH_SI_SJ_E_clIS9_S9_PlSD_EESG_SW_SH_SI_SJ_EUlSW_E_NS1_11comp_targetILNS1_3genE5ELNS1_11target_archE942ELNS1_3gpuE9ELNS1_3repE0EEENS1_48merge_mergepath_partition_config_static_selectorELNS0_4arch9wavefront6targetE1EEEvSI_
                                        ; -- End function
	.section	.AMDGPU.csdata,"",@progbits
; Kernel info:
; codeLenInByte = 0
; NumSgprs: 4
; NumVgprs: 0
; NumAgprs: 0
; TotalNumVgprs: 0
; ScratchSize: 0
; MemoryBound: 0
; FloatMode: 240
; IeeeMode: 1
; LDSByteSize: 0 bytes/workgroup (compile time only)
; SGPRBlocks: 0
; VGPRBlocks: 0
; NumSGPRsForWavesPerEU: 4
; NumVGPRsForWavesPerEU: 1
; AccumOffset: 4
; Occupancy: 8
; WaveLimiterHint : 0
; COMPUTE_PGM_RSRC2:SCRATCH_EN: 0
; COMPUTE_PGM_RSRC2:USER_SGPR: 6
; COMPUTE_PGM_RSRC2:TRAP_HANDLER: 0
; COMPUTE_PGM_RSRC2:TGID_X_EN: 1
; COMPUTE_PGM_RSRC2:TGID_Y_EN: 0
; COMPUTE_PGM_RSRC2:TGID_Z_EN: 0
; COMPUTE_PGM_RSRC2:TIDIG_COMP_CNT: 0
; COMPUTE_PGM_RSRC3_GFX90A:ACCUM_OFFSET: 0
; COMPUTE_PGM_RSRC3_GFX90A:TG_SPLIT: 0
	.section	.text._ZN7rocprim17ROCPRIM_400000_NS6detail17trampoline_kernelINS0_14default_configENS1_38merge_sort_block_merge_config_selectorIN3c104HalfElEEZZNS1_27merge_sort_block_merge_implIS3_PS6_N6thrust23THRUST_200600_302600_NS10device_ptrIlEEmNSB_4lessIS6_EEEE10hipError_tT0_T1_T2_jT3_P12ihipStream_tbPNSt15iterator_traitsISH_E10value_typeEPNSN_ISI_E10value_typeEPSJ_NS1_7vsmem_tEENKUlT_SH_SI_SJ_E_clIS9_S9_PlSD_EESG_SW_SH_SI_SJ_EUlSW_E_NS1_11comp_targetILNS1_3genE4ELNS1_11target_archE910ELNS1_3gpuE8ELNS1_3repE0EEENS1_48merge_mergepath_partition_config_static_selectorELNS0_4arch9wavefront6targetE1EEEvSI_,"axG",@progbits,_ZN7rocprim17ROCPRIM_400000_NS6detail17trampoline_kernelINS0_14default_configENS1_38merge_sort_block_merge_config_selectorIN3c104HalfElEEZZNS1_27merge_sort_block_merge_implIS3_PS6_N6thrust23THRUST_200600_302600_NS10device_ptrIlEEmNSB_4lessIS6_EEEE10hipError_tT0_T1_T2_jT3_P12ihipStream_tbPNSt15iterator_traitsISH_E10value_typeEPNSN_ISI_E10value_typeEPSJ_NS1_7vsmem_tEENKUlT_SH_SI_SJ_E_clIS9_S9_PlSD_EESG_SW_SH_SI_SJ_EUlSW_E_NS1_11comp_targetILNS1_3genE4ELNS1_11target_archE910ELNS1_3gpuE8ELNS1_3repE0EEENS1_48merge_mergepath_partition_config_static_selectorELNS0_4arch9wavefront6targetE1EEEvSI_,comdat
	.protected	_ZN7rocprim17ROCPRIM_400000_NS6detail17trampoline_kernelINS0_14default_configENS1_38merge_sort_block_merge_config_selectorIN3c104HalfElEEZZNS1_27merge_sort_block_merge_implIS3_PS6_N6thrust23THRUST_200600_302600_NS10device_ptrIlEEmNSB_4lessIS6_EEEE10hipError_tT0_T1_T2_jT3_P12ihipStream_tbPNSt15iterator_traitsISH_E10value_typeEPNSN_ISI_E10value_typeEPSJ_NS1_7vsmem_tEENKUlT_SH_SI_SJ_E_clIS9_S9_PlSD_EESG_SW_SH_SI_SJ_EUlSW_E_NS1_11comp_targetILNS1_3genE4ELNS1_11target_archE910ELNS1_3gpuE8ELNS1_3repE0EEENS1_48merge_mergepath_partition_config_static_selectorELNS0_4arch9wavefront6targetE1EEEvSI_ ; -- Begin function _ZN7rocprim17ROCPRIM_400000_NS6detail17trampoline_kernelINS0_14default_configENS1_38merge_sort_block_merge_config_selectorIN3c104HalfElEEZZNS1_27merge_sort_block_merge_implIS3_PS6_N6thrust23THRUST_200600_302600_NS10device_ptrIlEEmNSB_4lessIS6_EEEE10hipError_tT0_T1_T2_jT3_P12ihipStream_tbPNSt15iterator_traitsISH_E10value_typeEPNSN_ISI_E10value_typeEPSJ_NS1_7vsmem_tEENKUlT_SH_SI_SJ_E_clIS9_S9_PlSD_EESG_SW_SH_SI_SJ_EUlSW_E_NS1_11comp_targetILNS1_3genE4ELNS1_11target_archE910ELNS1_3gpuE8ELNS1_3repE0EEENS1_48merge_mergepath_partition_config_static_selectorELNS0_4arch9wavefront6targetE1EEEvSI_
	.globl	_ZN7rocprim17ROCPRIM_400000_NS6detail17trampoline_kernelINS0_14default_configENS1_38merge_sort_block_merge_config_selectorIN3c104HalfElEEZZNS1_27merge_sort_block_merge_implIS3_PS6_N6thrust23THRUST_200600_302600_NS10device_ptrIlEEmNSB_4lessIS6_EEEE10hipError_tT0_T1_T2_jT3_P12ihipStream_tbPNSt15iterator_traitsISH_E10value_typeEPNSN_ISI_E10value_typeEPSJ_NS1_7vsmem_tEENKUlT_SH_SI_SJ_E_clIS9_S9_PlSD_EESG_SW_SH_SI_SJ_EUlSW_E_NS1_11comp_targetILNS1_3genE4ELNS1_11target_archE910ELNS1_3gpuE8ELNS1_3repE0EEENS1_48merge_mergepath_partition_config_static_selectorELNS0_4arch9wavefront6targetE1EEEvSI_
	.p2align	8
	.type	_ZN7rocprim17ROCPRIM_400000_NS6detail17trampoline_kernelINS0_14default_configENS1_38merge_sort_block_merge_config_selectorIN3c104HalfElEEZZNS1_27merge_sort_block_merge_implIS3_PS6_N6thrust23THRUST_200600_302600_NS10device_ptrIlEEmNSB_4lessIS6_EEEE10hipError_tT0_T1_T2_jT3_P12ihipStream_tbPNSt15iterator_traitsISH_E10value_typeEPNSN_ISI_E10value_typeEPSJ_NS1_7vsmem_tEENKUlT_SH_SI_SJ_E_clIS9_S9_PlSD_EESG_SW_SH_SI_SJ_EUlSW_E_NS1_11comp_targetILNS1_3genE4ELNS1_11target_archE910ELNS1_3gpuE8ELNS1_3repE0EEENS1_48merge_mergepath_partition_config_static_selectorELNS0_4arch9wavefront6targetE1EEEvSI_,@function
_ZN7rocprim17ROCPRIM_400000_NS6detail17trampoline_kernelINS0_14default_configENS1_38merge_sort_block_merge_config_selectorIN3c104HalfElEEZZNS1_27merge_sort_block_merge_implIS3_PS6_N6thrust23THRUST_200600_302600_NS10device_ptrIlEEmNSB_4lessIS6_EEEE10hipError_tT0_T1_T2_jT3_P12ihipStream_tbPNSt15iterator_traitsISH_E10value_typeEPNSN_ISI_E10value_typeEPSJ_NS1_7vsmem_tEENKUlT_SH_SI_SJ_E_clIS9_S9_PlSD_EESG_SW_SH_SI_SJ_EUlSW_E_NS1_11comp_targetILNS1_3genE4ELNS1_11target_archE910ELNS1_3gpuE8ELNS1_3repE0EEENS1_48merge_mergepath_partition_config_static_selectorELNS0_4arch9wavefront6targetE1EEEvSI_: ; @_ZN7rocprim17ROCPRIM_400000_NS6detail17trampoline_kernelINS0_14default_configENS1_38merge_sort_block_merge_config_selectorIN3c104HalfElEEZZNS1_27merge_sort_block_merge_implIS3_PS6_N6thrust23THRUST_200600_302600_NS10device_ptrIlEEmNSB_4lessIS6_EEEE10hipError_tT0_T1_T2_jT3_P12ihipStream_tbPNSt15iterator_traitsISH_E10value_typeEPNSN_ISI_E10value_typeEPSJ_NS1_7vsmem_tEENKUlT_SH_SI_SJ_E_clIS9_S9_PlSD_EESG_SW_SH_SI_SJ_EUlSW_E_NS1_11comp_targetILNS1_3genE4ELNS1_11target_archE910ELNS1_3gpuE8ELNS1_3repE0EEENS1_48merge_mergepath_partition_config_static_selectorELNS0_4arch9wavefront6targetE1EEEvSI_
; %bb.0:
	s_load_dword s0, s[4:5], 0x0
	v_lshl_or_b32 v0, s6, 7, v0
	s_waitcnt lgkmcnt(0)
	v_cmp_gt_u32_e32 vcc, s0, v0
	s_and_saveexec_b64 s[0:1], vcc
	s_cbranch_execz .LBB2129_6
; %bb.1:
	s_load_dwordx4 s[0:3], s[4:5], 0x8
	s_load_dwordx2 s[6:7], s[4:5], 0x28
	v_mov_b32_e32 v5, 0
	s_waitcnt lgkmcnt(0)
	v_mov_b32_e32 v1, s0
	v_alignbit_b32 v1, s1, v1, 9
	v_and_b32_e32 v1, -2, v1
	v_add_u32_e32 v2, -1, v1
	v_sub_u32_e32 v1, 0, v1
	v_and_b32_e32 v4, v0, v1
	v_lshlrev_b64 v[8:9], 10, v[4:5]
	v_mov_b32_e32 v1, s3
	v_cmp_lt_u64_e32 vcc, s[2:3], v[8:9]
	v_mov_b32_e32 v4, s2
	v_and_b32_e32 v6, v2, v0
	v_cndmask_b32_e32 v3, v9, v1, vcc
	v_cndmask_b32_e32 v2, v8, v4, vcc
	v_mov_b32_e32 v7, s1
	v_add_co_u32_e32 v8, vcc, s0, v8
	v_addc_co_u32_e32 v9, vcc, v9, v7, vcc
	v_cmp_lt_u64_e32 vcc, s[2:3], v[8:9]
	v_cndmask_b32_e32 v8, v8, v4, vcc
	v_cndmask_b32_e32 v9, v9, v1, vcc
	v_add_co_u32_e32 v10, vcc, s0, v8
	v_addc_co_u32_e32 v11, vcc, v9, v7, vcc
	v_cmp_lt_u64_e32 vcc, s[2:3], v[10:11]
	v_cndmask_b32_e32 v12, v10, v4, vcc
	v_cndmask_b32_e32 v1, v11, v1, vcc
	v_sub_co_u32_e32 v10, vcc, v12, v2
	v_mov_b32_e32 v7, v5
	v_subb_co_u32_e32 v11, vcc, v1, v3, vcc
	v_lshlrev_b64 v[4:5], 10, v[6:7]
	v_cmp_lt_u64_e32 vcc, v[10:11], v[4:5]
	v_cndmask_b32_e32 v11, v5, v11, vcc
	v_cndmask_b32_e32 v10, v4, v10, vcc
	v_sub_co_u32_e32 v6, vcc, v8, v2
	v_subb_co_u32_e32 v7, vcc, v9, v3, vcc
	v_sub_co_u32_e32 v4, vcc, v8, v12
	v_subb_co_u32_e32 v1, vcc, v9, v1, vcc
	v_add_co_u32_e32 v4, vcc, v10, v4
	v_addc_co_u32_e32 v5, vcc, v11, v1, vcc
	v_cmp_gt_u64_e32 vcc, v[4:5], v[10:11]
	v_cndmask_b32_e64 v5, v5, 0, vcc
	v_cndmask_b32_e64 v4, v4, 0, vcc
	v_cmp_lt_u64_e32 vcc, v[10:11], v[6:7]
	v_cndmask_b32_e32 v7, v7, v11, vcc
	v_cndmask_b32_e32 v6, v6, v10, vcc
	v_cmp_lt_u64_e32 vcc, v[4:5], v[6:7]
	s_and_saveexec_b64 s[0:1], vcc
	s_cbranch_execz .LBB2129_5
; %bb.2:
	s_load_dwordx2 s[2:3], s[4:5], 0x18
	v_lshlrev_b64 v[12:13], 1, v[2:3]
	v_lshlrev_b64 v[8:9], 1, v[8:9]
	s_waitcnt lgkmcnt(0)
	v_mov_b32_e32 v14, s3
	v_add_co_u32_e32 v1, vcc, s2, v12
	v_addc_co_u32_e32 v12, vcc, v14, v13, vcc
	v_add_co_u32_e32 v13, vcc, s2, v8
	v_addc_co_u32_e32 v14, vcc, v14, v9, vcc
	v_lshlrev_b64 v[8:9], 1, v[10:11]
	v_add_co_u32_e32 v8, vcc, v13, v8
	v_addc_co_u32_e32 v9, vcc, v14, v9, vcc
	s_mov_b64 s[2:3], 0
.LBB2129_3:                             ; =>This Inner Loop Header: Depth=1
	v_add_co_u32_e32 v10, vcc, v6, v4
	v_addc_co_u32_e32 v11, vcc, v7, v5, vcc
	v_lshrrev_b64 v[14:15], 1, v[10:11]
	v_and_b32_e32 v10, -2, v10
	v_add_co_u32_e32 v10, vcc, v1, v10
	v_not_b32_e32 v17, v15
	v_not_b32_e32 v16, v14
	v_addc_co_u32_e32 v11, vcc, v12, v11, vcc
	global_load_ushort v13, v[10:11], off
	v_lshlrev_b64 v[10:11], 1, v[16:17]
	v_add_co_u32_e32 v10, vcc, v8, v10
	v_addc_co_u32_e32 v11, vcc, v9, v11, vcc
	global_load_ushort v10, v[10:11], off
	v_add_co_u32_e32 v11, vcc, 1, v14
	v_addc_co_u32_e32 v16, vcc, 0, v15, vcc
	s_waitcnt vmcnt(0)
	v_cmp_lt_f16_e32 vcc, v10, v13
	v_cndmask_b32_e32 v7, v7, v15, vcc
	v_cndmask_b32_e32 v6, v6, v14, vcc
	;; [unrolled: 1-line block ×4, first 2 shown]
	v_cmp_ge_u64_e32 vcc, v[4:5], v[6:7]
	s_or_b64 s[2:3], vcc, s[2:3]
	s_andn2_b64 exec, exec, s[2:3]
	s_cbranch_execnz .LBB2129_3
; %bb.4:
	s_or_b64 exec, exec, s[2:3]
.LBB2129_5:
	s_or_b64 exec, exec, s[0:1]
	v_add_co_u32_e32 v2, vcc, v4, v2
	v_mov_b32_e32 v1, 0
	v_addc_co_u32_e32 v3, vcc, v5, v3, vcc
	v_lshlrev_b64 v[0:1], 3, v[0:1]
	v_mov_b32_e32 v4, s7
	v_add_co_u32_e32 v0, vcc, s6, v0
	v_addc_co_u32_e32 v1, vcc, v4, v1, vcc
	global_store_dwordx2 v[0:1], v[2:3], off
.LBB2129_6:
	s_endpgm
	.section	.rodata,"a",@progbits
	.p2align	6, 0x0
	.amdhsa_kernel _ZN7rocprim17ROCPRIM_400000_NS6detail17trampoline_kernelINS0_14default_configENS1_38merge_sort_block_merge_config_selectorIN3c104HalfElEEZZNS1_27merge_sort_block_merge_implIS3_PS6_N6thrust23THRUST_200600_302600_NS10device_ptrIlEEmNSB_4lessIS6_EEEE10hipError_tT0_T1_T2_jT3_P12ihipStream_tbPNSt15iterator_traitsISH_E10value_typeEPNSN_ISI_E10value_typeEPSJ_NS1_7vsmem_tEENKUlT_SH_SI_SJ_E_clIS9_S9_PlSD_EESG_SW_SH_SI_SJ_EUlSW_E_NS1_11comp_targetILNS1_3genE4ELNS1_11target_archE910ELNS1_3gpuE8ELNS1_3repE0EEENS1_48merge_mergepath_partition_config_static_selectorELNS0_4arch9wavefront6targetE1EEEvSI_
		.amdhsa_group_segment_fixed_size 0
		.amdhsa_private_segment_fixed_size 0
		.amdhsa_kernarg_size 48
		.amdhsa_user_sgpr_count 6
		.amdhsa_user_sgpr_private_segment_buffer 1
		.amdhsa_user_sgpr_dispatch_ptr 0
		.amdhsa_user_sgpr_queue_ptr 0
		.amdhsa_user_sgpr_kernarg_segment_ptr 1
		.amdhsa_user_sgpr_dispatch_id 0
		.amdhsa_user_sgpr_flat_scratch_init 0
		.amdhsa_user_sgpr_kernarg_preload_length 0
		.amdhsa_user_sgpr_kernarg_preload_offset 0
		.amdhsa_user_sgpr_private_segment_size 0
		.amdhsa_uses_dynamic_stack 0
		.amdhsa_system_sgpr_private_segment_wavefront_offset 0
		.amdhsa_system_sgpr_workgroup_id_x 1
		.amdhsa_system_sgpr_workgroup_id_y 0
		.amdhsa_system_sgpr_workgroup_id_z 0
		.amdhsa_system_sgpr_workgroup_info 0
		.amdhsa_system_vgpr_workitem_id 0
		.amdhsa_next_free_vgpr 18
		.amdhsa_next_free_sgpr 8
		.amdhsa_accum_offset 20
		.amdhsa_reserve_vcc 1
		.amdhsa_reserve_flat_scratch 0
		.amdhsa_float_round_mode_32 0
		.amdhsa_float_round_mode_16_64 0
		.amdhsa_float_denorm_mode_32 3
		.amdhsa_float_denorm_mode_16_64 3
		.amdhsa_dx10_clamp 1
		.amdhsa_ieee_mode 1
		.amdhsa_fp16_overflow 0
		.amdhsa_tg_split 0
		.amdhsa_exception_fp_ieee_invalid_op 0
		.amdhsa_exception_fp_denorm_src 0
		.amdhsa_exception_fp_ieee_div_zero 0
		.amdhsa_exception_fp_ieee_overflow 0
		.amdhsa_exception_fp_ieee_underflow 0
		.amdhsa_exception_fp_ieee_inexact 0
		.amdhsa_exception_int_div_zero 0
	.end_amdhsa_kernel
	.section	.text._ZN7rocprim17ROCPRIM_400000_NS6detail17trampoline_kernelINS0_14default_configENS1_38merge_sort_block_merge_config_selectorIN3c104HalfElEEZZNS1_27merge_sort_block_merge_implIS3_PS6_N6thrust23THRUST_200600_302600_NS10device_ptrIlEEmNSB_4lessIS6_EEEE10hipError_tT0_T1_T2_jT3_P12ihipStream_tbPNSt15iterator_traitsISH_E10value_typeEPNSN_ISI_E10value_typeEPSJ_NS1_7vsmem_tEENKUlT_SH_SI_SJ_E_clIS9_S9_PlSD_EESG_SW_SH_SI_SJ_EUlSW_E_NS1_11comp_targetILNS1_3genE4ELNS1_11target_archE910ELNS1_3gpuE8ELNS1_3repE0EEENS1_48merge_mergepath_partition_config_static_selectorELNS0_4arch9wavefront6targetE1EEEvSI_,"axG",@progbits,_ZN7rocprim17ROCPRIM_400000_NS6detail17trampoline_kernelINS0_14default_configENS1_38merge_sort_block_merge_config_selectorIN3c104HalfElEEZZNS1_27merge_sort_block_merge_implIS3_PS6_N6thrust23THRUST_200600_302600_NS10device_ptrIlEEmNSB_4lessIS6_EEEE10hipError_tT0_T1_T2_jT3_P12ihipStream_tbPNSt15iterator_traitsISH_E10value_typeEPNSN_ISI_E10value_typeEPSJ_NS1_7vsmem_tEENKUlT_SH_SI_SJ_E_clIS9_S9_PlSD_EESG_SW_SH_SI_SJ_EUlSW_E_NS1_11comp_targetILNS1_3genE4ELNS1_11target_archE910ELNS1_3gpuE8ELNS1_3repE0EEENS1_48merge_mergepath_partition_config_static_selectorELNS0_4arch9wavefront6targetE1EEEvSI_,comdat
.Lfunc_end2129:
	.size	_ZN7rocprim17ROCPRIM_400000_NS6detail17trampoline_kernelINS0_14default_configENS1_38merge_sort_block_merge_config_selectorIN3c104HalfElEEZZNS1_27merge_sort_block_merge_implIS3_PS6_N6thrust23THRUST_200600_302600_NS10device_ptrIlEEmNSB_4lessIS6_EEEE10hipError_tT0_T1_T2_jT3_P12ihipStream_tbPNSt15iterator_traitsISH_E10value_typeEPNSN_ISI_E10value_typeEPSJ_NS1_7vsmem_tEENKUlT_SH_SI_SJ_E_clIS9_S9_PlSD_EESG_SW_SH_SI_SJ_EUlSW_E_NS1_11comp_targetILNS1_3genE4ELNS1_11target_archE910ELNS1_3gpuE8ELNS1_3repE0EEENS1_48merge_mergepath_partition_config_static_selectorELNS0_4arch9wavefront6targetE1EEEvSI_, .Lfunc_end2129-_ZN7rocprim17ROCPRIM_400000_NS6detail17trampoline_kernelINS0_14default_configENS1_38merge_sort_block_merge_config_selectorIN3c104HalfElEEZZNS1_27merge_sort_block_merge_implIS3_PS6_N6thrust23THRUST_200600_302600_NS10device_ptrIlEEmNSB_4lessIS6_EEEE10hipError_tT0_T1_T2_jT3_P12ihipStream_tbPNSt15iterator_traitsISH_E10value_typeEPNSN_ISI_E10value_typeEPSJ_NS1_7vsmem_tEENKUlT_SH_SI_SJ_E_clIS9_S9_PlSD_EESG_SW_SH_SI_SJ_EUlSW_E_NS1_11comp_targetILNS1_3genE4ELNS1_11target_archE910ELNS1_3gpuE8ELNS1_3repE0EEENS1_48merge_mergepath_partition_config_static_selectorELNS0_4arch9wavefront6targetE1EEEvSI_
                                        ; -- End function
	.section	.AMDGPU.csdata,"",@progbits
; Kernel info:
; codeLenInByte = 496
; NumSgprs: 12
; NumVgprs: 18
; NumAgprs: 0
; TotalNumVgprs: 18
; ScratchSize: 0
; MemoryBound: 0
; FloatMode: 240
; IeeeMode: 1
; LDSByteSize: 0 bytes/workgroup (compile time only)
; SGPRBlocks: 1
; VGPRBlocks: 2
; NumSGPRsForWavesPerEU: 12
; NumVGPRsForWavesPerEU: 18
; AccumOffset: 20
; Occupancy: 8
; WaveLimiterHint : 0
; COMPUTE_PGM_RSRC2:SCRATCH_EN: 0
; COMPUTE_PGM_RSRC2:USER_SGPR: 6
; COMPUTE_PGM_RSRC2:TRAP_HANDLER: 0
; COMPUTE_PGM_RSRC2:TGID_X_EN: 1
; COMPUTE_PGM_RSRC2:TGID_Y_EN: 0
; COMPUTE_PGM_RSRC2:TGID_Z_EN: 0
; COMPUTE_PGM_RSRC2:TIDIG_COMP_CNT: 0
; COMPUTE_PGM_RSRC3_GFX90A:ACCUM_OFFSET: 4
; COMPUTE_PGM_RSRC3_GFX90A:TG_SPLIT: 0
	.section	.text._ZN7rocprim17ROCPRIM_400000_NS6detail17trampoline_kernelINS0_14default_configENS1_38merge_sort_block_merge_config_selectorIN3c104HalfElEEZZNS1_27merge_sort_block_merge_implIS3_PS6_N6thrust23THRUST_200600_302600_NS10device_ptrIlEEmNSB_4lessIS6_EEEE10hipError_tT0_T1_T2_jT3_P12ihipStream_tbPNSt15iterator_traitsISH_E10value_typeEPNSN_ISI_E10value_typeEPSJ_NS1_7vsmem_tEENKUlT_SH_SI_SJ_E_clIS9_S9_PlSD_EESG_SW_SH_SI_SJ_EUlSW_E_NS1_11comp_targetILNS1_3genE3ELNS1_11target_archE908ELNS1_3gpuE7ELNS1_3repE0EEENS1_48merge_mergepath_partition_config_static_selectorELNS0_4arch9wavefront6targetE1EEEvSI_,"axG",@progbits,_ZN7rocprim17ROCPRIM_400000_NS6detail17trampoline_kernelINS0_14default_configENS1_38merge_sort_block_merge_config_selectorIN3c104HalfElEEZZNS1_27merge_sort_block_merge_implIS3_PS6_N6thrust23THRUST_200600_302600_NS10device_ptrIlEEmNSB_4lessIS6_EEEE10hipError_tT0_T1_T2_jT3_P12ihipStream_tbPNSt15iterator_traitsISH_E10value_typeEPNSN_ISI_E10value_typeEPSJ_NS1_7vsmem_tEENKUlT_SH_SI_SJ_E_clIS9_S9_PlSD_EESG_SW_SH_SI_SJ_EUlSW_E_NS1_11comp_targetILNS1_3genE3ELNS1_11target_archE908ELNS1_3gpuE7ELNS1_3repE0EEENS1_48merge_mergepath_partition_config_static_selectorELNS0_4arch9wavefront6targetE1EEEvSI_,comdat
	.protected	_ZN7rocprim17ROCPRIM_400000_NS6detail17trampoline_kernelINS0_14default_configENS1_38merge_sort_block_merge_config_selectorIN3c104HalfElEEZZNS1_27merge_sort_block_merge_implIS3_PS6_N6thrust23THRUST_200600_302600_NS10device_ptrIlEEmNSB_4lessIS6_EEEE10hipError_tT0_T1_T2_jT3_P12ihipStream_tbPNSt15iterator_traitsISH_E10value_typeEPNSN_ISI_E10value_typeEPSJ_NS1_7vsmem_tEENKUlT_SH_SI_SJ_E_clIS9_S9_PlSD_EESG_SW_SH_SI_SJ_EUlSW_E_NS1_11comp_targetILNS1_3genE3ELNS1_11target_archE908ELNS1_3gpuE7ELNS1_3repE0EEENS1_48merge_mergepath_partition_config_static_selectorELNS0_4arch9wavefront6targetE1EEEvSI_ ; -- Begin function _ZN7rocprim17ROCPRIM_400000_NS6detail17trampoline_kernelINS0_14default_configENS1_38merge_sort_block_merge_config_selectorIN3c104HalfElEEZZNS1_27merge_sort_block_merge_implIS3_PS6_N6thrust23THRUST_200600_302600_NS10device_ptrIlEEmNSB_4lessIS6_EEEE10hipError_tT0_T1_T2_jT3_P12ihipStream_tbPNSt15iterator_traitsISH_E10value_typeEPNSN_ISI_E10value_typeEPSJ_NS1_7vsmem_tEENKUlT_SH_SI_SJ_E_clIS9_S9_PlSD_EESG_SW_SH_SI_SJ_EUlSW_E_NS1_11comp_targetILNS1_3genE3ELNS1_11target_archE908ELNS1_3gpuE7ELNS1_3repE0EEENS1_48merge_mergepath_partition_config_static_selectorELNS0_4arch9wavefront6targetE1EEEvSI_
	.globl	_ZN7rocprim17ROCPRIM_400000_NS6detail17trampoline_kernelINS0_14default_configENS1_38merge_sort_block_merge_config_selectorIN3c104HalfElEEZZNS1_27merge_sort_block_merge_implIS3_PS6_N6thrust23THRUST_200600_302600_NS10device_ptrIlEEmNSB_4lessIS6_EEEE10hipError_tT0_T1_T2_jT3_P12ihipStream_tbPNSt15iterator_traitsISH_E10value_typeEPNSN_ISI_E10value_typeEPSJ_NS1_7vsmem_tEENKUlT_SH_SI_SJ_E_clIS9_S9_PlSD_EESG_SW_SH_SI_SJ_EUlSW_E_NS1_11comp_targetILNS1_3genE3ELNS1_11target_archE908ELNS1_3gpuE7ELNS1_3repE0EEENS1_48merge_mergepath_partition_config_static_selectorELNS0_4arch9wavefront6targetE1EEEvSI_
	.p2align	8
	.type	_ZN7rocprim17ROCPRIM_400000_NS6detail17trampoline_kernelINS0_14default_configENS1_38merge_sort_block_merge_config_selectorIN3c104HalfElEEZZNS1_27merge_sort_block_merge_implIS3_PS6_N6thrust23THRUST_200600_302600_NS10device_ptrIlEEmNSB_4lessIS6_EEEE10hipError_tT0_T1_T2_jT3_P12ihipStream_tbPNSt15iterator_traitsISH_E10value_typeEPNSN_ISI_E10value_typeEPSJ_NS1_7vsmem_tEENKUlT_SH_SI_SJ_E_clIS9_S9_PlSD_EESG_SW_SH_SI_SJ_EUlSW_E_NS1_11comp_targetILNS1_3genE3ELNS1_11target_archE908ELNS1_3gpuE7ELNS1_3repE0EEENS1_48merge_mergepath_partition_config_static_selectorELNS0_4arch9wavefront6targetE1EEEvSI_,@function
_ZN7rocprim17ROCPRIM_400000_NS6detail17trampoline_kernelINS0_14default_configENS1_38merge_sort_block_merge_config_selectorIN3c104HalfElEEZZNS1_27merge_sort_block_merge_implIS3_PS6_N6thrust23THRUST_200600_302600_NS10device_ptrIlEEmNSB_4lessIS6_EEEE10hipError_tT0_T1_T2_jT3_P12ihipStream_tbPNSt15iterator_traitsISH_E10value_typeEPNSN_ISI_E10value_typeEPSJ_NS1_7vsmem_tEENKUlT_SH_SI_SJ_E_clIS9_S9_PlSD_EESG_SW_SH_SI_SJ_EUlSW_E_NS1_11comp_targetILNS1_3genE3ELNS1_11target_archE908ELNS1_3gpuE7ELNS1_3repE0EEENS1_48merge_mergepath_partition_config_static_selectorELNS0_4arch9wavefront6targetE1EEEvSI_: ; @_ZN7rocprim17ROCPRIM_400000_NS6detail17trampoline_kernelINS0_14default_configENS1_38merge_sort_block_merge_config_selectorIN3c104HalfElEEZZNS1_27merge_sort_block_merge_implIS3_PS6_N6thrust23THRUST_200600_302600_NS10device_ptrIlEEmNSB_4lessIS6_EEEE10hipError_tT0_T1_T2_jT3_P12ihipStream_tbPNSt15iterator_traitsISH_E10value_typeEPNSN_ISI_E10value_typeEPSJ_NS1_7vsmem_tEENKUlT_SH_SI_SJ_E_clIS9_S9_PlSD_EESG_SW_SH_SI_SJ_EUlSW_E_NS1_11comp_targetILNS1_3genE3ELNS1_11target_archE908ELNS1_3gpuE7ELNS1_3repE0EEENS1_48merge_mergepath_partition_config_static_selectorELNS0_4arch9wavefront6targetE1EEEvSI_
; %bb.0:
	.section	.rodata,"a",@progbits
	.p2align	6, 0x0
	.amdhsa_kernel _ZN7rocprim17ROCPRIM_400000_NS6detail17trampoline_kernelINS0_14default_configENS1_38merge_sort_block_merge_config_selectorIN3c104HalfElEEZZNS1_27merge_sort_block_merge_implIS3_PS6_N6thrust23THRUST_200600_302600_NS10device_ptrIlEEmNSB_4lessIS6_EEEE10hipError_tT0_T1_T2_jT3_P12ihipStream_tbPNSt15iterator_traitsISH_E10value_typeEPNSN_ISI_E10value_typeEPSJ_NS1_7vsmem_tEENKUlT_SH_SI_SJ_E_clIS9_S9_PlSD_EESG_SW_SH_SI_SJ_EUlSW_E_NS1_11comp_targetILNS1_3genE3ELNS1_11target_archE908ELNS1_3gpuE7ELNS1_3repE0EEENS1_48merge_mergepath_partition_config_static_selectorELNS0_4arch9wavefront6targetE1EEEvSI_
		.amdhsa_group_segment_fixed_size 0
		.amdhsa_private_segment_fixed_size 0
		.amdhsa_kernarg_size 48
		.amdhsa_user_sgpr_count 6
		.amdhsa_user_sgpr_private_segment_buffer 1
		.amdhsa_user_sgpr_dispatch_ptr 0
		.amdhsa_user_sgpr_queue_ptr 0
		.amdhsa_user_sgpr_kernarg_segment_ptr 1
		.amdhsa_user_sgpr_dispatch_id 0
		.amdhsa_user_sgpr_flat_scratch_init 0
		.amdhsa_user_sgpr_kernarg_preload_length 0
		.amdhsa_user_sgpr_kernarg_preload_offset 0
		.amdhsa_user_sgpr_private_segment_size 0
		.amdhsa_uses_dynamic_stack 0
		.amdhsa_system_sgpr_private_segment_wavefront_offset 0
		.amdhsa_system_sgpr_workgroup_id_x 1
		.amdhsa_system_sgpr_workgroup_id_y 0
		.amdhsa_system_sgpr_workgroup_id_z 0
		.amdhsa_system_sgpr_workgroup_info 0
		.amdhsa_system_vgpr_workitem_id 0
		.amdhsa_next_free_vgpr 1
		.amdhsa_next_free_sgpr 0
		.amdhsa_accum_offset 4
		.amdhsa_reserve_vcc 0
		.amdhsa_reserve_flat_scratch 0
		.amdhsa_float_round_mode_32 0
		.amdhsa_float_round_mode_16_64 0
		.amdhsa_float_denorm_mode_32 3
		.amdhsa_float_denorm_mode_16_64 3
		.amdhsa_dx10_clamp 1
		.amdhsa_ieee_mode 1
		.amdhsa_fp16_overflow 0
		.amdhsa_tg_split 0
		.amdhsa_exception_fp_ieee_invalid_op 0
		.amdhsa_exception_fp_denorm_src 0
		.amdhsa_exception_fp_ieee_div_zero 0
		.amdhsa_exception_fp_ieee_overflow 0
		.amdhsa_exception_fp_ieee_underflow 0
		.amdhsa_exception_fp_ieee_inexact 0
		.amdhsa_exception_int_div_zero 0
	.end_amdhsa_kernel
	.section	.text._ZN7rocprim17ROCPRIM_400000_NS6detail17trampoline_kernelINS0_14default_configENS1_38merge_sort_block_merge_config_selectorIN3c104HalfElEEZZNS1_27merge_sort_block_merge_implIS3_PS6_N6thrust23THRUST_200600_302600_NS10device_ptrIlEEmNSB_4lessIS6_EEEE10hipError_tT0_T1_T2_jT3_P12ihipStream_tbPNSt15iterator_traitsISH_E10value_typeEPNSN_ISI_E10value_typeEPSJ_NS1_7vsmem_tEENKUlT_SH_SI_SJ_E_clIS9_S9_PlSD_EESG_SW_SH_SI_SJ_EUlSW_E_NS1_11comp_targetILNS1_3genE3ELNS1_11target_archE908ELNS1_3gpuE7ELNS1_3repE0EEENS1_48merge_mergepath_partition_config_static_selectorELNS0_4arch9wavefront6targetE1EEEvSI_,"axG",@progbits,_ZN7rocprim17ROCPRIM_400000_NS6detail17trampoline_kernelINS0_14default_configENS1_38merge_sort_block_merge_config_selectorIN3c104HalfElEEZZNS1_27merge_sort_block_merge_implIS3_PS6_N6thrust23THRUST_200600_302600_NS10device_ptrIlEEmNSB_4lessIS6_EEEE10hipError_tT0_T1_T2_jT3_P12ihipStream_tbPNSt15iterator_traitsISH_E10value_typeEPNSN_ISI_E10value_typeEPSJ_NS1_7vsmem_tEENKUlT_SH_SI_SJ_E_clIS9_S9_PlSD_EESG_SW_SH_SI_SJ_EUlSW_E_NS1_11comp_targetILNS1_3genE3ELNS1_11target_archE908ELNS1_3gpuE7ELNS1_3repE0EEENS1_48merge_mergepath_partition_config_static_selectorELNS0_4arch9wavefront6targetE1EEEvSI_,comdat
.Lfunc_end2130:
	.size	_ZN7rocprim17ROCPRIM_400000_NS6detail17trampoline_kernelINS0_14default_configENS1_38merge_sort_block_merge_config_selectorIN3c104HalfElEEZZNS1_27merge_sort_block_merge_implIS3_PS6_N6thrust23THRUST_200600_302600_NS10device_ptrIlEEmNSB_4lessIS6_EEEE10hipError_tT0_T1_T2_jT3_P12ihipStream_tbPNSt15iterator_traitsISH_E10value_typeEPNSN_ISI_E10value_typeEPSJ_NS1_7vsmem_tEENKUlT_SH_SI_SJ_E_clIS9_S9_PlSD_EESG_SW_SH_SI_SJ_EUlSW_E_NS1_11comp_targetILNS1_3genE3ELNS1_11target_archE908ELNS1_3gpuE7ELNS1_3repE0EEENS1_48merge_mergepath_partition_config_static_selectorELNS0_4arch9wavefront6targetE1EEEvSI_, .Lfunc_end2130-_ZN7rocprim17ROCPRIM_400000_NS6detail17trampoline_kernelINS0_14default_configENS1_38merge_sort_block_merge_config_selectorIN3c104HalfElEEZZNS1_27merge_sort_block_merge_implIS3_PS6_N6thrust23THRUST_200600_302600_NS10device_ptrIlEEmNSB_4lessIS6_EEEE10hipError_tT0_T1_T2_jT3_P12ihipStream_tbPNSt15iterator_traitsISH_E10value_typeEPNSN_ISI_E10value_typeEPSJ_NS1_7vsmem_tEENKUlT_SH_SI_SJ_E_clIS9_S9_PlSD_EESG_SW_SH_SI_SJ_EUlSW_E_NS1_11comp_targetILNS1_3genE3ELNS1_11target_archE908ELNS1_3gpuE7ELNS1_3repE0EEENS1_48merge_mergepath_partition_config_static_selectorELNS0_4arch9wavefront6targetE1EEEvSI_
                                        ; -- End function
	.section	.AMDGPU.csdata,"",@progbits
; Kernel info:
; codeLenInByte = 0
; NumSgprs: 4
; NumVgprs: 0
; NumAgprs: 0
; TotalNumVgprs: 0
; ScratchSize: 0
; MemoryBound: 0
; FloatMode: 240
; IeeeMode: 1
; LDSByteSize: 0 bytes/workgroup (compile time only)
; SGPRBlocks: 0
; VGPRBlocks: 0
; NumSGPRsForWavesPerEU: 4
; NumVGPRsForWavesPerEU: 1
; AccumOffset: 4
; Occupancy: 8
; WaveLimiterHint : 0
; COMPUTE_PGM_RSRC2:SCRATCH_EN: 0
; COMPUTE_PGM_RSRC2:USER_SGPR: 6
; COMPUTE_PGM_RSRC2:TRAP_HANDLER: 0
; COMPUTE_PGM_RSRC2:TGID_X_EN: 1
; COMPUTE_PGM_RSRC2:TGID_Y_EN: 0
; COMPUTE_PGM_RSRC2:TGID_Z_EN: 0
; COMPUTE_PGM_RSRC2:TIDIG_COMP_CNT: 0
; COMPUTE_PGM_RSRC3_GFX90A:ACCUM_OFFSET: 0
; COMPUTE_PGM_RSRC3_GFX90A:TG_SPLIT: 0
	.section	.text._ZN7rocprim17ROCPRIM_400000_NS6detail17trampoline_kernelINS0_14default_configENS1_38merge_sort_block_merge_config_selectorIN3c104HalfElEEZZNS1_27merge_sort_block_merge_implIS3_PS6_N6thrust23THRUST_200600_302600_NS10device_ptrIlEEmNSB_4lessIS6_EEEE10hipError_tT0_T1_T2_jT3_P12ihipStream_tbPNSt15iterator_traitsISH_E10value_typeEPNSN_ISI_E10value_typeEPSJ_NS1_7vsmem_tEENKUlT_SH_SI_SJ_E_clIS9_S9_PlSD_EESG_SW_SH_SI_SJ_EUlSW_E_NS1_11comp_targetILNS1_3genE2ELNS1_11target_archE906ELNS1_3gpuE6ELNS1_3repE0EEENS1_48merge_mergepath_partition_config_static_selectorELNS0_4arch9wavefront6targetE1EEEvSI_,"axG",@progbits,_ZN7rocprim17ROCPRIM_400000_NS6detail17trampoline_kernelINS0_14default_configENS1_38merge_sort_block_merge_config_selectorIN3c104HalfElEEZZNS1_27merge_sort_block_merge_implIS3_PS6_N6thrust23THRUST_200600_302600_NS10device_ptrIlEEmNSB_4lessIS6_EEEE10hipError_tT0_T1_T2_jT3_P12ihipStream_tbPNSt15iterator_traitsISH_E10value_typeEPNSN_ISI_E10value_typeEPSJ_NS1_7vsmem_tEENKUlT_SH_SI_SJ_E_clIS9_S9_PlSD_EESG_SW_SH_SI_SJ_EUlSW_E_NS1_11comp_targetILNS1_3genE2ELNS1_11target_archE906ELNS1_3gpuE6ELNS1_3repE0EEENS1_48merge_mergepath_partition_config_static_selectorELNS0_4arch9wavefront6targetE1EEEvSI_,comdat
	.protected	_ZN7rocprim17ROCPRIM_400000_NS6detail17trampoline_kernelINS0_14default_configENS1_38merge_sort_block_merge_config_selectorIN3c104HalfElEEZZNS1_27merge_sort_block_merge_implIS3_PS6_N6thrust23THRUST_200600_302600_NS10device_ptrIlEEmNSB_4lessIS6_EEEE10hipError_tT0_T1_T2_jT3_P12ihipStream_tbPNSt15iterator_traitsISH_E10value_typeEPNSN_ISI_E10value_typeEPSJ_NS1_7vsmem_tEENKUlT_SH_SI_SJ_E_clIS9_S9_PlSD_EESG_SW_SH_SI_SJ_EUlSW_E_NS1_11comp_targetILNS1_3genE2ELNS1_11target_archE906ELNS1_3gpuE6ELNS1_3repE0EEENS1_48merge_mergepath_partition_config_static_selectorELNS0_4arch9wavefront6targetE1EEEvSI_ ; -- Begin function _ZN7rocprim17ROCPRIM_400000_NS6detail17trampoline_kernelINS0_14default_configENS1_38merge_sort_block_merge_config_selectorIN3c104HalfElEEZZNS1_27merge_sort_block_merge_implIS3_PS6_N6thrust23THRUST_200600_302600_NS10device_ptrIlEEmNSB_4lessIS6_EEEE10hipError_tT0_T1_T2_jT3_P12ihipStream_tbPNSt15iterator_traitsISH_E10value_typeEPNSN_ISI_E10value_typeEPSJ_NS1_7vsmem_tEENKUlT_SH_SI_SJ_E_clIS9_S9_PlSD_EESG_SW_SH_SI_SJ_EUlSW_E_NS1_11comp_targetILNS1_3genE2ELNS1_11target_archE906ELNS1_3gpuE6ELNS1_3repE0EEENS1_48merge_mergepath_partition_config_static_selectorELNS0_4arch9wavefront6targetE1EEEvSI_
	.globl	_ZN7rocprim17ROCPRIM_400000_NS6detail17trampoline_kernelINS0_14default_configENS1_38merge_sort_block_merge_config_selectorIN3c104HalfElEEZZNS1_27merge_sort_block_merge_implIS3_PS6_N6thrust23THRUST_200600_302600_NS10device_ptrIlEEmNSB_4lessIS6_EEEE10hipError_tT0_T1_T2_jT3_P12ihipStream_tbPNSt15iterator_traitsISH_E10value_typeEPNSN_ISI_E10value_typeEPSJ_NS1_7vsmem_tEENKUlT_SH_SI_SJ_E_clIS9_S9_PlSD_EESG_SW_SH_SI_SJ_EUlSW_E_NS1_11comp_targetILNS1_3genE2ELNS1_11target_archE906ELNS1_3gpuE6ELNS1_3repE0EEENS1_48merge_mergepath_partition_config_static_selectorELNS0_4arch9wavefront6targetE1EEEvSI_
	.p2align	8
	.type	_ZN7rocprim17ROCPRIM_400000_NS6detail17trampoline_kernelINS0_14default_configENS1_38merge_sort_block_merge_config_selectorIN3c104HalfElEEZZNS1_27merge_sort_block_merge_implIS3_PS6_N6thrust23THRUST_200600_302600_NS10device_ptrIlEEmNSB_4lessIS6_EEEE10hipError_tT0_T1_T2_jT3_P12ihipStream_tbPNSt15iterator_traitsISH_E10value_typeEPNSN_ISI_E10value_typeEPSJ_NS1_7vsmem_tEENKUlT_SH_SI_SJ_E_clIS9_S9_PlSD_EESG_SW_SH_SI_SJ_EUlSW_E_NS1_11comp_targetILNS1_3genE2ELNS1_11target_archE906ELNS1_3gpuE6ELNS1_3repE0EEENS1_48merge_mergepath_partition_config_static_selectorELNS0_4arch9wavefront6targetE1EEEvSI_,@function
_ZN7rocprim17ROCPRIM_400000_NS6detail17trampoline_kernelINS0_14default_configENS1_38merge_sort_block_merge_config_selectorIN3c104HalfElEEZZNS1_27merge_sort_block_merge_implIS3_PS6_N6thrust23THRUST_200600_302600_NS10device_ptrIlEEmNSB_4lessIS6_EEEE10hipError_tT0_T1_T2_jT3_P12ihipStream_tbPNSt15iterator_traitsISH_E10value_typeEPNSN_ISI_E10value_typeEPSJ_NS1_7vsmem_tEENKUlT_SH_SI_SJ_E_clIS9_S9_PlSD_EESG_SW_SH_SI_SJ_EUlSW_E_NS1_11comp_targetILNS1_3genE2ELNS1_11target_archE906ELNS1_3gpuE6ELNS1_3repE0EEENS1_48merge_mergepath_partition_config_static_selectorELNS0_4arch9wavefront6targetE1EEEvSI_: ; @_ZN7rocprim17ROCPRIM_400000_NS6detail17trampoline_kernelINS0_14default_configENS1_38merge_sort_block_merge_config_selectorIN3c104HalfElEEZZNS1_27merge_sort_block_merge_implIS3_PS6_N6thrust23THRUST_200600_302600_NS10device_ptrIlEEmNSB_4lessIS6_EEEE10hipError_tT0_T1_T2_jT3_P12ihipStream_tbPNSt15iterator_traitsISH_E10value_typeEPNSN_ISI_E10value_typeEPSJ_NS1_7vsmem_tEENKUlT_SH_SI_SJ_E_clIS9_S9_PlSD_EESG_SW_SH_SI_SJ_EUlSW_E_NS1_11comp_targetILNS1_3genE2ELNS1_11target_archE906ELNS1_3gpuE6ELNS1_3repE0EEENS1_48merge_mergepath_partition_config_static_selectorELNS0_4arch9wavefront6targetE1EEEvSI_
; %bb.0:
	.section	.rodata,"a",@progbits
	.p2align	6, 0x0
	.amdhsa_kernel _ZN7rocprim17ROCPRIM_400000_NS6detail17trampoline_kernelINS0_14default_configENS1_38merge_sort_block_merge_config_selectorIN3c104HalfElEEZZNS1_27merge_sort_block_merge_implIS3_PS6_N6thrust23THRUST_200600_302600_NS10device_ptrIlEEmNSB_4lessIS6_EEEE10hipError_tT0_T1_T2_jT3_P12ihipStream_tbPNSt15iterator_traitsISH_E10value_typeEPNSN_ISI_E10value_typeEPSJ_NS1_7vsmem_tEENKUlT_SH_SI_SJ_E_clIS9_S9_PlSD_EESG_SW_SH_SI_SJ_EUlSW_E_NS1_11comp_targetILNS1_3genE2ELNS1_11target_archE906ELNS1_3gpuE6ELNS1_3repE0EEENS1_48merge_mergepath_partition_config_static_selectorELNS0_4arch9wavefront6targetE1EEEvSI_
		.amdhsa_group_segment_fixed_size 0
		.amdhsa_private_segment_fixed_size 0
		.amdhsa_kernarg_size 48
		.amdhsa_user_sgpr_count 6
		.amdhsa_user_sgpr_private_segment_buffer 1
		.amdhsa_user_sgpr_dispatch_ptr 0
		.amdhsa_user_sgpr_queue_ptr 0
		.amdhsa_user_sgpr_kernarg_segment_ptr 1
		.amdhsa_user_sgpr_dispatch_id 0
		.amdhsa_user_sgpr_flat_scratch_init 0
		.amdhsa_user_sgpr_kernarg_preload_length 0
		.amdhsa_user_sgpr_kernarg_preload_offset 0
		.amdhsa_user_sgpr_private_segment_size 0
		.amdhsa_uses_dynamic_stack 0
		.amdhsa_system_sgpr_private_segment_wavefront_offset 0
		.amdhsa_system_sgpr_workgroup_id_x 1
		.amdhsa_system_sgpr_workgroup_id_y 0
		.amdhsa_system_sgpr_workgroup_id_z 0
		.amdhsa_system_sgpr_workgroup_info 0
		.amdhsa_system_vgpr_workitem_id 0
		.amdhsa_next_free_vgpr 1
		.amdhsa_next_free_sgpr 0
		.amdhsa_accum_offset 4
		.amdhsa_reserve_vcc 0
		.amdhsa_reserve_flat_scratch 0
		.amdhsa_float_round_mode_32 0
		.amdhsa_float_round_mode_16_64 0
		.amdhsa_float_denorm_mode_32 3
		.amdhsa_float_denorm_mode_16_64 3
		.amdhsa_dx10_clamp 1
		.amdhsa_ieee_mode 1
		.amdhsa_fp16_overflow 0
		.amdhsa_tg_split 0
		.amdhsa_exception_fp_ieee_invalid_op 0
		.amdhsa_exception_fp_denorm_src 0
		.amdhsa_exception_fp_ieee_div_zero 0
		.amdhsa_exception_fp_ieee_overflow 0
		.amdhsa_exception_fp_ieee_underflow 0
		.amdhsa_exception_fp_ieee_inexact 0
		.amdhsa_exception_int_div_zero 0
	.end_amdhsa_kernel
	.section	.text._ZN7rocprim17ROCPRIM_400000_NS6detail17trampoline_kernelINS0_14default_configENS1_38merge_sort_block_merge_config_selectorIN3c104HalfElEEZZNS1_27merge_sort_block_merge_implIS3_PS6_N6thrust23THRUST_200600_302600_NS10device_ptrIlEEmNSB_4lessIS6_EEEE10hipError_tT0_T1_T2_jT3_P12ihipStream_tbPNSt15iterator_traitsISH_E10value_typeEPNSN_ISI_E10value_typeEPSJ_NS1_7vsmem_tEENKUlT_SH_SI_SJ_E_clIS9_S9_PlSD_EESG_SW_SH_SI_SJ_EUlSW_E_NS1_11comp_targetILNS1_3genE2ELNS1_11target_archE906ELNS1_3gpuE6ELNS1_3repE0EEENS1_48merge_mergepath_partition_config_static_selectorELNS0_4arch9wavefront6targetE1EEEvSI_,"axG",@progbits,_ZN7rocprim17ROCPRIM_400000_NS6detail17trampoline_kernelINS0_14default_configENS1_38merge_sort_block_merge_config_selectorIN3c104HalfElEEZZNS1_27merge_sort_block_merge_implIS3_PS6_N6thrust23THRUST_200600_302600_NS10device_ptrIlEEmNSB_4lessIS6_EEEE10hipError_tT0_T1_T2_jT3_P12ihipStream_tbPNSt15iterator_traitsISH_E10value_typeEPNSN_ISI_E10value_typeEPSJ_NS1_7vsmem_tEENKUlT_SH_SI_SJ_E_clIS9_S9_PlSD_EESG_SW_SH_SI_SJ_EUlSW_E_NS1_11comp_targetILNS1_3genE2ELNS1_11target_archE906ELNS1_3gpuE6ELNS1_3repE0EEENS1_48merge_mergepath_partition_config_static_selectorELNS0_4arch9wavefront6targetE1EEEvSI_,comdat
.Lfunc_end2131:
	.size	_ZN7rocprim17ROCPRIM_400000_NS6detail17trampoline_kernelINS0_14default_configENS1_38merge_sort_block_merge_config_selectorIN3c104HalfElEEZZNS1_27merge_sort_block_merge_implIS3_PS6_N6thrust23THRUST_200600_302600_NS10device_ptrIlEEmNSB_4lessIS6_EEEE10hipError_tT0_T1_T2_jT3_P12ihipStream_tbPNSt15iterator_traitsISH_E10value_typeEPNSN_ISI_E10value_typeEPSJ_NS1_7vsmem_tEENKUlT_SH_SI_SJ_E_clIS9_S9_PlSD_EESG_SW_SH_SI_SJ_EUlSW_E_NS1_11comp_targetILNS1_3genE2ELNS1_11target_archE906ELNS1_3gpuE6ELNS1_3repE0EEENS1_48merge_mergepath_partition_config_static_selectorELNS0_4arch9wavefront6targetE1EEEvSI_, .Lfunc_end2131-_ZN7rocprim17ROCPRIM_400000_NS6detail17trampoline_kernelINS0_14default_configENS1_38merge_sort_block_merge_config_selectorIN3c104HalfElEEZZNS1_27merge_sort_block_merge_implIS3_PS6_N6thrust23THRUST_200600_302600_NS10device_ptrIlEEmNSB_4lessIS6_EEEE10hipError_tT0_T1_T2_jT3_P12ihipStream_tbPNSt15iterator_traitsISH_E10value_typeEPNSN_ISI_E10value_typeEPSJ_NS1_7vsmem_tEENKUlT_SH_SI_SJ_E_clIS9_S9_PlSD_EESG_SW_SH_SI_SJ_EUlSW_E_NS1_11comp_targetILNS1_3genE2ELNS1_11target_archE906ELNS1_3gpuE6ELNS1_3repE0EEENS1_48merge_mergepath_partition_config_static_selectorELNS0_4arch9wavefront6targetE1EEEvSI_
                                        ; -- End function
	.section	.AMDGPU.csdata,"",@progbits
; Kernel info:
; codeLenInByte = 0
; NumSgprs: 4
; NumVgprs: 0
; NumAgprs: 0
; TotalNumVgprs: 0
; ScratchSize: 0
; MemoryBound: 0
; FloatMode: 240
; IeeeMode: 1
; LDSByteSize: 0 bytes/workgroup (compile time only)
; SGPRBlocks: 0
; VGPRBlocks: 0
; NumSGPRsForWavesPerEU: 4
; NumVGPRsForWavesPerEU: 1
; AccumOffset: 4
; Occupancy: 8
; WaveLimiterHint : 0
; COMPUTE_PGM_RSRC2:SCRATCH_EN: 0
; COMPUTE_PGM_RSRC2:USER_SGPR: 6
; COMPUTE_PGM_RSRC2:TRAP_HANDLER: 0
; COMPUTE_PGM_RSRC2:TGID_X_EN: 1
; COMPUTE_PGM_RSRC2:TGID_Y_EN: 0
; COMPUTE_PGM_RSRC2:TGID_Z_EN: 0
; COMPUTE_PGM_RSRC2:TIDIG_COMP_CNT: 0
; COMPUTE_PGM_RSRC3_GFX90A:ACCUM_OFFSET: 0
; COMPUTE_PGM_RSRC3_GFX90A:TG_SPLIT: 0
	.section	.text._ZN7rocprim17ROCPRIM_400000_NS6detail17trampoline_kernelINS0_14default_configENS1_38merge_sort_block_merge_config_selectorIN3c104HalfElEEZZNS1_27merge_sort_block_merge_implIS3_PS6_N6thrust23THRUST_200600_302600_NS10device_ptrIlEEmNSB_4lessIS6_EEEE10hipError_tT0_T1_T2_jT3_P12ihipStream_tbPNSt15iterator_traitsISH_E10value_typeEPNSN_ISI_E10value_typeEPSJ_NS1_7vsmem_tEENKUlT_SH_SI_SJ_E_clIS9_S9_PlSD_EESG_SW_SH_SI_SJ_EUlSW_E_NS1_11comp_targetILNS1_3genE9ELNS1_11target_archE1100ELNS1_3gpuE3ELNS1_3repE0EEENS1_48merge_mergepath_partition_config_static_selectorELNS0_4arch9wavefront6targetE1EEEvSI_,"axG",@progbits,_ZN7rocprim17ROCPRIM_400000_NS6detail17trampoline_kernelINS0_14default_configENS1_38merge_sort_block_merge_config_selectorIN3c104HalfElEEZZNS1_27merge_sort_block_merge_implIS3_PS6_N6thrust23THRUST_200600_302600_NS10device_ptrIlEEmNSB_4lessIS6_EEEE10hipError_tT0_T1_T2_jT3_P12ihipStream_tbPNSt15iterator_traitsISH_E10value_typeEPNSN_ISI_E10value_typeEPSJ_NS1_7vsmem_tEENKUlT_SH_SI_SJ_E_clIS9_S9_PlSD_EESG_SW_SH_SI_SJ_EUlSW_E_NS1_11comp_targetILNS1_3genE9ELNS1_11target_archE1100ELNS1_3gpuE3ELNS1_3repE0EEENS1_48merge_mergepath_partition_config_static_selectorELNS0_4arch9wavefront6targetE1EEEvSI_,comdat
	.protected	_ZN7rocprim17ROCPRIM_400000_NS6detail17trampoline_kernelINS0_14default_configENS1_38merge_sort_block_merge_config_selectorIN3c104HalfElEEZZNS1_27merge_sort_block_merge_implIS3_PS6_N6thrust23THRUST_200600_302600_NS10device_ptrIlEEmNSB_4lessIS6_EEEE10hipError_tT0_T1_T2_jT3_P12ihipStream_tbPNSt15iterator_traitsISH_E10value_typeEPNSN_ISI_E10value_typeEPSJ_NS1_7vsmem_tEENKUlT_SH_SI_SJ_E_clIS9_S9_PlSD_EESG_SW_SH_SI_SJ_EUlSW_E_NS1_11comp_targetILNS1_3genE9ELNS1_11target_archE1100ELNS1_3gpuE3ELNS1_3repE0EEENS1_48merge_mergepath_partition_config_static_selectorELNS0_4arch9wavefront6targetE1EEEvSI_ ; -- Begin function _ZN7rocprim17ROCPRIM_400000_NS6detail17trampoline_kernelINS0_14default_configENS1_38merge_sort_block_merge_config_selectorIN3c104HalfElEEZZNS1_27merge_sort_block_merge_implIS3_PS6_N6thrust23THRUST_200600_302600_NS10device_ptrIlEEmNSB_4lessIS6_EEEE10hipError_tT0_T1_T2_jT3_P12ihipStream_tbPNSt15iterator_traitsISH_E10value_typeEPNSN_ISI_E10value_typeEPSJ_NS1_7vsmem_tEENKUlT_SH_SI_SJ_E_clIS9_S9_PlSD_EESG_SW_SH_SI_SJ_EUlSW_E_NS1_11comp_targetILNS1_3genE9ELNS1_11target_archE1100ELNS1_3gpuE3ELNS1_3repE0EEENS1_48merge_mergepath_partition_config_static_selectorELNS0_4arch9wavefront6targetE1EEEvSI_
	.globl	_ZN7rocprim17ROCPRIM_400000_NS6detail17trampoline_kernelINS0_14default_configENS1_38merge_sort_block_merge_config_selectorIN3c104HalfElEEZZNS1_27merge_sort_block_merge_implIS3_PS6_N6thrust23THRUST_200600_302600_NS10device_ptrIlEEmNSB_4lessIS6_EEEE10hipError_tT0_T1_T2_jT3_P12ihipStream_tbPNSt15iterator_traitsISH_E10value_typeEPNSN_ISI_E10value_typeEPSJ_NS1_7vsmem_tEENKUlT_SH_SI_SJ_E_clIS9_S9_PlSD_EESG_SW_SH_SI_SJ_EUlSW_E_NS1_11comp_targetILNS1_3genE9ELNS1_11target_archE1100ELNS1_3gpuE3ELNS1_3repE0EEENS1_48merge_mergepath_partition_config_static_selectorELNS0_4arch9wavefront6targetE1EEEvSI_
	.p2align	8
	.type	_ZN7rocprim17ROCPRIM_400000_NS6detail17trampoline_kernelINS0_14default_configENS1_38merge_sort_block_merge_config_selectorIN3c104HalfElEEZZNS1_27merge_sort_block_merge_implIS3_PS6_N6thrust23THRUST_200600_302600_NS10device_ptrIlEEmNSB_4lessIS6_EEEE10hipError_tT0_T1_T2_jT3_P12ihipStream_tbPNSt15iterator_traitsISH_E10value_typeEPNSN_ISI_E10value_typeEPSJ_NS1_7vsmem_tEENKUlT_SH_SI_SJ_E_clIS9_S9_PlSD_EESG_SW_SH_SI_SJ_EUlSW_E_NS1_11comp_targetILNS1_3genE9ELNS1_11target_archE1100ELNS1_3gpuE3ELNS1_3repE0EEENS1_48merge_mergepath_partition_config_static_selectorELNS0_4arch9wavefront6targetE1EEEvSI_,@function
_ZN7rocprim17ROCPRIM_400000_NS6detail17trampoline_kernelINS0_14default_configENS1_38merge_sort_block_merge_config_selectorIN3c104HalfElEEZZNS1_27merge_sort_block_merge_implIS3_PS6_N6thrust23THRUST_200600_302600_NS10device_ptrIlEEmNSB_4lessIS6_EEEE10hipError_tT0_T1_T2_jT3_P12ihipStream_tbPNSt15iterator_traitsISH_E10value_typeEPNSN_ISI_E10value_typeEPSJ_NS1_7vsmem_tEENKUlT_SH_SI_SJ_E_clIS9_S9_PlSD_EESG_SW_SH_SI_SJ_EUlSW_E_NS1_11comp_targetILNS1_3genE9ELNS1_11target_archE1100ELNS1_3gpuE3ELNS1_3repE0EEENS1_48merge_mergepath_partition_config_static_selectorELNS0_4arch9wavefront6targetE1EEEvSI_: ; @_ZN7rocprim17ROCPRIM_400000_NS6detail17trampoline_kernelINS0_14default_configENS1_38merge_sort_block_merge_config_selectorIN3c104HalfElEEZZNS1_27merge_sort_block_merge_implIS3_PS6_N6thrust23THRUST_200600_302600_NS10device_ptrIlEEmNSB_4lessIS6_EEEE10hipError_tT0_T1_T2_jT3_P12ihipStream_tbPNSt15iterator_traitsISH_E10value_typeEPNSN_ISI_E10value_typeEPSJ_NS1_7vsmem_tEENKUlT_SH_SI_SJ_E_clIS9_S9_PlSD_EESG_SW_SH_SI_SJ_EUlSW_E_NS1_11comp_targetILNS1_3genE9ELNS1_11target_archE1100ELNS1_3gpuE3ELNS1_3repE0EEENS1_48merge_mergepath_partition_config_static_selectorELNS0_4arch9wavefront6targetE1EEEvSI_
; %bb.0:
	.section	.rodata,"a",@progbits
	.p2align	6, 0x0
	.amdhsa_kernel _ZN7rocprim17ROCPRIM_400000_NS6detail17trampoline_kernelINS0_14default_configENS1_38merge_sort_block_merge_config_selectorIN3c104HalfElEEZZNS1_27merge_sort_block_merge_implIS3_PS6_N6thrust23THRUST_200600_302600_NS10device_ptrIlEEmNSB_4lessIS6_EEEE10hipError_tT0_T1_T2_jT3_P12ihipStream_tbPNSt15iterator_traitsISH_E10value_typeEPNSN_ISI_E10value_typeEPSJ_NS1_7vsmem_tEENKUlT_SH_SI_SJ_E_clIS9_S9_PlSD_EESG_SW_SH_SI_SJ_EUlSW_E_NS1_11comp_targetILNS1_3genE9ELNS1_11target_archE1100ELNS1_3gpuE3ELNS1_3repE0EEENS1_48merge_mergepath_partition_config_static_selectorELNS0_4arch9wavefront6targetE1EEEvSI_
		.amdhsa_group_segment_fixed_size 0
		.amdhsa_private_segment_fixed_size 0
		.amdhsa_kernarg_size 48
		.amdhsa_user_sgpr_count 6
		.amdhsa_user_sgpr_private_segment_buffer 1
		.amdhsa_user_sgpr_dispatch_ptr 0
		.amdhsa_user_sgpr_queue_ptr 0
		.amdhsa_user_sgpr_kernarg_segment_ptr 1
		.amdhsa_user_sgpr_dispatch_id 0
		.amdhsa_user_sgpr_flat_scratch_init 0
		.amdhsa_user_sgpr_kernarg_preload_length 0
		.amdhsa_user_sgpr_kernarg_preload_offset 0
		.amdhsa_user_sgpr_private_segment_size 0
		.amdhsa_uses_dynamic_stack 0
		.amdhsa_system_sgpr_private_segment_wavefront_offset 0
		.amdhsa_system_sgpr_workgroup_id_x 1
		.amdhsa_system_sgpr_workgroup_id_y 0
		.amdhsa_system_sgpr_workgroup_id_z 0
		.amdhsa_system_sgpr_workgroup_info 0
		.amdhsa_system_vgpr_workitem_id 0
		.amdhsa_next_free_vgpr 1
		.amdhsa_next_free_sgpr 0
		.amdhsa_accum_offset 4
		.amdhsa_reserve_vcc 0
		.amdhsa_reserve_flat_scratch 0
		.amdhsa_float_round_mode_32 0
		.amdhsa_float_round_mode_16_64 0
		.amdhsa_float_denorm_mode_32 3
		.amdhsa_float_denorm_mode_16_64 3
		.amdhsa_dx10_clamp 1
		.amdhsa_ieee_mode 1
		.amdhsa_fp16_overflow 0
		.amdhsa_tg_split 0
		.amdhsa_exception_fp_ieee_invalid_op 0
		.amdhsa_exception_fp_denorm_src 0
		.amdhsa_exception_fp_ieee_div_zero 0
		.amdhsa_exception_fp_ieee_overflow 0
		.amdhsa_exception_fp_ieee_underflow 0
		.amdhsa_exception_fp_ieee_inexact 0
		.amdhsa_exception_int_div_zero 0
	.end_amdhsa_kernel
	.section	.text._ZN7rocprim17ROCPRIM_400000_NS6detail17trampoline_kernelINS0_14default_configENS1_38merge_sort_block_merge_config_selectorIN3c104HalfElEEZZNS1_27merge_sort_block_merge_implIS3_PS6_N6thrust23THRUST_200600_302600_NS10device_ptrIlEEmNSB_4lessIS6_EEEE10hipError_tT0_T1_T2_jT3_P12ihipStream_tbPNSt15iterator_traitsISH_E10value_typeEPNSN_ISI_E10value_typeEPSJ_NS1_7vsmem_tEENKUlT_SH_SI_SJ_E_clIS9_S9_PlSD_EESG_SW_SH_SI_SJ_EUlSW_E_NS1_11comp_targetILNS1_3genE9ELNS1_11target_archE1100ELNS1_3gpuE3ELNS1_3repE0EEENS1_48merge_mergepath_partition_config_static_selectorELNS0_4arch9wavefront6targetE1EEEvSI_,"axG",@progbits,_ZN7rocprim17ROCPRIM_400000_NS6detail17trampoline_kernelINS0_14default_configENS1_38merge_sort_block_merge_config_selectorIN3c104HalfElEEZZNS1_27merge_sort_block_merge_implIS3_PS6_N6thrust23THRUST_200600_302600_NS10device_ptrIlEEmNSB_4lessIS6_EEEE10hipError_tT0_T1_T2_jT3_P12ihipStream_tbPNSt15iterator_traitsISH_E10value_typeEPNSN_ISI_E10value_typeEPSJ_NS1_7vsmem_tEENKUlT_SH_SI_SJ_E_clIS9_S9_PlSD_EESG_SW_SH_SI_SJ_EUlSW_E_NS1_11comp_targetILNS1_3genE9ELNS1_11target_archE1100ELNS1_3gpuE3ELNS1_3repE0EEENS1_48merge_mergepath_partition_config_static_selectorELNS0_4arch9wavefront6targetE1EEEvSI_,comdat
.Lfunc_end2132:
	.size	_ZN7rocprim17ROCPRIM_400000_NS6detail17trampoline_kernelINS0_14default_configENS1_38merge_sort_block_merge_config_selectorIN3c104HalfElEEZZNS1_27merge_sort_block_merge_implIS3_PS6_N6thrust23THRUST_200600_302600_NS10device_ptrIlEEmNSB_4lessIS6_EEEE10hipError_tT0_T1_T2_jT3_P12ihipStream_tbPNSt15iterator_traitsISH_E10value_typeEPNSN_ISI_E10value_typeEPSJ_NS1_7vsmem_tEENKUlT_SH_SI_SJ_E_clIS9_S9_PlSD_EESG_SW_SH_SI_SJ_EUlSW_E_NS1_11comp_targetILNS1_3genE9ELNS1_11target_archE1100ELNS1_3gpuE3ELNS1_3repE0EEENS1_48merge_mergepath_partition_config_static_selectorELNS0_4arch9wavefront6targetE1EEEvSI_, .Lfunc_end2132-_ZN7rocprim17ROCPRIM_400000_NS6detail17trampoline_kernelINS0_14default_configENS1_38merge_sort_block_merge_config_selectorIN3c104HalfElEEZZNS1_27merge_sort_block_merge_implIS3_PS6_N6thrust23THRUST_200600_302600_NS10device_ptrIlEEmNSB_4lessIS6_EEEE10hipError_tT0_T1_T2_jT3_P12ihipStream_tbPNSt15iterator_traitsISH_E10value_typeEPNSN_ISI_E10value_typeEPSJ_NS1_7vsmem_tEENKUlT_SH_SI_SJ_E_clIS9_S9_PlSD_EESG_SW_SH_SI_SJ_EUlSW_E_NS1_11comp_targetILNS1_3genE9ELNS1_11target_archE1100ELNS1_3gpuE3ELNS1_3repE0EEENS1_48merge_mergepath_partition_config_static_selectorELNS0_4arch9wavefront6targetE1EEEvSI_
                                        ; -- End function
	.section	.AMDGPU.csdata,"",@progbits
; Kernel info:
; codeLenInByte = 0
; NumSgprs: 4
; NumVgprs: 0
; NumAgprs: 0
; TotalNumVgprs: 0
; ScratchSize: 0
; MemoryBound: 0
; FloatMode: 240
; IeeeMode: 1
; LDSByteSize: 0 bytes/workgroup (compile time only)
; SGPRBlocks: 0
; VGPRBlocks: 0
; NumSGPRsForWavesPerEU: 4
; NumVGPRsForWavesPerEU: 1
; AccumOffset: 4
; Occupancy: 8
; WaveLimiterHint : 0
; COMPUTE_PGM_RSRC2:SCRATCH_EN: 0
; COMPUTE_PGM_RSRC2:USER_SGPR: 6
; COMPUTE_PGM_RSRC2:TRAP_HANDLER: 0
; COMPUTE_PGM_RSRC2:TGID_X_EN: 1
; COMPUTE_PGM_RSRC2:TGID_Y_EN: 0
; COMPUTE_PGM_RSRC2:TGID_Z_EN: 0
; COMPUTE_PGM_RSRC2:TIDIG_COMP_CNT: 0
; COMPUTE_PGM_RSRC3_GFX90A:ACCUM_OFFSET: 0
; COMPUTE_PGM_RSRC3_GFX90A:TG_SPLIT: 0
	.section	.text._ZN7rocprim17ROCPRIM_400000_NS6detail17trampoline_kernelINS0_14default_configENS1_38merge_sort_block_merge_config_selectorIN3c104HalfElEEZZNS1_27merge_sort_block_merge_implIS3_PS6_N6thrust23THRUST_200600_302600_NS10device_ptrIlEEmNSB_4lessIS6_EEEE10hipError_tT0_T1_T2_jT3_P12ihipStream_tbPNSt15iterator_traitsISH_E10value_typeEPNSN_ISI_E10value_typeEPSJ_NS1_7vsmem_tEENKUlT_SH_SI_SJ_E_clIS9_S9_PlSD_EESG_SW_SH_SI_SJ_EUlSW_E_NS1_11comp_targetILNS1_3genE8ELNS1_11target_archE1030ELNS1_3gpuE2ELNS1_3repE0EEENS1_48merge_mergepath_partition_config_static_selectorELNS0_4arch9wavefront6targetE1EEEvSI_,"axG",@progbits,_ZN7rocprim17ROCPRIM_400000_NS6detail17trampoline_kernelINS0_14default_configENS1_38merge_sort_block_merge_config_selectorIN3c104HalfElEEZZNS1_27merge_sort_block_merge_implIS3_PS6_N6thrust23THRUST_200600_302600_NS10device_ptrIlEEmNSB_4lessIS6_EEEE10hipError_tT0_T1_T2_jT3_P12ihipStream_tbPNSt15iterator_traitsISH_E10value_typeEPNSN_ISI_E10value_typeEPSJ_NS1_7vsmem_tEENKUlT_SH_SI_SJ_E_clIS9_S9_PlSD_EESG_SW_SH_SI_SJ_EUlSW_E_NS1_11comp_targetILNS1_3genE8ELNS1_11target_archE1030ELNS1_3gpuE2ELNS1_3repE0EEENS1_48merge_mergepath_partition_config_static_selectorELNS0_4arch9wavefront6targetE1EEEvSI_,comdat
	.protected	_ZN7rocprim17ROCPRIM_400000_NS6detail17trampoline_kernelINS0_14default_configENS1_38merge_sort_block_merge_config_selectorIN3c104HalfElEEZZNS1_27merge_sort_block_merge_implIS3_PS6_N6thrust23THRUST_200600_302600_NS10device_ptrIlEEmNSB_4lessIS6_EEEE10hipError_tT0_T1_T2_jT3_P12ihipStream_tbPNSt15iterator_traitsISH_E10value_typeEPNSN_ISI_E10value_typeEPSJ_NS1_7vsmem_tEENKUlT_SH_SI_SJ_E_clIS9_S9_PlSD_EESG_SW_SH_SI_SJ_EUlSW_E_NS1_11comp_targetILNS1_3genE8ELNS1_11target_archE1030ELNS1_3gpuE2ELNS1_3repE0EEENS1_48merge_mergepath_partition_config_static_selectorELNS0_4arch9wavefront6targetE1EEEvSI_ ; -- Begin function _ZN7rocprim17ROCPRIM_400000_NS6detail17trampoline_kernelINS0_14default_configENS1_38merge_sort_block_merge_config_selectorIN3c104HalfElEEZZNS1_27merge_sort_block_merge_implIS3_PS6_N6thrust23THRUST_200600_302600_NS10device_ptrIlEEmNSB_4lessIS6_EEEE10hipError_tT0_T1_T2_jT3_P12ihipStream_tbPNSt15iterator_traitsISH_E10value_typeEPNSN_ISI_E10value_typeEPSJ_NS1_7vsmem_tEENKUlT_SH_SI_SJ_E_clIS9_S9_PlSD_EESG_SW_SH_SI_SJ_EUlSW_E_NS1_11comp_targetILNS1_3genE8ELNS1_11target_archE1030ELNS1_3gpuE2ELNS1_3repE0EEENS1_48merge_mergepath_partition_config_static_selectorELNS0_4arch9wavefront6targetE1EEEvSI_
	.globl	_ZN7rocprim17ROCPRIM_400000_NS6detail17trampoline_kernelINS0_14default_configENS1_38merge_sort_block_merge_config_selectorIN3c104HalfElEEZZNS1_27merge_sort_block_merge_implIS3_PS6_N6thrust23THRUST_200600_302600_NS10device_ptrIlEEmNSB_4lessIS6_EEEE10hipError_tT0_T1_T2_jT3_P12ihipStream_tbPNSt15iterator_traitsISH_E10value_typeEPNSN_ISI_E10value_typeEPSJ_NS1_7vsmem_tEENKUlT_SH_SI_SJ_E_clIS9_S9_PlSD_EESG_SW_SH_SI_SJ_EUlSW_E_NS1_11comp_targetILNS1_3genE8ELNS1_11target_archE1030ELNS1_3gpuE2ELNS1_3repE0EEENS1_48merge_mergepath_partition_config_static_selectorELNS0_4arch9wavefront6targetE1EEEvSI_
	.p2align	8
	.type	_ZN7rocprim17ROCPRIM_400000_NS6detail17trampoline_kernelINS0_14default_configENS1_38merge_sort_block_merge_config_selectorIN3c104HalfElEEZZNS1_27merge_sort_block_merge_implIS3_PS6_N6thrust23THRUST_200600_302600_NS10device_ptrIlEEmNSB_4lessIS6_EEEE10hipError_tT0_T1_T2_jT3_P12ihipStream_tbPNSt15iterator_traitsISH_E10value_typeEPNSN_ISI_E10value_typeEPSJ_NS1_7vsmem_tEENKUlT_SH_SI_SJ_E_clIS9_S9_PlSD_EESG_SW_SH_SI_SJ_EUlSW_E_NS1_11comp_targetILNS1_3genE8ELNS1_11target_archE1030ELNS1_3gpuE2ELNS1_3repE0EEENS1_48merge_mergepath_partition_config_static_selectorELNS0_4arch9wavefront6targetE1EEEvSI_,@function
_ZN7rocprim17ROCPRIM_400000_NS6detail17trampoline_kernelINS0_14default_configENS1_38merge_sort_block_merge_config_selectorIN3c104HalfElEEZZNS1_27merge_sort_block_merge_implIS3_PS6_N6thrust23THRUST_200600_302600_NS10device_ptrIlEEmNSB_4lessIS6_EEEE10hipError_tT0_T1_T2_jT3_P12ihipStream_tbPNSt15iterator_traitsISH_E10value_typeEPNSN_ISI_E10value_typeEPSJ_NS1_7vsmem_tEENKUlT_SH_SI_SJ_E_clIS9_S9_PlSD_EESG_SW_SH_SI_SJ_EUlSW_E_NS1_11comp_targetILNS1_3genE8ELNS1_11target_archE1030ELNS1_3gpuE2ELNS1_3repE0EEENS1_48merge_mergepath_partition_config_static_selectorELNS0_4arch9wavefront6targetE1EEEvSI_: ; @_ZN7rocprim17ROCPRIM_400000_NS6detail17trampoline_kernelINS0_14default_configENS1_38merge_sort_block_merge_config_selectorIN3c104HalfElEEZZNS1_27merge_sort_block_merge_implIS3_PS6_N6thrust23THRUST_200600_302600_NS10device_ptrIlEEmNSB_4lessIS6_EEEE10hipError_tT0_T1_T2_jT3_P12ihipStream_tbPNSt15iterator_traitsISH_E10value_typeEPNSN_ISI_E10value_typeEPSJ_NS1_7vsmem_tEENKUlT_SH_SI_SJ_E_clIS9_S9_PlSD_EESG_SW_SH_SI_SJ_EUlSW_E_NS1_11comp_targetILNS1_3genE8ELNS1_11target_archE1030ELNS1_3gpuE2ELNS1_3repE0EEENS1_48merge_mergepath_partition_config_static_selectorELNS0_4arch9wavefront6targetE1EEEvSI_
; %bb.0:
	.section	.rodata,"a",@progbits
	.p2align	6, 0x0
	.amdhsa_kernel _ZN7rocprim17ROCPRIM_400000_NS6detail17trampoline_kernelINS0_14default_configENS1_38merge_sort_block_merge_config_selectorIN3c104HalfElEEZZNS1_27merge_sort_block_merge_implIS3_PS6_N6thrust23THRUST_200600_302600_NS10device_ptrIlEEmNSB_4lessIS6_EEEE10hipError_tT0_T1_T2_jT3_P12ihipStream_tbPNSt15iterator_traitsISH_E10value_typeEPNSN_ISI_E10value_typeEPSJ_NS1_7vsmem_tEENKUlT_SH_SI_SJ_E_clIS9_S9_PlSD_EESG_SW_SH_SI_SJ_EUlSW_E_NS1_11comp_targetILNS1_3genE8ELNS1_11target_archE1030ELNS1_3gpuE2ELNS1_3repE0EEENS1_48merge_mergepath_partition_config_static_selectorELNS0_4arch9wavefront6targetE1EEEvSI_
		.amdhsa_group_segment_fixed_size 0
		.amdhsa_private_segment_fixed_size 0
		.amdhsa_kernarg_size 48
		.amdhsa_user_sgpr_count 6
		.amdhsa_user_sgpr_private_segment_buffer 1
		.amdhsa_user_sgpr_dispatch_ptr 0
		.amdhsa_user_sgpr_queue_ptr 0
		.amdhsa_user_sgpr_kernarg_segment_ptr 1
		.amdhsa_user_sgpr_dispatch_id 0
		.amdhsa_user_sgpr_flat_scratch_init 0
		.amdhsa_user_sgpr_kernarg_preload_length 0
		.amdhsa_user_sgpr_kernarg_preload_offset 0
		.amdhsa_user_sgpr_private_segment_size 0
		.amdhsa_uses_dynamic_stack 0
		.amdhsa_system_sgpr_private_segment_wavefront_offset 0
		.amdhsa_system_sgpr_workgroup_id_x 1
		.amdhsa_system_sgpr_workgroup_id_y 0
		.amdhsa_system_sgpr_workgroup_id_z 0
		.amdhsa_system_sgpr_workgroup_info 0
		.amdhsa_system_vgpr_workitem_id 0
		.amdhsa_next_free_vgpr 1
		.amdhsa_next_free_sgpr 0
		.amdhsa_accum_offset 4
		.amdhsa_reserve_vcc 0
		.amdhsa_reserve_flat_scratch 0
		.amdhsa_float_round_mode_32 0
		.amdhsa_float_round_mode_16_64 0
		.amdhsa_float_denorm_mode_32 3
		.amdhsa_float_denorm_mode_16_64 3
		.amdhsa_dx10_clamp 1
		.amdhsa_ieee_mode 1
		.amdhsa_fp16_overflow 0
		.amdhsa_tg_split 0
		.amdhsa_exception_fp_ieee_invalid_op 0
		.amdhsa_exception_fp_denorm_src 0
		.amdhsa_exception_fp_ieee_div_zero 0
		.amdhsa_exception_fp_ieee_overflow 0
		.amdhsa_exception_fp_ieee_underflow 0
		.amdhsa_exception_fp_ieee_inexact 0
		.amdhsa_exception_int_div_zero 0
	.end_amdhsa_kernel
	.section	.text._ZN7rocprim17ROCPRIM_400000_NS6detail17trampoline_kernelINS0_14default_configENS1_38merge_sort_block_merge_config_selectorIN3c104HalfElEEZZNS1_27merge_sort_block_merge_implIS3_PS6_N6thrust23THRUST_200600_302600_NS10device_ptrIlEEmNSB_4lessIS6_EEEE10hipError_tT0_T1_T2_jT3_P12ihipStream_tbPNSt15iterator_traitsISH_E10value_typeEPNSN_ISI_E10value_typeEPSJ_NS1_7vsmem_tEENKUlT_SH_SI_SJ_E_clIS9_S9_PlSD_EESG_SW_SH_SI_SJ_EUlSW_E_NS1_11comp_targetILNS1_3genE8ELNS1_11target_archE1030ELNS1_3gpuE2ELNS1_3repE0EEENS1_48merge_mergepath_partition_config_static_selectorELNS0_4arch9wavefront6targetE1EEEvSI_,"axG",@progbits,_ZN7rocprim17ROCPRIM_400000_NS6detail17trampoline_kernelINS0_14default_configENS1_38merge_sort_block_merge_config_selectorIN3c104HalfElEEZZNS1_27merge_sort_block_merge_implIS3_PS6_N6thrust23THRUST_200600_302600_NS10device_ptrIlEEmNSB_4lessIS6_EEEE10hipError_tT0_T1_T2_jT3_P12ihipStream_tbPNSt15iterator_traitsISH_E10value_typeEPNSN_ISI_E10value_typeEPSJ_NS1_7vsmem_tEENKUlT_SH_SI_SJ_E_clIS9_S9_PlSD_EESG_SW_SH_SI_SJ_EUlSW_E_NS1_11comp_targetILNS1_3genE8ELNS1_11target_archE1030ELNS1_3gpuE2ELNS1_3repE0EEENS1_48merge_mergepath_partition_config_static_selectorELNS0_4arch9wavefront6targetE1EEEvSI_,comdat
.Lfunc_end2133:
	.size	_ZN7rocprim17ROCPRIM_400000_NS6detail17trampoline_kernelINS0_14default_configENS1_38merge_sort_block_merge_config_selectorIN3c104HalfElEEZZNS1_27merge_sort_block_merge_implIS3_PS6_N6thrust23THRUST_200600_302600_NS10device_ptrIlEEmNSB_4lessIS6_EEEE10hipError_tT0_T1_T2_jT3_P12ihipStream_tbPNSt15iterator_traitsISH_E10value_typeEPNSN_ISI_E10value_typeEPSJ_NS1_7vsmem_tEENKUlT_SH_SI_SJ_E_clIS9_S9_PlSD_EESG_SW_SH_SI_SJ_EUlSW_E_NS1_11comp_targetILNS1_3genE8ELNS1_11target_archE1030ELNS1_3gpuE2ELNS1_3repE0EEENS1_48merge_mergepath_partition_config_static_selectorELNS0_4arch9wavefront6targetE1EEEvSI_, .Lfunc_end2133-_ZN7rocprim17ROCPRIM_400000_NS6detail17trampoline_kernelINS0_14default_configENS1_38merge_sort_block_merge_config_selectorIN3c104HalfElEEZZNS1_27merge_sort_block_merge_implIS3_PS6_N6thrust23THRUST_200600_302600_NS10device_ptrIlEEmNSB_4lessIS6_EEEE10hipError_tT0_T1_T2_jT3_P12ihipStream_tbPNSt15iterator_traitsISH_E10value_typeEPNSN_ISI_E10value_typeEPSJ_NS1_7vsmem_tEENKUlT_SH_SI_SJ_E_clIS9_S9_PlSD_EESG_SW_SH_SI_SJ_EUlSW_E_NS1_11comp_targetILNS1_3genE8ELNS1_11target_archE1030ELNS1_3gpuE2ELNS1_3repE0EEENS1_48merge_mergepath_partition_config_static_selectorELNS0_4arch9wavefront6targetE1EEEvSI_
                                        ; -- End function
	.section	.AMDGPU.csdata,"",@progbits
; Kernel info:
; codeLenInByte = 0
; NumSgprs: 4
; NumVgprs: 0
; NumAgprs: 0
; TotalNumVgprs: 0
; ScratchSize: 0
; MemoryBound: 0
; FloatMode: 240
; IeeeMode: 1
; LDSByteSize: 0 bytes/workgroup (compile time only)
; SGPRBlocks: 0
; VGPRBlocks: 0
; NumSGPRsForWavesPerEU: 4
; NumVGPRsForWavesPerEU: 1
; AccumOffset: 4
; Occupancy: 8
; WaveLimiterHint : 0
; COMPUTE_PGM_RSRC2:SCRATCH_EN: 0
; COMPUTE_PGM_RSRC2:USER_SGPR: 6
; COMPUTE_PGM_RSRC2:TRAP_HANDLER: 0
; COMPUTE_PGM_RSRC2:TGID_X_EN: 1
; COMPUTE_PGM_RSRC2:TGID_Y_EN: 0
; COMPUTE_PGM_RSRC2:TGID_Z_EN: 0
; COMPUTE_PGM_RSRC2:TIDIG_COMP_CNT: 0
; COMPUTE_PGM_RSRC3_GFX90A:ACCUM_OFFSET: 0
; COMPUTE_PGM_RSRC3_GFX90A:TG_SPLIT: 0
	.section	.text._ZN7rocprim17ROCPRIM_400000_NS6detail17trampoline_kernelINS0_14default_configENS1_38merge_sort_block_merge_config_selectorIN3c104HalfElEEZZNS1_27merge_sort_block_merge_implIS3_PS6_N6thrust23THRUST_200600_302600_NS10device_ptrIlEEmNSB_4lessIS6_EEEE10hipError_tT0_T1_T2_jT3_P12ihipStream_tbPNSt15iterator_traitsISH_E10value_typeEPNSN_ISI_E10value_typeEPSJ_NS1_7vsmem_tEENKUlT_SH_SI_SJ_E_clIS9_S9_PlSD_EESG_SW_SH_SI_SJ_EUlSW_E0_NS1_11comp_targetILNS1_3genE0ELNS1_11target_archE4294967295ELNS1_3gpuE0ELNS1_3repE0EEENS1_38merge_mergepath_config_static_selectorELNS0_4arch9wavefront6targetE1EEEvSI_,"axG",@progbits,_ZN7rocprim17ROCPRIM_400000_NS6detail17trampoline_kernelINS0_14default_configENS1_38merge_sort_block_merge_config_selectorIN3c104HalfElEEZZNS1_27merge_sort_block_merge_implIS3_PS6_N6thrust23THRUST_200600_302600_NS10device_ptrIlEEmNSB_4lessIS6_EEEE10hipError_tT0_T1_T2_jT3_P12ihipStream_tbPNSt15iterator_traitsISH_E10value_typeEPNSN_ISI_E10value_typeEPSJ_NS1_7vsmem_tEENKUlT_SH_SI_SJ_E_clIS9_S9_PlSD_EESG_SW_SH_SI_SJ_EUlSW_E0_NS1_11comp_targetILNS1_3genE0ELNS1_11target_archE4294967295ELNS1_3gpuE0ELNS1_3repE0EEENS1_38merge_mergepath_config_static_selectorELNS0_4arch9wavefront6targetE1EEEvSI_,comdat
	.protected	_ZN7rocprim17ROCPRIM_400000_NS6detail17trampoline_kernelINS0_14default_configENS1_38merge_sort_block_merge_config_selectorIN3c104HalfElEEZZNS1_27merge_sort_block_merge_implIS3_PS6_N6thrust23THRUST_200600_302600_NS10device_ptrIlEEmNSB_4lessIS6_EEEE10hipError_tT0_T1_T2_jT3_P12ihipStream_tbPNSt15iterator_traitsISH_E10value_typeEPNSN_ISI_E10value_typeEPSJ_NS1_7vsmem_tEENKUlT_SH_SI_SJ_E_clIS9_S9_PlSD_EESG_SW_SH_SI_SJ_EUlSW_E0_NS1_11comp_targetILNS1_3genE0ELNS1_11target_archE4294967295ELNS1_3gpuE0ELNS1_3repE0EEENS1_38merge_mergepath_config_static_selectorELNS0_4arch9wavefront6targetE1EEEvSI_ ; -- Begin function _ZN7rocprim17ROCPRIM_400000_NS6detail17trampoline_kernelINS0_14default_configENS1_38merge_sort_block_merge_config_selectorIN3c104HalfElEEZZNS1_27merge_sort_block_merge_implIS3_PS6_N6thrust23THRUST_200600_302600_NS10device_ptrIlEEmNSB_4lessIS6_EEEE10hipError_tT0_T1_T2_jT3_P12ihipStream_tbPNSt15iterator_traitsISH_E10value_typeEPNSN_ISI_E10value_typeEPSJ_NS1_7vsmem_tEENKUlT_SH_SI_SJ_E_clIS9_S9_PlSD_EESG_SW_SH_SI_SJ_EUlSW_E0_NS1_11comp_targetILNS1_3genE0ELNS1_11target_archE4294967295ELNS1_3gpuE0ELNS1_3repE0EEENS1_38merge_mergepath_config_static_selectorELNS0_4arch9wavefront6targetE1EEEvSI_
	.globl	_ZN7rocprim17ROCPRIM_400000_NS6detail17trampoline_kernelINS0_14default_configENS1_38merge_sort_block_merge_config_selectorIN3c104HalfElEEZZNS1_27merge_sort_block_merge_implIS3_PS6_N6thrust23THRUST_200600_302600_NS10device_ptrIlEEmNSB_4lessIS6_EEEE10hipError_tT0_T1_T2_jT3_P12ihipStream_tbPNSt15iterator_traitsISH_E10value_typeEPNSN_ISI_E10value_typeEPSJ_NS1_7vsmem_tEENKUlT_SH_SI_SJ_E_clIS9_S9_PlSD_EESG_SW_SH_SI_SJ_EUlSW_E0_NS1_11comp_targetILNS1_3genE0ELNS1_11target_archE4294967295ELNS1_3gpuE0ELNS1_3repE0EEENS1_38merge_mergepath_config_static_selectorELNS0_4arch9wavefront6targetE1EEEvSI_
	.p2align	8
	.type	_ZN7rocprim17ROCPRIM_400000_NS6detail17trampoline_kernelINS0_14default_configENS1_38merge_sort_block_merge_config_selectorIN3c104HalfElEEZZNS1_27merge_sort_block_merge_implIS3_PS6_N6thrust23THRUST_200600_302600_NS10device_ptrIlEEmNSB_4lessIS6_EEEE10hipError_tT0_T1_T2_jT3_P12ihipStream_tbPNSt15iterator_traitsISH_E10value_typeEPNSN_ISI_E10value_typeEPSJ_NS1_7vsmem_tEENKUlT_SH_SI_SJ_E_clIS9_S9_PlSD_EESG_SW_SH_SI_SJ_EUlSW_E0_NS1_11comp_targetILNS1_3genE0ELNS1_11target_archE4294967295ELNS1_3gpuE0ELNS1_3repE0EEENS1_38merge_mergepath_config_static_selectorELNS0_4arch9wavefront6targetE1EEEvSI_,@function
_ZN7rocprim17ROCPRIM_400000_NS6detail17trampoline_kernelINS0_14default_configENS1_38merge_sort_block_merge_config_selectorIN3c104HalfElEEZZNS1_27merge_sort_block_merge_implIS3_PS6_N6thrust23THRUST_200600_302600_NS10device_ptrIlEEmNSB_4lessIS6_EEEE10hipError_tT0_T1_T2_jT3_P12ihipStream_tbPNSt15iterator_traitsISH_E10value_typeEPNSN_ISI_E10value_typeEPSJ_NS1_7vsmem_tEENKUlT_SH_SI_SJ_E_clIS9_S9_PlSD_EESG_SW_SH_SI_SJ_EUlSW_E0_NS1_11comp_targetILNS1_3genE0ELNS1_11target_archE4294967295ELNS1_3gpuE0ELNS1_3repE0EEENS1_38merge_mergepath_config_static_selectorELNS0_4arch9wavefront6targetE1EEEvSI_: ; @_ZN7rocprim17ROCPRIM_400000_NS6detail17trampoline_kernelINS0_14default_configENS1_38merge_sort_block_merge_config_selectorIN3c104HalfElEEZZNS1_27merge_sort_block_merge_implIS3_PS6_N6thrust23THRUST_200600_302600_NS10device_ptrIlEEmNSB_4lessIS6_EEEE10hipError_tT0_T1_T2_jT3_P12ihipStream_tbPNSt15iterator_traitsISH_E10value_typeEPNSN_ISI_E10value_typeEPSJ_NS1_7vsmem_tEENKUlT_SH_SI_SJ_E_clIS9_S9_PlSD_EESG_SW_SH_SI_SJ_EUlSW_E0_NS1_11comp_targetILNS1_3genE0ELNS1_11target_archE4294967295ELNS1_3gpuE0ELNS1_3repE0EEENS1_38merge_mergepath_config_static_selectorELNS0_4arch9wavefront6targetE1EEEvSI_
; %bb.0:
	.section	.rodata,"a",@progbits
	.p2align	6, 0x0
	.amdhsa_kernel _ZN7rocprim17ROCPRIM_400000_NS6detail17trampoline_kernelINS0_14default_configENS1_38merge_sort_block_merge_config_selectorIN3c104HalfElEEZZNS1_27merge_sort_block_merge_implIS3_PS6_N6thrust23THRUST_200600_302600_NS10device_ptrIlEEmNSB_4lessIS6_EEEE10hipError_tT0_T1_T2_jT3_P12ihipStream_tbPNSt15iterator_traitsISH_E10value_typeEPNSN_ISI_E10value_typeEPSJ_NS1_7vsmem_tEENKUlT_SH_SI_SJ_E_clIS9_S9_PlSD_EESG_SW_SH_SI_SJ_EUlSW_E0_NS1_11comp_targetILNS1_3genE0ELNS1_11target_archE4294967295ELNS1_3gpuE0ELNS1_3repE0EEENS1_38merge_mergepath_config_static_selectorELNS0_4arch9wavefront6targetE1EEEvSI_
		.amdhsa_group_segment_fixed_size 0
		.amdhsa_private_segment_fixed_size 0
		.amdhsa_kernarg_size 72
		.amdhsa_user_sgpr_count 6
		.amdhsa_user_sgpr_private_segment_buffer 1
		.amdhsa_user_sgpr_dispatch_ptr 0
		.amdhsa_user_sgpr_queue_ptr 0
		.amdhsa_user_sgpr_kernarg_segment_ptr 1
		.amdhsa_user_sgpr_dispatch_id 0
		.amdhsa_user_sgpr_flat_scratch_init 0
		.amdhsa_user_sgpr_kernarg_preload_length 0
		.amdhsa_user_sgpr_kernarg_preload_offset 0
		.amdhsa_user_sgpr_private_segment_size 0
		.amdhsa_uses_dynamic_stack 0
		.amdhsa_system_sgpr_private_segment_wavefront_offset 0
		.amdhsa_system_sgpr_workgroup_id_x 1
		.amdhsa_system_sgpr_workgroup_id_y 0
		.amdhsa_system_sgpr_workgroup_id_z 0
		.amdhsa_system_sgpr_workgroup_info 0
		.amdhsa_system_vgpr_workitem_id 0
		.amdhsa_next_free_vgpr 1
		.amdhsa_next_free_sgpr 0
		.amdhsa_accum_offset 4
		.amdhsa_reserve_vcc 0
		.amdhsa_reserve_flat_scratch 0
		.amdhsa_float_round_mode_32 0
		.amdhsa_float_round_mode_16_64 0
		.amdhsa_float_denorm_mode_32 3
		.amdhsa_float_denorm_mode_16_64 3
		.amdhsa_dx10_clamp 1
		.amdhsa_ieee_mode 1
		.amdhsa_fp16_overflow 0
		.amdhsa_tg_split 0
		.amdhsa_exception_fp_ieee_invalid_op 0
		.amdhsa_exception_fp_denorm_src 0
		.amdhsa_exception_fp_ieee_div_zero 0
		.amdhsa_exception_fp_ieee_overflow 0
		.amdhsa_exception_fp_ieee_underflow 0
		.amdhsa_exception_fp_ieee_inexact 0
		.amdhsa_exception_int_div_zero 0
	.end_amdhsa_kernel
	.section	.text._ZN7rocprim17ROCPRIM_400000_NS6detail17trampoline_kernelINS0_14default_configENS1_38merge_sort_block_merge_config_selectorIN3c104HalfElEEZZNS1_27merge_sort_block_merge_implIS3_PS6_N6thrust23THRUST_200600_302600_NS10device_ptrIlEEmNSB_4lessIS6_EEEE10hipError_tT0_T1_T2_jT3_P12ihipStream_tbPNSt15iterator_traitsISH_E10value_typeEPNSN_ISI_E10value_typeEPSJ_NS1_7vsmem_tEENKUlT_SH_SI_SJ_E_clIS9_S9_PlSD_EESG_SW_SH_SI_SJ_EUlSW_E0_NS1_11comp_targetILNS1_3genE0ELNS1_11target_archE4294967295ELNS1_3gpuE0ELNS1_3repE0EEENS1_38merge_mergepath_config_static_selectorELNS0_4arch9wavefront6targetE1EEEvSI_,"axG",@progbits,_ZN7rocprim17ROCPRIM_400000_NS6detail17trampoline_kernelINS0_14default_configENS1_38merge_sort_block_merge_config_selectorIN3c104HalfElEEZZNS1_27merge_sort_block_merge_implIS3_PS6_N6thrust23THRUST_200600_302600_NS10device_ptrIlEEmNSB_4lessIS6_EEEE10hipError_tT0_T1_T2_jT3_P12ihipStream_tbPNSt15iterator_traitsISH_E10value_typeEPNSN_ISI_E10value_typeEPSJ_NS1_7vsmem_tEENKUlT_SH_SI_SJ_E_clIS9_S9_PlSD_EESG_SW_SH_SI_SJ_EUlSW_E0_NS1_11comp_targetILNS1_3genE0ELNS1_11target_archE4294967295ELNS1_3gpuE0ELNS1_3repE0EEENS1_38merge_mergepath_config_static_selectorELNS0_4arch9wavefront6targetE1EEEvSI_,comdat
.Lfunc_end2134:
	.size	_ZN7rocprim17ROCPRIM_400000_NS6detail17trampoline_kernelINS0_14default_configENS1_38merge_sort_block_merge_config_selectorIN3c104HalfElEEZZNS1_27merge_sort_block_merge_implIS3_PS6_N6thrust23THRUST_200600_302600_NS10device_ptrIlEEmNSB_4lessIS6_EEEE10hipError_tT0_T1_T2_jT3_P12ihipStream_tbPNSt15iterator_traitsISH_E10value_typeEPNSN_ISI_E10value_typeEPSJ_NS1_7vsmem_tEENKUlT_SH_SI_SJ_E_clIS9_S9_PlSD_EESG_SW_SH_SI_SJ_EUlSW_E0_NS1_11comp_targetILNS1_3genE0ELNS1_11target_archE4294967295ELNS1_3gpuE0ELNS1_3repE0EEENS1_38merge_mergepath_config_static_selectorELNS0_4arch9wavefront6targetE1EEEvSI_, .Lfunc_end2134-_ZN7rocprim17ROCPRIM_400000_NS6detail17trampoline_kernelINS0_14default_configENS1_38merge_sort_block_merge_config_selectorIN3c104HalfElEEZZNS1_27merge_sort_block_merge_implIS3_PS6_N6thrust23THRUST_200600_302600_NS10device_ptrIlEEmNSB_4lessIS6_EEEE10hipError_tT0_T1_T2_jT3_P12ihipStream_tbPNSt15iterator_traitsISH_E10value_typeEPNSN_ISI_E10value_typeEPSJ_NS1_7vsmem_tEENKUlT_SH_SI_SJ_E_clIS9_S9_PlSD_EESG_SW_SH_SI_SJ_EUlSW_E0_NS1_11comp_targetILNS1_3genE0ELNS1_11target_archE4294967295ELNS1_3gpuE0ELNS1_3repE0EEENS1_38merge_mergepath_config_static_selectorELNS0_4arch9wavefront6targetE1EEEvSI_
                                        ; -- End function
	.section	.AMDGPU.csdata,"",@progbits
; Kernel info:
; codeLenInByte = 0
; NumSgprs: 4
; NumVgprs: 0
; NumAgprs: 0
; TotalNumVgprs: 0
; ScratchSize: 0
; MemoryBound: 0
; FloatMode: 240
; IeeeMode: 1
; LDSByteSize: 0 bytes/workgroup (compile time only)
; SGPRBlocks: 0
; VGPRBlocks: 0
; NumSGPRsForWavesPerEU: 4
; NumVGPRsForWavesPerEU: 1
; AccumOffset: 4
; Occupancy: 8
; WaveLimiterHint : 0
; COMPUTE_PGM_RSRC2:SCRATCH_EN: 0
; COMPUTE_PGM_RSRC2:USER_SGPR: 6
; COMPUTE_PGM_RSRC2:TRAP_HANDLER: 0
; COMPUTE_PGM_RSRC2:TGID_X_EN: 1
; COMPUTE_PGM_RSRC2:TGID_Y_EN: 0
; COMPUTE_PGM_RSRC2:TGID_Z_EN: 0
; COMPUTE_PGM_RSRC2:TIDIG_COMP_CNT: 0
; COMPUTE_PGM_RSRC3_GFX90A:ACCUM_OFFSET: 0
; COMPUTE_PGM_RSRC3_GFX90A:TG_SPLIT: 0
	.section	.text._ZN7rocprim17ROCPRIM_400000_NS6detail17trampoline_kernelINS0_14default_configENS1_38merge_sort_block_merge_config_selectorIN3c104HalfElEEZZNS1_27merge_sort_block_merge_implIS3_PS6_N6thrust23THRUST_200600_302600_NS10device_ptrIlEEmNSB_4lessIS6_EEEE10hipError_tT0_T1_T2_jT3_P12ihipStream_tbPNSt15iterator_traitsISH_E10value_typeEPNSN_ISI_E10value_typeEPSJ_NS1_7vsmem_tEENKUlT_SH_SI_SJ_E_clIS9_S9_PlSD_EESG_SW_SH_SI_SJ_EUlSW_E0_NS1_11comp_targetILNS1_3genE10ELNS1_11target_archE1201ELNS1_3gpuE5ELNS1_3repE0EEENS1_38merge_mergepath_config_static_selectorELNS0_4arch9wavefront6targetE1EEEvSI_,"axG",@progbits,_ZN7rocprim17ROCPRIM_400000_NS6detail17trampoline_kernelINS0_14default_configENS1_38merge_sort_block_merge_config_selectorIN3c104HalfElEEZZNS1_27merge_sort_block_merge_implIS3_PS6_N6thrust23THRUST_200600_302600_NS10device_ptrIlEEmNSB_4lessIS6_EEEE10hipError_tT0_T1_T2_jT3_P12ihipStream_tbPNSt15iterator_traitsISH_E10value_typeEPNSN_ISI_E10value_typeEPSJ_NS1_7vsmem_tEENKUlT_SH_SI_SJ_E_clIS9_S9_PlSD_EESG_SW_SH_SI_SJ_EUlSW_E0_NS1_11comp_targetILNS1_3genE10ELNS1_11target_archE1201ELNS1_3gpuE5ELNS1_3repE0EEENS1_38merge_mergepath_config_static_selectorELNS0_4arch9wavefront6targetE1EEEvSI_,comdat
	.protected	_ZN7rocprim17ROCPRIM_400000_NS6detail17trampoline_kernelINS0_14default_configENS1_38merge_sort_block_merge_config_selectorIN3c104HalfElEEZZNS1_27merge_sort_block_merge_implIS3_PS6_N6thrust23THRUST_200600_302600_NS10device_ptrIlEEmNSB_4lessIS6_EEEE10hipError_tT0_T1_T2_jT3_P12ihipStream_tbPNSt15iterator_traitsISH_E10value_typeEPNSN_ISI_E10value_typeEPSJ_NS1_7vsmem_tEENKUlT_SH_SI_SJ_E_clIS9_S9_PlSD_EESG_SW_SH_SI_SJ_EUlSW_E0_NS1_11comp_targetILNS1_3genE10ELNS1_11target_archE1201ELNS1_3gpuE5ELNS1_3repE0EEENS1_38merge_mergepath_config_static_selectorELNS0_4arch9wavefront6targetE1EEEvSI_ ; -- Begin function _ZN7rocprim17ROCPRIM_400000_NS6detail17trampoline_kernelINS0_14default_configENS1_38merge_sort_block_merge_config_selectorIN3c104HalfElEEZZNS1_27merge_sort_block_merge_implIS3_PS6_N6thrust23THRUST_200600_302600_NS10device_ptrIlEEmNSB_4lessIS6_EEEE10hipError_tT0_T1_T2_jT3_P12ihipStream_tbPNSt15iterator_traitsISH_E10value_typeEPNSN_ISI_E10value_typeEPSJ_NS1_7vsmem_tEENKUlT_SH_SI_SJ_E_clIS9_S9_PlSD_EESG_SW_SH_SI_SJ_EUlSW_E0_NS1_11comp_targetILNS1_3genE10ELNS1_11target_archE1201ELNS1_3gpuE5ELNS1_3repE0EEENS1_38merge_mergepath_config_static_selectorELNS0_4arch9wavefront6targetE1EEEvSI_
	.globl	_ZN7rocprim17ROCPRIM_400000_NS6detail17trampoline_kernelINS0_14default_configENS1_38merge_sort_block_merge_config_selectorIN3c104HalfElEEZZNS1_27merge_sort_block_merge_implIS3_PS6_N6thrust23THRUST_200600_302600_NS10device_ptrIlEEmNSB_4lessIS6_EEEE10hipError_tT0_T1_T2_jT3_P12ihipStream_tbPNSt15iterator_traitsISH_E10value_typeEPNSN_ISI_E10value_typeEPSJ_NS1_7vsmem_tEENKUlT_SH_SI_SJ_E_clIS9_S9_PlSD_EESG_SW_SH_SI_SJ_EUlSW_E0_NS1_11comp_targetILNS1_3genE10ELNS1_11target_archE1201ELNS1_3gpuE5ELNS1_3repE0EEENS1_38merge_mergepath_config_static_selectorELNS0_4arch9wavefront6targetE1EEEvSI_
	.p2align	8
	.type	_ZN7rocprim17ROCPRIM_400000_NS6detail17trampoline_kernelINS0_14default_configENS1_38merge_sort_block_merge_config_selectorIN3c104HalfElEEZZNS1_27merge_sort_block_merge_implIS3_PS6_N6thrust23THRUST_200600_302600_NS10device_ptrIlEEmNSB_4lessIS6_EEEE10hipError_tT0_T1_T2_jT3_P12ihipStream_tbPNSt15iterator_traitsISH_E10value_typeEPNSN_ISI_E10value_typeEPSJ_NS1_7vsmem_tEENKUlT_SH_SI_SJ_E_clIS9_S9_PlSD_EESG_SW_SH_SI_SJ_EUlSW_E0_NS1_11comp_targetILNS1_3genE10ELNS1_11target_archE1201ELNS1_3gpuE5ELNS1_3repE0EEENS1_38merge_mergepath_config_static_selectorELNS0_4arch9wavefront6targetE1EEEvSI_,@function
_ZN7rocprim17ROCPRIM_400000_NS6detail17trampoline_kernelINS0_14default_configENS1_38merge_sort_block_merge_config_selectorIN3c104HalfElEEZZNS1_27merge_sort_block_merge_implIS3_PS6_N6thrust23THRUST_200600_302600_NS10device_ptrIlEEmNSB_4lessIS6_EEEE10hipError_tT0_T1_T2_jT3_P12ihipStream_tbPNSt15iterator_traitsISH_E10value_typeEPNSN_ISI_E10value_typeEPSJ_NS1_7vsmem_tEENKUlT_SH_SI_SJ_E_clIS9_S9_PlSD_EESG_SW_SH_SI_SJ_EUlSW_E0_NS1_11comp_targetILNS1_3genE10ELNS1_11target_archE1201ELNS1_3gpuE5ELNS1_3repE0EEENS1_38merge_mergepath_config_static_selectorELNS0_4arch9wavefront6targetE1EEEvSI_: ; @_ZN7rocprim17ROCPRIM_400000_NS6detail17trampoline_kernelINS0_14default_configENS1_38merge_sort_block_merge_config_selectorIN3c104HalfElEEZZNS1_27merge_sort_block_merge_implIS3_PS6_N6thrust23THRUST_200600_302600_NS10device_ptrIlEEmNSB_4lessIS6_EEEE10hipError_tT0_T1_T2_jT3_P12ihipStream_tbPNSt15iterator_traitsISH_E10value_typeEPNSN_ISI_E10value_typeEPSJ_NS1_7vsmem_tEENKUlT_SH_SI_SJ_E_clIS9_S9_PlSD_EESG_SW_SH_SI_SJ_EUlSW_E0_NS1_11comp_targetILNS1_3genE10ELNS1_11target_archE1201ELNS1_3gpuE5ELNS1_3repE0EEENS1_38merge_mergepath_config_static_selectorELNS0_4arch9wavefront6targetE1EEEvSI_
; %bb.0:
	.section	.rodata,"a",@progbits
	.p2align	6, 0x0
	.amdhsa_kernel _ZN7rocprim17ROCPRIM_400000_NS6detail17trampoline_kernelINS0_14default_configENS1_38merge_sort_block_merge_config_selectorIN3c104HalfElEEZZNS1_27merge_sort_block_merge_implIS3_PS6_N6thrust23THRUST_200600_302600_NS10device_ptrIlEEmNSB_4lessIS6_EEEE10hipError_tT0_T1_T2_jT3_P12ihipStream_tbPNSt15iterator_traitsISH_E10value_typeEPNSN_ISI_E10value_typeEPSJ_NS1_7vsmem_tEENKUlT_SH_SI_SJ_E_clIS9_S9_PlSD_EESG_SW_SH_SI_SJ_EUlSW_E0_NS1_11comp_targetILNS1_3genE10ELNS1_11target_archE1201ELNS1_3gpuE5ELNS1_3repE0EEENS1_38merge_mergepath_config_static_selectorELNS0_4arch9wavefront6targetE1EEEvSI_
		.amdhsa_group_segment_fixed_size 0
		.amdhsa_private_segment_fixed_size 0
		.amdhsa_kernarg_size 72
		.amdhsa_user_sgpr_count 6
		.amdhsa_user_sgpr_private_segment_buffer 1
		.amdhsa_user_sgpr_dispatch_ptr 0
		.amdhsa_user_sgpr_queue_ptr 0
		.amdhsa_user_sgpr_kernarg_segment_ptr 1
		.amdhsa_user_sgpr_dispatch_id 0
		.amdhsa_user_sgpr_flat_scratch_init 0
		.amdhsa_user_sgpr_kernarg_preload_length 0
		.amdhsa_user_sgpr_kernarg_preload_offset 0
		.amdhsa_user_sgpr_private_segment_size 0
		.amdhsa_uses_dynamic_stack 0
		.amdhsa_system_sgpr_private_segment_wavefront_offset 0
		.amdhsa_system_sgpr_workgroup_id_x 1
		.amdhsa_system_sgpr_workgroup_id_y 0
		.amdhsa_system_sgpr_workgroup_id_z 0
		.amdhsa_system_sgpr_workgroup_info 0
		.amdhsa_system_vgpr_workitem_id 0
		.amdhsa_next_free_vgpr 1
		.amdhsa_next_free_sgpr 0
		.amdhsa_accum_offset 4
		.amdhsa_reserve_vcc 0
		.amdhsa_reserve_flat_scratch 0
		.amdhsa_float_round_mode_32 0
		.amdhsa_float_round_mode_16_64 0
		.amdhsa_float_denorm_mode_32 3
		.amdhsa_float_denorm_mode_16_64 3
		.amdhsa_dx10_clamp 1
		.amdhsa_ieee_mode 1
		.amdhsa_fp16_overflow 0
		.amdhsa_tg_split 0
		.amdhsa_exception_fp_ieee_invalid_op 0
		.amdhsa_exception_fp_denorm_src 0
		.amdhsa_exception_fp_ieee_div_zero 0
		.amdhsa_exception_fp_ieee_overflow 0
		.amdhsa_exception_fp_ieee_underflow 0
		.amdhsa_exception_fp_ieee_inexact 0
		.amdhsa_exception_int_div_zero 0
	.end_amdhsa_kernel
	.section	.text._ZN7rocprim17ROCPRIM_400000_NS6detail17trampoline_kernelINS0_14default_configENS1_38merge_sort_block_merge_config_selectorIN3c104HalfElEEZZNS1_27merge_sort_block_merge_implIS3_PS6_N6thrust23THRUST_200600_302600_NS10device_ptrIlEEmNSB_4lessIS6_EEEE10hipError_tT0_T1_T2_jT3_P12ihipStream_tbPNSt15iterator_traitsISH_E10value_typeEPNSN_ISI_E10value_typeEPSJ_NS1_7vsmem_tEENKUlT_SH_SI_SJ_E_clIS9_S9_PlSD_EESG_SW_SH_SI_SJ_EUlSW_E0_NS1_11comp_targetILNS1_3genE10ELNS1_11target_archE1201ELNS1_3gpuE5ELNS1_3repE0EEENS1_38merge_mergepath_config_static_selectorELNS0_4arch9wavefront6targetE1EEEvSI_,"axG",@progbits,_ZN7rocprim17ROCPRIM_400000_NS6detail17trampoline_kernelINS0_14default_configENS1_38merge_sort_block_merge_config_selectorIN3c104HalfElEEZZNS1_27merge_sort_block_merge_implIS3_PS6_N6thrust23THRUST_200600_302600_NS10device_ptrIlEEmNSB_4lessIS6_EEEE10hipError_tT0_T1_T2_jT3_P12ihipStream_tbPNSt15iterator_traitsISH_E10value_typeEPNSN_ISI_E10value_typeEPSJ_NS1_7vsmem_tEENKUlT_SH_SI_SJ_E_clIS9_S9_PlSD_EESG_SW_SH_SI_SJ_EUlSW_E0_NS1_11comp_targetILNS1_3genE10ELNS1_11target_archE1201ELNS1_3gpuE5ELNS1_3repE0EEENS1_38merge_mergepath_config_static_selectorELNS0_4arch9wavefront6targetE1EEEvSI_,comdat
.Lfunc_end2135:
	.size	_ZN7rocprim17ROCPRIM_400000_NS6detail17trampoline_kernelINS0_14default_configENS1_38merge_sort_block_merge_config_selectorIN3c104HalfElEEZZNS1_27merge_sort_block_merge_implIS3_PS6_N6thrust23THRUST_200600_302600_NS10device_ptrIlEEmNSB_4lessIS6_EEEE10hipError_tT0_T1_T2_jT3_P12ihipStream_tbPNSt15iterator_traitsISH_E10value_typeEPNSN_ISI_E10value_typeEPSJ_NS1_7vsmem_tEENKUlT_SH_SI_SJ_E_clIS9_S9_PlSD_EESG_SW_SH_SI_SJ_EUlSW_E0_NS1_11comp_targetILNS1_3genE10ELNS1_11target_archE1201ELNS1_3gpuE5ELNS1_3repE0EEENS1_38merge_mergepath_config_static_selectorELNS0_4arch9wavefront6targetE1EEEvSI_, .Lfunc_end2135-_ZN7rocprim17ROCPRIM_400000_NS6detail17trampoline_kernelINS0_14default_configENS1_38merge_sort_block_merge_config_selectorIN3c104HalfElEEZZNS1_27merge_sort_block_merge_implIS3_PS6_N6thrust23THRUST_200600_302600_NS10device_ptrIlEEmNSB_4lessIS6_EEEE10hipError_tT0_T1_T2_jT3_P12ihipStream_tbPNSt15iterator_traitsISH_E10value_typeEPNSN_ISI_E10value_typeEPSJ_NS1_7vsmem_tEENKUlT_SH_SI_SJ_E_clIS9_S9_PlSD_EESG_SW_SH_SI_SJ_EUlSW_E0_NS1_11comp_targetILNS1_3genE10ELNS1_11target_archE1201ELNS1_3gpuE5ELNS1_3repE0EEENS1_38merge_mergepath_config_static_selectorELNS0_4arch9wavefront6targetE1EEEvSI_
                                        ; -- End function
	.section	.AMDGPU.csdata,"",@progbits
; Kernel info:
; codeLenInByte = 0
; NumSgprs: 4
; NumVgprs: 0
; NumAgprs: 0
; TotalNumVgprs: 0
; ScratchSize: 0
; MemoryBound: 0
; FloatMode: 240
; IeeeMode: 1
; LDSByteSize: 0 bytes/workgroup (compile time only)
; SGPRBlocks: 0
; VGPRBlocks: 0
; NumSGPRsForWavesPerEU: 4
; NumVGPRsForWavesPerEU: 1
; AccumOffset: 4
; Occupancy: 8
; WaveLimiterHint : 0
; COMPUTE_PGM_RSRC2:SCRATCH_EN: 0
; COMPUTE_PGM_RSRC2:USER_SGPR: 6
; COMPUTE_PGM_RSRC2:TRAP_HANDLER: 0
; COMPUTE_PGM_RSRC2:TGID_X_EN: 1
; COMPUTE_PGM_RSRC2:TGID_Y_EN: 0
; COMPUTE_PGM_RSRC2:TGID_Z_EN: 0
; COMPUTE_PGM_RSRC2:TIDIG_COMP_CNT: 0
; COMPUTE_PGM_RSRC3_GFX90A:ACCUM_OFFSET: 0
; COMPUTE_PGM_RSRC3_GFX90A:TG_SPLIT: 0
	.section	.text._ZN7rocprim17ROCPRIM_400000_NS6detail17trampoline_kernelINS0_14default_configENS1_38merge_sort_block_merge_config_selectorIN3c104HalfElEEZZNS1_27merge_sort_block_merge_implIS3_PS6_N6thrust23THRUST_200600_302600_NS10device_ptrIlEEmNSB_4lessIS6_EEEE10hipError_tT0_T1_T2_jT3_P12ihipStream_tbPNSt15iterator_traitsISH_E10value_typeEPNSN_ISI_E10value_typeEPSJ_NS1_7vsmem_tEENKUlT_SH_SI_SJ_E_clIS9_S9_PlSD_EESG_SW_SH_SI_SJ_EUlSW_E0_NS1_11comp_targetILNS1_3genE5ELNS1_11target_archE942ELNS1_3gpuE9ELNS1_3repE0EEENS1_38merge_mergepath_config_static_selectorELNS0_4arch9wavefront6targetE1EEEvSI_,"axG",@progbits,_ZN7rocprim17ROCPRIM_400000_NS6detail17trampoline_kernelINS0_14default_configENS1_38merge_sort_block_merge_config_selectorIN3c104HalfElEEZZNS1_27merge_sort_block_merge_implIS3_PS6_N6thrust23THRUST_200600_302600_NS10device_ptrIlEEmNSB_4lessIS6_EEEE10hipError_tT0_T1_T2_jT3_P12ihipStream_tbPNSt15iterator_traitsISH_E10value_typeEPNSN_ISI_E10value_typeEPSJ_NS1_7vsmem_tEENKUlT_SH_SI_SJ_E_clIS9_S9_PlSD_EESG_SW_SH_SI_SJ_EUlSW_E0_NS1_11comp_targetILNS1_3genE5ELNS1_11target_archE942ELNS1_3gpuE9ELNS1_3repE0EEENS1_38merge_mergepath_config_static_selectorELNS0_4arch9wavefront6targetE1EEEvSI_,comdat
	.protected	_ZN7rocprim17ROCPRIM_400000_NS6detail17trampoline_kernelINS0_14default_configENS1_38merge_sort_block_merge_config_selectorIN3c104HalfElEEZZNS1_27merge_sort_block_merge_implIS3_PS6_N6thrust23THRUST_200600_302600_NS10device_ptrIlEEmNSB_4lessIS6_EEEE10hipError_tT0_T1_T2_jT3_P12ihipStream_tbPNSt15iterator_traitsISH_E10value_typeEPNSN_ISI_E10value_typeEPSJ_NS1_7vsmem_tEENKUlT_SH_SI_SJ_E_clIS9_S9_PlSD_EESG_SW_SH_SI_SJ_EUlSW_E0_NS1_11comp_targetILNS1_3genE5ELNS1_11target_archE942ELNS1_3gpuE9ELNS1_3repE0EEENS1_38merge_mergepath_config_static_selectorELNS0_4arch9wavefront6targetE1EEEvSI_ ; -- Begin function _ZN7rocprim17ROCPRIM_400000_NS6detail17trampoline_kernelINS0_14default_configENS1_38merge_sort_block_merge_config_selectorIN3c104HalfElEEZZNS1_27merge_sort_block_merge_implIS3_PS6_N6thrust23THRUST_200600_302600_NS10device_ptrIlEEmNSB_4lessIS6_EEEE10hipError_tT0_T1_T2_jT3_P12ihipStream_tbPNSt15iterator_traitsISH_E10value_typeEPNSN_ISI_E10value_typeEPSJ_NS1_7vsmem_tEENKUlT_SH_SI_SJ_E_clIS9_S9_PlSD_EESG_SW_SH_SI_SJ_EUlSW_E0_NS1_11comp_targetILNS1_3genE5ELNS1_11target_archE942ELNS1_3gpuE9ELNS1_3repE0EEENS1_38merge_mergepath_config_static_selectorELNS0_4arch9wavefront6targetE1EEEvSI_
	.globl	_ZN7rocprim17ROCPRIM_400000_NS6detail17trampoline_kernelINS0_14default_configENS1_38merge_sort_block_merge_config_selectorIN3c104HalfElEEZZNS1_27merge_sort_block_merge_implIS3_PS6_N6thrust23THRUST_200600_302600_NS10device_ptrIlEEmNSB_4lessIS6_EEEE10hipError_tT0_T1_T2_jT3_P12ihipStream_tbPNSt15iterator_traitsISH_E10value_typeEPNSN_ISI_E10value_typeEPSJ_NS1_7vsmem_tEENKUlT_SH_SI_SJ_E_clIS9_S9_PlSD_EESG_SW_SH_SI_SJ_EUlSW_E0_NS1_11comp_targetILNS1_3genE5ELNS1_11target_archE942ELNS1_3gpuE9ELNS1_3repE0EEENS1_38merge_mergepath_config_static_selectorELNS0_4arch9wavefront6targetE1EEEvSI_
	.p2align	8
	.type	_ZN7rocprim17ROCPRIM_400000_NS6detail17trampoline_kernelINS0_14default_configENS1_38merge_sort_block_merge_config_selectorIN3c104HalfElEEZZNS1_27merge_sort_block_merge_implIS3_PS6_N6thrust23THRUST_200600_302600_NS10device_ptrIlEEmNSB_4lessIS6_EEEE10hipError_tT0_T1_T2_jT3_P12ihipStream_tbPNSt15iterator_traitsISH_E10value_typeEPNSN_ISI_E10value_typeEPSJ_NS1_7vsmem_tEENKUlT_SH_SI_SJ_E_clIS9_S9_PlSD_EESG_SW_SH_SI_SJ_EUlSW_E0_NS1_11comp_targetILNS1_3genE5ELNS1_11target_archE942ELNS1_3gpuE9ELNS1_3repE0EEENS1_38merge_mergepath_config_static_selectorELNS0_4arch9wavefront6targetE1EEEvSI_,@function
_ZN7rocprim17ROCPRIM_400000_NS6detail17trampoline_kernelINS0_14default_configENS1_38merge_sort_block_merge_config_selectorIN3c104HalfElEEZZNS1_27merge_sort_block_merge_implIS3_PS6_N6thrust23THRUST_200600_302600_NS10device_ptrIlEEmNSB_4lessIS6_EEEE10hipError_tT0_T1_T2_jT3_P12ihipStream_tbPNSt15iterator_traitsISH_E10value_typeEPNSN_ISI_E10value_typeEPSJ_NS1_7vsmem_tEENKUlT_SH_SI_SJ_E_clIS9_S9_PlSD_EESG_SW_SH_SI_SJ_EUlSW_E0_NS1_11comp_targetILNS1_3genE5ELNS1_11target_archE942ELNS1_3gpuE9ELNS1_3repE0EEENS1_38merge_mergepath_config_static_selectorELNS0_4arch9wavefront6targetE1EEEvSI_: ; @_ZN7rocprim17ROCPRIM_400000_NS6detail17trampoline_kernelINS0_14default_configENS1_38merge_sort_block_merge_config_selectorIN3c104HalfElEEZZNS1_27merge_sort_block_merge_implIS3_PS6_N6thrust23THRUST_200600_302600_NS10device_ptrIlEEmNSB_4lessIS6_EEEE10hipError_tT0_T1_T2_jT3_P12ihipStream_tbPNSt15iterator_traitsISH_E10value_typeEPNSN_ISI_E10value_typeEPSJ_NS1_7vsmem_tEENKUlT_SH_SI_SJ_E_clIS9_S9_PlSD_EESG_SW_SH_SI_SJ_EUlSW_E0_NS1_11comp_targetILNS1_3genE5ELNS1_11target_archE942ELNS1_3gpuE9ELNS1_3repE0EEENS1_38merge_mergepath_config_static_selectorELNS0_4arch9wavefront6targetE1EEEvSI_
; %bb.0:
	.section	.rodata,"a",@progbits
	.p2align	6, 0x0
	.amdhsa_kernel _ZN7rocprim17ROCPRIM_400000_NS6detail17trampoline_kernelINS0_14default_configENS1_38merge_sort_block_merge_config_selectorIN3c104HalfElEEZZNS1_27merge_sort_block_merge_implIS3_PS6_N6thrust23THRUST_200600_302600_NS10device_ptrIlEEmNSB_4lessIS6_EEEE10hipError_tT0_T1_T2_jT3_P12ihipStream_tbPNSt15iterator_traitsISH_E10value_typeEPNSN_ISI_E10value_typeEPSJ_NS1_7vsmem_tEENKUlT_SH_SI_SJ_E_clIS9_S9_PlSD_EESG_SW_SH_SI_SJ_EUlSW_E0_NS1_11comp_targetILNS1_3genE5ELNS1_11target_archE942ELNS1_3gpuE9ELNS1_3repE0EEENS1_38merge_mergepath_config_static_selectorELNS0_4arch9wavefront6targetE1EEEvSI_
		.amdhsa_group_segment_fixed_size 0
		.amdhsa_private_segment_fixed_size 0
		.amdhsa_kernarg_size 72
		.amdhsa_user_sgpr_count 6
		.amdhsa_user_sgpr_private_segment_buffer 1
		.amdhsa_user_sgpr_dispatch_ptr 0
		.amdhsa_user_sgpr_queue_ptr 0
		.amdhsa_user_sgpr_kernarg_segment_ptr 1
		.amdhsa_user_sgpr_dispatch_id 0
		.amdhsa_user_sgpr_flat_scratch_init 0
		.amdhsa_user_sgpr_kernarg_preload_length 0
		.amdhsa_user_sgpr_kernarg_preload_offset 0
		.amdhsa_user_sgpr_private_segment_size 0
		.amdhsa_uses_dynamic_stack 0
		.amdhsa_system_sgpr_private_segment_wavefront_offset 0
		.amdhsa_system_sgpr_workgroup_id_x 1
		.amdhsa_system_sgpr_workgroup_id_y 0
		.amdhsa_system_sgpr_workgroup_id_z 0
		.amdhsa_system_sgpr_workgroup_info 0
		.amdhsa_system_vgpr_workitem_id 0
		.amdhsa_next_free_vgpr 1
		.amdhsa_next_free_sgpr 0
		.amdhsa_accum_offset 4
		.amdhsa_reserve_vcc 0
		.amdhsa_reserve_flat_scratch 0
		.amdhsa_float_round_mode_32 0
		.amdhsa_float_round_mode_16_64 0
		.amdhsa_float_denorm_mode_32 3
		.amdhsa_float_denorm_mode_16_64 3
		.amdhsa_dx10_clamp 1
		.amdhsa_ieee_mode 1
		.amdhsa_fp16_overflow 0
		.amdhsa_tg_split 0
		.amdhsa_exception_fp_ieee_invalid_op 0
		.amdhsa_exception_fp_denorm_src 0
		.amdhsa_exception_fp_ieee_div_zero 0
		.amdhsa_exception_fp_ieee_overflow 0
		.amdhsa_exception_fp_ieee_underflow 0
		.amdhsa_exception_fp_ieee_inexact 0
		.amdhsa_exception_int_div_zero 0
	.end_amdhsa_kernel
	.section	.text._ZN7rocprim17ROCPRIM_400000_NS6detail17trampoline_kernelINS0_14default_configENS1_38merge_sort_block_merge_config_selectorIN3c104HalfElEEZZNS1_27merge_sort_block_merge_implIS3_PS6_N6thrust23THRUST_200600_302600_NS10device_ptrIlEEmNSB_4lessIS6_EEEE10hipError_tT0_T1_T2_jT3_P12ihipStream_tbPNSt15iterator_traitsISH_E10value_typeEPNSN_ISI_E10value_typeEPSJ_NS1_7vsmem_tEENKUlT_SH_SI_SJ_E_clIS9_S9_PlSD_EESG_SW_SH_SI_SJ_EUlSW_E0_NS1_11comp_targetILNS1_3genE5ELNS1_11target_archE942ELNS1_3gpuE9ELNS1_3repE0EEENS1_38merge_mergepath_config_static_selectorELNS0_4arch9wavefront6targetE1EEEvSI_,"axG",@progbits,_ZN7rocprim17ROCPRIM_400000_NS6detail17trampoline_kernelINS0_14default_configENS1_38merge_sort_block_merge_config_selectorIN3c104HalfElEEZZNS1_27merge_sort_block_merge_implIS3_PS6_N6thrust23THRUST_200600_302600_NS10device_ptrIlEEmNSB_4lessIS6_EEEE10hipError_tT0_T1_T2_jT3_P12ihipStream_tbPNSt15iterator_traitsISH_E10value_typeEPNSN_ISI_E10value_typeEPSJ_NS1_7vsmem_tEENKUlT_SH_SI_SJ_E_clIS9_S9_PlSD_EESG_SW_SH_SI_SJ_EUlSW_E0_NS1_11comp_targetILNS1_3genE5ELNS1_11target_archE942ELNS1_3gpuE9ELNS1_3repE0EEENS1_38merge_mergepath_config_static_selectorELNS0_4arch9wavefront6targetE1EEEvSI_,comdat
.Lfunc_end2136:
	.size	_ZN7rocprim17ROCPRIM_400000_NS6detail17trampoline_kernelINS0_14default_configENS1_38merge_sort_block_merge_config_selectorIN3c104HalfElEEZZNS1_27merge_sort_block_merge_implIS3_PS6_N6thrust23THRUST_200600_302600_NS10device_ptrIlEEmNSB_4lessIS6_EEEE10hipError_tT0_T1_T2_jT3_P12ihipStream_tbPNSt15iterator_traitsISH_E10value_typeEPNSN_ISI_E10value_typeEPSJ_NS1_7vsmem_tEENKUlT_SH_SI_SJ_E_clIS9_S9_PlSD_EESG_SW_SH_SI_SJ_EUlSW_E0_NS1_11comp_targetILNS1_3genE5ELNS1_11target_archE942ELNS1_3gpuE9ELNS1_3repE0EEENS1_38merge_mergepath_config_static_selectorELNS0_4arch9wavefront6targetE1EEEvSI_, .Lfunc_end2136-_ZN7rocprim17ROCPRIM_400000_NS6detail17trampoline_kernelINS0_14default_configENS1_38merge_sort_block_merge_config_selectorIN3c104HalfElEEZZNS1_27merge_sort_block_merge_implIS3_PS6_N6thrust23THRUST_200600_302600_NS10device_ptrIlEEmNSB_4lessIS6_EEEE10hipError_tT0_T1_T2_jT3_P12ihipStream_tbPNSt15iterator_traitsISH_E10value_typeEPNSN_ISI_E10value_typeEPSJ_NS1_7vsmem_tEENKUlT_SH_SI_SJ_E_clIS9_S9_PlSD_EESG_SW_SH_SI_SJ_EUlSW_E0_NS1_11comp_targetILNS1_3genE5ELNS1_11target_archE942ELNS1_3gpuE9ELNS1_3repE0EEENS1_38merge_mergepath_config_static_selectorELNS0_4arch9wavefront6targetE1EEEvSI_
                                        ; -- End function
	.section	.AMDGPU.csdata,"",@progbits
; Kernel info:
; codeLenInByte = 0
; NumSgprs: 4
; NumVgprs: 0
; NumAgprs: 0
; TotalNumVgprs: 0
; ScratchSize: 0
; MemoryBound: 0
; FloatMode: 240
; IeeeMode: 1
; LDSByteSize: 0 bytes/workgroup (compile time only)
; SGPRBlocks: 0
; VGPRBlocks: 0
; NumSGPRsForWavesPerEU: 4
; NumVGPRsForWavesPerEU: 1
; AccumOffset: 4
; Occupancy: 8
; WaveLimiterHint : 0
; COMPUTE_PGM_RSRC2:SCRATCH_EN: 0
; COMPUTE_PGM_RSRC2:USER_SGPR: 6
; COMPUTE_PGM_RSRC2:TRAP_HANDLER: 0
; COMPUTE_PGM_RSRC2:TGID_X_EN: 1
; COMPUTE_PGM_RSRC2:TGID_Y_EN: 0
; COMPUTE_PGM_RSRC2:TGID_Z_EN: 0
; COMPUTE_PGM_RSRC2:TIDIG_COMP_CNT: 0
; COMPUTE_PGM_RSRC3_GFX90A:ACCUM_OFFSET: 0
; COMPUTE_PGM_RSRC3_GFX90A:TG_SPLIT: 0
	.section	.text._ZN7rocprim17ROCPRIM_400000_NS6detail17trampoline_kernelINS0_14default_configENS1_38merge_sort_block_merge_config_selectorIN3c104HalfElEEZZNS1_27merge_sort_block_merge_implIS3_PS6_N6thrust23THRUST_200600_302600_NS10device_ptrIlEEmNSB_4lessIS6_EEEE10hipError_tT0_T1_T2_jT3_P12ihipStream_tbPNSt15iterator_traitsISH_E10value_typeEPNSN_ISI_E10value_typeEPSJ_NS1_7vsmem_tEENKUlT_SH_SI_SJ_E_clIS9_S9_PlSD_EESG_SW_SH_SI_SJ_EUlSW_E0_NS1_11comp_targetILNS1_3genE4ELNS1_11target_archE910ELNS1_3gpuE8ELNS1_3repE0EEENS1_38merge_mergepath_config_static_selectorELNS0_4arch9wavefront6targetE1EEEvSI_,"axG",@progbits,_ZN7rocprim17ROCPRIM_400000_NS6detail17trampoline_kernelINS0_14default_configENS1_38merge_sort_block_merge_config_selectorIN3c104HalfElEEZZNS1_27merge_sort_block_merge_implIS3_PS6_N6thrust23THRUST_200600_302600_NS10device_ptrIlEEmNSB_4lessIS6_EEEE10hipError_tT0_T1_T2_jT3_P12ihipStream_tbPNSt15iterator_traitsISH_E10value_typeEPNSN_ISI_E10value_typeEPSJ_NS1_7vsmem_tEENKUlT_SH_SI_SJ_E_clIS9_S9_PlSD_EESG_SW_SH_SI_SJ_EUlSW_E0_NS1_11comp_targetILNS1_3genE4ELNS1_11target_archE910ELNS1_3gpuE8ELNS1_3repE0EEENS1_38merge_mergepath_config_static_selectorELNS0_4arch9wavefront6targetE1EEEvSI_,comdat
	.protected	_ZN7rocprim17ROCPRIM_400000_NS6detail17trampoline_kernelINS0_14default_configENS1_38merge_sort_block_merge_config_selectorIN3c104HalfElEEZZNS1_27merge_sort_block_merge_implIS3_PS6_N6thrust23THRUST_200600_302600_NS10device_ptrIlEEmNSB_4lessIS6_EEEE10hipError_tT0_T1_T2_jT3_P12ihipStream_tbPNSt15iterator_traitsISH_E10value_typeEPNSN_ISI_E10value_typeEPSJ_NS1_7vsmem_tEENKUlT_SH_SI_SJ_E_clIS9_S9_PlSD_EESG_SW_SH_SI_SJ_EUlSW_E0_NS1_11comp_targetILNS1_3genE4ELNS1_11target_archE910ELNS1_3gpuE8ELNS1_3repE0EEENS1_38merge_mergepath_config_static_selectorELNS0_4arch9wavefront6targetE1EEEvSI_ ; -- Begin function _ZN7rocprim17ROCPRIM_400000_NS6detail17trampoline_kernelINS0_14default_configENS1_38merge_sort_block_merge_config_selectorIN3c104HalfElEEZZNS1_27merge_sort_block_merge_implIS3_PS6_N6thrust23THRUST_200600_302600_NS10device_ptrIlEEmNSB_4lessIS6_EEEE10hipError_tT0_T1_T2_jT3_P12ihipStream_tbPNSt15iterator_traitsISH_E10value_typeEPNSN_ISI_E10value_typeEPSJ_NS1_7vsmem_tEENKUlT_SH_SI_SJ_E_clIS9_S9_PlSD_EESG_SW_SH_SI_SJ_EUlSW_E0_NS1_11comp_targetILNS1_3genE4ELNS1_11target_archE910ELNS1_3gpuE8ELNS1_3repE0EEENS1_38merge_mergepath_config_static_selectorELNS0_4arch9wavefront6targetE1EEEvSI_
	.globl	_ZN7rocprim17ROCPRIM_400000_NS6detail17trampoline_kernelINS0_14default_configENS1_38merge_sort_block_merge_config_selectorIN3c104HalfElEEZZNS1_27merge_sort_block_merge_implIS3_PS6_N6thrust23THRUST_200600_302600_NS10device_ptrIlEEmNSB_4lessIS6_EEEE10hipError_tT0_T1_T2_jT3_P12ihipStream_tbPNSt15iterator_traitsISH_E10value_typeEPNSN_ISI_E10value_typeEPSJ_NS1_7vsmem_tEENKUlT_SH_SI_SJ_E_clIS9_S9_PlSD_EESG_SW_SH_SI_SJ_EUlSW_E0_NS1_11comp_targetILNS1_3genE4ELNS1_11target_archE910ELNS1_3gpuE8ELNS1_3repE0EEENS1_38merge_mergepath_config_static_selectorELNS0_4arch9wavefront6targetE1EEEvSI_
	.p2align	8
	.type	_ZN7rocprim17ROCPRIM_400000_NS6detail17trampoline_kernelINS0_14default_configENS1_38merge_sort_block_merge_config_selectorIN3c104HalfElEEZZNS1_27merge_sort_block_merge_implIS3_PS6_N6thrust23THRUST_200600_302600_NS10device_ptrIlEEmNSB_4lessIS6_EEEE10hipError_tT0_T1_T2_jT3_P12ihipStream_tbPNSt15iterator_traitsISH_E10value_typeEPNSN_ISI_E10value_typeEPSJ_NS1_7vsmem_tEENKUlT_SH_SI_SJ_E_clIS9_S9_PlSD_EESG_SW_SH_SI_SJ_EUlSW_E0_NS1_11comp_targetILNS1_3genE4ELNS1_11target_archE910ELNS1_3gpuE8ELNS1_3repE0EEENS1_38merge_mergepath_config_static_selectorELNS0_4arch9wavefront6targetE1EEEvSI_,@function
_ZN7rocprim17ROCPRIM_400000_NS6detail17trampoline_kernelINS0_14default_configENS1_38merge_sort_block_merge_config_selectorIN3c104HalfElEEZZNS1_27merge_sort_block_merge_implIS3_PS6_N6thrust23THRUST_200600_302600_NS10device_ptrIlEEmNSB_4lessIS6_EEEE10hipError_tT0_T1_T2_jT3_P12ihipStream_tbPNSt15iterator_traitsISH_E10value_typeEPNSN_ISI_E10value_typeEPSJ_NS1_7vsmem_tEENKUlT_SH_SI_SJ_E_clIS9_S9_PlSD_EESG_SW_SH_SI_SJ_EUlSW_E0_NS1_11comp_targetILNS1_3genE4ELNS1_11target_archE910ELNS1_3gpuE8ELNS1_3repE0EEENS1_38merge_mergepath_config_static_selectorELNS0_4arch9wavefront6targetE1EEEvSI_: ; @_ZN7rocprim17ROCPRIM_400000_NS6detail17trampoline_kernelINS0_14default_configENS1_38merge_sort_block_merge_config_selectorIN3c104HalfElEEZZNS1_27merge_sort_block_merge_implIS3_PS6_N6thrust23THRUST_200600_302600_NS10device_ptrIlEEmNSB_4lessIS6_EEEE10hipError_tT0_T1_T2_jT3_P12ihipStream_tbPNSt15iterator_traitsISH_E10value_typeEPNSN_ISI_E10value_typeEPSJ_NS1_7vsmem_tEENKUlT_SH_SI_SJ_E_clIS9_S9_PlSD_EESG_SW_SH_SI_SJ_EUlSW_E0_NS1_11comp_targetILNS1_3genE4ELNS1_11target_archE910ELNS1_3gpuE8ELNS1_3repE0EEENS1_38merge_mergepath_config_static_selectorELNS0_4arch9wavefront6targetE1EEEvSI_
; %bb.0:
	s_load_dwordx2 s[28:29], s[4:5], 0x48
	s_load_dword s2, s[4:5], 0x38
	s_add_u32 s0, s4, 0x48
	s_addc_u32 s1, s5, 0
	s_waitcnt lgkmcnt(0)
	s_mul_i32 s3, s29, s8
	s_add_i32 s3, s3, s7
	s_mul_i32 s3, s3, s28
	s_add_i32 s26, s3, s6
	s_cmp_ge_u32 s26, s2
	s_cbranch_scc1 .LBB2137_55
; %bb.1:
	s_load_dwordx2 s[2:3], s[4:5], 0x40
	s_load_dwordx4 s[16:19], s[4:5], 0x28
	s_load_dwordx8 s[8:15], s[4:5], 0x8
	s_mov_b32 s27, 0
	s_lshl_b64 s[4:5], s[26:27], 3
	s_waitcnt lgkmcnt(0)
	s_add_u32 s2, s2, s4
	v_mov_b32_e32 v1, s18
	s_addc_u32 s3, s3, s5
	v_alignbit_b32 v1, s19, v1, 9
	s_load_dwordx4 s[20:23], s[2:3], 0x0
	v_readfirstlane_b32 s2, v1
	s_and_b32 s2, s2, -2
	s_sub_i32 s31, 0, s2
	s_and_b32 s4, s26, s31
	s_mov_b32 s5, s27
	s_lshl_b64 s[2:3], s[4:5], 10
	s_lshl_b64 s[24:25], s[26:27], 10
	s_sub_u32 s29, s24, s2
	s_subb_u32 s33, s25, s3
	s_lshl_b64 s[4:5], s[4:5], 11
	s_add_u32 s7, s4, s18
	s_addc_u32 s30, s5, s19
	s_add_u32 s4, s7, s29
	s_addc_u32 s5, s30, s33
	s_waitcnt lgkmcnt(0)
	s_sub_u32 s29, s4, s22
	s_subb_u32 s23, s5, s23
	s_add_u32 s34, s29, 0x400
	s_addc_u32 s35, s23, 0
	v_pk_mov_b32 v[2:3], s[34:35], s[34:35] op_sel:[0,1]
	v_cmp_lt_u64_e32 vcc, s[16:17], v[2:3]
	s_and_b64 s[36:37], vcc, exec
	s_cselect_b32 s29, s16, s34
	s_or_b32 s23, s26, s31
	s_cmp_lg_u32 s23, -1
	s_cbranch_scc1 .LBB2137_3
; %bb.2:
	s_sub_u32 s2, s7, s2
	s_subb_u32 s3, s30, s3
	v_pk_mov_b32 v[2:3], s[2:3], s[2:3] op_sel:[0,1]
	v_cmp_lt_u64_e32 vcc, s[16:17], v[2:3]
	s_and_b64 s[22:23], vcc, exec
	s_cselect_b32 s22, s16, s2
	s_add_u32 s2, s2, s18
	s_addc_u32 s3, s3, s19
	v_pk_mov_b32 v[2:3], s[2:3], s[2:3] op_sel:[0,1]
	v_cmp_lt_u64_e32 vcc, s[16:17], v[2:3]
	s_and_b64 s[18:19], vcc, exec
	s_cselect_b32 s29, s16, s2
.LBB2137_3:
	s_lshr_b64 s[30:31], s[16:17], 10
	s_cmp_lg_u64 s[30:31], s[26:27]
	s_cselect_b64 s[18:19], -1, 0
	s_sub_u32 s2, s4, s20
	s_subb_u32 s3, s5, s21
	v_pk_mov_b32 v[2:3], s[2:3], s[2:3] op_sel:[0,1]
	v_cmp_lt_u64_e32 vcc, s[16:17], v[2:3]
	s_and_b64 s[4:5], vcc, exec
	s_cselect_b32 s3, s17, s3
	s_cselect_b32 s2, s16, s2
	s_sub_i32 s17, s22, s20
	s_lshl_b64 s[4:5], s[20:21], 1
	s_add_u32 s22, s8, s4
	s_addc_u32 s23, s9, s5
	s_lshl_b64 s[4:5], s[2:3], 1
	s_add_u32 s7, s8, s4
	s_addc_u32 s8, s9, s5
	s_cmp_lt_u32 s6, s28
	v_mov_b32_e32 v7, 0
	s_cselect_b32 s4, 12, 18
	global_load_dword v1, v7, s[0:1] offset:14
	s_add_u32 s0, s0, s4
	s_addc_u32 s1, s1, 0
	global_load_ushort v2, v7, s[0:1]
	s_cmp_eq_u64 s[30:31], s[26:27]
	s_waitcnt vmcnt(1)
	v_lshrrev_b32_e32 v3, 16, v1
	v_and_b32_e32 v1, 0xffff, v1
	v_mul_lo_u32 v1, v1, v3
	s_waitcnt vmcnt(0)
	v_mul_lo_u32 v18, v1, v2
	v_add_u32_e32 v4, v18, v0
	v_lshlrev_b32_e32 v1, 1, v0
	v_add_u32_e32 v2, v4, v18
	s_cbranch_scc1 .LBB2137_5
; %bb.4:
	v_mov_b32_e32 v3, s23
	v_add_co_u32_e32 v5, vcc, s22, v1
	v_subrev_u32_e32 v6, s17, v0
	v_addc_co_u32_e32 v3, vcc, 0, v3, vcc
	v_lshlrev_b64 v[8:9], 1, v[6:7]
	v_mov_b32_e32 v6, s8
	v_add_co_u32_e32 v8, vcc, s7, v8
	v_addc_co_u32_e32 v6, vcc, v6, v9, vcc
	v_cmp_gt_u32_e32 vcc, s17, v0
	v_cndmask_b32_e32 v9, v6, v3, vcc
	v_cndmask_b32_e32 v8, v8, v5, vcc
	v_mov_b32_e32 v5, v7
	global_load_ushort v15, v[8:9], off
	v_lshlrev_b64 v[8:9], 1, v[4:5]
	v_mov_b32_e32 v3, s23
	v_add_co_u32_e32 v5, vcc, s22, v8
	v_subrev_u32_e32 v6, s17, v4
	v_addc_co_u32_e32 v3, vcc, v3, v9, vcc
	v_lshlrev_b64 v[8:9], 1, v[6:7]
	v_mov_b32_e32 v6, s8
	v_add_co_u32_e32 v8, vcc, s7, v8
	v_addc_co_u32_e32 v6, vcc, v6, v9, vcc
	v_cmp_gt_u32_e32 vcc, s17, v4
	v_cndmask_b32_e32 v9, v6, v3, vcc
	v_cndmask_b32_e32 v8, v8, v5, vcc
	v_mov_b32_e32 v3, v7
	global_load_ushort v16, v[8:9], off
	v_lshlrev_b64 v[8:9], 1, v[2:3]
	v_mov_b32_e32 v3, s23
	v_add_co_u32_e32 v5, vcc, s22, v8
	v_subrev_u32_e32 v6, s17, v2
	v_addc_co_u32_e32 v3, vcc, v3, v9, vcc
	v_lshlrev_b64 v[6:7], 1, v[6:7]
	v_mov_b32_e32 v8, s8
	v_add_co_u32_e32 v6, vcc, s7, v6
	v_addc_co_u32_e32 v7, vcc, v8, v7, vcc
	v_cmp_gt_u32_e32 vcc, s17, v2
	v_cndmask_b32_e32 v7, v7, v3, vcc
	v_cndmask_b32_e32 v6, v6, v5, vcc
	global_load_ushort v17, v[6:7], off
	v_add_u32_e32 v6, v2, v18
	s_mov_b64 s[0:1], -1
	s_sub_i32 s6, s29, s2
	s_cbranch_execz .LBB2137_6
	s_branch .LBB2137_13
.LBB2137_5:
	s_mov_b64 s[0:1], 0
                                        ; implicit-def: $vgpr17
                                        ; implicit-def: $vgpr16
                                        ; implicit-def: $vgpr15
                                        ; implicit-def: $vgpr6
	s_sub_i32 s6, s29, s2
.LBB2137_6:
	s_add_i32 s4, s17, s6
	v_cmp_gt_u32_e32 vcc, s4, v0
                                        ; implicit-def: $vgpr15
	s_and_saveexec_b64 s[0:1], vcc
	s_cbranch_execz .LBB2137_8
; %bb.7:
	v_mov_b32_e32 v7, 0
	v_mov_b32_e32 v3, s23
	v_add_co_u32_e32 v5, vcc, s22, v1
	v_subrev_u32_e32 v6, s17, v0
	v_addc_co_u32_e32 v3, vcc, 0, v3, vcc
	v_lshlrev_b64 v[6:7], 1, v[6:7]
	v_mov_b32_e32 v8, s8
	v_add_co_u32_e32 v6, vcc, s7, v6
	v_addc_co_u32_e32 v7, vcc, v8, v7, vcc
	v_cmp_gt_u32_e32 vcc, s17, v0
	v_cndmask_b32_e32 v7, v7, v3, vcc
	v_cndmask_b32_e32 v6, v6, v5, vcc
	global_load_ushort v15, v[6:7], off
.LBB2137_8:
	s_or_b64 exec, exec, s[0:1]
	v_cmp_gt_u32_e32 vcc, s4, v4
                                        ; implicit-def: $vgpr16
	s_and_saveexec_b64 s[0:1], vcc
	s_cbranch_execz .LBB2137_10
; %bb.9:
	v_mov_b32_e32 v5, 0
	v_lshlrev_b64 v[6:7], 1, v[4:5]
	v_mov_b32_e32 v3, s23
	v_add_co_u32_e32 v8, vcc, s22, v6
	v_addc_co_u32_e32 v3, vcc, v3, v7, vcc
	v_subrev_u32_e32 v6, s17, v4
	v_mov_b32_e32 v7, v5
	v_lshlrev_b64 v[6:7], 1, v[6:7]
	v_mov_b32_e32 v5, s8
	v_add_co_u32_e32 v6, vcc, s7, v6
	v_addc_co_u32_e32 v5, vcc, v5, v7, vcc
	v_cmp_gt_u32_e32 vcc, s17, v4
	v_cndmask_b32_e32 v7, v5, v3, vcc
	v_cndmask_b32_e32 v6, v6, v8, vcc
	global_load_ushort v16, v[6:7], off
.LBB2137_10:
	s_or_b64 exec, exec, s[0:1]
	v_cmp_gt_u32_e32 vcc, s4, v2
                                        ; implicit-def: $vgpr17
	s_and_saveexec_b64 s[0:1], vcc
	s_cbranch_execz .LBB2137_12
; %bb.11:
	v_mov_b32_e32 v3, 0
	v_lshlrev_b64 v[6:7], 1, v[2:3]
	v_mov_b32_e32 v5, s23
	v_add_co_u32_e32 v8, vcc, s22, v6
	v_addc_co_u32_e32 v5, vcc, v5, v7, vcc
	v_subrev_u32_e32 v6, s17, v2
	v_mov_b32_e32 v7, v3
	v_lshlrev_b64 v[6:7], 1, v[6:7]
	v_mov_b32_e32 v3, s8
	v_add_co_u32_e32 v6, vcc, s7, v6
	v_addc_co_u32_e32 v3, vcc, v3, v7, vcc
	v_cmp_gt_u32_e32 vcc, s17, v2
	v_cndmask_b32_e32 v7, v3, v5, vcc
	v_cndmask_b32_e32 v6, v6, v8, vcc
	global_load_ushort v17, v[6:7], off
.LBB2137_12:
	s_or_b64 exec, exec, s[0:1]
	v_add_u32_e32 v6, v2, v18
	v_cmp_gt_u32_e64 s[0:1], s4, v6
.LBB2137_13:
                                        ; implicit-def: $vgpr19
	s_and_saveexec_b64 s[4:5], s[0:1]
	s_cbranch_execz .LBB2137_15
; %bb.14:
	v_mov_b32_e32 v7, 0
	v_lshlrev_b64 v[8:9], 1, v[6:7]
	v_mov_b32_e32 v3, s23
	v_add_co_u32_e32 v5, vcc, s22, v8
	v_addc_co_u32_e32 v3, vcc, v3, v9, vcc
	v_cmp_gt_u32_e32 vcc, s17, v6
	v_subrev_u32_e32 v6, s17, v6
	v_lshlrev_b64 v[6:7], 1, v[6:7]
	v_mov_b32_e32 v8, s8
	v_add_co_u32_e64 v6, s[0:1], s7, v6
	v_addc_co_u32_e64 v7, s[0:1], v8, v7, s[0:1]
	v_cndmask_b32_e32 v7, v7, v3, vcc
	v_cndmask_b32_e32 v6, v6, v5, vcc
	global_load_ushort v19, v[6:7], off
.LBB2137_15:
	s_or_b64 exec, exec, s[4:5]
	s_lshl_b64 s[0:1], s[20:21], 3
	s_add_u32 s7, s12, s0
	s_addc_u32 s8, s13, s1
	s_lshl_b64 s[0:1], s[2:3], 3
	s_add_u32 s4, s12, s0
	s_addc_u32 s5, s13, s1
	s_andn2_b64 vcc, exec, s[18:19]
	v_lshlrev_b32_e32 v14, 3, v0
	s_waitcnt vmcnt(0)
	ds_write_b16 v1, v15
	ds_write_b16 v1, v16 offset:512
	ds_write_b16 v1, v17 offset:1024
	ds_write_b16 v1, v19 offset:1536
	s_cbranch_vccnz .LBB2137_17
; %bb.16:
	v_mov_b32_e32 v13, 0
	v_mov_b32_e32 v3, s8
	v_add_co_u32_e32 v5, vcc, s7, v14
	v_subrev_u32_e32 v12, s17, v0
	v_addc_co_u32_e32 v3, vcc, 0, v3, vcc
	v_lshlrev_b64 v[6:7], 3, v[12:13]
	v_mov_b32_e32 v8, s5
	v_add_co_u32_e32 v6, vcc, s4, v6
	v_addc_co_u32_e32 v7, vcc, v8, v7, vcc
	v_cmp_gt_u32_e32 vcc, s17, v0
	v_cndmask_b32_e32 v6, v6, v5, vcc
	v_mov_b32_e32 v5, v13
	v_lshlrev_b64 v[8:9], 3, v[4:5]
	v_cndmask_b32_e32 v7, v7, v3, vcc
	v_mov_b32_e32 v3, s8
	v_add_co_u32_e32 v5, vcc, s7, v8
	v_subrev_u32_e32 v12, s17, v4
	v_addc_co_u32_e32 v3, vcc, v3, v9, vcc
	v_lshlrev_b64 v[8:9], 3, v[12:13]
	v_mov_b32_e32 v10, s5
	v_add_co_u32_e32 v8, vcc, s4, v8
	v_addc_co_u32_e32 v9, vcc, v10, v9, vcc
	v_cmp_gt_u32_e32 vcc, s17, v4
	v_cndmask_b32_e32 v9, v9, v3, vcc
	v_mov_b32_e32 v3, v13
	v_lshlrev_b64 v[10:11], 3, v[2:3]
	v_cndmask_b32_e32 v8, v8, v5, vcc
	v_mov_b32_e32 v3, s8
	v_add_co_u32_e32 v5, vcc, s7, v10
	v_subrev_u32_e32 v12, s17, v2
	v_addc_co_u32_e32 v3, vcc, v3, v11, vcc
	v_lshlrev_b64 v[10:11], 3, v[12:13]
	v_mov_b32_e32 v12, s5
	v_add_co_u32_e32 v10, vcc, s4, v10
	v_addc_co_u32_e32 v11, vcc, v12, v11, vcc
	v_add_u32_e32 v12, v2, v18
	v_cmp_gt_u32_e32 vcc, s17, v2
	v_lshlrev_b64 v[20:21], 3, v[12:13]
	v_cndmask_b32_e32 v11, v11, v3, vcc
	v_cndmask_b32_e32 v10, v10, v5, vcc
	v_mov_b32_e32 v3, s8
	v_add_co_u32_e32 v5, vcc, s7, v20
	v_addc_co_u32_e32 v3, vcc, v3, v21, vcc
	v_cmp_gt_u32_e32 vcc, s17, v12
	v_subrev_u32_e32 v12, s17, v12
	v_lshlrev_b64 v[12:13], 3, v[12:13]
	v_mov_b32_e32 v20, s5
	v_add_co_u32_e64 v12, s[0:1], s4, v12
	v_addc_co_u32_e64 v13, s[0:1], v20, v13, s[0:1]
	v_cndmask_b32_e32 v13, v13, v3, vcc
	v_cndmask_b32_e32 v12, v12, v5, vcc
	global_load_dwordx2 v[6:7], v[6:7], off
	s_add_i32 s12, s17, s6
	global_load_dwordx2 v[8:9], v[8:9], off
	s_nop 0
	global_load_dwordx2 v[10:11], v[10:11], off
	s_nop 0
	global_load_dwordx2 v[12:13], v[12:13], off
	s_cbranch_execz .LBB2137_18
	s_branch .LBB2137_27
.LBB2137_17:
                                        ; implicit-def: $vgpr6_vgpr7
                                        ; implicit-def: $vgpr8_vgpr9
                                        ; implicit-def: $vgpr10_vgpr11
                                        ; implicit-def: $vgpr12_vgpr13
                                        ; implicit-def: $sgpr12
.LBB2137_18:
	s_add_i32 s12, s17, s6
	v_cmp_gt_u32_e32 vcc, s12, v0
                                        ; implicit-def: $vgpr6_vgpr7
	s_and_saveexec_b64 s[0:1], vcc
	s_cbranch_execz .LBB2137_20
; %bb.19:
	s_waitcnt vmcnt(3)
	v_mov_b32_e32 v7, 0
	v_mov_b32_e32 v3, s8
	v_add_co_u32_e32 v5, vcc, s7, v14
	v_subrev_u32_e32 v6, s17, v0
	v_addc_co_u32_e32 v3, vcc, 0, v3, vcc
	v_lshlrev_b64 v[6:7], 3, v[6:7]
	s_waitcnt vmcnt(2)
	v_mov_b32_e32 v8, s5
	v_add_co_u32_e32 v6, vcc, s4, v6
	v_addc_co_u32_e32 v7, vcc, v8, v7, vcc
	v_cmp_gt_u32_e32 vcc, s17, v0
	v_cndmask_b32_e32 v7, v7, v3, vcc
	v_cndmask_b32_e32 v6, v6, v5, vcc
	global_load_dwordx2 v[6:7], v[6:7], off
.LBB2137_20:
	s_or_b64 exec, exec, s[0:1]
	v_cmp_gt_u32_e32 vcc, s12, v4
                                        ; implicit-def: $vgpr8_vgpr9
	s_and_saveexec_b64 s[2:3], vcc
	s_cbranch_execz .LBB2137_22
; %bb.21:
	v_mov_b32_e32 v5, 0
	s_waitcnt vmcnt(2)
	v_lshlrev_b64 v[8:9], 3, v[4:5]
	v_mov_b32_e32 v3, s8
	v_add_co_u32_e32 v8, vcc, s7, v8
	v_addc_co_u32_e32 v3, vcc, v3, v9, vcc
	v_cmp_gt_u32_e32 vcc, s17, v4
	v_subrev_u32_e32 v4, s17, v4
	v_lshlrev_b64 v[4:5], 3, v[4:5]
	v_mov_b32_e32 v9, s5
	v_add_co_u32_e64 v4, s[0:1], s4, v4
	v_addc_co_u32_e64 v5, s[0:1], v9, v5, s[0:1]
	v_cndmask_b32_e32 v5, v5, v3, vcc
	v_cndmask_b32_e32 v4, v4, v8, vcc
	global_load_dwordx2 v[8:9], v[4:5], off
.LBB2137_22:
	s_or_b64 exec, exec, s[2:3]
	v_cmp_gt_u32_e32 vcc, s12, v2
                                        ; implicit-def: $vgpr10_vgpr11
	s_and_saveexec_b64 s[0:1], vcc
	s_cbranch_execz .LBB2137_24
; %bb.23:
	v_mov_b32_e32 v3, 0
	v_lshlrev_b64 v[4:5], 3, v[2:3]
	s_waitcnt vmcnt(1)
	v_mov_b32_e32 v10, s8
	v_add_co_u32_e32 v11, vcc, s7, v4
	v_addc_co_u32_e32 v10, vcc, v10, v5, vcc
	v_subrev_u32_e32 v4, s17, v2
	v_mov_b32_e32 v5, v3
	v_lshlrev_b64 v[4:5], 3, v[4:5]
	v_mov_b32_e32 v3, s5
	v_add_co_u32_e32 v4, vcc, s4, v4
	v_addc_co_u32_e32 v3, vcc, v3, v5, vcc
	v_cmp_gt_u32_e32 vcc, s17, v2
	v_cndmask_b32_e32 v5, v3, v10, vcc
	v_cndmask_b32_e32 v4, v4, v11, vcc
	global_load_dwordx2 v[10:11], v[4:5], off
.LBB2137_24:
	s_or_b64 exec, exec, s[0:1]
	v_add_u32_e32 v2, v2, v18
	v_cmp_gt_u32_e32 vcc, s12, v2
                                        ; implicit-def: $vgpr12_vgpr13
	s_and_saveexec_b64 s[2:3], vcc
	s_cbranch_execz .LBB2137_26
; %bb.25:
	v_mov_b32_e32 v3, 0
	v_lshlrev_b64 v[4:5], 3, v[2:3]
	s_waitcnt vmcnt(0)
	v_mov_b32_e32 v12, s8
	v_add_co_u32_e32 v4, vcc, s7, v4
	v_addc_co_u32_e32 v5, vcc, v12, v5, vcc
	v_cmp_gt_u32_e32 vcc, s17, v2
	v_subrev_u32_e32 v2, s17, v2
	v_lshlrev_b64 v[2:3], 3, v[2:3]
	v_mov_b32_e32 v12, s5
	v_add_co_u32_e64 v2, s[0:1], s4, v2
	v_addc_co_u32_e64 v3, s[0:1], v12, v3, s[0:1]
	v_cndmask_b32_e32 v3, v3, v5, vcc
	v_cndmask_b32_e32 v2, v2, v4, vcc
	global_load_dwordx2 v[12:13], v[2:3], off
.LBB2137_26:
	s_or_b64 exec, exec, s[2:3]
.LBB2137_27:
	v_lshlrev_b32_e32 v18, 2, v0
	v_min_u32_e32 v3, s12, v18
	v_sub_u32_e64 v2, v3, s6 clamp
	v_min_u32_e32 v4, s17, v3
	v_cmp_lt_u32_e32 vcc, v2, v4
	s_waitcnt lgkmcnt(0)
	s_barrier
	s_and_saveexec_b64 s[0:1], vcc
	s_cbranch_execz .LBB2137_31
; %bb.28:
	v_lshlrev_b32_e32 v5, 1, v3
	v_lshl_add_u32 v5, s17, 1, v5
	s_mov_b64 s[2:3], 0
.LBB2137_29:                            ; =>This Inner Loop Header: Depth=1
	v_add_u32_e32 v20, v4, v2
	v_lshrrev_b32_e32 v21, 1, v20
	v_not_b32_e32 v22, v21
	v_and_b32_e32 v20, -2, v20
	v_lshl_add_u32 v22, v22, 1, v5
	ds_read_u16 v20, v20
	ds_read_u16 v22, v22
	v_add_u32_e32 v23, 1, v21
	s_waitcnt lgkmcnt(0)
	v_cmp_lt_f16_e32 vcc, v22, v20
	v_cndmask_b32_e32 v4, v4, v21, vcc
	v_cndmask_b32_e32 v2, v23, v2, vcc
	v_cmp_ge_u32_e32 vcc, v2, v4
	s_or_b64 s[2:3], vcc, s[2:3]
	s_andn2_b64 exec, exec, s[2:3]
	s_cbranch_execnz .LBB2137_29
; %bb.30:
	s_or_b64 exec, exec, s[2:3]
.LBB2137_31:
	s_or_b64 exec, exec, s[0:1]
	v_sub_u32_e32 v3, v3, v2
	v_add_u32_e32 v20, s17, v3
	v_cmp_ge_u32_e32 vcc, s17, v2
	v_cmp_ge_u32_e64 s[0:1], s12, v20
	s_or_b64 s[0:1], vcc, s[0:1]
                                        ; implicit-def: $vgpr5
                                        ; implicit-def: $vgpr21
                                        ; implicit-def: $vgpr4
                                        ; implicit-def: $vgpr3
	s_and_saveexec_b64 s[8:9], s[0:1]
	s_cbranch_execz .LBB2137_37
; %bb.32:
	v_cmp_gt_u32_e32 vcc, s17, v2
                                        ; implicit-def: $vgpr5
	s_and_saveexec_b64 s[0:1], vcc
	s_cbranch_execz .LBB2137_34
; %bb.33:
	v_lshlrev_b32_e32 v3, 1, v2
	ds_read_u16 v5, v3
.LBB2137_34:
	s_or_b64 exec, exec, s[0:1]
	v_cmp_le_u32_e64 s[0:1], s12, v20
	v_cmp_gt_u32_e64 s[2:3], s12, v20
                                        ; implicit-def: $vgpr15
	s_and_saveexec_b64 s[4:5], s[2:3]
	s_cbranch_execz .LBB2137_36
; %bb.35:
	v_lshlrev_b32_e32 v3, 1, v20
	ds_read_u16 v15, v3
.LBB2137_36:
	s_or_b64 exec, exec, s[4:5]
	s_waitcnt lgkmcnt(0)
	v_cmp_nlt_f16_e64 s[2:3], v15, v5
	s_and_b64 s[2:3], vcc, s[2:3]
	s_or_b64 vcc, s[0:1], s[2:3]
	v_mov_b32_e32 v16, s12
	v_mov_b32_e32 v17, s17
	v_cndmask_b32_e32 v3, v20, v2, vcc
	v_cndmask_b32_e32 v4, v16, v17, vcc
	v_add_u32_e32 v19, 1, v3
	v_add_u32_e32 v4, -1, v4
	v_min_u32_e32 v4, v19, v4
	v_lshlrev_b32_e32 v4, 1, v4
	ds_read_u16 v4, v4
	v_cndmask_b32_e32 v2, v2, v19, vcc
	v_cndmask_b32_e32 v20, v19, v20, vcc
	v_cmp_gt_u32_e64 s[2:3], s17, v2
	v_cmp_le_u32_e64 s[0:1], s12, v20
	s_waitcnt lgkmcnt(0)
	v_cndmask_b32_e32 v22, v4, v15, vcc
	v_cndmask_b32_e32 v23, v5, v4, vcc
	v_cmp_nlt_f16_e64 s[4:5], v22, v23
	s_and_b64 s[2:3], s[2:3], s[4:5]
	s_or_b64 s[0:1], s[0:1], s[2:3]
	v_cndmask_b32_e64 v4, v20, v2, s[0:1]
	v_cndmask_b32_e64 v19, v16, v17, s[0:1]
	v_add_u32_e32 v21, 1, v4
	v_add_u32_e32 v19, -1, v19
	v_min_u32_e32 v19, v21, v19
	v_lshlrev_b32_e32 v19, 1, v19
	ds_read_u16 v19, v19
	v_cndmask_b32_e64 v2, v2, v21, s[0:1]
	v_cndmask_b32_e64 v20, v21, v20, s[0:1]
	v_cmp_gt_u32_e64 s[4:5], s17, v2
	v_cmp_le_u32_e64 s[2:3], s12, v20
	s_waitcnt lgkmcnt(0)
	v_cndmask_b32_e64 v24, v19, v22, s[0:1]
	v_cndmask_b32_e64 v19, v23, v19, s[0:1]
	v_cmp_nlt_f16_e64 s[6:7], v24, v19
	s_and_b64 s[4:5], s[4:5], s[6:7]
	s_or_b64 s[2:3], s[2:3], s[4:5]
	v_cndmask_b32_e64 v21, v20, v2, s[2:3]
	v_cndmask_b32_e64 v16, v16, v17, s[2:3]
	v_add_u32_e32 v25, 1, v21
	v_add_u32_e32 v16, -1, v16
	v_min_u32_e32 v16, v25, v16
	v_lshlrev_b32_e32 v16, 1, v16
	ds_read_u16 v26, v16
	v_cndmask_b32_e64 v16, v22, v23, s[0:1]
	v_cndmask_b32_e64 v17, v24, v19, s[2:3]
	;; [unrolled: 1-line block ×3, first 2 shown]
	v_cndmask_b32_e32 v15, v15, v5, vcc
	s_waitcnt lgkmcnt(0)
	v_cndmask_b32_e64 v22, v26, v24, s[2:3]
	v_cndmask_b32_e64 v19, v19, v26, s[2:3]
	;; [unrolled: 1-line block ×3, first 2 shown]
	v_cmp_gt_u32_e64 s[0:1], s17, v2
	v_cmp_nlt_f16_e64 s[2:3], v22, v19
	v_cmp_le_u32_e32 vcc, s12, v5
	s_and_b64 s[0:1], s[0:1], s[2:3]
	s_or_b64 vcc, vcc, s[0:1]
	v_cndmask_b32_e32 v5, v5, v2, vcc
	v_cndmask_b32_e32 v19, v22, v19, vcc
.LBB2137_37:
	s_or_b64 exec, exec, s[8:9]
	v_mad_u32_u24 v20, v0, 6, v1
	s_barrier
	s_waitcnt vmcnt(0)
	ds_write2st64_b64 v20, v[6:7], v[8:9] offset1:4
	ds_write2st64_b64 v20, v[10:11], v[12:13] offset0:8 offset1:12
	v_lshrrev_b32_e32 v10, 2, v0
	v_and_b32_e32 v10, 60, v10
	s_mov_b32 s2, 0x5040100
	v_lshlrev_b32_e32 v2, 3, v3
	v_lshlrev_b32_e32 v3, 3, v4
	;; [unrolled: 1-line block ×4, first 2 shown]
	v_add_u32_e32 v10, v20, v10
	v_perm_b32 v11, v19, v17, s2
	v_perm_b32 v12, v16, v15, s2
	s_waitcnt lgkmcnt(0)
	s_barrier
	ds_read_b64 v[6:7], v2
	ds_read_b64 v[8:9], v3
	;; [unrolled: 1-line block ×4, first 2 shown]
	s_waitcnt lgkmcnt(0)
	s_barrier
	s_barrier
	ds_write2_b32 v10, v12, v11 offset1:1
	v_lshrrev_b32_e32 v10, 4, v0
	v_and_b32_e32 v10, 12, v10
	v_or_b32_e32 v23, 0x100, v0
	v_add_u32_e32 v24, v1, v10
	v_lshrrev_b32_e32 v10, 4, v23
	v_and_b32_e32 v10, 28, v10
	v_or_b32_e32 v22, 0x200, v0
	v_add_u32_e32 v25, v1, v10
	v_lshrrev_b32_e32 v10, 4, v22
	s_lshl_b64 s[0:1], s[24:25], 1
	v_and_b32_e32 v10, 44, v10
	v_or_b32_e32 v19, 0x300, v0
	s_add_u32 s0, s10, s0
	v_add_u32_e32 v26, v1, v10
	v_lshrrev_b32_e32 v10, 4, v19
	s_addc_u32 s1, s11, s1
	v_and_b32_e32 v10, 60, v10
	v_add_u32_e32 v27, v1, v10
	v_mov_b32_e32 v11, s1
	v_add_co_u32_e32 v10, vcc, s0, v1
	v_lshrrev_b32_e32 v12, 5, v23
	v_lshrrev_b32_e32 v13, 5, v22
	;; [unrolled: 1-line block ×3, first 2 shown]
	v_addc_co_u32_e32 v11, vcc, 0, v11, vcc
	v_lshrrev_b32_e32 v21, 3, v0
	v_lshrrev_b32_e32 v15, 5, v0
	s_and_b64 vcc, exec, s[18:19]
	v_lshlrev_b32_e32 v18, 3, v18
	v_lshl_add_u32 v1, v12, 3, v20
	v_lshl_add_u32 v16, v13, 3, v20
	v_lshl_add_u32 v17, v17, 3, v20
	s_waitcnt lgkmcnt(0)
	s_cbranch_vccz .LBB2137_39
; %bb.38:
	s_barrier
	ds_read_u16 v12, v24
	ds_read_u16 v13, v25 offset:512
	ds_read_u16 v28, v26 offset:1024
	;; [unrolled: 1-line block ×3, first 2 shown]
	s_lshl_b64 s[0:1], s[24:25], 3
	s_add_u32 s0, s14, s0
	s_waitcnt lgkmcnt(3)
	global_store_short v[10:11], v12, off
	s_waitcnt lgkmcnt(2)
	global_store_short v[10:11], v13, off offset:512
	s_waitcnt lgkmcnt(1)
	global_store_short v[10:11], v28, off offset:1024
	;; [unrolled: 2-line block ×3, first 2 shown]
	v_lshl_add_u32 v12, v21, 3, v18
	s_barrier
	ds_write2_b64 v12, v[6:7], v[8:9] offset1:1
	ds_write2_b64 v12, v[2:3], v[4:5] offset0:2 offset1:3
	v_lshl_add_u32 v12, v15, 3, v20
	s_addc_u32 s1, s15, s1
	s_waitcnt lgkmcnt(0)
	s_barrier
	ds_read_b64 v[28:29], v12
	ds_read_b64 v[30:31], v1 offset:2048
	ds_read_b64 v[32:33], v16 offset:4096
	;; [unrolled: 1-line block ×3, first 2 shown]
	v_mov_b32_e32 v34, s1
	v_add_co_u32_e32 v35, vcc, s0, v14
	v_addc_co_u32_e32 v34, vcc, 0, v34, vcc
	s_waitcnt lgkmcnt(3)
	global_store_dwordx2 v14, v[28:29], s[0:1]
	s_waitcnt lgkmcnt(2)
	global_store_dwordx2 v14, v[30:31], s[0:1] offset:2048
	v_add_co_u32_e32 v28, vcc, 0x1000, v35
	v_addc_co_u32_e32 v29, vcc, 0, v34, vcc
	s_waitcnt lgkmcnt(1)
	global_store_dwordx2 v[28:29], v[32:33], off
	s_mov_b64 s[6:7], -1
	s_cbranch_execz .LBB2137_40
	s_branch .LBB2137_53
.LBB2137_39:
	s_mov_b64 s[6:7], 0
                                        ; implicit-def: $vgpr12_vgpr13
.LBB2137_40:
	s_barrier
	s_waitcnt lgkmcnt(0)
	ds_read_u16 v25, v25 offset:512
	ds_read_u16 v13, v26 offset:1024
	;; [unrolled: 1-line block ×3, first 2 shown]
	s_sub_i32 s6, s16, s24
	v_cmp_gt_u32_e32 vcc, s6, v0
	s_and_saveexec_b64 s[0:1], vcc
	s_cbranch_execz .LBB2137_44
; %bb.41:
	ds_read_u16 v0, v24
	s_waitcnt lgkmcnt(0)
	global_store_short v[10:11], v0, off
	s_or_b64 exec, exec, s[0:1]
	v_cmp_gt_u32_e64 s[0:1], s6, v23
	s_and_saveexec_b64 s[2:3], s[0:1]
	s_cbranch_execnz .LBB2137_45
.LBB2137_42:
	s_or_b64 exec, exec, s[2:3]
	v_cmp_gt_u32_e64 s[2:3], s6, v22
	s_and_saveexec_b64 s[4:5], s[2:3]
	s_cbranch_execz .LBB2137_46
.LBB2137_43:
	s_waitcnt lgkmcnt(1)
	global_store_short v[10:11], v13, off offset:1024
	s_or_b64 exec, exec, s[4:5]
	v_cmp_gt_u32_e64 s[6:7], s6, v19
	s_and_saveexec_b64 s[4:5], s[6:7]
	s_cbranch_execnz .LBB2137_47
	s_branch .LBB2137_48
.LBB2137_44:
	s_or_b64 exec, exec, s[0:1]
	v_cmp_gt_u32_e64 s[0:1], s6, v23
	s_and_saveexec_b64 s[2:3], s[0:1]
	s_cbranch_execz .LBB2137_42
.LBB2137_45:
	s_waitcnt lgkmcnt(2)
	global_store_short v[10:11], v25, off offset:512
	s_or_b64 exec, exec, s[2:3]
	v_cmp_gt_u32_e64 s[2:3], s6, v22
	s_and_saveexec_b64 s[4:5], s[2:3]
	s_cbranch_execnz .LBB2137_43
.LBB2137_46:
	s_or_b64 exec, exec, s[4:5]
	v_cmp_gt_u32_e64 s[6:7], s6, v19
	s_and_saveexec_b64 s[4:5], s[6:7]
	s_cbranch_execz .LBB2137_48
.LBB2137_47:
	s_waitcnt lgkmcnt(0)
	global_store_short v[10:11], v12, off offset:1536
.LBB2137_48:
	s_or_b64 exec, exec, s[4:5]
	v_lshl_add_u32 v0, v21, 3, v18
	s_waitcnt lgkmcnt(0)
	s_barrier
	ds_write2_b64 v0, v[6:7], v[8:9] offset1:1
	ds_write2_b64 v0, v[2:3], v[4:5] offset0:2 offset1:3
	s_waitcnt lgkmcnt(0)
	s_barrier
	ds_read_b64 v[4:5], v1 offset:2048
	ds_read_b64 v[0:1], v16 offset:4096
	;; [unrolled: 1-line block ×3, first 2 shown]
	s_lshl_b64 s[4:5], s[24:25], 3
	s_add_u32 s4, s14, s4
	s_addc_u32 s5, s15, s5
	v_mov_b32_e32 v3, s5
	v_add_co_u32_e64 v2, s[4:5], s4, v14
	v_addc_co_u32_e64 v3, s[4:5], 0, v3, s[4:5]
	s_and_saveexec_b64 s[4:5], vcc
	s_cbranch_execz .LBB2137_56
; %bb.49:
	v_lshl_add_u32 v6, v15, 3, v20
	ds_read_b64 v[6:7], v6
	s_waitcnt lgkmcnt(0)
	global_store_dwordx2 v[2:3], v[6:7], off
	s_or_b64 exec, exec, s[4:5]
	s_and_saveexec_b64 s[4:5], s[0:1]
	s_cbranch_execnz .LBB2137_57
.LBB2137_50:
	s_or_b64 exec, exec, s[4:5]
	s_and_saveexec_b64 s[0:1], s[2:3]
	s_cbranch_execz .LBB2137_52
.LBB2137_51:
	v_add_co_u32_e32 v2, vcc, 0x1000, v2
	v_addc_co_u32_e32 v3, vcc, 0, v3, vcc
	s_waitcnt lgkmcnt(1)
	global_store_dwordx2 v[2:3], v[0:1], off
.LBB2137_52:
	s_or_b64 exec, exec, s[0:1]
.LBB2137_53:
	s_and_saveexec_b64 s[0:1], s[6:7]
	s_cbranch_execz .LBB2137_55
; %bb.54:
	s_lshl_b64 s[0:1], s[24:25], 3
	s_add_u32 s0, s14, s0
	s_addc_u32 s1, s15, s1
	s_waitcnt lgkmcnt(1)
	v_mov_b32_e32 v0, s1
	v_add_co_u32_e32 v1, vcc, s0, v14
	v_addc_co_u32_e32 v2, vcc, 0, v0, vcc
	v_add_co_u32_e32 v0, vcc, 0x1000, v1
	v_addc_co_u32_e32 v1, vcc, 0, v2, vcc
	s_waitcnt lgkmcnt(0)
	global_store_dwordx2 v[0:1], v[12:13], off offset:2048
.LBB2137_55:
	s_endpgm
.LBB2137_56:
	s_or_b64 exec, exec, s[4:5]
	s_and_saveexec_b64 s[4:5], s[0:1]
	s_cbranch_execz .LBB2137_50
.LBB2137_57:
	s_waitcnt lgkmcnt(2)
	global_store_dwordx2 v[2:3], v[4:5], off offset:2048
	s_or_b64 exec, exec, s[4:5]
	s_and_saveexec_b64 s[0:1], s[2:3]
	s_cbranch_execnz .LBB2137_51
	s_branch .LBB2137_52
	.section	.rodata,"a",@progbits
	.p2align	6, 0x0
	.amdhsa_kernel _ZN7rocprim17ROCPRIM_400000_NS6detail17trampoline_kernelINS0_14default_configENS1_38merge_sort_block_merge_config_selectorIN3c104HalfElEEZZNS1_27merge_sort_block_merge_implIS3_PS6_N6thrust23THRUST_200600_302600_NS10device_ptrIlEEmNSB_4lessIS6_EEEE10hipError_tT0_T1_T2_jT3_P12ihipStream_tbPNSt15iterator_traitsISH_E10value_typeEPNSN_ISI_E10value_typeEPSJ_NS1_7vsmem_tEENKUlT_SH_SI_SJ_E_clIS9_S9_PlSD_EESG_SW_SH_SI_SJ_EUlSW_E0_NS1_11comp_targetILNS1_3genE4ELNS1_11target_archE910ELNS1_3gpuE8ELNS1_3repE0EEENS1_38merge_mergepath_config_static_selectorELNS0_4arch9wavefront6targetE1EEEvSI_
		.amdhsa_group_segment_fixed_size 8448
		.amdhsa_private_segment_fixed_size 0
		.amdhsa_kernarg_size 328
		.amdhsa_user_sgpr_count 6
		.amdhsa_user_sgpr_private_segment_buffer 1
		.amdhsa_user_sgpr_dispatch_ptr 0
		.amdhsa_user_sgpr_queue_ptr 0
		.amdhsa_user_sgpr_kernarg_segment_ptr 1
		.amdhsa_user_sgpr_dispatch_id 0
		.amdhsa_user_sgpr_flat_scratch_init 0
		.amdhsa_user_sgpr_kernarg_preload_length 0
		.amdhsa_user_sgpr_kernarg_preload_offset 0
		.amdhsa_user_sgpr_private_segment_size 0
		.amdhsa_uses_dynamic_stack 0
		.amdhsa_system_sgpr_private_segment_wavefront_offset 0
		.amdhsa_system_sgpr_workgroup_id_x 1
		.amdhsa_system_sgpr_workgroup_id_y 1
		.amdhsa_system_sgpr_workgroup_id_z 1
		.amdhsa_system_sgpr_workgroup_info 0
		.amdhsa_system_vgpr_workitem_id 0
		.amdhsa_next_free_vgpr 36
		.amdhsa_next_free_sgpr 38
		.amdhsa_accum_offset 36
		.amdhsa_reserve_vcc 1
		.amdhsa_reserve_flat_scratch 0
		.amdhsa_float_round_mode_32 0
		.amdhsa_float_round_mode_16_64 0
		.amdhsa_float_denorm_mode_32 3
		.amdhsa_float_denorm_mode_16_64 3
		.amdhsa_dx10_clamp 1
		.amdhsa_ieee_mode 1
		.amdhsa_fp16_overflow 0
		.amdhsa_tg_split 0
		.amdhsa_exception_fp_ieee_invalid_op 0
		.amdhsa_exception_fp_denorm_src 0
		.amdhsa_exception_fp_ieee_div_zero 0
		.amdhsa_exception_fp_ieee_overflow 0
		.amdhsa_exception_fp_ieee_underflow 0
		.amdhsa_exception_fp_ieee_inexact 0
		.amdhsa_exception_int_div_zero 0
	.end_amdhsa_kernel
	.section	.text._ZN7rocprim17ROCPRIM_400000_NS6detail17trampoline_kernelINS0_14default_configENS1_38merge_sort_block_merge_config_selectorIN3c104HalfElEEZZNS1_27merge_sort_block_merge_implIS3_PS6_N6thrust23THRUST_200600_302600_NS10device_ptrIlEEmNSB_4lessIS6_EEEE10hipError_tT0_T1_T2_jT3_P12ihipStream_tbPNSt15iterator_traitsISH_E10value_typeEPNSN_ISI_E10value_typeEPSJ_NS1_7vsmem_tEENKUlT_SH_SI_SJ_E_clIS9_S9_PlSD_EESG_SW_SH_SI_SJ_EUlSW_E0_NS1_11comp_targetILNS1_3genE4ELNS1_11target_archE910ELNS1_3gpuE8ELNS1_3repE0EEENS1_38merge_mergepath_config_static_selectorELNS0_4arch9wavefront6targetE1EEEvSI_,"axG",@progbits,_ZN7rocprim17ROCPRIM_400000_NS6detail17trampoline_kernelINS0_14default_configENS1_38merge_sort_block_merge_config_selectorIN3c104HalfElEEZZNS1_27merge_sort_block_merge_implIS3_PS6_N6thrust23THRUST_200600_302600_NS10device_ptrIlEEmNSB_4lessIS6_EEEE10hipError_tT0_T1_T2_jT3_P12ihipStream_tbPNSt15iterator_traitsISH_E10value_typeEPNSN_ISI_E10value_typeEPSJ_NS1_7vsmem_tEENKUlT_SH_SI_SJ_E_clIS9_S9_PlSD_EESG_SW_SH_SI_SJ_EUlSW_E0_NS1_11comp_targetILNS1_3genE4ELNS1_11target_archE910ELNS1_3gpuE8ELNS1_3repE0EEENS1_38merge_mergepath_config_static_selectorELNS0_4arch9wavefront6targetE1EEEvSI_,comdat
.Lfunc_end2137:
	.size	_ZN7rocprim17ROCPRIM_400000_NS6detail17trampoline_kernelINS0_14default_configENS1_38merge_sort_block_merge_config_selectorIN3c104HalfElEEZZNS1_27merge_sort_block_merge_implIS3_PS6_N6thrust23THRUST_200600_302600_NS10device_ptrIlEEmNSB_4lessIS6_EEEE10hipError_tT0_T1_T2_jT3_P12ihipStream_tbPNSt15iterator_traitsISH_E10value_typeEPNSN_ISI_E10value_typeEPSJ_NS1_7vsmem_tEENKUlT_SH_SI_SJ_E_clIS9_S9_PlSD_EESG_SW_SH_SI_SJ_EUlSW_E0_NS1_11comp_targetILNS1_3genE4ELNS1_11target_archE910ELNS1_3gpuE8ELNS1_3repE0EEENS1_38merge_mergepath_config_static_selectorELNS0_4arch9wavefront6targetE1EEEvSI_, .Lfunc_end2137-_ZN7rocprim17ROCPRIM_400000_NS6detail17trampoline_kernelINS0_14default_configENS1_38merge_sort_block_merge_config_selectorIN3c104HalfElEEZZNS1_27merge_sort_block_merge_implIS3_PS6_N6thrust23THRUST_200600_302600_NS10device_ptrIlEEmNSB_4lessIS6_EEEE10hipError_tT0_T1_T2_jT3_P12ihipStream_tbPNSt15iterator_traitsISH_E10value_typeEPNSN_ISI_E10value_typeEPSJ_NS1_7vsmem_tEENKUlT_SH_SI_SJ_E_clIS9_S9_PlSD_EESG_SW_SH_SI_SJ_EUlSW_E0_NS1_11comp_targetILNS1_3genE4ELNS1_11target_archE910ELNS1_3gpuE8ELNS1_3repE0EEENS1_38merge_mergepath_config_static_selectorELNS0_4arch9wavefront6targetE1EEEvSI_
                                        ; -- End function
	.section	.AMDGPU.csdata,"",@progbits
; Kernel info:
; codeLenInByte = 3432
; NumSgprs: 42
; NumVgprs: 36
; NumAgprs: 0
; TotalNumVgprs: 36
; ScratchSize: 0
; MemoryBound: 0
; FloatMode: 240
; IeeeMode: 1
; LDSByteSize: 8448 bytes/workgroup (compile time only)
; SGPRBlocks: 5
; VGPRBlocks: 4
; NumSGPRsForWavesPerEU: 42
; NumVGPRsForWavesPerEU: 36
; AccumOffset: 36
; Occupancy: 7
; WaveLimiterHint : 1
; COMPUTE_PGM_RSRC2:SCRATCH_EN: 0
; COMPUTE_PGM_RSRC2:USER_SGPR: 6
; COMPUTE_PGM_RSRC2:TRAP_HANDLER: 0
; COMPUTE_PGM_RSRC2:TGID_X_EN: 1
; COMPUTE_PGM_RSRC2:TGID_Y_EN: 1
; COMPUTE_PGM_RSRC2:TGID_Z_EN: 1
; COMPUTE_PGM_RSRC2:TIDIG_COMP_CNT: 0
; COMPUTE_PGM_RSRC3_GFX90A:ACCUM_OFFSET: 8
; COMPUTE_PGM_RSRC3_GFX90A:TG_SPLIT: 0
	.section	.text._ZN7rocprim17ROCPRIM_400000_NS6detail17trampoline_kernelINS0_14default_configENS1_38merge_sort_block_merge_config_selectorIN3c104HalfElEEZZNS1_27merge_sort_block_merge_implIS3_PS6_N6thrust23THRUST_200600_302600_NS10device_ptrIlEEmNSB_4lessIS6_EEEE10hipError_tT0_T1_T2_jT3_P12ihipStream_tbPNSt15iterator_traitsISH_E10value_typeEPNSN_ISI_E10value_typeEPSJ_NS1_7vsmem_tEENKUlT_SH_SI_SJ_E_clIS9_S9_PlSD_EESG_SW_SH_SI_SJ_EUlSW_E0_NS1_11comp_targetILNS1_3genE3ELNS1_11target_archE908ELNS1_3gpuE7ELNS1_3repE0EEENS1_38merge_mergepath_config_static_selectorELNS0_4arch9wavefront6targetE1EEEvSI_,"axG",@progbits,_ZN7rocprim17ROCPRIM_400000_NS6detail17trampoline_kernelINS0_14default_configENS1_38merge_sort_block_merge_config_selectorIN3c104HalfElEEZZNS1_27merge_sort_block_merge_implIS3_PS6_N6thrust23THRUST_200600_302600_NS10device_ptrIlEEmNSB_4lessIS6_EEEE10hipError_tT0_T1_T2_jT3_P12ihipStream_tbPNSt15iterator_traitsISH_E10value_typeEPNSN_ISI_E10value_typeEPSJ_NS1_7vsmem_tEENKUlT_SH_SI_SJ_E_clIS9_S9_PlSD_EESG_SW_SH_SI_SJ_EUlSW_E0_NS1_11comp_targetILNS1_3genE3ELNS1_11target_archE908ELNS1_3gpuE7ELNS1_3repE0EEENS1_38merge_mergepath_config_static_selectorELNS0_4arch9wavefront6targetE1EEEvSI_,comdat
	.protected	_ZN7rocprim17ROCPRIM_400000_NS6detail17trampoline_kernelINS0_14default_configENS1_38merge_sort_block_merge_config_selectorIN3c104HalfElEEZZNS1_27merge_sort_block_merge_implIS3_PS6_N6thrust23THRUST_200600_302600_NS10device_ptrIlEEmNSB_4lessIS6_EEEE10hipError_tT0_T1_T2_jT3_P12ihipStream_tbPNSt15iterator_traitsISH_E10value_typeEPNSN_ISI_E10value_typeEPSJ_NS1_7vsmem_tEENKUlT_SH_SI_SJ_E_clIS9_S9_PlSD_EESG_SW_SH_SI_SJ_EUlSW_E0_NS1_11comp_targetILNS1_3genE3ELNS1_11target_archE908ELNS1_3gpuE7ELNS1_3repE0EEENS1_38merge_mergepath_config_static_selectorELNS0_4arch9wavefront6targetE1EEEvSI_ ; -- Begin function _ZN7rocprim17ROCPRIM_400000_NS6detail17trampoline_kernelINS0_14default_configENS1_38merge_sort_block_merge_config_selectorIN3c104HalfElEEZZNS1_27merge_sort_block_merge_implIS3_PS6_N6thrust23THRUST_200600_302600_NS10device_ptrIlEEmNSB_4lessIS6_EEEE10hipError_tT0_T1_T2_jT3_P12ihipStream_tbPNSt15iterator_traitsISH_E10value_typeEPNSN_ISI_E10value_typeEPSJ_NS1_7vsmem_tEENKUlT_SH_SI_SJ_E_clIS9_S9_PlSD_EESG_SW_SH_SI_SJ_EUlSW_E0_NS1_11comp_targetILNS1_3genE3ELNS1_11target_archE908ELNS1_3gpuE7ELNS1_3repE0EEENS1_38merge_mergepath_config_static_selectorELNS0_4arch9wavefront6targetE1EEEvSI_
	.globl	_ZN7rocprim17ROCPRIM_400000_NS6detail17trampoline_kernelINS0_14default_configENS1_38merge_sort_block_merge_config_selectorIN3c104HalfElEEZZNS1_27merge_sort_block_merge_implIS3_PS6_N6thrust23THRUST_200600_302600_NS10device_ptrIlEEmNSB_4lessIS6_EEEE10hipError_tT0_T1_T2_jT3_P12ihipStream_tbPNSt15iterator_traitsISH_E10value_typeEPNSN_ISI_E10value_typeEPSJ_NS1_7vsmem_tEENKUlT_SH_SI_SJ_E_clIS9_S9_PlSD_EESG_SW_SH_SI_SJ_EUlSW_E0_NS1_11comp_targetILNS1_3genE3ELNS1_11target_archE908ELNS1_3gpuE7ELNS1_3repE0EEENS1_38merge_mergepath_config_static_selectorELNS0_4arch9wavefront6targetE1EEEvSI_
	.p2align	8
	.type	_ZN7rocprim17ROCPRIM_400000_NS6detail17trampoline_kernelINS0_14default_configENS1_38merge_sort_block_merge_config_selectorIN3c104HalfElEEZZNS1_27merge_sort_block_merge_implIS3_PS6_N6thrust23THRUST_200600_302600_NS10device_ptrIlEEmNSB_4lessIS6_EEEE10hipError_tT0_T1_T2_jT3_P12ihipStream_tbPNSt15iterator_traitsISH_E10value_typeEPNSN_ISI_E10value_typeEPSJ_NS1_7vsmem_tEENKUlT_SH_SI_SJ_E_clIS9_S9_PlSD_EESG_SW_SH_SI_SJ_EUlSW_E0_NS1_11comp_targetILNS1_3genE3ELNS1_11target_archE908ELNS1_3gpuE7ELNS1_3repE0EEENS1_38merge_mergepath_config_static_selectorELNS0_4arch9wavefront6targetE1EEEvSI_,@function
_ZN7rocprim17ROCPRIM_400000_NS6detail17trampoline_kernelINS0_14default_configENS1_38merge_sort_block_merge_config_selectorIN3c104HalfElEEZZNS1_27merge_sort_block_merge_implIS3_PS6_N6thrust23THRUST_200600_302600_NS10device_ptrIlEEmNSB_4lessIS6_EEEE10hipError_tT0_T1_T2_jT3_P12ihipStream_tbPNSt15iterator_traitsISH_E10value_typeEPNSN_ISI_E10value_typeEPSJ_NS1_7vsmem_tEENKUlT_SH_SI_SJ_E_clIS9_S9_PlSD_EESG_SW_SH_SI_SJ_EUlSW_E0_NS1_11comp_targetILNS1_3genE3ELNS1_11target_archE908ELNS1_3gpuE7ELNS1_3repE0EEENS1_38merge_mergepath_config_static_selectorELNS0_4arch9wavefront6targetE1EEEvSI_: ; @_ZN7rocprim17ROCPRIM_400000_NS6detail17trampoline_kernelINS0_14default_configENS1_38merge_sort_block_merge_config_selectorIN3c104HalfElEEZZNS1_27merge_sort_block_merge_implIS3_PS6_N6thrust23THRUST_200600_302600_NS10device_ptrIlEEmNSB_4lessIS6_EEEE10hipError_tT0_T1_T2_jT3_P12ihipStream_tbPNSt15iterator_traitsISH_E10value_typeEPNSN_ISI_E10value_typeEPSJ_NS1_7vsmem_tEENKUlT_SH_SI_SJ_E_clIS9_S9_PlSD_EESG_SW_SH_SI_SJ_EUlSW_E0_NS1_11comp_targetILNS1_3genE3ELNS1_11target_archE908ELNS1_3gpuE7ELNS1_3repE0EEENS1_38merge_mergepath_config_static_selectorELNS0_4arch9wavefront6targetE1EEEvSI_
; %bb.0:
	.section	.rodata,"a",@progbits
	.p2align	6, 0x0
	.amdhsa_kernel _ZN7rocprim17ROCPRIM_400000_NS6detail17trampoline_kernelINS0_14default_configENS1_38merge_sort_block_merge_config_selectorIN3c104HalfElEEZZNS1_27merge_sort_block_merge_implIS3_PS6_N6thrust23THRUST_200600_302600_NS10device_ptrIlEEmNSB_4lessIS6_EEEE10hipError_tT0_T1_T2_jT3_P12ihipStream_tbPNSt15iterator_traitsISH_E10value_typeEPNSN_ISI_E10value_typeEPSJ_NS1_7vsmem_tEENKUlT_SH_SI_SJ_E_clIS9_S9_PlSD_EESG_SW_SH_SI_SJ_EUlSW_E0_NS1_11comp_targetILNS1_3genE3ELNS1_11target_archE908ELNS1_3gpuE7ELNS1_3repE0EEENS1_38merge_mergepath_config_static_selectorELNS0_4arch9wavefront6targetE1EEEvSI_
		.amdhsa_group_segment_fixed_size 0
		.amdhsa_private_segment_fixed_size 0
		.amdhsa_kernarg_size 72
		.amdhsa_user_sgpr_count 6
		.amdhsa_user_sgpr_private_segment_buffer 1
		.amdhsa_user_sgpr_dispatch_ptr 0
		.amdhsa_user_sgpr_queue_ptr 0
		.amdhsa_user_sgpr_kernarg_segment_ptr 1
		.amdhsa_user_sgpr_dispatch_id 0
		.amdhsa_user_sgpr_flat_scratch_init 0
		.amdhsa_user_sgpr_kernarg_preload_length 0
		.amdhsa_user_sgpr_kernarg_preload_offset 0
		.amdhsa_user_sgpr_private_segment_size 0
		.amdhsa_uses_dynamic_stack 0
		.amdhsa_system_sgpr_private_segment_wavefront_offset 0
		.amdhsa_system_sgpr_workgroup_id_x 1
		.amdhsa_system_sgpr_workgroup_id_y 0
		.amdhsa_system_sgpr_workgroup_id_z 0
		.amdhsa_system_sgpr_workgroup_info 0
		.amdhsa_system_vgpr_workitem_id 0
		.amdhsa_next_free_vgpr 1
		.amdhsa_next_free_sgpr 0
		.amdhsa_accum_offset 4
		.amdhsa_reserve_vcc 0
		.amdhsa_reserve_flat_scratch 0
		.amdhsa_float_round_mode_32 0
		.amdhsa_float_round_mode_16_64 0
		.amdhsa_float_denorm_mode_32 3
		.amdhsa_float_denorm_mode_16_64 3
		.amdhsa_dx10_clamp 1
		.amdhsa_ieee_mode 1
		.amdhsa_fp16_overflow 0
		.amdhsa_tg_split 0
		.amdhsa_exception_fp_ieee_invalid_op 0
		.amdhsa_exception_fp_denorm_src 0
		.amdhsa_exception_fp_ieee_div_zero 0
		.amdhsa_exception_fp_ieee_overflow 0
		.amdhsa_exception_fp_ieee_underflow 0
		.amdhsa_exception_fp_ieee_inexact 0
		.amdhsa_exception_int_div_zero 0
	.end_amdhsa_kernel
	.section	.text._ZN7rocprim17ROCPRIM_400000_NS6detail17trampoline_kernelINS0_14default_configENS1_38merge_sort_block_merge_config_selectorIN3c104HalfElEEZZNS1_27merge_sort_block_merge_implIS3_PS6_N6thrust23THRUST_200600_302600_NS10device_ptrIlEEmNSB_4lessIS6_EEEE10hipError_tT0_T1_T2_jT3_P12ihipStream_tbPNSt15iterator_traitsISH_E10value_typeEPNSN_ISI_E10value_typeEPSJ_NS1_7vsmem_tEENKUlT_SH_SI_SJ_E_clIS9_S9_PlSD_EESG_SW_SH_SI_SJ_EUlSW_E0_NS1_11comp_targetILNS1_3genE3ELNS1_11target_archE908ELNS1_3gpuE7ELNS1_3repE0EEENS1_38merge_mergepath_config_static_selectorELNS0_4arch9wavefront6targetE1EEEvSI_,"axG",@progbits,_ZN7rocprim17ROCPRIM_400000_NS6detail17trampoline_kernelINS0_14default_configENS1_38merge_sort_block_merge_config_selectorIN3c104HalfElEEZZNS1_27merge_sort_block_merge_implIS3_PS6_N6thrust23THRUST_200600_302600_NS10device_ptrIlEEmNSB_4lessIS6_EEEE10hipError_tT0_T1_T2_jT3_P12ihipStream_tbPNSt15iterator_traitsISH_E10value_typeEPNSN_ISI_E10value_typeEPSJ_NS1_7vsmem_tEENKUlT_SH_SI_SJ_E_clIS9_S9_PlSD_EESG_SW_SH_SI_SJ_EUlSW_E0_NS1_11comp_targetILNS1_3genE3ELNS1_11target_archE908ELNS1_3gpuE7ELNS1_3repE0EEENS1_38merge_mergepath_config_static_selectorELNS0_4arch9wavefront6targetE1EEEvSI_,comdat
.Lfunc_end2138:
	.size	_ZN7rocprim17ROCPRIM_400000_NS6detail17trampoline_kernelINS0_14default_configENS1_38merge_sort_block_merge_config_selectorIN3c104HalfElEEZZNS1_27merge_sort_block_merge_implIS3_PS6_N6thrust23THRUST_200600_302600_NS10device_ptrIlEEmNSB_4lessIS6_EEEE10hipError_tT0_T1_T2_jT3_P12ihipStream_tbPNSt15iterator_traitsISH_E10value_typeEPNSN_ISI_E10value_typeEPSJ_NS1_7vsmem_tEENKUlT_SH_SI_SJ_E_clIS9_S9_PlSD_EESG_SW_SH_SI_SJ_EUlSW_E0_NS1_11comp_targetILNS1_3genE3ELNS1_11target_archE908ELNS1_3gpuE7ELNS1_3repE0EEENS1_38merge_mergepath_config_static_selectorELNS0_4arch9wavefront6targetE1EEEvSI_, .Lfunc_end2138-_ZN7rocprim17ROCPRIM_400000_NS6detail17trampoline_kernelINS0_14default_configENS1_38merge_sort_block_merge_config_selectorIN3c104HalfElEEZZNS1_27merge_sort_block_merge_implIS3_PS6_N6thrust23THRUST_200600_302600_NS10device_ptrIlEEmNSB_4lessIS6_EEEE10hipError_tT0_T1_T2_jT3_P12ihipStream_tbPNSt15iterator_traitsISH_E10value_typeEPNSN_ISI_E10value_typeEPSJ_NS1_7vsmem_tEENKUlT_SH_SI_SJ_E_clIS9_S9_PlSD_EESG_SW_SH_SI_SJ_EUlSW_E0_NS1_11comp_targetILNS1_3genE3ELNS1_11target_archE908ELNS1_3gpuE7ELNS1_3repE0EEENS1_38merge_mergepath_config_static_selectorELNS0_4arch9wavefront6targetE1EEEvSI_
                                        ; -- End function
	.section	.AMDGPU.csdata,"",@progbits
; Kernel info:
; codeLenInByte = 0
; NumSgprs: 4
; NumVgprs: 0
; NumAgprs: 0
; TotalNumVgprs: 0
; ScratchSize: 0
; MemoryBound: 0
; FloatMode: 240
; IeeeMode: 1
; LDSByteSize: 0 bytes/workgroup (compile time only)
; SGPRBlocks: 0
; VGPRBlocks: 0
; NumSGPRsForWavesPerEU: 4
; NumVGPRsForWavesPerEU: 1
; AccumOffset: 4
; Occupancy: 8
; WaveLimiterHint : 0
; COMPUTE_PGM_RSRC2:SCRATCH_EN: 0
; COMPUTE_PGM_RSRC2:USER_SGPR: 6
; COMPUTE_PGM_RSRC2:TRAP_HANDLER: 0
; COMPUTE_PGM_RSRC2:TGID_X_EN: 1
; COMPUTE_PGM_RSRC2:TGID_Y_EN: 0
; COMPUTE_PGM_RSRC2:TGID_Z_EN: 0
; COMPUTE_PGM_RSRC2:TIDIG_COMP_CNT: 0
; COMPUTE_PGM_RSRC3_GFX90A:ACCUM_OFFSET: 0
; COMPUTE_PGM_RSRC3_GFX90A:TG_SPLIT: 0
	.section	.text._ZN7rocprim17ROCPRIM_400000_NS6detail17trampoline_kernelINS0_14default_configENS1_38merge_sort_block_merge_config_selectorIN3c104HalfElEEZZNS1_27merge_sort_block_merge_implIS3_PS6_N6thrust23THRUST_200600_302600_NS10device_ptrIlEEmNSB_4lessIS6_EEEE10hipError_tT0_T1_T2_jT3_P12ihipStream_tbPNSt15iterator_traitsISH_E10value_typeEPNSN_ISI_E10value_typeEPSJ_NS1_7vsmem_tEENKUlT_SH_SI_SJ_E_clIS9_S9_PlSD_EESG_SW_SH_SI_SJ_EUlSW_E0_NS1_11comp_targetILNS1_3genE2ELNS1_11target_archE906ELNS1_3gpuE6ELNS1_3repE0EEENS1_38merge_mergepath_config_static_selectorELNS0_4arch9wavefront6targetE1EEEvSI_,"axG",@progbits,_ZN7rocprim17ROCPRIM_400000_NS6detail17trampoline_kernelINS0_14default_configENS1_38merge_sort_block_merge_config_selectorIN3c104HalfElEEZZNS1_27merge_sort_block_merge_implIS3_PS6_N6thrust23THRUST_200600_302600_NS10device_ptrIlEEmNSB_4lessIS6_EEEE10hipError_tT0_T1_T2_jT3_P12ihipStream_tbPNSt15iterator_traitsISH_E10value_typeEPNSN_ISI_E10value_typeEPSJ_NS1_7vsmem_tEENKUlT_SH_SI_SJ_E_clIS9_S9_PlSD_EESG_SW_SH_SI_SJ_EUlSW_E0_NS1_11comp_targetILNS1_3genE2ELNS1_11target_archE906ELNS1_3gpuE6ELNS1_3repE0EEENS1_38merge_mergepath_config_static_selectorELNS0_4arch9wavefront6targetE1EEEvSI_,comdat
	.protected	_ZN7rocprim17ROCPRIM_400000_NS6detail17trampoline_kernelINS0_14default_configENS1_38merge_sort_block_merge_config_selectorIN3c104HalfElEEZZNS1_27merge_sort_block_merge_implIS3_PS6_N6thrust23THRUST_200600_302600_NS10device_ptrIlEEmNSB_4lessIS6_EEEE10hipError_tT0_T1_T2_jT3_P12ihipStream_tbPNSt15iterator_traitsISH_E10value_typeEPNSN_ISI_E10value_typeEPSJ_NS1_7vsmem_tEENKUlT_SH_SI_SJ_E_clIS9_S9_PlSD_EESG_SW_SH_SI_SJ_EUlSW_E0_NS1_11comp_targetILNS1_3genE2ELNS1_11target_archE906ELNS1_3gpuE6ELNS1_3repE0EEENS1_38merge_mergepath_config_static_selectorELNS0_4arch9wavefront6targetE1EEEvSI_ ; -- Begin function _ZN7rocprim17ROCPRIM_400000_NS6detail17trampoline_kernelINS0_14default_configENS1_38merge_sort_block_merge_config_selectorIN3c104HalfElEEZZNS1_27merge_sort_block_merge_implIS3_PS6_N6thrust23THRUST_200600_302600_NS10device_ptrIlEEmNSB_4lessIS6_EEEE10hipError_tT0_T1_T2_jT3_P12ihipStream_tbPNSt15iterator_traitsISH_E10value_typeEPNSN_ISI_E10value_typeEPSJ_NS1_7vsmem_tEENKUlT_SH_SI_SJ_E_clIS9_S9_PlSD_EESG_SW_SH_SI_SJ_EUlSW_E0_NS1_11comp_targetILNS1_3genE2ELNS1_11target_archE906ELNS1_3gpuE6ELNS1_3repE0EEENS1_38merge_mergepath_config_static_selectorELNS0_4arch9wavefront6targetE1EEEvSI_
	.globl	_ZN7rocprim17ROCPRIM_400000_NS6detail17trampoline_kernelINS0_14default_configENS1_38merge_sort_block_merge_config_selectorIN3c104HalfElEEZZNS1_27merge_sort_block_merge_implIS3_PS6_N6thrust23THRUST_200600_302600_NS10device_ptrIlEEmNSB_4lessIS6_EEEE10hipError_tT0_T1_T2_jT3_P12ihipStream_tbPNSt15iterator_traitsISH_E10value_typeEPNSN_ISI_E10value_typeEPSJ_NS1_7vsmem_tEENKUlT_SH_SI_SJ_E_clIS9_S9_PlSD_EESG_SW_SH_SI_SJ_EUlSW_E0_NS1_11comp_targetILNS1_3genE2ELNS1_11target_archE906ELNS1_3gpuE6ELNS1_3repE0EEENS1_38merge_mergepath_config_static_selectorELNS0_4arch9wavefront6targetE1EEEvSI_
	.p2align	8
	.type	_ZN7rocprim17ROCPRIM_400000_NS6detail17trampoline_kernelINS0_14default_configENS1_38merge_sort_block_merge_config_selectorIN3c104HalfElEEZZNS1_27merge_sort_block_merge_implIS3_PS6_N6thrust23THRUST_200600_302600_NS10device_ptrIlEEmNSB_4lessIS6_EEEE10hipError_tT0_T1_T2_jT3_P12ihipStream_tbPNSt15iterator_traitsISH_E10value_typeEPNSN_ISI_E10value_typeEPSJ_NS1_7vsmem_tEENKUlT_SH_SI_SJ_E_clIS9_S9_PlSD_EESG_SW_SH_SI_SJ_EUlSW_E0_NS1_11comp_targetILNS1_3genE2ELNS1_11target_archE906ELNS1_3gpuE6ELNS1_3repE0EEENS1_38merge_mergepath_config_static_selectorELNS0_4arch9wavefront6targetE1EEEvSI_,@function
_ZN7rocprim17ROCPRIM_400000_NS6detail17trampoline_kernelINS0_14default_configENS1_38merge_sort_block_merge_config_selectorIN3c104HalfElEEZZNS1_27merge_sort_block_merge_implIS3_PS6_N6thrust23THRUST_200600_302600_NS10device_ptrIlEEmNSB_4lessIS6_EEEE10hipError_tT0_T1_T2_jT3_P12ihipStream_tbPNSt15iterator_traitsISH_E10value_typeEPNSN_ISI_E10value_typeEPSJ_NS1_7vsmem_tEENKUlT_SH_SI_SJ_E_clIS9_S9_PlSD_EESG_SW_SH_SI_SJ_EUlSW_E0_NS1_11comp_targetILNS1_3genE2ELNS1_11target_archE906ELNS1_3gpuE6ELNS1_3repE0EEENS1_38merge_mergepath_config_static_selectorELNS0_4arch9wavefront6targetE1EEEvSI_: ; @_ZN7rocprim17ROCPRIM_400000_NS6detail17trampoline_kernelINS0_14default_configENS1_38merge_sort_block_merge_config_selectorIN3c104HalfElEEZZNS1_27merge_sort_block_merge_implIS3_PS6_N6thrust23THRUST_200600_302600_NS10device_ptrIlEEmNSB_4lessIS6_EEEE10hipError_tT0_T1_T2_jT3_P12ihipStream_tbPNSt15iterator_traitsISH_E10value_typeEPNSN_ISI_E10value_typeEPSJ_NS1_7vsmem_tEENKUlT_SH_SI_SJ_E_clIS9_S9_PlSD_EESG_SW_SH_SI_SJ_EUlSW_E0_NS1_11comp_targetILNS1_3genE2ELNS1_11target_archE906ELNS1_3gpuE6ELNS1_3repE0EEENS1_38merge_mergepath_config_static_selectorELNS0_4arch9wavefront6targetE1EEEvSI_
; %bb.0:
	.section	.rodata,"a",@progbits
	.p2align	6, 0x0
	.amdhsa_kernel _ZN7rocprim17ROCPRIM_400000_NS6detail17trampoline_kernelINS0_14default_configENS1_38merge_sort_block_merge_config_selectorIN3c104HalfElEEZZNS1_27merge_sort_block_merge_implIS3_PS6_N6thrust23THRUST_200600_302600_NS10device_ptrIlEEmNSB_4lessIS6_EEEE10hipError_tT0_T1_T2_jT3_P12ihipStream_tbPNSt15iterator_traitsISH_E10value_typeEPNSN_ISI_E10value_typeEPSJ_NS1_7vsmem_tEENKUlT_SH_SI_SJ_E_clIS9_S9_PlSD_EESG_SW_SH_SI_SJ_EUlSW_E0_NS1_11comp_targetILNS1_3genE2ELNS1_11target_archE906ELNS1_3gpuE6ELNS1_3repE0EEENS1_38merge_mergepath_config_static_selectorELNS0_4arch9wavefront6targetE1EEEvSI_
		.amdhsa_group_segment_fixed_size 0
		.amdhsa_private_segment_fixed_size 0
		.amdhsa_kernarg_size 72
		.amdhsa_user_sgpr_count 6
		.amdhsa_user_sgpr_private_segment_buffer 1
		.amdhsa_user_sgpr_dispatch_ptr 0
		.amdhsa_user_sgpr_queue_ptr 0
		.amdhsa_user_sgpr_kernarg_segment_ptr 1
		.amdhsa_user_sgpr_dispatch_id 0
		.amdhsa_user_sgpr_flat_scratch_init 0
		.amdhsa_user_sgpr_kernarg_preload_length 0
		.amdhsa_user_sgpr_kernarg_preload_offset 0
		.amdhsa_user_sgpr_private_segment_size 0
		.amdhsa_uses_dynamic_stack 0
		.amdhsa_system_sgpr_private_segment_wavefront_offset 0
		.amdhsa_system_sgpr_workgroup_id_x 1
		.amdhsa_system_sgpr_workgroup_id_y 0
		.amdhsa_system_sgpr_workgroup_id_z 0
		.amdhsa_system_sgpr_workgroup_info 0
		.amdhsa_system_vgpr_workitem_id 0
		.amdhsa_next_free_vgpr 1
		.amdhsa_next_free_sgpr 0
		.amdhsa_accum_offset 4
		.amdhsa_reserve_vcc 0
		.amdhsa_reserve_flat_scratch 0
		.amdhsa_float_round_mode_32 0
		.amdhsa_float_round_mode_16_64 0
		.amdhsa_float_denorm_mode_32 3
		.amdhsa_float_denorm_mode_16_64 3
		.amdhsa_dx10_clamp 1
		.amdhsa_ieee_mode 1
		.amdhsa_fp16_overflow 0
		.amdhsa_tg_split 0
		.amdhsa_exception_fp_ieee_invalid_op 0
		.amdhsa_exception_fp_denorm_src 0
		.amdhsa_exception_fp_ieee_div_zero 0
		.amdhsa_exception_fp_ieee_overflow 0
		.amdhsa_exception_fp_ieee_underflow 0
		.amdhsa_exception_fp_ieee_inexact 0
		.amdhsa_exception_int_div_zero 0
	.end_amdhsa_kernel
	.section	.text._ZN7rocprim17ROCPRIM_400000_NS6detail17trampoline_kernelINS0_14default_configENS1_38merge_sort_block_merge_config_selectorIN3c104HalfElEEZZNS1_27merge_sort_block_merge_implIS3_PS6_N6thrust23THRUST_200600_302600_NS10device_ptrIlEEmNSB_4lessIS6_EEEE10hipError_tT0_T1_T2_jT3_P12ihipStream_tbPNSt15iterator_traitsISH_E10value_typeEPNSN_ISI_E10value_typeEPSJ_NS1_7vsmem_tEENKUlT_SH_SI_SJ_E_clIS9_S9_PlSD_EESG_SW_SH_SI_SJ_EUlSW_E0_NS1_11comp_targetILNS1_3genE2ELNS1_11target_archE906ELNS1_3gpuE6ELNS1_3repE0EEENS1_38merge_mergepath_config_static_selectorELNS0_4arch9wavefront6targetE1EEEvSI_,"axG",@progbits,_ZN7rocprim17ROCPRIM_400000_NS6detail17trampoline_kernelINS0_14default_configENS1_38merge_sort_block_merge_config_selectorIN3c104HalfElEEZZNS1_27merge_sort_block_merge_implIS3_PS6_N6thrust23THRUST_200600_302600_NS10device_ptrIlEEmNSB_4lessIS6_EEEE10hipError_tT0_T1_T2_jT3_P12ihipStream_tbPNSt15iterator_traitsISH_E10value_typeEPNSN_ISI_E10value_typeEPSJ_NS1_7vsmem_tEENKUlT_SH_SI_SJ_E_clIS9_S9_PlSD_EESG_SW_SH_SI_SJ_EUlSW_E0_NS1_11comp_targetILNS1_3genE2ELNS1_11target_archE906ELNS1_3gpuE6ELNS1_3repE0EEENS1_38merge_mergepath_config_static_selectorELNS0_4arch9wavefront6targetE1EEEvSI_,comdat
.Lfunc_end2139:
	.size	_ZN7rocprim17ROCPRIM_400000_NS6detail17trampoline_kernelINS0_14default_configENS1_38merge_sort_block_merge_config_selectorIN3c104HalfElEEZZNS1_27merge_sort_block_merge_implIS3_PS6_N6thrust23THRUST_200600_302600_NS10device_ptrIlEEmNSB_4lessIS6_EEEE10hipError_tT0_T1_T2_jT3_P12ihipStream_tbPNSt15iterator_traitsISH_E10value_typeEPNSN_ISI_E10value_typeEPSJ_NS1_7vsmem_tEENKUlT_SH_SI_SJ_E_clIS9_S9_PlSD_EESG_SW_SH_SI_SJ_EUlSW_E0_NS1_11comp_targetILNS1_3genE2ELNS1_11target_archE906ELNS1_3gpuE6ELNS1_3repE0EEENS1_38merge_mergepath_config_static_selectorELNS0_4arch9wavefront6targetE1EEEvSI_, .Lfunc_end2139-_ZN7rocprim17ROCPRIM_400000_NS6detail17trampoline_kernelINS0_14default_configENS1_38merge_sort_block_merge_config_selectorIN3c104HalfElEEZZNS1_27merge_sort_block_merge_implIS3_PS6_N6thrust23THRUST_200600_302600_NS10device_ptrIlEEmNSB_4lessIS6_EEEE10hipError_tT0_T1_T2_jT3_P12ihipStream_tbPNSt15iterator_traitsISH_E10value_typeEPNSN_ISI_E10value_typeEPSJ_NS1_7vsmem_tEENKUlT_SH_SI_SJ_E_clIS9_S9_PlSD_EESG_SW_SH_SI_SJ_EUlSW_E0_NS1_11comp_targetILNS1_3genE2ELNS1_11target_archE906ELNS1_3gpuE6ELNS1_3repE0EEENS1_38merge_mergepath_config_static_selectorELNS0_4arch9wavefront6targetE1EEEvSI_
                                        ; -- End function
	.section	.AMDGPU.csdata,"",@progbits
; Kernel info:
; codeLenInByte = 0
; NumSgprs: 4
; NumVgprs: 0
; NumAgprs: 0
; TotalNumVgprs: 0
; ScratchSize: 0
; MemoryBound: 0
; FloatMode: 240
; IeeeMode: 1
; LDSByteSize: 0 bytes/workgroup (compile time only)
; SGPRBlocks: 0
; VGPRBlocks: 0
; NumSGPRsForWavesPerEU: 4
; NumVGPRsForWavesPerEU: 1
; AccumOffset: 4
; Occupancy: 8
; WaveLimiterHint : 0
; COMPUTE_PGM_RSRC2:SCRATCH_EN: 0
; COMPUTE_PGM_RSRC2:USER_SGPR: 6
; COMPUTE_PGM_RSRC2:TRAP_HANDLER: 0
; COMPUTE_PGM_RSRC2:TGID_X_EN: 1
; COMPUTE_PGM_RSRC2:TGID_Y_EN: 0
; COMPUTE_PGM_RSRC2:TGID_Z_EN: 0
; COMPUTE_PGM_RSRC2:TIDIG_COMP_CNT: 0
; COMPUTE_PGM_RSRC3_GFX90A:ACCUM_OFFSET: 0
; COMPUTE_PGM_RSRC3_GFX90A:TG_SPLIT: 0
	.section	.text._ZN7rocprim17ROCPRIM_400000_NS6detail17trampoline_kernelINS0_14default_configENS1_38merge_sort_block_merge_config_selectorIN3c104HalfElEEZZNS1_27merge_sort_block_merge_implIS3_PS6_N6thrust23THRUST_200600_302600_NS10device_ptrIlEEmNSB_4lessIS6_EEEE10hipError_tT0_T1_T2_jT3_P12ihipStream_tbPNSt15iterator_traitsISH_E10value_typeEPNSN_ISI_E10value_typeEPSJ_NS1_7vsmem_tEENKUlT_SH_SI_SJ_E_clIS9_S9_PlSD_EESG_SW_SH_SI_SJ_EUlSW_E0_NS1_11comp_targetILNS1_3genE9ELNS1_11target_archE1100ELNS1_3gpuE3ELNS1_3repE0EEENS1_38merge_mergepath_config_static_selectorELNS0_4arch9wavefront6targetE1EEEvSI_,"axG",@progbits,_ZN7rocprim17ROCPRIM_400000_NS6detail17trampoline_kernelINS0_14default_configENS1_38merge_sort_block_merge_config_selectorIN3c104HalfElEEZZNS1_27merge_sort_block_merge_implIS3_PS6_N6thrust23THRUST_200600_302600_NS10device_ptrIlEEmNSB_4lessIS6_EEEE10hipError_tT0_T1_T2_jT3_P12ihipStream_tbPNSt15iterator_traitsISH_E10value_typeEPNSN_ISI_E10value_typeEPSJ_NS1_7vsmem_tEENKUlT_SH_SI_SJ_E_clIS9_S9_PlSD_EESG_SW_SH_SI_SJ_EUlSW_E0_NS1_11comp_targetILNS1_3genE9ELNS1_11target_archE1100ELNS1_3gpuE3ELNS1_3repE0EEENS1_38merge_mergepath_config_static_selectorELNS0_4arch9wavefront6targetE1EEEvSI_,comdat
	.protected	_ZN7rocprim17ROCPRIM_400000_NS6detail17trampoline_kernelINS0_14default_configENS1_38merge_sort_block_merge_config_selectorIN3c104HalfElEEZZNS1_27merge_sort_block_merge_implIS3_PS6_N6thrust23THRUST_200600_302600_NS10device_ptrIlEEmNSB_4lessIS6_EEEE10hipError_tT0_T1_T2_jT3_P12ihipStream_tbPNSt15iterator_traitsISH_E10value_typeEPNSN_ISI_E10value_typeEPSJ_NS1_7vsmem_tEENKUlT_SH_SI_SJ_E_clIS9_S9_PlSD_EESG_SW_SH_SI_SJ_EUlSW_E0_NS1_11comp_targetILNS1_3genE9ELNS1_11target_archE1100ELNS1_3gpuE3ELNS1_3repE0EEENS1_38merge_mergepath_config_static_selectorELNS0_4arch9wavefront6targetE1EEEvSI_ ; -- Begin function _ZN7rocprim17ROCPRIM_400000_NS6detail17trampoline_kernelINS0_14default_configENS1_38merge_sort_block_merge_config_selectorIN3c104HalfElEEZZNS1_27merge_sort_block_merge_implIS3_PS6_N6thrust23THRUST_200600_302600_NS10device_ptrIlEEmNSB_4lessIS6_EEEE10hipError_tT0_T1_T2_jT3_P12ihipStream_tbPNSt15iterator_traitsISH_E10value_typeEPNSN_ISI_E10value_typeEPSJ_NS1_7vsmem_tEENKUlT_SH_SI_SJ_E_clIS9_S9_PlSD_EESG_SW_SH_SI_SJ_EUlSW_E0_NS1_11comp_targetILNS1_3genE9ELNS1_11target_archE1100ELNS1_3gpuE3ELNS1_3repE0EEENS1_38merge_mergepath_config_static_selectorELNS0_4arch9wavefront6targetE1EEEvSI_
	.globl	_ZN7rocprim17ROCPRIM_400000_NS6detail17trampoline_kernelINS0_14default_configENS1_38merge_sort_block_merge_config_selectorIN3c104HalfElEEZZNS1_27merge_sort_block_merge_implIS3_PS6_N6thrust23THRUST_200600_302600_NS10device_ptrIlEEmNSB_4lessIS6_EEEE10hipError_tT0_T1_T2_jT3_P12ihipStream_tbPNSt15iterator_traitsISH_E10value_typeEPNSN_ISI_E10value_typeEPSJ_NS1_7vsmem_tEENKUlT_SH_SI_SJ_E_clIS9_S9_PlSD_EESG_SW_SH_SI_SJ_EUlSW_E0_NS1_11comp_targetILNS1_3genE9ELNS1_11target_archE1100ELNS1_3gpuE3ELNS1_3repE0EEENS1_38merge_mergepath_config_static_selectorELNS0_4arch9wavefront6targetE1EEEvSI_
	.p2align	8
	.type	_ZN7rocprim17ROCPRIM_400000_NS6detail17trampoline_kernelINS0_14default_configENS1_38merge_sort_block_merge_config_selectorIN3c104HalfElEEZZNS1_27merge_sort_block_merge_implIS3_PS6_N6thrust23THRUST_200600_302600_NS10device_ptrIlEEmNSB_4lessIS6_EEEE10hipError_tT0_T1_T2_jT3_P12ihipStream_tbPNSt15iterator_traitsISH_E10value_typeEPNSN_ISI_E10value_typeEPSJ_NS1_7vsmem_tEENKUlT_SH_SI_SJ_E_clIS9_S9_PlSD_EESG_SW_SH_SI_SJ_EUlSW_E0_NS1_11comp_targetILNS1_3genE9ELNS1_11target_archE1100ELNS1_3gpuE3ELNS1_3repE0EEENS1_38merge_mergepath_config_static_selectorELNS0_4arch9wavefront6targetE1EEEvSI_,@function
_ZN7rocprim17ROCPRIM_400000_NS6detail17trampoline_kernelINS0_14default_configENS1_38merge_sort_block_merge_config_selectorIN3c104HalfElEEZZNS1_27merge_sort_block_merge_implIS3_PS6_N6thrust23THRUST_200600_302600_NS10device_ptrIlEEmNSB_4lessIS6_EEEE10hipError_tT0_T1_T2_jT3_P12ihipStream_tbPNSt15iterator_traitsISH_E10value_typeEPNSN_ISI_E10value_typeEPSJ_NS1_7vsmem_tEENKUlT_SH_SI_SJ_E_clIS9_S9_PlSD_EESG_SW_SH_SI_SJ_EUlSW_E0_NS1_11comp_targetILNS1_3genE9ELNS1_11target_archE1100ELNS1_3gpuE3ELNS1_3repE0EEENS1_38merge_mergepath_config_static_selectorELNS0_4arch9wavefront6targetE1EEEvSI_: ; @_ZN7rocprim17ROCPRIM_400000_NS6detail17trampoline_kernelINS0_14default_configENS1_38merge_sort_block_merge_config_selectorIN3c104HalfElEEZZNS1_27merge_sort_block_merge_implIS3_PS6_N6thrust23THRUST_200600_302600_NS10device_ptrIlEEmNSB_4lessIS6_EEEE10hipError_tT0_T1_T2_jT3_P12ihipStream_tbPNSt15iterator_traitsISH_E10value_typeEPNSN_ISI_E10value_typeEPSJ_NS1_7vsmem_tEENKUlT_SH_SI_SJ_E_clIS9_S9_PlSD_EESG_SW_SH_SI_SJ_EUlSW_E0_NS1_11comp_targetILNS1_3genE9ELNS1_11target_archE1100ELNS1_3gpuE3ELNS1_3repE0EEENS1_38merge_mergepath_config_static_selectorELNS0_4arch9wavefront6targetE1EEEvSI_
; %bb.0:
	.section	.rodata,"a",@progbits
	.p2align	6, 0x0
	.amdhsa_kernel _ZN7rocprim17ROCPRIM_400000_NS6detail17trampoline_kernelINS0_14default_configENS1_38merge_sort_block_merge_config_selectorIN3c104HalfElEEZZNS1_27merge_sort_block_merge_implIS3_PS6_N6thrust23THRUST_200600_302600_NS10device_ptrIlEEmNSB_4lessIS6_EEEE10hipError_tT0_T1_T2_jT3_P12ihipStream_tbPNSt15iterator_traitsISH_E10value_typeEPNSN_ISI_E10value_typeEPSJ_NS1_7vsmem_tEENKUlT_SH_SI_SJ_E_clIS9_S9_PlSD_EESG_SW_SH_SI_SJ_EUlSW_E0_NS1_11comp_targetILNS1_3genE9ELNS1_11target_archE1100ELNS1_3gpuE3ELNS1_3repE0EEENS1_38merge_mergepath_config_static_selectorELNS0_4arch9wavefront6targetE1EEEvSI_
		.amdhsa_group_segment_fixed_size 0
		.amdhsa_private_segment_fixed_size 0
		.amdhsa_kernarg_size 72
		.amdhsa_user_sgpr_count 6
		.amdhsa_user_sgpr_private_segment_buffer 1
		.amdhsa_user_sgpr_dispatch_ptr 0
		.amdhsa_user_sgpr_queue_ptr 0
		.amdhsa_user_sgpr_kernarg_segment_ptr 1
		.amdhsa_user_sgpr_dispatch_id 0
		.amdhsa_user_sgpr_flat_scratch_init 0
		.amdhsa_user_sgpr_kernarg_preload_length 0
		.amdhsa_user_sgpr_kernarg_preload_offset 0
		.amdhsa_user_sgpr_private_segment_size 0
		.amdhsa_uses_dynamic_stack 0
		.amdhsa_system_sgpr_private_segment_wavefront_offset 0
		.amdhsa_system_sgpr_workgroup_id_x 1
		.amdhsa_system_sgpr_workgroup_id_y 0
		.amdhsa_system_sgpr_workgroup_id_z 0
		.amdhsa_system_sgpr_workgroup_info 0
		.amdhsa_system_vgpr_workitem_id 0
		.amdhsa_next_free_vgpr 1
		.amdhsa_next_free_sgpr 0
		.amdhsa_accum_offset 4
		.amdhsa_reserve_vcc 0
		.amdhsa_reserve_flat_scratch 0
		.amdhsa_float_round_mode_32 0
		.amdhsa_float_round_mode_16_64 0
		.amdhsa_float_denorm_mode_32 3
		.amdhsa_float_denorm_mode_16_64 3
		.amdhsa_dx10_clamp 1
		.amdhsa_ieee_mode 1
		.amdhsa_fp16_overflow 0
		.amdhsa_tg_split 0
		.amdhsa_exception_fp_ieee_invalid_op 0
		.amdhsa_exception_fp_denorm_src 0
		.amdhsa_exception_fp_ieee_div_zero 0
		.amdhsa_exception_fp_ieee_overflow 0
		.amdhsa_exception_fp_ieee_underflow 0
		.amdhsa_exception_fp_ieee_inexact 0
		.amdhsa_exception_int_div_zero 0
	.end_amdhsa_kernel
	.section	.text._ZN7rocprim17ROCPRIM_400000_NS6detail17trampoline_kernelINS0_14default_configENS1_38merge_sort_block_merge_config_selectorIN3c104HalfElEEZZNS1_27merge_sort_block_merge_implIS3_PS6_N6thrust23THRUST_200600_302600_NS10device_ptrIlEEmNSB_4lessIS6_EEEE10hipError_tT0_T1_T2_jT3_P12ihipStream_tbPNSt15iterator_traitsISH_E10value_typeEPNSN_ISI_E10value_typeEPSJ_NS1_7vsmem_tEENKUlT_SH_SI_SJ_E_clIS9_S9_PlSD_EESG_SW_SH_SI_SJ_EUlSW_E0_NS1_11comp_targetILNS1_3genE9ELNS1_11target_archE1100ELNS1_3gpuE3ELNS1_3repE0EEENS1_38merge_mergepath_config_static_selectorELNS0_4arch9wavefront6targetE1EEEvSI_,"axG",@progbits,_ZN7rocprim17ROCPRIM_400000_NS6detail17trampoline_kernelINS0_14default_configENS1_38merge_sort_block_merge_config_selectorIN3c104HalfElEEZZNS1_27merge_sort_block_merge_implIS3_PS6_N6thrust23THRUST_200600_302600_NS10device_ptrIlEEmNSB_4lessIS6_EEEE10hipError_tT0_T1_T2_jT3_P12ihipStream_tbPNSt15iterator_traitsISH_E10value_typeEPNSN_ISI_E10value_typeEPSJ_NS1_7vsmem_tEENKUlT_SH_SI_SJ_E_clIS9_S9_PlSD_EESG_SW_SH_SI_SJ_EUlSW_E0_NS1_11comp_targetILNS1_3genE9ELNS1_11target_archE1100ELNS1_3gpuE3ELNS1_3repE0EEENS1_38merge_mergepath_config_static_selectorELNS0_4arch9wavefront6targetE1EEEvSI_,comdat
.Lfunc_end2140:
	.size	_ZN7rocprim17ROCPRIM_400000_NS6detail17trampoline_kernelINS0_14default_configENS1_38merge_sort_block_merge_config_selectorIN3c104HalfElEEZZNS1_27merge_sort_block_merge_implIS3_PS6_N6thrust23THRUST_200600_302600_NS10device_ptrIlEEmNSB_4lessIS6_EEEE10hipError_tT0_T1_T2_jT3_P12ihipStream_tbPNSt15iterator_traitsISH_E10value_typeEPNSN_ISI_E10value_typeEPSJ_NS1_7vsmem_tEENKUlT_SH_SI_SJ_E_clIS9_S9_PlSD_EESG_SW_SH_SI_SJ_EUlSW_E0_NS1_11comp_targetILNS1_3genE9ELNS1_11target_archE1100ELNS1_3gpuE3ELNS1_3repE0EEENS1_38merge_mergepath_config_static_selectorELNS0_4arch9wavefront6targetE1EEEvSI_, .Lfunc_end2140-_ZN7rocprim17ROCPRIM_400000_NS6detail17trampoline_kernelINS0_14default_configENS1_38merge_sort_block_merge_config_selectorIN3c104HalfElEEZZNS1_27merge_sort_block_merge_implIS3_PS6_N6thrust23THRUST_200600_302600_NS10device_ptrIlEEmNSB_4lessIS6_EEEE10hipError_tT0_T1_T2_jT3_P12ihipStream_tbPNSt15iterator_traitsISH_E10value_typeEPNSN_ISI_E10value_typeEPSJ_NS1_7vsmem_tEENKUlT_SH_SI_SJ_E_clIS9_S9_PlSD_EESG_SW_SH_SI_SJ_EUlSW_E0_NS1_11comp_targetILNS1_3genE9ELNS1_11target_archE1100ELNS1_3gpuE3ELNS1_3repE0EEENS1_38merge_mergepath_config_static_selectorELNS0_4arch9wavefront6targetE1EEEvSI_
                                        ; -- End function
	.section	.AMDGPU.csdata,"",@progbits
; Kernel info:
; codeLenInByte = 0
; NumSgprs: 4
; NumVgprs: 0
; NumAgprs: 0
; TotalNumVgprs: 0
; ScratchSize: 0
; MemoryBound: 0
; FloatMode: 240
; IeeeMode: 1
; LDSByteSize: 0 bytes/workgroup (compile time only)
; SGPRBlocks: 0
; VGPRBlocks: 0
; NumSGPRsForWavesPerEU: 4
; NumVGPRsForWavesPerEU: 1
; AccumOffset: 4
; Occupancy: 8
; WaveLimiterHint : 0
; COMPUTE_PGM_RSRC2:SCRATCH_EN: 0
; COMPUTE_PGM_RSRC2:USER_SGPR: 6
; COMPUTE_PGM_RSRC2:TRAP_HANDLER: 0
; COMPUTE_PGM_RSRC2:TGID_X_EN: 1
; COMPUTE_PGM_RSRC2:TGID_Y_EN: 0
; COMPUTE_PGM_RSRC2:TGID_Z_EN: 0
; COMPUTE_PGM_RSRC2:TIDIG_COMP_CNT: 0
; COMPUTE_PGM_RSRC3_GFX90A:ACCUM_OFFSET: 0
; COMPUTE_PGM_RSRC3_GFX90A:TG_SPLIT: 0
	.section	.text._ZN7rocprim17ROCPRIM_400000_NS6detail17trampoline_kernelINS0_14default_configENS1_38merge_sort_block_merge_config_selectorIN3c104HalfElEEZZNS1_27merge_sort_block_merge_implIS3_PS6_N6thrust23THRUST_200600_302600_NS10device_ptrIlEEmNSB_4lessIS6_EEEE10hipError_tT0_T1_T2_jT3_P12ihipStream_tbPNSt15iterator_traitsISH_E10value_typeEPNSN_ISI_E10value_typeEPSJ_NS1_7vsmem_tEENKUlT_SH_SI_SJ_E_clIS9_S9_PlSD_EESG_SW_SH_SI_SJ_EUlSW_E0_NS1_11comp_targetILNS1_3genE8ELNS1_11target_archE1030ELNS1_3gpuE2ELNS1_3repE0EEENS1_38merge_mergepath_config_static_selectorELNS0_4arch9wavefront6targetE1EEEvSI_,"axG",@progbits,_ZN7rocprim17ROCPRIM_400000_NS6detail17trampoline_kernelINS0_14default_configENS1_38merge_sort_block_merge_config_selectorIN3c104HalfElEEZZNS1_27merge_sort_block_merge_implIS3_PS6_N6thrust23THRUST_200600_302600_NS10device_ptrIlEEmNSB_4lessIS6_EEEE10hipError_tT0_T1_T2_jT3_P12ihipStream_tbPNSt15iterator_traitsISH_E10value_typeEPNSN_ISI_E10value_typeEPSJ_NS1_7vsmem_tEENKUlT_SH_SI_SJ_E_clIS9_S9_PlSD_EESG_SW_SH_SI_SJ_EUlSW_E0_NS1_11comp_targetILNS1_3genE8ELNS1_11target_archE1030ELNS1_3gpuE2ELNS1_3repE0EEENS1_38merge_mergepath_config_static_selectorELNS0_4arch9wavefront6targetE1EEEvSI_,comdat
	.protected	_ZN7rocprim17ROCPRIM_400000_NS6detail17trampoline_kernelINS0_14default_configENS1_38merge_sort_block_merge_config_selectorIN3c104HalfElEEZZNS1_27merge_sort_block_merge_implIS3_PS6_N6thrust23THRUST_200600_302600_NS10device_ptrIlEEmNSB_4lessIS6_EEEE10hipError_tT0_T1_T2_jT3_P12ihipStream_tbPNSt15iterator_traitsISH_E10value_typeEPNSN_ISI_E10value_typeEPSJ_NS1_7vsmem_tEENKUlT_SH_SI_SJ_E_clIS9_S9_PlSD_EESG_SW_SH_SI_SJ_EUlSW_E0_NS1_11comp_targetILNS1_3genE8ELNS1_11target_archE1030ELNS1_3gpuE2ELNS1_3repE0EEENS1_38merge_mergepath_config_static_selectorELNS0_4arch9wavefront6targetE1EEEvSI_ ; -- Begin function _ZN7rocprim17ROCPRIM_400000_NS6detail17trampoline_kernelINS0_14default_configENS1_38merge_sort_block_merge_config_selectorIN3c104HalfElEEZZNS1_27merge_sort_block_merge_implIS3_PS6_N6thrust23THRUST_200600_302600_NS10device_ptrIlEEmNSB_4lessIS6_EEEE10hipError_tT0_T1_T2_jT3_P12ihipStream_tbPNSt15iterator_traitsISH_E10value_typeEPNSN_ISI_E10value_typeEPSJ_NS1_7vsmem_tEENKUlT_SH_SI_SJ_E_clIS9_S9_PlSD_EESG_SW_SH_SI_SJ_EUlSW_E0_NS1_11comp_targetILNS1_3genE8ELNS1_11target_archE1030ELNS1_3gpuE2ELNS1_3repE0EEENS1_38merge_mergepath_config_static_selectorELNS0_4arch9wavefront6targetE1EEEvSI_
	.globl	_ZN7rocprim17ROCPRIM_400000_NS6detail17trampoline_kernelINS0_14default_configENS1_38merge_sort_block_merge_config_selectorIN3c104HalfElEEZZNS1_27merge_sort_block_merge_implIS3_PS6_N6thrust23THRUST_200600_302600_NS10device_ptrIlEEmNSB_4lessIS6_EEEE10hipError_tT0_T1_T2_jT3_P12ihipStream_tbPNSt15iterator_traitsISH_E10value_typeEPNSN_ISI_E10value_typeEPSJ_NS1_7vsmem_tEENKUlT_SH_SI_SJ_E_clIS9_S9_PlSD_EESG_SW_SH_SI_SJ_EUlSW_E0_NS1_11comp_targetILNS1_3genE8ELNS1_11target_archE1030ELNS1_3gpuE2ELNS1_3repE0EEENS1_38merge_mergepath_config_static_selectorELNS0_4arch9wavefront6targetE1EEEvSI_
	.p2align	8
	.type	_ZN7rocprim17ROCPRIM_400000_NS6detail17trampoline_kernelINS0_14default_configENS1_38merge_sort_block_merge_config_selectorIN3c104HalfElEEZZNS1_27merge_sort_block_merge_implIS3_PS6_N6thrust23THRUST_200600_302600_NS10device_ptrIlEEmNSB_4lessIS6_EEEE10hipError_tT0_T1_T2_jT3_P12ihipStream_tbPNSt15iterator_traitsISH_E10value_typeEPNSN_ISI_E10value_typeEPSJ_NS1_7vsmem_tEENKUlT_SH_SI_SJ_E_clIS9_S9_PlSD_EESG_SW_SH_SI_SJ_EUlSW_E0_NS1_11comp_targetILNS1_3genE8ELNS1_11target_archE1030ELNS1_3gpuE2ELNS1_3repE0EEENS1_38merge_mergepath_config_static_selectorELNS0_4arch9wavefront6targetE1EEEvSI_,@function
_ZN7rocprim17ROCPRIM_400000_NS6detail17trampoline_kernelINS0_14default_configENS1_38merge_sort_block_merge_config_selectorIN3c104HalfElEEZZNS1_27merge_sort_block_merge_implIS3_PS6_N6thrust23THRUST_200600_302600_NS10device_ptrIlEEmNSB_4lessIS6_EEEE10hipError_tT0_T1_T2_jT3_P12ihipStream_tbPNSt15iterator_traitsISH_E10value_typeEPNSN_ISI_E10value_typeEPSJ_NS1_7vsmem_tEENKUlT_SH_SI_SJ_E_clIS9_S9_PlSD_EESG_SW_SH_SI_SJ_EUlSW_E0_NS1_11comp_targetILNS1_3genE8ELNS1_11target_archE1030ELNS1_3gpuE2ELNS1_3repE0EEENS1_38merge_mergepath_config_static_selectorELNS0_4arch9wavefront6targetE1EEEvSI_: ; @_ZN7rocprim17ROCPRIM_400000_NS6detail17trampoline_kernelINS0_14default_configENS1_38merge_sort_block_merge_config_selectorIN3c104HalfElEEZZNS1_27merge_sort_block_merge_implIS3_PS6_N6thrust23THRUST_200600_302600_NS10device_ptrIlEEmNSB_4lessIS6_EEEE10hipError_tT0_T1_T2_jT3_P12ihipStream_tbPNSt15iterator_traitsISH_E10value_typeEPNSN_ISI_E10value_typeEPSJ_NS1_7vsmem_tEENKUlT_SH_SI_SJ_E_clIS9_S9_PlSD_EESG_SW_SH_SI_SJ_EUlSW_E0_NS1_11comp_targetILNS1_3genE8ELNS1_11target_archE1030ELNS1_3gpuE2ELNS1_3repE0EEENS1_38merge_mergepath_config_static_selectorELNS0_4arch9wavefront6targetE1EEEvSI_
; %bb.0:
	.section	.rodata,"a",@progbits
	.p2align	6, 0x0
	.amdhsa_kernel _ZN7rocprim17ROCPRIM_400000_NS6detail17trampoline_kernelINS0_14default_configENS1_38merge_sort_block_merge_config_selectorIN3c104HalfElEEZZNS1_27merge_sort_block_merge_implIS3_PS6_N6thrust23THRUST_200600_302600_NS10device_ptrIlEEmNSB_4lessIS6_EEEE10hipError_tT0_T1_T2_jT3_P12ihipStream_tbPNSt15iterator_traitsISH_E10value_typeEPNSN_ISI_E10value_typeEPSJ_NS1_7vsmem_tEENKUlT_SH_SI_SJ_E_clIS9_S9_PlSD_EESG_SW_SH_SI_SJ_EUlSW_E0_NS1_11comp_targetILNS1_3genE8ELNS1_11target_archE1030ELNS1_3gpuE2ELNS1_3repE0EEENS1_38merge_mergepath_config_static_selectorELNS0_4arch9wavefront6targetE1EEEvSI_
		.amdhsa_group_segment_fixed_size 0
		.amdhsa_private_segment_fixed_size 0
		.amdhsa_kernarg_size 72
		.amdhsa_user_sgpr_count 6
		.amdhsa_user_sgpr_private_segment_buffer 1
		.amdhsa_user_sgpr_dispatch_ptr 0
		.amdhsa_user_sgpr_queue_ptr 0
		.amdhsa_user_sgpr_kernarg_segment_ptr 1
		.amdhsa_user_sgpr_dispatch_id 0
		.amdhsa_user_sgpr_flat_scratch_init 0
		.amdhsa_user_sgpr_kernarg_preload_length 0
		.amdhsa_user_sgpr_kernarg_preload_offset 0
		.amdhsa_user_sgpr_private_segment_size 0
		.amdhsa_uses_dynamic_stack 0
		.amdhsa_system_sgpr_private_segment_wavefront_offset 0
		.amdhsa_system_sgpr_workgroup_id_x 1
		.amdhsa_system_sgpr_workgroup_id_y 0
		.amdhsa_system_sgpr_workgroup_id_z 0
		.amdhsa_system_sgpr_workgroup_info 0
		.amdhsa_system_vgpr_workitem_id 0
		.amdhsa_next_free_vgpr 1
		.amdhsa_next_free_sgpr 0
		.amdhsa_accum_offset 4
		.amdhsa_reserve_vcc 0
		.amdhsa_reserve_flat_scratch 0
		.amdhsa_float_round_mode_32 0
		.amdhsa_float_round_mode_16_64 0
		.amdhsa_float_denorm_mode_32 3
		.amdhsa_float_denorm_mode_16_64 3
		.amdhsa_dx10_clamp 1
		.amdhsa_ieee_mode 1
		.amdhsa_fp16_overflow 0
		.amdhsa_tg_split 0
		.amdhsa_exception_fp_ieee_invalid_op 0
		.amdhsa_exception_fp_denorm_src 0
		.amdhsa_exception_fp_ieee_div_zero 0
		.amdhsa_exception_fp_ieee_overflow 0
		.amdhsa_exception_fp_ieee_underflow 0
		.amdhsa_exception_fp_ieee_inexact 0
		.amdhsa_exception_int_div_zero 0
	.end_amdhsa_kernel
	.section	.text._ZN7rocprim17ROCPRIM_400000_NS6detail17trampoline_kernelINS0_14default_configENS1_38merge_sort_block_merge_config_selectorIN3c104HalfElEEZZNS1_27merge_sort_block_merge_implIS3_PS6_N6thrust23THRUST_200600_302600_NS10device_ptrIlEEmNSB_4lessIS6_EEEE10hipError_tT0_T1_T2_jT3_P12ihipStream_tbPNSt15iterator_traitsISH_E10value_typeEPNSN_ISI_E10value_typeEPSJ_NS1_7vsmem_tEENKUlT_SH_SI_SJ_E_clIS9_S9_PlSD_EESG_SW_SH_SI_SJ_EUlSW_E0_NS1_11comp_targetILNS1_3genE8ELNS1_11target_archE1030ELNS1_3gpuE2ELNS1_3repE0EEENS1_38merge_mergepath_config_static_selectorELNS0_4arch9wavefront6targetE1EEEvSI_,"axG",@progbits,_ZN7rocprim17ROCPRIM_400000_NS6detail17trampoline_kernelINS0_14default_configENS1_38merge_sort_block_merge_config_selectorIN3c104HalfElEEZZNS1_27merge_sort_block_merge_implIS3_PS6_N6thrust23THRUST_200600_302600_NS10device_ptrIlEEmNSB_4lessIS6_EEEE10hipError_tT0_T1_T2_jT3_P12ihipStream_tbPNSt15iterator_traitsISH_E10value_typeEPNSN_ISI_E10value_typeEPSJ_NS1_7vsmem_tEENKUlT_SH_SI_SJ_E_clIS9_S9_PlSD_EESG_SW_SH_SI_SJ_EUlSW_E0_NS1_11comp_targetILNS1_3genE8ELNS1_11target_archE1030ELNS1_3gpuE2ELNS1_3repE0EEENS1_38merge_mergepath_config_static_selectorELNS0_4arch9wavefront6targetE1EEEvSI_,comdat
.Lfunc_end2141:
	.size	_ZN7rocprim17ROCPRIM_400000_NS6detail17trampoline_kernelINS0_14default_configENS1_38merge_sort_block_merge_config_selectorIN3c104HalfElEEZZNS1_27merge_sort_block_merge_implIS3_PS6_N6thrust23THRUST_200600_302600_NS10device_ptrIlEEmNSB_4lessIS6_EEEE10hipError_tT0_T1_T2_jT3_P12ihipStream_tbPNSt15iterator_traitsISH_E10value_typeEPNSN_ISI_E10value_typeEPSJ_NS1_7vsmem_tEENKUlT_SH_SI_SJ_E_clIS9_S9_PlSD_EESG_SW_SH_SI_SJ_EUlSW_E0_NS1_11comp_targetILNS1_3genE8ELNS1_11target_archE1030ELNS1_3gpuE2ELNS1_3repE0EEENS1_38merge_mergepath_config_static_selectorELNS0_4arch9wavefront6targetE1EEEvSI_, .Lfunc_end2141-_ZN7rocprim17ROCPRIM_400000_NS6detail17trampoline_kernelINS0_14default_configENS1_38merge_sort_block_merge_config_selectorIN3c104HalfElEEZZNS1_27merge_sort_block_merge_implIS3_PS6_N6thrust23THRUST_200600_302600_NS10device_ptrIlEEmNSB_4lessIS6_EEEE10hipError_tT0_T1_T2_jT3_P12ihipStream_tbPNSt15iterator_traitsISH_E10value_typeEPNSN_ISI_E10value_typeEPSJ_NS1_7vsmem_tEENKUlT_SH_SI_SJ_E_clIS9_S9_PlSD_EESG_SW_SH_SI_SJ_EUlSW_E0_NS1_11comp_targetILNS1_3genE8ELNS1_11target_archE1030ELNS1_3gpuE2ELNS1_3repE0EEENS1_38merge_mergepath_config_static_selectorELNS0_4arch9wavefront6targetE1EEEvSI_
                                        ; -- End function
	.section	.AMDGPU.csdata,"",@progbits
; Kernel info:
; codeLenInByte = 0
; NumSgprs: 4
; NumVgprs: 0
; NumAgprs: 0
; TotalNumVgprs: 0
; ScratchSize: 0
; MemoryBound: 0
; FloatMode: 240
; IeeeMode: 1
; LDSByteSize: 0 bytes/workgroup (compile time only)
; SGPRBlocks: 0
; VGPRBlocks: 0
; NumSGPRsForWavesPerEU: 4
; NumVGPRsForWavesPerEU: 1
; AccumOffset: 4
; Occupancy: 8
; WaveLimiterHint : 0
; COMPUTE_PGM_RSRC2:SCRATCH_EN: 0
; COMPUTE_PGM_RSRC2:USER_SGPR: 6
; COMPUTE_PGM_RSRC2:TRAP_HANDLER: 0
; COMPUTE_PGM_RSRC2:TGID_X_EN: 1
; COMPUTE_PGM_RSRC2:TGID_Y_EN: 0
; COMPUTE_PGM_RSRC2:TGID_Z_EN: 0
; COMPUTE_PGM_RSRC2:TIDIG_COMP_CNT: 0
; COMPUTE_PGM_RSRC3_GFX90A:ACCUM_OFFSET: 0
; COMPUTE_PGM_RSRC3_GFX90A:TG_SPLIT: 0
	.section	.text._ZN7rocprim17ROCPRIM_400000_NS6detail17trampoline_kernelINS0_14default_configENS1_38merge_sort_block_merge_config_selectorIN3c104HalfElEEZZNS1_27merge_sort_block_merge_implIS3_PS6_N6thrust23THRUST_200600_302600_NS10device_ptrIlEEmNSB_4lessIS6_EEEE10hipError_tT0_T1_T2_jT3_P12ihipStream_tbPNSt15iterator_traitsISH_E10value_typeEPNSN_ISI_E10value_typeEPSJ_NS1_7vsmem_tEENKUlT_SH_SI_SJ_E_clIS9_S9_PlSD_EESG_SW_SH_SI_SJ_EUlSW_E1_NS1_11comp_targetILNS1_3genE0ELNS1_11target_archE4294967295ELNS1_3gpuE0ELNS1_3repE0EEENS1_36merge_oddeven_config_static_selectorELNS0_4arch9wavefront6targetE1EEEvSI_,"axG",@progbits,_ZN7rocprim17ROCPRIM_400000_NS6detail17trampoline_kernelINS0_14default_configENS1_38merge_sort_block_merge_config_selectorIN3c104HalfElEEZZNS1_27merge_sort_block_merge_implIS3_PS6_N6thrust23THRUST_200600_302600_NS10device_ptrIlEEmNSB_4lessIS6_EEEE10hipError_tT0_T1_T2_jT3_P12ihipStream_tbPNSt15iterator_traitsISH_E10value_typeEPNSN_ISI_E10value_typeEPSJ_NS1_7vsmem_tEENKUlT_SH_SI_SJ_E_clIS9_S9_PlSD_EESG_SW_SH_SI_SJ_EUlSW_E1_NS1_11comp_targetILNS1_3genE0ELNS1_11target_archE4294967295ELNS1_3gpuE0ELNS1_3repE0EEENS1_36merge_oddeven_config_static_selectorELNS0_4arch9wavefront6targetE1EEEvSI_,comdat
	.protected	_ZN7rocprim17ROCPRIM_400000_NS6detail17trampoline_kernelINS0_14default_configENS1_38merge_sort_block_merge_config_selectorIN3c104HalfElEEZZNS1_27merge_sort_block_merge_implIS3_PS6_N6thrust23THRUST_200600_302600_NS10device_ptrIlEEmNSB_4lessIS6_EEEE10hipError_tT0_T1_T2_jT3_P12ihipStream_tbPNSt15iterator_traitsISH_E10value_typeEPNSN_ISI_E10value_typeEPSJ_NS1_7vsmem_tEENKUlT_SH_SI_SJ_E_clIS9_S9_PlSD_EESG_SW_SH_SI_SJ_EUlSW_E1_NS1_11comp_targetILNS1_3genE0ELNS1_11target_archE4294967295ELNS1_3gpuE0ELNS1_3repE0EEENS1_36merge_oddeven_config_static_selectorELNS0_4arch9wavefront6targetE1EEEvSI_ ; -- Begin function _ZN7rocprim17ROCPRIM_400000_NS6detail17trampoline_kernelINS0_14default_configENS1_38merge_sort_block_merge_config_selectorIN3c104HalfElEEZZNS1_27merge_sort_block_merge_implIS3_PS6_N6thrust23THRUST_200600_302600_NS10device_ptrIlEEmNSB_4lessIS6_EEEE10hipError_tT0_T1_T2_jT3_P12ihipStream_tbPNSt15iterator_traitsISH_E10value_typeEPNSN_ISI_E10value_typeEPSJ_NS1_7vsmem_tEENKUlT_SH_SI_SJ_E_clIS9_S9_PlSD_EESG_SW_SH_SI_SJ_EUlSW_E1_NS1_11comp_targetILNS1_3genE0ELNS1_11target_archE4294967295ELNS1_3gpuE0ELNS1_3repE0EEENS1_36merge_oddeven_config_static_selectorELNS0_4arch9wavefront6targetE1EEEvSI_
	.globl	_ZN7rocprim17ROCPRIM_400000_NS6detail17trampoline_kernelINS0_14default_configENS1_38merge_sort_block_merge_config_selectorIN3c104HalfElEEZZNS1_27merge_sort_block_merge_implIS3_PS6_N6thrust23THRUST_200600_302600_NS10device_ptrIlEEmNSB_4lessIS6_EEEE10hipError_tT0_T1_T2_jT3_P12ihipStream_tbPNSt15iterator_traitsISH_E10value_typeEPNSN_ISI_E10value_typeEPSJ_NS1_7vsmem_tEENKUlT_SH_SI_SJ_E_clIS9_S9_PlSD_EESG_SW_SH_SI_SJ_EUlSW_E1_NS1_11comp_targetILNS1_3genE0ELNS1_11target_archE4294967295ELNS1_3gpuE0ELNS1_3repE0EEENS1_36merge_oddeven_config_static_selectorELNS0_4arch9wavefront6targetE1EEEvSI_
	.p2align	8
	.type	_ZN7rocprim17ROCPRIM_400000_NS6detail17trampoline_kernelINS0_14default_configENS1_38merge_sort_block_merge_config_selectorIN3c104HalfElEEZZNS1_27merge_sort_block_merge_implIS3_PS6_N6thrust23THRUST_200600_302600_NS10device_ptrIlEEmNSB_4lessIS6_EEEE10hipError_tT0_T1_T2_jT3_P12ihipStream_tbPNSt15iterator_traitsISH_E10value_typeEPNSN_ISI_E10value_typeEPSJ_NS1_7vsmem_tEENKUlT_SH_SI_SJ_E_clIS9_S9_PlSD_EESG_SW_SH_SI_SJ_EUlSW_E1_NS1_11comp_targetILNS1_3genE0ELNS1_11target_archE4294967295ELNS1_3gpuE0ELNS1_3repE0EEENS1_36merge_oddeven_config_static_selectorELNS0_4arch9wavefront6targetE1EEEvSI_,@function
_ZN7rocprim17ROCPRIM_400000_NS6detail17trampoline_kernelINS0_14default_configENS1_38merge_sort_block_merge_config_selectorIN3c104HalfElEEZZNS1_27merge_sort_block_merge_implIS3_PS6_N6thrust23THRUST_200600_302600_NS10device_ptrIlEEmNSB_4lessIS6_EEEE10hipError_tT0_T1_T2_jT3_P12ihipStream_tbPNSt15iterator_traitsISH_E10value_typeEPNSN_ISI_E10value_typeEPSJ_NS1_7vsmem_tEENKUlT_SH_SI_SJ_E_clIS9_S9_PlSD_EESG_SW_SH_SI_SJ_EUlSW_E1_NS1_11comp_targetILNS1_3genE0ELNS1_11target_archE4294967295ELNS1_3gpuE0ELNS1_3repE0EEENS1_36merge_oddeven_config_static_selectorELNS0_4arch9wavefront6targetE1EEEvSI_: ; @_ZN7rocprim17ROCPRIM_400000_NS6detail17trampoline_kernelINS0_14default_configENS1_38merge_sort_block_merge_config_selectorIN3c104HalfElEEZZNS1_27merge_sort_block_merge_implIS3_PS6_N6thrust23THRUST_200600_302600_NS10device_ptrIlEEmNSB_4lessIS6_EEEE10hipError_tT0_T1_T2_jT3_P12ihipStream_tbPNSt15iterator_traitsISH_E10value_typeEPNSN_ISI_E10value_typeEPSJ_NS1_7vsmem_tEENKUlT_SH_SI_SJ_E_clIS9_S9_PlSD_EESG_SW_SH_SI_SJ_EUlSW_E1_NS1_11comp_targetILNS1_3genE0ELNS1_11target_archE4294967295ELNS1_3gpuE0ELNS1_3repE0EEENS1_36merge_oddeven_config_static_selectorELNS0_4arch9wavefront6targetE1EEEvSI_
; %bb.0:
	.section	.rodata,"a",@progbits
	.p2align	6, 0x0
	.amdhsa_kernel _ZN7rocprim17ROCPRIM_400000_NS6detail17trampoline_kernelINS0_14default_configENS1_38merge_sort_block_merge_config_selectorIN3c104HalfElEEZZNS1_27merge_sort_block_merge_implIS3_PS6_N6thrust23THRUST_200600_302600_NS10device_ptrIlEEmNSB_4lessIS6_EEEE10hipError_tT0_T1_T2_jT3_P12ihipStream_tbPNSt15iterator_traitsISH_E10value_typeEPNSN_ISI_E10value_typeEPSJ_NS1_7vsmem_tEENKUlT_SH_SI_SJ_E_clIS9_S9_PlSD_EESG_SW_SH_SI_SJ_EUlSW_E1_NS1_11comp_targetILNS1_3genE0ELNS1_11target_archE4294967295ELNS1_3gpuE0ELNS1_3repE0EEENS1_36merge_oddeven_config_static_selectorELNS0_4arch9wavefront6targetE1EEEvSI_
		.amdhsa_group_segment_fixed_size 0
		.amdhsa_private_segment_fixed_size 0
		.amdhsa_kernarg_size 56
		.amdhsa_user_sgpr_count 6
		.amdhsa_user_sgpr_private_segment_buffer 1
		.amdhsa_user_sgpr_dispatch_ptr 0
		.amdhsa_user_sgpr_queue_ptr 0
		.amdhsa_user_sgpr_kernarg_segment_ptr 1
		.amdhsa_user_sgpr_dispatch_id 0
		.amdhsa_user_sgpr_flat_scratch_init 0
		.amdhsa_user_sgpr_kernarg_preload_length 0
		.amdhsa_user_sgpr_kernarg_preload_offset 0
		.amdhsa_user_sgpr_private_segment_size 0
		.amdhsa_uses_dynamic_stack 0
		.amdhsa_system_sgpr_private_segment_wavefront_offset 0
		.amdhsa_system_sgpr_workgroup_id_x 1
		.amdhsa_system_sgpr_workgroup_id_y 0
		.amdhsa_system_sgpr_workgroup_id_z 0
		.amdhsa_system_sgpr_workgroup_info 0
		.amdhsa_system_vgpr_workitem_id 0
		.amdhsa_next_free_vgpr 1
		.amdhsa_next_free_sgpr 0
		.amdhsa_accum_offset 4
		.amdhsa_reserve_vcc 0
		.amdhsa_reserve_flat_scratch 0
		.amdhsa_float_round_mode_32 0
		.amdhsa_float_round_mode_16_64 0
		.amdhsa_float_denorm_mode_32 3
		.amdhsa_float_denorm_mode_16_64 3
		.amdhsa_dx10_clamp 1
		.amdhsa_ieee_mode 1
		.amdhsa_fp16_overflow 0
		.amdhsa_tg_split 0
		.amdhsa_exception_fp_ieee_invalid_op 0
		.amdhsa_exception_fp_denorm_src 0
		.amdhsa_exception_fp_ieee_div_zero 0
		.amdhsa_exception_fp_ieee_overflow 0
		.amdhsa_exception_fp_ieee_underflow 0
		.amdhsa_exception_fp_ieee_inexact 0
		.amdhsa_exception_int_div_zero 0
	.end_amdhsa_kernel
	.section	.text._ZN7rocprim17ROCPRIM_400000_NS6detail17trampoline_kernelINS0_14default_configENS1_38merge_sort_block_merge_config_selectorIN3c104HalfElEEZZNS1_27merge_sort_block_merge_implIS3_PS6_N6thrust23THRUST_200600_302600_NS10device_ptrIlEEmNSB_4lessIS6_EEEE10hipError_tT0_T1_T2_jT3_P12ihipStream_tbPNSt15iterator_traitsISH_E10value_typeEPNSN_ISI_E10value_typeEPSJ_NS1_7vsmem_tEENKUlT_SH_SI_SJ_E_clIS9_S9_PlSD_EESG_SW_SH_SI_SJ_EUlSW_E1_NS1_11comp_targetILNS1_3genE0ELNS1_11target_archE4294967295ELNS1_3gpuE0ELNS1_3repE0EEENS1_36merge_oddeven_config_static_selectorELNS0_4arch9wavefront6targetE1EEEvSI_,"axG",@progbits,_ZN7rocprim17ROCPRIM_400000_NS6detail17trampoline_kernelINS0_14default_configENS1_38merge_sort_block_merge_config_selectorIN3c104HalfElEEZZNS1_27merge_sort_block_merge_implIS3_PS6_N6thrust23THRUST_200600_302600_NS10device_ptrIlEEmNSB_4lessIS6_EEEE10hipError_tT0_T1_T2_jT3_P12ihipStream_tbPNSt15iterator_traitsISH_E10value_typeEPNSN_ISI_E10value_typeEPSJ_NS1_7vsmem_tEENKUlT_SH_SI_SJ_E_clIS9_S9_PlSD_EESG_SW_SH_SI_SJ_EUlSW_E1_NS1_11comp_targetILNS1_3genE0ELNS1_11target_archE4294967295ELNS1_3gpuE0ELNS1_3repE0EEENS1_36merge_oddeven_config_static_selectorELNS0_4arch9wavefront6targetE1EEEvSI_,comdat
.Lfunc_end2142:
	.size	_ZN7rocprim17ROCPRIM_400000_NS6detail17trampoline_kernelINS0_14default_configENS1_38merge_sort_block_merge_config_selectorIN3c104HalfElEEZZNS1_27merge_sort_block_merge_implIS3_PS6_N6thrust23THRUST_200600_302600_NS10device_ptrIlEEmNSB_4lessIS6_EEEE10hipError_tT0_T1_T2_jT3_P12ihipStream_tbPNSt15iterator_traitsISH_E10value_typeEPNSN_ISI_E10value_typeEPSJ_NS1_7vsmem_tEENKUlT_SH_SI_SJ_E_clIS9_S9_PlSD_EESG_SW_SH_SI_SJ_EUlSW_E1_NS1_11comp_targetILNS1_3genE0ELNS1_11target_archE4294967295ELNS1_3gpuE0ELNS1_3repE0EEENS1_36merge_oddeven_config_static_selectorELNS0_4arch9wavefront6targetE1EEEvSI_, .Lfunc_end2142-_ZN7rocprim17ROCPRIM_400000_NS6detail17trampoline_kernelINS0_14default_configENS1_38merge_sort_block_merge_config_selectorIN3c104HalfElEEZZNS1_27merge_sort_block_merge_implIS3_PS6_N6thrust23THRUST_200600_302600_NS10device_ptrIlEEmNSB_4lessIS6_EEEE10hipError_tT0_T1_T2_jT3_P12ihipStream_tbPNSt15iterator_traitsISH_E10value_typeEPNSN_ISI_E10value_typeEPSJ_NS1_7vsmem_tEENKUlT_SH_SI_SJ_E_clIS9_S9_PlSD_EESG_SW_SH_SI_SJ_EUlSW_E1_NS1_11comp_targetILNS1_3genE0ELNS1_11target_archE4294967295ELNS1_3gpuE0ELNS1_3repE0EEENS1_36merge_oddeven_config_static_selectorELNS0_4arch9wavefront6targetE1EEEvSI_
                                        ; -- End function
	.section	.AMDGPU.csdata,"",@progbits
; Kernel info:
; codeLenInByte = 0
; NumSgprs: 4
; NumVgprs: 0
; NumAgprs: 0
; TotalNumVgprs: 0
; ScratchSize: 0
; MemoryBound: 0
; FloatMode: 240
; IeeeMode: 1
; LDSByteSize: 0 bytes/workgroup (compile time only)
; SGPRBlocks: 0
; VGPRBlocks: 0
; NumSGPRsForWavesPerEU: 4
; NumVGPRsForWavesPerEU: 1
; AccumOffset: 4
; Occupancy: 8
; WaveLimiterHint : 0
; COMPUTE_PGM_RSRC2:SCRATCH_EN: 0
; COMPUTE_PGM_RSRC2:USER_SGPR: 6
; COMPUTE_PGM_RSRC2:TRAP_HANDLER: 0
; COMPUTE_PGM_RSRC2:TGID_X_EN: 1
; COMPUTE_PGM_RSRC2:TGID_Y_EN: 0
; COMPUTE_PGM_RSRC2:TGID_Z_EN: 0
; COMPUTE_PGM_RSRC2:TIDIG_COMP_CNT: 0
; COMPUTE_PGM_RSRC3_GFX90A:ACCUM_OFFSET: 0
; COMPUTE_PGM_RSRC3_GFX90A:TG_SPLIT: 0
	.section	.text._ZN7rocprim17ROCPRIM_400000_NS6detail17trampoline_kernelINS0_14default_configENS1_38merge_sort_block_merge_config_selectorIN3c104HalfElEEZZNS1_27merge_sort_block_merge_implIS3_PS6_N6thrust23THRUST_200600_302600_NS10device_ptrIlEEmNSB_4lessIS6_EEEE10hipError_tT0_T1_T2_jT3_P12ihipStream_tbPNSt15iterator_traitsISH_E10value_typeEPNSN_ISI_E10value_typeEPSJ_NS1_7vsmem_tEENKUlT_SH_SI_SJ_E_clIS9_S9_PlSD_EESG_SW_SH_SI_SJ_EUlSW_E1_NS1_11comp_targetILNS1_3genE10ELNS1_11target_archE1201ELNS1_3gpuE5ELNS1_3repE0EEENS1_36merge_oddeven_config_static_selectorELNS0_4arch9wavefront6targetE1EEEvSI_,"axG",@progbits,_ZN7rocprim17ROCPRIM_400000_NS6detail17trampoline_kernelINS0_14default_configENS1_38merge_sort_block_merge_config_selectorIN3c104HalfElEEZZNS1_27merge_sort_block_merge_implIS3_PS6_N6thrust23THRUST_200600_302600_NS10device_ptrIlEEmNSB_4lessIS6_EEEE10hipError_tT0_T1_T2_jT3_P12ihipStream_tbPNSt15iterator_traitsISH_E10value_typeEPNSN_ISI_E10value_typeEPSJ_NS1_7vsmem_tEENKUlT_SH_SI_SJ_E_clIS9_S9_PlSD_EESG_SW_SH_SI_SJ_EUlSW_E1_NS1_11comp_targetILNS1_3genE10ELNS1_11target_archE1201ELNS1_3gpuE5ELNS1_3repE0EEENS1_36merge_oddeven_config_static_selectorELNS0_4arch9wavefront6targetE1EEEvSI_,comdat
	.protected	_ZN7rocprim17ROCPRIM_400000_NS6detail17trampoline_kernelINS0_14default_configENS1_38merge_sort_block_merge_config_selectorIN3c104HalfElEEZZNS1_27merge_sort_block_merge_implIS3_PS6_N6thrust23THRUST_200600_302600_NS10device_ptrIlEEmNSB_4lessIS6_EEEE10hipError_tT0_T1_T2_jT3_P12ihipStream_tbPNSt15iterator_traitsISH_E10value_typeEPNSN_ISI_E10value_typeEPSJ_NS1_7vsmem_tEENKUlT_SH_SI_SJ_E_clIS9_S9_PlSD_EESG_SW_SH_SI_SJ_EUlSW_E1_NS1_11comp_targetILNS1_3genE10ELNS1_11target_archE1201ELNS1_3gpuE5ELNS1_3repE0EEENS1_36merge_oddeven_config_static_selectorELNS0_4arch9wavefront6targetE1EEEvSI_ ; -- Begin function _ZN7rocprim17ROCPRIM_400000_NS6detail17trampoline_kernelINS0_14default_configENS1_38merge_sort_block_merge_config_selectorIN3c104HalfElEEZZNS1_27merge_sort_block_merge_implIS3_PS6_N6thrust23THRUST_200600_302600_NS10device_ptrIlEEmNSB_4lessIS6_EEEE10hipError_tT0_T1_T2_jT3_P12ihipStream_tbPNSt15iterator_traitsISH_E10value_typeEPNSN_ISI_E10value_typeEPSJ_NS1_7vsmem_tEENKUlT_SH_SI_SJ_E_clIS9_S9_PlSD_EESG_SW_SH_SI_SJ_EUlSW_E1_NS1_11comp_targetILNS1_3genE10ELNS1_11target_archE1201ELNS1_3gpuE5ELNS1_3repE0EEENS1_36merge_oddeven_config_static_selectorELNS0_4arch9wavefront6targetE1EEEvSI_
	.globl	_ZN7rocprim17ROCPRIM_400000_NS6detail17trampoline_kernelINS0_14default_configENS1_38merge_sort_block_merge_config_selectorIN3c104HalfElEEZZNS1_27merge_sort_block_merge_implIS3_PS6_N6thrust23THRUST_200600_302600_NS10device_ptrIlEEmNSB_4lessIS6_EEEE10hipError_tT0_T1_T2_jT3_P12ihipStream_tbPNSt15iterator_traitsISH_E10value_typeEPNSN_ISI_E10value_typeEPSJ_NS1_7vsmem_tEENKUlT_SH_SI_SJ_E_clIS9_S9_PlSD_EESG_SW_SH_SI_SJ_EUlSW_E1_NS1_11comp_targetILNS1_3genE10ELNS1_11target_archE1201ELNS1_3gpuE5ELNS1_3repE0EEENS1_36merge_oddeven_config_static_selectorELNS0_4arch9wavefront6targetE1EEEvSI_
	.p2align	8
	.type	_ZN7rocprim17ROCPRIM_400000_NS6detail17trampoline_kernelINS0_14default_configENS1_38merge_sort_block_merge_config_selectorIN3c104HalfElEEZZNS1_27merge_sort_block_merge_implIS3_PS6_N6thrust23THRUST_200600_302600_NS10device_ptrIlEEmNSB_4lessIS6_EEEE10hipError_tT0_T1_T2_jT3_P12ihipStream_tbPNSt15iterator_traitsISH_E10value_typeEPNSN_ISI_E10value_typeEPSJ_NS1_7vsmem_tEENKUlT_SH_SI_SJ_E_clIS9_S9_PlSD_EESG_SW_SH_SI_SJ_EUlSW_E1_NS1_11comp_targetILNS1_3genE10ELNS1_11target_archE1201ELNS1_3gpuE5ELNS1_3repE0EEENS1_36merge_oddeven_config_static_selectorELNS0_4arch9wavefront6targetE1EEEvSI_,@function
_ZN7rocprim17ROCPRIM_400000_NS6detail17trampoline_kernelINS0_14default_configENS1_38merge_sort_block_merge_config_selectorIN3c104HalfElEEZZNS1_27merge_sort_block_merge_implIS3_PS6_N6thrust23THRUST_200600_302600_NS10device_ptrIlEEmNSB_4lessIS6_EEEE10hipError_tT0_T1_T2_jT3_P12ihipStream_tbPNSt15iterator_traitsISH_E10value_typeEPNSN_ISI_E10value_typeEPSJ_NS1_7vsmem_tEENKUlT_SH_SI_SJ_E_clIS9_S9_PlSD_EESG_SW_SH_SI_SJ_EUlSW_E1_NS1_11comp_targetILNS1_3genE10ELNS1_11target_archE1201ELNS1_3gpuE5ELNS1_3repE0EEENS1_36merge_oddeven_config_static_selectorELNS0_4arch9wavefront6targetE1EEEvSI_: ; @_ZN7rocprim17ROCPRIM_400000_NS6detail17trampoline_kernelINS0_14default_configENS1_38merge_sort_block_merge_config_selectorIN3c104HalfElEEZZNS1_27merge_sort_block_merge_implIS3_PS6_N6thrust23THRUST_200600_302600_NS10device_ptrIlEEmNSB_4lessIS6_EEEE10hipError_tT0_T1_T2_jT3_P12ihipStream_tbPNSt15iterator_traitsISH_E10value_typeEPNSN_ISI_E10value_typeEPSJ_NS1_7vsmem_tEENKUlT_SH_SI_SJ_E_clIS9_S9_PlSD_EESG_SW_SH_SI_SJ_EUlSW_E1_NS1_11comp_targetILNS1_3genE10ELNS1_11target_archE1201ELNS1_3gpuE5ELNS1_3repE0EEENS1_36merge_oddeven_config_static_selectorELNS0_4arch9wavefront6targetE1EEEvSI_
; %bb.0:
	.section	.rodata,"a",@progbits
	.p2align	6, 0x0
	.amdhsa_kernel _ZN7rocprim17ROCPRIM_400000_NS6detail17trampoline_kernelINS0_14default_configENS1_38merge_sort_block_merge_config_selectorIN3c104HalfElEEZZNS1_27merge_sort_block_merge_implIS3_PS6_N6thrust23THRUST_200600_302600_NS10device_ptrIlEEmNSB_4lessIS6_EEEE10hipError_tT0_T1_T2_jT3_P12ihipStream_tbPNSt15iterator_traitsISH_E10value_typeEPNSN_ISI_E10value_typeEPSJ_NS1_7vsmem_tEENKUlT_SH_SI_SJ_E_clIS9_S9_PlSD_EESG_SW_SH_SI_SJ_EUlSW_E1_NS1_11comp_targetILNS1_3genE10ELNS1_11target_archE1201ELNS1_3gpuE5ELNS1_3repE0EEENS1_36merge_oddeven_config_static_selectorELNS0_4arch9wavefront6targetE1EEEvSI_
		.amdhsa_group_segment_fixed_size 0
		.amdhsa_private_segment_fixed_size 0
		.amdhsa_kernarg_size 56
		.amdhsa_user_sgpr_count 6
		.amdhsa_user_sgpr_private_segment_buffer 1
		.amdhsa_user_sgpr_dispatch_ptr 0
		.amdhsa_user_sgpr_queue_ptr 0
		.amdhsa_user_sgpr_kernarg_segment_ptr 1
		.amdhsa_user_sgpr_dispatch_id 0
		.amdhsa_user_sgpr_flat_scratch_init 0
		.amdhsa_user_sgpr_kernarg_preload_length 0
		.amdhsa_user_sgpr_kernarg_preload_offset 0
		.amdhsa_user_sgpr_private_segment_size 0
		.amdhsa_uses_dynamic_stack 0
		.amdhsa_system_sgpr_private_segment_wavefront_offset 0
		.amdhsa_system_sgpr_workgroup_id_x 1
		.amdhsa_system_sgpr_workgroup_id_y 0
		.amdhsa_system_sgpr_workgroup_id_z 0
		.amdhsa_system_sgpr_workgroup_info 0
		.amdhsa_system_vgpr_workitem_id 0
		.amdhsa_next_free_vgpr 1
		.amdhsa_next_free_sgpr 0
		.amdhsa_accum_offset 4
		.amdhsa_reserve_vcc 0
		.amdhsa_reserve_flat_scratch 0
		.amdhsa_float_round_mode_32 0
		.amdhsa_float_round_mode_16_64 0
		.amdhsa_float_denorm_mode_32 3
		.amdhsa_float_denorm_mode_16_64 3
		.amdhsa_dx10_clamp 1
		.amdhsa_ieee_mode 1
		.amdhsa_fp16_overflow 0
		.amdhsa_tg_split 0
		.amdhsa_exception_fp_ieee_invalid_op 0
		.amdhsa_exception_fp_denorm_src 0
		.amdhsa_exception_fp_ieee_div_zero 0
		.amdhsa_exception_fp_ieee_overflow 0
		.amdhsa_exception_fp_ieee_underflow 0
		.amdhsa_exception_fp_ieee_inexact 0
		.amdhsa_exception_int_div_zero 0
	.end_amdhsa_kernel
	.section	.text._ZN7rocprim17ROCPRIM_400000_NS6detail17trampoline_kernelINS0_14default_configENS1_38merge_sort_block_merge_config_selectorIN3c104HalfElEEZZNS1_27merge_sort_block_merge_implIS3_PS6_N6thrust23THRUST_200600_302600_NS10device_ptrIlEEmNSB_4lessIS6_EEEE10hipError_tT0_T1_T2_jT3_P12ihipStream_tbPNSt15iterator_traitsISH_E10value_typeEPNSN_ISI_E10value_typeEPSJ_NS1_7vsmem_tEENKUlT_SH_SI_SJ_E_clIS9_S9_PlSD_EESG_SW_SH_SI_SJ_EUlSW_E1_NS1_11comp_targetILNS1_3genE10ELNS1_11target_archE1201ELNS1_3gpuE5ELNS1_3repE0EEENS1_36merge_oddeven_config_static_selectorELNS0_4arch9wavefront6targetE1EEEvSI_,"axG",@progbits,_ZN7rocprim17ROCPRIM_400000_NS6detail17trampoline_kernelINS0_14default_configENS1_38merge_sort_block_merge_config_selectorIN3c104HalfElEEZZNS1_27merge_sort_block_merge_implIS3_PS6_N6thrust23THRUST_200600_302600_NS10device_ptrIlEEmNSB_4lessIS6_EEEE10hipError_tT0_T1_T2_jT3_P12ihipStream_tbPNSt15iterator_traitsISH_E10value_typeEPNSN_ISI_E10value_typeEPSJ_NS1_7vsmem_tEENKUlT_SH_SI_SJ_E_clIS9_S9_PlSD_EESG_SW_SH_SI_SJ_EUlSW_E1_NS1_11comp_targetILNS1_3genE10ELNS1_11target_archE1201ELNS1_3gpuE5ELNS1_3repE0EEENS1_36merge_oddeven_config_static_selectorELNS0_4arch9wavefront6targetE1EEEvSI_,comdat
.Lfunc_end2143:
	.size	_ZN7rocprim17ROCPRIM_400000_NS6detail17trampoline_kernelINS0_14default_configENS1_38merge_sort_block_merge_config_selectorIN3c104HalfElEEZZNS1_27merge_sort_block_merge_implIS3_PS6_N6thrust23THRUST_200600_302600_NS10device_ptrIlEEmNSB_4lessIS6_EEEE10hipError_tT0_T1_T2_jT3_P12ihipStream_tbPNSt15iterator_traitsISH_E10value_typeEPNSN_ISI_E10value_typeEPSJ_NS1_7vsmem_tEENKUlT_SH_SI_SJ_E_clIS9_S9_PlSD_EESG_SW_SH_SI_SJ_EUlSW_E1_NS1_11comp_targetILNS1_3genE10ELNS1_11target_archE1201ELNS1_3gpuE5ELNS1_3repE0EEENS1_36merge_oddeven_config_static_selectorELNS0_4arch9wavefront6targetE1EEEvSI_, .Lfunc_end2143-_ZN7rocprim17ROCPRIM_400000_NS6detail17trampoline_kernelINS0_14default_configENS1_38merge_sort_block_merge_config_selectorIN3c104HalfElEEZZNS1_27merge_sort_block_merge_implIS3_PS6_N6thrust23THRUST_200600_302600_NS10device_ptrIlEEmNSB_4lessIS6_EEEE10hipError_tT0_T1_T2_jT3_P12ihipStream_tbPNSt15iterator_traitsISH_E10value_typeEPNSN_ISI_E10value_typeEPSJ_NS1_7vsmem_tEENKUlT_SH_SI_SJ_E_clIS9_S9_PlSD_EESG_SW_SH_SI_SJ_EUlSW_E1_NS1_11comp_targetILNS1_3genE10ELNS1_11target_archE1201ELNS1_3gpuE5ELNS1_3repE0EEENS1_36merge_oddeven_config_static_selectorELNS0_4arch9wavefront6targetE1EEEvSI_
                                        ; -- End function
	.section	.AMDGPU.csdata,"",@progbits
; Kernel info:
; codeLenInByte = 0
; NumSgprs: 4
; NumVgprs: 0
; NumAgprs: 0
; TotalNumVgprs: 0
; ScratchSize: 0
; MemoryBound: 0
; FloatMode: 240
; IeeeMode: 1
; LDSByteSize: 0 bytes/workgroup (compile time only)
; SGPRBlocks: 0
; VGPRBlocks: 0
; NumSGPRsForWavesPerEU: 4
; NumVGPRsForWavesPerEU: 1
; AccumOffset: 4
; Occupancy: 8
; WaveLimiterHint : 0
; COMPUTE_PGM_RSRC2:SCRATCH_EN: 0
; COMPUTE_PGM_RSRC2:USER_SGPR: 6
; COMPUTE_PGM_RSRC2:TRAP_HANDLER: 0
; COMPUTE_PGM_RSRC2:TGID_X_EN: 1
; COMPUTE_PGM_RSRC2:TGID_Y_EN: 0
; COMPUTE_PGM_RSRC2:TGID_Z_EN: 0
; COMPUTE_PGM_RSRC2:TIDIG_COMP_CNT: 0
; COMPUTE_PGM_RSRC3_GFX90A:ACCUM_OFFSET: 0
; COMPUTE_PGM_RSRC3_GFX90A:TG_SPLIT: 0
	.section	.text._ZN7rocprim17ROCPRIM_400000_NS6detail17trampoline_kernelINS0_14default_configENS1_38merge_sort_block_merge_config_selectorIN3c104HalfElEEZZNS1_27merge_sort_block_merge_implIS3_PS6_N6thrust23THRUST_200600_302600_NS10device_ptrIlEEmNSB_4lessIS6_EEEE10hipError_tT0_T1_T2_jT3_P12ihipStream_tbPNSt15iterator_traitsISH_E10value_typeEPNSN_ISI_E10value_typeEPSJ_NS1_7vsmem_tEENKUlT_SH_SI_SJ_E_clIS9_S9_PlSD_EESG_SW_SH_SI_SJ_EUlSW_E1_NS1_11comp_targetILNS1_3genE5ELNS1_11target_archE942ELNS1_3gpuE9ELNS1_3repE0EEENS1_36merge_oddeven_config_static_selectorELNS0_4arch9wavefront6targetE1EEEvSI_,"axG",@progbits,_ZN7rocprim17ROCPRIM_400000_NS6detail17trampoline_kernelINS0_14default_configENS1_38merge_sort_block_merge_config_selectorIN3c104HalfElEEZZNS1_27merge_sort_block_merge_implIS3_PS6_N6thrust23THRUST_200600_302600_NS10device_ptrIlEEmNSB_4lessIS6_EEEE10hipError_tT0_T1_T2_jT3_P12ihipStream_tbPNSt15iterator_traitsISH_E10value_typeEPNSN_ISI_E10value_typeEPSJ_NS1_7vsmem_tEENKUlT_SH_SI_SJ_E_clIS9_S9_PlSD_EESG_SW_SH_SI_SJ_EUlSW_E1_NS1_11comp_targetILNS1_3genE5ELNS1_11target_archE942ELNS1_3gpuE9ELNS1_3repE0EEENS1_36merge_oddeven_config_static_selectorELNS0_4arch9wavefront6targetE1EEEvSI_,comdat
	.protected	_ZN7rocprim17ROCPRIM_400000_NS6detail17trampoline_kernelINS0_14default_configENS1_38merge_sort_block_merge_config_selectorIN3c104HalfElEEZZNS1_27merge_sort_block_merge_implIS3_PS6_N6thrust23THRUST_200600_302600_NS10device_ptrIlEEmNSB_4lessIS6_EEEE10hipError_tT0_T1_T2_jT3_P12ihipStream_tbPNSt15iterator_traitsISH_E10value_typeEPNSN_ISI_E10value_typeEPSJ_NS1_7vsmem_tEENKUlT_SH_SI_SJ_E_clIS9_S9_PlSD_EESG_SW_SH_SI_SJ_EUlSW_E1_NS1_11comp_targetILNS1_3genE5ELNS1_11target_archE942ELNS1_3gpuE9ELNS1_3repE0EEENS1_36merge_oddeven_config_static_selectorELNS0_4arch9wavefront6targetE1EEEvSI_ ; -- Begin function _ZN7rocprim17ROCPRIM_400000_NS6detail17trampoline_kernelINS0_14default_configENS1_38merge_sort_block_merge_config_selectorIN3c104HalfElEEZZNS1_27merge_sort_block_merge_implIS3_PS6_N6thrust23THRUST_200600_302600_NS10device_ptrIlEEmNSB_4lessIS6_EEEE10hipError_tT0_T1_T2_jT3_P12ihipStream_tbPNSt15iterator_traitsISH_E10value_typeEPNSN_ISI_E10value_typeEPSJ_NS1_7vsmem_tEENKUlT_SH_SI_SJ_E_clIS9_S9_PlSD_EESG_SW_SH_SI_SJ_EUlSW_E1_NS1_11comp_targetILNS1_3genE5ELNS1_11target_archE942ELNS1_3gpuE9ELNS1_3repE0EEENS1_36merge_oddeven_config_static_selectorELNS0_4arch9wavefront6targetE1EEEvSI_
	.globl	_ZN7rocprim17ROCPRIM_400000_NS6detail17trampoline_kernelINS0_14default_configENS1_38merge_sort_block_merge_config_selectorIN3c104HalfElEEZZNS1_27merge_sort_block_merge_implIS3_PS6_N6thrust23THRUST_200600_302600_NS10device_ptrIlEEmNSB_4lessIS6_EEEE10hipError_tT0_T1_T2_jT3_P12ihipStream_tbPNSt15iterator_traitsISH_E10value_typeEPNSN_ISI_E10value_typeEPSJ_NS1_7vsmem_tEENKUlT_SH_SI_SJ_E_clIS9_S9_PlSD_EESG_SW_SH_SI_SJ_EUlSW_E1_NS1_11comp_targetILNS1_3genE5ELNS1_11target_archE942ELNS1_3gpuE9ELNS1_3repE0EEENS1_36merge_oddeven_config_static_selectorELNS0_4arch9wavefront6targetE1EEEvSI_
	.p2align	8
	.type	_ZN7rocprim17ROCPRIM_400000_NS6detail17trampoline_kernelINS0_14default_configENS1_38merge_sort_block_merge_config_selectorIN3c104HalfElEEZZNS1_27merge_sort_block_merge_implIS3_PS6_N6thrust23THRUST_200600_302600_NS10device_ptrIlEEmNSB_4lessIS6_EEEE10hipError_tT0_T1_T2_jT3_P12ihipStream_tbPNSt15iterator_traitsISH_E10value_typeEPNSN_ISI_E10value_typeEPSJ_NS1_7vsmem_tEENKUlT_SH_SI_SJ_E_clIS9_S9_PlSD_EESG_SW_SH_SI_SJ_EUlSW_E1_NS1_11comp_targetILNS1_3genE5ELNS1_11target_archE942ELNS1_3gpuE9ELNS1_3repE0EEENS1_36merge_oddeven_config_static_selectorELNS0_4arch9wavefront6targetE1EEEvSI_,@function
_ZN7rocprim17ROCPRIM_400000_NS6detail17trampoline_kernelINS0_14default_configENS1_38merge_sort_block_merge_config_selectorIN3c104HalfElEEZZNS1_27merge_sort_block_merge_implIS3_PS6_N6thrust23THRUST_200600_302600_NS10device_ptrIlEEmNSB_4lessIS6_EEEE10hipError_tT0_T1_T2_jT3_P12ihipStream_tbPNSt15iterator_traitsISH_E10value_typeEPNSN_ISI_E10value_typeEPSJ_NS1_7vsmem_tEENKUlT_SH_SI_SJ_E_clIS9_S9_PlSD_EESG_SW_SH_SI_SJ_EUlSW_E1_NS1_11comp_targetILNS1_3genE5ELNS1_11target_archE942ELNS1_3gpuE9ELNS1_3repE0EEENS1_36merge_oddeven_config_static_selectorELNS0_4arch9wavefront6targetE1EEEvSI_: ; @_ZN7rocprim17ROCPRIM_400000_NS6detail17trampoline_kernelINS0_14default_configENS1_38merge_sort_block_merge_config_selectorIN3c104HalfElEEZZNS1_27merge_sort_block_merge_implIS3_PS6_N6thrust23THRUST_200600_302600_NS10device_ptrIlEEmNSB_4lessIS6_EEEE10hipError_tT0_T1_T2_jT3_P12ihipStream_tbPNSt15iterator_traitsISH_E10value_typeEPNSN_ISI_E10value_typeEPSJ_NS1_7vsmem_tEENKUlT_SH_SI_SJ_E_clIS9_S9_PlSD_EESG_SW_SH_SI_SJ_EUlSW_E1_NS1_11comp_targetILNS1_3genE5ELNS1_11target_archE942ELNS1_3gpuE9ELNS1_3repE0EEENS1_36merge_oddeven_config_static_selectorELNS0_4arch9wavefront6targetE1EEEvSI_
; %bb.0:
	.section	.rodata,"a",@progbits
	.p2align	6, 0x0
	.amdhsa_kernel _ZN7rocprim17ROCPRIM_400000_NS6detail17trampoline_kernelINS0_14default_configENS1_38merge_sort_block_merge_config_selectorIN3c104HalfElEEZZNS1_27merge_sort_block_merge_implIS3_PS6_N6thrust23THRUST_200600_302600_NS10device_ptrIlEEmNSB_4lessIS6_EEEE10hipError_tT0_T1_T2_jT3_P12ihipStream_tbPNSt15iterator_traitsISH_E10value_typeEPNSN_ISI_E10value_typeEPSJ_NS1_7vsmem_tEENKUlT_SH_SI_SJ_E_clIS9_S9_PlSD_EESG_SW_SH_SI_SJ_EUlSW_E1_NS1_11comp_targetILNS1_3genE5ELNS1_11target_archE942ELNS1_3gpuE9ELNS1_3repE0EEENS1_36merge_oddeven_config_static_selectorELNS0_4arch9wavefront6targetE1EEEvSI_
		.amdhsa_group_segment_fixed_size 0
		.amdhsa_private_segment_fixed_size 0
		.amdhsa_kernarg_size 56
		.amdhsa_user_sgpr_count 6
		.amdhsa_user_sgpr_private_segment_buffer 1
		.amdhsa_user_sgpr_dispatch_ptr 0
		.amdhsa_user_sgpr_queue_ptr 0
		.amdhsa_user_sgpr_kernarg_segment_ptr 1
		.amdhsa_user_sgpr_dispatch_id 0
		.amdhsa_user_sgpr_flat_scratch_init 0
		.amdhsa_user_sgpr_kernarg_preload_length 0
		.amdhsa_user_sgpr_kernarg_preload_offset 0
		.amdhsa_user_sgpr_private_segment_size 0
		.amdhsa_uses_dynamic_stack 0
		.amdhsa_system_sgpr_private_segment_wavefront_offset 0
		.amdhsa_system_sgpr_workgroup_id_x 1
		.amdhsa_system_sgpr_workgroup_id_y 0
		.amdhsa_system_sgpr_workgroup_id_z 0
		.amdhsa_system_sgpr_workgroup_info 0
		.amdhsa_system_vgpr_workitem_id 0
		.amdhsa_next_free_vgpr 1
		.amdhsa_next_free_sgpr 0
		.amdhsa_accum_offset 4
		.amdhsa_reserve_vcc 0
		.amdhsa_reserve_flat_scratch 0
		.amdhsa_float_round_mode_32 0
		.amdhsa_float_round_mode_16_64 0
		.amdhsa_float_denorm_mode_32 3
		.amdhsa_float_denorm_mode_16_64 3
		.amdhsa_dx10_clamp 1
		.amdhsa_ieee_mode 1
		.amdhsa_fp16_overflow 0
		.amdhsa_tg_split 0
		.amdhsa_exception_fp_ieee_invalid_op 0
		.amdhsa_exception_fp_denorm_src 0
		.amdhsa_exception_fp_ieee_div_zero 0
		.amdhsa_exception_fp_ieee_overflow 0
		.amdhsa_exception_fp_ieee_underflow 0
		.amdhsa_exception_fp_ieee_inexact 0
		.amdhsa_exception_int_div_zero 0
	.end_amdhsa_kernel
	.section	.text._ZN7rocprim17ROCPRIM_400000_NS6detail17trampoline_kernelINS0_14default_configENS1_38merge_sort_block_merge_config_selectorIN3c104HalfElEEZZNS1_27merge_sort_block_merge_implIS3_PS6_N6thrust23THRUST_200600_302600_NS10device_ptrIlEEmNSB_4lessIS6_EEEE10hipError_tT0_T1_T2_jT3_P12ihipStream_tbPNSt15iterator_traitsISH_E10value_typeEPNSN_ISI_E10value_typeEPSJ_NS1_7vsmem_tEENKUlT_SH_SI_SJ_E_clIS9_S9_PlSD_EESG_SW_SH_SI_SJ_EUlSW_E1_NS1_11comp_targetILNS1_3genE5ELNS1_11target_archE942ELNS1_3gpuE9ELNS1_3repE0EEENS1_36merge_oddeven_config_static_selectorELNS0_4arch9wavefront6targetE1EEEvSI_,"axG",@progbits,_ZN7rocprim17ROCPRIM_400000_NS6detail17trampoline_kernelINS0_14default_configENS1_38merge_sort_block_merge_config_selectorIN3c104HalfElEEZZNS1_27merge_sort_block_merge_implIS3_PS6_N6thrust23THRUST_200600_302600_NS10device_ptrIlEEmNSB_4lessIS6_EEEE10hipError_tT0_T1_T2_jT3_P12ihipStream_tbPNSt15iterator_traitsISH_E10value_typeEPNSN_ISI_E10value_typeEPSJ_NS1_7vsmem_tEENKUlT_SH_SI_SJ_E_clIS9_S9_PlSD_EESG_SW_SH_SI_SJ_EUlSW_E1_NS1_11comp_targetILNS1_3genE5ELNS1_11target_archE942ELNS1_3gpuE9ELNS1_3repE0EEENS1_36merge_oddeven_config_static_selectorELNS0_4arch9wavefront6targetE1EEEvSI_,comdat
.Lfunc_end2144:
	.size	_ZN7rocprim17ROCPRIM_400000_NS6detail17trampoline_kernelINS0_14default_configENS1_38merge_sort_block_merge_config_selectorIN3c104HalfElEEZZNS1_27merge_sort_block_merge_implIS3_PS6_N6thrust23THRUST_200600_302600_NS10device_ptrIlEEmNSB_4lessIS6_EEEE10hipError_tT0_T1_T2_jT3_P12ihipStream_tbPNSt15iterator_traitsISH_E10value_typeEPNSN_ISI_E10value_typeEPSJ_NS1_7vsmem_tEENKUlT_SH_SI_SJ_E_clIS9_S9_PlSD_EESG_SW_SH_SI_SJ_EUlSW_E1_NS1_11comp_targetILNS1_3genE5ELNS1_11target_archE942ELNS1_3gpuE9ELNS1_3repE0EEENS1_36merge_oddeven_config_static_selectorELNS0_4arch9wavefront6targetE1EEEvSI_, .Lfunc_end2144-_ZN7rocprim17ROCPRIM_400000_NS6detail17trampoline_kernelINS0_14default_configENS1_38merge_sort_block_merge_config_selectorIN3c104HalfElEEZZNS1_27merge_sort_block_merge_implIS3_PS6_N6thrust23THRUST_200600_302600_NS10device_ptrIlEEmNSB_4lessIS6_EEEE10hipError_tT0_T1_T2_jT3_P12ihipStream_tbPNSt15iterator_traitsISH_E10value_typeEPNSN_ISI_E10value_typeEPSJ_NS1_7vsmem_tEENKUlT_SH_SI_SJ_E_clIS9_S9_PlSD_EESG_SW_SH_SI_SJ_EUlSW_E1_NS1_11comp_targetILNS1_3genE5ELNS1_11target_archE942ELNS1_3gpuE9ELNS1_3repE0EEENS1_36merge_oddeven_config_static_selectorELNS0_4arch9wavefront6targetE1EEEvSI_
                                        ; -- End function
	.section	.AMDGPU.csdata,"",@progbits
; Kernel info:
; codeLenInByte = 0
; NumSgprs: 4
; NumVgprs: 0
; NumAgprs: 0
; TotalNumVgprs: 0
; ScratchSize: 0
; MemoryBound: 0
; FloatMode: 240
; IeeeMode: 1
; LDSByteSize: 0 bytes/workgroup (compile time only)
; SGPRBlocks: 0
; VGPRBlocks: 0
; NumSGPRsForWavesPerEU: 4
; NumVGPRsForWavesPerEU: 1
; AccumOffset: 4
; Occupancy: 8
; WaveLimiterHint : 0
; COMPUTE_PGM_RSRC2:SCRATCH_EN: 0
; COMPUTE_PGM_RSRC2:USER_SGPR: 6
; COMPUTE_PGM_RSRC2:TRAP_HANDLER: 0
; COMPUTE_PGM_RSRC2:TGID_X_EN: 1
; COMPUTE_PGM_RSRC2:TGID_Y_EN: 0
; COMPUTE_PGM_RSRC2:TGID_Z_EN: 0
; COMPUTE_PGM_RSRC2:TIDIG_COMP_CNT: 0
; COMPUTE_PGM_RSRC3_GFX90A:ACCUM_OFFSET: 0
; COMPUTE_PGM_RSRC3_GFX90A:TG_SPLIT: 0
	.section	.text._ZN7rocprim17ROCPRIM_400000_NS6detail17trampoline_kernelINS0_14default_configENS1_38merge_sort_block_merge_config_selectorIN3c104HalfElEEZZNS1_27merge_sort_block_merge_implIS3_PS6_N6thrust23THRUST_200600_302600_NS10device_ptrIlEEmNSB_4lessIS6_EEEE10hipError_tT0_T1_T2_jT3_P12ihipStream_tbPNSt15iterator_traitsISH_E10value_typeEPNSN_ISI_E10value_typeEPSJ_NS1_7vsmem_tEENKUlT_SH_SI_SJ_E_clIS9_S9_PlSD_EESG_SW_SH_SI_SJ_EUlSW_E1_NS1_11comp_targetILNS1_3genE4ELNS1_11target_archE910ELNS1_3gpuE8ELNS1_3repE0EEENS1_36merge_oddeven_config_static_selectorELNS0_4arch9wavefront6targetE1EEEvSI_,"axG",@progbits,_ZN7rocprim17ROCPRIM_400000_NS6detail17trampoline_kernelINS0_14default_configENS1_38merge_sort_block_merge_config_selectorIN3c104HalfElEEZZNS1_27merge_sort_block_merge_implIS3_PS6_N6thrust23THRUST_200600_302600_NS10device_ptrIlEEmNSB_4lessIS6_EEEE10hipError_tT0_T1_T2_jT3_P12ihipStream_tbPNSt15iterator_traitsISH_E10value_typeEPNSN_ISI_E10value_typeEPSJ_NS1_7vsmem_tEENKUlT_SH_SI_SJ_E_clIS9_S9_PlSD_EESG_SW_SH_SI_SJ_EUlSW_E1_NS1_11comp_targetILNS1_3genE4ELNS1_11target_archE910ELNS1_3gpuE8ELNS1_3repE0EEENS1_36merge_oddeven_config_static_selectorELNS0_4arch9wavefront6targetE1EEEvSI_,comdat
	.protected	_ZN7rocprim17ROCPRIM_400000_NS6detail17trampoline_kernelINS0_14default_configENS1_38merge_sort_block_merge_config_selectorIN3c104HalfElEEZZNS1_27merge_sort_block_merge_implIS3_PS6_N6thrust23THRUST_200600_302600_NS10device_ptrIlEEmNSB_4lessIS6_EEEE10hipError_tT0_T1_T2_jT3_P12ihipStream_tbPNSt15iterator_traitsISH_E10value_typeEPNSN_ISI_E10value_typeEPSJ_NS1_7vsmem_tEENKUlT_SH_SI_SJ_E_clIS9_S9_PlSD_EESG_SW_SH_SI_SJ_EUlSW_E1_NS1_11comp_targetILNS1_3genE4ELNS1_11target_archE910ELNS1_3gpuE8ELNS1_3repE0EEENS1_36merge_oddeven_config_static_selectorELNS0_4arch9wavefront6targetE1EEEvSI_ ; -- Begin function _ZN7rocprim17ROCPRIM_400000_NS6detail17trampoline_kernelINS0_14default_configENS1_38merge_sort_block_merge_config_selectorIN3c104HalfElEEZZNS1_27merge_sort_block_merge_implIS3_PS6_N6thrust23THRUST_200600_302600_NS10device_ptrIlEEmNSB_4lessIS6_EEEE10hipError_tT0_T1_T2_jT3_P12ihipStream_tbPNSt15iterator_traitsISH_E10value_typeEPNSN_ISI_E10value_typeEPSJ_NS1_7vsmem_tEENKUlT_SH_SI_SJ_E_clIS9_S9_PlSD_EESG_SW_SH_SI_SJ_EUlSW_E1_NS1_11comp_targetILNS1_3genE4ELNS1_11target_archE910ELNS1_3gpuE8ELNS1_3repE0EEENS1_36merge_oddeven_config_static_selectorELNS0_4arch9wavefront6targetE1EEEvSI_
	.globl	_ZN7rocprim17ROCPRIM_400000_NS6detail17trampoline_kernelINS0_14default_configENS1_38merge_sort_block_merge_config_selectorIN3c104HalfElEEZZNS1_27merge_sort_block_merge_implIS3_PS6_N6thrust23THRUST_200600_302600_NS10device_ptrIlEEmNSB_4lessIS6_EEEE10hipError_tT0_T1_T2_jT3_P12ihipStream_tbPNSt15iterator_traitsISH_E10value_typeEPNSN_ISI_E10value_typeEPSJ_NS1_7vsmem_tEENKUlT_SH_SI_SJ_E_clIS9_S9_PlSD_EESG_SW_SH_SI_SJ_EUlSW_E1_NS1_11comp_targetILNS1_3genE4ELNS1_11target_archE910ELNS1_3gpuE8ELNS1_3repE0EEENS1_36merge_oddeven_config_static_selectorELNS0_4arch9wavefront6targetE1EEEvSI_
	.p2align	8
	.type	_ZN7rocprim17ROCPRIM_400000_NS6detail17trampoline_kernelINS0_14default_configENS1_38merge_sort_block_merge_config_selectorIN3c104HalfElEEZZNS1_27merge_sort_block_merge_implIS3_PS6_N6thrust23THRUST_200600_302600_NS10device_ptrIlEEmNSB_4lessIS6_EEEE10hipError_tT0_T1_T2_jT3_P12ihipStream_tbPNSt15iterator_traitsISH_E10value_typeEPNSN_ISI_E10value_typeEPSJ_NS1_7vsmem_tEENKUlT_SH_SI_SJ_E_clIS9_S9_PlSD_EESG_SW_SH_SI_SJ_EUlSW_E1_NS1_11comp_targetILNS1_3genE4ELNS1_11target_archE910ELNS1_3gpuE8ELNS1_3repE0EEENS1_36merge_oddeven_config_static_selectorELNS0_4arch9wavefront6targetE1EEEvSI_,@function
_ZN7rocprim17ROCPRIM_400000_NS6detail17trampoline_kernelINS0_14default_configENS1_38merge_sort_block_merge_config_selectorIN3c104HalfElEEZZNS1_27merge_sort_block_merge_implIS3_PS6_N6thrust23THRUST_200600_302600_NS10device_ptrIlEEmNSB_4lessIS6_EEEE10hipError_tT0_T1_T2_jT3_P12ihipStream_tbPNSt15iterator_traitsISH_E10value_typeEPNSN_ISI_E10value_typeEPSJ_NS1_7vsmem_tEENKUlT_SH_SI_SJ_E_clIS9_S9_PlSD_EESG_SW_SH_SI_SJ_EUlSW_E1_NS1_11comp_targetILNS1_3genE4ELNS1_11target_archE910ELNS1_3gpuE8ELNS1_3repE0EEENS1_36merge_oddeven_config_static_selectorELNS0_4arch9wavefront6targetE1EEEvSI_: ; @_ZN7rocprim17ROCPRIM_400000_NS6detail17trampoline_kernelINS0_14default_configENS1_38merge_sort_block_merge_config_selectorIN3c104HalfElEEZZNS1_27merge_sort_block_merge_implIS3_PS6_N6thrust23THRUST_200600_302600_NS10device_ptrIlEEmNSB_4lessIS6_EEEE10hipError_tT0_T1_T2_jT3_P12ihipStream_tbPNSt15iterator_traitsISH_E10value_typeEPNSN_ISI_E10value_typeEPSJ_NS1_7vsmem_tEENKUlT_SH_SI_SJ_E_clIS9_S9_PlSD_EESG_SW_SH_SI_SJ_EUlSW_E1_NS1_11comp_targetILNS1_3genE4ELNS1_11target_archE910ELNS1_3gpuE8ELNS1_3repE0EEENS1_36merge_oddeven_config_static_selectorELNS0_4arch9wavefront6targetE1EEEvSI_
; %bb.0:
	s_load_dwordx4 s[8:11], s[4:5], 0x18
	s_waitcnt lgkmcnt(0)
	s_lshr_b32 s2, s10, 8
	s_cmp_lg_u32 s6, s2
	s_cselect_b64 s[0:1], -1, 0
	s_cmp_eq_u32 s6, s2
	s_cselect_b64 s[16:17], -1, 0
	s_lshl_b32 s18, s6, 8
	s_sub_i32 s2, s10, s18
	v_cmp_gt_u32_e64 s[2:3], s2, v0
	s_or_b64 s[0:1], s[0:1], s[2:3]
	s_and_saveexec_b64 s[12:13], s[0:1]
	s_cbranch_execz .LBB2145_26
; %bb.1:
	s_load_dwordx4 s[12:15], s[4:5], 0x0
	s_load_dwordx2 s[0:1], s[4:5], 0x10
	s_mov_b32 s19, 0
	s_lshl_b64 s[20:21], s[18:19], 1
	v_lshlrev_b32_e32 v4, 3, v0
	s_waitcnt lgkmcnt(0)
	s_add_u32 s20, s12, s20
	s_addc_u32 s21, s13, s21
	s_lshl_b64 s[22:23], s[18:19], 3
	s_add_u32 s0, s0, s22
	s_addc_u32 s1, s1, s23
	v_lshlrev_b32_e32 v1, 1, v0
	global_load_dwordx2 v[2:3], v4, s[0:1]
	global_load_ushort v6, v1, s[20:21]
	s_load_dword s20, s[4:5], 0x28
	v_add_u32_e32 v4, s18, v0
	s_waitcnt lgkmcnt(0)
	s_lshr_b32 s0, s20, 8
	s_sub_i32 s1, 0, s0
	s_and_b32 s1, s6, s1
	s_and_b32 s0, s1, s0
	s_lshl_b32 s21, s1, 8
	s_sub_i32 s6, 0, s20
	s_cmp_eq_u32 s0, 0
	s_cselect_b64 s[0:1], -1, 0
	s_and_b64 s[4:5], s[0:1], exec
	s_cselect_b32 s11, s20, s6
	s_add_i32 s11, s11, s21
	s_cmp_lt_u32 s11, s10
	s_cbranch_scc1 .LBB2145_6
; %bb.2:
	s_and_b64 vcc, exec, s[16:17]
	s_cbranch_vccz .LBB2145_7
; %bb.3:
	v_cmp_gt_u32_e32 vcc, s10, v4
	s_mov_b64 s[6:7], 0
	s_mov_b64 s[4:5], 0
                                        ; implicit-def: $vgpr0_vgpr1
	s_and_saveexec_b64 s[18:19], vcc
	s_cbranch_execz .LBB2145_5
; %bb.4:
	v_mov_b32_e32 v5, 0
	v_lshlrev_b64 v[0:1], 3, v[4:5]
	v_mov_b32_e32 v7, s9
	v_add_co_u32_e32 v0, vcc, s8, v0
	v_addc_co_u32_e32 v1, vcc, v7, v1, vcc
	v_lshlrev_b64 v[8:9], 1, v[4:5]
	v_mov_b32_e32 v5, s15
	v_add_co_u32_e32 v8, vcc, s14, v8
	s_mov_b64 s[4:5], exec
	v_addc_co_u32_e32 v9, vcc, v5, v9, vcc
	s_waitcnt vmcnt(0)
	global_store_short v[8:9], v6, off
.LBB2145_5:
	s_or_b64 exec, exec, s[18:19]
	s_and_b64 vcc, exec, s[6:7]
	s_cbranch_vccnz .LBB2145_8
	s_branch .LBB2145_9
.LBB2145_6:
	s_mov_b64 s[4:5], 0
                                        ; implicit-def: $vgpr0_vgpr1
	s_cbranch_execnz .LBB2145_10
	s_branch .LBB2145_24
.LBB2145_7:
	s_mov_b64 s[4:5], 0
                                        ; implicit-def: $vgpr0_vgpr1
	s_cbranch_execz .LBB2145_9
.LBB2145_8:
	v_mov_b32_e32 v5, 0
	v_lshlrev_b64 v[0:1], 1, v[4:5]
	v_mov_b32_e32 v7, s15
	v_add_co_u32_e32 v0, vcc, s14, v0
	v_addc_co_u32_e32 v1, vcc, v7, v1, vcc
	s_waitcnt vmcnt(0)
	global_store_short v[0:1], v6, off
	v_lshlrev_b64 v[0:1], 3, v[4:5]
	v_mov_b32_e32 v5, s9
	v_add_co_u32_e32 v0, vcc, s8, v0
	v_addc_co_u32_e32 v1, vcc, v5, v1, vcc
	s_or_b64 s[4:5], s[4:5], exec
.LBB2145_9:
	s_branch .LBB2145_24
.LBB2145_10:
	s_min_u32 s18, s11, s10
	s_add_i32 s6, s18, s20
	s_min_u32 s10, s6, s10
	s_min_u32 s6, s21, s18
	s_add_i32 s21, s21, s18
	v_subrev_u32_e32 v0, s21, v4
	v_add_u32_e32 v4, s6, v0
	s_and_b64 vcc, exec, s[16:17]
	s_cbranch_vccz .LBB2145_18
; %bb.11:
                                        ; implicit-def: $vgpr0_vgpr1
	s_and_saveexec_b64 s[6:7], s[2:3]
	s_cbranch_execz .LBB2145_17
; %bb.12:
	s_cmp_ge_u32 s11, s10
	v_mov_b32_e32 v0, s18
	s_cbranch_scc1 .LBB2145_16
; %bb.13:
	s_mov_b64 s[2:3], 0
	v_mov_b32_e32 v1, s10
	v_mov_b32_e32 v0, s18
.LBB2145_14:                            ; =>This Inner Loop Header: Depth=1
	v_add_u32_e32 v5, v0, v1
	v_and_b32_e32 v7, -2, v5
	global_load_ushort v7, v7, s[12:13]
	v_lshrrev_b32_e32 v5, 1, v5
	v_add_u32_e32 v8, 1, v5
	s_waitcnt vmcnt(0)
	v_cmp_lt_f16_e32 vcc, v7, v6
	v_cndmask_b32_e64 v9, 0, 1, vcc
	v_cmp_ngt_f16_e32 vcc, v7, v6
	v_cndmask_b32_e64 v7, 0, 1, vcc
	v_cndmask_b32_e64 v7, v7, v9, s[0:1]
	v_and_b32_e32 v7, 1, v7
	v_cmp_eq_u32_e32 vcc, 1, v7
	v_cndmask_b32_e32 v1, v5, v1, vcc
	v_cndmask_b32_e32 v0, v0, v8, vcc
	v_cmp_ge_u32_e32 vcc, v0, v1
	s_or_b64 s[2:3], vcc, s[2:3]
	s_andn2_b64 exec, exec, s[2:3]
	s_cbranch_execnz .LBB2145_14
; %bb.15:
	s_or_b64 exec, exec, s[2:3]
.LBB2145_16:
	v_add_u32_e32 v0, v0, v4
	v_mov_b32_e32 v1, 0
	v_lshlrev_b64 v[8:9], 1, v[0:1]
	v_mov_b32_e32 v5, s15
	v_add_co_u32_e32 v8, vcc, s14, v8
	v_addc_co_u32_e32 v9, vcc, v5, v9, vcc
	v_lshlrev_b64 v[0:1], 3, v[0:1]
	v_mov_b32_e32 v5, s9
	v_add_co_u32_e32 v0, vcc, s8, v0
	s_waitcnt vmcnt(0)
	global_store_short v[8:9], v6, off
	v_addc_co_u32_e32 v1, vcc, v5, v1, vcc
	s_or_b64 s[4:5], s[4:5], exec
.LBB2145_17:
	s_or_b64 exec, exec, s[6:7]
	s_branch .LBB2145_24
.LBB2145_18:
                                        ; implicit-def: $vgpr0_vgpr1
	s_cbranch_execz .LBB2145_24
; %bb.19:
	s_cmp_ge_u32 s11, s10
	v_mov_b32_e32 v0, s18
	s_cbranch_scc1 .LBB2145_23
; %bb.20:
	s_mov_b64 s[2:3], 0
	v_mov_b32_e32 v1, s10
	v_mov_b32_e32 v0, s18
.LBB2145_21:                            ; =>This Inner Loop Header: Depth=1
	v_add_u32_e32 v5, v0, v1
	v_and_b32_e32 v7, -2, v5
	global_load_ushort v7, v7, s[12:13]
	v_lshrrev_b32_e32 v5, 1, v5
	v_add_u32_e32 v8, 1, v5
	s_waitcnt vmcnt(0)
	v_cmp_lt_f16_e32 vcc, v7, v6
	v_cndmask_b32_e64 v9, 0, 1, vcc
	v_cmp_ngt_f16_e32 vcc, v7, v6
	v_cndmask_b32_e64 v7, 0, 1, vcc
	v_cndmask_b32_e64 v7, v7, v9, s[0:1]
	v_and_b32_e32 v7, 1, v7
	v_cmp_eq_u32_e32 vcc, 1, v7
	v_cndmask_b32_e32 v1, v5, v1, vcc
	v_cndmask_b32_e32 v0, v0, v8, vcc
	v_cmp_ge_u32_e32 vcc, v0, v1
	s_or_b64 s[2:3], vcc, s[2:3]
	s_andn2_b64 exec, exec, s[2:3]
	s_cbranch_execnz .LBB2145_21
; %bb.22:
	s_or_b64 exec, exec, s[2:3]
.LBB2145_23:
	v_add_u32_e32 v0, v0, v4
	v_mov_b32_e32 v1, 0
	v_lshlrev_b64 v[4:5], 1, v[0:1]
	v_mov_b32_e32 v7, s15
	v_add_co_u32_e32 v4, vcc, s14, v4
	v_addc_co_u32_e32 v5, vcc, v7, v5, vcc
	v_lshlrev_b64 v[0:1], 3, v[0:1]
	s_waitcnt vmcnt(0)
	global_store_short v[4:5], v6, off
	v_mov_b32_e32 v4, s9
	v_add_co_u32_e32 v0, vcc, s8, v0
	v_addc_co_u32_e32 v1, vcc, v4, v1, vcc
	s_mov_b64 s[4:5], -1
.LBB2145_24:
	s_and_b64 exec, exec, s[4:5]
	s_cbranch_execz .LBB2145_26
; %bb.25:
	s_waitcnt vmcnt(1)
	global_store_dwordx2 v[0:1], v[2:3], off
.LBB2145_26:
	s_endpgm
	.section	.rodata,"a",@progbits
	.p2align	6, 0x0
	.amdhsa_kernel _ZN7rocprim17ROCPRIM_400000_NS6detail17trampoline_kernelINS0_14default_configENS1_38merge_sort_block_merge_config_selectorIN3c104HalfElEEZZNS1_27merge_sort_block_merge_implIS3_PS6_N6thrust23THRUST_200600_302600_NS10device_ptrIlEEmNSB_4lessIS6_EEEE10hipError_tT0_T1_T2_jT3_P12ihipStream_tbPNSt15iterator_traitsISH_E10value_typeEPNSN_ISI_E10value_typeEPSJ_NS1_7vsmem_tEENKUlT_SH_SI_SJ_E_clIS9_S9_PlSD_EESG_SW_SH_SI_SJ_EUlSW_E1_NS1_11comp_targetILNS1_3genE4ELNS1_11target_archE910ELNS1_3gpuE8ELNS1_3repE0EEENS1_36merge_oddeven_config_static_selectorELNS0_4arch9wavefront6targetE1EEEvSI_
		.amdhsa_group_segment_fixed_size 0
		.amdhsa_private_segment_fixed_size 0
		.amdhsa_kernarg_size 56
		.amdhsa_user_sgpr_count 6
		.amdhsa_user_sgpr_private_segment_buffer 1
		.amdhsa_user_sgpr_dispatch_ptr 0
		.amdhsa_user_sgpr_queue_ptr 0
		.amdhsa_user_sgpr_kernarg_segment_ptr 1
		.amdhsa_user_sgpr_dispatch_id 0
		.amdhsa_user_sgpr_flat_scratch_init 0
		.amdhsa_user_sgpr_kernarg_preload_length 0
		.amdhsa_user_sgpr_kernarg_preload_offset 0
		.amdhsa_user_sgpr_private_segment_size 0
		.amdhsa_uses_dynamic_stack 0
		.amdhsa_system_sgpr_private_segment_wavefront_offset 0
		.amdhsa_system_sgpr_workgroup_id_x 1
		.amdhsa_system_sgpr_workgroup_id_y 0
		.amdhsa_system_sgpr_workgroup_id_z 0
		.amdhsa_system_sgpr_workgroup_info 0
		.amdhsa_system_vgpr_workitem_id 0
		.amdhsa_next_free_vgpr 10
		.amdhsa_next_free_sgpr 24
		.amdhsa_accum_offset 12
		.amdhsa_reserve_vcc 1
		.amdhsa_reserve_flat_scratch 0
		.amdhsa_float_round_mode_32 0
		.amdhsa_float_round_mode_16_64 0
		.amdhsa_float_denorm_mode_32 3
		.amdhsa_float_denorm_mode_16_64 3
		.amdhsa_dx10_clamp 1
		.amdhsa_ieee_mode 1
		.amdhsa_fp16_overflow 0
		.amdhsa_tg_split 0
		.amdhsa_exception_fp_ieee_invalid_op 0
		.amdhsa_exception_fp_denorm_src 0
		.amdhsa_exception_fp_ieee_div_zero 0
		.amdhsa_exception_fp_ieee_overflow 0
		.amdhsa_exception_fp_ieee_underflow 0
		.amdhsa_exception_fp_ieee_inexact 0
		.amdhsa_exception_int_div_zero 0
	.end_amdhsa_kernel
	.section	.text._ZN7rocprim17ROCPRIM_400000_NS6detail17trampoline_kernelINS0_14default_configENS1_38merge_sort_block_merge_config_selectorIN3c104HalfElEEZZNS1_27merge_sort_block_merge_implIS3_PS6_N6thrust23THRUST_200600_302600_NS10device_ptrIlEEmNSB_4lessIS6_EEEE10hipError_tT0_T1_T2_jT3_P12ihipStream_tbPNSt15iterator_traitsISH_E10value_typeEPNSN_ISI_E10value_typeEPSJ_NS1_7vsmem_tEENKUlT_SH_SI_SJ_E_clIS9_S9_PlSD_EESG_SW_SH_SI_SJ_EUlSW_E1_NS1_11comp_targetILNS1_3genE4ELNS1_11target_archE910ELNS1_3gpuE8ELNS1_3repE0EEENS1_36merge_oddeven_config_static_selectorELNS0_4arch9wavefront6targetE1EEEvSI_,"axG",@progbits,_ZN7rocprim17ROCPRIM_400000_NS6detail17trampoline_kernelINS0_14default_configENS1_38merge_sort_block_merge_config_selectorIN3c104HalfElEEZZNS1_27merge_sort_block_merge_implIS3_PS6_N6thrust23THRUST_200600_302600_NS10device_ptrIlEEmNSB_4lessIS6_EEEE10hipError_tT0_T1_T2_jT3_P12ihipStream_tbPNSt15iterator_traitsISH_E10value_typeEPNSN_ISI_E10value_typeEPSJ_NS1_7vsmem_tEENKUlT_SH_SI_SJ_E_clIS9_S9_PlSD_EESG_SW_SH_SI_SJ_EUlSW_E1_NS1_11comp_targetILNS1_3genE4ELNS1_11target_archE910ELNS1_3gpuE8ELNS1_3repE0EEENS1_36merge_oddeven_config_static_selectorELNS0_4arch9wavefront6targetE1EEEvSI_,comdat
.Lfunc_end2145:
	.size	_ZN7rocprim17ROCPRIM_400000_NS6detail17trampoline_kernelINS0_14default_configENS1_38merge_sort_block_merge_config_selectorIN3c104HalfElEEZZNS1_27merge_sort_block_merge_implIS3_PS6_N6thrust23THRUST_200600_302600_NS10device_ptrIlEEmNSB_4lessIS6_EEEE10hipError_tT0_T1_T2_jT3_P12ihipStream_tbPNSt15iterator_traitsISH_E10value_typeEPNSN_ISI_E10value_typeEPSJ_NS1_7vsmem_tEENKUlT_SH_SI_SJ_E_clIS9_S9_PlSD_EESG_SW_SH_SI_SJ_EUlSW_E1_NS1_11comp_targetILNS1_3genE4ELNS1_11target_archE910ELNS1_3gpuE8ELNS1_3repE0EEENS1_36merge_oddeven_config_static_selectorELNS0_4arch9wavefront6targetE1EEEvSI_, .Lfunc_end2145-_ZN7rocprim17ROCPRIM_400000_NS6detail17trampoline_kernelINS0_14default_configENS1_38merge_sort_block_merge_config_selectorIN3c104HalfElEEZZNS1_27merge_sort_block_merge_implIS3_PS6_N6thrust23THRUST_200600_302600_NS10device_ptrIlEEmNSB_4lessIS6_EEEE10hipError_tT0_T1_T2_jT3_P12ihipStream_tbPNSt15iterator_traitsISH_E10value_typeEPNSN_ISI_E10value_typeEPSJ_NS1_7vsmem_tEENKUlT_SH_SI_SJ_E_clIS9_S9_PlSD_EESG_SW_SH_SI_SJ_EUlSW_E1_NS1_11comp_targetILNS1_3genE4ELNS1_11target_archE910ELNS1_3gpuE8ELNS1_3repE0EEENS1_36merge_oddeven_config_static_selectorELNS0_4arch9wavefront6targetE1EEEvSI_
                                        ; -- End function
	.section	.AMDGPU.csdata,"",@progbits
; Kernel info:
; codeLenInByte = 836
; NumSgprs: 28
; NumVgprs: 10
; NumAgprs: 0
; TotalNumVgprs: 10
; ScratchSize: 0
; MemoryBound: 0
; FloatMode: 240
; IeeeMode: 1
; LDSByteSize: 0 bytes/workgroup (compile time only)
; SGPRBlocks: 3
; VGPRBlocks: 1
; NumSGPRsForWavesPerEU: 28
; NumVGPRsForWavesPerEU: 10
; AccumOffset: 12
; Occupancy: 8
; WaveLimiterHint : 0
; COMPUTE_PGM_RSRC2:SCRATCH_EN: 0
; COMPUTE_PGM_RSRC2:USER_SGPR: 6
; COMPUTE_PGM_RSRC2:TRAP_HANDLER: 0
; COMPUTE_PGM_RSRC2:TGID_X_EN: 1
; COMPUTE_PGM_RSRC2:TGID_Y_EN: 0
; COMPUTE_PGM_RSRC2:TGID_Z_EN: 0
; COMPUTE_PGM_RSRC2:TIDIG_COMP_CNT: 0
; COMPUTE_PGM_RSRC3_GFX90A:ACCUM_OFFSET: 2
; COMPUTE_PGM_RSRC3_GFX90A:TG_SPLIT: 0
	.section	.text._ZN7rocprim17ROCPRIM_400000_NS6detail17trampoline_kernelINS0_14default_configENS1_38merge_sort_block_merge_config_selectorIN3c104HalfElEEZZNS1_27merge_sort_block_merge_implIS3_PS6_N6thrust23THRUST_200600_302600_NS10device_ptrIlEEmNSB_4lessIS6_EEEE10hipError_tT0_T1_T2_jT3_P12ihipStream_tbPNSt15iterator_traitsISH_E10value_typeEPNSN_ISI_E10value_typeEPSJ_NS1_7vsmem_tEENKUlT_SH_SI_SJ_E_clIS9_S9_PlSD_EESG_SW_SH_SI_SJ_EUlSW_E1_NS1_11comp_targetILNS1_3genE3ELNS1_11target_archE908ELNS1_3gpuE7ELNS1_3repE0EEENS1_36merge_oddeven_config_static_selectorELNS0_4arch9wavefront6targetE1EEEvSI_,"axG",@progbits,_ZN7rocprim17ROCPRIM_400000_NS6detail17trampoline_kernelINS0_14default_configENS1_38merge_sort_block_merge_config_selectorIN3c104HalfElEEZZNS1_27merge_sort_block_merge_implIS3_PS6_N6thrust23THRUST_200600_302600_NS10device_ptrIlEEmNSB_4lessIS6_EEEE10hipError_tT0_T1_T2_jT3_P12ihipStream_tbPNSt15iterator_traitsISH_E10value_typeEPNSN_ISI_E10value_typeEPSJ_NS1_7vsmem_tEENKUlT_SH_SI_SJ_E_clIS9_S9_PlSD_EESG_SW_SH_SI_SJ_EUlSW_E1_NS1_11comp_targetILNS1_3genE3ELNS1_11target_archE908ELNS1_3gpuE7ELNS1_3repE0EEENS1_36merge_oddeven_config_static_selectorELNS0_4arch9wavefront6targetE1EEEvSI_,comdat
	.protected	_ZN7rocprim17ROCPRIM_400000_NS6detail17trampoline_kernelINS0_14default_configENS1_38merge_sort_block_merge_config_selectorIN3c104HalfElEEZZNS1_27merge_sort_block_merge_implIS3_PS6_N6thrust23THRUST_200600_302600_NS10device_ptrIlEEmNSB_4lessIS6_EEEE10hipError_tT0_T1_T2_jT3_P12ihipStream_tbPNSt15iterator_traitsISH_E10value_typeEPNSN_ISI_E10value_typeEPSJ_NS1_7vsmem_tEENKUlT_SH_SI_SJ_E_clIS9_S9_PlSD_EESG_SW_SH_SI_SJ_EUlSW_E1_NS1_11comp_targetILNS1_3genE3ELNS1_11target_archE908ELNS1_3gpuE7ELNS1_3repE0EEENS1_36merge_oddeven_config_static_selectorELNS0_4arch9wavefront6targetE1EEEvSI_ ; -- Begin function _ZN7rocprim17ROCPRIM_400000_NS6detail17trampoline_kernelINS0_14default_configENS1_38merge_sort_block_merge_config_selectorIN3c104HalfElEEZZNS1_27merge_sort_block_merge_implIS3_PS6_N6thrust23THRUST_200600_302600_NS10device_ptrIlEEmNSB_4lessIS6_EEEE10hipError_tT0_T1_T2_jT3_P12ihipStream_tbPNSt15iterator_traitsISH_E10value_typeEPNSN_ISI_E10value_typeEPSJ_NS1_7vsmem_tEENKUlT_SH_SI_SJ_E_clIS9_S9_PlSD_EESG_SW_SH_SI_SJ_EUlSW_E1_NS1_11comp_targetILNS1_3genE3ELNS1_11target_archE908ELNS1_3gpuE7ELNS1_3repE0EEENS1_36merge_oddeven_config_static_selectorELNS0_4arch9wavefront6targetE1EEEvSI_
	.globl	_ZN7rocprim17ROCPRIM_400000_NS6detail17trampoline_kernelINS0_14default_configENS1_38merge_sort_block_merge_config_selectorIN3c104HalfElEEZZNS1_27merge_sort_block_merge_implIS3_PS6_N6thrust23THRUST_200600_302600_NS10device_ptrIlEEmNSB_4lessIS6_EEEE10hipError_tT0_T1_T2_jT3_P12ihipStream_tbPNSt15iterator_traitsISH_E10value_typeEPNSN_ISI_E10value_typeEPSJ_NS1_7vsmem_tEENKUlT_SH_SI_SJ_E_clIS9_S9_PlSD_EESG_SW_SH_SI_SJ_EUlSW_E1_NS1_11comp_targetILNS1_3genE3ELNS1_11target_archE908ELNS1_3gpuE7ELNS1_3repE0EEENS1_36merge_oddeven_config_static_selectorELNS0_4arch9wavefront6targetE1EEEvSI_
	.p2align	8
	.type	_ZN7rocprim17ROCPRIM_400000_NS6detail17trampoline_kernelINS0_14default_configENS1_38merge_sort_block_merge_config_selectorIN3c104HalfElEEZZNS1_27merge_sort_block_merge_implIS3_PS6_N6thrust23THRUST_200600_302600_NS10device_ptrIlEEmNSB_4lessIS6_EEEE10hipError_tT0_T1_T2_jT3_P12ihipStream_tbPNSt15iterator_traitsISH_E10value_typeEPNSN_ISI_E10value_typeEPSJ_NS1_7vsmem_tEENKUlT_SH_SI_SJ_E_clIS9_S9_PlSD_EESG_SW_SH_SI_SJ_EUlSW_E1_NS1_11comp_targetILNS1_3genE3ELNS1_11target_archE908ELNS1_3gpuE7ELNS1_3repE0EEENS1_36merge_oddeven_config_static_selectorELNS0_4arch9wavefront6targetE1EEEvSI_,@function
_ZN7rocprim17ROCPRIM_400000_NS6detail17trampoline_kernelINS0_14default_configENS1_38merge_sort_block_merge_config_selectorIN3c104HalfElEEZZNS1_27merge_sort_block_merge_implIS3_PS6_N6thrust23THRUST_200600_302600_NS10device_ptrIlEEmNSB_4lessIS6_EEEE10hipError_tT0_T1_T2_jT3_P12ihipStream_tbPNSt15iterator_traitsISH_E10value_typeEPNSN_ISI_E10value_typeEPSJ_NS1_7vsmem_tEENKUlT_SH_SI_SJ_E_clIS9_S9_PlSD_EESG_SW_SH_SI_SJ_EUlSW_E1_NS1_11comp_targetILNS1_3genE3ELNS1_11target_archE908ELNS1_3gpuE7ELNS1_3repE0EEENS1_36merge_oddeven_config_static_selectorELNS0_4arch9wavefront6targetE1EEEvSI_: ; @_ZN7rocprim17ROCPRIM_400000_NS6detail17trampoline_kernelINS0_14default_configENS1_38merge_sort_block_merge_config_selectorIN3c104HalfElEEZZNS1_27merge_sort_block_merge_implIS3_PS6_N6thrust23THRUST_200600_302600_NS10device_ptrIlEEmNSB_4lessIS6_EEEE10hipError_tT0_T1_T2_jT3_P12ihipStream_tbPNSt15iterator_traitsISH_E10value_typeEPNSN_ISI_E10value_typeEPSJ_NS1_7vsmem_tEENKUlT_SH_SI_SJ_E_clIS9_S9_PlSD_EESG_SW_SH_SI_SJ_EUlSW_E1_NS1_11comp_targetILNS1_3genE3ELNS1_11target_archE908ELNS1_3gpuE7ELNS1_3repE0EEENS1_36merge_oddeven_config_static_selectorELNS0_4arch9wavefront6targetE1EEEvSI_
; %bb.0:
	.section	.rodata,"a",@progbits
	.p2align	6, 0x0
	.amdhsa_kernel _ZN7rocprim17ROCPRIM_400000_NS6detail17trampoline_kernelINS0_14default_configENS1_38merge_sort_block_merge_config_selectorIN3c104HalfElEEZZNS1_27merge_sort_block_merge_implIS3_PS6_N6thrust23THRUST_200600_302600_NS10device_ptrIlEEmNSB_4lessIS6_EEEE10hipError_tT0_T1_T2_jT3_P12ihipStream_tbPNSt15iterator_traitsISH_E10value_typeEPNSN_ISI_E10value_typeEPSJ_NS1_7vsmem_tEENKUlT_SH_SI_SJ_E_clIS9_S9_PlSD_EESG_SW_SH_SI_SJ_EUlSW_E1_NS1_11comp_targetILNS1_3genE3ELNS1_11target_archE908ELNS1_3gpuE7ELNS1_3repE0EEENS1_36merge_oddeven_config_static_selectorELNS0_4arch9wavefront6targetE1EEEvSI_
		.amdhsa_group_segment_fixed_size 0
		.amdhsa_private_segment_fixed_size 0
		.amdhsa_kernarg_size 56
		.amdhsa_user_sgpr_count 6
		.amdhsa_user_sgpr_private_segment_buffer 1
		.amdhsa_user_sgpr_dispatch_ptr 0
		.amdhsa_user_sgpr_queue_ptr 0
		.amdhsa_user_sgpr_kernarg_segment_ptr 1
		.amdhsa_user_sgpr_dispatch_id 0
		.amdhsa_user_sgpr_flat_scratch_init 0
		.amdhsa_user_sgpr_kernarg_preload_length 0
		.amdhsa_user_sgpr_kernarg_preload_offset 0
		.amdhsa_user_sgpr_private_segment_size 0
		.amdhsa_uses_dynamic_stack 0
		.amdhsa_system_sgpr_private_segment_wavefront_offset 0
		.amdhsa_system_sgpr_workgroup_id_x 1
		.amdhsa_system_sgpr_workgroup_id_y 0
		.amdhsa_system_sgpr_workgroup_id_z 0
		.amdhsa_system_sgpr_workgroup_info 0
		.amdhsa_system_vgpr_workitem_id 0
		.amdhsa_next_free_vgpr 1
		.amdhsa_next_free_sgpr 0
		.amdhsa_accum_offset 4
		.amdhsa_reserve_vcc 0
		.amdhsa_reserve_flat_scratch 0
		.amdhsa_float_round_mode_32 0
		.amdhsa_float_round_mode_16_64 0
		.amdhsa_float_denorm_mode_32 3
		.amdhsa_float_denorm_mode_16_64 3
		.amdhsa_dx10_clamp 1
		.amdhsa_ieee_mode 1
		.amdhsa_fp16_overflow 0
		.amdhsa_tg_split 0
		.amdhsa_exception_fp_ieee_invalid_op 0
		.amdhsa_exception_fp_denorm_src 0
		.amdhsa_exception_fp_ieee_div_zero 0
		.amdhsa_exception_fp_ieee_overflow 0
		.amdhsa_exception_fp_ieee_underflow 0
		.amdhsa_exception_fp_ieee_inexact 0
		.amdhsa_exception_int_div_zero 0
	.end_amdhsa_kernel
	.section	.text._ZN7rocprim17ROCPRIM_400000_NS6detail17trampoline_kernelINS0_14default_configENS1_38merge_sort_block_merge_config_selectorIN3c104HalfElEEZZNS1_27merge_sort_block_merge_implIS3_PS6_N6thrust23THRUST_200600_302600_NS10device_ptrIlEEmNSB_4lessIS6_EEEE10hipError_tT0_T1_T2_jT3_P12ihipStream_tbPNSt15iterator_traitsISH_E10value_typeEPNSN_ISI_E10value_typeEPSJ_NS1_7vsmem_tEENKUlT_SH_SI_SJ_E_clIS9_S9_PlSD_EESG_SW_SH_SI_SJ_EUlSW_E1_NS1_11comp_targetILNS1_3genE3ELNS1_11target_archE908ELNS1_3gpuE7ELNS1_3repE0EEENS1_36merge_oddeven_config_static_selectorELNS0_4arch9wavefront6targetE1EEEvSI_,"axG",@progbits,_ZN7rocprim17ROCPRIM_400000_NS6detail17trampoline_kernelINS0_14default_configENS1_38merge_sort_block_merge_config_selectorIN3c104HalfElEEZZNS1_27merge_sort_block_merge_implIS3_PS6_N6thrust23THRUST_200600_302600_NS10device_ptrIlEEmNSB_4lessIS6_EEEE10hipError_tT0_T1_T2_jT3_P12ihipStream_tbPNSt15iterator_traitsISH_E10value_typeEPNSN_ISI_E10value_typeEPSJ_NS1_7vsmem_tEENKUlT_SH_SI_SJ_E_clIS9_S9_PlSD_EESG_SW_SH_SI_SJ_EUlSW_E1_NS1_11comp_targetILNS1_3genE3ELNS1_11target_archE908ELNS1_3gpuE7ELNS1_3repE0EEENS1_36merge_oddeven_config_static_selectorELNS0_4arch9wavefront6targetE1EEEvSI_,comdat
.Lfunc_end2146:
	.size	_ZN7rocprim17ROCPRIM_400000_NS6detail17trampoline_kernelINS0_14default_configENS1_38merge_sort_block_merge_config_selectorIN3c104HalfElEEZZNS1_27merge_sort_block_merge_implIS3_PS6_N6thrust23THRUST_200600_302600_NS10device_ptrIlEEmNSB_4lessIS6_EEEE10hipError_tT0_T1_T2_jT3_P12ihipStream_tbPNSt15iterator_traitsISH_E10value_typeEPNSN_ISI_E10value_typeEPSJ_NS1_7vsmem_tEENKUlT_SH_SI_SJ_E_clIS9_S9_PlSD_EESG_SW_SH_SI_SJ_EUlSW_E1_NS1_11comp_targetILNS1_3genE3ELNS1_11target_archE908ELNS1_3gpuE7ELNS1_3repE0EEENS1_36merge_oddeven_config_static_selectorELNS0_4arch9wavefront6targetE1EEEvSI_, .Lfunc_end2146-_ZN7rocprim17ROCPRIM_400000_NS6detail17trampoline_kernelINS0_14default_configENS1_38merge_sort_block_merge_config_selectorIN3c104HalfElEEZZNS1_27merge_sort_block_merge_implIS3_PS6_N6thrust23THRUST_200600_302600_NS10device_ptrIlEEmNSB_4lessIS6_EEEE10hipError_tT0_T1_T2_jT3_P12ihipStream_tbPNSt15iterator_traitsISH_E10value_typeEPNSN_ISI_E10value_typeEPSJ_NS1_7vsmem_tEENKUlT_SH_SI_SJ_E_clIS9_S9_PlSD_EESG_SW_SH_SI_SJ_EUlSW_E1_NS1_11comp_targetILNS1_3genE3ELNS1_11target_archE908ELNS1_3gpuE7ELNS1_3repE0EEENS1_36merge_oddeven_config_static_selectorELNS0_4arch9wavefront6targetE1EEEvSI_
                                        ; -- End function
	.section	.AMDGPU.csdata,"",@progbits
; Kernel info:
; codeLenInByte = 0
; NumSgprs: 4
; NumVgprs: 0
; NumAgprs: 0
; TotalNumVgprs: 0
; ScratchSize: 0
; MemoryBound: 0
; FloatMode: 240
; IeeeMode: 1
; LDSByteSize: 0 bytes/workgroup (compile time only)
; SGPRBlocks: 0
; VGPRBlocks: 0
; NumSGPRsForWavesPerEU: 4
; NumVGPRsForWavesPerEU: 1
; AccumOffset: 4
; Occupancy: 8
; WaveLimiterHint : 0
; COMPUTE_PGM_RSRC2:SCRATCH_EN: 0
; COMPUTE_PGM_RSRC2:USER_SGPR: 6
; COMPUTE_PGM_RSRC2:TRAP_HANDLER: 0
; COMPUTE_PGM_RSRC2:TGID_X_EN: 1
; COMPUTE_PGM_RSRC2:TGID_Y_EN: 0
; COMPUTE_PGM_RSRC2:TGID_Z_EN: 0
; COMPUTE_PGM_RSRC2:TIDIG_COMP_CNT: 0
; COMPUTE_PGM_RSRC3_GFX90A:ACCUM_OFFSET: 0
; COMPUTE_PGM_RSRC3_GFX90A:TG_SPLIT: 0
	.section	.text._ZN7rocprim17ROCPRIM_400000_NS6detail17trampoline_kernelINS0_14default_configENS1_38merge_sort_block_merge_config_selectorIN3c104HalfElEEZZNS1_27merge_sort_block_merge_implIS3_PS6_N6thrust23THRUST_200600_302600_NS10device_ptrIlEEmNSB_4lessIS6_EEEE10hipError_tT0_T1_T2_jT3_P12ihipStream_tbPNSt15iterator_traitsISH_E10value_typeEPNSN_ISI_E10value_typeEPSJ_NS1_7vsmem_tEENKUlT_SH_SI_SJ_E_clIS9_S9_PlSD_EESG_SW_SH_SI_SJ_EUlSW_E1_NS1_11comp_targetILNS1_3genE2ELNS1_11target_archE906ELNS1_3gpuE6ELNS1_3repE0EEENS1_36merge_oddeven_config_static_selectorELNS0_4arch9wavefront6targetE1EEEvSI_,"axG",@progbits,_ZN7rocprim17ROCPRIM_400000_NS6detail17trampoline_kernelINS0_14default_configENS1_38merge_sort_block_merge_config_selectorIN3c104HalfElEEZZNS1_27merge_sort_block_merge_implIS3_PS6_N6thrust23THRUST_200600_302600_NS10device_ptrIlEEmNSB_4lessIS6_EEEE10hipError_tT0_T1_T2_jT3_P12ihipStream_tbPNSt15iterator_traitsISH_E10value_typeEPNSN_ISI_E10value_typeEPSJ_NS1_7vsmem_tEENKUlT_SH_SI_SJ_E_clIS9_S9_PlSD_EESG_SW_SH_SI_SJ_EUlSW_E1_NS1_11comp_targetILNS1_3genE2ELNS1_11target_archE906ELNS1_3gpuE6ELNS1_3repE0EEENS1_36merge_oddeven_config_static_selectorELNS0_4arch9wavefront6targetE1EEEvSI_,comdat
	.protected	_ZN7rocprim17ROCPRIM_400000_NS6detail17trampoline_kernelINS0_14default_configENS1_38merge_sort_block_merge_config_selectorIN3c104HalfElEEZZNS1_27merge_sort_block_merge_implIS3_PS6_N6thrust23THRUST_200600_302600_NS10device_ptrIlEEmNSB_4lessIS6_EEEE10hipError_tT0_T1_T2_jT3_P12ihipStream_tbPNSt15iterator_traitsISH_E10value_typeEPNSN_ISI_E10value_typeEPSJ_NS1_7vsmem_tEENKUlT_SH_SI_SJ_E_clIS9_S9_PlSD_EESG_SW_SH_SI_SJ_EUlSW_E1_NS1_11comp_targetILNS1_3genE2ELNS1_11target_archE906ELNS1_3gpuE6ELNS1_3repE0EEENS1_36merge_oddeven_config_static_selectorELNS0_4arch9wavefront6targetE1EEEvSI_ ; -- Begin function _ZN7rocprim17ROCPRIM_400000_NS6detail17trampoline_kernelINS0_14default_configENS1_38merge_sort_block_merge_config_selectorIN3c104HalfElEEZZNS1_27merge_sort_block_merge_implIS3_PS6_N6thrust23THRUST_200600_302600_NS10device_ptrIlEEmNSB_4lessIS6_EEEE10hipError_tT0_T1_T2_jT3_P12ihipStream_tbPNSt15iterator_traitsISH_E10value_typeEPNSN_ISI_E10value_typeEPSJ_NS1_7vsmem_tEENKUlT_SH_SI_SJ_E_clIS9_S9_PlSD_EESG_SW_SH_SI_SJ_EUlSW_E1_NS1_11comp_targetILNS1_3genE2ELNS1_11target_archE906ELNS1_3gpuE6ELNS1_3repE0EEENS1_36merge_oddeven_config_static_selectorELNS0_4arch9wavefront6targetE1EEEvSI_
	.globl	_ZN7rocprim17ROCPRIM_400000_NS6detail17trampoline_kernelINS0_14default_configENS1_38merge_sort_block_merge_config_selectorIN3c104HalfElEEZZNS1_27merge_sort_block_merge_implIS3_PS6_N6thrust23THRUST_200600_302600_NS10device_ptrIlEEmNSB_4lessIS6_EEEE10hipError_tT0_T1_T2_jT3_P12ihipStream_tbPNSt15iterator_traitsISH_E10value_typeEPNSN_ISI_E10value_typeEPSJ_NS1_7vsmem_tEENKUlT_SH_SI_SJ_E_clIS9_S9_PlSD_EESG_SW_SH_SI_SJ_EUlSW_E1_NS1_11comp_targetILNS1_3genE2ELNS1_11target_archE906ELNS1_3gpuE6ELNS1_3repE0EEENS1_36merge_oddeven_config_static_selectorELNS0_4arch9wavefront6targetE1EEEvSI_
	.p2align	8
	.type	_ZN7rocprim17ROCPRIM_400000_NS6detail17trampoline_kernelINS0_14default_configENS1_38merge_sort_block_merge_config_selectorIN3c104HalfElEEZZNS1_27merge_sort_block_merge_implIS3_PS6_N6thrust23THRUST_200600_302600_NS10device_ptrIlEEmNSB_4lessIS6_EEEE10hipError_tT0_T1_T2_jT3_P12ihipStream_tbPNSt15iterator_traitsISH_E10value_typeEPNSN_ISI_E10value_typeEPSJ_NS1_7vsmem_tEENKUlT_SH_SI_SJ_E_clIS9_S9_PlSD_EESG_SW_SH_SI_SJ_EUlSW_E1_NS1_11comp_targetILNS1_3genE2ELNS1_11target_archE906ELNS1_3gpuE6ELNS1_3repE0EEENS1_36merge_oddeven_config_static_selectorELNS0_4arch9wavefront6targetE1EEEvSI_,@function
_ZN7rocprim17ROCPRIM_400000_NS6detail17trampoline_kernelINS0_14default_configENS1_38merge_sort_block_merge_config_selectorIN3c104HalfElEEZZNS1_27merge_sort_block_merge_implIS3_PS6_N6thrust23THRUST_200600_302600_NS10device_ptrIlEEmNSB_4lessIS6_EEEE10hipError_tT0_T1_T2_jT3_P12ihipStream_tbPNSt15iterator_traitsISH_E10value_typeEPNSN_ISI_E10value_typeEPSJ_NS1_7vsmem_tEENKUlT_SH_SI_SJ_E_clIS9_S9_PlSD_EESG_SW_SH_SI_SJ_EUlSW_E1_NS1_11comp_targetILNS1_3genE2ELNS1_11target_archE906ELNS1_3gpuE6ELNS1_3repE0EEENS1_36merge_oddeven_config_static_selectorELNS0_4arch9wavefront6targetE1EEEvSI_: ; @_ZN7rocprim17ROCPRIM_400000_NS6detail17trampoline_kernelINS0_14default_configENS1_38merge_sort_block_merge_config_selectorIN3c104HalfElEEZZNS1_27merge_sort_block_merge_implIS3_PS6_N6thrust23THRUST_200600_302600_NS10device_ptrIlEEmNSB_4lessIS6_EEEE10hipError_tT0_T1_T2_jT3_P12ihipStream_tbPNSt15iterator_traitsISH_E10value_typeEPNSN_ISI_E10value_typeEPSJ_NS1_7vsmem_tEENKUlT_SH_SI_SJ_E_clIS9_S9_PlSD_EESG_SW_SH_SI_SJ_EUlSW_E1_NS1_11comp_targetILNS1_3genE2ELNS1_11target_archE906ELNS1_3gpuE6ELNS1_3repE0EEENS1_36merge_oddeven_config_static_selectorELNS0_4arch9wavefront6targetE1EEEvSI_
; %bb.0:
	.section	.rodata,"a",@progbits
	.p2align	6, 0x0
	.amdhsa_kernel _ZN7rocprim17ROCPRIM_400000_NS6detail17trampoline_kernelINS0_14default_configENS1_38merge_sort_block_merge_config_selectorIN3c104HalfElEEZZNS1_27merge_sort_block_merge_implIS3_PS6_N6thrust23THRUST_200600_302600_NS10device_ptrIlEEmNSB_4lessIS6_EEEE10hipError_tT0_T1_T2_jT3_P12ihipStream_tbPNSt15iterator_traitsISH_E10value_typeEPNSN_ISI_E10value_typeEPSJ_NS1_7vsmem_tEENKUlT_SH_SI_SJ_E_clIS9_S9_PlSD_EESG_SW_SH_SI_SJ_EUlSW_E1_NS1_11comp_targetILNS1_3genE2ELNS1_11target_archE906ELNS1_3gpuE6ELNS1_3repE0EEENS1_36merge_oddeven_config_static_selectorELNS0_4arch9wavefront6targetE1EEEvSI_
		.amdhsa_group_segment_fixed_size 0
		.amdhsa_private_segment_fixed_size 0
		.amdhsa_kernarg_size 56
		.amdhsa_user_sgpr_count 6
		.amdhsa_user_sgpr_private_segment_buffer 1
		.amdhsa_user_sgpr_dispatch_ptr 0
		.amdhsa_user_sgpr_queue_ptr 0
		.amdhsa_user_sgpr_kernarg_segment_ptr 1
		.amdhsa_user_sgpr_dispatch_id 0
		.amdhsa_user_sgpr_flat_scratch_init 0
		.amdhsa_user_sgpr_kernarg_preload_length 0
		.amdhsa_user_sgpr_kernarg_preload_offset 0
		.amdhsa_user_sgpr_private_segment_size 0
		.amdhsa_uses_dynamic_stack 0
		.amdhsa_system_sgpr_private_segment_wavefront_offset 0
		.amdhsa_system_sgpr_workgroup_id_x 1
		.amdhsa_system_sgpr_workgroup_id_y 0
		.amdhsa_system_sgpr_workgroup_id_z 0
		.amdhsa_system_sgpr_workgroup_info 0
		.amdhsa_system_vgpr_workitem_id 0
		.amdhsa_next_free_vgpr 1
		.amdhsa_next_free_sgpr 0
		.amdhsa_accum_offset 4
		.amdhsa_reserve_vcc 0
		.amdhsa_reserve_flat_scratch 0
		.amdhsa_float_round_mode_32 0
		.amdhsa_float_round_mode_16_64 0
		.amdhsa_float_denorm_mode_32 3
		.amdhsa_float_denorm_mode_16_64 3
		.amdhsa_dx10_clamp 1
		.amdhsa_ieee_mode 1
		.amdhsa_fp16_overflow 0
		.amdhsa_tg_split 0
		.amdhsa_exception_fp_ieee_invalid_op 0
		.amdhsa_exception_fp_denorm_src 0
		.amdhsa_exception_fp_ieee_div_zero 0
		.amdhsa_exception_fp_ieee_overflow 0
		.amdhsa_exception_fp_ieee_underflow 0
		.amdhsa_exception_fp_ieee_inexact 0
		.amdhsa_exception_int_div_zero 0
	.end_amdhsa_kernel
	.section	.text._ZN7rocprim17ROCPRIM_400000_NS6detail17trampoline_kernelINS0_14default_configENS1_38merge_sort_block_merge_config_selectorIN3c104HalfElEEZZNS1_27merge_sort_block_merge_implIS3_PS6_N6thrust23THRUST_200600_302600_NS10device_ptrIlEEmNSB_4lessIS6_EEEE10hipError_tT0_T1_T2_jT3_P12ihipStream_tbPNSt15iterator_traitsISH_E10value_typeEPNSN_ISI_E10value_typeEPSJ_NS1_7vsmem_tEENKUlT_SH_SI_SJ_E_clIS9_S9_PlSD_EESG_SW_SH_SI_SJ_EUlSW_E1_NS1_11comp_targetILNS1_3genE2ELNS1_11target_archE906ELNS1_3gpuE6ELNS1_3repE0EEENS1_36merge_oddeven_config_static_selectorELNS0_4arch9wavefront6targetE1EEEvSI_,"axG",@progbits,_ZN7rocprim17ROCPRIM_400000_NS6detail17trampoline_kernelINS0_14default_configENS1_38merge_sort_block_merge_config_selectorIN3c104HalfElEEZZNS1_27merge_sort_block_merge_implIS3_PS6_N6thrust23THRUST_200600_302600_NS10device_ptrIlEEmNSB_4lessIS6_EEEE10hipError_tT0_T1_T2_jT3_P12ihipStream_tbPNSt15iterator_traitsISH_E10value_typeEPNSN_ISI_E10value_typeEPSJ_NS1_7vsmem_tEENKUlT_SH_SI_SJ_E_clIS9_S9_PlSD_EESG_SW_SH_SI_SJ_EUlSW_E1_NS1_11comp_targetILNS1_3genE2ELNS1_11target_archE906ELNS1_3gpuE6ELNS1_3repE0EEENS1_36merge_oddeven_config_static_selectorELNS0_4arch9wavefront6targetE1EEEvSI_,comdat
.Lfunc_end2147:
	.size	_ZN7rocprim17ROCPRIM_400000_NS6detail17trampoline_kernelINS0_14default_configENS1_38merge_sort_block_merge_config_selectorIN3c104HalfElEEZZNS1_27merge_sort_block_merge_implIS3_PS6_N6thrust23THRUST_200600_302600_NS10device_ptrIlEEmNSB_4lessIS6_EEEE10hipError_tT0_T1_T2_jT3_P12ihipStream_tbPNSt15iterator_traitsISH_E10value_typeEPNSN_ISI_E10value_typeEPSJ_NS1_7vsmem_tEENKUlT_SH_SI_SJ_E_clIS9_S9_PlSD_EESG_SW_SH_SI_SJ_EUlSW_E1_NS1_11comp_targetILNS1_3genE2ELNS1_11target_archE906ELNS1_3gpuE6ELNS1_3repE0EEENS1_36merge_oddeven_config_static_selectorELNS0_4arch9wavefront6targetE1EEEvSI_, .Lfunc_end2147-_ZN7rocprim17ROCPRIM_400000_NS6detail17trampoline_kernelINS0_14default_configENS1_38merge_sort_block_merge_config_selectorIN3c104HalfElEEZZNS1_27merge_sort_block_merge_implIS3_PS6_N6thrust23THRUST_200600_302600_NS10device_ptrIlEEmNSB_4lessIS6_EEEE10hipError_tT0_T1_T2_jT3_P12ihipStream_tbPNSt15iterator_traitsISH_E10value_typeEPNSN_ISI_E10value_typeEPSJ_NS1_7vsmem_tEENKUlT_SH_SI_SJ_E_clIS9_S9_PlSD_EESG_SW_SH_SI_SJ_EUlSW_E1_NS1_11comp_targetILNS1_3genE2ELNS1_11target_archE906ELNS1_3gpuE6ELNS1_3repE0EEENS1_36merge_oddeven_config_static_selectorELNS0_4arch9wavefront6targetE1EEEvSI_
                                        ; -- End function
	.section	.AMDGPU.csdata,"",@progbits
; Kernel info:
; codeLenInByte = 0
; NumSgprs: 4
; NumVgprs: 0
; NumAgprs: 0
; TotalNumVgprs: 0
; ScratchSize: 0
; MemoryBound: 0
; FloatMode: 240
; IeeeMode: 1
; LDSByteSize: 0 bytes/workgroup (compile time only)
; SGPRBlocks: 0
; VGPRBlocks: 0
; NumSGPRsForWavesPerEU: 4
; NumVGPRsForWavesPerEU: 1
; AccumOffset: 4
; Occupancy: 8
; WaveLimiterHint : 0
; COMPUTE_PGM_RSRC2:SCRATCH_EN: 0
; COMPUTE_PGM_RSRC2:USER_SGPR: 6
; COMPUTE_PGM_RSRC2:TRAP_HANDLER: 0
; COMPUTE_PGM_RSRC2:TGID_X_EN: 1
; COMPUTE_PGM_RSRC2:TGID_Y_EN: 0
; COMPUTE_PGM_RSRC2:TGID_Z_EN: 0
; COMPUTE_PGM_RSRC2:TIDIG_COMP_CNT: 0
; COMPUTE_PGM_RSRC3_GFX90A:ACCUM_OFFSET: 0
; COMPUTE_PGM_RSRC3_GFX90A:TG_SPLIT: 0
	.section	.text._ZN7rocprim17ROCPRIM_400000_NS6detail17trampoline_kernelINS0_14default_configENS1_38merge_sort_block_merge_config_selectorIN3c104HalfElEEZZNS1_27merge_sort_block_merge_implIS3_PS6_N6thrust23THRUST_200600_302600_NS10device_ptrIlEEmNSB_4lessIS6_EEEE10hipError_tT0_T1_T2_jT3_P12ihipStream_tbPNSt15iterator_traitsISH_E10value_typeEPNSN_ISI_E10value_typeEPSJ_NS1_7vsmem_tEENKUlT_SH_SI_SJ_E_clIS9_S9_PlSD_EESG_SW_SH_SI_SJ_EUlSW_E1_NS1_11comp_targetILNS1_3genE9ELNS1_11target_archE1100ELNS1_3gpuE3ELNS1_3repE0EEENS1_36merge_oddeven_config_static_selectorELNS0_4arch9wavefront6targetE1EEEvSI_,"axG",@progbits,_ZN7rocprim17ROCPRIM_400000_NS6detail17trampoline_kernelINS0_14default_configENS1_38merge_sort_block_merge_config_selectorIN3c104HalfElEEZZNS1_27merge_sort_block_merge_implIS3_PS6_N6thrust23THRUST_200600_302600_NS10device_ptrIlEEmNSB_4lessIS6_EEEE10hipError_tT0_T1_T2_jT3_P12ihipStream_tbPNSt15iterator_traitsISH_E10value_typeEPNSN_ISI_E10value_typeEPSJ_NS1_7vsmem_tEENKUlT_SH_SI_SJ_E_clIS9_S9_PlSD_EESG_SW_SH_SI_SJ_EUlSW_E1_NS1_11comp_targetILNS1_3genE9ELNS1_11target_archE1100ELNS1_3gpuE3ELNS1_3repE0EEENS1_36merge_oddeven_config_static_selectorELNS0_4arch9wavefront6targetE1EEEvSI_,comdat
	.protected	_ZN7rocprim17ROCPRIM_400000_NS6detail17trampoline_kernelINS0_14default_configENS1_38merge_sort_block_merge_config_selectorIN3c104HalfElEEZZNS1_27merge_sort_block_merge_implIS3_PS6_N6thrust23THRUST_200600_302600_NS10device_ptrIlEEmNSB_4lessIS6_EEEE10hipError_tT0_T1_T2_jT3_P12ihipStream_tbPNSt15iterator_traitsISH_E10value_typeEPNSN_ISI_E10value_typeEPSJ_NS1_7vsmem_tEENKUlT_SH_SI_SJ_E_clIS9_S9_PlSD_EESG_SW_SH_SI_SJ_EUlSW_E1_NS1_11comp_targetILNS1_3genE9ELNS1_11target_archE1100ELNS1_3gpuE3ELNS1_3repE0EEENS1_36merge_oddeven_config_static_selectorELNS0_4arch9wavefront6targetE1EEEvSI_ ; -- Begin function _ZN7rocprim17ROCPRIM_400000_NS6detail17trampoline_kernelINS0_14default_configENS1_38merge_sort_block_merge_config_selectorIN3c104HalfElEEZZNS1_27merge_sort_block_merge_implIS3_PS6_N6thrust23THRUST_200600_302600_NS10device_ptrIlEEmNSB_4lessIS6_EEEE10hipError_tT0_T1_T2_jT3_P12ihipStream_tbPNSt15iterator_traitsISH_E10value_typeEPNSN_ISI_E10value_typeEPSJ_NS1_7vsmem_tEENKUlT_SH_SI_SJ_E_clIS9_S9_PlSD_EESG_SW_SH_SI_SJ_EUlSW_E1_NS1_11comp_targetILNS1_3genE9ELNS1_11target_archE1100ELNS1_3gpuE3ELNS1_3repE0EEENS1_36merge_oddeven_config_static_selectorELNS0_4arch9wavefront6targetE1EEEvSI_
	.globl	_ZN7rocprim17ROCPRIM_400000_NS6detail17trampoline_kernelINS0_14default_configENS1_38merge_sort_block_merge_config_selectorIN3c104HalfElEEZZNS1_27merge_sort_block_merge_implIS3_PS6_N6thrust23THRUST_200600_302600_NS10device_ptrIlEEmNSB_4lessIS6_EEEE10hipError_tT0_T1_T2_jT3_P12ihipStream_tbPNSt15iterator_traitsISH_E10value_typeEPNSN_ISI_E10value_typeEPSJ_NS1_7vsmem_tEENKUlT_SH_SI_SJ_E_clIS9_S9_PlSD_EESG_SW_SH_SI_SJ_EUlSW_E1_NS1_11comp_targetILNS1_3genE9ELNS1_11target_archE1100ELNS1_3gpuE3ELNS1_3repE0EEENS1_36merge_oddeven_config_static_selectorELNS0_4arch9wavefront6targetE1EEEvSI_
	.p2align	8
	.type	_ZN7rocprim17ROCPRIM_400000_NS6detail17trampoline_kernelINS0_14default_configENS1_38merge_sort_block_merge_config_selectorIN3c104HalfElEEZZNS1_27merge_sort_block_merge_implIS3_PS6_N6thrust23THRUST_200600_302600_NS10device_ptrIlEEmNSB_4lessIS6_EEEE10hipError_tT0_T1_T2_jT3_P12ihipStream_tbPNSt15iterator_traitsISH_E10value_typeEPNSN_ISI_E10value_typeEPSJ_NS1_7vsmem_tEENKUlT_SH_SI_SJ_E_clIS9_S9_PlSD_EESG_SW_SH_SI_SJ_EUlSW_E1_NS1_11comp_targetILNS1_3genE9ELNS1_11target_archE1100ELNS1_3gpuE3ELNS1_3repE0EEENS1_36merge_oddeven_config_static_selectorELNS0_4arch9wavefront6targetE1EEEvSI_,@function
_ZN7rocprim17ROCPRIM_400000_NS6detail17trampoline_kernelINS0_14default_configENS1_38merge_sort_block_merge_config_selectorIN3c104HalfElEEZZNS1_27merge_sort_block_merge_implIS3_PS6_N6thrust23THRUST_200600_302600_NS10device_ptrIlEEmNSB_4lessIS6_EEEE10hipError_tT0_T1_T2_jT3_P12ihipStream_tbPNSt15iterator_traitsISH_E10value_typeEPNSN_ISI_E10value_typeEPSJ_NS1_7vsmem_tEENKUlT_SH_SI_SJ_E_clIS9_S9_PlSD_EESG_SW_SH_SI_SJ_EUlSW_E1_NS1_11comp_targetILNS1_3genE9ELNS1_11target_archE1100ELNS1_3gpuE3ELNS1_3repE0EEENS1_36merge_oddeven_config_static_selectorELNS0_4arch9wavefront6targetE1EEEvSI_: ; @_ZN7rocprim17ROCPRIM_400000_NS6detail17trampoline_kernelINS0_14default_configENS1_38merge_sort_block_merge_config_selectorIN3c104HalfElEEZZNS1_27merge_sort_block_merge_implIS3_PS6_N6thrust23THRUST_200600_302600_NS10device_ptrIlEEmNSB_4lessIS6_EEEE10hipError_tT0_T1_T2_jT3_P12ihipStream_tbPNSt15iterator_traitsISH_E10value_typeEPNSN_ISI_E10value_typeEPSJ_NS1_7vsmem_tEENKUlT_SH_SI_SJ_E_clIS9_S9_PlSD_EESG_SW_SH_SI_SJ_EUlSW_E1_NS1_11comp_targetILNS1_3genE9ELNS1_11target_archE1100ELNS1_3gpuE3ELNS1_3repE0EEENS1_36merge_oddeven_config_static_selectorELNS0_4arch9wavefront6targetE1EEEvSI_
; %bb.0:
	.section	.rodata,"a",@progbits
	.p2align	6, 0x0
	.amdhsa_kernel _ZN7rocprim17ROCPRIM_400000_NS6detail17trampoline_kernelINS0_14default_configENS1_38merge_sort_block_merge_config_selectorIN3c104HalfElEEZZNS1_27merge_sort_block_merge_implIS3_PS6_N6thrust23THRUST_200600_302600_NS10device_ptrIlEEmNSB_4lessIS6_EEEE10hipError_tT0_T1_T2_jT3_P12ihipStream_tbPNSt15iterator_traitsISH_E10value_typeEPNSN_ISI_E10value_typeEPSJ_NS1_7vsmem_tEENKUlT_SH_SI_SJ_E_clIS9_S9_PlSD_EESG_SW_SH_SI_SJ_EUlSW_E1_NS1_11comp_targetILNS1_3genE9ELNS1_11target_archE1100ELNS1_3gpuE3ELNS1_3repE0EEENS1_36merge_oddeven_config_static_selectorELNS0_4arch9wavefront6targetE1EEEvSI_
		.amdhsa_group_segment_fixed_size 0
		.amdhsa_private_segment_fixed_size 0
		.amdhsa_kernarg_size 56
		.amdhsa_user_sgpr_count 6
		.amdhsa_user_sgpr_private_segment_buffer 1
		.amdhsa_user_sgpr_dispatch_ptr 0
		.amdhsa_user_sgpr_queue_ptr 0
		.amdhsa_user_sgpr_kernarg_segment_ptr 1
		.amdhsa_user_sgpr_dispatch_id 0
		.amdhsa_user_sgpr_flat_scratch_init 0
		.amdhsa_user_sgpr_kernarg_preload_length 0
		.amdhsa_user_sgpr_kernarg_preload_offset 0
		.amdhsa_user_sgpr_private_segment_size 0
		.amdhsa_uses_dynamic_stack 0
		.amdhsa_system_sgpr_private_segment_wavefront_offset 0
		.amdhsa_system_sgpr_workgroup_id_x 1
		.amdhsa_system_sgpr_workgroup_id_y 0
		.amdhsa_system_sgpr_workgroup_id_z 0
		.amdhsa_system_sgpr_workgroup_info 0
		.amdhsa_system_vgpr_workitem_id 0
		.amdhsa_next_free_vgpr 1
		.amdhsa_next_free_sgpr 0
		.amdhsa_accum_offset 4
		.amdhsa_reserve_vcc 0
		.amdhsa_reserve_flat_scratch 0
		.amdhsa_float_round_mode_32 0
		.amdhsa_float_round_mode_16_64 0
		.amdhsa_float_denorm_mode_32 3
		.amdhsa_float_denorm_mode_16_64 3
		.amdhsa_dx10_clamp 1
		.amdhsa_ieee_mode 1
		.amdhsa_fp16_overflow 0
		.amdhsa_tg_split 0
		.amdhsa_exception_fp_ieee_invalid_op 0
		.amdhsa_exception_fp_denorm_src 0
		.amdhsa_exception_fp_ieee_div_zero 0
		.amdhsa_exception_fp_ieee_overflow 0
		.amdhsa_exception_fp_ieee_underflow 0
		.amdhsa_exception_fp_ieee_inexact 0
		.amdhsa_exception_int_div_zero 0
	.end_amdhsa_kernel
	.section	.text._ZN7rocprim17ROCPRIM_400000_NS6detail17trampoline_kernelINS0_14default_configENS1_38merge_sort_block_merge_config_selectorIN3c104HalfElEEZZNS1_27merge_sort_block_merge_implIS3_PS6_N6thrust23THRUST_200600_302600_NS10device_ptrIlEEmNSB_4lessIS6_EEEE10hipError_tT0_T1_T2_jT3_P12ihipStream_tbPNSt15iterator_traitsISH_E10value_typeEPNSN_ISI_E10value_typeEPSJ_NS1_7vsmem_tEENKUlT_SH_SI_SJ_E_clIS9_S9_PlSD_EESG_SW_SH_SI_SJ_EUlSW_E1_NS1_11comp_targetILNS1_3genE9ELNS1_11target_archE1100ELNS1_3gpuE3ELNS1_3repE0EEENS1_36merge_oddeven_config_static_selectorELNS0_4arch9wavefront6targetE1EEEvSI_,"axG",@progbits,_ZN7rocprim17ROCPRIM_400000_NS6detail17trampoline_kernelINS0_14default_configENS1_38merge_sort_block_merge_config_selectorIN3c104HalfElEEZZNS1_27merge_sort_block_merge_implIS3_PS6_N6thrust23THRUST_200600_302600_NS10device_ptrIlEEmNSB_4lessIS6_EEEE10hipError_tT0_T1_T2_jT3_P12ihipStream_tbPNSt15iterator_traitsISH_E10value_typeEPNSN_ISI_E10value_typeEPSJ_NS1_7vsmem_tEENKUlT_SH_SI_SJ_E_clIS9_S9_PlSD_EESG_SW_SH_SI_SJ_EUlSW_E1_NS1_11comp_targetILNS1_3genE9ELNS1_11target_archE1100ELNS1_3gpuE3ELNS1_3repE0EEENS1_36merge_oddeven_config_static_selectorELNS0_4arch9wavefront6targetE1EEEvSI_,comdat
.Lfunc_end2148:
	.size	_ZN7rocprim17ROCPRIM_400000_NS6detail17trampoline_kernelINS0_14default_configENS1_38merge_sort_block_merge_config_selectorIN3c104HalfElEEZZNS1_27merge_sort_block_merge_implIS3_PS6_N6thrust23THRUST_200600_302600_NS10device_ptrIlEEmNSB_4lessIS6_EEEE10hipError_tT0_T1_T2_jT3_P12ihipStream_tbPNSt15iterator_traitsISH_E10value_typeEPNSN_ISI_E10value_typeEPSJ_NS1_7vsmem_tEENKUlT_SH_SI_SJ_E_clIS9_S9_PlSD_EESG_SW_SH_SI_SJ_EUlSW_E1_NS1_11comp_targetILNS1_3genE9ELNS1_11target_archE1100ELNS1_3gpuE3ELNS1_3repE0EEENS1_36merge_oddeven_config_static_selectorELNS0_4arch9wavefront6targetE1EEEvSI_, .Lfunc_end2148-_ZN7rocprim17ROCPRIM_400000_NS6detail17trampoline_kernelINS0_14default_configENS1_38merge_sort_block_merge_config_selectorIN3c104HalfElEEZZNS1_27merge_sort_block_merge_implIS3_PS6_N6thrust23THRUST_200600_302600_NS10device_ptrIlEEmNSB_4lessIS6_EEEE10hipError_tT0_T1_T2_jT3_P12ihipStream_tbPNSt15iterator_traitsISH_E10value_typeEPNSN_ISI_E10value_typeEPSJ_NS1_7vsmem_tEENKUlT_SH_SI_SJ_E_clIS9_S9_PlSD_EESG_SW_SH_SI_SJ_EUlSW_E1_NS1_11comp_targetILNS1_3genE9ELNS1_11target_archE1100ELNS1_3gpuE3ELNS1_3repE0EEENS1_36merge_oddeven_config_static_selectorELNS0_4arch9wavefront6targetE1EEEvSI_
                                        ; -- End function
	.section	.AMDGPU.csdata,"",@progbits
; Kernel info:
; codeLenInByte = 0
; NumSgprs: 4
; NumVgprs: 0
; NumAgprs: 0
; TotalNumVgprs: 0
; ScratchSize: 0
; MemoryBound: 0
; FloatMode: 240
; IeeeMode: 1
; LDSByteSize: 0 bytes/workgroup (compile time only)
; SGPRBlocks: 0
; VGPRBlocks: 0
; NumSGPRsForWavesPerEU: 4
; NumVGPRsForWavesPerEU: 1
; AccumOffset: 4
; Occupancy: 8
; WaveLimiterHint : 0
; COMPUTE_PGM_RSRC2:SCRATCH_EN: 0
; COMPUTE_PGM_RSRC2:USER_SGPR: 6
; COMPUTE_PGM_RSRC2:TRAP_HANDLER: 0
; COMPUTE_PGM_RSRC2:TGID_X_EN: 1
; COMPUTE_PGM_RSRC2:TGID_Y_EN: 0
; COMPUTE_PGM_RSRC2:TGID_Z_EN: 0
; COMPUTE_PGM_RSRC2:TIDIG_COMP_CNT: 0
; COMPUTE_PGM_RSRC3_GFX90A:ACCUM_OFFSET: 0
; COMPUTE_PGM_RSRC3_GFX90A:TG_SPLIT: 0
	.section	.text._ZN7rocprim17ROCPRIM_400000_NS6detail17trampoline_kernelINS0_14default_configENS1_38merge_sort_block_merge_config_selectorIN3c104HalfElEEZZNS1_27merge_sort_block_merge_implIS3_PS6_N6thrust23THRUST_200600_302600_NS10device_ptrIlEEmNSB_4lessIS6_EEEE10hipError_tT0_T1_T2_jT3_P12ihipStream_tbPNSt15iterator_traitsISH_E10value_typeEPNSN_ISI_E10value_typeEPSJ_NS1_7vsmem_tEENKUlT_SH_SI_SJ_E_clIS9_S9_PlSD_EESG_SW_SH_SI_SJ_EUlSW_E1_NS1_11comp_targetILNS1_3genE8ELNS1_11target_archE1030ELNS1_3gpuE2ELNS1_3repE0EEENS1_36merge_oddeven_config_static_selectorELNS0_4arch9wavefront6targetE1EEEvSI_,"axG",@progbits,_ZN7rocprim17ROCPRIM_400000_NS6detail17trampoline_kernelINS0_14default_configENS1_38merge_sort_block_merge_config_selectorIN3c104HalfElEEZZNS1_27merge_sort_block_merge_implIS3_PS6_N6thrust23THRUST_200600_302600_NS10device_ptrIlEEmNSB_4lessIS6_EEEE10hipError_tT0_T1_T2_jT3_P12ihipStream_tbPNSt15iterator_traitsISH_E10value_typeEPNSN_ISI_E10value_typeEPSJ_NS1_7vsmem_tEENKUlT_SH_SI_SJ_E_clIS9_S9_PlSD_EESG_SW_SH_SI_SJ_EUlSW_E1_NS1_11comp_targetILNS1_3genE8ELNS1_11target_archE1030ELNS1_3gpuE2ELNS1_3repE0EEENS1_36merge_oddeven_config_static_selectorELNS0_4arch9wavefront6targetE1EEEvSI_,comdat
	.protected	_ZN7rocprim17ROCPRIM_400000_NS6detail17trampoline_kernelINS0_14default_configENS1_38merge_sort_block_merge_config_selectorIN3c104HalfElEEZZNS1_27merge_sort_block_merge_implIS3_PS6_N6thrust23THRUST_200600_302600_NS10device_ptrIlEEmNSB_4lessIS6_EEEE10hipError_tT0_T1_T2_jT3_P12ihipStream_tbPNSt15iterator_traitsISH_E10value_typeEPNSN_ISI_E10value_typeEPSJ_NS1_7vsmem_tEENKUlT_SH_SI_SJ_E_clIS9_S9_PlSD_EESG_SW_SH_SI_SJ_EUlSW_E1_NS1_11comp_targetILNS1_3genE8ELNS1_11target_archE1030ELNS1_3gpuE2ELNS1_3repE0EEENS1_36merge_oddeven_config_static_selectorELNS0_4arch9wavefront6targetE1EEEvSI_ ; -- Begin function _ZN7rocprim17ROCPRIM_400000_NS6detail17trampoline_kernelINS0_14default_configENS1_38merge_sort_block_merge_config_selectorIN3c104HalfElEEZZNS1_27merge_sort_block_merge_implIS3_PS6_N6thrust23THRUST_200600_302600_NS10device_ptrIlEEmNSB_4lessIS6_EEEE10hipError_tT0_T1_T2_jT3_P12ihipStream_tbPNSt15iterator_traitsISH_E10value_typeEPNSN_ISI_E10value_typeEPSJ_NS1_7vsmem_tEENKUlT_SH_SI_SJ_E_clIS9_S9_PlSD_EESG_SW_SH_SI_SJ_EUlSW_E1_NS1_11comp_targetILNS1_3genE8ELNS1_11target_archE1030ELNS1_3gpuE2ELNS1_3repE0EEENS1_36merge_oddeven_config_static_selectorELNS0_4arch9wavefront6targetE1EEEvSI_
	.globl	_ZN7rocprim17ROCPRIM_400000_NS6detail17trampoline_kernelINS0_14default_configENS1_38merge_sort_block_merge_config_selectorIN3c104HalfElEEZZNS1_27merge_sort_block_merge_implIS3_PS6_N6thrust23THRUST_200600_302600_NS10device_ptrIlEEmNSB_4lessIS6_EEEE10hipError_tT0_T1_T2_jT3_P12ihipStream_tbPNSt15iterator_traitsISH_E10value_typeEPNSN_ISI_E10value_typeEPSJ_NS1_7vsmem_tEENKUlT_SH_SI_SJ_E_clIS9_S9_PlSD_EESG_SW_SH_SI_SJ_EUlSW_E1_NS1_11comp_targetILNS1_3genE8ELNS1_11target_archE1030ELNS1_3gpuE2ELNS1_3repE0EEENS1_36merge_oddeven_config_static_selectorELNS0_4arch9wavefront6targetE1EEEvSI_
	.p2align	8
	.type	_ZN7rocprim17ROCPRIM_400000_NS6detail17trampoline_kernelINS0_14default_configENS1_38merge_sort_block_merge_config_selectorIN3c104HalfElEEZZNS1_27merge_sort_block_merge_implIS3_PS6_N6thrust23THRUST_200600_302600_NS10device_ptrIlEEmNSB_4lessIS6_EEEE10hipError_tT0_T1_T2_jT3_P12ihipStream_tbPNSt15iterator_traitsISH_E10value_typeEPNSN_ISI_E10value_typeEPSJ_NS1_7vsmem_tEENKUlT_SH_SI_SJ_E_clIS9_S9_PlSD_EESG_SW_SH_SI_SJ_EUlSW_E1_NS1_11comp_targetILNS1_3genE8ELNS1_11target_archE1030ELNS1_3gpuE2ELNS1_3repE0EEENS1_36merge_oddeven_config_static_selectorELNS0_4arch9wavefront6targetE1EEEvSI_,@function
_ZN7rocprim17ROCPRIM_400000_NS6detail17trampoline_kernelINS0_14default_configENS1_38merge_sort_block_merge_config_selectorIN3c104HalfElEEZZNS1_27merge_sort_block_merge_implIS3_PS6_N6thrust23THRUST_200600_302600_NS10device_ptrIlEEmNSB_4lessIS6_EEEE10hipError_tT0_T1_T2_jT3_P12ihipStream_tbPNSt15iterator_traitsISH_E10value_typeEPNSN_ISI_E10value_typeEPSJ_NS1_7vsmem_tEENKUlT_SH_SI_SJ_E_clIS9_S9_PlSD_EESG_SW_SH_SI_SJ_EUlSW_E1_NS1_11comp_targetILNS1_3genE8ELNS1_11target_archE1030ELNS1_3gpuE2ELNS1_3repE0EEENS1_36merge_oddeven_config_static_selectorELNS0_4arch9wavefront6targetE1EEEvSI_: ; @_ZN7rocprim17ROCPRIM_400000_NS6detail17trampoline_kernelINS0_14default_configENS1_38merge_sort_block_merge_config_selectorIN3c104HalfElEEZZNS1_27merge_sort_block_merge_implIS3_PS6_N6thrust23THRUST_200600_302600_NS10device_ptrIlEEmNSB_4lessIS6_EEEE10hipError_tT0_T1_T2_jT3_P12ihipStream_tbPNSt15iterator_traitsISH_E10value_typeEPNSN_ISI_E10value_typeEPSJ_NS1_7vsmem_tEENKUlT_SH_SI_SJ_E_clIS9_S9_PlSD_EESG_SW_SH_SI_SJ_EUlSW_E1_NS1_11comp_targetILNS1_3genE8ELNS1_11target_archE1030ELNS1_3gpuE2ELNS1_3repE0EEENS1_36merge_oddeven_config_static_selectorELNS0_4arch9wavefront6targetE1EEEvSI_
; %bb.0:
	.section	.rodata,"a",@progbits
	.p2align	6, 0x0
	.amdhsa_kernel _ZN7rocprim17ROCPRIM_400000_NS6detail17trampoline_kernelINS0_14default_configENS1_38merge_sort_block_merge_config_selectorIN3c104HalfElEEZZNS1_27merge_sort_block_merge_implIS3_PS6_N6thrust23THRUST_200600_302600_NS10device_ptrIlEEmNSB_4lessIS6_EEEE10hipError_tT0_T1_T2_jT3_P12ihipStream_tbPNSt15iterator_traitsISH_E10value_typeEPNSN_ISI_E10value_typeEPSJ_NS1_7vsmem_tEENKUlT_SH_SI_SJ_E_clIS9_S9_PlSD_EESG_SW_SH_SI_SJ_EUlSW_E1_NS1_11comp_targetILNS1_3genE8ELNS1_11target_archE1030ELNS1_3gpuE2ELNS1_3repE0EEENS1_36merge_oddeven_config_static_selectorELNS0_4arch9wavefront6targetE1EEEvSI_
		.amdhsa_group_segment_fixed_size 0
		.amdhsa_private_segment_fixed_size 0
		.amdhsa_kernarg_size 56
		.amdhsa_user_sgpr_count 6
		.amdhsa_user_sgpr_private_segment_buffer 1
		.amdhsa_user_sgpr_dispatch_ptr 0
		.amdhsa_user_sgpr_queue_ptr 0
		.amdhsa_user_sgpr_kernarg_segment_ptr 1
		.amdhsa_user_sgpr_dispatch_id 0
		.amdhsa_user_sgpr_flat_scratch_init 0
		.amdhsa_user_sgpr_kernarg_preload_length 0
		.amdhsa_user_sgpr_kernarg_preload_offset 0
		.amdhsa_user_sgpr_private_segment_size 0
		.amdhsa_uses_dynamic_stack 0
		.amdhsa_system_sgpr_private_segment_wavefront_offset 0
		.amdhsa_system_sgpr_workgroup_id_x 1
		.amdhsa_system_sgpr_workgroup_id_y 0
		.amdhsa_system_sgpr_workgroup_id_z 0
		.amdhsa_system_sgpr_workgroup_info 0
		.amdhsa_system_vgpr_workitem_id 0
		.amdhsa_next_free_vgpr 1
		.amdhsa_next_free_sgpr 0
		.amdhsa_accum_offset 4
		.amdhsa_reserve_vcc 0
		.amdhsa_reserve_flat_scratch 0
		.amdhsa_float_round_mode_32 0
		.amdhsa_float_round_mode_16_64 0
		.amdhsa_float_denorm_mode_32 3
		.amdhsa_float_denorm_mode_16_64 3
		.amdhsa_dx10_clamp 1
		.amdhsa_ieee_mode 1
		.amdhsa_fp16_overflow 0
		.amdhsa_tg_split 0
		.amdhsa_exception_fp_ieee_invalid_op 0
		.amdhsa_exception_fp_denorm_src 0
		.amdhsa_exception_fp_ieee_div_zero 0
		.amdhsa_exception_fp_ieee_overflow 0
		.amdhsa_exception_fp_ieee_underflow 0
		.amdhsa_exception_fp_ieee_inexact 0
		.amdhsa_exception_int_div_zero 0
	.end_amdhsa_kernel
	.section	.text._ZN7rocprim17ROCPRIM_400000_NS6detail17trampoline_kernelINS0_14default_configENS1_38merge_sort_block_merge_config_selectorIN3c104HalfElEEZZNS1_27merge_sort_block_merge_implIS3_PS6_N6thrust23THRUST_200600_302600_NS10device_ptrIlEEmNSB_4lessIS6_EEEE10hipError_tT0_T1_T2_jT3_P12ihipStream_tbPNSt15iterator_traitsISH_E10value_typeEPNSN_ISI_E10value_typeEPSJ_NS1_7vsmem_tEENKUlT_SH_SI_SJ_E_clIS9_S9_PlSD_EESG_SW_SH_SI_SJ_EUlSW_E1_NS1_11comp_targetILNS1_3genE8ELNS1_11target_archE1030ELNS1_3gpuE2ELNS1_3repE0EEENS1_36merge_oddeven_config_static_selectorELNS0_4arch9wavefront6targetE1EEEvSI_,"axG",@progbits,_ZN7rocprim17ROCPRIM_400000_NS6detail17trampoline_kernelINS0_14default_configENS1_38merge_sort_block_merge_config_selectorIN3c104HalfElEEZZNS1_27merge_sort_block_merge_implIS3_PS6_N6thrust23THRUST_200600_302600_NS10device_ptrIlEEmNSB_4lessIS6_EEEE10hipError_tT0_T1_T2_jT3_P12ihipStream_tbPNSt15iterator_traitsISH_E10value_typeEPNSN_ISI_E10value_typeEPSJ_NS1_7vsmem_tEENKUlT_SH_SI_SJ_E_clIS9_S9_PlSD_EESG_SW_SH_SI_SJ_EUlSW_E1_NS1_11comp_targetILNS1_3genE8ELNS1_11target_archE1030ELNS1_3gpuE2ELNS1_3repE0EEENS1_36merge_oddeven_config_static_selectorELNS0_4arch9wavefront6targetE1EEEvSI_,comdat
.Lfunc_end2149:
	.size	_ZN7rocprim17ROCPRIM_400000_NS6detail17trampoline_kernelINS0_14default_configENS1_38merge_sort_block_merge_config_selectorIN3c104HalfElEEZZNS1_27merge_sort_block_merge_implIS3_PS6_N6thrust23THRUST_200600_302600_NS10device_ptrIlEEmNSB_4lessIS6_EEEE10hipError_tT0_T1_T2_jT3_P12ihipStream_tbPNSt15iterator_traitsISH_E10value_typeEPNSN_ISI_E10value_typeEPSJ_NS1_7vsmem_tEENKUlT_SH_SI_SJ_E_clIS9_S9_PlSD_EESG_SW_SH_SI_SJ_EUlSW_E1_NS1_11comp_targetILNS1_3genE8ELNS1_11target_archE1030ELNS1_3gpuE2ELNS1_3repE0EEENS1_36merge_oddeven_config_static_selectorELNS0_4arch9wavefront6targetE1EEEvSI_, .Lfunc_end2149-_ZN7rocprim17ROCPRIM_400000_NS6detail17trampoline_kernelINS0_14default_configENS1_38merge_sort_block_merge_config_selectorIN3c104HalfElEEZZNS1_27merge_sort_block_merge_implIS3_PS6_N6thrust23THRUST_200600_302600_NS10device_ptrIlEEmNSB_4lessIS6_EEEE10hipError_tT0_T1_T2_jT3_P12ihipStream_tbPNSt15iterator_traitsISH_E10value_typeEPNSN_ISI_E10value_typeEPSJ_NS1_7vsmem_tEENKUlT_SH_SI_SJ_E_clIS9_S9_PlSD_EESG_SW_SH_SI_SJ_EUlSW_E1_NS1_11comp_targetILNS1_3genE8ELNS1_11target_archE1030ELNS1_3gpuE2ELNS1_3repE0EEENS1_36merge_oddeven_config_static_selectorELNS0_4arch9wavefront6targetE1EEEvSI_
                                        ; -- End function
	.section	.AMDGPU.csdata,"",@progbits
; Kernel info:
; codeLenInByte = 0
; NumSgprs: 4
; NumVgprs: 0
; NumAgprs: 0
; TotalNumVgprs: 0
; ScratchSize: 0
; MemoryBound: 0
; FloatMode: 240
; IeeeMode: 1
; LDSByteSize: 0 bytes/workgroup (compile time only)
; SGPRBlocks: 0
; VGPRBlocks: 0
; NumSGPRsForWavesPerEU: 4
; NumVGPRsForWavesPerEU: 1
; AccumOffset: 4
; Occupancy: 8
; WaveLimiterHint : 0
; COMPUTE_PGM_RSRC2:SCRATCH_EN: 0
; COMPUTE_PGM_RSRC2:USER_SGPR: 6
; COMPUTE_PGM_RSRC2:TRAP_HANDLER: 0
; COMPUTE_PGM_RSRC2:TGID_X_EN: 1
; COMPUTE_PGM_RSRC2:TGID_Y_EN: 0
; COMPUTE_PGM_RSRC2:TGID_Z_EN: 0
; COMPUTE_PGM_RSRC2:TIDIG_COMP_CNT: 0
; COMPUTE_PGM_RSRC3_GFX90A:ACCUM_OFFSET: 0
; COMPUTE_PGM_RSRC3_GFX90A:TG_SPLIT: 0
	.section	.text._ZN7rocprim17ROCPRIM_400000_NS6detail17trampoline_kernelINS0_14default_configENS1_38merge_sort_block_merge_config_selectorIN3c104HalfElEEZZNS1_27merge_sort_block_merge_implIS3_PS6_N6thrust23THRUST_200600_302600_NS10device_ptrIlEEmNSB_4lessIS6_EEEE10hipError_tT0_T1_T2_jT3_P12ihipStream_tbPNSt15iterator_traitsISH_E10value_typeEPNSN_ISI_E10value_typeEPSJ_NS1_7vsmem_tEENKUlT_SH_SI_SJ_E_clIS9_S9_SD_PlEESG_SW_SH_SI_SJ_EUlSW_E_NS1_11comp_targetILNS1_3genE0ELNS1_11target_archE4294967295ELNS1_3gpuE0ELNS1_3repE0EEENS1_48merge_mergepath_partition_config_static_selectorELNS0_4arch9wavefront6targetE1EEEvSI_,"axG",@progbits,_ZN7rocprim17ROCPRIM_400000_NS6detail17trampoline_kernelINS0_14default_configENS1_38merge_sort_block_merge_config_selectorIN3c104HalfElEEZZNS1_27merge_sort_block_merge_implIS3_PS6_N6thrust23THRUST_200600_302600_NS10device_ptrIlEEmNSB_4lessIS6_EEEE10hipError_tT0_T1_T2_jT3_P12ihipStream_tbPNSt15iterator_traitsISH_E10value_typeEPNSN_ISI_E10value_typeEPSJ_NS1_7vsmem_tEENKUlT_SH_SI_SJ_E_clIS9_S9_SD_PlEESG_SW_SH_SI_SJ_EUlSW_E_NS1_11comp_targetILNS1_3genE0ELNS1_11target_archE4294967295ELNS1_3gpuE0ELNS1_3repE0EEENS1_48merge_mergepath_partition_config_static_selectorELNS0_4arch9wavefront6targetE1EEEvSI_,comdat
	.protected	_ZN7rocprim17ROCPRIM_400000_NS6detail17trampoline_kernelINS0_14default_configENS1_38merge_sort_block_merge_config_selectorIN3c104HalfElEEZZNS1_27merge_sort_block_merge_implIS3_PS6_N6thrust23THRUST_200600_302600_NS10device_ptrIlEEmNSB_4lessIS6_EEEE10hipError_tT0_T1_T2_jT3_P12ihipStream_tbPNSt15iterator_traitsISH_E10value_typeEPNSN_ISI_E10value_typeEPSJ_NS1_7vsmem_tEENKUlT_SH_SI_SJ_E_clIS9_S9_SD_PlEESG_SW_SH_SI_SJ_EUlSW_E_NS1_11comp_targetILNS1_3genE0ELNS1_11target_archE4294967295ELNS1_3gpuE0ELNS1_3repE0EEENS1_48merge_mergepath_partition_config_static_selectorELNS0_4arch9wavefront6targetE1EEEvSI_ ; -- Begin function _ZN7rocprim17ROCPRIM_400000_NS6detail17trampoline_kernelINS0_14default_configENS1_38merge_sort_block_merge_config_selectorIN3c104HalfElEEZZNS1_27merge_sort_block_merge_implIS3_PS6_N6thrust23THRUST_200600_302600_NS10device_ptrIlEEmNSB_4lessIS6_EEEE10hipError_tT0_T1_T2_jT3_P12ihipStream_tbPNSt15iterator_traitsISH_E10value_typeEPNSN_ISI_E10value_typeEPSJ_NS1_7vsmem_tEENKUlT_SH_SI_SJ_E_clIS9_S9_SD_PlEESG_SW_SH_SI_SJ_EUlSW_E_NS1_11comp_targetILNS1_3genE0ELNS1_11target_archE4294967295ELNS1_3gpuE0ELNS1_3repE0EEENS1_48merge_mergepath_partition_config_static_selectorELNS0_4arch9wavefront6targetE1EEEvSI_
	.globl	_ZN7rocprim17ROCPRIM_400000_NS6detail17trampoline_kernelINS0_14default_configENS1_38merge_sort_block_merge_config_selectorIN3c104HalfElEEZZNS1_27merge_sort_block_merge_implIS3_PS6_N6thrust23THRUST_200600_302600_NS10device_ptrIlEEmNSB_4lessIS6_EEEE10hipError_tT0_T1_T2_jT3_P12ihipStream_tbPNSt15iterator_traitsISH_E10value_typeEPNSN_ISI_E10value_typeEPSJ_NS1_7vsmem_tEENKUlT_SH_SI_SJ_E_clIS9_S9_SD_PlEESG_SW_SH_SI_SJ_EUlSW_E_NS1_11comp_targetILNS1_3genE0ELNS1_11target_archE4294967295ELNS1_3gpuE0ELNS1_3repE0EEENS1_48merge_mergepath_partition_config_static_selectorELNS0_4arch9wavefront6targetE1EEEvSI_
	.p2align	8
	.type	_ZN7rocprim17ROCPRIM_400000_NS6detail17trampoline_kernelINS0_14default_configENS1_38merge_sort_block_merge_config_selectorIN3c104HalfElEEZZNS1_27merge_sort_block_merge_implIS3_PS6_N6thrust23THRUST_200600_302600_NS10device_ptrIlEEmNSB_4lessIS6_EEEE10hipError_tT0_T1_T2_jT3_P12ihipStream_tbPNSt15iterator_traitsISH_E10value_typeEPNSN_ISI_E10value_typeEPSJ_NS1_7vsmem_tEENKUlT_SH_SI_SJ_E_clIS9_S9_SD_PlEESG_SW_SH_SI_SJ_EUlSW_E_NS1_11comp_targetILNS1_3genE0ELNS1_11target_archE4294967295ELNS1_3gpuE0ELNS1_3repE0EEENS1_48merge_mergepath_partition_config_static_selectorELNS0_4arch9wavefront6targetE1EEEvSI_,@function
_ZN7rocprim17ROCPRIM_400000_NS6detail17trampoline_kernelINS0_14default_configENS1_38merge_sort_block_merge_config_selectorIN3c104HalfElEEZZNS1_27merge_sort_block_merge_implIS3_PS6_N6thrust23THRUST_200600_302600_NS10device_ptrIlEEmNSB_4lessIS6_EEEE10hipError_tT0_T1_T2_jT3_P12ihipStream_tbPNSt15iterator_traitsISH_E10value_typeEPNSN_ISI_E10value_typeEPSJ_NS1_7vsmem_tEENKUlT_SH_SI_SJ_E_clIS9_S9_SD_PlEESG_SW_SH_SI_SJ_EUlSW_E_NS1_11comp_targetILNS1_3genE0ELNS1_11target_archE4294967295ELNS1_3gpuE0ELNS1_3repE0EEENS1_48merge_mergepath_partition_config_static_selectorELNS0_4arch9wavefront6targetE1EEEvSI_: ; @_ZN7rocprim17ROCPRIM_400000_NS6detail17trampoline_kernelINS0_14default_configENS1_38merge_sort_block_merge_config_selectorIN3c104HalfElEEZZNS1_27merge_sort_block_merge_implIS3_PS6_N6thrust23THRUST_200600_302600_NS10device_ptrIlEEmNSB_4lessIS6_EEEE10hipError_tT0_T1_T2_jT3_P12ihipStream_tbPNSt15iterator_traitsISH_E10value_typeEPNSN_ISI_E10value_typeEPSJ_NS1_7vsmem_tEENKUlT_SH_SI_SJ_E_clIS9_S9_SD_PlEESG_SW_SH_SI_SJ_EUlSW_E_NS1_11comp_targetILNS1_3genE0ELNS1_11target_archE4294967295ELNS1_3gpuE0ELNS1_3repE0EEENS1_48merge_mergepath_partition_config_static_selectorELNS0_4arch9wavefront6targetE1EEEvSI_
; %bb.0:
	.section	.rodata,"a",@progbits
	.p2align	6, 0x0
	.amdhsa_kernel _ZN7rocprim17ROCPRIM_400000_NS6detail17trampoline_kernelINS0_14default_configENS1_38merge_sort_block_merge_config_selectorIN3c104HalfElEEZZNS1_27merge_sort_block_merge_implIS3_PS6_N6thrust23THRUST_200600_302600_NS10device_ptrIlEEmNSB_4lessIS6_EEEE10hipError_tT0_T1_T2_jT3_P12ihipStream_tbPNSt15iterator_traitsISH_E10value_typeEPNSN_ISI_E10value_typeEPSJ_NS1_7vsmem_tEENKUlT_SH_SI_SJ_E_clIS9_S9_SD_PlEESG_SW_SH_SI_SJ_EUlSW_E_NS1_11comp_targetILNS1_3genE0ELNS1_11target_archE4294967295ELNS1_3gpuE0ELNS1_3repE0EEENS1_48merge_mergepath_partition_config_static_selectorELNS0_4arch9wavefront6targetE1EEEvSI_
		.amdhsa_group_segment_fixed_size 0
		.amdhsa_private_segment_fixed_size 0
		.amdhsa_kernarg_size 48
		.amdhsa_user_sgpr_count 6
		.amdhsa_user_sgpr_private_segment_buffer 1
		.amdhsa_user_sgpr_dispatch_ptr 0
		.amdhsa_user_sgpr_queue_ptr 0
		.amdhsa_user_sgpr_kernarg_segment_ptr 1
		.amdhsa_user_sgpr_dispatch_id 0
		.amdhsa_user_sgpr_flat_scratch_init 0
		.amdhsa_user_sgpr_kernarg_preload_length 0
		.amdhsa_user_sgpr_kernarg_preload_offset 0
		.amdhsa_user_sgpr_private_segment_size 0
		.amdhsa_uses_dynamic_stack 0
		.amdhsa_system_sgpr_private_segment_wavefront_offset 0
		.amdhsa_system_sgpr_workgroup_id_x 1
		.amdhsa_system_sgpr_workgroup_id_y 0
		.amdhsa_system_sgpr_workgroup_id_z 0
		.amdhsa_system_sgpr_workgroup_info 0
		.amdhsa_system_vgpr_workitem_id 0
		.amdhsa_next_free_vgpr 1
		.amdhsa_next_free_sgpr 0
		.amdhsa_accum_offset 4
		.amdhsa_reserve_vcc 0
		.amdhsa_reserve_flat_scratch 0
		.amdhsa_float_round_mode_32 0
		.amdhsa_float_round_mode_16_64 0
		.amdhsa_float_denorm_mode_32 3
		.amdhsa_float_denorm_mode_16_64 3
		.amdhsa_dx10_clamp 1
		.amdhsa_ieee_mode 1
		.amdhsa_fp16_overflow 0
		.amdhsa_tg_split 0
		.amdhsa_exception_fp_ieee_invalid_op 0
		.amdhsa_exception_fp_denorm_src 0
		.amdhsa_exception_fp_ieee_div_zero 0
		.amdhsa_exception_fp_ieee_overflow 0
		.amdhsa_exception_fp_ieee_underflow 0
		.amdhsa_exception_fp_ieee_inexact 0
		.amdhsa_exception_int_div_zero 0
	.end_amdhsa_kernel
	.section	.text._ZN7rocprim17ROCPRIM_400000_NS6detail17trampoline_kernelINS0_14default_configENS1_38merge_sort_block_merge_config_selectorIN3c104HalfElEEZZNS1_27merge_sort_block_merge_implIS3_PS6_N6thrust23THRUST_200600_302600_NS10device_ptrIlEEmNSB_4lessIS6_EEEE10hipError_tT0_T1_T2_jT3_P12ihipStream_tbPNSt15iterator_traitsISH_E10value_typeEPNSN_ISI_E10value_typeEPSJ_NS1_7vsmem_tEENKUlT_SH_SI_SJ_E_clIS9_S9_SD_PlEESG_SW_SH_SI_SJ_EUlSW_E_NS1_11comp_targetILNS1_3genE0ELNS1_11target_archE4294967295ELNS1_3gpuE0ELNS1_3repE0EEENS1_48merge_mergepath_partition_config_static_selectorELNS0_4arch9wavefront6targetE1EEEvSI_,"axG",@progbits,_ZN7rocprim17ROCPRIM_400000_NS6detail17trampoline_kernelINS0_14default_configENS1_38merge_sort_block_merge_config_selectorIN3c104HalfElEEZZNS1_27merge_sort_block_merge_implIS3_PS6_N6thrust23THRUST_200600_302600_NS10device_ptrIlEEmNSB_4lessIS6_EEEE10hipError_tT0_T1_T2_jT3_P12ihipStream_tbPNSt15iterator_traitsISH_E10value_typeEPNSN_ISI_E10value_typeEPSJ_NS1_7vsmem_tEENKUlT_SH_SI_SJ_E_clIS9_S9_SD_PlEESG_SW_SH_SI_SJ_EUlSW_E_NS1_11comp_targetILNS1_3genE0ELNS1_11target_archE4294967295ELNS1_3gpuE0ELNS1_3repE0EEENS1_48merge_mergepath_partition_config_static_selectorELNS0_4arch9wavefront6targetE1EEEvSI_,comdat
.Lfunc_end2150:
	.size	_ZN7rocprim17ROCPRIM_400000_NS6detail17trampoline_kernelINS0_14default_configENS1_38merge_sort_block_merge_config_selectorIN3c104HalfElEEZZNS1_27merge_sort_block_merge_implIS3_PS6_N6thrust23THRUST_200600_302600_NS10device_ptrIlEEmNSB_4lessIS6_EEEE10hipError_tT0_T1_T2_jT3_P12ihipStream_tbPNSt15iterator_traitsISH_E10value_typeEPNSN_ISI_E10value_typeEPSJ_NS1_7vsmem_tEENKUlT_SH_SI_SJ_E_clIS9_S9_SD_PlEESG_SW_SH_SI_SJ_EUlSW_E_NS1_11comp_targetILNS1_3genE0ELNS1_11target_archE4294967295ELNS1_3gpuE0ELNS1_3repE0EEENS1_48merge_mergepath_partition_config_static_selectorELNS0_4arch9wavefront6targetE1EEEvSI_, .Lfunc_end2150-_ZN7rocprim17ROCPRIM_400000_NS6detail17trampoline_kernelINS0_14default_configENS1_38merge_sort_block_merge_config_selectorIN3c104HalfElEEZZNS1_27merge_sort_block_merge_implIS3_PS6_N6thrust23THRUST_200600_302600_NS10device_ptrIlEEmNSB_4lessIS6_EEEE10hipError_tT0_T1_T2_jT3_P12ihipStream_tbPNSt15iterator_traitsISH_E10value_typeEPNSN_ISI_E10value_typeEPSJ_NS1_7vsmem_tEENKUlT_SH_SI_SJ_E_clIS9_S9_SD_PlEESG_SW_SH_SI_SJ_EUlSW_E_NS1_11comp_targetILNS1_3genE0ELNS1_11target_archE4294967295ELNS1_3gpuE0ELNS1_3repE0EEENS1_48merge_mergepath_partition_config_static_selectorELNS0_4arch9wavefront6targetE1EEEvSI_
                                        ; -- End function
	.section	.AMDGPU.csdata,"",@progbits
; Kernel info:
; codeLenInByte = 0
; NumSgprs: 4
; NumVgprs: 0
; NumAgprs: 0
; TotalNumVgprs: 0
; ScratchSize: 0
; MemoryBound: 0
; FloatMode: 240
; IeeeMode: 1
; LDSByteSize: 0 bytes/workgroup (compile time only)
; SGPRBlocks: 0
; VGPRBlocks: 0
; NumSGPRsForWavesPerEU: 4
; NumVGPRsForWavesPerEU: 1
; AccumOffset: 4
; Occupancy: 8
; WaveLimiterHint : 0
; COMPUTE_PGM_RSRC2:SCRATCH_EN: 0
; COMPUTE_PGM_RSRC2:USER_SGPR: 6
; COMPUTE_PGM_RSRC2:TRAP_HANDLER: 0
; COMPUTE_PGM_RSRC2:TGID_X_EN: 1
; COMPUTE_PGM_RSRC2:TGID_Y_EN: 0
; COMPUTE_PGM_RSRC2:TGID_Z_EN: 0
; COMPUTE_PGM_RSRC2:TIDIG_COMP_CNT: 0
; COMPUTE_PGM_RSRC3_GFX90A:ACCUM_OFFSET: 0
; COMPUTE_PGM_RSRC3_GFX90A:TG_SPLIT: 0
	.section	.text._ZN7rocprim17ROCPRIM_400000_NS6detail17trampoline_kernelINS0_14default_configENS1_38merge_sort_block_merge_config_selectorIN3c104HalfElEEZZNS1_27merge_sort_block_merge_implIS3_PS6_N6thrust23THRUST_200600_302600_NS10device_ptrIlEEmNSB_4lessIS6_EEEE10hipError_tT0_T1_T2_jT3_P12ihipStream_tbPNSt15iterator_traitsISH_E10value_typeEPNSN_ISI_E10value_typeEPSJ_NS1_7vsmem_tEENKUlT_SH_SI_SJ_E_clIS9_S9_SD_PlEESG_SW_SH_SI_SJ_EUlSW_E_NS1_11comp_targetILNS1_3genE10ELNS1_11target_archE1201ELNS1_3gpuE5ELNS1_3repE0EEENS1_48merge_mergepath_partition_config_static_selectorELNS0_4arch9wavefront6targetE1EEEvSI_,"axG",@progbits,_ZN7rocprim17ROCPRIM_400000_NS6detail17trampoline_kernelINS0_14default_configENS1_38merge_sort_block_merge_config_selectorIN3c104HalfElEEZZNS1_27merge_sort_block_merge_implIS3_PS6_N6thrust23THRUST_200600_302600_NS10device_ptrIlEEmNSB_4lessIS6_EEEE10hipError_tT0_T1_T2_jT3_P12ihipStream_tbPNSt15iterator_traitsISH_E10value_typeEPNSN_ISI_E10value_typeEPSJ_NS1_7vsmem_tEENKUlT_SH_SI_SJ_E_clIS9_S9_SD_PlEESG_SW_SH_SI_SJ_EUlSW_E_NS1_11comp_targetILNS1_3genE10ELNS1_11target_archE1201ELNS1_3gpuE5ELNS1_3repE0EEENS1_48merge_mergepath_partition_config_static_selectorELNS0_4arch9wavefront6targetE1EEEvSI_,comdat
	.protected	_ZN7rocprim17ROCPRIM_400000_NS6detail17trampoline_kernelINS0_14default_configENS1_38merge_sort_block_merge_config_selectorIN3c104HalfElEEZZNS1_27merge_sort_block_merge_implIS3_PS6_N6thrust23THRUST_200600_302600_NS10device_ptrIlEEmNSB_4lessIS6_EEEE10hipError_tT0_T1_T2_jT3_P12ihipStream_tbPNSt15iterator_traitsISH_E10value_typeEPNSN_ISI_E10value_typeEPSJ_NS1_7vsmem_tEENKUlT_SH_SI_SJ_E_clIS9_S9_SD_PlEESG_SW_SH_SI_SJ_EUlSW_E_NS1_11comp_targetILNS1_3genE10ELNS1_11target_archE1201ELNS1_3gpuE5ELNS1_3repE0EEENS1_48merge_mergepath_partition_config_static_selectorELNS0_4arch9wavefront6targetE1EEEvSI_ ; -- Begin function _ZN7rocprim17ROCPRIM_400000_NS6detail17trampoline_kernelINS0_14default_configENS1_38merge_sort_block_merge_config_selectorIN3c104HalfElEEZZNS1_27merge_sort_block_merge_implIS3_PS6_N6thrust23THRUST_200600_302600_NS10device_ptrIlEEmNSB_4lessIS6_EEEE10hipError_tT0_T1_T2_jT3_P12ihipStream_tbPNSt15iterator_traitsISH_E10value_typeEPNSN_ISI_E10value_typeEPSJ_NS1_7vsmem_tEENKUlT_SH_SI_SJ_E_clIS9_S9_SD_PlEESG_SW_SH_SI_SJ_EUlSW_E_NS1_11comp_targetILNS1_3genE10ELNS1_11target_archE1201ELNS1_3gpuE5ELNS1_3repE0EEENS1_48merge_mergepath_partition_config_static_selectorELNS0_4arch9wavefront6targetE1EEEvSI_
	.globl	_ZN7rocprim17ROCPRIM_400000_NS6detail17trampoline_kernelINS0_14default_configENS1_38merge_sort_block_merge_config_selectorIN3c104HalfElEEZZNS1_27merge_sort_block_merge_implIS3_PS6_N6thrust23THRUST_200600_302600_NS10device_ptrIlEEmNSB_4lessIS6_EEEE10hipError_tT0_T1_T2_jT3_P12ihipStream_tbPNSt15iterator_traitsISH_E10value_typeEPNSN_ISI_E10value_typeEPSJ_NS1_7vsmem_tEENKUlT_SH_SI_SJ_E_clIS9_S9_SD_PlEESG_SW_SH_SI_SJ_EUlSW_E_NS1_11comp_targetILNS1_3genE10ELNS1_11target_archE1201ELNS1_3gpuE5ELNS1_3repE0EEENS1_48merge_mergepath_partition_config_static_selectorELNS0_4arch9wavefront6targetE1EEEvSI_
	.p2align	8
	.type	_ZN7rocprim17ROCPRIM_400000_NS6detail17trampoline_kernelINS0_14default_configENS1_38merge_sort_block_merge_config_selectorIN3c104HalfElEEZZNS1_27merge_sort_block_merge_implIS3_PS6_N6thrust23THRUST_200600_302600_NS10device_ptrIlEEmNSB_4lessIS6_EEEE10hipError_tT0_T1_T2_jT3_P12ihipStream_tbPNSt15iterator_traitsISH_E10value_typeEPNSN_ISI_E10value_typeEPSJ_NS1_7vsmem_tEENKUlT_SH_SI_SJ_E_clIS9_S9_SD_PlEESG_SW_SH_SI_SJ_EUlSW_E_NS1_11comp_targetILNS1_3genE10ELNS1_11target_archE1201ELNS1_3gpuE5ELNS1_3repE0EEENS1_48merge_mergepath_partition_config_static_selectorELNS0_4arch9wavefront6targetE1EEEvSI_,@function
_ZN7rocprim17ROCPRIM_400000_NS6detail17trampoline_kernelINS0_14default_configENS1_38merge_sort_block_merge_config_selectorIN3c104HalfElEEZZNS1_27merge_sort_block_merge_implIS3_PS6_N6thrust23THRUST_200600_302600_NS10device_ptrIlEEmNSB_4lessIS6_EEEE10hipError_tT0_T1_T2_jT3_P12ihipStream_tbPNSt15iterator_traitsISH_E10value_typeEPNSN_ISI_E10value_typeEPSJ_NS1_7vsmem_tEENKUlT_SH_SI_SJ_E_clIS9_S9_SD_PlEESG_SW_SH_SI_SJ_EUlSW_E_NS1_11comp_targetILNS1_3genE10ELNS1_11target_archE1201ELNS1_3gpuE5ELNS1_3repE0EEENS1_48merge_mergepath_partition_config_static_selectorELNS0_4arch9wavefront6targetE1EEEvSI_: ; @_ZN7rocprim17ROCPRIM_400000_NS6detail17trampoline_kernelINS0_14default_configENS1_38merge_sort_block_merge_config_selectorIN3c104HalfElEEZZNS1_27merge_sort_block_merge_implIS3_PS6_N6thrust23THRUST_200600_302600_NS10device_ptrIlEEmNSB_4lessIS6_EEEE10hipError_tT0_T1_T2_jT3_P12ihipStream_tbPNSt15iterator_traitsISH_E10value_typeEPNSN_ISI_E10value_typeEPSJ_NS1_7vsmem_tEENKUlT_SH_SI_SJ_E_clIS9_S9_SD_PlEESG_SW_SH_SI_SJ_EUlSW_E_NS1_11comp_targetILNS1_3genE10ELNS1_11target_archE1201ELNS1_3gpuE5ELNS1_3repE0EEENS1_48merge_mergepath_partition_config_static_selectorELNS0_4arch9wavefront6targetE1EEEvSI_
; %bb.0:
	.section	.rodata,"a",@progbits
	.p2align	6, 0x0
	.amdhsa_kernel _ZN7rocprim17ROCPRIM_400000_NS6detail17trampoline_kernelINS0_14default_configENS1_38merge_sort_block_merge_config_selectorIN3c104HalfElEEZZNS1_27merge_sort_block_merge_implIS3_PS6_N6thrust23THRUST_200600_302600_NS10device_ptrIlEEmNSB_4lessIS6_EEEE10hipError_tT0_T1_T2_jT3_P12ihipStream_tbPNSt15iterator_traitsISH_E10value_typeEPNSN_ISI_E10value_typeEPSJ_NS1_7vsmem_tEENKUlT_SH_SI_SJ_E_clIS9_S9_SD_PlEESG_SW_SH_SI_SJ_EUlSW_E_NS1_11comp_targetILNS1_3genE10ELNS1_11target_archE1201ELNS1_3gpuE5ELNS1_3repE0EEENS1_48merge_mergepath_partition_config_static_selectorELNS0_4arch9wavefront6targetE1EEEvSI_
		.amdhsa_group_segment_fixed_size 0
		.amdhsa_private_segment_fixed_size 0
		.amdhsa_kernarg_size 48
		.amdhsa_user_sgpr_count 6
		.amdhsa_user_sgpr_private_segment_buffer 1
		.amdhsa_user_sgpr_dispatch_ptr 0
		.amdhsa_user_sgpr_queue_ptr 0
		.amdhsa_user_sgpr_kernarg_segment_ptr 1
		.amdhsa_user_sgpr_dispatch_id 0
		.amdhsa_user_sgpr_flat_scratch_init 0
		.amdhsa_user_sgpr_kernarg_preload_length 0
		.amdhsa_user_sgpr_kernarg_preload_offset 0
		.amdhsa_user_sgpr_private_segment_size 0
		.amdhsa_uses_dynamic_stack 0
		.amdhsa_system_sgpr_private_segment_wavefront_offset 0
		.amdhsa_system_sgpr_workgroup_id_x 1
		.amdhsa_system_sgpr_workgroup_id_y 0
		.amdhsa_system_sgpr_workgroup_id_z 0
		.amdhsa_system_sgpr_workgroup_info 0
		.amdhsa_system_vgpr_workitem_id 0
		.amdhsa_next_free_vgpr 1
		.amdhsa_next_free_sgpr 0
		.amdhsa_accum_offset 4
		.amdhsa_reserve_vcc 0
		.amdhsa_reserve_flat_scratch 0
		.amdhsa_float_round_mode_32 0
		.amdhsa_float_round_mode_16_64 0
		.amdhsa_float_denorm_mode_32 3
		.amdhsa_float_denorm_mode_16_64 3
		.amdhsa_dx10_clamp 1
		.amdhsa_ieee_mode 1
		.amdhsa_fp16_overflow 0
		.amdhsa_tg_split 0
		.amdhsa_exception_fp_ieee_invalid_op 0
		.amdhsa_exception_fp_denorm_src 0
		.amdhsa_exception_fp_ieee_div_zero 0
		.amdhsa_exception_fp_ieee_overflow 0
		.amdhsa_exception_fp_ieee_underflow 0
		.amdhsa_exception_fp_ieee_inexact 0
		.amdhsa_exception_int_div_zero 0
	.end_amdhsa_kernel
	.section	.text._ZN7rocprim17ROCPRIM_400000_NS6detail17trampoline_kernelINS0_14default_configENS1_38merge_sort_block_merge_config_selectorIN3c104HalfElEEZZNS1_27merge_sort_block_merge_implIS3_PS6_N6thrust23THRUST_200600_302600_NS10device_ptrIlEEmNSB_4lessIS6_EEEE10hipError_tT0_T1_T2_jT3_P12ihipStream_tbPNSt15iterator_traitsISH_E10value_typeEPNSN_ISI_E10value_typeEPSJ_NS1_7vsmem_tEENKUlT_SH_SI_SJ_E_clIS9_S9_SD_PlEESG_SW_SH_SI_SJ_EUlSW_E_NS1_11comp_targetILNS1_3genE10ELNS1_11target_archE1201ELNS1_3gpuE5ELNS1_3repE0EEENS1_48merge_mergepath_partition_config_static_selectorELNS0_4arch9wavefront6targetE1EEEvSI_,"axG",@progbits,_ZN7rocprim17ROCPRIM_400000_NS6detail17trampoline_kernelINS0_14default_configENS1_38merge_sort_block_merge_config_selectorIN3c104HalfElEEZZNS1_27merge_sort_block_merge_implIS3_PS6_N6thrust23THRUST_200600_302600_NS10device_ptrIlEEmNSB_4lessIS6_EEEE10hipError_tT0_T1_T2_jT3_P12ihipStream_tbPNSt15iterator_traitsISH_E10value_typeEPNSN_ISI_E10value_typeEPSJ_NS1_7vsmem_tEENKUlT_SH_SI_SJ_E_clIS9_S9_SD_PlEESG_SW_SH_SI_SJ_EUlSW_E_NS1_11comp_targetILNS1_3genE10ELNS1_11target_archE1201ELNS1_3gpuE5ELNS1_3repE0EEENS1_48merge_mergepath_partition_config_static_selectorELNS0_4arch9wavefront6targetE1EEEvSI_,comdat
.Lfunc_end2151:
	.size	_ZN7rocprim17ROCPRIM_400000_NS6detail17trampoline_kernelINS0_14default_configENS1_38merge_sort_block_merge_config_selectorIN3c104HalfElEEZZNS1_27merge_sort_block_merge_implIS3_PS6_N6thrust23THRUST_200600_302600_NS10device_ptrIlEEmNSB_4lessIS6_EEEE10hipError_tT0_T1_T2_jT3_P12ihipStream_tbPNSt15iterator_traitsISH_E10value_typeEPNSN_ISI_E10value_typeEPSJ_NS1_7vsmem_tEENKUlT_SH_SI_SJ_E_clIS9_S9_SD_PlEESG_SW_SH_SI_SJ_EUlSW_E_NS1_11comp_targetILNS1_3genE10ELNS1_11target_archE1201ELNS1_3gpuE5ELNS1_3repE0EEENS1_48merge_mergepath_partition_config_static_selectorELNS0_4arch9wavefront6targetE1EEEvSI_, .Lfunc_end2151-_ZN7rocprim17ROCPRIM_400000_NS6detail17trampoline_kernelINS0_14default_configENS1_38merge_sort_block_merge_config_selectorIN3c104HalfElEEZZNS1_27merge_sort_block_merge_implIS3_PS6_N6thrust23THRUST_200600_302600_NS10device_ptrIlEEmNSB_4lessIS6_EEEE10hipError_tT0_T1_T2_jT3_P12ihipStream_tbPNSt15iterator_traitsISH_E10value_typeEPNSN_ISI_E10value_typeEPSJ_NS1_7vsmem_tEENKUlT_SH_SI_SJ_E_clIS9_S9_SD_PlEESG_SW_SH_SI_SJ_EUlSW_E_NS1_11comp_targetILNS1_3genE10ELNS1_11target_archE1201ELNS1_3gpuE5ELNS1_3repE0EEENS1_48merge_mergepath_partition_config_static_selectorELNS0_4arch9wavefront6targetE1EEEvSI_
                                        ; -- End function
	.section	.AMDGPU.csdata,"",@progbits
; Kernel info:
; codeLenInByte = 0
; NumSgprs: 4
; NumVgprs: 0
; NumAgprs: 0
; TotalNumVgprs: 0
; ScratchSize: 0
; MemoryBound: 0
; FloatMode: 240
; IeeeMode: 1
; LDSByteSize: 0 bytes/workgroup (compile time only)
; SGPRBlocks: 0
; VGPRBlocks: 0
; NumSGPRsForWavesPerEU: 4
; NumVGPRsForWavesPerEU: 1
; AccumOffset: 4
; Occupancy: 8
; WaveLimiterHint : 0
; COMPUTE_PGM_RSRC2:SCRATCH_EN: 0
; COMPUTE_PGM_RSRC2:USER_SGPR: 6
; COMPUTE_PGM_RSRC2:TRAP_HANDLER: 0
; COMPUTE_PGM_RSRC2:TGID_X_EN: 1
; COMPUTE_PGM_RSRC2:TGID_Y_EN: 0
; COMPUTE_PGM_RSRC2:TGID_Z_EN: 0
; COMPUTE_PGM_RSRC2:TIDIG_COMP_CNT: 0
; COMPUTE_PGM_RSRC3_GFX90A:ACCUM_OFFSET: 0
; COMPUTE_PGM_RSRC3_GFX90A:TG_SPLIT: 0
	.section	.text._ZN7rocprim17ROCPRIM_400000_NS6detail17trampoline_kernelINS0_14default_configENS1_38merge_sort_block_merge_config_selectorIN3c104HalfElEEZZNS1_27merge_sort_block_merge_implIS3_PS6_N6thrust23THRUST_200600_302600_NS10device_ptrIlEEmNSB_4lessIS6_EEEE10hipError_tT0_T1_T2_jT3_P12ihipStream_tbPNSt15iterator_traitsISH_E10value_typeEPNSN_ISI_E10value_typeEPSJ_NS1_7vsmem_tEENKUlT_SH_SI_SJ_E_clIS9_S9_SD_PlEESG_SW_SH_SI_SJ_EUlSW_E_NS1_11comp_targetILNS1_3genE5ELNS1_11target_archE942ELNS1_3gpuE9ELNS1_3repE0EEENS1_48merge_mergepath_partition_config_static_selectorELNS0_4arch9wavefront6targetE1EEEvSI_,"axG",@progbits,_ZN7rocprim17ROCPRIM_400000_NS6detail17trampoline_kernelINS0_14default_configENS1_38merge_sort_block_merge_config_selectorIN3c104HalfElEEZZNS1_27merge_sort_block_merge_implIS3_PS6_N6thrust23THRUST_200600_302600_NS10device_ptrIlEEmNSB_4lessIS6_EEEE10hipError_tT0_T1_T2_jT3_P12ihipStream_tbPNSt15iterator_traitsISH_E10value_typeEPNSN_ISI_E10value_typeEPSJ_NS1_7vsmem_tEENKUlT_SH_SI_SJ_E_clIS9_S9_SD_PlEESG_SW_SH_SI_SJ_EUlSW_E_NS1_11comp_targetILNS1_3genE5ELNS1_11target_archE942ELNS1_3gpuE9ELNS1_3repE0EEENS1_48merge_mergepath_partition_config_static_selectorELNS0_4arch9wavefront6targetE1EEEvSI_,comdat
	.protected	_ZN7rocprim17ROCPRIM_400000_NS6detail17trampoline_kernelINS0_14default_configENS1_38merge_sort_block_merge_config_selectorIN3c104HalfElEEZZNS1_27merge_sort_block_merge_implIS3_PS6_N6thrust23THRUST_200600_302600_NS10device_ptrIlEEmNSB_4lessIS6_EEEE10hipError_tT0_T1_T2_jT3_P12ihipStream_tbPNSt15iterator_traitsISH_E10value_typeEPNSN_ISI_E10value_typeEPSJ_NS1_7vsmem_tEENKUlT_SH_SI_SJ_E_clIS9_S9_SD_PlEESG_SW_SH_SI_SJ_EUlSW_E_NS1_11comp_targetILNS1_3genE5ELNS1_11target_archE942ELNS1_3gpuE9ELNS1_3repE0EEENS1_48merge_mergepath_partition_config_static_selectorELNS0_4arch9wavefront6targetE1EEEvSI_ ; -- Begin function _ZN7rocprim17ROCPRIM_400000_NS6detail17trampoline_kernelINS0_14default_configENS1_38merge_sort_block_merge_config_selectorIN3c104HalfElEEZZNS1_27merge_sort_block_merge_implIS3_PS6_N6thrust23THRUST_200600_302600_NS10device_ptrIlEEmNSB_4lessIS6_EEEE10hipError_tT0_T1_T2_jT3_P12ihipStream_tbPNSt15iterator_traitsISH_E10value_typeEPNSN_ISI_E10value_typeEPSJ_NS1_7vsmem_tEENKUlT_SH_SI_SJ_E_clIS9_S9_SD_PlEESG_SW_SH_SI_SJ_EUlSW_E_NS1_11comp_targetILNS1_3genE5ELNS1_11target_archE942ELNS1_3gpuE9ELNS1_3repE0EEENS1_48merge_mergepath_partition_config_static_selectorELNS0_4arch9wavefront6targetE1EEEvSI_
	.globl	_ZN7rocprim17ROCPRIM_400000_NS6detail17trampoline_kernelINS0_14default_configENS1_38merge_sort_block_merge_config_selectorIN3c104HalfElEEZZNS1_27merge_sort_block_merge_implIS3_PS6_N6thrust23THRUST_200600_302600_NS10device_ptrIlEEmNSB_4lessIS6_EEEE10hipError_tT0_T1_T2_jT3_P12ihipStream_tbPNSt15iterator_traitsISH_E10value_typeEPNSN_ISI_E10value_typeEPSJ_NS1_7vsmem_tEENKUlT_SH_SI_SJ_E_clIS9_S9_SD_PlEESG_SW_SH_SI_SJ_EUlSW_E_NS1_11comp_targetILNS1_3genE5ELNS1_11target_archE942ELNS1_3gpuE9ELNS1_3repE0EEENS1_48merge_mergepath_partition_config_static_selectorELNS0_4arch9wavefront6targetE1EEEvSI_
	.p2align	8
	.type	_ZN7rocprim17ROCPRIM_400000_NS6detail17trampoline_kernelINS0_14default_configENS1_38merge_sort_block_merge_config_selectorIN3c104HalfElEEZZNS1_27merge_sort_block_merge_implIS3_PS6_N6thrust23THRUST_200600_302600_NS10device_ptrIlEEmNSB_4lessIS6_EEEE10hipError_tT0_T1_T2_jT3_P12ihipStream_tbPNSt15iterator_traitsISH_E10value_typeEPNSN_ISI_E10value_typeEPSJ_NS1_7vsmem_tEENKUlT_SH_SI_SJ_E_clIS9_S9_SD_PlEESG_SW_SH_SI_SJ_EUlSW_E_NS1_11comp_targetILNS1_3genE5ELNS1_11target_archE942ELNS1_3gpuE9ELNS1_3repE0EEENS1_48merge_mergepath_partition_config_static_selectorELNS0_4arch9wavefront6targetE1EEEvSI_,@function
_ZN7rocprim17ROCPRIM_400000_NS6detail17trampoline_kernelINS0_14default_configENS1_38merge_sort_block_merge_config_selectorIN3c104HalfElEEZZNS1_27merge_sort_block_merge_implIS3_PS6_N6thrust23THRUST_200600_302600_NS10device_ptrIlEEmNSB_4lessIS6_EEEE10hipError_tT0_T1_T2_jT3_P12ihipStream_tbPNSt15iterator_traitsISH_E10value_typeEPNSN_ISI_E10value_typeEPSJ_NS1_7vsmem_tEENKUlT_SH_SI_SJ_E_clIS9_S9_SD_PlEESG_SW_SH_SI_SJ_EUlSW_E_NS1_11comp_targetILNS1_3genE5ELNS1_11target_archE942ELNS1_3gpuE9ELNS1_3repE0EEENS1_48merge_mergepath_partition_config_static_selectorELNS0_4arch9wavefront6targetE1EEEvSI_: ; @_ZN7rocprim17ROCPRIM_400000_NS6detail17trampoline_kernelINS0_14default_configENS1_38merge_sort_block_merge_config_selectorIN3c104HalfElEEZZNS1_27merge_sort_block_merge_implIS3_PS6_N6thrust23THRUST_200600_302600_NS10device_ptrIlEEmNSB_4lessIS6_EEEE10hipError_tT0_T1_T2_jT3_P12ihipStream_tbPNSt15iterator_traitsISH_E10value_typeEPNSN_ISI_E10value_typeEPSJ_NS1_7vsmem_tEENKUlT_SH_SI_SJ_E_clIS9_S9_SD_PlEESG_SW_SH_SI_SJ_EUlSW_E_NS1_11comp_targetILNS1_3genE5ELNS1_11target_archE942ELNS1_3gpuE9ELNS1_3repE0EEENS1_48merge_mergepath_partition_config_static_selectorELNS0_4arch9wavefront6targetE1EEEvSI_
; %bb.0:
	.section	.rodata,"a",@progbits
	.p2align	6, 0x0
	.amdhsa_kernel _ZN7rocprim17ROCPRIM_400000_NS6detail17trampoline_kernelINS0_14default_configENS1_38merge_sort_block_merge_config_selectorIN3c104HalfElEEZZNS1_27merge_sort_block_merge_implIS3_PS6_N6thrust23THRUST_200600_302600_NS10device_ptrIlEEmNSB_4lessIS6_EEEE10hipError_tT0_T1_T2_jT3_P12ihipStream_tbPNSt15iterator_traitsISH_E10value_typeEPNSN_ISI_E10value_typeEPSJ_NS1_7vsmem_tEENKUlT_SH_SI_SJ_E_clIS9_S9_SD_PlEESG_SW_SH_SI_SJ_EUlSW_E_NS1_11comp_targetILNS1_3genE5ELNS1_11target_archE942ELNS1_3gpuE9ELNS1_3repE0EEENS1_48merge_mergepath_partition_config_static_selectorELNS0_4arch9wavefront6targetE1EEEvSI_
		.amdhsa_group_segment_fixed_size 0
		.amdhsa_private_segment_fixed_size 0
		.amdhsa_kernarg_size 48
		.amdhsa_user_sgpr_count 6
		.amdhsa_user_sgpr_private_segment_buffer 1
		.amdhsa_user_sgpr_dispatch_ptr 0
		.amdhsa_user_sgpr_queue_ptr 0
		.amdhsa_user_sgpr_kernarg_segment_ptr 1
		.amdhsa_user_sgpr_dispatch_id 0
		.amdhsa_user_sgpr_flat_scratch_init 0
		.amdhsa_user_sgpr_kernarg_preload_length 0
		.amdhsa_user_sgpr_kernarg_preload_offset 0
		.amdhsa_user_sgpr_private_segment_size 0
		.amdhsa_uses_dynamic_stack 0
		.amdhsa_system_sgpr_private_segment_wavefront_offset 0
		.amdhsa_system_sgpr_workgroup_id_x 1
		.amdhsa_system_sgpr_workgroup_id_y 0
		.amdhsa_system_sgpr_workgroup_id_z 0
		.amdhsa_system_sgpr_workgroup_info 0
		.amdhsa_system_vgpr_workitem_id 0
		.amdhsa_next_free_vgpr 1
		.amdhsa_next_free_sgpr 0
		.amdhsa_accum_offset 4
		.amdhsa_reserve_vcc 0
		.amdhsa_reserve_flat_scratch 0
		.amdhsa_float_round_mode_32 0
		.amdhsa_float_round_mode_16_64 0
		.amdhsa_float_denorm_mode_32 3
		.amdhsa_float_denorm_mode_16_64 3
		.amdhsa_dx10_clamp 1
		.amdhsa_ieee_mode 1
		.amdhsa_fp16_overflow 0
		.amdhsa_tg_split 0
		.amdhsa_exception_fp_ieee_invalid_op 0
		.amdhsa_exception_fp_denorm_src 0
		.amdhsa_exception_fp_ieee_div_zero 0
		.amdhsa_exception_fp_ieee_overflow 0
		.amdhsa_exception_fp_ieee_underflow 0
		.amdhsa_exception_fp_ieee_inexact 0
		.amdhsa_exception_int_div_zero 0
	.end_amdhsa_kernel
	.section	.text._ZN7rocprim17ROCPRIM_400000_NS6detail17trampoline_kernelINS0_14default_configENS1_38merge_sort_block_merge_config_selectorIN3c104HalfElEEZZNS1_27merge_sort_block_merge_implIS3_PS6_N6thrust23THRUST_200600_302600_NS10device_ptrIlEEmNSB_4lessIS6_EEEE10hipError_tT0_T1_T2_jT3_P12ihipStream_tbPNSt15iterator_traitsISH_E10value_typeEPNSN_ISI_E10value_typeEPSJ_NS1_7vsmem_tEENKUlT_SH_SI_SJ_E_clIS9_S9_SD_PlEESG_SW_SH_SI_SJ_EUlSW_E_NS1_11comp_targetILNS1_3genE5ELNS1_11target_archE942ELNS1_3gpuE9ELNS1_3repE0EEENS1_48merge_mergepath_partition_config_static_selectorELNS0_4arch9wavefront6targetE1EEEvSI_,"axG",@progbits,_ZN7rocprim17ROCPRIM_400000_NS6detail17trampoline_kernelINS0_14default_configENS1_38merge_sort_block_merge_config_selectorIN3c104HalfElEEZZNS1_27merge_sort_block_merge_implIS3_PS6_N6thrust23THRUST_200600_302600_NS10device_ptrIlEEmNSB_4lessIS6_EEEE10hipError_tT0_T1_T2_jT3_P12ihipStream_tbPNSt15iterator_traitsISH_E10value_typeEPNSN_ISI_E10value_typeEPSJ_NS1_7vsmem_tEENKUlT_SH_SI_SJ_E_clIS9_S9_SD_PlEESG_SW_SH_SI_SJ_EUlSW_E_NS1_11comp_targetILNS1_3genE5ELNS1_11target_archE942ELNS1_3gpuE9ELNS1_3repE0EEENS1_48merge_mergepath_partition_config_static_selectorELNS0_4arch9wavefront6targetE1EEEvSI_,comdat
.Lfunc_end2152:
	.size	_ZN7rocprim17ROCPRIM_400000_NS6detail17trampoline_kernelINS0_14default_configENS1_38merge_sort_block_merge_config_selectorIN3c104HalfElEEZZNS1_27merge_sort_block_merge_implIS3_PS6_N6thrust23THRUST_200600_302600_NS10device_ptrIlEEmNSB_4lessIS6_EEEE10hipError_tT0_T1_T2_jT3_P12ihipStream_tbPNSt15iterator_traitsISH_E10value_typeEPNSN_ISI_E10value_typeEPSJ_NS1_7vsmem_tEENKUlT_SH_SI_SJ_E_clIS9_S9_SD_PlEESG_SW_SH_SI_SJ_EUlSW_E_NS1_11comp_targetILNS1_3genE5ELNS1_11target_archE942ELNS1_3gpuE9ELNS1_3repE0EEENS1_48merge_mergepath_partition_config_static_selectorELNS0_4arch9wavefront6targetE1EEEvSI_, .Lfunc_end2152-_ZN7rocprim17ROCPRIM_400000_NS6detail17trampoline_kernelINS0_14default_configENS1_38merge_sort_block_merge_config_selectorIN3c104HalfElEEZZNS1_27merge_sort_block_merge_implIS3_PS6_N6thrust23THRUST_200600_302600_NS10device_ptrIlEEmNSB_4lessIS6_EEEE10hipError_tT0_T1_T2_jT3_P12ihipStream_tbPNSt15iterator_traitsISH_E10value_typeEPNSN_ISI_E10value_typeEPSJ_NS1_7vsmem_tEENKUlT_SH_SI_SJ_E_clIS9_S9_SD_PlEESG_SW_SH_SI_SJ_EUlSW_E_NS1_11comp_targetILNS1_3genE5ELNS1_11target_archE942ELNS1_3gpuE9ELNS1_3repE0EEENS1_48merge_mergepath_partition_config_static_selectorELNS0_4arch9wavefront6targetE1EEEvSI_
                                        ; -- End function
	.section	.AMDGPU.csdata,"",@progbits
; Kernel info:
; codeLenInByte = 0
; NumSgprs: 4
; NumVgprs: 0
; NumAgprs: 0
; TotalNumVgprs: 0
; ScratchSize: 0
; MemoryBound: 0
; FloatMode: 240
; IeeeMode: 1
; LDSByteSize: 0 bytes/workgroup (compile time only)
; SGPRBlocks: 0
; VGPRBlocks: 0
; NumSGPRsForWavesPerEU: 4
; NumVGPRsForWavesPerEU: 1
; AccumOffset: 4
; Occupancy: 8
; WaveLimiterHint : 0
; COMPUTE_PGM_RSRC2:SCRATCH_EN: 0
; COMPUTE_PGM_RSRC2:USER_SGPR: 6
; COMPUTE_PGM_RSRC2:TRAP_HANDLER: 0
; COMPUTE_PGM_RSRC2:TGID_X_EN: 1
; COMPUTE_PGM_RSRC2:TGID_Y_EN: 0
; COMPUTE_PGM_RSRC2:TGID_Z_EN: 0
; COMPUTE_PGM_RSRC2:TIDIG_COMP_CNT: 0
; COMPUTE_PGM_RSRC3_GFX90A:ACCUM_OFFSET: 0
; COMPUTE_PGM_RSRC3_GFX90A:TG_SPLIT: 0
	.section	.text._ZN7rocprim17ROCPRIM_400000_NS6detail17trampoline_kernelINS0_14default_configENS1_38merge_sort_block_merge_config_selectorIN3c104HalfElEEZZNS1_27merge_sort_block_merge_implIS3_PS6_N6thrust23THRUST_200600_302600_NS10device_ptrIlEEmNSB_4lessIS6_EEEE10hipError_tT0_T1_T2_jT3_P12ihipStream_tbPNSt15iterator_traitsISH_E10value_typeEPNSN_ISI_E10value_typeEPSJ_NS1_7vsmem_tEENKUlT_SH_SI_SJ_E_clIS9_S9_SD_PlEESG_SW_SH_SI_SJ_EUlSW_E_NS1_11comp_targetILNS1_3genE4ELNS1_11target_archE910ELNS1_3gpuE8ELNS1_3repE0EEENS1_48merge_mergepath_partition_config_static_selectorELNS0_4arch9wavefront6targetE1EEEvSI_,"axG",@progbits,_ZN7rocprim17ROCPRIM_400000_NS6detail17trampoline_kernelINS0_14default_configENS1_38merge_sort_block_merge_config_selectorIN3c104HalfElEEZZNS1_27merge_sort_block_merge_implIS3_PS6_N6thrust23THRUST_200600_302600_NS10device_ptrIlEEmNSB_4lessIS6_EEEE10hipError_tT0_T1_T2_jT3_P12ihipStream_tbPNSt15iterator_traitsISH_E10value_typeEPNSN_ISI_E10value_typeEPSJ_NS1_7vsmem_tEENKUlT_SH_SI_SJ_E_clIS9_S9_SD_PlEESG_SW_SH_SI_SJ_EUlSW_E_NS1_11comp_targetILNS1_3genE4ELNS1_11target_archE910ELNS1_3gpuE8ELNS1_3repE0EEENS1_48merge_mergepath_partition_config_static_selectorELNS0_4arch9wavefront6targetE1EEEvSI_,comdat
	.protected	_ZN7rocprim17ROCPRIM_400000_NS6detail17trampoline_kernelINS0_14default_configENS1_38merge_sort_block_merge_config_selectorIN3c104HalfElEEZZNS1_27merge_sort_block_merge_implIS3_PS6_N6thrust23THRUST_200600_302600_NS10device_ptrIlEEmNSB_4lessIS6_EEEE10hipError_tT0_T1_T2_jT3_P12ihipStream_tbPNSt15iterator_traitsISH_E10value_typeEPNSN_ISI_E10value_typeEPSJ_NS1_7vsmem_tEENKUlT_SH_SI_SJ_E_clIS9_S9_SD_PlEESG_SW_SH_SI_SJ_EUlSW_E_NS1_11comp_targetILNS1_3genE4ELNS1_11target_archE910ELNS1_3gpuE8ELNS1_3repE0EEENS1_48merge_mergepath_partition_config_static_selectorELNS0_4arch9wavefront6targetE1EEEvSI_ ; -- Begin function _ZN7rocprim17ROCPRIM_400000_NS6detail17trampoline_kernelINS0_14default_configENS1_38merge_sort_block_merge_config_selectorIN3c104HalfElEEZZNS1_27merge_sort_block_merge_implIS3_PS6_N6thrust23THRUST_200600_302600_NS10device_ptrIlEEmNSB_4lessIS6_EEEE10hipError_tT0_T1_T2_jT3_P12ihipStream_tbPNSt15iterator_traitsISH_E10value_typeEPNSN_ISI_E10value_typeEPSJ_NS1_7vsmem_tEENKUlT_SH_SI_SJ_E_clIS9_S9_SD_PlEESG_SW_SH_SI_SJ_EUlSW_E_NS1_11comp_targetILNS1_3genE4ELNS1_11target_archE910ELNS1_3gpuE8ELNS1_3repE0EEENS1_48merge_mergepath_partition_config_static_selectorELNS0_4arch9wavefront6targetE1EEEvSI_
	.globl	_ZN7rocprim17ROCPRIM_400000_NS6detail17trampoline_kernelINS0_14default_configENS1_38merge_sort_block_merge_config_selectorIN3c104HalfElEEZZNS1_27merge_sort_block_merge_implIS3_PS6_N6thrust23THRUST_200600_302600_NS10device_ptrIlEEmNSB_4lessIS6_EEEE10hipError_tT0_T1_T2_jT3_P12ihipStream_tbPNSt15iterator_traitsISH_E10value_typeEPNSN_ISI_E10value_typeEPSJ_NS1_7vsmem_tEENKUlT_SH_SI_SJ_E_clIS9_S9_SD_PlEESG_SW_SH_SI_SJ_EUlSW_E_NS1_11comp_targetILNS1_3genE4ELNS1_11target_archE910ELNS1_3gpuE8ELNS1_3repE0EEENS1_48merge_mergepath_partition_config_static_selectorELNS0_4arch9wavefront6targetE1EEEvSI_
	.p2align	8
	.type	_ZN7rocprim17ROCPRIM_400000_NS6detail17trampoline_kernelINS0_14default_configENS1_38merge_sort_block_merge_config_selectorIN3c104HalfElEEZZNS1_27merge_sort_block_merge_implIS3_PS6_N6thrust23THRUST_200600_302600_NS10device_ptrIlEEmNSB_4lessIS6_EEEE10hipError_tT0_T1_T2_jT3_P12ihipStream_tbPNSt15iterator_traitsISH_E10value_typeEPNSN_ISI_E10value_typeEPSJ_NS1_7vsmem_tEENKUlT_SH_SI_SJ_E_clIS9_S9_SD_PlEESG_SW_SH_SI_SJ_EUlSW_E_NS1_11comp_targetILNS1_3genE4ELNS1_11target_archE910ELNS1_3gpuE8ELNS1_3repE0EEENS1_48merge_mergepath_partition_config_static_selectorELNS0_4arch9wavefront6targetE1EEEvSI_,@function
_ZN7rocprim17ROCPRIM_400000_NS6detail17trampoline_kernelINS0_14default_configENS1_38merge_sort_block_merge_config_selectorIN3c104HalfElEEZZNS1_27merge_sort_block_merge_implIS3_PS6_N6thrust23THRUST_200600_302600_NS10device_ptrIlEEmNSB_4lessIS6_EEEE10hipError_tT0_T1_T2_jT3_P12ihipStream_tbPNSt15iterator_traitsISH_E10value_typeEPNSN_ISI_E10value_typeEPSJ_NS1_7vsmem_tEENKUlT_SH_SI_SJ_E_clIS9_S9_SD_PlEESG_SW_SH_SI_SJ_EUlSW_E_NS1_11comp_targetILNS1_3genE4ELNS1_11target_archE910ELNS1_3gpuE8ELNS1_3repE0EEENS1_48merge_mergepath_partition_config_static_selectorELNS0_4arch9wavefront6targetE1EEEvSI_: ; @_ZN7rocprim17ROCPRIM_400000_NS6detail17trampoline_kernelINS0_14default_configENS1_38merge_sort_block_merge_config_selectorIN3c104HalfElEEZZNS1_27merge_sort_block_merge_implIS3_PS6_N6thrust23THRUST_200600_302600_NS10device_ptrIlEEmNSB_4lessIS6_EEEE10hipError_tT0_T1_T2_jT3_P12ihipStream_tbPNSt15iterator_traitsISH_E10value_typeEPNSN_ISI_E10value_typeEPSJ_NS1_7vsmem_tEENKUlT_SH_SI_SJ_E_clIS9_S9_SD_PlEESG_SW_SH_SI_SJ_EUlSW_E_NS1_11comp_targetILNS1_3genE4ELNS1_11target_archE910ELNS1_3gpuE8ELNS1_3repE0EEENS1_48merge_mergepath_partition_config_static_selectorELNS0_4arch9wavefront6targetE1EEEvSI_
; %bb.0:
	s_load_dword s0, s[4:5], 0x0
	v_lshl_or_b32 v0, s6, 7, v0
	s_waitcnt lgkmcnt(0)
	v_cmp_gt_u32_e32 vcc, s0, v0
	s_and_saveexec_b64 s[0:1], vcc
	s_cbranch_execz .LBB2153_6
; %bb.1:
	s_load_dwordx4 s[0:3], s[4:5], 0x8
	s_load_dwordx2 s[6:7], s[4:5], 0x28
	v_mov_b32_e32 v5, 0
	s_waitcnt lgkmcnt(0)
	v_mov_b32_e32 v1, s0
	v_alignbit_b32 v1, s1, v1, 9
	v_and_b32_e32 v1, -2, v1
	v_add_u32_e32 v2, -1, v1
	v_sub_u32_e32 v1, 0, v1
	v_and_b32_e32 v4, v0, v1
	v_lshlrev_b64 v[8:9], 10, v[4:5]
	v_mov_b32_e32 v1, s3
	v_cmp_lt_u64_e32 vcc, s[2:3], v[8:9]
	v_mov_b32_e32 v4, s2
	v_and_b32_e32 v6, v2, v0
	v_cndmask_b32_e32 v3, v9, v1, vcc
	v_cndmask_b32_e32 v2, v8, v4, vcc
	v_mov_b32_e32 v7, s1
	v_add_co_u32_e32 v8, vcc, s0, v8
	v_addc_co_u32_e32 v9, vcc, v9, v7, vcc
	v_cmp_lt_u64_e32 vcc, s[2:3], v[8:9]
	v_cndmask_b32_e32 v8, v8, v4, vcc
	v_cndmask_b32_e32 v9, v9, v1, vcc
	v_add_co_u32_e32 v10, vcc, s0, v8
	v_addc_co_u32_e32 v11, vcc, v9, v7, vcc
	v_cmp_lt_u64_e32 vcc, s[2:3], v[10:11]
	v_cndmask_b32_e32 v12, v10, v4, vcc
	v_cndmask_b32_e32 v1, v11, v1, vcc
	v_sub_co_u32_e32 v10, vcc, v12, v2
	v_mov_b32_e32 v7, v5
	v_subb_co_u32_e32 v11, vcc, v1, v3, vcc
	v_lshlrev_b64 v[4:5], 10, v[6:7]
	v_cmp_lt_u64_e32 vcc, v[10:11], v[4:5]
	v_cndmask_b32_e32 v11, v5, v11, vcc
	v_cndmask_b32_e32 v10, v4, v10, vcc
	v_sub_co_u32_e32 v6, vcc, v8, v2
	v_subb_co_u32_e32 v7, vcc, v9, v3, vcc
	v_sub_co_u32_e32 v4, vcc, v8, v12
	v_subb_co_u32_e32 v1, vcc, v9, v1, vcc
	v_add_co_u32_e32 v4, vcc, v10, v4
	v_addc_co_u32_e32 v5, vcc, v11, v1, vcc
	v_cmp_gt_u64_e32 vcc, v[4:5], v[10:11]
	v_cndmask_b32_e64 v5, v5, 0, vcc
	v_cndmask_b32_e64 v4, v4, 0, vcc
	v_cmp_lt_u64_e32 vcc, v[10:11], v[6:7]
	v_cndmask_b32_e32 v7, v7, v11, vcc
	v_cndmask_b32_e32 v6, v6, v10, vcc
	v_cmp_lt_u64_e32 vcc, v[4:5], v[6:7]
	s_and_saveexec_b64 s[0:1], vcc
	s_cbranch_execz .LBB2153_5
; %bb.2:
	s_load_dwordx2 s[2:3], s[4:5], 0x18
	v_lshlrev_b64 v[12:13], 1, v[2:3]
	v_lshlrev_b64 v[8:9], 1, v[8:9]
	s_waitcnt lgkmcnt(0)
	v_mov_b32_e32 v14, s3
	v_add_co_u32_e32 v1, vcc, s2, v12
	v_addc_co_u32_e32 v12, vcc, v14, v13, vcc
	v_add_co_u32_e32 v13, vcc, s2, v8
	v_addc_co_u32_e32 v14, vcc, v14, v9, vcc
	v_lshlrev_b64 v[8:9], 1, v[10:11]
	v_add_co_u32_e32 v8, vcc, v13, v8
	v_addc_co_u32_e32 v9, vcc, v14, v9, vcc
	s_mov_b64 s[2:3], 0
.LBB2153_3:                             ; =>This Inner Loop Header: Depth=1
	v_add_co_u32_e32 v10, vcc, v6, v4
	v_addc_co_u32_e32 v11, vcc, v7, v5, vcc
	v_lshrrev_b64 v[14:15], 1, v[10:11]
	v_and_b32_e32 v10, -2, v10
	v_add_co_u32_e32 v10, vcc, v1, v10
	v_not_b32_e32 v17, v15
	v_not_b32_e32 v16, v14
	v_addc_co_u32_e32 v11, vcc, v12, v11, vcc
	global_load_ushort v13, v[10:11], off
	v_lshlrev_b64 v[10:11], 1, v[16:17]
	v_add_co_u32_e32 v10, vcc, v8, v10
	v_addc_co_u32_e32 v11, vcc, v9, v11, vcc
	global_load_ushort v10, v[10:11], off
	v_add_co_u32_e32 v11, vcc, 1, v14
	v_addc_co_u32_e32 v16, vcc, 0, v15, vcc
	s_waitcnt vmcnt(0)
	v_cmp_lt_f16_e32 vcc, v10, v13
	v_cndmask_b32_e32 v7, v7, v15, vcc
	v_cndmask_b32_e32 v6, v6, v14, vcc
	v_cndmask_b32_e32 v5, v16, v5, vcc
	v_cndmask_b32_e32 v4, v11, v4, vcc
	v_cmp_ge_u64_e32 vcc, v[4:5], v[6:7]
	s_or_b64 s[2:3], vcc, s[2:3]
	s_andn2_b64 exec, exec, s[2:3]
	s_cbranch_execnz .LBB2153_3
; %bb.4:
	s_or_b64 exec, exec, s[2:3]
.LBB2153_5:
	s_or_b64 exec, exec, s[0:1]
	v_add_co_u32_e32 v2, vcc, v4, v2
	v_mov_b32_e32 v1, 0
	v_addc_co_u32_e32 v3, vcc, v5, v3, vcc
	v_lshlrev_b64 v[0:1], 3, v[0:1]
	v_mov_b32_e32 v4, s7
	v_add_co_u32_e32 v0, vcc, s6, v0
	v_addc_co_u32_e32 v1, vcc, v4, v1, vcc
	global_store_dwordx2 v[0:1], v[2:3], off
.LBB2153_6:
	s_endpgm
	.section	.rodata,"a",@progbits
	.p2align	6, 0x0
	.amdhsa_kernel _ZN7rocprim17ROCPRIM_400000_NS6detail17trampoline_kernelINS0_14default_configENS1_38merge_sort_block_merge_config_selectorIN3c104HalfElEEZZNS1_27merge_sort_block_merge_implIS3_PS6_N6thrust23THRUST_200600_302600_NS10device_ptrIlEEmNSB_4lessIS6_EEEE10hipError_tT0_T1_T2_jT3_P12ihipStream_tbPNSt15iterator_traitsISH_E10value_typeEPNSN_ISI_E10value_typeEPSJ_NS1_7vsmem_tEENKUlT_SH_SI_SJ_E_clIS9_S9_SD_PlEESG_SW_SH_SI_SJ_EUlSW_E_NS1_11comp_targetILNS1_3genE4ELNS1_11target_archE910ELNS1_3gpuE8ELNS1_3repE0EEENS1_48merge_mergepath_partition_config_static_selectorELNS0_4arch9wavefront6targetE1EEEvSI_
		.amdhsa_group_segment_fixed_size 0
		.amdhsa_private_segment_fixed_size 0
		.amdhsa_kernarg_size 48
		.amdhsa_user_sgpr_count 6
		.amdhsa_user_sgpr_private_segment_buffer 1
		.amdhsa_user_sgpr_dispatch_ptr 0
		.amdhsa_user_sgpr_queue_ptr 0
		.amdhsa_user_sgpr_kernarg_segment_ptr 1
		.amdhsa_user_sgpr_dispatch_id 0
		.amdhsa_user_sgpr_flat_scratch_init 0
		.amdhsa_user_sgpr_kernarg_preload_length 0
		.amdhsa_user_sgpr_kernarg_preload_offset 0
		.amdhsa_user_sgpr_private_segment_size 0
		.amdhsa_uses_dynamic_stack 0
		.amdhsa_system_sgpr_private_segment_wavefront_offset 0
		.amdhsa_system_sgpr_workgroup_id_x 1
		.amdhsa_system_sgpr_workgroup_id_y 0
		.amdhsa_system_sgpr_workgroup_id_z 0
		.amdhsa_system_sgpr_workgroup_info 0
		.amdhsa_system_vgpr_workitem_id 0
		.amdhsa_next_free_vgpr 18
		.amdhsa_next_free_sgpr 8
		.amdhsa_accum_offset 20
		.amdhsa_reserve_vcc 1
		.amdhsa_reserve_flat_scratch 0
		.amdhsa_float_round_mode_32 0
		.amdhsa_float_round_mode_16_64 0
		.amdhsa_float_denorm_mode_32 3
		.amdhsa_float_denorm_mode_16_64 3
		.amdhsa_dx10_clamp 1
		.amdhsa_ieee_mode 1
		.amdhsa_fp16_overflow 0
		.amdhsa_tg_split 0
		.amdhsa_exception_fp_ieee_invalid_op 0
		.amdhsa_exception_fp_denorm_src 0
		.amdhsa_exception_fp_ieee_div_zero 0
		.amdhsa_exception_fp_ieee_overflow 0
		.amdhsa_exception_fp_ieee_underflow 0
		.amdhsa_exception_fp_ieee_inexact 0
		.amdhsa_exception_int_div_zero 0
	.end_amdhsa_kernel
	.section	.text._ZN7rocprim17ROCPRIM_400000_NS6detail17trampoline_kernelINS0_14default_configENS1_38merge_sort_block_merge_config_selectorIN3c104HalfElEEZZNS1_27merge_sort_block_merge_implIS3_PS6_N6thrust23THRUST_200600_302600_NS10device_ptrIlEEmNSB_4lessIS6_EEEE10hipError_tT0_T1_T2_jT3_P12ihipStream_tbPNSt15iterator_traitsISH_E10value_typeEPNSN_ISI_E10value_typeEPSJ_NS1_7vsmem_tEENKUlT_SH_SI_SJ_E_clIS9_S9_SD_PlEESG_SW_SH_SI_SJ_EUlSW_E_NS1_11comp_targetILNS1_3genE4ELNS1_11target_archE910ELNS1_3gpuE8ELNS1_3repE0EEENS1_48merge_mergepath_partition_config_static_selectorELNS0_4arch9wavefront6targetE1EEEvSI_,"axG",@progbits,_ZN7rocprim17ROCPRIM_400000_NS6detail17trampoline_kernelINS0_14default_configENS1_38merge_sort_block_merge_config_selectorIN3c104HalfElEEZZNS1_27merge_sort_block_merge_implIS3_PS6_N6thrust23THRUST_200600_302600_NS10device_ptrIlEEmNSB_4lessIS6_EEEE10hipError_tT0_T1_T2_jT3_P12ihipStream_tbPNSt15iterator_traitsISH_E10value_typeEPNSN_ISI_E10value_typeEPSJ_NS1_7vsmem_tEENKUlT_SH_SI_SJ_E_clIS9_S9_SD_PlEESG_SW_SH_SI_SJ_EUlSW_E_NS1_11comp_targetILNS1_3genE4ELNS1_11target_archE910ELNS1_3gpuE8ELNS1_3repE0EEENS1_48merge_mergepath_partition_config_static_selectorELNS0_4arch9wavefront6targetE1EEEvSI_,comdat
.Lfunc_end2153:
	.size	_ZN7rocprim17ROCPRIM_400000_NS6detail17trampoline_kernelINS0_14default_configENS1_38merge_sort_block_merge_config_selectorIN3c104HalfElEEZZNS1_27merge_sort_block_merge_implIS3_PS6_N6thrust23THRUST_200600_302600_NS10device_ptrIlEEmNSB_4lessIS6_EEEE10hipError_tT0_T1_T2_jT3_P12ihipStream_tbPNSt15iterator_traitsISH_E10value_typeEPNSN_ISI_E10value_typeEPSJ_NS1_7vsmem_tEENKUlT_SH_SI_SJ_E_clIS9_S9_SD_PlEESG_SW_SH_SI_SJ_EUlSW_E_NS1_11comp_targetILNS1_3genE4ELNS1_11target_archE910ELNS1_3gpuE8ELNS1_3repE0EEENS1_48merge_mergepath_partition_config_static_selectorELNS0_4arch9wavefront6targetE1EEEvSI_, .Lfunc_end2153-_ZN7rocprim17ROCPRIM_400000_NS6detail17trampoline_kernelINS0_14default_configENS1_38merge_sort_block_merge_config_selectorIN3c104HalfElEEZZNS1_27merge_sort_block_merge_implIS3_PS6_N6thrust23THRUST_200600_302600_NS10device_ptrIlEEmNSB_4lessIS6_EEEE10hipError_tT0_T1_T2_jT3_P12ihipStream_tbPNSt15iterator_traitsISH_E10value_typeEPNSN_ISI_E10value_typeEPSJ_NS1_7vsmem_tEENKUlT_SH_SI_SJ_E_clIS9_S9_SD_PlEESG_SW_SH_SI_SJ_EUlSW_E_NS1_11comp_targetILNS1_3genE4ELNS1_11target_archE910ELNS1_3gpuE8ELNS1_3repE0EEENS1_48merge_mergepath_partition_config_static_selectorELNS0_4arch9wavefront6targetE1EEEvSI_
                                        ; -- End function
	.section	.AMDGPU.csdata,"",@progbits
; Kernel info:
; codeLenInByte = 496
; NumSgprs: 12
; NumVgprs: 18
; NumAgprs: 0
; TotalNumVgprs: 18
; ScratchSize: 0
; MemoryBound: 0
; FloatMode: 240
; IeeeMode: 1
; LDSByteSize: 0 bytes/workgroup (compile time only)
; SGPRBlocks: 1
; VGPRBlocks: 2
; NumSGPRsForWavesPerEU: 12
; NumVGPRsForWavesPerEU: 18
; AccumOffset: 20
; Occupancy: 8
; WaveLimiterHint : 0
; COMPUTE_PGM_RSRC2:SCRATCH_EN: 0
; COMPUTE_PGM_RSRC2:USER_SGPR: 6
; COMPUTE_PGM_RSRC2:TRAP_HANDLER: 0
; COMPUTE_PGM_RSRC2:TGID_X_EN: 1
; COMPUTE_PGM_RSRC2:TGID_Y_EN: 0
; COMPUTE_PGM_RSRC2:TGID_Z_EN: 0
; COMPUTE_PGM_RSRC2:TIDIG_COMP_CNT: 0
; COMPUTE_PGM_RSRC3_GFX90A:ACCUM_OFFSET: 4
; COMPUTE_PGM_RSRC3_GFX90A:TG_SPLIT: 0
	.section	.text._ZN7rocprim17ROCPRIM_400000_NS6detail17trampoline_kernelINS0_14default_configENS1_38merge_sort_block_merge_config_selectorIN3c104HalfElEEZZNS1_27merge_sort_block_merge_implIS3_PS6_N6thrust23THRUST_200600_302600_NS10device_ptrIlEEmNSB_4lessIS6_EEEE10hipError_tT0_T1_T2_jT3_P12ihipStream_tbPNSt15iterator_traitsISH_E10value_typeEPNSN_ISI_E10value_typeEPSJ_NS1_7vsmem_tEENKUlT_SH_SI_SJ_E_clIS9_S9_SD_PlEESG_SW_SH_SI_SJ_EUlSW_E_NS1_11comp_targetILNS1_3genE3ELNS1_11target_archE908ELNS1_3gpuE7ELNS1_3repE0EEENS1_48merge_mergepath_partition_config_static_selectorELNS0_4arch9wavefront6targetE1EEEvSI_,"axG",@progbits,_ZN7rocprim17ROCPRIM_400000_NS6detail17trampoline_kernelINS0_14default_configENS1_38merge_sort_block_merge_config_selectorIN3c104HalfElEEZZNS1_27merge_sort_block_merge_implIS3_PS6_N6thrust23THRUST_200600_302600_NS10device_ptrIlEEmNSB_4lessIS6_EEEE10hipError_tT0_T1_T2_jT3_P12ihipStream_tbPNSt15iterator_traitsISH_E10value_typeEPNSN_ISI_E10value_typeEPSJ_NS1_7vsmem_tEENKUlT_SH_SI_SJ_E_clIS9_S9_SD_PlEESG_SW_SH_SI_SJ_EUlSW_E_NS1_11comp_targetILNS1_3genE3ELNS1_11target_archE908ELNS1_3gpuE7ELNS1_3repE0EEENS1_48merge_mergepath_partition_config_static_selectorELNS0_4arch9wavefront6targetE1EEEvSI_,comdat
	.protected	_ZN7rocprim17ROCPRIM_400000_NS6detail17trampoline_kernelINS0_14default_configENS1_38merge_sort_block_merge_config_selectorIN3c104HalfElEEZZNS1_27merge_sort_block_merge_implIS3_PS6_N6thrust23THRUST_200600_302600_NS10device_ptrIlEEmNSB_4lessIS6_EEEE10hipError_tT0_T1_T2_jT3_P12ihipStream_tbPNSt15iterator_traitsISH_E10value_typeEPNSN_ISI_E10value_typeEPSJ_NS1_7vsmem_tEENKUlT_SH_SI_SJ_E_clIS9_S9_SD_PlEESG_SW_SH_SI_SJ_EUlSW_E_NS1_11comp_targetILNS1_3genE3ELNS1_11target_archE908ELNS1_3gpuE7ELNS1_3repE0EEENS1_48merge_mergepath_partition_config_static_selectorELNS0_4arch9wavefront6targetE1EEEvSI_ ; -- Begin function _ZN7rocprim17ROCPRIM_400000_NS6detail17trampoline_kernelINS0_14default_configENS1_38merge_sort_block_merge_config_selectorIN3c104HalfElEEZZNS1_27merge_sort_block_merge_implIS3_PS6_N6thrust23THRUST_200600_302600_NS10device_ptrIlEEmNSB_4lessIS6_EEEE10hipError_tT0_T1_T2_jT3_P12ihipStream_tbPNSt15iterator_traitsISH_E10value_typeEPNSN_ISI_E10value_typeEPSJ_NS1_7vsmem_tEENKUlT_SH_SI_SJ_E_clIS9_S9_SD_PlEESG_SW_SH_SI_SJ_EUlSW_E_NS1_11comp_targetILNS1_3genE3ELNS1_11target_archE908ELNS1_3gpuE7ELNS1_3repE0EEENS1_48merge_mergepath_partition_config_static_selectorELNS0_4arch9wavefront6targetE1EEEvSI_
	.globl	_ZN7rocprim17ROCPRIM_400000_NS6detail17trampoline_kernelINS0_14default_configENS1_38merge_sort_block_merge_config_selectorIN3c104HalfElEEZZNS1_27merge_sort_block_merge_implIS3_PS6_N6thrust23THRUST_200600_302600_NS10device_ptrIlEEmNSB_4lessIS6_EEEE10hipError_tT0_T1_T2_jT3_P12ihipStream_tbPNSt15iterator_traitsISH_E10value_typeEPNSN_ISI_E10value_typeEPSJ_NS1_7vsmem_tEENKUlT_SH_SI_SJ_E_clIS9_S9_SD_PlEESG_SW_SH_SI_SJ_EUlSW_E_NS1_11comp_targetILNS1_3genE3ELNS1_11target_archE908ELNS1_3gpuE7ELNS1_3repE0EEENS1_48merge_mergepath_partition_config_static_selectorELNS0_4arch9wavefront6targetE1EEEvSI_
	.p2align	8
	.type	_ZN7rocprim17ROCPRIM_400000_NS6detail17trampoline_kernelINS0_14default_configENS1_38merge_sort_block_merge_config_selectorIN3c104HalfElEEZZNS1_27merge_sort_block_merge_implIS3_PS6_N6thrust23THRUST_200600_302600_NS10device_ptrIlEEmNSB_4lessIS6_EEEE10hipError_tT0_T1_T2_jT3_P12ihipStream_tbPNSt15iterator_traitsISH_E10value_typeEPNSN_ISI_E10value_typeEPSJ_NS1_7vsmem_tEENKUlT_SH_SI_SJ_E_clIS9_S9_SD_PlEESG_SW_SH_SI_SJ_EUlSW_E_NS1_11comp_targetILNS1_3genE3ELNS1_11target_archE908ELNS1_3gpuE7ELNS1_3repE0EEENS1_48merge_mergepath_partition_config_static_selectorELNS0_4arch9wavefront6targetE1EEEvSI_,@function
_ZN7rocprim17ROCPRIM_400000_NS6detail17trampoline_kernelINS0_14default_configENS1_38merge_sort_block_merge_config_selectorIN3c104HalfElEEZZNS1_27merge_sort_block_merge_implIS3_PS6_N6thrust23THRUST_200600_302600_NS10device_ptrIlEEmNSB_4lessIS6_EEEE10hipError_tT0_T1_T2_jT3_P12ihipStream_tbPNSt15iterator_traitsISH_E10value_typeEPNSN_ISI_E10value_typeEPSJ_NS1_7vsmem_tEENKUlT_SH_SI_SJ_E_clIS9_S9_SD_PlEESG_SW_SH_SI_SJ_EUlSW_E_NS1_11comp_targetILNS1_3genE3ELNS1_11target_archE908ELNS1_3gpuE7ELNS1_3repE0EEENS1_48merge_mergepath_partition_config_static_selectorELNS0_4arch9wavefront6targetE1EEEvSI_: ; @_ZN7rocprim17ROCPRIM_400000_NS6detail17trampoline_kernelINS0_14default_configENS1_38merge_sort_block_merge_config_selectorIN3c104HalfElEEZZNS1_27merge_sort_block_merge_implIS3_PS6_N6thrust23THRUST_200600_302600_NS10device_ptrIlEEmNSB_4lessIS6_EEEE10hipError_tT0_T1_T2_jT3_P12ihipStream_tbPNSt15iterator_traitsISH_E10value_typeEPNSN_ISI_E10value_typeEPSJ_NS1_7vsmem_tEENKUlT_SH_SI_SJ_E_clIS9_S9_SD_PlEESG_SW_SH_SI_SJ_EUlSW_E_NS1_11comp_targetILNS1_3genE3ELNS1_11target_archE908ELNS1_3gpuE7ELNS1_3repE0EEENS1_48merge_mergepath_partition_config_static_selectorELNS0_4arch9wavefront6targetE1EEEvSI_
; %bb.0:
	.section	.rodata,"a",@progbits
	.p2align	6, 0x0
	.amdhsa_kernel _ZN7rocprim17ROCPRIM_400000_NS6detail17trampoline_kernelINS0_14default_configENS1_38merge_sort_block_merge_config_selectorIN3c104HalfElEEZZNS1_27merge_sort_block_merge_implIS3_PS6_N6thrust23THRUST_200600_302600_NS10device_ptrIlEEmNSB_4lessIS6_EEEE10hipError_tT0_T1_T2_jT3_P12ihipStream_tbPNSt15iterator_traitsISH_E10value_typeEPNSN_ISI_E10value_typeEPSJ_NS1_7vsmem_tEENKUlT_SH_SI_SJ_E_clIS9_S9_SD_PlEESG_SW_SH_SI_SJ_EUlSW_E_NS1_11comp_targetILNS1_3genE3ELNS1_11target_archE908ELNS1_3gpuE7ELNS1_3repE0EEENS1_48merge_mergepath_partition_config_static_selectorELNS0_4arch9wavefront6targetE1EEEvSI_
		.amdhsa_group_segment_fixed_size 0
		.amdhsa_private_segment_fixed_size 0
		.amdhsa_kernarg_size 48
		.amdhsa_user_sgpr_count 6
		.amdhsa_user_sgpr_private_segment_buffer 1
		.amdhsa_user_sgpr_dispatch_ptr 0
		.amdhsa_user_sgpr_queue_ptr 0
		.amdhsa_user_sgpr_kernarg_segment_ptr 1
		.amdhsa_user_sgpr_dispatch_id 0
		.amdhsa_user_sgpr_flat_scratch_init 0
		.amdhsa_user_sgpr_kernarg_preload_length 0
		.amdhsa_user_sgpr_kernarg_preload_offset 0
		.amdhsa_user_sgpr_private_segment_size 0
		.amdhsa_uses_dynamic_stack 0
		.amdhsa_system_sgpr_private_segment_wavefront_offset 0
		.amdhsa_system_sgpr_workgroup_id_x 1
		.amdhsa_system_sgpr_workgroup_id_y 0
		.amdhsa_system_sgpr_workgroup_id_z 0
		.amdhsa_system_sgpr_workgroup_info 0
		.amdhsa_system_vgpr_workitem_id 0
		.amdhsa_next_free_vgpr 1
		.amdhsa_next_free_sgpr 0
		.amdhsa_accum_offset 4
		.amdhsa_reserve_vcc 0
		.amdhsa_reserve_flat_scratch 0
		.amdhsa_float_round_mode_32 0
		.amdhsa_float_round_mode_16_64 0
		.amdhsa_float_denorm_mode_32 3
		.amdhsa_float_denorm_mode_16_64 3
		.amdhsa_dx10_clamp 1
		.amdhsa_ieee_mode 1
		.amdhsa_fp16_overflow 0
		.amdhsa_tg_split 0
		.amdhsa_exception_fp_ieee_invalid_op 0
		.amdhsa_exception_fp_denorm_src 0
		.amdhsa_exception_fp_ieee_div_zero 0
		.amdhsa_exception_fp_ieee_overflow 0
		.amdhsa_exception_fp_ieee_underflow 0
		.amdhsa_exception_fp_ieee_inexact 0
		.amdhsa_exception_int_div_zero 0
	.end_amdhsa_kernel
	.section	.text._ZN7rocprim17ROCPRIM_400000_NS6detail17trampoline_kernelINS0_14default_configENS1_38merge_sort_block_merge_config_selectorIN3c104HalfElEEZZNS1_27merge_sort_block_merge_implIS3_PS6_N6thrust23THRUST_200600_302600_NS10device_ptrIlEEmNSB_4lessIS6_EEEE10hipError_tT0_T1_T2_jT3_P12ihipStream_tbPNSt15iterator_traitsISH_E10value_typeEPNSN_ISI_E10value_typeEPSJ_NS1_7vsmem_tEENKUlT_SH_SI_SJ_E_clIS9_S9_SD_PlEESG_SW_SH_SI_SJ_EUlSW_E_NS1_11comp_targetILNS1_3genE3ELNS1_11target_archE908ELNS1_3gpuE7ELNS1_3repE0EEENS1_48merge_mergepath_partition_config_static_selectorELNS0_4arch9wavefront6targetE1EEEvSI_,"axG",@progbits,_ZN7rocprim17ROCPRIM_400000_NS6detail17trampoline_kernelINS0_14default_configENS1_38merge_sort_block_merge_config_selectorIN3c104HalfElEEZZNS1_27merge_sort_block_merge_implIS3_PS6_N6thrust23THRUST_200600_302600_NS10device_ptrIlEEmNSB_4lessIS6_EEEE10hipError_tT0_T1_T2_jT3_P12ihipStream_tbPNSt15iterator_traitsISH_E10value_typeEPNSN_ISI_E10value_typeEPSJ_NS1_7vsmem_tEENKUlT_SH_SI_SJ_E_clIS9_S9_SD_PlEESG_SW_SH_SI_SJ_EUlSW_E_NS1_11comp_targetILNS1_3genE3ELNS1_11target_archE908ELNS1_3gpuE7ELNS1_3repE0EEENS1_48merge_mergepath_partition_config_static_selectorELNS0_4arch9wavefront6targetE1EEEvSI_,comdat
.Lfunc_end2154:
	.size	_ZN7rocprim17ROCPRIM_400000_NS6detail17trampoline_kernelINS0_14default_configENS1_38merge_sort_block_merge_config_selectorIN3c104HalfElEEZZNS1_27merge_sort_block_merge_implIS3_PS6_N6thrust23THRUST_200600_302600_NS10device_ptrIlEEmNSB_4lessIS6_EEEE10hipError_tT0_T1_T2_jT3_P12ihipStream_tbPNSt15iterator_traitsISH_E10value_typeEPNSN_ISI_E10value_typeEPSJ_NS1_7vsmem_tEENKUlT_SH_SI_SJ_E_clIS9_S9_SD_PlEESG_SW_SH_SI_SJ_EUlSW_E_NS1_11comp_targetILNS1_3genE3ELNS1_11target_archE908ELNS1_3gpuE7ELNS1_3repE0EEENS1_48merge_mergepath_partition_config_static_selectorELNS0_4arch9wavefront6targetE1EEEvSI_, .Lfunc_end2154-_ZN7rocprim17ROCPRIM_400000_NS6detail17trampoline_kernelINS0_14default_configENS1_38merge_sort_block_merge_config_selectorIN3c104HalfElEEZZNS1_27merge_sort_block_merge_implIS3_PS6_N6thrust23THRUST_200600_302600_NS10device_ptrIlEEmNSB_4lessIS6_EEEE10hipError_tT0_T1_T2_jT3_P12ihipStream_tbPNSt15iterator_traitsISH_E10value_typeEPNSN_ISI_E10value_typeEPSJ_NS1_7vsmem_tEENKUlT_SH_SI_SJ_E_clIS9_S9_SD_PlEESG_SW_SH_SI_SJ_EUlSW_E_NS1_11comp_targetILNS1_3genE3ELNS1_11target_archE908ELNS1_3gpuE7ELNS1_3repE0EEENS1_48merge_mergepath_partition_config_static_selectorELNS0_4arch9wavefront6targetE1EEEvSI_
                                        ; -- End function
	.section	.AMDGPU.csdata,"",@progbits
; Kernel info:
; codeLenInByte = 0
; NumSgprs: 4
; NumVgprs: 0
; NumAgprs: 0
; TotalNumVgprs: 0
; ScratchSize: 0
; MemoryBound: 0
; FloatMode: 240
; IeeeMode: 1
; LDSByteSize: 0 bytes/workgroup (compile time only)
; SGPRBlocks: 0
; VGPRBlocks: 0
; NumSGPRsForWavesPerEU: 4
; NumVGPRsForWavesPerEU: 1
; AccumOffset: 4
; Occupancy: 8
; WaveLimiterHint : 0
; COMPUTE_PGM_RSRC2:SCRATCH_EN: 0
; COMPUTE_PGM_RSRC2:USER_SGPR: 6
; COMPUTE_PGM_RSRC2:TRAP_HANDLER: 0
; COMPUTE_PGM_RSRC2:TGID_X_EN: 1
; COMPUTE_PGM_RSRC2:TGID_Y_EN: 0
; COMPUTE_PGM_RSRC2:TGID_Z_EN: 0
; COMPUTE_PGM_RSRC2:TIDIG_COMP_CNT: 0
; COMPUTE_PGM_RSRC3_GFX90A:ACCUM_OFFSET: 0
; COMPUTE_PGM_RSRC3_GFX90A:TG_SPLIT: 0
	.section	.text._ZN7rocprim17ROCPRIM_400000_NS6detail17trampoline_kernelINS0_14default_configENS1_38merge_sort_block_merge_config_selectorIN3c104HalfElEEZZNS1_27merge_sort_block_merge_implIS3_PS6_N6thrust23THRUST_200600_302600_NS10device_ptrIlEEmNSB_4lessIS6_EEEE10hipError_tT0_T1_T2_jT3_P12ihipStream_tbPNSt15iterator_traitsISH_E10value_typeEPNSN_ISI_E10value_typeEPSJ_NS1_7vsmem_tEENKUlT_SH_SI_SJ_E_clIS9_S9_SD_PlEESG_SW_SH_SI_SJ_EUlSW_E_NS1_11comp_targetILNS1_3genE2ELNS1_11target_archE906ELNS1_3gpuE6ELNS1_3repE0EEENS1_48merge_mergepath_partition_config_static_selectorELNS0_4arch9wavefront6targetE1EEEvSI_,"axG",@progbits,_ZN7rocprim17ROCPRIM_400000_NS6detail17trampoline_kernelINS0_14default_configENS1_38merge_sort_block_merge_config_selectorIN3c104HalfElEEZZNS1_27merge_sort_block_merge_implIS3_PS6_N6thrust23THRUST_200600_302600_NS10device_ptrIlEEmNSB_4lessIS6_EEEE10hipError_tT0_T1_T2_jT3_P12ihipStream_tbPNSt15iterator_traitsISH_E10value_typeEPNSN_ISI_E10value_typeEPSJ_NS1_7vsmem_tEENKUlT_SH_SI_SJ_E_clIS9_S9_SD_PlEESG_SW_SH_SI_SJ_EUlSW_E_NS1_11comp_targetILNS1_3genE2ELNS1_11target_archE906ELNS1_3gpuE6ELNS1_3repE0EEENS1_48merge_mergepath_partition_config_static_selectorELNS0_4arch9wavefront6targetE1EEEvSI_,comdat
	.protected	_ZN7rocprim17ROCPRIM_400000_NS6detail17trampoline_kernelINS0_14default_configENS1_38merge_sort_block_merge_config_selectorIN3c104HalfElEEZZNS1_27merge_sort_block_merge_implIS3_PS6_N6thrust23THRUST_200600_302600_NS10device_ptrIlEEmNSB_4lessIS6_EEEE10hipError_tT0_T1_T2_jT3_P12ihipStream_tbPNSt15iterator_traitsISH_E10value_typeEPNSN_ISI_E10value_typeEPSJ_NS1_7vsmem_tEENKUlT_SH_SI_SJ_E_clIS9_S9_SD_PlEESG_SW_SH_SI_SJ_EUlSW_E_NS1_11comp_targetILNS1_3genE2ELNS1_11target_archE906ELNS1_3gpuE6ELNS1_3repE0EEENS1_48merge_mergepath_partition_config_static_selectorELNS0_4arch9wavefront6targetE1EEEvSI_ ; -- Begin function _ZN7rocprim17ROCPRIM_400000_NS6detail17trampoline_kernelINS0_14default_configENS1_38merge_sort_block_merge_config_selectorIN3c104HalfElEEZZNS1_27merge_sort_block_merge_implIS3_PS6_N6thrust23THRUST_200600_302600_NS10device_ptrIlEEmNSB_4lessIS6_EEEE10hipError_tT0_T1_T2_jT3_P12ihipStream_tbPNSt15iterator_traitsISH_E10value_typeEPNSN_ISI_E10value_typeEPSJ_NS1_7vsmem_tEENKUlT_SH_SI_SJ_E_clIS9_S9_SD_PlEESG_SW_SH_SI_SJ_EUlSW_E_NS1_11comp_targetILNS1_3genE2ELNS1_11target_archE906ELNS1_3gpuE6ELNS1_3repE0EEENS1_48merge_mergepath_partition_config_static_selectorELNS0_4arch9wavefront6targetE1EEEvSI_
	.globl	_ZN7rocprim17ROCPRIM_400000_NS6detail17trampoline_kernelINS0_14default_configENS1_38merge_sort_block_merge_config_selectorIN3c104HalfElEEZZNS1_27merge_sort_block_merge_implIS3_PS6_N6thrust23THRUST_200600_302600_NS10device_ptrIlEEmNSB_4lessIS6_EEEE10hipError_tT0_T1_T2_jT3_P12ihipStream_tbPNSt15iterator_traitsISH_E10value_typeEPNSN_ISI_E10value_typeEPSJ_NS1_7vsmem_tEENKUlT_SH_SI_SJ_E_clIS9_S9_SD_PlEESG_SW_SH_SI_SJ_EUlSW_E_NS1_11comp_targetILNS1_3genE2ELNS1_11target_archE906ELNS1_3gpuE6ELNS1_3repE0EEENS1_48merge_mergepath_partition_config_static_selectorELNS0_4arch9wavefront6targetE1EEEvSI_
	.p2align	8
	.type	_ZN7rocprim17ROCPRIM_400000_NS6detail17trampoline_kernelINS0_14default_configENS1_38merge_sort_block_merge_config_selectorIN3c104HalfElEEZZNS1_27merge_sort_block_merge_implIS3_PS6_N6thrust23THRUST_200600_302600_NS10device_ptrIlEEmNSB_4lessIS6_EEEE10hipError_tT0_T1_T2_jT3_P12ihipStream_tbPNSt15iterator_traitsISH_E10value_typeEPNSN_ISI_E10value_typeEPSJ_NS1_7vsmem_tEENKUlT_SH_SI_SJ_E_clIS9_S9_SD_PlEESG_SW_SH_SI_SJ_EUlSW_E_NS1_11comp_targetILNS1_3genE2ELNS1_11target_archE906ELNS1_3gpuE6ELNS1_3repE0EEENS1_48merge_mergepath_partition_config_static_selectorELNS0_4arch9wavefront6targetE1EEEvSI_,@function
_ZN7rocprim17ROCPRIM_400000_NS6detail17trampoline_kernelINS0_14default_configENS1_38merge_sort_block_merge_config_selectorIN3c104HalfElEEZZNS1_27merge_sort_block_merge_implIS3_PS6_N6thrust23THRUST_200600_302600_NS10device_ptrIlEEmNSB_4lessIS6_EEEE10hipError_tT0_T1_T2_jT3_P12ihipStream_tbPNSt15iterator_traitsISH_E10value_typeEPNSN_ISI_E10value_typeEPSJ_NS1_7vsmem_tEENKUlT_SH_SI_SJ_E_clIS9_S9_SD_PlEESG_SW_SH_SI_SJ_EUlSW_E_NS1_11comp_targetILNS1_3genE2ELNS1_11target_archE906ELNS1_3gpuE6ELNS1_3repE0EEENS1_48merge_mergepath_partition_config_static_selectorELNS0_4arch9wavefront6targetE1EEEvSI_: ; @_ZN7rocprim17ROCPRIM_400000_NS6detail17trampoline_kernelINS0_14default_configENS1_38merge_sort_block_merge_config_selectorIN3c104HalfElEEZZNS1_27merge_sort_block_merge_implIS3_PS6_N6thrust23THRUST_200600_302600_NS10device_ptrIlEEmNSB_4lessIS6_EEEE10hipError_tT0_T1_T2_jT3_P12ihipStream_tbPNSt15iterator_traitsISH_E10value_typeEPNSN_ISI_E10value_typeEPSJ_NS1_7vsmem_tEENKUlT_SH_SI_SJ_E_clIS9_S9_SD_PlEESG_SW_SH_SI_SJ_EUlSW_E_NS1_11comp_targetILNS1_3genE2ELNS1_11target_archE906ELNS1_3gpuE6ELNS1_3repE0EEENS1_48merge_mergepath_partition_config_static_selectorELNS0_4arch9wavefront6targetE1EEEvSI_
; %bb.0:
	.section	.rodata,"a",@progbits
	.p2align	6, 0x0
	.amdhsa_kernel _ZN7rocprim17ROCPRIM_400000_NS6detail17trampoline_kernelINS0_14default_configENS1_38merge_sort_block_merge_config_selectorIN3c104HalfElEEZZNS1_27merge_sort_block_merge_implIS3_PS6_N6thrust23THRUST_200600_302600_NS10device_ptrIlEEmNSB_4lessIS6_EEEE10hipError_tT0_T1_T2_jT3_P12ihipStream_tbPNSt15iterator_traitsISH_E10value_typeEPNSN_ISI_E10value_typeEPSJ_NS1_7vsmem_tEENKUlT_SH_SI_SJ_E_clIS9_S9_SD_PlEESG_SW_SH_SI_SJ_EUlSW_E_NS1_11comp_targetILNS1_3genE2ELNS1_11target_archE906ELNS1_3gpuE6ELNS1_3repE0EEENS1_48merge_mergepath_partition_config_static_selectorELNS0_4arch9wavefront6targetE1EEEvSI_
		.amdhsa_group_segment_fixed_size 0
		.amdhsa_private_segment_fixed_size 0
		.amdhsa_kernarg_size 48
		.amdhsa_user_sgpr_count 6
		.amdhsa_user_sgpr_private_segment_buffer 1
		.amdhsa_user_sgpr_dispatch_ptr 0
		.amdhsa_user_sgpr_queue_ptr 0
		.amdhsa_user_sgpr_kernarg_segment_ptr 1
		.amdhsa_user_sgpr_dispatch_id 0
		.amdhsa_user_sgpr_flat_scratch_init 0
		.amdhsa_user_sgpr_kernarg_preload_length 0
		.amdhsa_user_sgpr_kernarg_preload_offset 0
		.amdhsa_user_sgpr_private_segment_size 0
		.amdhsa_uses_dynamic_stack 0
		.amdhsa_system_sgpr_private_segment_wavefront_offset 0
		.amdhsa_system_sgpr_workgroup_id_x 1
		.amdhsa_system_sgpr_workgroup_id_y 0
		.amdhsa_system_sgpr_workgroup_id_z 0
		.amdhsa_system_sgpr_workgroup_info 0
		.amdhsa_system_vgpr_workitem_id 0
		.amdhsa_next_free_vgpr 1
		.amdhsa_next_free_sgpr 0
		.amdhsa_accum_offset 4
		.amdhsa_reserve_vcc 0
		.amdhsa_reserve_flat_scratch 0
		.amdhsa_float_round_mode_32 0
		.amdhsa_float_round_mode_16_64 0
		.amdhsa_float_denorm_mode_32 3
		.amdhsa_float_denorm_mode_16_64 3
		.amdhsa_dx10_clamp 1
		.amdhsa_ieee_mode 1
		.amdhsa_fp16_overflow 0
		.amdhsa_tg_split 0
		.amdhsa_exception_fp_ieee_invalid_op 0
		.amdhsa_exception_fp_denorm_src 0
		.amdhsa_exception_fp_ieee_div_zero 0
		.amdhsa_exception_fp_ieee_overflow 0
		.amdhsa_exception_fp_ieee_underflow 0
		.amdhsa_exception_fp_ieee_inexact 0
		.amdhsa_exception_int_div_zero 0
	.end_amdhsa_kernel
	.section	.text._ZN7rocprim17ROCPRIM_400000_NS6detail17trampoline_kernelINS0_14default_configENS1_38merge_sort_block_merge_config_selectorIN3c104HalfElEEZZNS1_27merge_sort_block_merge_implIS3_PS6_N6thrust23THRUST_200600_302600_NS10device_ptrIlEEmNSB_4lessIS6_EEEE10hipError_tT0_T1_T2_jT3_P12ihipStream_tbPNSt15iterator_traitsISH_E10value_typeEPNSN_ISI_E10value_typeEPSJ_NS1_7vsmem_tEENKUlT_SH_SI_SJ_E_clIS9_S9_SD_PlEESG_SW_SH_SI_SJ_EUlSW_E_NS1_11comp_targetILNS1_3genE2ELNS1_11target_archE906ELNS1_3gpuE6ELNS1_3repE0EEENS1_48merge_mergepath_partition_config_static_selectorELNS0_4arch9wavefront6targetE1EEEvSI_,"axG",@progbits,_ZN7rocprim17ROCPRIM_400000_NS6detail17trampoline_kernelINS0_14default_configENS1_38merge_sort_block_merge_config_selectorIN3c104HalfElEEZZNS1_27merge_sort_block_merge_implIS3_PS6_N6thrust23THRUST_200600_302600_NS10device_ptrIlEEmNSB_4lessIS6_EEEE10hipError_tT0_T1_T2_jT3_P12ihipStream_tbPNSt15iterator_traitsISH_E10value_typeEPNSN_ISI_E10value_typeEPSJ_NS1_7vsmem_tEENKUlT_SH_SI_SJ_E_clIS9_S9_SD_PlEESG_SW_SH_SI_SJ_EUlSW_E_NS1_11comp_targetILNS1_3genE2ELNS1_11target_archE906ELNS1_3gpuE6ELNS1_3repE0EEENS1_48merge_mergepath_partition_config_static_selectorELNS0_4arch9wavefront6targetE1EEEvSI_,comdat
.Lfunc_end2155:
	.size	_ZN7rocprim17ROCPRIM_400000_NS6detail17trampoline_kernelINS0_14default_configENS1_38merge_sort_block_merge_config_selectorIN3c104HalfElEEZZNS1_27merge_sort_block_merge_implIS3_PS6_N6thrust23THRUST_200600_302600_NS10device_ptrIlEEmNSB_4lessIS6_EEEE10hipError_tT0_T1_T2_jT3_P12ihipStream_tbPNSt15iterator_traitsISH_E10value_typeEPNSN_ISI_E10value_typeEPSJ_NS1_7vsmem_tEENKUlT_SH_SI_SJ_E_clIS9_S9_SD_PlEESG_SW_SH_SI_SJ_EUlSW_E_NS1_11comp_targetILNS1_3genE2ELNS1_11target_archE906ELNS1_3gpuE6ELNS1_3repE0EEENS1_48merge_mergepath_partition_config_static_selectorELNS0_4arch9wavefront6targetE1EEEvSI_, .Lfunc_end2155-_ZN7rocprim17ROCPRIM_400000_NS6detail17trampoline_kernelINS0_14default_configENS1_38merge_sort_block_merge_config_selectorIN3c104HalfElEEZZNS1_27merge_sort_block_merge_implIS3_PS6_N6thrust23THRUST_200600_302600_NS10device_ptrIlEEmNSB_4lessIS6_EEEE10hipError_tT0_T1_T2_jT3_P12ihipStream_tbPNSt15iterator_traitsISH_E10value_typeEPNSN_ISI_E10value_typeEPSJ_NS1_7vsmem_tEENKUlT_SH_SI_SJ_E_clIS9_S9_SD_PlEESG_SW_SH_SI_SJ_EUlSW_E_NS1_11comp_targetILNS1_3genE2ELNS1_11target_archE906ELNS1_3gpuE6ELNS1_3repE0EEENS1_48merge_mergepath_partition_config_static_selectorELNS0_4arch9wavefront6targetE1EEEvSI_
                                        ; -- End function
	.section	.AMDGPU.csdata,"",@progbits
; Kernel info:
; codeLenInByte = 0
; NumSgprs: 4
; NumVgprs: 0
; NumAgprs: 0
; TotalNumVgprs: 0
; ScratchSize: 0
; MemoryBound: 0
; FloatMode: 240
; IeeeMode: 1
; LDSByteSize: 0 bytes/workgroup (compile time only)
; SGPRBlocks: 0
; VGPRBlocks: 0
; NumSGPRsForWavesPerEU: 4
; NumVGPRsForWavesPerEU: 1
; AccumOffset: 4
; Occupancy: 8
; WaveLimiterHint : 0
; COMPUTE_PGM_RSRC2:SCRATCH_EN: 0
; COMPUTE_PGM_RSRC2:USER_SGPR: 6
; COMPUTE_PGM_RSRC2:TRAP_HANDLER: 0
; COMPUTE_PGM_RSRC2:TGID_X_EN: 1
; COMPUTE_PGM_RSRC2:TGID_Y_EN: 0
; COMPUTE_PGM_RSRC2:TGID_Z_EN: 0
; COMPUTE_PGM_RSRC2:TIDIG_COMP_CNT: 0
; COMPUTE_PGM_RSRC3_GFX90A:ACCUM_OFFSET: 0
; COMPUTE_PGM_RSRC3_GFX90A:TG_SPLIT: 0
	.section	.text._ZN7rocprim17ROCPRIM_400000_NS6detail17trampoline_kernelINS0_14default_configENS1_38merge_sort_block_merge_config_selectorIN3c104HalfElEEZZNS1_27merge_sort_block_merge_implIS3_PS6_N6thrust23THRUST_200600_302600_NS10device_ptrIlEEmNSB_4lessIS6_EEEE10hipError_tT0_T1_T2_jT3_P12ihipStream_tbPNSt15iterator_traitsISH_E10value_typeEPNSN_ISI_E10value_typeEPSJ_NS1_7vsmem_tEENKUlT_SH_SI_SJ_E_clIS9_S9_SD_PlEESG_SW_SH_SI_SJ_EUlSW_E_NS1_11comp_targetILNS1_3genE9ELNS1_11target_archE1100ELNS1_3gpuE3ELNS1_3repE0EEENS1_48merge_mergepath_partition_config_static_selectorELNS0_4arch9wavefront6targetE1EEEvSI_,"axG",@progbits,_ZN7rocprim17ROCPRIM_400000_NS6detail17trampoline_kernelINS0_14default_configENS1_38merge_sort_block_merge_config_selectorIN3c104HalfElEEZZNS1_27merge_sort_block_merge_implIS3_PS6_N6thrust23THRUST_200600_302600_NS10device_ptrIlEEmNSB_4lessIS6_EEEE10hipError_tT0_T1_T2_jT3_P12ihipStream_tbPNSt15iterator_traitsISH_E10value_typeEPNSN_ISI_E10value_typeEPSJ_NS1_7vsmem_tEENKUlT_SH_SI_SJ_E_clIS9_S9_SD_PlEESG_SW_SH_SI_SJ_EUlSW_E_NS1_11comp_targetILNS1_3genE9ELNS1_11target_archE1100ELNS1_3gpuE3ELNS1_3repE0EEENS1_48merge_mergepath_partition_config_static_selectorELNS0_4arch9wavefront6targetE1EEEvSI_,comdat
	.protected	_ZN7rocprim17ROCPRIM_400000_NS6detail17trampoline_kernelINS0_14default_configENS1_38merge_sort_block_merge_config_selectorIN3c104HalfElEEZZNS1_27merge_sort_block_merge_implIS3_PS6_N6thrust23THRUST_200600_302600_NS10device_ptrIlEEmNSB_4lessIS6_EEEE10hipError_tT0_T1_T2_jT3_P12ihipStream_tbPNSt15iterator_traitsISH_E10value_typeEPNSN_ISI_E10value_typeEPSJ_NS1_7vsmem_tEENKUlT_SH_SI_SJ_E_clIS9_S9_SD_PlEESG_SW_SH_SI_SJ_EUlSW_E_NS1_11comp_targetILNS1_3genE9ELNS1_11target_archE1100ELNS1_3gpuE3ELNS1_3repE0EEENS1_48merge_mergepath_partition_config_static_selectorELNS0_4arch9wavefront6targetE1EEEvSI_ ; -- Begin function _ZN7rocprim17ROCPRIM_400000_NS6detail17trampoline_kernelINS0_14default_configENS1_38merge_sort_block_merge_config_selectorIN3c104HalfElEEZZNS1_27merge_sort_block_merge_implIS3_PS6_N6thrust23THRUST_200600_302600_NS10device_ptrIlEEmNSB_4lessIS6_EEEE10hipError_tT0_T1_T2_jT3_P12ihipStream_tbPNSt15iterator_traitsISH_E10value_typeEPNSN_ISI_E10value_typeEPSJ_NS1_7vsmem_tEENKUlT_SH_SI_SJ_E_clIS9_S9_SD_PlEESG_SW_SH_SI_SJ_EUlSW_E_NS1_11comp_targetILNS1_3genE9ELNS1_11target_archE1100ELNS1_3gpuE3ELNS1_3repE0EEENS1_48merge_mergepath_partition_config_static_selectorELNS0_4arch9wavefront6targetE1EEEvSI_
	.globl	_ZN7rocprim17ROCPRIM_400000_NS6detail17trampoline_kernelINS0_14default_configENS1_38merge_sort_block_merge_config_selectorIN3c104HalfElEEZZNS1_27merge_sort_block_merge_implIS3_PS6_N6thrust23THRUST_200600_302600_NS10device_ptrIlEEmNSB_4lessIS6_EEEE10hipError_tT0_T1_T2_jT3_P12ihipStream_tbPNSt15iterator_traitsISH_E10value_typeEPNSN_ISI_E10value_typeEPSJ_NS1_7vsmem_tEENKUlT_SH_SI_SJ_E_clIS9_S9_SD_PlEESG_SW_SH_SI_SJ_EUlSW_E_NS1_11comp_targetILNS1_3genE9ELNS1_11target_archE1100ELNS1_3gpuE3ELNS1_3repE0EEENS1_48merge_mergepath_partition_config_static_selectorELNS0_4arch9wavefront6targetE1EEEvSI_
	.p2align	8
	.type	_ZN7rocprim17ROCPRIM_400000_NS6detail17trampoline_kernelINS0_14default_configENS1_38merge_sort_block_merge_config_selectorIN3c104HalfElEEZZNS1_27merge_sort_block_merge_implIS3_PS6_N6thrust23THRUST_200600_302600_NS10device_ptrIlEEmNSB_4lessIS6_EEEE10hipError_tT0_T1_T2_jT3_P12ihipStream_tbPNSt15iterator_traitsISH_E10value_typeEPNSN_ISI_E10value_typeEPSJ_NS1_7vsmem_tEENKUlT_SH_SI_SJ_E_clIS9_S9_SD_PlEESG_SW_SH_SI_SJ_EUlSW_E_NS1_11comp_targetILNS1_3genE9ELNS1_11target_archE1100ELNS1_3gpuE3ELNS1_3repE0EEENS1_48merge_mergepath_partition_config_static_selectorELNS0_4arch9wavefront6targetE1EEEvSI_,@function
_ZN7rocprim17ROCPRIM_400000_NS6detail17trampoline_kernelINS0_14default_configENS1_38merge_sort_block_merge_config_selectorIN3c104HalfElEEZZNS1_27merge_sort_block_merge_implIS3_PS6_N6thrust23THRUST_200600_302600_NS10device_ptrIlEEmNSB_4lessIS6_EEEE10hipError_tT0_T1_T2_jT3_P12ihipStream_tbPNSt15iterator_traitsISH_E10value_typeEPNSN_ISI_E10value_typeEPSJ_NS1_7vsmem_tEENKUlT_SH_SI_SJ_E_clIS9_S9_SD_PlEESG_SW_SH_SI_SJ_EUlSW_E_NS1_11comp_targetILNS1_3genE9ELNS1_11target_archE1100ELNS1_3gpuE3ELNS1_3repE0EEENS1_48merge_mergepath_partition_config_static_selectorELNS0_4arch9wavefront6targetE1EEEvSI_: ; @_ZN7rocprim17ROCPRIM_400000_NS6detail17trampoline_kernelINS0_14default_configENS1_38merge_sort_block_merge_config_selectorIN3c104HalfElEEZZNS1_27merge_sort_block_merge_implIS3_PS6_N6thrust23THRUST_200600_302600_NS10device_ptrIlEEmNSB_4lessIS6_EEEE10hipError_tT0_T1_T2_jT3_P12ihipStream_tbPNSt15iterator_traitsISH_E10value_typeEPNSN_ISI_E10value_typeEPSJ_NS1_7vsmem_tEENKUlT_SH_SI_SJ_E_clIS9_S9_SD_PlEESG_SW_SH_SI_SJ_EUlSW_E_NS1_11comp_targetILNS1_3genE9ELNS1_11target_archE1100ELNS1_3gpuE3ELNS1_3repE0EEENS1_48merge_mergepath_partition_config_static_selectorELNS0_4arch9wavefront6targetE1EEEvSI_
; %bb.0:
	.section	.rodata,"a",@progbits
	.p2align	6, 0x0
	.amdhsa_kernel _ZN7rocprim17ROCPRIM_400000_NS6detail17trampoline_kernelINS0_14default_configENS1_38merge_sort_block_merge_config_selectorIN3c104HalfElEEZZNS1_27merge_sort_block_merge_implIS3_PS6_N6thrust23THRUST_200600_302600_NS10device_ptrIlEEmNSB_4lessIS6_EEEE10hipError_tT0_T1_T2_jT3_P12ihipStream_tbPNSt15iterator_traitsISH_E10value_typeEPNSN_ISI_E10value_typeEPSJ_NS1_7vsmem_tEENKUlT_SH_SI_SJ_E_clIS9_S9_SD_PlEESG_SW_SH_SI_SJ_EUlSW_E_NS1_11comp_targetILNS1_3genE9ELNS1_11target_archE1100ELNS1_3gpuE3ELNS1_3repE0EEENS1_48merge_mergepath_partition_config_static_selectorELNS0_4arch9wavefront6targetE1EEEvSI_
		.amdhsa_group_segment_fixed_size 0
		.amdhsa_private_segment_fixed_size 0
		.amdhsa_kernarg_size 48
		.amdhsa_user_sgpr_count 6
		.amdhsa_user_sgpr_private_segment_buffer 1
		.amdhsa_user_sgpr_dispatch_ptr 0
		.amdhsa_user_sgpr_queue_ptr 0
		.amdhsa_user_sgpr_kernarg_segment_ptr 1
		.amdhsa_user_sgpr_dispatch_id 0
		.amdhsa_user_sgpr_flat_scratch_init 0
		.amdhsa_user_sgpr_kernarg_preload_length 0
		.amdhsa_user_sgpr_kernarg_preload_offset 0
		.amdhsa_user_sgpr_private_segment_size 0
		.amdhsa_uses_dynamic_stack 0
		.amdhsa_system_sgpr_private_segment_wavefront_offset 0
		.amdhsa_system_sgpr_workgroup_id_x 1
		.amdhsa_system_sgpr_workgroup_id_y 0
		.amdhsa_system_sgpr_workgroup_id_z 0
		.amdhsa_system_sgpr_workgroup_info 0
		.amdhsa_system_vgpr_workitem_id 0
		.amdhsa_next_free_vgpr 1
		.amdhsa_next_free_sgpr 0
		.amdhsa_accum_offset 4
		.amdhsa_reserve_vcc 0
		.amdhsa_reserve_flat_scratch 0
		.amdhsa_float_round_mode_32 0
		.amdhsa_float_round_mode_16_64 0
		.amdhsa_float_denorm_mode_32 3
		.amdhsa_float_denorm_mode_16_64 3
		.amdhsa_dx10_clamp 1
		.amdhsa_ieee_mode 1
		.amdhsa_fp16_overflow 0
		.amdhsa_tg_split 0
		.amdhsa_exception_fp_ieee_invalid_op 0
		.amdhsa_exception_fp_denorm_src 0
		.amdhsa_exception_fp_ieee_div_zero 0
		.amdhsa_exception_fp_ieee_overflow 0
		.amdhsa_exception_fp_ieee_underflow 0
		.amdhsa_exception_fp_ieee_inexact 0
		.amdhsa_exception_int_div_zero 0
	.end_amdhsa_kernel
	.section	.text._ZN7rocprim17ROCPRIM_400000_NS6detail17trampoline_kernelINS0_14default_configENS1_38merge_sort_block_merge_config_selectorIN3c104HalfElEEZZNS1_27merge_sort_block_merge_implIS3_PS6_N6thrust23THRUST_200600_302600_NS10device_ptrIlEEmNSB_4lessIS6_EEEE10hipError_tT0_T1_T2_jT3_P12ihipStream_tbPNSt15iterator_traitsISH_E10value_typeEPNSN_ISI_E10value_typeEPSJ_NS1_7vsmem_tEENKUlT_SH_SI_SJ_E_clIS9_S9_SD_PlEESG_SW_SH_SI_SJ_EUlSW_E_NS1_11comp_targetILNS1_3genE9ELNS1_11target_archE1100ELNS1_3gpuE3ELNS1_3repE0EEENS1_48merge_mergepath_partition_config_static_selectorELNS0_4arch9wavefront6targetE1EEEvSI_,"axG",@progbits,_ZN7rocprim17ROCPRIM_400000_NS6detail17trampoline_kernelINS0_14default_configENS1_38merge_sort_block_merge_config_selectorIN3c104HalfElEEZZNS1_27merge_sort_block_merge_implIS3_PS6_N6thrust23THRUST_200600_302600_NS10device_ptrIlEEmNSB_4lessIS6_EEEE10hipError_tT0_T1_T2_jT3_P12ihipStream_tbPNSt15iterator_traitsISH_E10value_typeEPNSN_ISI_E10value_typeEPSJ_NS1_7vsmem_tEENKUlT_SH_SI_SJ_E_clIS9_S9_SD_PlEESG_SW_SH_SI_SJ_EUlSW_E_NS1_11comp_targetILNS1_3genE9ELNS1_11target_archE1100ELNS1_3gpuE3ELNS1_3repE0EEENS1_48merge_mergepath_partition_config_static_selectorELNS0_4arch9wavefront6targetE1EEEvSI_,comdat
.Lfunc_end2156:
	.size	_ZN7rocprim17ROCPRIM_400000_NS6detail17trampoline_kernelINS0_14default_configENS1_38merge_sort_block_merge_config_selectorIN3c104HalfElEEZZNS1_27merge_sort_block_merge_implIS3_PS6_N6thrust23THRUST_200600_302600_NS10device_ptrIlEEmNSB_4lessIS6_EEEE10hipError_tT0_T1_T2_jT3_P12ihipStream_tbPNSt15iterator_traitsISH_E10value_typeEPNSN_ISI_E10value_typeEPSJ_NS1_7vsmem_tEENKUlT_SH_SI_SJ_E_clIS9_S9_SD_PlEESG_SW_SH_SI_SJ_EUlSW_E_NS1_11comp_targetILNS1_3genE9ELNS1_11target_archE1100ELNS1_3gpuE3ELNS1_3repE0EEENS1_48merge_mergepath_partition_config_static_selectorELNS0_4arch9wavefront6targetE1EEEvSI_, .Lfunc_end2156-_ZN7rocprim17ROCPRIM_400000_NS6detail17trampoline_kernelINS0_14default_configENS1_38merge_sort_block_merge_config_selectorIN3c104HalfElEEZZNS1_27merge_sort_block_merge_implIS3_PS6_N6thrust23THRUST_200600_302600_NS10device_ptrIlEEmNSB_4lessIS6_EEEE10hipError_tT0_T1_T2_jT3_P12ihipStream_tbPNSt15iterator_traitsISH_E10value_typeEPNSN_ISI_E10value_typeEPSJ_NS1_7vsmem_tEENKUlT_SH_SI_SJ_E_clIS9_S9_SD_PlEESG_SW_SH_SI_SJ_EUlSW_E_NS1_11comp_targetILNS1_3genE9ELNS1_11target_archE1100ELNS1_3gpuE3ELNS1_3repE0EEENS1_48merge_mergepath_partition_config_static_selectorELNS0_4arch9wavefront6targetE1EEEvSI_
                                        ; -- End function
	.section	.AMDGPU.csdata,"",@progbits
; Kernel info:
; codeLenInByte = 0
; NumSgprs: 4
; NumVgprs: 0
; NumAgprs: 0
; TotalNumVgprs: 0
; ScratchSize: 0
; MemoryBound: 0
; FloatMode: 240
; IeeeMode: 1
; LDSByteSize: 0 bytes/workgroup (compile time only)
; SGPRBlocks: 0
; VGPRBlocks: 0
; NumSGPRsForWavesPerEU: 4
; NumVGPRsForWavesPerEU: 1
; AccumOffset: 4
; Occupancy: 8
; WaveLimiterHint : 0
; COMPUTE_PGM_RSRC2:SCRATCH_EN: 0
; COMPUTE_PGM_RSRC2:USER_SGPR: 6
; COMPUTE_PGM_RSRC2:TRAP_HANDLER: 0
; COMPUTE_PGM_RSRC2:TGID_X_EN: 1
; COMPUTE_PGM_RSRC2:TGID_Y_EN: 0
; COMPUTE_PGM_RSRC2:TGID_Z_EN: 0
; COMPUTE_PGM_RSRC2:TIDIG_COMP_CNT: 0
; COMPUTE_PGM_RSRC3_GFX90A:ACCUM_OFFSET: 0
; COMPUTE_PGM_RSRC3_GFX90A:TG_SPLIT: 0
	.section	.text._ZN7rocprim17ROCPRIM_400000_NS6detail17trampoline_kernelINS0_14default_configENS1_38merge_sort_block_merge_config_selectorIN3c104HalfElEEZZNS1_27merge_sort_block_merge_implIS3_PS6_N6thrust23THRUST_200600_302600_NS10device_ptrIlEEmNSB_4lessIS6_EEEE10hipError_tT0_T1_T2_jT3_P12ihipStream_tbPNSt15iterator_traitsISH_E10value_typeEPNSN_ISI_E10value_typeEPSJ_NS1_7vsmem_tEENKUlT_SH_SI_SJ_E_clIS9_S9_SD_PlEESG_SW_SH_SI_SJ_EUlSW_E_NS1_11comp_targetILNS1_3genE8ELNS1_11target_archE1030ELNS1_3gpuE2ELNS1_3repE0EEENS1_48merge_mergepath_partition_config_static_selectorELNS0_4arch9wavefront6targetE1EEEvSI_,"axG",@progbits,_ZN7rocprim17ROCPRIM_400000_NS6detail17trampoline_kernelINS0_14default_configENS1_38merge_sort_block_merge_config_selectorIN3c104HalfElEEZZNS1_27merge_sort_block_merge_implIS3_PS6_N6thrust23THRUST_200600_302600_NS10device_ptrIlEEmNSB_4lessIS6_EEEE10hipError_tT0_T1_T2_jT3_P12ihipStream_tbPNSt15iterator_traitsISH_E10value_typeEPNSN_ISI_E10value_typeEPSJ_NS1_7vsmem_tEENKUlT_SH_SI_SJ_E_clIS9_S9_SD_PlEESG_SW_SH_SI_SJ_EUlSW_E_NS1_11comp_targetILNS1_3genE8ELNS1_11target_archE1030ELNS1_3gpuE2ELNS1_3repE0EEENS1_48merge_mergepath_partition_config_static_selectorELNS0_4arch9wavefront6targetE1EEEvSI_,comdat
	.protected	_ZN7rocprim17ROCPRIM_400000_NS6detail17trampoline_kernelINS0_14default_configENS1_38merge_sort_block_merge_config_selectorIN3c104HalfElEEZZNS1_27merge_sort_block_merge_implIS3_PS6_N6thrust23THRUST_200600_302600_NS10device_ptrIlEEmNSB_4lessIS6_EEEE10hipError_tT0_T1_T2_jT3_P12ihipStream_tbPNSt15iterator_traitsISH_E10value_typeEPNSN_ISI_E10value_typeEPSJ_NS1_7vsmem_tEENKUlT_SH_SI_SJ_E_clIS9_S9_SD_PlEESG_SW_SH_SI_SJ_EUlSW_E_NS1_11comp_targetILNS1_3genE8ELNS1_11target_archE1030ELNS1_3gpuE2ELNS1_3repE0EEENS1_48merge_mergepath_partition_config_static_selectorELNS0_4arch9wavefront6targetE1EEEvSI_ ; -- Begin function _ZN7rocprim17ROCPRIM_400000_NS6detail17trampoline_kernelINS0_14default_configENS1_38merge_sort_block_merge_config_selectorIN3c104HalfElEEZZNS1_27merge_sort_block_merge_implIS3_PS6_N6thrust23THRUST_200600_302600_NS10device_ptrIlEEmNSB_4lessIS6_EEEE10hipError_tT0_T1_T2_jT3_P12ihipStream_tbPNSt15iterator_traitsISH_E10value_typeEPNSN_ISI_E10value_typeEPSJ_NS1_7vsmem_tEENKUlT_SH_SI_SJ_E_clIS9_S9_SD_PlEESG_SW_SH_SI_SJ_EUlSW_E_NS1_11comp_targetILNS1_3genE8ELNS1_11target_archE1030ELNS1_3gpuE2ELNS1_3repE0EEENS1_48merge_mergepath_partition_config_static_selectorELNS0_4arch9wavefront6targetE1EEEvSI_
	.globl	_ZN7rocprim17ROCPRIM_400000_NS6detail17trampoline_kernelINS0_14default_configENS1_38merge_sort_block_merge_config_selectorIN3c104HalfElEEZZNS1_27merge_sort_block_merge_implIS3_PS6_N6thrust23THRUST_200600_302600_NS10device_ptrIlEEmNSB_4lessIS6_EEEE10hipError_tT0_T1_T2_jT3_P12ihipStream_tbPNSt15iterator_traitsISH_E10value_typeEPNSN_ISI_E10value_typeEPSJ_NS1_7vsmem_tEENKUlT_SH_SI_SJ_E_clIS9_S9_SD_PlEESG_SW_SH_SI_SJ_EUlSW_E_NS1_11comp_targetILNS1_3genE8ELNS1_11target_archE1030ELNS1_3gpuE2ELNS1_3repE0EEENS1_48merge_mergepath_partition_config_static_selectorELNS0_4arch9wavefront6targetE1EEEvSI_
	.p2align	8
	.type	_ZN7rocprim17ROCPRIM_400000_NS6detail17trampoline_kernelINS0_14default_configENS1_38merge_sort_block_merge_config_selectorIN3c104HalfElEEZZNS1_27merge_sort_block_merge_implIS3_PS6_N6thrust23THRUST_200600_302600_NS10device_ptrIlEEmNSB_4lessIS6_EEEE10hipError_tT0_T1_T2_jT3_P12ihipStream_tbPNSt15iterator_traitsISH_E10value_typeEPNSN_ISI_E10value_typeEPSJ_NS1_7vsmem_tEENKUlT_SH_SI_SJ_E_clIS9_S9_SD_PlEESG_SW_SH_SI_SJ_EUlSW_E_NS1_11comp_targetILNS1_3genE8ELNS1_11target_archE1030ELNS1_3gpuE2ELNS1_3repE0EEENS1_48merge_mergepath_partition_config_static_selectorELNS0_4arch9wavefront6targetE1EEEvSI_,@function
_ZN7rocprim17ROCPRIM_400000_NS6detail17trampoline_kernelINS0_14default_configENS1_38merge_sort_block_merge_config_selectorIN3c104HalfElEEZZNS1_27merge_sort_block_merge_implIS3_PS6_N6thrust23THRUST_200600_302600_NS10device_ptrIlEEmNSB_4lessIS6_EEEE10hipError_tT0_T1_T2_jT3_P12ihipStream_tbPNSt15iterator_traitsISH_E10value_typeEPNSN_ISI_E10value_typeEPSJ_NS1_7vsmem_tEENKUlT_SH_SI_SJ_E_clIS9_S9_SD_PlEESG_SW_SH_SI_SJ_EUlSW_E_NS1_11comp_targetILNS1_3genE8ELNS1_11target_archE1030ELNS1_3gpuE2ELNS1_3repE0EEENS1_48merge_mergepath_partition_config_static_selectorELNS0_4arch9wavefront6targetE1EEEvSI_: ; @_ZN7rocprim17ROCPRIM_400000_NS6detail17trampoline_kernelINS0_14default_configENS1_38merge_sort_block_merge_config_selectorIN3c104HalfElEEZZNS1_27merge_sort_block_merge_implIS3_PS6_N6thrust23THRUST_200600_302600_NS10device_ptrIlEEmNSB_4lessIS6_EEEE10hipError_tT0_T1_T2_jT3_P12ihipStream_tbPNSt15iterator_traitsISH_E10value_typeEPNSN_ISI_E10value_typeEPSJ_NS1_7vsmem_tEENKUlT_SH_SI_SJ_E_clIS9_S9_SD_PlEESG_SW_SH_SI_SJ_EUlSW_E_NS1_11comp_targetILNS1_3genE8ELNS1_11target_archE1030ELNS1_3gpuE2ELNS1_3repE0EEENS1_48merge_mergepath_partition_config_static_selectorELNS0_4arch9wavefront6targetE1EEEvSI_
; %bb.0:
	.section	.rodata,"a",@progbits
	.p2align	6, 0x0
	.amdhsa_kernel _ZN7rocprim17ROCPRIM_400000_NS6detail17trampoline_kernelINS0_14default_configENS1_38merge_sort_block_merge_config_selectorIN3c104HalfElEEZZNS1_27merge_sort_block_merge_implIS3_PS6_N6thrust23THRUST_200600_302600_NS10device_ptrIlEEmNSB_4lessIS6_EEEE10hipError_tT0_T1_T2_jT3_P12ihipStream_tbPNSt15iterator_traitsISH_E10value_typeEPNSN_ISI_E10value_typeEPSJ_NS1_7vsmem_tEENKUlT_SH_SI_SJ_E_clIS9_S9_SD_PlEESG_SW_SH_SI_SJ_EUlSW_E_NS1_11comp_targetILNS1_3genE8ELNS1_11target_archE1030ELNS1_3gpuE2ELNS1_3repE0EEENS1_48merge_mergepath_partition_config_static_selectorELNS0_4arch9wavefront6targetE1EEEvSI_
		.amdhsa_group_segment_fixed_size 0
		.amdhsa_private_segment_fixed_size 0
		.amdhsa_kernarg_size 48
		.amdhsa_user_sgpr_count 6
		.amdhsa_user_sgpr_private_segment_buffer 1
		.amdhsa_user_sgpr_dispatch_ptr 0
		.amdhsa_user_sgpr_queue_ptr 0
		.amdhsa_user_sgpr_kernarg_segment_ptr 1
		.amdhsa_user_sgpr_dispatch_id 0
		.amdhsa_user_sgpr_flat_scratch_init 0
		.amdhsa_user_sgpr_kernarg_preload_length 0
		.amdhsa_user_sgpr_kernarg_preload_offset 0
		.amdhsa_user_sgpr_private_segment_size 0
		.amdhsa_uses_dynamic_stack 0
		.amdhsa_system_sgpr_private_segment_wavefront_offset 0
		.amdhsa_system_sgpr_workgroup_id_x 1
		.amdhsa_system_sgpr_workgroup_id_y 0
		.amdhsa_system_sgpr_workgroup_id_z 0
		.amdhsa_system_sgpr_workgroup_info 0
		.amdhsa_system_vgpr_workitem_id 0
		.amdhsa_next_free_vgpr 1
		.amdhsa_next_free_sgpr 0
		.amdhsa_accum_offset 4
		.amdhsa_reserve_vcc 0
		.amdhsa_reserve_flat_scratch 0
		.amdhsa_float_round_mode_32 0
		.amdhsa_float_round_mode_16_64 0
		.amdhsa_float_denorm_mode_32 3
		.amdhsa_float_denorm_mode_16_64 3
		.amdhsa_dx10_clamp 1
		.amdhsa_ieee_mode 1
		.amdhsa_fp16_overflow 0
		.amdhsa_tg_split 0
		.amdhsa_exception_fp_ieee_invalid_op 0
		.amdhsa_exception_fp_denorm_src 0
		.amdhsa_exception_fp_ieee_div_zero 0
		.amdhsa_exception_fp_ieee_overflow 0
		.amdhsa_exception_fp_ieee_underflow 0
		.amdhsa_exception_fp_ieee_inexact 0
		.amdhsa_exception_int_div_zero 0
	.end_amdhsa_kernel
	.section	.text._ZN7rocprim17ROCPRIM_400000_NS6detail17trampoline_kernelINS0_14default_configENS1_38merge_sort_block_merge_config_selectorIN3c104HalfElEEZZNS1_27merge_sort_block_merge_implIS3_PS6_N6thrust23THRUST_200600_302600_NS10device_ptrIlEEmNSB_4lessIS6_EEEE10hipError_tT0_T1_T2_jT3_P12ihipStream_tbPNSt15iterator_traitsISH_E10value_typeEPNSN_ISI_E10value_typeEPSJ_NS1_7vsmem_tEENKUlT_SH_SI_SJ_E_clIS9_S9_SD_PlEESG_SW_SH_SI_SJ_EUlSW_E_NS1_11comp_targetILNS1_3genE8ELNS1_11target_archE1030ELNS1_3gpuE2ELNS1_3repE0EEENS1_48merge_mergepath_partition_config_static_selectorELNS0_4arch9wavefront6targetE1EEEvSI_,"axG",@progbits,_ZN7rocprim17ROCPRIM_400000_NS6detail17trampoline_kernelINS0_14default_configENS1_38merge_sort_block_merge_config_selectorIN3c104HalfElEEZZNS1_27merge_sort_block_merge_implIS3_PS6_N6thrust23THRUST_200600_302600_NS10device_ptrIlEEmNSB_4lessIS6_EEEE10hipError_tT0_T1_T2_jT3_P12ihipStream_tbPNSt15iterator_traitsISH_E10value_typeEPNSN_ISI_E10value_typeEPSJ_NS1_7vsmem_tEENKUlT_SH_SI_SJ_E_clIS9_S9_SD_PlEESG_SW_SH_SI_SJ_EUlSW_E_NS1_11comp_targetILNS1_3genE8ELNS1_11target_archE1030ELNS1_3gpuE2ELNS1_3repE0EEENS1_48merge_mergepath_partition_config_static_selectorELNS0_4arch9wavefront6targetE1EEEvSI_,comdat
.Lfunc_end2157:
	.size	_ZN7rocprim17ROCPRIM_400000_NS6detail17trampoline_kernelINS0_14default_configENS1_38merge_sort_block_merge_config_selectorIN3c104HalfElEEZZNS1_27merge_sort_block_merge_implIS3_PS6_N6thrust23THRUST_200600_302600_NS10device_ptrIlEEmNSB_4lessIS6_EEEE10hipError_tT0_T1_T2_jT3_P12ihipStream_tbPNSt15iterator_traitsISH_E10value_typeEPNSN_ISI_E10value_typeEPSJ_NS1_7vsmem_tEENKUlT_SH_SI_SJ_E_clIS9_S9_SD_PlEESG_SW_SH_SI_SJ_EUlSW_E_NS1_11comp_targetILNS1_3genE8ELNS1_11target_archE1030ELNS1_3gpuE2ELNS1_3repE0EEENS1_48merge_mergepath_partition_config_static_selectorELNS0_4arch9wavefront6targetE1EEEvSI_, .Lfunc_end2157-_ZN7rocprim17ROCPRIM_400000_NS6detail17trampoline_kernelINS0_14default_configENS1_38merge_sort_block_merge_config_selectorIN3c104HalfElEEZZNS1_27merge_sort_block_merge_implIS3_PS6_N6thrust23THRUST_200600_302600_NS10device_ptrIlEEmNSB_4lessIS6_EEEE10hipError_tT0_T1_T2_jT3_P12ihipStream_tbPNSt15iterator_traitsISH_E10value_typeEPNSN_ISI_E10value_typeEPSJ_NS1_7vsmem_tEENKUlT_SH_SI_SJ_E_clIS9_S9_SD_PlEESG_SW_SH_SI_SJ_EUlSW_E_NS1_11comp_targetILNS1_3genE8ELNS1_11target_archE1030ELNS1_3gpuE2ELNS1_3repE0EEENS1_48merge_mergepath_partition_config_static_selectorELNS0_4arch9wavefront6targetE1EEEvSI_
                                        ; -- End function
	.section	.AMDGPU.csdata,"",@progbits
; Kernel info:
; codeLenInByte = 0
; NumSgprs: 4
; NumVgprs: 0
; NumAgprs: 0
; TotalNumVgprs: 0
; ScratchSize: 0
; MemoryBound: 0
; FloatMode: 240
; IeeeMode: 1
; LDSByteSize: 0 bytes/workgroup (compile time only)
; SGPRBlocks: 0
; VGPRBlocks: 0
; NumSGPRsForWavesPerEU: 4
; NumVGPRsForWavesPerEU: 1
; AccumOffset: 4
; Occupancy: 8
; WaveLimiterHint : 0
; COMPUTE_PGM_RSRC2:SCRATCH_EN: 0
; COMPUTE_PGM_RSRC2:USER_SGPR: 6
; COMPUTE_PGM_RSRC2:TRAP_HANDLER: 0
; COMPUTE_PGM_RSRC2:TGID_X_EN: 1
; COMPUTE_PGM_RSRC2:TGID_Y_EN: 0
; COMPUTE_PGM_RSRC2:TGID_Z_EN: 0
; COMPUTE_PGM_RSRC2:TIDIG_COMP_CNT: 0
; COMPUTE_PGM_RSRC3_GFX90A:ACCUM_OFFSET: 0
; COMPUTE_PGM_RSRC3_GFX90A:TG_SPLIT: 0
	.section	.text._ZN7rocprim17ROCPRIM_400000_NS6detail17trampoline_kernelINS0_14default_configENS1_38merge_sort_block_merge_config_selectorIN3c104HalfElEEZZNS1_27merge_sort_block_merge_implIS3_PS6_N6thrust23THRUST_200600_302600_NS10device_ptrIlEEmNSB_4lessIS6_EEEE10hipError_tT0_T1_T2_jT3_P12ihipStream_tbPNSt15iterator_traitsISH_E10value_typeEPNSN_ISI_E10value_typeEPSJ_NS1_7vsmem_tEENKUlT_SH_SI_SJ_E_clIS9_S9_SD_PlEESG_SW_SH_SI_SJ_EUlSW_E0_NS1_11comp_targetILNS1_3genE0ELNS1_11target_archE4294967295ELNS1_3gpuE0ELNS1_3repE0EEENS1_38merge_mergepath_config_static_selectorELNS0_4arch9wavefront6targetE1EEEvSI_,"axG",@progbits,_ZN7rocprim17ROCPRIM_400000_NS6detail17trampoline_kernelINS0_14default_configENS1_38merge_sort_block_merge_config_selectorIN3c104HalfElEEZZNS1_27merge_sort_block_merge_implIS3_PS6_N6thrust23THRUST_200600_302600_NS10device_ptrIlEEmNSB_4lessIS6_EEEE10hipError_tT0_T1_T2_jT3_P12ihipStream_tbPNSt15iterator_traitsISH_E10value_typeEPNSN_ISI_E10value_typeEPSJ_NS1_7vsmem_tEENKUlT_SH_SI_SJ_E_clIS9_S9_SD_PlEESG_SW_SH_SI_SJ_EUlSW_E0_NS1_11comp_targetILNS1_3genE0ELNS1_11target_archE4294967295ELNS1_3gpuE0ELNS1_3repE0EEENS1_38merge_mergepath_config_static_selectorELNS0_4arch9wavefront6targetE1EEEvSI_,comdat
	.protected	_ZN7rocprim17ROCPRIM_400000_NS6detail17trampoline_kernelINS0_14default_configENS1_38merge_sort_block_merge_config_selectorIN3c104HalfElEEZZNS1_27merge_sort_block_merge_implIS3_PS6_N6thrust23THRUST_200600_302600_NS10device_ptrIlEEmNSB_4lessIS6_EEEE10hipError_tT0_T1_T2_jT3_P12ihipStream_tbPNSt15iterator_traitsISH_E10value_typeEPNSN_ISI_E10value_typeEPSJ_NS1_7vsmem_tEENKUlT_SH_SI_SJ_E_clIS9_S9_SD_PlEESG_SW_SH_SI_SJ_EUlSW_E0_NS1_11comp_targetILNS1_3genE0ELNS1_11target_archE4294967295ELNS1_3gpuE0ELNS1_3repE0EEENS1_38merge_mergepath_config_static_selectorELNS0_4arch9wavefront6targetE1EEEvSI_ ; -- Begin function _ZN7rocprim17ROCPRIM_400000_NS6detail17trampoline_kernelINS0_14default_configENS1_38merge_sort_block_merge_config_selectorIN3c104HalfElEEZZNS1_27merge_sort_block_merge_implIS3_PS6_N6thrust23THRUST_200600_302600_NS10device_ptrIlEEmNSB_4lessIS6_EEEE10hipError_tT0_T1_T2_jT3_P12ihipStream_tbPNSt15iterator_traitsISH_E10value_typeEPNSN_ISI_E10value_typeEPSJ_NS1_7vsmem_tEENKUlT_SH_SI_SJ_E_clIS9_S9_SD_PlEESG_SW_SH_SI_SJ_EUlSW_E0_NS1_11comp_targetILNS1_3genE0ELNS1_11target_archE4294967295ELNS1_3gpuE0ELNS1_3repE0EEENS1_38merge_mergepath_config_static_selectorELNS0_4arch9wavefront6targetE1EEEvSI_
	.globl	_ZN7rocprim17ROCPRIM_400000_NS6detail17trampoline_kernelINS0_14default_configENS1_38merge_sort_block_merge_config_selectorIN3c104HalfElEEZZNS1_27merge_sort_block_merge_implIS3_PS6_N6thrust23THRUST_200600_302600_NS10device_ptrIlEEmNSB_4lessIS6_EEEE10hipError_tT0_T1_T2_jT3_P12ihipStream_tbPNSt15iterator_traitsISH_E10value_typeEPNSN_ISI_E10value_typeEPSJ_NS1_7vsmem_tEENKUlT_SH_SI_SJ_E_clIS9_S9_SD_PlEESG_SW_SH_SI_SJ_EUlSW_E0_NS1_11comp_targetILNS1_3genE0ELNS1_11target_archE4294967295ELNS1_3gpuE0ELNS1_3repE0EEENS1_38merge_mergepath_config_static_selectorELNS0_4arch9wavefront6targetE1EEEvSI_
	.p2align	8
	.type	_ZN7rocprim17ROCPRIM_400000_NS6detail17trampoline_kernelINS0_14default_configENS1_38merge_sort_block_merge_config_selectorIN3c104HalfElEEZZNS1_27merge_sort_block_merge_implIS3_PS6_N6thrust23THRUST_200600_302600_NS10device_ptrIlEEmNSB_4lessIS6_EEEE10hipError_tT0_T1_T2_jT3_P12ihipStream_tbPNSt15iterator_traitsISH_E10value_typeEPNSN_ISI_E10value_typeEPSJ_NS1_7vsmem_tEENKUlT_SH_SI_SJ_E_clIS9_S9_SD_PlEESG_SW_SH_SI_SJ_EUlSW_E0_NS1_11comp_targetILNS1_3genE0ELNS1_11target_archE4294967295ELNS1_3gpuE0ELNS1_3repE0EEENS1_38merge_mergepath_config_static_selectorELNS0_4arch9wavefront6targetE1EEEvSI_,@function
_ZN7rocprim17ROCPRIM_400000_NS6detail17trampoline_kernelINS0_14default_configENS1_38merge_sort_block_merge_config_selectorIN3c104HalfElEEZZNS1_27merge_sort_block_merge_implIS3_PS6_N6thrust23THRUST_200600_302600_NS10device_ptrIlEEmNSB_4lessIS6_EEEE10hipError_tT0_T1_T2_jT3_P12ihipStream_tbPNSt15iterator_traitsISH_E10value_typeEPNSN_ISI_E10value_typeEPSJ_NS1_7vsmem_tEENKUlT_SH_SI_SJ_E_clIS9_S9_SD_PlEESG_SW_SH_SI_SJ_EUlSW_E0_NS1_11comp_targetILNS1_3genE0ELNS1_11target_archE4294967295ELNS1_3gpuE0ELNS1_3repE0EEENS1_38merge_mergepath_config_static_selectorELNS0_4arch9wavefront6targetE1EEEvSI_: ; @_ZN7rocprim17ROCPRIM_400000_NS6detail17trampoline_kernelINS0_14default_configENS1_38merge_sort_block_merge_config_selectorIN3c104HalfElEEZZNS1_27merge_sort_block_merge_implIS3_PS6_N6thrust23THRUST_200600_302600_NS10device_ptrIlEEmNSB_4lessIS6_EEEE10hipError_tT0_T1_T2_jT3_P12ihipStream_tbPNSt15iterator_traitsISH_E10value_typeEPNSN_ISI_E10value_typeEPSJ_NS1_7vsmem_tEENKUlT_SH_SI_SJ_E_clIS9_S9_SD_PlEESG_SW_SH_SI_SJ_EUlSW_E0_NS1_11comp_targetILNS1_3genE0ELNS1_11target_archE4294967295ELNS1_3gpuE0ELNS1_3repE0EEENS1_38merge_mergepath_config_static_selectorELNS0_4arch9wavefront6targetE1EEEvSI_
; %bb.0:
	.section	.rodata,"a",@progbits
	.p2align	6, 0x0
	.amdhsa_kernel _ZN7rocprim17ROCPRIM_400000_NS6detail17trampoline_kernelINS0_14default_configENS1_38merge_sort_block_merge_config_selectorIN3c104HalfElEEZZNS1_27merge_sort_block_merge_implIS3_PS6_N6thrust23THRUST_200600_302600_NS10device_ptrIlEEmNSB_4lessIS6_EEEE10hipError_tT0_T1_T2_jT3_P12ihipStream_tbPNSt15iterator_traitsISH_E10value_typeEPNSN_ISI_E10value_typeEPSJ_NS1_7vsmem_tEENKUlT_SH_SI_SJ_E_clIS9_S9_SD_PlEESG_SW_SH_SI_SJ_EUlSW_E0_NS1_11comp_targetILNS1_3genE0ELNS1_11target_archE4294967295ELNS1_3gpuE0ELNS1_3repE0EEENS1_38merge_mergepath_config_static_selectorELNS0_4arch9wavefront6targetE1EEEvSI_
		.amdhsa_group_segment_fixed_size 0
		.amdhsa_private_segment_fixed_size 0
		.amdhsa_kernarg_size 72
		.amdhsa_user_sgpr_count 6
		.amdhsa_user_sgpr_private_segment_buffer 1
		.amdhsa_user_sgpr_dispatch_ptr 0
		.amdhsa_user_sgpr_queue_ptr 0
		.amdhsa_user_sgpr_kernarg_segment_ptr 1
		.amdhsa_user_sgpr_dispatch_id 0
		.amdhsa_user_sgpr_flat_scratch_init 0
		.amdhsa_user_sgpr_kernarg_preload_length 0
		.amdhsa_user_sgpr_kernarg_preload_offset 0
		.amdhsa_user_sgpr_private_segment_size 0
		.amdhsa_uses_dynamic_stack 0
		.amdhsa_system_sgpr_private_segment_wavefront_offset 0
		.amdhsa_system_sgpr_workgroup_id_x 1
		.amdhsa_system_sgpr_workgroup_id_y 0
		.amdhsa_system_sgpr_workgroup_id_z 0
		.amdhsa_system_sgpr_workgroup_info 0
		.amdhsa_system_vgpr_workitem_id 0
		.amdhsa_next_free_vgpr 1
		.amdhsa_next_free_sgpr 0
		.amdhsa_accum_offset 4
		.amdhsa_reserve_vcc 0
		.amdhsa_reserve_flat_scratch 0
		.amdhsa_float_round_mode_32 0
		.amdhsa_float_round_mode_16_64 0
		.amdhsa_float_denorm_mode_32 3
		.amdhsa_float_denorm_mode_16_64 3
		.amdhsa_dx10_clamp 1
		.amdhsa_ieee_mode 1
		.amdhsa_fp16_overflow 0
		.amdhsa_tg_split 0
		.amdhsa_exception_fp_ieee_invalid_op 0
		.amdhsa_exception_fp_denorm_src 0
		.amdhsa_exception_fp_ieee_div_zero 0
		.amdhsa_exception_fp_ieee_overflow 0
		.amdhsa_exception_fp_ieee_underflow 0
		.amdhsa_exception_fp_ieee_inexact 0
		.amdhsa_exception_int_div_zero 0
	.end_amdhsa_kernel
	.section	.text._ZN7rocprim17ROCPRIM_400000_NS6detail17trampoline_kernelINS0_14default_configENS1_38merge_sort_block_merge_config_selectorIN3c104HalfElEEZZNS1_27merge_sort_block_merge_implIS3_PS6_N6thrust23THRUST_200600_302600_NS10device_ptrIlEEmNSB_4lessIS6_EEEE10hipError_tT0_T1_T2_jT3_P12ihipStream_tbPNSt15iterator_traitsISH_E10value_typeEPNSN_ISI_E10value_typeEPSJ_NS1_7vsmem_tEENKUlT_SH_SI_SJ_E_clIS9_S9_SD_PlEESG_SW_SH_SI_SJ_EUlSW_E0_NS1_11comp_targetILNS1_3genE0ELNS1_11target_archE4294967295ELNS1_3gpuE0ELNS1_3repE0EEENS1_38merge_mergepath_config_static_selectorELNS0_4arch9wavefront6targetE1EEEvSI_,"axG",@progbits,_ZN7rocprim17ROCPRIM_400000_NS6detail17trampoline_kernelINS0_14default_configENS1_38merge_sort_block_merge_config_selectorIN3c104HalfElEEZZNS1_27merge_sort_block_merge_implIS3_PS6_N6thrust23THRUST_200600_302600_NS10device_ptrIlEEmNSB_4lessIS6_EEEE10hipError_tT0_T1_T2_jT3_P12ihipStream_tbPNSt15iterator_traitsISH_E10value_typeEPNSN_ISI_E10value_typeEPSJ_NS1_7vsmem_tEENKUlT_SH_SI_SJ_E_clIS9_S9_SD_PlEESG_SW_SH_SI_SJ_EUlSW_E0_NS1_11comp_targetILNS1_3genE0ELNS1_11target_archE4294967295ELNS1_3gpuE0ELNS1_3repE0EEENS1_38merge_mergepath_config_static_selectorELNS0_4arch9wavefront6targetE1EEEvSI_,comdat
.Lfunc_end2158:
	.size	_ZN7rocprim17ROCPRIM_400000_NS6detail17trampoline_kernelINS0_14default_configENS1_38merge_sort_block_merge_config_selectorIN3c104HalfElEEZZNS1_27merge_sort_block_merge_implIS3_PS6_N6thrust23THRUST_200600_302600_NS10device_ptrIlEEmNSB_4lessIS6_EEEE10hipError_tT0_T1_T2_jT3_P12ihipStream_tbPNSt15iterator_traitsISH_E10value_typeEPNSN_ISI_E10value_typeEPSJ_NS1_7vsmem_tEENKUlT_SH_SI_SJ_E_clIS9_S9_SD_PlEESG_SW_SH_SI_SJ_EUlSW_E0_NS1_11comp_targetILNS1_3genE0ELNS1_11target_archE4294967295ELNS1_3gpuE0ELNS1_3repE0EEENS1_38merge_mergepath_config_static_selectorELNS0_4arch9wavefront6targetE1EEEvSI_, .Lfunc_end2158-_ZN7rocprim17ROCPRIM_400000_NS6detail17trampoline_kernelINS0_14default_configENS1_38merge_sort_block_merge_config_selectorIN3c104HalfElEEZZNS1_27merge_sort_block_merge_implIS3_PS6_N6thrust23THRUST_200600_302600_NS10device_ptrIlEEmNSB_4lessIS6_EEEE10hipError_tT0_T1_T2_jT3_P12ihipStream_tbPNSt15iterator_traitsISH_E10value_typeEPNSN_ISI_E10value_typeEPSJ_NS1_7vsmem_tEENKUlT_SH_SI_SJ_E_clIS9_S9_SD_PlEESG_SW_SH_SI_SJ_EUlSW_E0_NS1_11comp_targetILNS1_3genE0ELNS1_11target_archE4294967295ELNS1_3gpuE0ELNS1_3repE0EEENS1_38merge_mergepath_config_static_selectorELNS0_4arch9wavefront6targetE1EEEvSI_
                                        ; -- End function
	.section	.AMDGPU.csdata,"",@progbits
; Kernel info:
; codeLenInByte = 0
; NumSgprs: 4
; NumVgprs: 0
; NumAgprs: 0
; TotalNumVgprs: 0
; ScratchSize: 0
; MemoryBound: 0
; FloatMode: 240
; IeeeMode: 1
; LDSByteSize: 0 bytes/workgroup (compile time only)
; SGPRBlocks: 0
; VGPRBlocks: 0
; NumSGPRsForWavesPerEU: 4
; NumVGPRsForWavesPerEU: 1
; AccumOffset: 4
; Occupancy: 8
; WaveLimiterHint : 0
; COMPUTE_PGM_RSRC2:SCRATCH_EN: 0
; COMPUTE_PGM_RSRC2:USER_SGPR: 6
; COMPUTE_PGM_RSRC2:TRAP_HANDLER: 0
; COMPUTE_PGM_RSRC2:TGID_X_EN: 1
; COMPUTE_PGM_RSRC2:TGID_Y_EN: 0
; COMPUTE_PGM_RSRC2:TGID_Z_EN: 0
; COMPUTE_PGM_RSRC2:TIDIG_COMP_CNT: 0
; COMPUTE_PGM_RSRC3_GFX90A:ACCUM_OFFSET: 0
; COMPUTE_PGM_RSRC3_GFX90A:TG_SPLIT: 0
	.section	.text._ZN7rocprim17ROCPRIM_400000_NS6detail17trampoline_kernelINS0_14default_configENS1_38merge_sort_block_merge_config_selectorIN3c104HalfElEEZZNS1_27merge_sort_block_merge_implIS3_PS6_N6thrust23THRUST_200600_302600_NS10device_ptrIlEEmNSB_4lessIS6_EEEE10hipError_tT0_T1_T2_jT3_P12ihipStream_tbPNSt15iterator_traitsISH_E10value_typeEPNSN_ISI_E10value_typeEPSJ_NS1_7vsmem_tEENKUlT_SH_SI_SJ_E_clIS9_S9_SD_PlEESG_SW_SH_SI_SJ_EUlSW_E0_NS1_11comp_targetILNS1_3genE10ELNS1_11target_archE1201ELNS1_3gpuE5ELNS1_3repE0EEENS1_38merge_mergepath_config_static_selectorELNS0_4arch9wavefront6targetE1EEEvSI_,"axG",@progbits,_ZN7rocprim17ROCPRIM_400000_NS6detail17trampoline_kernelINS0_14default_configENS1_38merge_sort_block_merge_config_selectorIN3c104HalfElEEZZNS1_27merge_sort_block_merge_implIS3_PS6_N6thrust23THRUST_200600_302600_NS10device_ptrIlEEmNSB_4lessIS6_EEEE10hipError_tT0_T1_T2_jT3_P12ihipStream_tbPNSt15iterator_traitsISH_E10value_typeEPNSN_ISI_E10value_typeEPSJ_NS1_7vsmem_tEENKUlT_SH_SI_SJ_E_clIS9_S9_SD_PlEESG_SW_SH_SI_SJ_EUlSW_E0_NS1_11comp_targetILNS1_3genE10ELNS1_11target_archE1201ELNS1_3gpuE5ELNS1_3repE0EEENS1_38merge_mergepath_config_static_selectorELNS0_4arch9wavefront6targetE1EEEvSI_,comdat
	.protected	_ZN7rocprim17ROCPRIM_400000_NS6detail17trampoline_kernelINS0_14default_configENS1_38merge_sort_block_merge_config_selectorIN3c104HalfElEEZZNS1_27merge_sort_block_merge_implIS3_PS6_N6thrust23THRUST_200600_302600_NS10device_ptrIlEEmNSB_4lessIS6_EEEE10hipError_tT0_T1_T2_jT3_P12ihipStream_tbPNSt15iterator_traitsISH_E10value_typeEPNSN_ISI_E10value_typeEPSJ_NS1_7vsmem_tEENKUlT_SH_SI_SJ_E_clIS9_S9_SD_PlEESG_SW_SH_SI_SJ_EUlSW_E0_NS1_11comp_targetILNS1_3genE10ELNS1_11target_archE1201ELNS1_3gpuE5ELNS1_3repE0EEENS1_38merge_mergepath_config_static_selectorELNS0_4arch9wavefront6targetE1EEEvSI_ ; -- Begin function _ZN7rocprim17ROCPRIM_400000_NS6detail17trampoline_kernelINS0_14default_configENS1_38merge_sort_block_merge_config_selectorIN3c104HalfElEEZZNS1_27merge_sort_block_merge_implIS3_PS6_N6thrust23THRUST_200600_302600_NS10device_ptrIlEEmNSB_4lessIS6_EEEE10hipError_tT0_T1_T2_jT3_P12ihipStream_tbPNSt15iterator_traitsISH_E10value_typeEPNSN_ISI_E10value_typeEPSJ_NS1_7vsmem_tEENKUlT_SH_SI_SJ_E_clIS9_S9_SD_PlEESG_SW_SH_SI_SJ_EUlSW_E0_NS1_11comp_targetILNS1_3genE10ELNS1_11target_archE1201ELNS1_3gpuE5ELNS1_3repE0EEENS1_38merge_mergepath_config_static_selectorELNS0_4arch9wavefront6targetE1EEEvSI_
	.globl	_ZN7rocprim17ROCPRIM_400000_NS6detail17trampoline_kernelINS0_14default_configENS1_38merge_sort_block_merge_config_selectorIN3c104HalfElEEZZNS1_27merge_sort_block_merge_implIS3_PS6_N6thrust23THRUST_200600_302600_NS10device_ptrIlEEmNSB_4lessIS6_EEEE10hipError_tT0_T1_T2_jT3_P12ihipStream_tbPNSt15iterator_traitsISH_E10value_typeEPNSN_ISI_E10value_typeEPSJ_NS1_7vsmem_tEENKUlT_SH_SI_SJ_E_clIS9_S9_SD_PlEESG_SW_SH_SI_SJ_EUlSW_E0_NS1_11comp_targetILNS1_3genE10ELNS1_11target_archE1201ELNS1_3gpuE5ELNS1_3repE0EEENS1_38merge_mergepath_config_static_selectorELNS0_4arch9wavefront6targetE1EEEvSI_
	.p2align	8
	.type	_ZN7rocprim17ROCPRIM_400000_NS6detail17trampoline_kernelINS0_14default_configENS1_38merge_sort_block_merge_config_selectorIN3c104HalfElEEZZNS1_27merge_sort_block_merge_implIS3_PS6_N6thrust23THRUST_200600_302600_NS10device_ptrIlEEmNSB_4lessIS6_EEEE10hipError_tT0_T1_T2_jT3_P12ihipStream_tbPNSt15iterator_traitsISH_E10value_typeEPNSN_ISI_E10value_typeEPSJ_NS1_7vsmem_tEENKUlT_SH_SI_SJ_E_clIS9_S9_SD_PlEESG_SW_SH_SI_SJ_EUlSW_E0_NS1_11comp_targetILNS1_3genE10ELNS1_11target_archE1201ELNS1_3gpuE5ELNS1_3repE0EEENS1_38merge_mergepath_config_static_selectorELNS0_4arch9wavefront6targetE1EEEvSI_,@function
_ZN7rocprim17ROCPRIM_400000_NS6detail17trampoline_kernelINS0_14default_configENS1_38merge_sort_block_merge_config_selectorIN3c104HalfElEEZZNS1_27merge_sort_block_merge_implIS3_PS6_N6thrust23THRUST_200600_302600_NS10device_ptrIlEEmNSB_4lessIS6_EEEE10hipError_tT0_T1_T2_jT3_P12ihipStream_tbPNSt15iterator_traitsISH_E10value_typeEPNSN_ISI_E10value_typeEPSJ_NS1_7vsmem_tEENKUlT_SH_SI_SJ_E_clIS9_S9_SD_PlEESG_SW_SH_SI_SJ_EUlSW_E0_NS1_11comp_targetILNS1_3genE10ELNS1_11target_archE1201ELNS1_3gpuE5ELNS1_3repE0EEENS1_38merge_mergepath_config_static_selectorELNS0_4arch9wavefront6targetE1EEEvSI_: ; @_ZN7rocprim17ROCPRIM_400000_NS6detail17trampoline_kernelINS0_14default_configENS1_38merge_sort_block_merge_config_selectorIN3c104HalfElEEZZNS1_27merge_sort_block_merge_implIS3_PS6_N6thrust23THRUST_200600_302600_NS10device_ptrIlEEmNSB_4lessIS6_EEEE10hipError_tT0_T1_T2_jT3_P12ihipStream_tbPNSt15iterator_traitsISH_E10value_typeEPNSN_ISI_E10value_typeEPSJ_NS1_7vsmem_tEENKUlT_SH_SI_SJ_E_clIS9_S9_SD_PlEESG_SW_SH_SI_SJ_EUlSW_E0_NS1_11comp_targetILNS1_3genE10ELNS1_11target_archE1201ELNS1_3gpuE5ELNS1_3repE0EEENS1_38merge_mergepath_config_static_selectorELNS0_4arch9wavefront6targetE1EEEvSI_
; %bb.0:
	.section	.rodata,"a",@progbits
	.p2align	6, 0x0
	.amdhsa_kernel _ZN7rocprim17ROCPRIM_400000_NS6detail17trampoline_kernelINS0_14default_configENS1_38merge_sort_block_merge_config_selectorIN3c104HalfElEEZZNS1_27merge_sort_block_merge_implIS3_PS6_N6thrust23THRUST_200600_302600_NS10device_ptrIlEEmNSB_4lessIS6_EEEE10hipError_tT0_T1_T2_jT3_P12ihipStream_tbPNSt15iterator_traitsISH_E10value_typeEPNSN_ISI_E10value_typeEPSJ_NS1_7vsmem_tEENKUlT_SH_SI_SJ_E_clIS9_S9_SD_PlEESG_SW_SH_SI_SJ_EUlSW_E0_NS1_11comp_targetILNS1_3genE10ELNS1_11target_archE1201ELNS1_3gpuE5ELNS1_3repE0EEENS1_38merge_mergepath_config_static_selectorELNS0_4arch9wavefront6targetE1EEEvSI_
		.amdhsa_group_segment_fixed_size 0
		.amdhsa_private_segment_fixed_size 0
		.amdhsa_kernarg_size 72
		.amdhsa_user_sgpr_count 6
		.amdhsa_user_sgpr_private_segment_buffer 1
		.amdhsa_user_sgpr_dispatch_ptr 0
		.amdhsa_user_sgpr_queue_ptr 0
		.amdhsa_user_sgpr_kernarg_segment_ptr 1
		.amdhsa_user_sgpr_dispatch_id 0
		.amdhsa_user_sgpr_flat_scratch_init 0
		.amdhsa_user_sgpr_kernarg_preload_length 0
		.amdhsa_user_sgpr_kernarg_preload_offset 0
		.amdhsa_user_sgpr_private_segment_size 0
		.amdhsa_uses_dynamic_stack 0
		.amdhsa_system_sgpr_private_segment_wavefront_offset 0
		.amdhsa_system_sgpr_workgroup_id_x 1
		.amdhsa_system_sgpr_workgroup_id_y 0
		.amdhsa_system_sgpr_workgroup_id_z 0
		.amdhsa_system_sgpr_workgroup_info 0
		.amdhsa_system_vgpr_workitem_id 0
		.amdhsa_next_free_vgpr 1
		.amdhsa_next_free_sgpr 0
		.amdhsa_accum_offset 4
		.amdhsa_reserve_vcc 0
		.amdhsa_reserve_flat_scratch 0
		.amdhsa_float_round_mode_32 0
		.amdhsa_float_round_mode_16_64 0
		.amdhsa_float_denorm_mode_32 3
		.amdhsa_float_denorm_mode_16_64 3
		.amdhsa_dx10_clamp 1
		.amdhsa_ieee_mode 1
		.amdhsa_fp16_overflow 0
		.amdhsa_tg_split 0
		.amdhsa_exception_fp_ieee_invalid_op 0
		.amdhsa_exception_fp_denorm_src 0
		.amdhsa_exception_fp_ieee_div_zero 0
		.amdhsa_exception_fp_ieee_overflow 0
		.amdhsa_exception_fp_ieee_underflow 0
		.amdhsa_exception_fp_ieee_inexact 0
		.amdhsa_exception_int_div_zero 0
	.end_amdhsa_kernel
	.section	.text._ZN7rocprim17ROCPRIM_400000_NS6detail17trampoline_kernelINS0_14default_configENS1_38merge_sort_block_merge_config_selectorIN3c104HalfElEEZZNS1_27merge_sort_block_merge_implIS3_PS6_N6thrust23THRUST_200600_302600_NS10device_ptrIlEEmNSB_4lessIS6_EEEE10hipError_tT0_T1_T2_jT3_P12ihipStream_tbPNSt15iterator_traitsISH_E10value_typeEPNSN_ISI_E10value_typeEPSJ_NS1_7vsmem_tEENKUlT_SH_SI_SJ_E_clIS9_S9_SD_PlEESG_SW_SH_SI_SJ_EUlSW_E0_NS1_11comp_targetILNS1_3genE10ELNS1_11target_archE1201ELNS1_3gpuE5ELNS1_3repE0EEENS1_38merge_mergepath_config_static_selectorELNS0_4arch9wavefront6targetE1EEEvSI_,"axG",@progbits,_ZN7rocprim17ROCPRIM_400000_NS6detail17trampoline_kernelINS0_14default_configENS1_38merge_sort_block_merge_config_selectorIN3c104HalfElEEZZNS1_27merge_sort_block_merge_implIS3_PS6_N6thrust23THRUST_200600_302600_NS10device_ptrIlEEmNSB_4lessIS6_EEEE10hipError_tT0_T1_T2_jT3_P12ihipStream_tbPNSt15iterator_traitsISH_E10value_typeEPNSN_ISI_E10value_typeEPSJ_NS1_7vsmem_tEENKUlT_SH_SI_SJ_E_clIS9_S9_SD_PlEESG_SW_SH_SI_SJ_EUlSW_E0_NS1_11comp_targetILNS1_3genE10ELNS1_11target_archE1201ELNS1_3gpuE5ELNS1_3repE0EEENS1_38merge_mergepath_config_static_selectorELNS0_4arch9wavefront6targetE1EEEvSI_,comdat
.Lfunc_end2159:
	.size	_ZN7rocprim17ROCPRIM_400000_NS6detail17trampoline_kernelINS0_14default_configENS1_38merge_sort_block_merge_config_selectorIN3c104HalfElEEZZNS1_27merge_sort_block_merge_implIS3_PS6_N6thrust23THRUST_200600_302600_NS10device_ptrIlEEmNSB_4lessIS6_EEEE10hipError_tT0_T1_T2_jT3_P12ihipStream_tbPNSt15iterator_traitsISH_E10value_typeEPNSN_ISI_E10value_typeEPSJ_NS1_7vsmem_tEENKUlT_SH_SI_SJ_E_clIS9_S9_SD_PlEESG_SW_SH_SI_SJ_EUlSW_E0_NS1_11comp_targetILNS1_3genE10ELNS1_11target_archE1201ELNS1_3gpuE5ELNS1_3repE0EEENS1_38merge_mergepath_config_static_selectorELNS0_4arch9wavefront6targetE1EEEvSI_, .Lfunc_end2159-_ZN7rocprim17ROCPRIM_400000_NS6detail17trampoline_kernelINS0_14default_configENS1_38merge_sort_block_merge_config_selectorIN3c104HalfElEEZZNS1_27merge_sort_block_merge_implIS3_PS6_N6thrust23THRUST_200600_302600_NS10device_ptrIlEEmNSB_4lessIS6_EEEE10hipError_tT0_T1_T2_jT3_P12ihipStream_tbPNSt15iterator_traitsISH_E10value_typeEPNSN_ISI_E10value_typeEPSJ_NS1_7vsmem_tEENKUlT_SH_SI_SJ_E_clIS9_S9_SD_PlEESG_SW_SH_SI_SJ_EUlSW_E0_NS1_11comp_targetILNS1_3genE10ELNS1_11target_archE1201ELNS1_3gpuE5ELNS1_3repE0EEENS1_38merge_mergepath_config_static_selectorELNS0_4arch9wavefront6targetE1EEEvSI_
                                        ; -- End function
	.section	.AMDGPU.csdata,"",@progbits
; Kernel info:
; codeLenInByte = 0
; NumSgprs: 4
; NumVgprs: 0
; NumAgprs: 0
; TotalNumVgprs: 0
; ScratchSize: 0
; MemoryBound: 0
; FloatMode: 240
; IeeeMode: 1
; LDSByteSize: 0 bytes/workgroup (compile time only)
; SGPRBlocks: 0
; VGPRBlocks: 0
; NumSGPRsForWavesPerEU: 4
; NumVGPRsForWavesPerEU: 1
; AccumOffset: 4
; Occupancy: 8
; WaveLimiterHint : 0
; COMPUTE_PGM_RSRC2:SCRATCH_EN: 0
; COMPUTE_PGM_RSRC2:USER_SGPR: 6
; COMPUTE_PGM_RSRC2:TRAP_HANDLER: 0
; COMPUTE_PGM_RSRC2:TGID_X_EN: 1
; COMPUTE_PGM_RSRC2:TGID_Y_EN: 0
; COMPUTE_PGM_RSRC2:TGID_Z_EN: 0
; COMPUTE_PGM_RSRC2:TIDIG_COMP_CNT: 0
; COMPUTE_PGM_RSRC3_GFX90A:ACCUM_OFFSET: 0
; COMPUTE_PGM_RSRC3_GFX90A:TG_SPLIT: 0
	.section	.text._ZN7rocprim17ROCPRIM_400000_NS6detail17trampoline_kernelINS0_14default_configENS1_38merge_sort_block_merge_config_selectorIN3c104HalfElEEZZNS1_27merge_sort_block_merge_implIS3_PS6_N6thrust23THRUST_200600_302600_NS10device_ptrIlEEmNSB_4lessIS6_EEEE10hipError_tT0_T1_T2_jT3_P12ihipStream_tbPNSt15iterator_traitsISH_E10value_typeEPNSN_ISI_E10value_typeEPSJ_NS1_7vsmem_tEENKUlT_SH_SI_SJ_E_clIS9_S9_SD_PlEESG_SW_SH_SI_SJ_EUlSW_E0_NS1_11comp_targetILNS1_3genE5ELNS1_11target_archE942ELNS1_3gpuE9ELNS1_3repE0EEENS1_38merge_mergepath_config_static_selectorELNS0_4arch9wavefront6targetE1EEEvSI_,"axG",@progbits,_ZN7rocprim17ROCPRIM_400000_NS6detail17trampoline_kernelINS0_14default_configENS1_38merge_sort_block_merge_config_selectorIN3c104HalfElEEZZNS1_27merge_sort_block_merge_implIS3_PS6_N6thrust23THRUST_200600_302600_NS10device_ptrIlEEmNSB_4lessIS6_EEEE10hipError_tT0_T1_T2_jT3_P12ihipStream_tbPNSt15iterator_traitsISH_E10value_typeEPNSN_ISI_E10value_typeEPSJ_NS1_7vsmem_tEENKUlT_SH_SI_SJ_E_clIS9_S9_SD_PlEESG_SW_SH_SI_SJ_EUlSW_E0_NS1_11comp_targetILNS1_3genE5ELNS1_11target_archE942ELNS1_3gpuE9ELNS1_3repE0EEENS1_38merge_mergepath_config_static_selectorELNS0_4arch9wavefront6targetE1EEEvSI_,comdat
	.protected	_ZN7rocprim17ROCPRIM_400000_NS6detail17trampoline_kernelINS0_14default_configENS1_38merge_sort_block_merge_config_selectorIN3c104HalfElEEZZNS1_27merge_sort_block_merge_implIS3_PS6_N6thrust23THRUST_200600_302600_NS10device_ptrIlEEmNSB_4lessIS6_EEEE10hipError_tT0_T1_T2_jT3_P12ihipStream_tbPNSt15iterator_traitsISH_E10value_typeEPNSN_ISI_E10value_typeEPSJ_NS1_7vsmem_tEENKUlT_SH_SI_SJ_E_clIS9_S9_SD_PlEESG_SW_SH_SI_SJ_EUlSW_E0_NS1_11comp_targetILNS1_3genE5ELNS1_11target_archE942ELNS1_3gpuE9ELNS1_3repE0EEENS1_38merge_mergepath_config_static_selectorELNS0_4arch9wavefront6targetE1EEEvSI_ ; -- Begin function _ZN7rocprim17ROCPRIM_400000_NS6detail17trampoline_kernelINS0_14default_configENS1_38merge_sort_block_merge_config_selectorIN3c104HalfElEEZZNS1_27merge_sort_block_merge_implIS3_PS6_N6thrust23THRUST_200600_302600_NS10device_ptrIlEEmNSB_4lessIS6_EEEE10hipError_tT0_T1_T2_jT3_P12ihipStream_tbPNSt15iterator_traitsISH_E10value_typeEPNSN_ISI_E10value_typeEPSJ_NS1_7vsmem_tEENKUlT_SH_SI_SJ_E_clIS9_S9_SD_PlEESG_SW_SH_SI_SJ_EUlSW_E0_NS1_11comp_targetILNS1_3genE5ELNS1_11target_archE942ELNS1_3gpuE9ELNS1_3repE0EEENS1_38merge_mergepath_config_static_selectorELNS0_4arch9wavefront6targetE1EEEvSI_
	.globl	_ZN7rocprim17ROCPRIM_400000_NS6detail17trampoline_kernelINS0_14default_configENS1_38merge_sort_block_merge_config_selectorIN3c104HalfElEEZZNS1_27merge_sort_block_merge_implIS3_PS6_N6thrust23THRUST_200600_302600_NS10device_ptrIlEEmNSB_4lessIS6_EEEE10hipError_tT0_T1_T2_jT3_P12ihipStream_tbPNSt15iterator_traitsISH_E10value_typeEPNSN_ISI_E10value_typeEPSJ_NS1_7vsmem_tEENKUlT_SH_SI_SJ_E_clIS9_S9_SD_PlEESG_SW_SH_SI_SJ_EUlSW_E0_NS1_11comp_targetILNS1_3genE5ELNS1_11target_archE942ELNS1_3gpuE9ELNS1_3repE0EEENS1_38merge_mergepath_config_static_selectorELNS0_4arch9wavefront6targetE1EEEvSI_
	.p2align	8
	.type	_ZN7rocprim17ROCPRIM_400000_NS6detail17trampoline_kernelINS0_14default_configENS1_38merge_sort_block_merge_config_selectorIN3c104HalfElEEZZNS1_27merge_sort_block_merge_implIS3_PS6_N6thrust23THRUST_200600_302600_NS10device_ptrIlEEmNSB_4lessIS6_EEEE10hipError_tT0_T1_T2_jT3_P12ihipStream_tbPNSt15iterator_traitsISH_E10value_typeEPNSN_ISI_E10value_typeEPSJ_NS1_7vsmem_tEENKUlT_SH_SI_SJ_E_clIS9_S9_SD_PlEESG_SW_SH_SI_SJ_EUlSW_E0_NS1_11comp_targetILNS1_3genE5ELNS1_11target_archE942ELNS1_3gpuE9ELNS1_3repE0EEENS1_38merge_mergepath_config_static_selectorELNS0_4arch9wavefront6targetE1EEEvSI_,@function
_ZN7rocprim17ROCPRIM_400000_NS6detail17trampoline_kernelINS0_14default_configENS1_38merge_sort_block_merge_config_selectorIN3c104HalfElEEZZNS1_27merge_sort_block_merge_implIS3_PS6_N6thrust23THRUST_200600_302600_NS10device_ptrIlEEmNSB_4lessIS6_EEEE10hipError_tT0_T1_T2_jT3_P12ihipStream_tbPNSt15iterator_traitsISH_E10value_typeEPNSN_ISI_E10value_typeEPSJ_NS1_7vsmem_tEENKUlT_SH_SI_SJ_E_clIS9_S9_SD_PlEESG_SW_SH_SI_SJ_EUlSW_E0_NS1_11comp_targetILNS1_3genE5ELNS1_11target_archE942ELNS1_3gpuE9ELNS1_3repE0EEENS1_38merge_mergepath_config_static_selectorELNS0_4arch9wavefront6targetE1EEEvSI_: ; @_ZN7rocprim17ROCPRIM_400000_NS6detail17trampoline_kernelINS0_14default_configENS1_38merge_sort_block_merge_config_selectorIN3c104HalfElEEZZNS1_27merge_sort_block_merge_implIS3_PS6_N6thrust23THRUST_200600_302600_NS10device_ptrIlEEmNSB_4lessIS6_EEEE10hipError_tT0_T1_T2_jT3_P12ihipStream_tbPNSt15iterator_traitsISH_E10value_typeEPNSN_ISI_E10value_typeEPSJ_NS1_7vsmem_tEENKUlT_SH_SI_SJ_E_clIS9_S9_SD_PlEESG_SW_SH_SI_SJ_EUlSW_E0_NS1_11comp_targetILNS1_3genE5ELNS1_11target_archE942ELNS1_3gpuE9ELNS1_3repE0EEENS1_38merge_mergepath_config_static_selectorELNS0_4arch9wavefront6targetE1EEEvSI_
; %bb.0:
	.section	.rodata,"a",@progbits
	.p2align	6, 0x0
	.amdhsa_kernel _ZN7rocprim17ROCPRIM_400000_NS6detail17trampoline_kernelINS0_14default_configENS1_38merge_sort_block_merge_config_selectorIN3c104HalfElEEZZNS1_27merge_sort_block_merge_implIS3_PS6_N6thrust23THRUST_200600_302600_NS10device_ptrIlEEmNSB_4lessIS6_EEEE10hipError_tT0_T1_T2_jT3_P12ihipStream_tbPNSt15iterator_traitsISH_E10value_typeEPNSN_ISI_E10value_typeEPSJ_NS1_7vsmem_tEENKUlT_SH_SI_SJ_E_clIS9_S9_SD_PlEESG_SW_SH_SI_SJ_EUlSW_E0_NS1_11comp_targetILNS1_3genE5ELNS1_11target_archE942ELNS1_3gpuE9ELNS1_3repE0EEENS1_38merge_mergepath_config_static_selectorELNS0_4arch9wavefront6targetE1EEEvSI_
		.amdhsa_group_segment_fixed_size 0
		.amdhsa_private_segment_fixed_size 0
		.amdhsa_kernarg_size 72
		.amdhsa_user_sgpr_count 6
		.amdhsa_user_sgpr_private_segment_buffer 1
		.amdhsa_user_sgpr_dispatch_ptr 0
		.amdhsa_user_sgpr_queue_ptr 0
		.amdhsa_user_sgpr_kernarg_segment_ptr 1
		.amdhsa_user_sgpr_dispatch_id 0
		.amdhsa_user_sgpr_flat_scratch_init 0
		.amdhsa_user_sgpr_kernarg_preload_length 0
		.amdhsa_user_sgpr_kernarg_preload_offset 0
		.amdhsa_user_sgpr_private_segment_size 0
		.amdhsa_uses_dynamic_stack 0
		.amdhsa_system_sgpr_private_segment_wavefront_offset 0
		.amdhsa_system_sgpr_workgroup_id_x 1
		.amdhsa_system_sgpr_workgroup_id_y 0
		.amdhsa_system_sgpr_workgroup_id_z 0
		.amdhsa_system_sgpr_workgroup_info 0
		.amdhsa_system_vgpr_workitem_id 0
		.amdhsa_next_free_vgpr 1
		.amdhsa_next_free_sgpr 0
		.amdhsa_accum_offset 4
		.amdhsa_reserve_vcc 0
		.amdhsa_reserve_flat_scratch 0
		.amdhsa_float_round_mode_32 0
		.amdhsa_float_round_mode_16_64 0
		.amdhsa_float_denorm_mode_32 3
		.amdhsa_float_denorm_mode_16_64 3
		.amdhsa_dx10_clamp 1
		.amdhsa_ieee_mode 1
		.amdhsa_fp16_overflow 0
		.amdhsa_tg_split 0
		.amdhsa_exception_fp_ieee_invalid_op 0
		.amdhsa_exception_fp_denorm_src 0
		.amdhsa_exception_fp_ieee_div_zero 0
		.amdhsa_exception_fp_ieee_overflow 0
		.amdhsa_exception_fp_ieee_underflow 0
		.amdhsa_exception_fp_ieee_inexact 0
		.amdhsa_exception_int_div_zero 0
	.end_amdhsa_kernel
	.section	.text._ZN7rocprim17ROCPRIM_400000_NS6detail17trampoline_kernelINS0_14default_configENS1_38merge_sort_block_merge_config_selectorIN3c104HalfElEEZZNS1_27merge_sort_block_merge_implIS3_PS6_N6thrust23THRUST_200600_302600_NS10device_ptrIlEEmNSB_4lessIS6_EEEE10hipError_tT0_T1_T2_jT3_P12ihipStream_tbPNSt15iterator_traitsISH_E10value_typeEPNSN_ISI_E10value_typeEPSJ_NS1_7vsmem_tEENKUlT_SH_SI_SJ_E_clIS9_S9_SD_PlEESG_SW_SH_SI_SJ_EUlSW_E0_NS1_11comp_targetILNS1_3genE5ELNS1_11target_archE942ELNS1_3gpuE9ELNS1_3repE0EEENS1_38merge_mergepath_config_static_selectorELNS0_4arch9wavefront6targetE1EEEvSI_,"axG",@progbits,_ZN7rocprim17ROCPRIM_400000_NS6detail17trampoline_kernelINS0_14default_configENS1_38merge_sort_block_merge_config_selectorIN3c104HalfElEEZZNS1_27merge_sort_block_merge_implIS3_PS6_N6thrust23THRUST_200600_302600_NS10device_ptrIlEEmNSB_4lessIS6_EEEE10hipError_tT0_T1_T2_jT3_P12ihipStream_tbPNSt15iterator_traitsISH_E10value_typeEPNSN_ISI_E10value_typeEPSJ_NS1_7vsmem_tEENKUlT_SH_SI_SJ_E_clIS9_S9_SD_PlEESG_SW_SH_SI_SJ_EUlSW_E0_NS1_11comp_targetILNS1_3genE5ELNS1_11target_archE942ELNS1_3gpuE9ELNS1_3repE0EEENS1_38merge_mergepath_config_static_selectorELNS0_4arch9wavefront6targetE1EEEvSI_,comdat
.Lfunc_end2160:
	.size	_ZN7rocprim17ROCPRIM_400000_NS6detail17trampoline_kernelINS0_14default_configENS1_38merge_sort_block_merge_config_selectorIN3c104HalfElEEZZNS1_27merge_sort_block_merge_implIS3_PS6_N6thrust23THRUST_200600_302600_NS10device_ptrIlEEmNSB_4lessIS6_EEEE10hipError_tT0_T1_T2_jT3_P12ihipStream_tbPNSt15iterator_traitsISH_E10value_typeEPNSN_ISI_E10value_typeEPSJ_NS1_7vsmem_tEENKUlT_SH_SI_SJ_E_clIS9_S9_SD_PlEESG_SW_SH_SI_SJ_EUlSW_E0_NS1_11comp_targetILNS1_3genE5ELNS1_11target_archE942ELNS1_3gpuE9ELNS1_3repE0EEENS1_38merge_mergepath_config_static_selectorELNS0_4arch9wavefront6targetE1EEEvSI_, .Lfunc_end2160-_ZN7rocprim17ROCPRIM_400000_NS6detail17trampoline_kernelINS0_14default_configENS1_38merge_sort_block_merge_config_selectorIN3c104HalfElEEZZNS1_27merge_sort_block_merge_implIS3_PS6_N6thrust23THRUST_200600_302600_NS10device_ptrIlEEmNSB_4lessIS6_EEEE10hipError_tT0_T1_T2_jT3_P12ihipStream_tbPNSt15iterator_traitsISH_E10value_typeEPNSN_ISI_E10value_typeEPSJ_NS1_7vsmem_tEENKUlT_SH_SI_SJ_E_clIS9_S9_SD_PlEESG_SW_SH_SI_SJ_EUlSW_E0_NS1_11comp_targetILNS1_3genE5ELNS1_11target_archE942ELNS1_3gpuE9ELNS1_3repE0EEENS1_38merge_mergepath_config_static_selectorELNS0_4arch9wavefront6targetE1EEEvSI_
                                        ; -- End function
	.section	.AMDGPU.csdata,"",@progbits
; Kernel info:
; codeLenInByte = 0
; NumSgprs: 4
; NumVgprs: 0
; NumAgprs: 0
; TotalNumVgprs: 0
; ScratchSize: 0
; MemoryBound: 0
; FloatMode: 240
; IeeeMode: 1
; LDSByteSize: 0 bytes/workgroup (compile time only)
; SGPRBlocks: 0
; VGPRBlocks: 0
; NumSGPRsForWavesPerEU: 4
; NumVGPRsForWavesPerEU: 1
; AccumOffset: 4
; Occupancy: 8
; WaveLimiterHint : 0
; COMPUTE_PGM_RSRC2:SCRATCH_EN: 0
; COMPUTE_PGM_RSRC2:USER_SGPR: 6
; COMPUTE_PGM_RSRC2:TRAP_HANDLER: 0
; COMPUTE_PGM_RSRC2:TGID_X_EN: 1
; COMPUTE_PGM_RSRC2:TGID_Y_EN: 0
; COMPUTE_PGM_RSRC2:TGID_Z_EN: 0
; COMPUTE_PGM_RSRC2:TIDIG_COMP_CNT: 0
; COMPUTE_PGM_RSRC3_GFX90A:ACCUM_OFFSET: 0
; COMPUTE_PGM_RSRC3_GFX90A:TG_SPLIT: 0
	.section	.text._ZN7rocprim17ROCPRIM_400000_NS6detail17trampoline_kernelINS0_14default_configENS1_38merge_sort_block_merge_config_selectorIN3c104HalfElEEZZNS1_27merge_sort_block_merge_implIS3_PS6_N6thrust23THRUST_200600_302600_NS10device_ptrIlEEmNSB_4lessIS6_EEEE10hipError_tT0_T1_T2_jT3_P12ihipStream_tbPNSt15iterator_traitsISH_E10value_typeEPNSN_ISI_E10value_typeEPSJ_NS1_7vsmem_tEENKUlT_SH_SI_SJ_E_clIS9_S9_SD_PlEESG_SW_SH_SI_SJ_EUlSW_E0_NS1_11comp_targetILNS1_3genE4ELNS1_11target_archE910ELNS1_3gpuE8ELNS1_3repE0EEENS1_38merge_mergepath_config_static_selectorELNS0_4arch9wavefront6targetE1EEEvSI_,"axG",@progbits,_ZN7rocprim17ROCPRIM_400000_NS6detail17trampoline_kernelINS0_14default_configENS1_38merge_sort_block_merge_config_selectorIN3c104HalfElEEZZNS1_27merge_sort_block_merge_implIS3_PS6_N6thrust23THRUST_200600_302600_NS10device_ptrIlEEmNSB_4lessIS6_EEEE10hipError_tT0_T1_T2_jT3_P12ihipStream_tbPNSt15iterator_traitsISH_E10value_typeEPNSN_ISI_E10value_typeEPSJ_NS1_7vsmem_tEENKUlT_SH_SI_SJ_E_clIS9_S9_SD_PlEESG_SW_SH_SI_SJ_EUlSW_E0_NS1_11comp_targetILNS1_3genE4ELNS1_11target_archE910ELNS1_3gpuE8ELNS1_3repE0EEENS1_38merge_mergepath_config_static_selectorELNS0_4arch9wavefront6targetE1EEEvSI_,comdat
	.protected	_ZN7rocprim17ROCPRIM_400000_NS6detail17trampoline_kernelINS0_14default_configENS1_38merge_sort_block_merge_config_selectorIN3c104HalfElEEZZNS1_27merge_sort_block_merge_implIS3_PS6_N6thrust23THRUST_200600_302600_NS10device_ptrIlEEmNSB_4lessIS6_EEEE10hipError_tT0_T1_T2_jT3_P12ihipStream_tbPNSt15iterator_traitsISH_E10value_typeEPNSN_ISI_E10value_typeEPSJ_NS1_7vsmem_tEENKUlT_SH_SI_SJ_E_clIS9_S9_SD_PlEESG_SW_SH_SI_SJ_EUlSW_E0_NS1_11comp_targetILNS1_3genE4ELNS1_11target_archE910ELNS1_3gpuE8ELNS1_3repE0EEENS1_38merge_mergepath_config_static_selectorELNS0_4arch9wavefront6targetE1EEEvSI_ ; -- Begin function _ZN7rocprim17ROCPRIM_400000_NS6detail17trampoline_kernelINS0_14default_configENS1_38merge_sort_block_merge_config_selectorIN3c104HalfElEEZZNS1_27merge_sort_block_merge_implIS3_PS6_N6thrust23THRUST_200600_302600_NS10device_ptrIlEEmNSB_4lessIS6_EEEE10hipError_tT0_T1_T2_jT3_P12ihipStream_tbPNSt15iterator_traitsISH_E10value_typeEPNSN_ISI_E10value_typeEPSJ_NS1_7vsmem_tEENKUlT_SH_SI_SJ_E_clIS9_S9_SD_PlEESG_SW_SH_SI_SJ_EUlSW_E0_NS1_11comp_targetILNS1_3genE4ELNS1_11target_archE910ELNS1_3gpuE8ELNS1_3repE0EEENS1_38merge_mergepath_config_static_selectorELNS0_4arch9wavefront6targetE1EEEvSI_
	.globl	_ZN7rocprim17ROCPRIM_400000_NS6detail17trampoline_kernelINS0_14default_configENS1_38merge_sort_block_merge_config_selectorIN3c104HalfElEEZZNS1_27merge_sort_block_merge_implIS3_PS6_N6thrust23THRUST_200600_302600_NS10device_ptrIlEEmNSB_4lessIS6_EEEE10hipError_tT0_T1_T2_jT3_P12ihipStream_tbPNSt15iterator_traitsISH_E10value_typeEPNSN_ISI_E10value_typeEPSJ_NS1_7vsmem_tEENKUlT_SH_SI_SJ_E_clIS9_S9_SD_PlEESG_SW_SH_SI_SJ_EUlSW_E0_NS1_11comp_targetILNS1_3genE4ELNS1_11target_archE910ELNS1_3gpuE8ELNS1_3repE0EEENS1_38merge_mergepath_config_static_selectorELNS0_4arch9wavefront6targetE1EEEvSI_
	.p2align	8
	.type	_ZN7rocprim17ROCPRIM_400000_NS6detail17trampoline_kernelINS0_14default_configENS1_38merge_sort_block_merge_config_selectorIN3c104HalfElEEZZNS1_27merge_sort_block_merge_implIS3_PS6_N6thrust23THRUST_200600_302600_NS10device_ptrIlEEmNSB_4lessIS6_EEEE10hipError_tT0_T1_T2_jT3_P12ihipStream_tbPNSt15iterator_traitsISH_E10value_typeEPNSN_ISI_E10value_typeEPSJ_NS1_7vsmem_tEENKUlT_SH_SI_SJ_E_clIS9_S9_SD_PlEESG_SW_SH_SI_SJ_EUlSW_E0_NS1_11comp_targetILNS1_3genE4ELNS1_11target_archE910ELNS1_3gpuE8ELNS1_3repE0EEENS1_38merge_mergepath_config_static_selectorELNS0_4arch9wavefront6targetE1EEEvSI_,@function
_ZN7rocprim17ROCPRIM_400000_NS6detail17trampoline_kernelINS0_14default_configENS1_38merge_sort_block_merge_config_selectorIN3c104HalfElEEZZNS1_27merge_sort_block_merge_implIS3_PS6_N6thrust23THRUST_200600_302600_NS10device_ptrIlEEmNSB_4lessIS6_EEEE10hipError_tT0_T1_T2_jT3_P12ihipStream_tbPNSt15iterator_traitsISH_E10value_typeEPNSN_ISI_E10value_typeEPSJ_NS1_7vsmem_tEENKUlT_SH_SI_SJ_E_clIS9_S9_SD_PlEESG_SW_SH_SI_SJ_EUlSW_E0_NS1_11comp_targetILNS1_3genE4ELNS1_11target_archE910ELNS1_3gpuE8ELNS1_3repE0EEENS1_38merge_mergepath_config_static_selectorELNS0_4arch9wavefront6targetE1EEEvSI_: ; @_ZN7rocprim17ROCPRIM_400000_NS6detail17trampoline_kernelINS0_14default_configENS1_38merge_sort_block_merge_config_selectorIN3c104HalfElEEZZNS1_27merge_sort_block_merge_implIS3_PS6_N6thrust23THRUST_200600_302600_NS10device_ptrIlEEmNSB_4lessIS6_EEEE10hipError_tT0_T1_T2_jT3_P12ihipStream_tbPNSt15iterator_traitsISH_E10value_typeEPNSN_ISI_E10value_typeEPSJ_NS1_7vsmem_tEENKUlT_SH_SI_SJ_E_clIS9_S9_SD_PlEESG_SW_SH_SI_SJ_EUlSW_E0_NS1_11comp_targetILNS1_3genE4ELNS1_11target_archE910ELNS1_3gpuE8ELNS1_3repE0EEENS1_38merge_mergepath_config_static_selectorELNS0_4arch9wavefront6targetE1EEEvSI_
; %bb.0:
	s_load_dwordx2 s[28:29], s[4:5], 0x48
	s_load_dword s2, s[4:5], 0x38
	s_add_u32 s0, s4, 0x48
	s_addc_u32 s1, s5, 0
	s_waitcnt lgkmcnt(0)
	s_mul_i32 s3, s29, s8
	s_add_i32 s3, s3, s7
	s_mul_i32 s3, s3, s28
	s_add_i32 s26, s3, s6
	s_cmp_ge_u32 s26, s2
	s_cbranch_scc1 .LBB2161_55
; %bb.1:
	s_load_dwordx2 s[2:3], s[4:5], 0x40
	s_load_dwordx4 s[16:19], s[4:5], 0x28
	s_load_dwordx8 s[8:15], s[4:5], 0x8
	s_mov_b32 s27, 0
	s_lshl_b64 s[4:5], s[26:27], 3
	s_waitcnt lgkmcnt(0)
	s_add_u32 s2, s2, s4
	v_mov_b32_e32 v1, s18
	s_addc_u32 s3, s3, s5
	v_alignbit_b32 v1, s19, v1, 9
	s_load_dwordx4 s[20:23], s[2:3], 0x0
	v_readfirstlane_b32 s2, v1
	s_and_b32 s2, s2, -2
	s_sub_i32 s31, 0, s2
	s_and_b32 s4, s26, s31
	s_mov_b32 s5, s27
	s_lshl_b64 s[2:3], s[4:5], 10
	s_lshl_b64 s[24:25], s[26:27], 10
	s_sub_u32 s29, s24, s2
	s_subb_u32 s33, s25, s3
	s_lshl_b64 s[4:5], s[4:5], 11
	s_add_u32 s7, s4, s18
	s_addc_u32 s30, s5, s19
	s_add_u32 s4, s7, s29
	s_addc_u32 s5, s30, s33
	s_waitcnt lgkmcnt(0)
	s_sub_u32 s29, s4, s22
	s_subb_u32 s23, s5, s23
	s_add_u32 s34, s29, 0x400
	s_addc_u32 s35, s23, 0
	v_pk_mov_b32 v[2:3], s[34:35], s[34:35] op_sel:[0,1]
	v_cmp_lt_u64_e32 vcc, s[16:17], v[2:3]
	s_and_b64 s[36:37], vcc, exec
	s_cselect_b32 s29, s16, s34
	s_or_b32 s23, s26, s31
	s_cmp_lg_u32 s23, -1
	s_cbranch_scc1 .LBB2161_3
; %bb.2:
	s_sub_u32 s2, s7, s2
	s_subb_u32 s3, s30, s3
	v_pk_mov_b32 v[2:3], s[2:3], s[2:3] op_sel:[0,1]
	v_cmp_lt_u64_e32 vcc, s[16:17], v[2:3]
	s_and_b64 s[22:23], vcc, exec
	s_cselect_b32 s22, s16, s2
	s_add_u32 s2, s2, s18
	s_addc_u32 s3, s3, s19
	v_pk_mov_b32 v[2:3], s[2:3], s[2:3] op_sel:[0,1]
	v_cmp_lt_u64_e32 vcc, s[16:17], v[2:3]
	s_and_b64 s[18:19], vcc, exec
	s_cselect_b32 s29, s16, s2
.LBB2161_3:
	s_lshr_b64 s[30:31], s[16:17], 10
	s_cmp_lg_u64 s[30:31], s[26:27]
	s_cselect_b64 s[18:19], -1, 0
	s_sub_u32 s2, s4, s20
	s_subb_u32 s3, s5, s21
	v_pk_mov_b32 v[2:3], s[2:3], s[2:3] op_sel:[0,1]
	v_cmp_lt_u64_e32 vcc, s[16:17], v[2:3]
	s_and_b64 s[4:5], vcc, exec
	s_cselect_b32 s3, s17, s3
	s_cselect_b32 s2, s16, s2
	s_sub_i32 s17, s22, s20
	s_lshl_b64 s[4:5], s[20:21], 1
	s_add_u32 s22, s8, s4
	s_addc_u32 s23, s9, s5
	s_lshl_b64 s[4:5], s[2:3], 1
	s_add_u32 s7, s8, s4
	s_addc_u32 s8, s9, s5
	s_cmp_lt_u32 s6, s28
	v_mov_b32_e32 v3, 0
	s_cselect_b32 s4, 12, 18
	global_load_dword v1, v3, s[0:1] offset:14
	s_add_u32 s0, s0, s4
	s_addc_u32 s1, s1, 0
	global_load_ushort v2, v3, s[0:1]
	s_cmp_eq_u64 s[30:31], s[26:27]
	s_waitcnt vmcnt(1)
	v_lshrrev_b32_e32 v4, 16, v1
	v_and_b32_e32 v1, 0xffff, v1
	v_mul_lo_u32 v1, v1, v4
	s_waitcnt vmcnt(0)
	v_mul_lo_u32 v15, v1, v2
	v_add_u32_e32 v12, v15, v0
	v_lshlrev_b32_e32 v1, 1, v0
	v_add_u32_e32 v10, v12, v15
	s_cbranch_scc1 .LBB2161_5
; %bb.4:
	v_mov_b32_e32 v2, s23
	v_add_co_u32_e32 v6, vcc, s22, v1
	v_addc_co_u32_e32 v7, vcc, 0, v2, vcc
	v_subrev_u32_e32 v2, s17, v0
	v_lshlrev_b64 v[4:5], 1, v[2:3]
	v_mov_b32_e32 v2, s8
	v_add_co_u32_e32 v4, vcc, s7, v4
	v_addc_co_u32_e32 v2, vcc, v2, v5, vcc
	v_cmp_gt_u32_e32 vcc, s17, v0
	v_cndmask_b32_e32 v5, v2, v7, vcc
	v_cndmask_b32_e32 v4, v4, v6, vcc
	v_mov_b32_e32 v13, v3
	global_load_ushort v17, v[4:5], off
	v_lshlrev_b64 v[4:5], 1, v[12:13]
	v_mov_b32_e32 v2, s23
	v_add_co_u32_e32 v6, vcc, s22, v4
	v_addc_co_u32_e32 v7, vcc, v2, v5, vcc
	v_subrev_u32_e32 v2, s17, v12
	v_lshlrev_b64 v[4:5], 1, v[2:3]
	v_mov_b32_e32 v2, s8
	v_add_co_u32_e32 v4, vcc, s7, v4
	v_addc_co_u32_e32 v2, vcc, v2, v5, vcc
	v_cmp_gt_u32_e32 vcc, s17, v12
	v_cndmask_b32_e32 v5, v2, v7, vcc
	v_cndmask_b32_e32 v4, v4, v6, vcc
	v_mov_b32_e32 v11, v3
	global_load_ushort v18, v[4:5], off
	v_lshlrev_b64 v[4:5], 1, v[10:11]
	v_mov_b32_e32 v2, s23
	v_add_co_u32_e32 v4, vcc, s22, v4
	v_addc_co_u32_e32 v5, vcc, v2, v5, vcc
	v_subrev_u32_e32 v2, s17, v10
	v_lshlrev_b64 v[2:3], 1, v[2:3]
	v_mov_b32_e32 v6, s8
	v_add_co_u32_e32 v2, vcc, s7, v2
	v_addc_co_u32_e32 v3, vcc, v6, v3, vcc
	v_cmp_gt_u32_e32 vcc, s17, v10
	v_cndmask_b32_e32 v3, v3, v5, vcc
	v_cndmask_b32_e32 v2, v2, v4, vcc
	global_load_ushort v19, v[2:3], off
	v_add_u32_e32 v2, v10, v15
	s_mov_b64 s[0:1], -1
	s_sub_i32 s6, s29, s2
	s_cbranch_execz .LBB2161_6
	s_branch .LBB2161_13
.LBB2161_5:
	s_mov_b64 s[0:1], 0
                                        ; implicit-def: $vgpr19
                                        ; implicit-def: $vgpr18
                                        ; implicit-def: $vgpr17
                                        ; implicit-def: $vgpr2
	s_sub_i32 s6, s29, s2
.LBB2161_6:
	s_add_i32 s4, s17, s6
	v_cmp_gt_u32_e32 vcc, s4, v0
                                        ; implicit-def: $vgpr17
	s_and_saveexec_b64 s[0:1], vcc
	s_cbranch_execz .LBB2161_8
; %bb.7:
	v_mov_b32_e32 v2, s23
	v_add_co_u32_e32 v4, vcc, s22, v1
	v_mov_b32_e32 v3, 0
	v_addc_co_u32_e32 v5, vcc, 0, v2, vcc
	v_subrev_u32_e32 v2, s17, v0
	v_lshlrev_b64 v[2:3], 1, v[2:3]
	v_mov_b32_e32 v6, s8
	v_add_co_u32_e32 v2, vcc, s7, v2
	v_addc_co_u32_e32 v3, vcc, v6, v3, vcc
	v_cmp_gt_u32_e32 vcc, s17, v0
	v_cndmask_b32_e32 v3, v3, v5, vcc
	v_cndmask_b32_e32 v2, v2, v4, vcc
	global_load_ushort v17, v[2:3], off
.LBB2161_8:
	s_or_b64 exec, exec, s[0:1]
	v_cmp_gt_u32_e32 vcc, s4, v12
                                        ; implicit-def: $vgpr18
	s_and_saveexec_b64 s[0:1], vcc
	s_cbranch_execz .LBB2161_10
; %bb.9:
	v_mov_b32_e32 v13, 0
	v_lshlrev_b64 v[2:3], 1, v[12:13]
	v_mov_b32_e32 v4, s23
	v_add_co_u32_e32 v5, vcc, s22, v2
	v_addc_co_u32_e32 v4, vcc, v4, v3, vcc
	v_subrev_u32_e32 v2, s17, v12
	v_mov_b32_e32 v3, v13
	v_lshlrev_b64 v[2:3], 1, v[2:3]
	v_mov_b32_e32 v6, s8
	v_add_co_u32_e32 v2, vcc, s7, v2
	v_addc_co_u32_e32 v3, vcc, v6, v3, vcc
	v_cmp_gt_u32_e32 vcc, s17, v12
	v_cndmask_b32_e32 v3, v3, v4, vcc
	v_cndmask_b32_e32 v2, v2, v5, vcc
	global_load_ushort v18, v[2:3], off
.LBB2161_10:
	s_or_b64 exec, exec, s[0:1]
	v_cmp_gt_u32_e32 vcc, s4, v10
                                        ; implicit-def: $vgpr19
	s_and_saveexec_b64 s[0:1], vcc
	s_cbranch_execz .LBB2161_12
; %bb.11:
	v_mov_b32_e32 v11, 0
	v_lshlrev_b64 v[2:3], 1, v[10:11]
	v_mov_b32_e32 v4, s23
	v_add_co_u32_e32 v5, vcc, s22, v2
	v_addc_co_u32_e32 v4, vcc, v4, v3, vcc
	v_subrev_u32_e32 v2, s17, v10
	v_mov_b32_e32 v3, v11
	v_lshlrev_b64 v[2:3], 1, v[2:3]
	v_mov_b32_e32 v6, s8
	v_add_co_u32_e32 v2, vcc, s7, v2
	v_addc_co_u32_e32 v3, vcc, v6, v3, vcc
	v_cmp_gt_u32_e32 vcc, s17, v10
	v_cndmask_b32_e32 v3, v3, v4, vcc
	v_cndmask_b32_e32 v2, v2, v5, vcc
	global_load_ushort v19, v[2:3], off
.LBB2161_12:
	s_or_b64 exec, exec, s[0:1]
	v_add_u32_e32 v2, v10, v15
	v_cmp_gt_u32_e64 s[0:1], s4, v2
.LBB2161_13:
                                        ; implicit-def: $vgpr20
	s_and_saveexec_b64 s[4:5], s[0:1]
	s_cbranch_execz .LBB2161_15
; %bb.14:
	v_mov_b32_e32 v3, 0
	v_lshlrev_b64 v[4:5], 1, v[2:3]
	v_mov_b32_e32 v6, s23
	v_add_co_u32_e32 v4, vcc, s22, v4
	v_addc_co_u32_e32 v5, vcc, v6, v5, vcc
	v_cmp_gt_u32_e32 vcc, s17, v2
	v_subrev_u32_e32 v2, s17, v2
	v_lshlrev_b64 v[2:3], 1, v[2:3]
	v_mov_b32_e32 v6, s8
	v_add_co_u32_e64 v2, s[0:1], s7, v2
	v_addc_co_u32_e64 v3, s[0:1], v6, v3, s[0:1]
	v_cndmask_b32_e32 v3, v3, v5, vcc
	v_cndmask_b32_e32 v2, v2, v4, vcc
	global_load_ushort v20, v[2:3], off
.LBB2161_15:
	s_or_b64 exec, exec, s[4:5]
	s_lshl_b64 s[0:1], s[20:21], 3
	s_add_u32 s4, s12, s0
	s_addc_u32 s5, s13, s1
	s_lshl_b64 s[0:1], s[2:3], 3
	s_add_u32 s7, s12, s0
	s_addc_u32 s8, s13, s1
	s_andn2_b64 vcc, exec, s[18:19]
	v_lshlrev_b32_e32 v16, 3, v0
	s_waitcnt vmcnt(0)
	ds_write_b16 v1, v17
	ds_write_b16 v1, v18 offset:512
	ds_write_b16 v1, v19 offset:1024
	;; [unrolled: 1-line block ×3, first 2 shown]
	s_cbranch_vccnz .LBB2161_17
; %bb.16:
	v_subrev_u32_e32 v6, s17, v0
	v_mov_b32_e32 v7, 0
	v_lshlrev_b64 v[2:3], 3, v[6:7]
	v_mov_b32_e32 v4, s8
	v_add_co_u32_e32 v2, vcc, s7, v2
	v_addc_co_u32_e32 v3, vcc, v4, v3, vcc
	v_mov_b32_e32 v4, s5
	v_add_co_u32_e32 v5, vcc, s4, v16
	v_addc_co_u32_e32 v4, vcc, 0, v4, vcc
	v_cmp_gt_u32_e32 vcc, s17, v0
	v_subrev_u32_e32 v6, s17, v12
	v_cndmask_b32_e32 v3, v3, v4, vcc
	v_cndmask_b32_e32 v2, v2, v5, vcc
	v_lshlrev_b64 v[4:5], 3, v[6:7]
	v_mov_b32_e32 v6, s8
	v_add_co_u32_e32 v8, vcc, s7, v4
	v_mov_b32_e32 v13, v7
	v_addc_co_u32_e32 v6, vcc, v6, v5, vcc
	v_lshlrev_b64 v[4:5], 3, v[12:13]
	v_mov_b32_e32 v9, s5
	v_add_co_u32_e32 v4, vcc, s4, v4
	v_addc_co_u32_e32 v5, vcc, v9, v5, vcc
	v_cmp_gt_u32_e32 vcc, s17, v12
	v_cndmask_b32_e32 v5, v6, v5, vcc
	v_subrev_u32_e32 v6, s17, v10
	v_cndmask_b32_e32 v4, v8, v4, vcc
	v_lshlrev_b64 v[8:9], 3, v[6:7]
	v_mov_b32_e32 v6, s8
	v_add_co_u32_e32 v8, vcc, s7, v8
	v_mov_b32_e32 v11, v7
	v_addc_co_u32_e32 v9, vcc, v6, v9, vcc
	v_lshlrev_b64 v[6:7], 3, v[10:11]
	v_mov_b32_e32 v11, s5
	v_add_co_u32_e32 v6, vcc, s4, v6
	v_addc_co_u32_e32 v7, vcc, v11, v7, vcc
	v_cmp_gt_u32_e32 vcc, s17, v10
	v_cndmask_b32_e32 v7, v9, v7, vcc
	v_cndmask_b32_e32 v6, v8, v6, vcc
	global_load_dwordx2 v[2:3], v[2:3], off
	v_add_u32_e32 v14, v10, v15
	global_load_dwordx2 v[4:5], v[4:5], off
	s_add_i32 s9, s17, s6
	global_load_dwordx2 v[6:7], v[6:7], off
	s_mov_b64 s[0:1], -1
	s_cbranch_execz .LBB2161_18
	s_branch .LBB2161_23
.LBB2161_17:
	s_mov_b64 s[0:1], 0
                                        ; implicit-def: $vgpr14
                                        ; implicit-def: $vgpr2_vgpr3_vgpr4_vgpr5_vgpr6_vgpr7_vgpr8_vgpr9
                                        ; implicit-def: $sgpr9
.LBB2161_18:
	s_add_i32 s9, s17, s6
	v_cmp_gt_u32_e32 vcc, s9, v0
                                        ; implicit-def: $vgpr2_vgpr3_vgpr4_vgpr5_vgpr6_vgpr7_vgpr8_vgpr9
	s_and_saveexec_b64 s[0:1], vcc
	s_cbranch_execz .LBB2161_37
; %bb.19:
	s_waitcnt vmcnt(2)
	v_mov_b32_e32 v2, s5
	s_waitcnt vmcnt(1)
	v_add_co_u32_e32 v4, vcc, s4, v16
	v_mov_b32_e32 v3, 0
	v_addc_co_u32_e32 v5, vcc, 0, v2, vcc
	v_subrev_u32_e32 v2, s17, v0
	v_lshlrev_b64 v[2:3], 3, v[2:3]
	s_waitcnt vmcnt(0)
	v_mov_b32_e32 v6, s8
	v_add_co_u32_e32 v2, vcc, s7, v2
	v_addc_co_u32_e32 v3, vcc, v6, v3, vcc
	v_cmp_gt_u32_e32 vcc, s17, v0
	v_cndmask_b32_e32 v3, v3, v5, vcc
	v_cndmask_b32_e32 v2, v2, v4, vcc
	global_load_dwordx2 v[2:3], v[2:3], off
	s_or_b64 exec, exec, s[0:1]
	v_cmp_gt_u32_e32 vcc, s9, v12
	s_and_saveexec_b64 s[2:3], vcc
	s_cbranch_execnz .LBB2161_38
.LBB2161_20:
	s_or_b64 exec, exec, s[2:3]
	v_cmp_gt_u32_e32 vcc, s9, v10
	s_and_saveexec_b64 s[0:1], vcc
	s_cbranch_execz .LBB2161_22
.LBB2161_21:
	v_mov_b32_e32 v11, 0
	s_waitcnt vmcnt(0)
	v_lshlrev_b64 v[6:7], 3, v[10:11]
	v_mov_b32_e32 v12, s5
	v_add_co_u32_e32 v13, vcc, s4, v6
	v_addc_co_u32_e32 v12, vcc, v12, v7, vcc
	v_subrev_u32_e32 v6, s17, v10
	v_mov_b32_e32 v7, v11
	v_lshlrev_b64 v[6:7], 3, v[6:7]
	v_mov_b32_e32 v11, s8
	v_add_co_u32_e32 v6, vcc, s7, v6
	v_addc_co_u32_e32 v7, vcc, v11, v7, vcc
	v_cmp_gt_u32_e32 vcc, s17, v10
	v_cndmask_b32_e32 v7, v7, v12, vcc
	v_cndmask_b32_e32 v6, v6, v13, vcc
	global_load_dwordx2 v[6:7], v[6:7], off
.LBB2161_22:
	s_or_b64 exec, exec, s[0:1]
	v_add_u32_e32 v14, v10, v15
	v_cmp_gt_u32_e64 s[0:1], s9, v14
.LBB2161_23:
	v_mov_b32_e32 v10, s9
	s_and_saveexec_b64 s[2:3], s[0:1]
	s_cbranch_execz .LBB2161_25
; %bb.24:
	v_subrev_u32_e32 v8, s17, v14
	v_mov_b32_e32 v9, 0
	v_lshlrev_b64 v[10:11], 3, v[8:9]
	v_mov_b32_e32 v8, s8
	v_add_co_u32_e32 v10, vcc, s7, v10
	v_mov_b32_e32 v15, v9
	v_addc_co_u32_e32 v11, vcc, v8, v11, vcc
	v_lshlrev_b64 v[8:9], 3, v[14:15]
	v_mov_b32_e32 v12, s5
	v_add_co_u32_e32 v8, vcc, s4, v8
	v_addc_co_u32_e32 v9, vcc, v12, v9, vcc
	v_cmp_gt_u32_e32 vcc, s17, v14
	v_cndmask_b32_e32 v9, v11, v9, vcc
	v_cndmask_b32_e32 v8, v10, v8, vcc
	global_load_dwordx2 v[8:9], v[8:9], off
	v_mov_b32_e32 v10, s9
.LBB2161_25:
	s_or_b64 exec, exec, s[2:3]
	v_lshlrev_b32_e32 v12, 2, v0
	v_min_u32_e32 v13, v10, v12
	v_sub_u32_e64 v11, v13, s6 clamp
	v_min_u32_e32 v14, s17, v13
	v_cmp_lt_u32_e32 vcc, v11, v14
	s_waitcnt lgkmcnt(0)
	s_barrier
	s_and_saveexec_b64 s[0:1], vcc
	s_cbranch_execz .LBB2161_29
; %bb.26:
	v_lshlrev_b32_e32 v15, 1, v13
	v_lshl_add_u32 v15, s17, 1, v15
	s_mov_b64 s[2:3], 0
.LBB2161_27:                            ; =>This Inner Loop Header: Depth=1
	v_add_u32_e32 v21, v14, v11
	v_lshrrev_b32_e32 v22, 1, v21
	v_not_b32_e32 v23, v22
	v_and_b32_e32 v21, -2, v21
	v_lshl_add_u32 v23, v23, 1, v15
	ds_read_u16 v21, v21
	ds_read_u16 v23, v23
	v_add_u32_e32 v24, 1, v22
	s_waitcnt lgkmcnt(0)
	v_cmp_lt_f16_e32 vcc, v23, v21
	v_cndmask_b32_e32 v14, v14, v22, vcc
	v_cndmask_b32_e32 v11, v24, v11, vcc
	v_cmp_ge_u32_e32 vcc, v11, v14
	s_or_b64 s[2:3], vcc, s[2:3]
	s_andn2_b64 exec, exec, s[2:3]
	s_cbranch_execnz .LBB2161_27
; %bb.28:
	s_or_b64 exec, exec, s[2:3]
.LBB2161_29:
	s_or_b64 exec, exec, s[0:1]
	v_sub_u32_e32 v13, v13, v11
	v_add_u32_e32 v23, s17, v13
	v_cmp_ge_u32_e32 vcc, s17, v11
	v_cmp_le_u32_e64 s[0:1], v23, v10
	s_or_b64 s[0:1], vcc, s[0:1]
                                        ; implicit-def: $vgpr22
                                        ; implicit-def: $vgpr21
                                        ; implicit-def: $vgpr15
                                        ; implicit-def: $vgpr13
	s_and_saveexec_b64 s[8:9], s[0:1]
	s_cbranch_execz .LBB2161_35
; %bb.30:
	v_cmp_gt_u32_e32 vcc, s17, v11
                                        ; implicit-def: $vgpr14
	s_and_saveexec_b64 s[0:1], vcc
	s_cbranch_execz .LBB2161_32
; %bb.31:
	v_lshlrev_b32_e32 v13, 1, v11
	ds_read_u16 v14, v13
.LBB2161_32:
	s_or_b64 exec, exec, s[0:1]
	v_cmp_ge_u32_e64 s[0:1], v23, v10
	v_cmp_lt_u32_e64 s[2:3], v23, v10
                                        ; implicit-def: $vgpr17
	s_and_saveexec_b64 s[4:5], s[2:3]
	s_cbranch_execz .LBB2161_34
; %bb.33:
	v_lshlrev_b32_e32 v13, 1, v23
	ds_read_u16 v17, v13
.LBB2161_34:
	s_or_b64 exec, exec, s[4:5]
	s_waitcnt lgkmcnt(0)
	v_cmp_nlt_f16_e64 s[2:3], v17, v14
	s_and_b64 s[2:3], vcc, s[2:3]
	s_or_b64 vcc, s[0:1], s[2:3]
	v_mov_b32_e32 v18, s17
	v_cndmask_b32_e32 v13, v23, v11, vcc
	v_cndmask_b32_e32 v15, v10, v18, vcc
	v_add_u32_e32 v19, 1, v13
	v_add_u32_e32 v15, -1, v15
	v_min_u32_e32 v15, v19, v15
	v_lshlrev_b32_e32 v15, 1, v15
	ds_read_u16 v15, v15
	v_cndmask_b32_e32 v11, v11, v19, vcc
	v_cndmask_b32_e32 v21, v19, v23, vcc
	v_cmp_gt_u32_e64 s[2:3], s17, v11
	v_cmp_ge_u32_e64 s[0:1], v21, v10
	s_waitcnt lgkmcnt(0)
	v_cndmask_b32_e32 v20, v15, v17, vcc
	v_cndmask_b32_e32 v22, v14, v15, vcc
	v_cmp_nlt_f16_e64 s[4:5], v20, v22
	s_and_b64 s[2:3], s[2:3], s[4:5]
	s_or_b64 s[0:1], s[0:1], s[2:3]
	v_cndmask_b32_e64 v15, v21, v11, s[0:1]
	v_cndmask_b32_e64 v19, v10, v18, s[0:1]
	v_add_u32_e32 v23, 1, v15
	v_add_u32_e32 v19, -1, v19
	v_min_u32_e32 v19, v23, v19
	v_lshlrev_b32_e32 v19, 1, v19
	ds_read_u16 v19, v19
	v_cndmask_b32_e64 v11, v11, v23, s[0:1]
	v_cndmask_b32_e64 v26, v23, v21, s[0:1]
	v_cmp_gt_u32_e64 s[4:5], s17, v11
	v_cmp_ge_u32_e64 s[2:3], v26, v10
	s_waitcnt lgkmcnt(0)
	v_cndmask_b32_e64 v24, v19, v20, s[0:1]
	v_cndmask_b32_e64 v25, v22, v19, s[0:1]
	v_cmp_nlt_f16_e64 s[6:7], v24, v25
	s_and_b64 s[4:5], s[4:5], s[6:7]
	s_or_b64 s[2:3], s[2:3], s[4:5]
	v_cndmask_b32_e64 v21, v26, v11, s[2:3]
	v_cndmask_b32_e64 v18, v10, v18, s[2:3]
	v_add_u32_e32 v23, 1, v21
	v_add_u32_e32 v18, -1, v18
	v_min_u32_e32 v18, v23, v18
	v_lshlrev_b32_e32 v18, 1, v18
	ds_read_u16 v27, v18
	v_cndmask_b32_e32 v17, v17, v14, vcc
	v_cndmask_b32_e64 v18, v20, v22, s[0:1]
	v_cndmask_b32_e64 v11, v11, v23, s[2:3]
	;; [unrolled: 1-line block ×3, first 2 shown]
	s_waitcnt lgkmcnt(0)
	v_cndmask_b32_e64 v14, v27, v24, s[2:3]
	v_cndmask_b32_e64 v20, v25, v27, s[2:3]
	;; [unrolled: 1-line block ×3, first 2 shown]
	v_cmp_gt_u32_e64 s[0:1], s17, v11
	v_cmp_nlt_f16_e64 s[2:3], v14, v20
	v_cmp_ge_u32_e32 vcc, v22, v10
	s_and_b64 s[0:1], s[0:1], s[2:3]
	s_or_b64 vcc, vcc, s[0:1]
	v_cndmask_b32_e32 v22, v22, v11, vcc
	v_cndmask_b32_e32 v20, v14, v20, vcc
.LBB2161_35:
	s_or_b64 exec, exec, s[8:9]
	v_lshrrev_b32_e32 v10, 2, v0
	v_mad_u32_u24 v14, v0, 6, v1
	v_and_b32_e32 v10, 60, v10
	s_mov_b32 s2, 0x5040100
	s_barrier
	s_waitcnt vmcnt(0)
	ds_write2st64_b64 v14, v[2:3], v[4:5] offset1:4
	ds_write2st64_b64 v14, v[6:7], v[8:9] offset0:8 offset1:12
	v_lshlrev_b32_e32 v2, 3, v13
	v_lshlrev_b32_e32 v3, 3, v15
	;; [unrolled: 1-line block ×4, first 2 shown]
	v_add_u32_e32 v10, v14, v10
	v_perm_b32 v11, v20, v19, s2
	v_perm_b32 v13, v18, v17, s2
	s_waitcnt lgkmcnt(0)
	s_barrier
	ds_read_b64 v[6:7], v2
	ds_read_b64 v[8:9], v3
	;; [unrolled: 1-line block ×4, first 2 shown]
	s_waitcnt lgkmcnt(0)
	s_barrier
	s_barrier
	ds_write2_b32 v10, v13, v11 offset1:1
	v_lshrrev_b32_e32 v10, 4, v0
	v_and_b32_e32 v10, 12, v10
	v_or_b32_e32 v23, 0x100, v0
	v_add_u32_e32 v24, v1, v10
	v_lshrrev_b32_e32 v10, 4, v23
	v_and_b32_e32 v10, 28, v10
	v_or_b32_e32 v22, 0x200, v0
	v_add_u32_e32 v25, v1, v10
	v_lshrrev_b32_e32 v10, 4, v22
	s_lshl_b64 s[0:1], s[24:25], 1
	v_and_b32_e32 v10, 44, v10
	v_or_b32_e32 v20, 0x300, v0
	s_add_u32 s0, s10, s0
	v_add_u32_e32 v26, v1, v10
	v_lshrrev_b32_e32 v10, 4, v20
	s_addc_u32 s1, s11, s1
	v_and_b32_e32 v10, 60, v10
	v_add_u32_e32 v27, v1, v10
	v_mov_b32_e32 v11, s1
	v_add_co_u32_e32 v10, vcc, s0, v1
	v_lshrrev_b32_e32 v13, 5, v23
	v_lshrrev_b32_e32 v17, 5, v22
	v_lshrrev_b32_e32 v18, 5, v20
	v_addc_co_u32_e32 v11, vcc, 0, v11, vcc
	v_lshrrev_b32_e32 v21, 3, v0
	v_lshrrev_b32_e32 v15, 5, v0
	s_and_b64 vcc, exec, s[18:19]
	v_lshlrev_b32_e32 v19, 3, v12
	v_lshl_add_u32 v1, v13, 3, v14
	v_lshl_add_u32 v17, v17, 3, v14
	;; [unrolled: 1-line block ×3, first 2 shown]
	s_waitcnt lgkmcnt(0)
	s_cbranch_vccz .LBB2161_39
; %bb.36:
	s_barrier
	ds_read_u16 v12, v24
	ds_read_u16 v13, v25 offset:512
	ds_read_u16 v28, v26 offset:1024
	;; [unrolled: 1-line block ×3, first 2 shown]
	s_lshl_b64 s[0:1], s[24:25], 3
	s_add_u32 s0, s14, s0
	s_waitcnt lgkmcnt(3)
	global_store_short v[10:11], v12, off
	s_waitcnt lgkmcnt(2)
	global_store_short v[10:11], v13, off offset:512
	s_waitcnt lgkmcnt(1)
	global_store_short v[10:11], v28, off offset:1024
	;; [unrolled: 2-line block ×3, first 2 shown]
	v_lshl_add_u32 v12, v21, 3, v19
	s_barrier
	ds_write2_b64 v12, v[6:7], v[8:9] offset1:1
	ds_write2_b64 v12, v[2:3], v[4:5] offset0:2 offset1:3
	v_lshl_add_u32 v12, v15, 3, v14
	s_addc_u32 s1, s15, s1
	s_waitcnt lgkmcnt(0)
	s_barrier
	ds_read_b64 v[28:29], v12
	ds_read_b64 v[30:31], v1 offset:2048
	ds_read_b64 v[32:33], v17 offset:4096
	ds_read_b64 v[12:13], v18 offset:6144
	v_mov_b32_e32 v34, s1
	v_add_co_u32_e32 v35, vcc, s0, v16
	v_addc_co_u32_e32 v34, vcc, 0, v34, vcc
	s_waitcnt lgkmcnt(3)
	global_store_dwordx2 v16, v[28:29], s[0:1]
	s_waitcnt lgkmcnt(2)
	global_store_dwordx2 v16, v[30:31], s[0:1] offset:2048
	v_add_co_u32_e32 v28, vcc, 0x1000, v35
	v_addc_co_u32_e32 v29, vcc, 0, v34, vcc
	s_waitcnt lgkmcnt(1)
	global_store_dwordx2 v[28:29], v[32:33], off
	s_mov_b64 s[6:7], -1
	s_cbranch_execz .LBB2161_40
	s_branch .LBB2161_53
.LBB2161_37:
	s_or_b64 exec, exec, s[0:1]
	v_cmp_gt_u32_e32 vcc, s9, v12
	s_and_saveexec_b64 s[2:3], vcc
	s_cbranch_execz .LBB2161_20
.LBB2161_38:
	v_mov_b32_e32 v13, 0
	s_waitcnt vmcnt(1)
	v_lshlrev_b64 v[4:5], 3, v[12:13]
	v_mov_b32_e32 v11, s5
	v_add_co_u32_e32 v14, vcc, s4, v4
	v_addc_co_u32_e32 v11, vcc, v11, v5, vcc
	v_cmp_gt_u32_e32 vcc, s17, v12
	v_subrev_u32_e32 v12, s17, v12
	v_lshlrev_b64 v[4:5], 3, v[12:13]
	v_mov_b32_e32 v12, s8
	v_add_co_u32_e64 v4, s[0:1], s7, v4
	v_addc_co_u32_e64 v5, s[0:1], v12, v5, s[0:1]
	v_cndmask_b32_e32 v5, v5, v11, vcc
	v_cndmask_b32_e32 v4, v4, v14, vcc
	global_load_dwordx2 v[4:5], v[4:5], off
	s_or_b64 exec, exec, s[2:3]
	v_cmp_gt_u32_e32 vcc, s9, v10
	s_and_saveexec_b64 s[0:1], vcc
	s_cbranch_execnz .LBB2161_21
	s_branch .LBB2161_22
.LBB2161_39:
	s_mov_b64 s[6:7], 0
                                        ; implicit-def: $vgpr12_vgpr13
.LBB2161_40:
	s_barrier
	s_waitcnt lgkmcnt(0)
	ds_read_u16 v25, v25 offset:512
	ds_read_u16 v13, v26 offset:1024
	;; [unrolled: 1-line block ×3, first 2 shown]
	s_sub_i32 s6, s16, s24
	v_cmp_gt_u32_e32 vcc, s6, v0
	s_and_saveexec_b64 s[0:1], vcc
	s_cbranch_execz .LBB2161_44
; %bb.41:
	ds_read_u16 v0, v24
	s_waitcnt lgkmcnt(0)
	global_store_short v[10:11], v0, off
	s_or_b64 exec, exec, s[0:1]
	v_cmp_gt_u32_e64 s[0:1], s6, v23
	s_and_saveexec_b64 s[2:3], s[0:1]
	s_cbranch_execnz .LBB2161_45
.LBB2161_42:
	s_or_b64 exec, exec, s[2:3]
	v_cmp_gt_u32_e64 s[2:3], s6, v22
	s_and_saveexec_b64 s[4:5], s[2:3]
	s_cbranch_execz .LBB2161_46
.LBB2161_43:
	s_waitcnt lgkmcnt(1)
	global_store_short v[10:11], v13, off offset:1024
	s_or_b64 exec, exec, s[4:5]
	v_cmp_gt_u32_e64 s[6:7], s6, v20
	s_and_saveexec_b64 s[4:5], s[6:7]
	s_cbranch_execnz .LBB2161_47
	s_branch .LBB2161_48
.LBB2161_44:
	s_or_b64 exec, exec, s[0:1]
	v_cmp_gt_u32_e64 s[0:1], s6, v23
	s_and_saveexec_b64 s[2:3], s[0:1]
	s_cbranch_execz .LBB2161_42
.LBB2161_45:
	s_waitcnt lgkmcnt(2)
	global_store_short v[10:11], v25, off offset:512
	s_or_b64 exec, exec, s[2:3]
	v_cmp_gt_u32_e64 s[2:3], s6, v22
	s_and_saveexec_b64 s[4:5], s[2:3]
	s_cbranch_execnz .LBB2161_43
.LBB2161_46:
	s_or_b64 exec, exec, s[4:5]
	v_cmp_gt_u32_e64 s[6:7], s6, v20
	s_and_saveexec_b64 s[4:5], s[6:7]
	s_cbranch_execz .LBB2161_48
.LBB2161_47:
	s_waitcnt lgkmcnt(0)
	global_store_short v[10:11], v12, off offset:1536
.LBB2161_48:
	s_or_b64 exec, exec, s[4:5]
	v_lshl_add_u32 v0, v21, 3, v19
	s_waitcnt lgkmcnt(0)
	s_barrier
	ds_write2_b64 v0, v[6:7], v[8:9] offset1:1
	ds_write2_b64 v0, v[2:3], v[4:5] offset0:2 offset1:3
	s_waitcnt lgkmcnt(0)
	s_barrier
	ds_read_b64 v[4:5], v1 offset:2048
	ds_read_b64 v[0:1], v17 offset:4096
	;; [unrolled: 1-line block ×3, first 2 shown]
	s_lshl_b64 s[4:5], s[24:25], 3
	s_add_u32 s4, s14, s4
	s_addc_u32 s5, s15, s5
	v_mov_b32_e32 v3, s5
	v_add_co_u32_e64 v2, s[4:5], s4, v16
	v_addc_co_u32_e64 v3, s[4:5], 0, v3, s[4:5]
	s_and_saveexec_b64 s[4:5], vcc
	s_cbranch_execz .LBB2161_56
; %bb.49:
	v_lshl_add_u32 v6, v15, 3, v14
	ds_read_b64 v[6:7], v6
	s_waitcnt lgkmcnt(0)
	global_store_dwordx2 v[2:3], v[6:7], off
	s_or_b64 exec, exec, s[4:5]
	s_and_saveexec_b64 s[4:5], s[0:1]
	s_cbranch_execnz .LBB2161_57
.LBB2161_50:
	s_or_b64 exec, exec, s[4:5]
	s_and_saveexec_b64 s[0:1], s[2:3]
	s_cbranch_execz .LBB2161_52
.LBB2161_51:
	v_add_co_u32_e32 v2, vcc, 0x1000, v2
	v_addc_co_u32_e32 v3, vcc, 0, v3, vcc
	s_waitcnt lgkmcnt(1)
	global_store_dwordx2 v[2:3], v[0:1], off
.LBB2161_52:
	s_or_b64 exec, exec, s[0:1]
.LBB2161_53:
	s_and_saveexec_b64 s[0:1], s[6:7]
	s_cbranch_execz .LBB2161_55
; %bb.54:
	s_lshl_b64 s[0:1], s[24:25], 3
	s_add_u32 s0, s14, s0
	s_addc_u32 s1, s15, s1
	s_waitcnt lgkmcnt(1)
	v_mov_b32_e32 v0, s1
	v_add_co_u32_e32 v1, vcc, s0, v16
	v_addc_co_u32_e32 v2, vcc, 0, v0, vcc
	v_add_co_u32_e32 v0, vcc, 0x1000, v1
	v_addc_co_u32_e32 v1, vcc, 0, v2, vcc
	s_waitcnt lgkmcnt(0)
	global_store_dwordx2 v[0:1], v[12:13], off offset:2048
.LBB2161_55:
	s_endpgm
.LBB2161_56:
	s_or_b64 exec, exec, s[4:5]
	s_and_saveexec_b64 s[4:5], s[0:1]
	s_cbranch_execz .LBB2161_50
.LBB2161_57:
	s_waitcnt lgkmcnt(2)
	global_store_dwordx2 v[2:3], v[4:5], off offset:2048
	s_or_b64 exec, exec, s[4:5]
	s_and_saveexec_b64 s[0:1], s[2:3]
	s_cbranch_execnz .LBB2161_51
	s_branch .LBB2161_52
	.section	.rodata,"a",@progbits
	.p2align	6, 0x0
	.amdhsa_kernel _ZN7rocprim17ROCPRIM_400000_NS6detail17trampoline_kernelINS0_14default_configENS1_38merge_sort_block_merge_config_selectorIN3c104HalfElEEZZNS1_27merge_sort_block_merge_implIS3_PS6_N6thrust23THRUST_200600_302600_NS10device_ptrIlEEmNSB_4lessIS6_EEEE10hipError_tT0_T1_T2_jT3_P12ihipStream_tbPNSt15iterator_traitsISH_E10value_typeEPNSN_ISI_E10value_typeEPSJ_NS1_7vsmem_tEENKUlT_SH_SI_SJ_E_clIS9_S9_SD_PlEESG_SW_SH_SI_SJ_EUlSW_E0_NS1_11comp_targetILNS1_3genE4ELNS1_11target_archE910ELNS1_3gpuE8ELNS1_3repE0EEENS1_38merge_mergepath_config_static_selectorELNS0_4arch9wavefront6targetE1EEEvSI_
		.amdhsa_group_segment_fixed_size 8448
		.amdhsa_private_segment_fixed_size 0
		.amdhsa_kernarg_size 328
		.amdhsa_user_sgpr_count 6
		.amdhsa_user_sgpr_private_segment_buffer 1
		.amdhsa_user_sgpr_dispatch_ptr 0
		.amdhsa_user_sgpr_queue_ptr 0
		.amdhsa_user_sgpr_kernarg_segment_ptr 1
		.amdhsa_user_sgpr_dispatch_id 0
		.amdhsa_user_sgpr_flat_scratch_init 0
		.amdhsa_user_sgpr_kernarg_preload_length 0
		.amdhsa_user_sgpr_kernarg_preload_offset 0
		.amdhsa_user_sgpr_private_segment_size 0
		.amdhsa_uses_dynamic_stack 0
		.amdhsa_system_sgpr_private_segment_wavefront_offset 0
		.amdhsa_system_sgpr_workgroup_id_x 1
		.amdhsa_system_sgpr_workgroup_id_y 1
		.amdhsa_system_sgpr_workgroup_id_z 1
		.amdhsa_system_sgpr_workgroup_info 0
		.amdhsa_system_vgpr_workitem_id 0
		.amdhsa_next_free_vgpr 36
		.amdhsa_next_free_sgpr 38
		.amdhsa_accum_offset 36
		.amdhsa_reserve_vcc 1
		.amdhsa_reserve_flat_scratch 0
		.amdhsa_float_round_mode_32 0
		.amdhsa_float_round_mode_16_64 0
		.amdhsa_float_denorm_mode_32 3
		.amdhsa_float_denorm_mode_16_64 3
		.amdhsa_dx10_clamp 1
		.amdhsa_ieee_mode 1
		.amdhsa_fp16_overflow 0
		.amdhsa_tg_split 0
		.amdhsa_exception_fp_ieee_invalid_op 0
		.amdhsa_exception_fp_denorm_src 0
		.amdhsa_exception_fp_ieee_div_zero 0
		.amdhsa_exception_fp_ieee_overflow 0
		.amdhsa_exception_fp_ieee_underflow 0
		.amdhsa_exception_fp_ieee_inexact 0
		.amdhsa_exception_int_div_zero 0
	.end_amdhsa_kernel
	.section	.text._ZN7rocprim17ROCPRIM_400000_NS6detail17trampoline_kernelINS0_14default_configENS1_38merge_sort_block_merge_config_selectorIN3c104HalfElEEZZNS1_27merge_sort_block_merge_implIS3_PS6_N6thrust23THRUST_200600_302600_NS10device_ptrIlEEmNSB_4lessIS6_EEEE10hipError_tT0_T1_T2_jT3_P12ihipStream_tbPNSt15iterator_traitsISH_E10value_typeEPNSN_ISI_E10value_typeEPSJ_NS1_7vsmem_tEENKUlT_SH_SI_SJ_E_clIS9_S9_SD_PlEESG_SW_SH_SI_SJ_EUlSW_E0_NS1_11comp_targetILNS1_3genE4ELNS1_11target_archE910ELNS1_3gpuE8ELNS1_3repE0EEENS1_38merge_mergepath_config_static_selectorELNS0_4arch9wavefront6targetE1EEEvSI_,"axG",@progbits,_ZN7rocprim17ROCPRIM_400000_NS6detail17trampoline_kernelINS0_14default_configENS1_38merge_sort_block_merge_config_selectorIN3c104HalfElEEZZNS1_27merge_sort_block_merge_implIS3_PS6_N6thrust23THRUST_200600_302600_NS10device_ptrIlEEmNSB_4lessIS6_EEEE10hipError_tT0_T1_T2_jT3_P12ihipStream_tbPNSt15iterator_traitsISH_E10value_typeEPNSN_ISI_E10value_typeEPSJ_NS1_7vsmem_tEENKUlT_SH_SI_SJ_E_clIS9_S9_SD_PlEESG_SW_SH_SI_SJ_EUlSW_E0_NS1_11comp_targetILNS1_3genE4ELNS1_11target_archE910ELNS1_3gpuE8ELNS1_3repE0EEENS1_38merge_mergepath_config_static_selectorELNS0_4arch9wavefront6targetE1EEEvSI_,comdat
.Lfunc_end2161:
	.size	_ZN7rocprim17ROCPRIM_400000_NS6detail17trampoline_kernelINS0_14default_configENS1_38merge_sort_block_merge_config_selectorIN3c104HalfElEEZZNS1_27merge_sort_block_merge_implIS3_PS6_N6thrust23THRUST_200600_302600_NS10device_ptrIlEEmNSB_4lessIS6_EEEE10hipError_tT0_T1_T2_jT3_P12ihipStream_tbPNSt15iterator_traitsISH_E10value_typeEPNSN_ISI_E10value_typeEPSJ_NS1_7vsmem_tEENKUlT_SH_SI_SJ_E_clIS9_S9_SD_PlEESG_SW_SH_SI_SJ_EUlSW_E0_NS1_11comp_targetILNS1_3genE4ELNS1_11target_archE910ELNS1_3gpuE8ELNS1_3repE0EEENS1_38merge_mergepath_config_static_selectorELNS0_4arch9wavefront6targetE1EEEvSI_, .Lfunc_end2161-_ZN7rocprim17ROCPRIM_400000_NS6detail17trampoline_kernelINS0_14default_configENS1_38merge_sort_block_merge_config_selectorIN3c104HalfElEEZZNS1_27merge_sort_block_merge_implIS3_PS6_N6thrust23THRUST_200600_302600_NS10device_ptrIlEEmNSB_4lessIS6_EEEE10hipError_tT0_T1_T2_jT3_P12ihipStream_tbPNSt15iterator_traitsISH_E10value_typeEPNSN_ISI_E10value_typeEPSJ_NS1_7vsmem_tEENKUlT_SH_SI_SJ_E_clIS9_S9_SD_PlEESG_SW_SH_SI_SJ_EUlSW_E0_NS1_11comp_targetILNS1_3genE4ELNS1_11target_archE910ELNS1_3gpuE8ELNS1_3repE0EEENS1_38merge_mergepath_config_static_selectorELNS0_4arch9wavefront6targetE1EEEvSI_
                                        ; -- End function
	.section	.AMDGPU.csdata,"",@progbits
; Kernel info:
; codeLenInByte = 3400
; NumSgprs: 42
; NumVgprs: 36
; NumAgprs: 0
; TotalNumVgprs: 36
; ScratchSize: 0
; MemoryBound: 0
; FloatMode: 240
; IeeeMode: 1
; LDSByteSize: 8448 bytes/workgroup (compile time only)
; SGPRBlocks: 5
; VGPRBlocks: 4
; NumSGPRsForWavesPerEU: 42
; NumVGPRsForWavesPerEU: 36
; AccumOffset: 36
; Occupancy: 7
; WaveLimiterHint : 1
; COMPUTE_PGM_RSRC2:SCRATCH_EN: 0
; COMPUTE_PGM_RSRC2:USER_SGPR: 6
; COMPUTE_PGM_RSRC2:TRAP_HANDLER: 0
; COMPUTE_PGM_RSRC2:TGID_X_EN: 1
; COMPUTE_PGM_RSRC2:TGID_Y_EN: 1
; COMPUTE_PGM_RSRC2:TGID_Z_EN: 1
; COMPUTE_PGM_RSRC2:TIDIG_COMP_CNT: 0
; COMPUTE_PGM_RSRC3_GFX90A:ACCUM_OFFSET: 8
; COMPUTE_PGM_RSRC3_GFX90A:TG_SPLIT: 0
	.section	.text._ZN7rocprim17ROCPRIM_400000_NS6detail17trampoline_kernelINS0_14default_configENS1_38merge_sort_block_merge_config_selectorIN3c104HalfElEEZZNS1_27merge_sort_block_merge_implIS3_PS6_N6thrust23THRUST_200600_302600_NS10device_ptrIlEEmNSB_4lessIS6_EEEE10hipError_tT0_T1_T2_jT3_P12ihipStream_tbPNSt15iterator_traitsISH_E10value_typeEPNSN_ISI_E10value_typeEPSJ_NS1_7vsmem_tEENKUlT_SH_SI_SJ_E_clIS9_S9_SD_PlEESG_SW_SH_SI_SJ_EUlSW_E0_NS1_11comp_targetILNS1_3genE3ELNS1_11target_archE908ELNS1_3gpuE7ELNS1_3repE0EEENS1_38merge_mergepath_config_static_selectorELNS0_4arch9wavefront6targetE1EEEvSI_,"axG",@progbits,_ZN7rocprim17ROCPRIM_400000_NS6detail17trampoline_kernelINS0_14default_configENS1_38merge_sort_block_merge_config_selectorIN3c104HalfElEEZZNS1_27merge_sort_block_merge_implIS3_PS6_N6thrust23THRUST_200600_302600_NS10device_ptrIlEEmNSB_4lessIS6_EEEE10hipError_tT0_T1_T2_jT3_P12ihipStream_tbPNSt15iterator_traitsISH_E10value_typeEPNSN_ISI_E10value_typeEPSJ_NS1_7vsmem_tEENKUlT_SH_SI_SJ_E_clIS9_S9_SD_PlEESG_SW_SH_SI_SJ_EUlSW_E0_NS1_11comp_targetILNS1_3genE3ELNS1_11target_archE908ELNS1_3gpuE7ELNS1_3repE0EEENS1_38merge_mergepath_config_static_selectorELNS0_4arch9wavefront6targetE1EEEvSI_,comdat
	.protected	_ZN7rocprim17ROCPRIM_400000_NS6detail17trampoline_kernelINS0_14default_configENS1_38merge_sort_block_merge_config_selectorIN3c104HalfElEEZZNS1_27merge_sort_block_merge_implIS3_PS6_N6thrust23THRUST_200600_302600_NS10device_ptrIlEEmNSB_4lessIS6_EEEE10hipError_tT0_T1_T2_jT3_P12ihipStream_tbPNSt15iterator_traitsISH_E10value_typeEPNSN_ISI_E10value_typeEPSJ_NS1_7vsmem_tEENKUlT_SH_SI_SJ_E_clIS9_S9_SD_PlEESG_SW_SH_SI_SJ_EUlSW_E0_NS1_11comp_targetILNS1_3genE3ELNS1_11target_archE908ELNS1_3gpuE7ELNS1_3repE0EEENS1_38merge_mergepath_config_static_selectorELNS0_4arch9wavefront6targetE1EEEvSI_ ; -- Begin function _ZN7rocprim17ROCPRIM_400000_NS6detail17trampoline_kernelINS0_14default_configENS1_38merge_sort_block_merge_config_selectorIN3c104HalfElEEZZNS1_27merge_sort_block_merge_implIS3_PS6_N6thrust23THRUST_200600_302600_NS10device_ptrIlEEmNSB_4lessIS6_EEEE10hipError_tT0_T1_T2_jT3_P12ihipStream_tbPNSt15iterator_traitsISH_E10value_typeEPNSN_ISI_E10value_typeEPSJ_NS1_7vsmem_tEENKUlT_SH_SI_SJ_E_clIS9_S9_SD_PlEESG_SW_SH_SI_SJ_EUlSW_E0_NS1_11comp_targetILNS1_3genE3ELNS1_11target_archE908ELNS1_3gpuE7ELNS1_3repE0EEENS1_38merge_mergepath_config_static_selectorELNS0_4arch9wavefront6targetE1EEEvSI_
	.globl	_ZN7rocprim17ROCPRIM_400000_NS6detail17trampoline_kernelINS0_14default_configENS1_38merge_sort_block_merge_config_selectorIN3c104HalfElEEZZNS1_27merge_sort_block_merge_implIS3_PS6_N6thrust23THRUST_200600_302600_NS10device_ptrIlEEmNSB_4lessIS6_EEEE10hipError_tT0_T1_T2_jT3_P12ihipStream_tbPNSt15iterator_traitsISH_E10value_typeEPNSN_ISI_E10value_typeEPSJ_NS1_7vsmem_tEENKUlT_SH_SI_SJ_E_clIS9_S9_SD_PlEESG_SW_SH_SI_SJ_EUlSW_E0_NS1_11comp_targetILNS1_3genE3ELNS1_11target_archE908ELNS1_3gpuE7ELNS1_3repE0EEENS1_38merge_mergepath_config_static_selectorELNS0_4arch9wavefront6targetE1EEEvSI_
	.p2align	8
	.type	_ZN7rocprim17ROCPRIM_400000_NS6detail17trampoline_kernelINS0_14default_configENS1_38merge_sort_block_merge_config_selectorIN3c104HalfElEEZZNS1_27merge_sort_block_merge_implIS3_PS6_N6thrust23THRUST_200600_302600_NS10device_ptrIlEEmNSB_4lessIS6_EEEE10hipError_tT0_T1_T2_jT3_P12ihipStream_tbPNSt15iterator_traitsISH_E10value_typeEPNSN_ISI_E10value_typeEPSJ_NS1_7vsmem_tEENKUlT_SH_SI_SJ_E_clIS9_S9_SD_PlEESG_SW_SH_SI_SJ_EUlSW_E0_NS1_11comp_targetILNS1_3genE3ELNS1_11target_archE908ELNS1_3gpuE7ELNS1_3repE0EEENS1_38merge_mergepath_config_static_selectorELNS0_4arch9wavefront6targetE1EEEvSI_,@function
_ZN7rocprim17ROCPRIM_400000_NS6detail17trampoline_kernelINS0_14default_configENS1_38merge_sort_block_merge_config_selectorIN3c104HalfElEEZZNS1_27merge_sort_block_merge_implIS3_PS6_N6thrust23THRUST_200600_302600_NS10device_ptrIlEEmNSB_4lessIS6_EEEE10hipError_tT0_T1_T2_jT3_P12ihipStream_tbPNSt15iterator_traitsISH_E10value_typeEPNSN_ISI_E10value_typeEPSJ_NS1_7vsmem_tEENKUlT_SH_SI_SJ_E_clIS9_S9_SD_PlEESG_SW_SH_SI_SJ_EUlSW_E0_NS1_11comp_targetILNS1_3genE3ELNS1_11target_archE908ELNS1_3gpuE7ELNS1_3repE0EEENS1_38merge_mergepath_config_static_selectorELNS0_4arch9wavefront6targetE1EEEvSI_: ; @_ZN7rocprim17ROCPRIM_400000_NS6detail17trampoline_kernelINS0_14default_configENS1_38merge_sort_block_merge_config_selectorIN3c104HalfElEEZZNS1_27merge_sort_block_merge_implIS3_PS6_N6thrust23THRUST_200600_302600_NS10device_ptrIlEEmNSB_4lessIS6_EEEE10hipError_tT0_T1_T2_jT3_P12ihipStream_tbPNSt15iterator_traitsISH_E10value_typeEPNSN_ISI_E10value_typeEPSJ_NS1_7vsmem_tEENKUlT_SH_SI_SJ_E_clIS9_S9_SD_PlEESG_SW_SH_SI_SJ_EUlSW_E0_NS1_11comp_targetILNS1_3genE3ELNS1_11target_archE908ELNS1_3gpuE7ELNS1_3repE0EEENS1_38merge_mergepath_config_static_selectorELNS0_4arch9wavefront6targetE1EEEvSI_
; %bb.0:
	.section	.rodata,"a",@progbits
	.p2align	6, 0x0
	.amdhsa_kernel _ZN7rocprim17ROCPRIM_400000_NS6detail17trampoline_kernelINS0_14default_configENS1_38merge_sort_block_merge_config_selectorIN3c104HalfElEEZZNS1_27merge_sort_block_merge_implIS3_PS6_N6thrust23THRUST_200600_302600_NS10device_ptrIlEEmNSB_4lessIS6_EEEE10hipError_tT0_T1_T2_jT3_P12ihipStream_tbPNSt15iterator_traitsISH_E10value_typeEPNSN_ISI_E10value_typeEPSJ_NS1_7vsmem_tEENKUlT_SH_SI_SJ_E_clIS9_S9_SD_PlEESG_SW_SH_SI_SJ_EUlSW_E0_NS1_11comp_targetILNS1_3genE3ELNS1_11target_archE908ELNS1_3gpuE7ELNS1_3repE0EEENS1_38merge_mergepath_config_static_selectorELNS0_4arch9wavefront6targetE1EEEvSI_
		.amdhsa_group_segment_fixed_size 0
		.amdhsa_private_segment_fixed_size 0
		.amdhsa_kernarg_size 72
		.amdhsa_user_sgpr_count 6
		.amdhsa_user_sgpr_private_segment_buffer 1
		.amdhsa_user_sgpr_dispatch_ptr 0
		.amdhsa_user_sgpr_queue_ptr 0
		.amdhsa_user_sgpr_kernarg_segment_ptr 1
		.amdhsa_user_sgpr_dispatch_id 0
		.amdhsa_user_sgpr_flat_scratch_init 0
		.amdhsa_user_sgpr_kernarg_preload_length 0
		.amdhsa_user_sgpr_kernarg_preload_offset 0
		.amdhsa_user_sgpr_private_segment_size 0
		.amdhsa_uses_dynamic_stack 0
		.amdhsa_system_sgpr_private_segment_wavefront_offset 0
		.amdhsa_system_sgpr_workgroup_id_x 1
		.amdhsa_system_sgpr_workgroup_id_y 0
		.amdhsa_system_sgpr_workgroup_id_z 0
		.amdhsa_system_sgpr_workgroup_info 0
		.amdhsa_system_vgpr_workitem_id 0
		.amdhsa_next_free_vgpr 1
		.amdhsa_next_free_sgpr 0
		.amdhsa_accum_offset 4
		.amdhsa_reserve_vcc 0
		.amdhsa_reserve_flat_scratch 0
		.amdhsa_float_round_mode_32 0
		.amdhsa_float_round_mode_16_64 0
		.amdhsa_float_denorm_mode_32 3
		.amdhsa_float_denorm_mode_16_64 3
		.amdhsa_dx10_clamp 1
		.amdhsa_ieee_mode 1
		.amdhsa_fp16_overflow 0
		.amdhsa_tg_split 0
		.amdhsa_exception_fp_ieee_invalid_op 0
		.amdhsa_exception_fp_denorm_src 0
		.amdhsa_exception_fp_ieee_div_zero 0
		.amdhsa_exception_fp_ieee_overflow 0
		.amdhsa_exception_fp_ieee_underflow 0
		.amdhsa_exception_fp_ieee_inexact 0
		.amdhsa_exception_int_div_zero 0
	.end_amdhsa_kernel
	.section	.text._ZN7rocprim17ROCPRIM_400000_NS6detail17trampoline_kernelINS0_14default_configENS1_38merge_sort_block_merge_config_selectorIN3c104HalfElEEZZNS1_27merge_sort_block_merge_implIS3_PS6_N6thrust23THRUST_200600_302600_NS10device_ptrIlEEmNSB_4lessIS6_EEEE10hipError_tT0_T1_T2_jT3_P12ihipStream_tbPNSt15iterator_traitsISH_E10value_typeEPNSN_ISI_E10value_typeEPSJ_NS1_7vsmem_tEENKUlT_SH_SI_SJ_E_clIS9_S9_SD_PlEESG_SW_SH_SI_SJ_EUlSW_E0_NS1_11comp_targetILNS1_3genE3ELNS1_11target_archE908ELNS1_3gpuE7ELNS1_3repE0EEENS1_38merge_mergepath_config_static_selectorELNS0_4arch9wavefront6targetE1EEEvSI_,"axG",@progbits,_ZN7rocprim17ROCPRIM_400000_NS6detail17trampoline_kernelINS0_14default_configENS1_38merge_sort_block_merge_config_selectorIN3c104HalfElEEZZNS1_27merge_sort_block_merge_implIS3_PS6_N6thrust23THRUST_200600_302600_NS10device_ptrIlEEmNSB_4lessIS6_EEEE10hipError_tT0_T1_T2_jT3_P12ihipStream_tbPNSt15iterator_traitsISH_E10value_typeEPNSN_ISI_E10value_typeEPSJ_NS1_7vsmem_tEENKUlT_SH_SI_SJ_E_clIS9_S9_SD_PlEESG_SW_SH_SI_SJ_EUlSW_E0_NS1_11comp_targetILNS1_3genE3ELNS1_11target_archE908ELNS1_3gpuE7ELNS1_3repE0EEENS1_38merge_mergepath_config_static_selectorELNS0_4arch9wavefront6targetE1EEEvSI_,comdat
.Lfunc_end2162:
	.size	_ZN7rocprim17ROCPRIM_400000_NS6detail17trampoline_kernelINS0_14default_configENS1_38merge_sort_block_merge_config_selectorIN3c104HalfElEEZZNS1_27merge_sort_block_merge_implIS3_PS6_N6thrust23THRUST_200600_302600_NS10device_ptrIlEEmNSB_4lessIS6_EEEE10hipError_tT0_T1_T2_jT3_P12ihipStream_tbPNSt15iterator_traitsISH_E10value_typeEPNSN_ISI_E10value_typeEPSJ_NS1_7vsmem_tEENKUlT_SH_SI_SJ_E_clIS9_S9_SD_PlEESG_SW_SH_SI_SJ_EUlSW_E0_NS1_11comp_targetILNS1_3genE3ELNS1_11target_archE908ELNS1_3gpuE7ELNS1_3repE0EEENS1_38merge_mergepath_config_static_selectorELNS0_4arch9wavefront6targetE1EEEvSI_, .Lfunc_end2162-_ZN7rocprim17ROCPRIM_400000_NS6detail17trampoline_kernelINS0_14default_configENS1_38merge_sort_block_merge_config_selectorIN3c104HalfElEEZZNS1_27merge_sort_block_merge_implIS3_PS6_N6thrust23THRUST_200600_302600_NS10device_ptrIlEEmNSB_4lessIS6_EEEE10hipError_tT0_T1_T2_jT3_P12ihipStream_tbPNSt15iterator_traitsISH_E10value_typeEPNSN_ISI_E10value_typeEPSJ_NS1_7vsmem_tEENKUlT_SH_SI_SJ_E_clIS9_S9_SD_PlEESG_SW_SH_SI_SJ_EUlSW_E0_NS1_11comp_targetILNS1_3genE3ELNS1_11target_archE908ELNS1_3gpuE7ELNS1_3repE0EEENS1_38merge_mergepath_config_static_selectorELNS0_4arch9wavefront6targetE1EEEvSI_
                                        ; -- End function
	.section	.AMDGPU.csdata,"",@progbits
; Kernel info:
; codeLenInByte = 0
; NumSgprs: 4
; NumVgprs: 0
; NumAgprs: 0
; TotalNumVgprs: 0
; ScratchSize: 0
; MemoryBound: 0
; FloatMode: 240
; IeeeMode: 1
; LDSByteSize: 0 bytes/workgroup (compile time only)
; SGPRBlocks: 0
; VGPRBlocks: 0
; NumSGPRsForWavesPerEU: 4
; NumVGPRsForWavesPerEU: 1
; AccumOffset: 4
; Occupancy: 8
; WaveLimiterHint : 0
; COMPUTE_PGM_RSRC2:SCRATCH_EN: 0
; COMPUTE_PGM_RSRC2:USER_SGPR: 6
; COMPUTE_PGM_RSRC2:TRAP_HANDLER: 0
; COMPUTE_PGM_RSRC2:TGID_X_EN: 1
; COMPUTE_PGM_RSRC2:TGID_Y_EN: 0
; COMPUTE_PGM_RSRC2:TGID_Z_EN: 0
; COMPUTE_PGM_RSRC2:TIDIG_COMP_CNT: 0
; COMPUTE_PGM_RSRC3_GFX90A:ACCUM_OFFSET: 0
; COMPUTE_PGM_RSRC3_GFX90A:TG_SPLIT: 0
	.section	.text._ZN7rocprim17ROCPRIM_400000_NS6detail17trampoline_kernelINS0_14default_configENS1_38merge_sort_block_merge_config_selectorIN3c104HalfElEEZZNS1_27merge_sort_block_merge_implIS3_PS6_N6thrust23THRUST_200600_302600_NS10device_ptrIlEEmNSB_4lessIS6_EEEE10hipError_tT0_T1_T2_jT3_P12ihipStream_tbPNSt15iterator_traitsISH_E10value_typeEPNSN_ISI_E10value_typeEPSJ_NS1_7vsmem_tEENKUlT_SH_SI_SJ_E_clIS9_S9_SD_PlEESG_SW_SH_SI_SJ_EUlSW_E0_NS1_11comp_targetILNS1_3genE2ELNS1_11target_archE906ELNS1_3gpuE6ELNS1_3repE0EEENS1_38merge_mergepath_config_static_selectorELNS0_4arch9wavefront6targetE1EEEvSI_,"axG",@progbits,_ZN7rocprim17ROCPRIM_400000_NS6detail17trampoline_kernelINS0_14default_configENS1_38merge_sort_block_merge_config_selectorIN3c104HalfElEEZZNS1_27merge_sort_block_merge_implIS3_PS6_N6thrust23THRUST_200600_302600_NS10device_ptrIlEEmNSB_4lessIS6_EEEE10hipError_tT0_T1_T2_jT3_P12ihipStream_tbPNSt15iterator_traitsISH_E10value_typeEPNSN_ISI_E10value_typeEPSJ_NS1_7vsmem_tEENKUlT_SH_SI_SJ_E_clIS9_S9_SD_PlEESG_SW_SH_SI_SJ_EUlSW_E0_NS1_11comp_targetILNS1_3genE2ELNS1_11target_archE906ELNS1_3gpuE6ELNS1_3repE0EEENS1_38merge_mergepath_config_static_selectorELNS0_4arch9wavefront6targetE1EEEvSI_,comdat
	.protected	_ZN7rocprim17ROCPRIM_400000_NS6detail17trampoline_kernelINS0_14default_configENS1_38merge_sort_block_merge_config_selectorIN3c104HalfElEEZZNS1_27merge_sort_block_merge_implIS3_PS6_N6thrust23THRUST_200600_302600_NS10device_ptrIlEEmNSB_4lessIS6_EEEE10hipError_tT0_T1_T2_jT3_P12ihipStream_tbPNSt15iterator_traitsISH_E10value_typeEPNSN_ISI_E10value_typeEPSJ_NS1_7vsmem_tEENKUlT_SH_SI_SJ_E_clIS9_S9_SD_PlEESG_SW_SH_SI_SJ_EUlSW_E0_NS1_11comp_targetILNS1_3genE2ELNS1_11target_archE906ELNS1_3gpuE6ELNS1_3repE0EEENS1_38merge_mergepath_config_static_selectorELNS0_4arch9wavefront6targetE1EEEvSI_ ; -- Begin function _ZN7rocprim17ROCPRIM_400000_NS6detail17trampoline_kernelINS0_14default_configENS1_38merge_sort_block_merge_config_selectorIN3c104HalfElEEZZNS1_27merge_sort_block_merge_implIS3_PS6_N6thrust23THRUST_200600_302600_NS10device_ptrIlEEmNSB_4lessIS6_EEEE10hipError_tT0_T1_T2_jT3_P12ihipStream_tbPNSt15iterator_traitsISH_E10value_typeEPNSN_ISI_E10value_typeEPSJ_NS1_7vsmem_tEENKUlT_SH_SI_SJ_E_clIS9_S9_SD_PlEESG_SW_SH_SI_SJ_EUlSW_E0_NS1_11comp_targetILNS1_3genE2ELNS1_11target_archE906ELNS1_3gpuE6ELNS1_3repE0EEENS1_38merge_mergepath_config_static_selectorELNS0_4arch9wavefront6targetE1EEEvSI_
	.globl	_ZN7rocprim17ROCPRIM_400000_NS6detail17trampoline_kernelINS0_14default_configENS1_38merge_sort_block_merge_config_selectorIN3c104HalfElEEZZNS1_27merge_sort_block_merge_implIS3_PS6_N6thrust23THRUST_200600_302600_NS10device_ptrIlEEmNSB_4lessIS6_EEEE10hipError_tT0_T1_T2_jT3_P12ihipStream_tbPNSt15iterator_traitsISH_E10value_typeEPNSN_ISI_E10value_typeEPSJ_NS1_7vsmem_tEENKUlT_SH_SI_SJ_E_clIS9_S9_SD_PlEESG_SW_SH_SI_SJ_EUlSW_E0_NS1_11comp_targetILNS1_3genE2ELNS1_11target_archE906ELNS1_3gpuE6ELNS1_3repE0EEENS1_38merge_mergepath_config_static_selectorELNS0_4arch9wavefront6targetE1EEEvSI_
	.p2align	8
	.type	_ZN7rocprim17ROCPRIM_400000_NS6detail17trampoline_kernelINS0_14default_configENS1_38merge_sort_block_merge_config_selectorIN3c104HalfElEEZZNS1_27merge_sort_block_merge_implIS3_PS6_N6thrust23THRUST_200600_302600_NS10device_ptrIlEEmNSB_4lessIS6_EEEE10hipError_tT0_T1_T2_jT3_P12ihipStream_tbPNSt15iterator_traitsISH_E10value_typeEPNSN_ISI_E10value_typeEPSJ_NS1_7vsmem_tEENKUlT_SH_SI_SJ_E_clIS9_S9_SD_PlEESG_SW_SH_SI_SJ_EUlSW_E0_NS1_11comp_targetILNS1_3genE2ELNS1_11target_archE906ELNS1_3gpuE6ELNS1_3repE0EEENS1_38merge_mergepath_config_static_selectorELNS0_4arch9wavefront6targetE1EEEvSI_,@function
_ZN7rocprim17ROCPRIM_400000_NS6detail17trampoline_kernelINS0_14default_configENS1_38merge_sort_block_merge_config_selectorIN3c104HalfElEEZZNS1_27merge_sort_block_merge_implIS3_PS6_N6thrust23THRUST_200600_302600_NS10device_ptrIlEEmNSB_4lessIS6_EEEE10hipError_tT0_T1_T2_jT3_P12ihipStream_tbPNSt15iterator_traitsISH_E10value_typeEPNSN_ISI_E10value_typeEPSJ_NS1_7vsmem_tEENKUlT_SH_SI_SJ_E_clIS9_S9_SD_PlEESG_SW_SH_SI_SJ_EUlSW_E0_NS1_11comp_targetILNS1_3genE2ELNS1_11target_archE906ELNS1_3gpuE6ELNS1_3repE0EEENS1_38merge_mergepath_config_static_selectorELNS0_4arch9wavefront6targetE1EEEvSI_: ; @_ZN7rocprim17ROCPRIM_400000_NS6detail17trampoline_kernelINS0_14default_configENS1_38merge_sort_block_merge_config_selectorIN3c104HalfElEEZZNS1_27merge_sort_block_merge_implIS3_PS6_N6thrust23THRUST_200600_302600_NS10device_ptrIlEEmNSB_4lessIS6_EEEE10hipError_tT0_T1_T2_jT3_P12ihipStream_tbPNSt15iterator_traitsISH_E10value_typeEPNSN_ISI_E10value_typeEPSJ_NS1_7vsmem_tEENKUlT_SH_SI_SJ_E_clIS9_S9_SD_PlEESG_SW_SH_SI_SJ_EUlSW_E0_NS1_11comp_targetILNS1_3genE2ELNS1_11target_archE906ELNS1_3gpuE6ELNS1_3repE0EEENS1_38merge_mergepath_config_static_selectorELNS0_4arch9wavefront6targetE1EEEvSI_
; %bb.0:
	.section	.rodata,"a",@progbits
	.p2align	6, 0x0
	.amdhsa_kernel _ZN7rocprim17ROCPRIM_400000_NS6detail17trampoline_kernelINS0_14default_configENS1_38merge_sort_block_merge_config_selectorIN3c104HalfElEEZZNS1_27merge_sort_block_merge_implIS3_PS6_N6thrust23THRUST_200600_302600_NS10device_ptrIlEEmNSB_4lessIS6_EEEE10hipError_tT0_T1_T2_jT3_P12ihipStream_tbPNSt15iterator_traitsISH_E10value_typeEPNSN_ISI_E10value_typeEPSJ_NS1_7vsmem_tEENKUlT_SH_SI_SJ_E_clIS9_S9_SD_PlEESG_SW_SH_SI_SJ_EUlSW_E0_NS1_11comp_targetILNS1_3genE2ELNS1_11target_archE906ELNS1_3gpuE6ELNS1_3repE0EEENS1_38merge_mergepath_config_static_selectorELNS0_4arch9wavefront6targetE1EEEvSI_
		.amdhsa_group_segment_fixed_size 0
		.amdhsa_private_segment_fixed_size 0
		.amdhsa_kernarg_size 72
		.amdhsa_user_sgpr_count 6
		.amdhsa_user_sgpr_private_segment_buffer 1
		.amdhsa_user_sgpr_dispatch_ptr 0
		.amdhsa_user_sgpr_queue_ptr 0
		.amdhsa_user_sgpr_kernarg_segment_ptr 1
		.amdhsa_user_sgpr_dispatch_id 0
		.amdhsa_user_sgpr_flat_scratch_init 0
		.amdhsa_user_sgpr_kernarg_preload_length 0
		.amdhsa_user_sgpr_kernarg_preload_offset 0
		.amdhsa_user_sgpr_private_segment_size 0
		.amdhsa_uses_dynamic_stack 0
		.amdhsa_system_sgpr_private_segment_wavefront_offset 0
		.amdhsa_system_sgpr_workgroup_id_x 1
		.amdhsa_system_sgpr_workgroup_id_y 0
		.amdhsa_system_sgpr_workgroup_id_z 0
		.amdhsa_system_sgpr_workgroup_info 0
		.amdhsa_system_vgpr_workitem_id 0
		.amdhsa_next_free_vgpr 1
		.amdhsa_next_free_sgpr 0
		.amdhsa_accum_offset 4
		.amdhsa_reserve_vcc 0
		.amdhsa_reserve_flat_scratch 0
		.amdhsa_float_round_mode_32 0
		.amdhsa_float_round_mode_16_64 0
		.amdhsa_float_denorm_mode_32 3
		.amdhsa_float_denorm_mode_16_64 3
		.amdhsa_dx10_clamp 1
		.amdhsa_ieee_mode 1
		.amdhsa_fp16_overflow 0
		.amdhsa_tg_split 0
		.amdhsa_exception_fp_ieee_invalid_op 0
		.amdhsa_exception_fp_denorm_src 0
		.amdhsa_exception_fp_ieee_div_zero 0
		.amdhsa_exception_fp_ieee_overflow 0
		.amdhsa_exception_fp_ieee_underflow 0
		.amdhsa_exception_fp_ieee_inexact 0
		.amdhsa_exception_int_div_zero 0
	.end_amdhsa_kernel
	.section	.text._ZN7rocprim17ROCPRIM_400000_NS6detail17trampoline_kernelINS0_14default_configENS1_38merge_sort_block_merge_config_selectorIN3c104HalfElEEZZNS1_27merge_sort_block_merge_implIS3_PS6_N6thrust23THRUST_200600_302600_NS10device_ptrIlEEmNSB_4lessIS6_EEEE10hipError_tT0_T1_T2_jT3_P12ihipStream_tbPNSt15iterator_traitsISH_E10value_typeEPNSN_ISI_E10value_typeEPSJ_NS1_7vsmem_tEENKUlT_SH_SI_SJ_E_clIS9_S9_SD_PlEESG_SW_SH_SI_SJ_EUlSW_E0_NS1_11comp_targetILNS1_3genE2ELNS1_11target_archE906ELNS1_3gpuE6ELNS1_3repE0EEENS1_38merge_mergepath_config_static_selectorELNS0_4arch9wavefront6targetE1EEEvSI_,"axG",@progbits,_ZN7rocprim17ROCPRIM_400000_NS6detail17trampoline_kernelINS0_14default_configENS1_38merge_sort_block_merge_config_selectorIN3c104HalfElEEZZNS1_27merge_sort_block_merge_implIS3_PS6_N6thrust23THRUST_200600_302600_NS10device_ptrIlEEmNSB_4lessIS6_EEEE10hipError_tT0_T1_T2_jT3_P12ihipStream_tbPNSt15iterator_traitsISH_E10value_typeEPNSN_ISI_E10value_typeEPSJ_NS1_7vsmem_tEENKUlT_SH_SI_SJ_E_clIS9_S9_SD_PlEESG_SW_SH_SI_SJ_EUlSW_E0_NS1_11comp_targetILNS1_3genE2ELNS1_11target_archE906ELNS1_3gpuE6ELNS1_3repE0EEENS1_38merge_mergepath_config_static_selectorELNS0_4arch9wavefront6targetE1EEEvSI_,comdat
.Lfunc_end2163:
	.size	_ZN7rocprim17ROCPRIM_400000_NS6detail17trampoline_kernelINS0_14default_configENS1_38merge_sort_block_merge_config_selectorIN3c104HalfElEEZZNS1_27merge_sort_block_merge_implIS3_PS6_N6thrust23THRUST_200600_302600_NS10device_ptrIlEEmNSB_4lessIS6_EEEE10hipError_tT0_T1_T2_jT3_P12ihipStream_tbPNSt15iterator_traitsISH_E10value_typeEPNSN_ISI_E10value_typeEPSJ_NS1_7vsmem_tEENKUlT_SH_SI_SJ_E_clIS9_S9_SD_PlEESG_SW_SH_SI_SJ_EUlSW_E0_NS1_11comp_targetILNS1_3genE2ELNS1_11target_archE906ELNS1_3gpuE6ELNS1_3repE0EEENS1_38merge_mergepath_config_static_selectorELNS0_4arch9wavefront6targetE1EEEvSI_, .Lfunc_end2163-_ZN7rocprim17ROCPRIM_400000_NS6detail17trampoline_kernelINS0_14default_configENS1_38merge_sort_block_merge_config_selectorIN3c104HalfElEEZZNS1_27merge_sort_block_merge_implIS3_PS6_N6thrust23THRUST_200600_302600_NS10device_ptrIlEEmNSB_4lessIS6_EEEE10hipError_tT0_T1_T2_jT3_P12ihipStream_tbPNSt15iterator_traitsISH_E10value_typeEPNSN_ISI_E10value_typeEPSJ_NS1_7vsmem_tEENKUlT_SH_SI_SJ_E_clIS9_S9_SD_PlEESG_SW_SH_SI_SJ_EUlSW_E0_NS1_11comp_targetILNS1_3genE2ELNS1_11target_archE906ELNS1_3gpuE6ELNS1_3repE0EEENS1_38merge_mergepath_config_static_selectorELNS0_4arch9wavefront6targetE1EEEvSI_
                                        ; -- End function
	.section	.AMDGPU.csdata,"",@progbits
; Kernel info:
; codeLenInByte = 0
; NumSgprs: 4
; NumVgprs: 0
; NumAgprs: 0
; TotalNumVgprs: 0
; ScratchSize: 0
; MemoryBound: 0
; FloatMode: 240
; IeeeMode: 1
; LDSByteSize: 0 bytes/workgroup (compile time only)
; SGPRBlocks: 0
; VGPRBlocks: 0
; NumSGPRsForWavesPerEU: 4
; NumVGPRsForWavesPerEU: 1
; AccumOffset: 4
; Occupancy: 8
; WaveLimiterHint : 0
; COMPUTE_PGM_RSRC2:SCRATCH_EN: 0
; COMPUTE_PGM_RSRC2:USER_SGPR: 6
; COMPUTE_PGM_RSRC2:TRAP_HANDLER: 0
; COMPUTE_PGM_RSRC2:TGID_X_EN: 1
; COMPUTE_PGM_RSRC2:TGID_Y_EN: 0
; COMPUTE_PGM_RSRC2:TGID_Z_EN: 0
; COMPUTE_PGM_RSRC2:TIDIG_COMP_CNT: 0
; COMPUTE_PGM_RSRC3_GFX90A:ACCUM_OFFSET: 0
; COMPUTE_PGM_RSRC3_GFX90A:TG_SPLIT: 0
	.section	.text._ZN7rocprim17ROCPRIM_400000_NS6detail17trampoline_kernelINS0_14default_configENS1_38merge_sort_block_merge_config_selectorIN3c104HalfElEEZZNS1_27merge_sort_block_merge_implIS3_PS6_N6thrust23THRUST_200600_302600_NS10device_ptrIlEEmNSB_4lessIS6_EEEE10hipError_tT0_T1_T2_jT3_P12ihipStream_tbPNSt15iterator_traitsISH_E10value_typeEPNSN_ISI_E10value_typeEPSJ_NS1_7vsmem_tEENKUlT_SH_SI_SJ_E_clIS9_S9_SD_PlEESG_SW_SH_SI_SJ_EUlSW_E0_NS1_11comp_targetILNS1_3genE9ELNS1_11target_archE1100ELNS1_3gpuE3ELNS1_3repE0EEENS1_38merge_mergepath_config_static_selectorELNS0_4arch9wavefront6targetE1EEEvSI_,"axG",@progbits,_ZN7rocprim17ROCPRIM_400000_NS6detail17trampoline_kernelINS0_14default_configENS1_38merge_sort_block_merge_config_selectorIN3c104HalfElEEZZNS1_27merge_sort_block_merge_implIS3_PS6_N6thrust23THRUST_200600_302600_NS10device_ptrIlEEmNSB_4lessIS6_EEEE10hipError_tT0_T1_T2_jT3_P12ihipStream_tbPNSt15iterator_traitsISH_E10value_typeEPNSN_ISI_E10value_typeEPSJ_NS1_7vsmem_tEENKUlT_SH_SI_SJ_E_clIS9_S9_SD_PlEESG_SW_SH_SI_SJ_EUlSW_E0_NS1_11comp_targetILNS1_3genE9ELNS1_11target_archE1100ELNS1_3gpuE3ELNS1_3repE0EEENS1_38merge_mergepath_config_static_selectorELNS0_4arch9wavefront6targetE1EEEvSI_,comdat
	.protected	_ZN7rocprim17ROCPRIM_400000_NS6detail17trampoline_kernelINS0_14default_configENS1_38merge_sort_block_merge_config_selectorIN3c104HalfElEEZZNS1_27merge_sort_block_merge_implIS3_PS6_N6thrust23THRUST_200600_302600_NS10device_ptrIlEEmNSB_4lessIS6_EEEE10hipError_tT0_T1_T2_jT3_P12ihipStream_tbPNSt15iterator_traitsISH_E10value_typeEPNSN_ISI_E10value_typeEPSJ_NS1_7vsmem_tEENKUlT_SH_SI_SJ_E_clIS9_S9_SD_PlEESG_SW_SH_SI_SJ_EUlSW_E0_NS1_11comp_targetILNS1_3genE9ELNS1_11target_archE1100ELNS1_3gpuE3ELNS1_3repE0EEENS1_38merge_mergepath_config_static_selectorELNS0_4arch9wavefront6targetE1EEEvSI_ ; -- Begin function _ZN7rocprim17ROCPRIM_400000_NS6detail17trampoline_kernelINS0_14default_configENS1_38merge_sort_block_merge_config_selectorIN3c104HalfElEEZZNS1_27merge_sort_block_merge_implIS3_PS6_N6thrust23THRUST_200600_302600_NS10device_ptrIlEEmNSB_4lessIS6_EEEE10hipError_tT0_T1_T2_jT3_P12ihipStream_tbPNSt15iterator_traitsISH_E10value_typeEPNSN_ISI_E10value_typeEPSJ_NS1_7vsmem_tEENKUlT_SH_SI_SJ_E_clIS9_S9_SD_PlEESG_SW_SH_SI_SJ_EUlSW_E0_NS1_11comp_targetILNS1_3genE9ELNS1_11target_archE1100ELNS1_3gpuE3ELNS1_3repE0EEENS1_38merge_mergepath_config_static_selectorELNS0_4arch9wavefront6targetE1EEEvSI_
	.globl	_ZN7rocprim17ROCPRIM_400000_NS6detail17trampoline_kernelINS0_14default_configENS1_38merge_sort_block_merge_config_selectorIN3c104HalfElEEZZNS1_27merge_sort_block_merge_implIS3_PS6_N6thrust23THRUST_200600_302600_NS10device_ptrIlEEmNSB_4lessIS6_EEEE10hipError_tT0_T1_T2_jT3_P12ihipStream_tbPNSt15iterator_traitsISH_E10value_typeEPNSN_ISI_E10value_typeEPSJ_NS1_7vsmem_tEENKUlT_SH_SI_SJ_E_clIS9_S9_SD_PlEESG_SW_SH_SI_SJ_EUlSW_E0_NS1_11comp_targetILNS1_3genE9ELNS1_11target_archE1100ELNS1_3gpuE3ELNS1_3repE0EEENS1_38merge_mergepath_config_static_selectorELNS0_4arch9wavefront6targetE1EEEvSI_
	.p2align	8
	.type	_ZN7rocprim17ROCPRIM_400000_NS6detail17trampoline_kernelINS0_14default_configENS1_38merge_sort_block_merge_config_selectorIN3c104HalfElEEZZNS1_27merge_sort_block_merge_implIS3_PS6_N6thrust23THRUST_200600_302600_NS10device_ptrIlEEmNSB_4lessIS6_EEEE10hipError_tT0_T1_T2_jT3_P12ihipStream_tbPNSt15iterator_traitsISH_E10value_typeEPNSN_ISI_E10value_typeEPSJ_NS1_7vsmem_tEENKUlT_SH_SI_SJ_E_clIS9_S9_SD_PlEESG_SW_SH_SI_SJ_EUlSW_E0_NS1_11comp_targetILNS1_3genE9ELNS1_11target_archE1100ELNS1_3gpuE3ELNS1_3repE0EEENS1_38merge_mergepath_config_static_selectorELNS0_4arch9wavefront6targetE1EEEvSI_,@function
_ZN7rocprim17ROCPRIM_400000_NS6detail17trampoline_kernelINS0_14default_configENS1_38merge_sort_block_merge_config_selectorIN3c104HalfElEEZZNS1_27merge_sort_block_merge_implIS3_PS6_N6thrust23THRUST_200600_302600_NS10device_ptrIlEEmNSB_4lessIS6_EEEE10hipError_tT0_T1_T2_jT3_P12ihipStream_tbPNSt15iterator_traitsISH_E10value_typeEPNSN_ISI_E10value_typeEPSJ_NS1_7vsmem_tEENKUlT_SH_SI_SJ_E_clIS9_S9_SD_PlEESG_SW_SH_SI_SJ_EUlSW_E0_NS1_11comp_targetILNS1_3genE9ELNS1_11target_archE1100ELNS1_3gpuE3ELNS1_3repE0EEENS1_38merge_mergepath_config_static_selectorELNS0_4arch9wavefront6targetE1EEEvSI_: ; @_ZN7rocprim17ROCPRIM_400000_NS6detail17trampoline_kernelINS0_14default_configENS1_38merge_sort_block_merge_config_selectorIN3c104HalfElEEZZNS1_27merge_sort_block_merge_implIS3_PS6_N6thrust23THRUST_200600_302600_NS10device_ptrIlEEmNSB_4lessIS6_EEEE10hipError_tT0_T1_T2_jT3_P12ihipStream_tbPNSt15iterator_traitsISH_E10value_typeEPNSN_ISI_E10value_typeEPSJ_NS1_7vsmem_tEENKUlT_SH_SI_SJ_E_clIS9_S9_SD_PlEESG_SW_SH_SI_SJ_EUlSW_E0_NS1_11comp_targetILNS1_3genE9ELNS1_11target_archE1100ELNS1_3gpuE3ELNS1_3repE0EEENS1_38merge_mergepath_config_static_selectorELNS0_4arch9wavefront6targetE1EEEvSI_
; %bb.0:
	.section	.rodata,"a",@progbits
	.p2align	6, 0x0
	.amdhsa_kernel _ZN7rocprim17ROCPRIM_400000_NS6detail17trampoline_kernelINS0_14default_configENS1_38merge_sort_block_merge_config_selectorIN3c104HalfElEEZZNS1_27merge_sort_block_merge_implIS3_PS6_N6thrust23THRUST_200600_302600_NS10device_ptrIlEEmNSB_4lessIS6_EEEE10hipError_tT0_T1_T2_jT3_P12ihipStream_tbPNSt15iterator_traitsISH_E10value_typeEPNSN_ISI_E10value_typeEPSJ_NS1_7vsmem_tEENKUlT_SH_SI_SJ_E_clIS9_S9_SD_PlEESG_SW_SH_SI_SJ_EUlSW_E0_NS1_11comp_targetILNS1_3genE9ELNS1_11target_archE1100ELNS1_3gpuE3ELNS1_3repE0EEENS1_38merge_mergepath_config_static_selectorELNS0_4arch9wavefront6targetE1EEEvSI_
		.amdhsa_group_segment_fixed_size 0
		.amdhsa_private_segment_fixed_size 0
		.amdhsa_kernarg_size 72
		.amdhsa_user_sgpr_count 6
		.amdhsa_user_sgpr_private_segment_buffer 1
		.amdhsa_user_sgpr_dispatch_ptr 0
		.amdhsa_user_sgpr_queue_ptr 0
		.amdhsa_user_sgpr_kernarg_segment_ptr 1
		.amdhsa_user_sgpr_dispatch_id 0
		.amdhsa_user_sgpr_flat_scratch_init 0
		.amdhsa_user_sgpr_kernarg_preload_length 0
		.amdhsa_user_sgpr_kernarg_preload_offset 0
		.amdhsa_user_sgpr_private_segment_size 0
		.amdhsa_uses_dynamic_stack 0
		.amdhsa_system_sgpr_private_segment_wavefront_offset 0
		.amdhsa_system_sgpr_workgroup_id_x 1
		.amdhsa_system_sgpr_workgroup_id_y 0
		.amdhsa_system_sgpr_workgroup_id_z 0
		.amdhsa_system_sgpr_workgroup_info 0
		.amdhsa_system_vgpr_workitem_id 0
		.amdhsa_next_free_vgpr 1
		.amdhsa_next_free_sgpr 0
		.amdhsa_accum_offset 4
		.amdhsa_reserve_vcc 0
		.amdhsa_reserve_flat_scratch 0
		.amdhsa_float_round_mode_32 0
		.amdhsa_float_round_mode_16_64 0
		.amdhsa_float_denorm_mode_32 3
		.amdhsa_float_denorm_mode_16_64 3
		.amdhsa_dx10_clamp 1
		.amdhsa_ieee_mode 1
		.amdhsa_fp16_overflow 0
		.amdhsa_tg_split 0
		.amdhsa_exception_fp_ieee_invalid_op 0
		.amdhsa_exception_fp_denorm_src 0
		.amdhsa_exception_fp_ieee_div_zero 0
		.amdhsa_exception_fp_ieee_overflow 0
		.amdhsa_exception_fp_ieee_underflow 0
		.amdhsa_exception_fp_ieee_inexact 0
		.amdhsa_exception_int_div_zero 0
	.end_amdhsa_kernel
	.section	.text._ZN7rocprim17ROCPRIM_400000_NS6detail17trampoline_kernelINS0_14default_configENS1_38merge_sort_block_merge_config_selectorIN3c104HalfElEEZZNS1_27merge_sort_block_merge_implIS3_PS6_N6thrust23THRUST_200600_302600_NS10device_ptrIlEEmNSB_4lessIS6_EEEE10hipError_tT0_T1_T2_jT3_P12ihipStream_tbPNSt15iterator_traitsISH_E10value_typeEPNSN_ISI_E10value_typeEPSJ_NS1_7vsmem_tEENKUlT_SH_SI_SJ_E_clIS9_S9_SD_PlEESG_SW_SH_SI_SJ_EUlSW_E0_NS1_11comp_targetILNS1_3genE9ELNS1_11target_archE1100ELNS1_3gpuE3ELNS1_3repE0EEENS1_38merge_mergepath_config_static_selectorELNS0_4arch9wavefront6targetE1EEEvSI_,"axG",@progbits,_ZN7rocprim17ROCPRIM_400000_NS6detail17trampoline_kernelINS0_14default_configENS1_38merge_sort_block_merge_config_selectorIN3c104HalfElEEZZNS1_27merge_sort_block_merge_implIS3_PS6_N6thrust23THRUST_200600_302600_NS10device_ptrIlEEmNSB_4lessIS6_EEEE10hipError_tT0_T1_T2_jT3_P12ihipStream_tbPNSt15iterator_traitsISH_E10value_typeEPNSN_ISI_E10value_typeEPSJ_NS1_7vsmem_tEENKUlT_SH_SI_SJ_E_clIS9_S9_SD_PlEESG_SW_SH_SI_SJ_EUlSW_E0_NS1_11comp_targetILNS1_3genE9ELNS1_11target_archE1100ELNS1_3gpuE3ELNS1_3repE0EEENS1_38merge_mergepath_config_static_selectorELNS0_4arch9wavefront6targetE1EEEvSI_,comdat
.Lfunc_end2164:
	.size	_ZN7rocprim17ROCPRIM_400000_NS6detail17trampoline_kernelINS0_14default_configENS1_38merge_sort_block_merge_config_selectorIN3c104HalfElEEZZNS1_27merge_sort_block_merge_implIS3_PS6_N6thrust23THRUST_200600_302600_NS10device_ptrIlEEmNSB_4lessIS6_EEEE10hipError_tT0_T1_T2_jT3_P12ihipStream_tbPNSt15iterator_traitsISH_E10value_typeEPNSN_ISI_E10value_typeEPSJ_NS1_7vsmem_tEENKUlT_SH_SI_SJ_E_clIS9_S9_SD_PlEESG_SW_SH_SI_SJ_EUlSW_E0_NS1_11comp_targetILNS1_3genE9ELNS1_11target_archE1100ELNS1_3gpuE3ELNS1_3repE0EEENS1_38merge_mergepath_config_static_selectorELNS0_4arch9wavefront6targetE1EEEvSI_, .Lfunc_end2164-_ZN7rocprim17ROCPRIM_400000_NS6detail17trampoline_kernelINS0_14default_configENS1_38merge_sort_block_merge_config_selectorIN3c104HalfElEEZZNS1_27merge_sort_block_merge_implIS3_PS6_N6thrust23THRUST_200600_302600_NS10device_ptrIlEEmNSB_4lessIS6_EEEE10hipError_tT0_T1_T2_jT3_P12ihipStream_tbPNSt15iterator_traitsISH_E10value_typeEPNSN_ISI_E10value_typeEPSJ_NS1_7vsmem_tEENKUlT_SH_SI_SJ_E_clIS9_S9_SD_PlEESG_SW_SH_SI_SJ_EUlSW_E0_NS1_11comp_targetILNS1_3genE9ELNS1_11target_archE1100ELNS1_3gpuE3ELNS1_3repE0EEENS1_38merge_mergepath_config_static_selectorELNS0_4arch9wavefront6targetE1EEEvSI_
                                        ; -- End function
	.section	.AMDGPU.csdata,"",@progbits
; Kernel info:
; codeLenInByte = 0
; NumSgprs: 4
; NumVgprs: 0
; NumAgprs: 0
; TotalNumVgprs: 0
; ScratchSize: 0
; MemoryBound: 0
; FloatMode: 240
; IeeeMode: 1
; LDSByteSize: 0 bytes/workgroup (compile time only)
; SGPRBlocks: 0
; VGPRBlocks: 0
; NumSGPRsForWavesPerEU: 4
; NumVGPRsForWavesPerEU: 1
; AccumOffset: 4
; Occupancy: 8
; WaveLimiterHint : 0
; COMPUTE_PGM_RSRC2:SCRATCH_EN: 0
; COMPUTE_PGM_RSRC2:USER_SGPR: 6
; COMPUTE_PGM_RSRC2:TRAP_HANDLER: 0
; COMPUTE_PGM_RSRC2:TGID_X_EN: 1
; COMPUTE_PGM_RSRC2:TGID_Y_EN: 0
; COMPUTE_PGM_RSRC2:TGID_Z_EN: 0
; COMPUTE_PGM_RSRC2:TIDIG_COMP_CNT: 0
; COMPUTE_PGM_RSRC3_GFX90A:ACCUM_OFFSET: 0
; COMPUTE_PGM_RSRC3_GFX90A:TG_SPLIT: 0
	.section	.text._ZN7rocprim17ROCPRIM_400000_NS6detail17trampoline_kernelINS0_14default_configENS1_38merge_sort_block_merge_config_selectorIN3c104HalfElEEZZNS1_27merge_sort_block_merge_implIS3_PS6_N6thrust23THRUST_200600_302600_NS10device_ptrIlEEmNSB_4lessIS6_EEEE10hipError_tT0_T1_T2_jT3_P12ihipStream_tbPNSt15iterator_traitsISH_E10value_typeEPNSN_ISI_E10value_typeEPSJ_NS1_7vsmem_tEENKUlT_SH_SI_SJ_E_clIS9_S9_SD_PlEESG_SW_SH_SI_SJ_EUlSW_E0_NS1_11comp_targetILNS1_3genE8ELNS1_11target_archE1030ELNS1_3gpuE2ELNS1_3repE0EEENS1_38merge_mergepath_config_static_selectorELNS0_4arch9wavefront6targetE1EEEvSI_,"axG",@progbits,_ZN7rocprim17ROCPRIM_400000_NS6detail17trampoline_kernelINS0_14default_configENS1_38merge_sort_block_merge_config_selectorIN3c104HalfElEEZZNS1_27merge_sort_block_merge_implIS3_PS6_N6thrust23THRUST_200600_302600_NS10device_ptrIlEEmNSB_4lessIS6_EEEE10hipError_tT0_T1_T2_jT3_P12ihipStream_tbPNSt15iterator_traitsISH_E10value_typeEPNSN_ISI_E10value_typeEPSJ_NS1_7vsmem_tEENKUlT_SH_SI_SJ_E_clIS9_S9_SD_PlEESG_SW_SH_SI_SJ_EUlSW_E0_NS1_11comp_targetILNS1_3genE8ELNS1_11target_archE1030ELNS1_3gpuE2ELNS1_3repE0EEENS1_38merge_mergepath_config_static_selectorELNS0_4arch9wavefront6targetE1EEEvSI_,comdat
	.protected	_ZN7rocprim17ROCPRIM_400000_NS6detail17trampoline_kernelINS0_14default_configENS1_38merge_sort_block_merge_config_selectorIN3c104HalfElEEZZNS1_27merge_sort_block_merge_implIS3_PS6_N6thrust23THRUST_200600_302600_NS10device_ptrIlEEmNSB_4lessIS6_EEEE10hipError_tT0_T1_T2_jT3_P12ihipStream_tbPNSt15iterator_traitsISH_E10value_typeEPNSN_ISI_E10value_typeEPSJ_NS1_7vsmem_tEENKUlT_SH_SI_SJ_E_clIS9_S9_SD_PlEESG_SW_SH_SI_SJ_EUlSW_E0_NS1_11comp_targetILNS1_3genE8ELNS1_11target_archE1030ELNS1_3gpuE2ELNS1_3repE0EEENS1_38merge_mergepath_config_static_selectorELNS0_4arch9wavefront6targetE1EEEvSI_ ; -- Begin function _ZN7rocprim17ROCPRIM_400000_NS6detail17trampoline_kernelINS0_14default_configENS1_38merge_sort_block_merge_config_selectorIN3c104HalfElEEZZNS1_27merge_sort_block_merge_implIS3_PS6_N6thrust23THRUST_200600_302600_NS10device_ptrIlEEmNSB_4lessIS6_EEEE10hipError_tT0_T1_T2_jT3_P12ihipStream_tbPNSt15iterator_traitsISH_E10value_typeEPNSN_ISI_E10value_typeEPSJ_NS1_7vsmem_tEENKUlT_SH_SI_SJ_E_clIS9_S9_SD_PlEESG_SW_SH_SI_SJ_EUlSW_E0_NS1_11comp_targetILNS1_3genE8ELNS1_11target_archE1030ELNS1_3gpuE2ELNS1_3repE0EEENS1_38merge_mergepath_config_static_selectorELNS0_4arch9wavefront6targetE1EEEvSI_
	.globl	_ZN7rocprim17ROCPRIM_400000_NS6detail17trampoline_kernelINS0_14default_configENS1_38merge_sort_block_merge_config_selectorIN3c104HalfElEEZZNS1_27merge_sort_block_merge_implIS3_PS6_N6thrust23THRUST_200600_302600_NS10device_ptrIlEEmNSB_4lessIS6_EEEE10hipError_tT0_T1_T2_jT3_P12ihipStream_tbPNSt15iterator_traitsISH_E10value_typeEPNSN_ISI_E10value_typeEPSJ_NS1_7vsmem_tEENKUlT_SH_SI_SJ_E_clIS9_S9_SD_PlEESG_SW_SH_SI_SJ_EUlSW_E0_NS1_11comp_targetILNS1_3genE8ELNS1_11target_archE1030ELNS1_3gpuE2ELNS1_3repE0EEENS1_38merge_mergepath_config_static_selectorELNS0_4arch9wavefront6targetE1EEEvSI_
	.p2align	8
	.type	_ZN7rocprim17ROCPRIM_400000_NS6detail17trampoline_kernelINS0_14default_configENS1_38merge_sort_block_merge_config_selectorIN3c104HalfElEEZZNS1_27merge_sort_block_merge_implIS3_PS6_N6thrust23THRUST_200600_302600_NS10device_ptrIlEEmNSB_4lessIS6_EEEE10hipError_tT0_T1_T2_jT3_P12ihipStream_tbPNSt15iterator_traitsISH_E10value_typeEPNSN_ISI_E10value_typeEPSJ_NS1_7vsmem_tEENKUlT_SH_SI_SJ_E_clIS9_S9_SD_PlEESG_SW_SH_SI_SJ_EUlSW_E0_NS1_11comp_targetILNS1_3genE8ELNS1_11target_archE1030ELNS1_3gpuE2ELNS1_3repE0EEENS1_38merge_mergepath_config_static_selectorELNS0_4arch9wavefront6targetE1EEEvSI_,@function
_ZN7rocprim17ROCPRIM_400000_NS6detail17trampoline_kernelINS0_14default_configENS1_38merge_sort_block_merge_config_selectorIN3c104HalfElEEZZNS1_27merge_sort_block_merge_implIS3_PS6_N6thrust23THRUST_200600_302600_NS10device_ptrIlEEmNSB_4lessIS6_EEEE10hipError_tT0_T1_T2_jT3_P12ihipStream_tbPNSt15iterator_traitsISH_E10value_typeEPNSN_ISI_E10value_typeEPSJ_NS1_7vsmem_tEENKUlT_SH_SI_SJ_E_clIS9_S9_SD_PlEESG_SW_SH_SI_SJ_EUlSW_E0_NS1_11comp_targetILNS1_3genE8ELNS1_11target_archE1030ELNS1_3gpuE2ELNS1_3repE0EEENS1_38merge_mergepath_config_static_selectorELNS0_4arch9wavefront6targetE1EEEvSI_: ; @_ZN7rocprim17ROCPRIM_400000_NS6detail17trampoline_kernelINS0_14default_configENS1_38merge_sort_block_merge_config_selectorIN3c104HalfElEEZZNS1_27merge_sort_block_merge_implIS3_PS6_N6thrust23THRUST_200600_302600_NS10device_ptrIlEEmNSB_4lessIS6_EEEE10hipError_tT0_T1_T2_jT3_P12ihipStream_tbPNSt15iterator_traitsISH_E10value_typeEPNSN_ISI_E10value_typeEPSJ_NS1_7vsmem_tEENKUlT_SH_SI_SJ_E_clIS9_S9_SD_PlEESG_SW_SH_SI_SJ_EUlSW_E0_NS1_11comp_targetILNS1_3genE8ELNS1_11target_archE1030ELNS1_3gpuE2ELNS1_3repE0EEENS1_38merge_mergepath_config_static_selectorELNS0_4arch9wavefront6targetE1EEEvSI_
; %bb.0:
	.section	.rodata,"a",@progbits
	.p2align	6, 0x0
	.amdhsa_kernel _ZN7rocprim17ROCPRIM_400000_NS6detail17trampoline_kernelINS0_14default_configENS1_38merge_sort_block_merge_config_selectorIN3c104HalfElEEZZNS1_27merge_sort_block_merge_implIS3_PS6_N6thrust23THRUST_200600_302600_NS10device_ptrIlEEmNSB_4lessIS6_EEEE10hipError_tT0_T1_T2_jT3_P12ihipStream_tbPNSt15iterator_traitsISH_E10value_typeEPNSN_ISI_E10value_typeEPSJ_NS1_7vsmem_tEENKUlT_SH_SI_SJ_E_clIS9_S9_SD_PlEESG_SW_SH_SI_SJ_EUlSW_E0_NS1_11comp_targetILNS1_3genE8ELNS1_11target_archE1030ELNS1_3gpuE2ELNS1_3repE0EEENS1_38merge_mergepath_config_static_selectorELNS0_4arch9wavefront6targetE1EEEvSI_
		.amdhsa_group_segment_fixed_size 0
		.amdhsa_private_segment_fixed_size 0
		.amdhsa_kernarg_size 72
		.amdhsa_user_sgpr_count 6
		.amdhsa_user_sgpr_private_segment_buffer 1
		.amdhsa_user_sgpr_dispatch_ptr 0
		.amdhsa_user_sgpr_queue_ptr 0
		.amdhsa_user_sgpr_kernarg_segment_ptr 1
		.amdhsa_user_sgpr_dispatch_id 0
		.amdhsa_user_sgpr_flat_scratch_init 0
		.amdhsa_user_sgpr_kernarg_preload_length 0
		.amdhsa_user_sgpr_kernarg_preload_offset 0
		.amdhsa_user_sgpr_private_segment_size 0
		.amdhsa_uses_dynamic_stack 0
		.amdhsa_system_sgpr_private_segment_wavefront_offset 0
		.amdhsa_system_sgpr_workgroup_id_x 1
		.amdhsa_system_sgpr_workgroup_id_y 0
		.amdhsa_system_sgpr_workgroup_id_z 0
		.amdhsa_system_sgpr_workgroup_info 0
		.amdhsa_system_vgpr_workitem_id 0
		.amdhsa_next_free_vgpr 1
		.amdhsa_next_free_sgpr 0
		.amdhsa_accum_offset 4
		.amdhsa_reserve_vcc 0
		.amdhsa_reserve_flat_scratch 0
		.amdhsa_float_round_mode_32 0
		.amdhsa_float_round_mode_16_64 0
		.amdhsa_float_denorm_mode_32 3
		.amdhsa_float_denorm_mode_16_64 3
		.amdhsa_dx10_clamp 1
		.amdhsa_ieee_mode 1
		.amdhsa_fp16_overflow 0
		.amdhsa_tg_split 0
		.amdhsa_exception_fp_ieee_invalid_op 0
		.amdhsa_exception_fp_denorm_src 0
		.amdhsa_exception_fp_ieee_div_zero 0
		.amdhsa_exception_fp_ieee_overflow 0
		.amdhsa_exception_fp_ieee_underflow 0
		.amdhsa_exception_fp_ieee_inexact 0
		.amdhsa_exception_int_div_zero 0
	.end_amdhsa_kernel
	.section	.text._ZN7rocprim17ROCPRIM_400000_NS6detail17trampoline_kernelINS0_14default_configENS1_38merge_sort_block_merge_config_selectorIN3c104HalfElEEZZNS1_27merge_sort_block_merge_implIS3_PS6_N6thrust23THRUST_200600_302600_NS10device_ptrIlEEmNSB_4lessIS6_EEEE10hipError_tT0_T1_T2_jT3_P12ihipStream_tbPNSt15iterator_traitsISH_E10value_typeEPNSN_ISI_E10value_typeEPSJ_NS1_7vsmem_tEENKUlT_SH_SI_SJ_E_clIS9_S9_SD_PlEESG_SW_SH_SI_SJ_EUlSW_E0_NS1_11comp_targetILNS1_3genE8ELNS1_11target_archE1030ELNS1_3gpuE2ELNS1_3repE0EEENS1_38merge_mergepath_config_static_selectorELNS0_4arch9wavefront6targetE1EEEvSI_,"axG",@progbits,_ZN7rocprim17ROCPRIM_400000_NS6detail17trampoline_kernelINS0_14default_configENS1_38merge_sort_block_merge_config_selectorIN3c104HalfElEEZZNS1_27merge_sort_block_merge_implIS3_PS6_N6thrust23THRUST_200600_302600_NS10device_ptrIlEEmNSB_4lessIS6_EEEE10hipError_tT0_T1_T2_jT3_P12ihipStream_tbPNSt15iterator_traitsISH_E10value_typeEPNSN_ISI_E10value_typeEPSJ_NS1_7vsmem_tEENKUlT_SH_SI_SJ_E_clIS9_S9_SD_PlEESG_SW_SH_SI_SJ_EUlSW_E0_NS1_11comp_targetILNS1_3genE8ELNS1_11target_archE1030ELNS1_3gpuE2ELNS1_3repE0EEENS1_38merge_mergepath_config_static_selectorELNS0_4arch9wavefront6targetE1EEEvSI_,comdat
.Lfunc_end2165:
	.size	_ZN7rocprim17ROCPRIM_400000_NS6detail17trampoline_kernelINS0_14default_configENS1_38merge_sort_block_merge_config_selectorIN3c104HalfElEEZZNS1_27merge_sort_block_merge_implIS3_PS6_N6thrust23THRUST_200600_302600_NS10device_ptrIlEEmNSB_4lessIS6_EEEE10hipError_tT0_T1_T2_jT3_P12ihipStream_tbPNSt15iterator_traitsISH_E10value_typeEPNSN_ISI_E10value_typeEPSJ_NS1_7vsmem_tEENKUlT_SH_SI_SJ_E_clIS9_S9_SD_PlEESG_SW_SH_SI_SJ_EUlSW_E0_NS1_11comp_targetILNS1_3genE8ELNS1_11target_archE1030ELNS1_3gpuE2ELNS1_3repE0EEENS1_38merge_mergepath_config_static_selectorELNS0_4arch9wavefront6targetE1EEEvSI_, .Lfunc_end2165-_ZN7rocprim17ROCPRIM_400000_NS6detail17trampoline_kernelINS0_14default_configENS1_38merge_sort_block_merge_config_selectorIN3c104HalfElEEZZNS1_27merge_sort_block_merge_implIS3_PS6_N6thrust23THRUST_200600_302600_NS10device_ptrIlEEmNSB_4lessIS6_EEEE10hipError_tT0_T1_T2_jT3_P12ihipStream_tbPNSt15iterator_traitsISH_E10value_typeEPNSN_ISI_E10value_typeEPSJ_NS1_7vsmem_tEENKUlT_SH_SI_SJ_E_clIS9_S9_SD_PlEESG_SW_SH_SI_SJ_EUlSW_E0_NS1_11comp_targetILNS1_3genE8ELNS1_11target_archE1030ELNS1_3gpuE2ELNS1_3repE0EEENS1_38merge_mergepath_config_static_selectorELNS0_4arch9wavefront6targetE1EEEvSI_
                                        ; -- End function
	.section	.AMDGPU.csdata,"",@progbits
; Kernel info:
; codeLenInByte = 0
; NumSgprs: 4
; NumVgprs: 0
; NumAgprs: 0
; TotalNumVgprs: 0
; ScratchSize: 0
; MemoryBound: 0
; FloatMode: 240
; IeeeMode: 1
; LDSByteSize: 0 bytes/workgroup (compile time only)
; SGPRBlocks: 0
; VGPRBlocks: 0
; NumSGPRsForWavesPerEU: 4
; NumVGPRsForWavesPerEU: 1
; AccumOffset: 4
; Occupancy: 8
; WaveLimiterHint : 0
; COMPUTE_PGM_RSRC2:SCRATCH_EN: 0
; COMPUTE_PGM_RSRC2:USER_SGPR: 6
; COMPUTE_PGM_RSRC2:TRAP_HANDLER: 0
; COMPUTE_PGM_RSRC2:TGID_X_EN: 1
; COMPUTE_PGM_RSRC2:TGID_Y_EN: 0
; COMPUTE_PGM_RSRC2:TGID_Z_EN: 0
; COMPUTE_PGM_RSRC2:TIDIG_COMP_CNT: 0
; COMPUTE_PGM_RSRC3_GFX90A:ACCUM_OFFSET: 0
; COMPUTE_PGM_RSRC3_GFX90A:TG_SPLIT: 0
	.section	.text._ZN7rocprim17ROCPRIM_400000_NS6detail17trampoline_kernelINS0_14default_configENS1_38merge_sort_block_merge_config_selectorIN3c104HalfElEEZZNS1_27merge_sort_block_merge_implIS3_PS6_N6thrust23THRUST_200600_302600_NS10device_ptrIlEEmNSB_4lessIS6_EEEE10hipError_tT0_T1_T2_jT3_P12ihipStream_tbPNSt15iterator_traitsISH_E10value_typeEPNSN_ISI_E10value_typeEPSJ_NS1_7vsmem_tEENKUlT_SH_SI_SJ_E_clIS9_S9_SD_PlEESG_SW_SH_SI_SJ_EUlSW_E1_NS1_11comp_targetILNS1_3genE0ELNS1_11target_archE4294967295ELNS1_3gpuE0ELNS1_3repE0EEENS1_36merge_oddeven_config_static_selectorELNS0_4arch9wavefront6targetE1EEEvSI_,"axG",@progbits,_ZN7rocprim17ROCPRIM_400000_NS6detail17trampoline_kernelINS0_14default_configENS1_38merge_sort_block_merge_config_selectorIN3c104HalfElEEZZNS1_27merge_sort_block_merge_implIS3_PS6_N6thrust23THRUST_200600_302600_NS10device_ptrIlEEmNSB_4lessIS6_EEEE10hipError_tT0_T1_T2_jT3_P12ihipStream_tbPNSt15iterator_traitsISH_E10value_typeEPNSN_ISI_E10value_typeEPSJ_NS1_7vsmem_tEENKUlT_SH_SI_SJ_E_clIS9_S9_SD_PlEESG_SW_SH_SI_SJ_EUlSW_E1_NS1_11comp_targetILNS1_3genE0ELNS1_11target_archE4294967295ELNS1_3gpuE0ELNS1_3repE0EEENS1_36merge_oddeven_config_static_selectorELNS0_4arch9wavefront6targetE1EEEvSI_,comdat
	.protected	_ZN7rocprim17ROCPRIM_400000_NS6detail17trampoline_kernelINS0_14default_configENS1_38merge_sort_block_merge_config_selectorIN3c104HalfElEEZZNS1_27merge_sort_block_merge_implIS3_PS6_N6thrust23THRUST_200600_302600_NS10device_ptrIlEEmNSB_4lessIS6_EEEE10hipError_tT0_T1_T2_jT3_P12ihipStream_tbPNSt15iterator_traitsISH_E10value_typeEPNSN_ISI_E10value_typeEPSJ_NS1_7vsmem_tEENKUlT_SH_SI_SJ_E_clIS9_S9_SD_PlEESG_SW_SH_SI_SJ_EUlSW_E1_NS1_11comp_targetILNS1_3genE0ELNS1_11target_archE4294967295ELNS1_3gpuE0ELNS1_3repE0EEENS1_36merge_oddeven_config_static_selectorELNS0_4arch9wavefront6targetE1EEEvSI_ ; -- Begin function _ZN7rocprim17ROCPRIM_400000_NS6detail17trampoline_kernelINS0_14default_configENS1_38merge_sort_block_merge_config_selectorIN3c104HalfElEEZZNS1_27merge_sort_block_merge_implIS3_PS6_N6thrust23THRUST_200600_302600_NS10device_ptrIlEEmNSB_4lessIS6_EEEE10hipError_tT0_T1_T2_jT3_P12ihipStream_tbPNSt15iterator_traitsISH_E10value_typeEPNSN_ISI_E10value_typeEPSJ_NS1_7vsmem_tEENKUlT_SH_SI_SJ_E_clIS9_S9_SD_PlEESG_SW_SH_SI_SJ_EUlSW_E1_NS1_11comp_targetILNS1_3genE0ELNS1_11target_archE4294967295ELNS1_3gpuE0ELNS1_3repE0EEENS1_36merge_oddeven_config_static_selectorELNS0_4arch9wavefront6targetE1EEEvSI_
	.globl	_ZN7rocprim17ROCPRIM_400000_NS6detail17trampoline_kernelINS0_14default_configENS1_38merge_sort_block_merge_config_selectorIN3c104HalfElEEZZNS1_27merge_sort_block_merge_implIS3_PS6_N6thrust23THRUST_200600_302600_NS10device_ptrIlEEmNSB_4lessIS6_EEEE10hipError_tT0_T1_T2_jT3_P12ihipStream_tbPNSt15iterator_traitsISH_E10value_typeEPNSN_ISI_E10value_typeEPSJ_NS1_7vsmem_tEENKUlT_SH_SI_SJ_E_clIS9_S9_SD_PlEESG_SW_SH_SI_SJ_EUlSW_E1_NS1_11comp_targetILNS1_3genE0ELNS1_11target_archE4294967295ELNS1_3gpuE0ELNS1_3repE0EEENS1_36merge_oddeven_config_static_selectorELNS0_4arch9wavefront6targetE1EEEvSI_
	.p2align	8
	.type	_ZN7rocprim17ROCPRIM_400000_NS6detail17trampoline_kernelINS0_14default_configENS1_38merge_sort_block_merge_config_selectorIN3c104HalfElEEZZNS1_27merge_sort_block_merge_implIS3_PS6_N6thrust23THRUST_200600_302600_NS10device_ptrIlEEmNSB_4lessIS6_EEEE10hipError_tT0_T1_T2_jT3_P12ihipStream_tbPNSt15iterator_traitsISH_E10value_typeEPNSN_ISI_E10value_typeEPSJ_NS1_7vsmem_tEENKUlT_SH_SI_SJ_E_clIS9_S9_SD_PlEESG_SW_SH_SI_SJ_EUlSW_E1_NS1_11comp_targetILNS1_3genE0ELNS1_11target_archE4294967295ELNS1_3gpuE0ELNS1_3repE0EEENS1_36merge_oddeven_config_static_selectorELNS0_4arch9wavefront6targetE1EEEvSI_,@function
_ZN7rocprim17ROCPRIM_400000_NS6detail17trampoline_kernelINS0_14default_configENS1_38merge_sort_block_merge_config_selectorIN3c104HalfElEEZZNS1_27merge_sort_block_merge_implIS3_PS6_N6thrust23THRUST_200600_302600_NS10device_ptrIlEEmNSB_4lessIS6_EEEE10hipError_tT0_T1_T2_jT3_P12ihipStream_tbPNSt15iterator_traitsISH_E10value_typeEPNSN_ISI_E10value_typeEPSJ_NS1_7vsmem_tEENKUlT_SH_SI_SJ_E_clIS9_S9_SD_PlEESG_SW_SH_SI_SJ_EUlSW_E1_NS1_11comp_targetILNS1_3genE0ELNS1_11target_archE4294967295ELNS1_3gpuE0ELNS1_3repE0EEENS1_36merge_oddeven_config_static_selectorELNS0_4arch9wavefront6targetE1EEEvSI_: ; @_ZN7rocprim17ROCPRIM_400000_NS6detail17trampoline_kernelINS0_14default_configENS1_38merge_sort_block_merge_config_selectorIN3c104HalfElEEZZNS1_27merge_sort_block_merge_implIS3_PS6_N6thrust23THRUST_200600_302600_NS10device_ptrIlEEmNSB_4lessIS6_EEEE10hipError_tT0_T1_T2_jT3_P12ihipStream_tbPNSt15iterator_traitsISH_E10value_typeEPNSN_ISI_E10value_typeEPSJ_NS1_7vsmem_tEENKUlT_SH_SI_SJ_E_clIS9_S9_SD_PlEESG_SW_SH_SI_SJ_EUlSW_E1_NS1_11comp_targetILNS1_3genE0ELNS1_11target_archE4294967295ELNS1_3gpuE0ELNS1_3repE0EEENS1_36merge_oddeven_config_static_selectorELNS0_4arch9wavefront6targetE1EEEvSI_
; %bb.0:
	.section	.rodata,"a",@progbits
	.p2align	6, 0x0
	.amdhsa_kernel _ZN7rocprim17ROCPRIM_400000_NS6detail17trampoline_kernelINS0_14default_configENS1_38merge_sort_block_merge_config_selectorIN3c104HalfElEEZZNS1_27merge_sort_block_merge_implIS3_PS6_N6thrust23THRUST_200600_302600_NS10device_ptrIlEEmNSB_4lessIS6_EEEE10hipError_tT0_T1_T2_jT3_P12ihipStream_tbPNSt15iterator_traitsISH_E10value_typeEPNSN_ISI_E10value_typeEPSJ_NS1_7vsmem_tEENKUlT_SH_SI_SJ_E_clIS9_S9_SD_PlEESG_SW_SH_SI_SJ_EUlSW_E1_NS1_11comp_targetILNS1_3genE0ELNS1_11target_archE4294967295ELNS1_3gpuE0ELNS1_3repE0EEENS1_36merge_oddeven_config_static_selectorELNS0_4arch9wavefront6targetE1EEEvSI_
		.amdhsa_group_segment_fixed_size 0
		.amdhsa_private_segment_fixed_size 0
		.amdhsa_kernarg_size 56
		.amdhsa_user_sgpr_count 6
		.amdhsa_user_sgpr_private_segment_buffer 1
		.amdhsa_user_sgpr_dispatch_ptr 0
		.amdhsa_user_sgpr_queue_ptr 0
		.amdhsa_user_sgpr_kernarg_segment_ptr 1
		.amdhsa_user_sgpr_dispatch_id 0
		.amdhsa_user_sgpr_flat_scratch_init 0
		.amdhsa_user_sgpr_kernarg_preload_length 0
		.amdhsa_user_sgpr_kernarg_preload_offset 0
		.amdhsa_user_sgpr_private_segment_size 0
		.amdhsa_uses_dynamic_stack 0
		.amdhsa_system_sgpr_private_segment_wavefront_offset 0
		.amdhsa_system_sgpr_workgroup_id_x 1
		.amdhsa_system_sgpr_workgroup_id_y 0
		.amdhsa_system_sgpr_workgroup_id_z 0
		.amdhsa_system_sgpr_workgroup_info 0
		.amdhsa_system_vgpr_workitem_id 0
		.amdhsa_next_free_vgpr 1
		.amdhsa_next_free_sgpr 0
		.amdhsa_accum_offset 4
		.amdhsa_reserve_vcc 0
		.amdhsa_reserve_flat_scratch 0
		.amdhsa_float_round_mode_32 0
		.amdhsa_float_round_mode_16_64 0
		.amdhsa_float_denorm_mode_32 3
		.amdhsa_float_denorm_mode_16_64 3
		.amdhsa_dx10_clamp 1
		.amdhsa_ieee_mode 1
		.amdhsa_fp16_overflow 0
		.amdhsa_tg_split 0
		.amdhsa_exception_fp_ieee_invalid_op 0
		.amdhsa_exception_fp_denorm_src 0
		.amdhsa_exception_fp_ieee_div_zero 0
		.amdhsa_exception_fp_ieee_overflow 0
		.amdhsa_exception_fp_ieee_underflow 0
		.amdhsa_exception_fp_ieee_inexact 0
		.amdhsa_exception_int_div_zero 0
	.end_amdhsa_kernel
	.section	.text._ZN7rocprim17ROCPRIM_400000_NS6detail17trampoline_kernelINS0_14default_configENS1_38merge_sort_block_merge_config_selectorIN3c104HalfElEEZZNS1_27merge_sort_block_merge_implIS3_PS6_N6thrust23THRUST_200600_302600_NS10device_ptrIlEEmNSB_4lessIS6_EEEE10hipError_tT0_T1_T2_jT3_P12ihipStream_tbPNSt15iterator_traitsISH_E10value_typeEPNSN_ISI_E10value_typeEPSJ_NS1_7vsmem_tEENKUlT_SH_SI_SJ_E_clIS9_S9_SD_PlEESG_SW_SH_SI_SJ_EUlSW_E1_NS1_11comp_targetILNS1_3genE0ELNS1_11target_archE4294967295ELNS1_3gpuE0ELNS1_3repE0EEENS1_36merge_oddeven_config_static_selectorELNS0_4arch9wavefront6targetE1EEEvSI_,"axG",@progbits,_ZN7rocprim17ROCPRIM_400000_NS6detail17trampoline_kernelINS0_14default_configENS1_38merge_sort_block_merge_config_selectorIN3c104HalfElEEZZNS1_27merge_sort_block_merge_implIS3_PS6_N6thrust23THRUST_200600_302600_NS10device_ptrIlEEmNSB_4lessIS6_EEEE10hipError_tT0_T1_T2_jT3_P12ihipStream_tbPNSt15iterator_traitsISH_E10value_typeEPNSN_ISI_E10value_typeEPSJ_NS1_7vsmem_tEENKUlT_SH_SI_SJ_E_clIS9_S9_SD_PlEESG_SW_SH_SI_SJ_EUlSW_E1_NS1_11comp_targetILNS1_3genE0ELNS1_11target_archE4294967295ELNS1_3gpuE0ELNS1_3repE0EEENS1_36merge_oddeven_config_static_selectorELNS0_4arch9wavefront6targetE1EEEvSI_,comdat
.Lfunc_end2166:
	.size	_ZN7rocprim17ROCPRIM_400000_NS6detail17trampoline_kernelINS0_14default_configENS1_38merge_sort_block_merge_config_selectorIN3c104HalfElEEZZNS1_27merge_sort_block_merge_implIS3_PS6_N6thrust23THRUST_200600_302600_NS10device_ptrIlEEmNSB_4lessIS6_EEEE10hipError_tT0_T1_T2_jT3_P12ihipStream_tbPNSt15iterator_traitsISH_E10value_typeEPNSN_ISI_E10value_typeEPSJ_NS1_7vsmem_tEENKUlT_SH_SI_SJ_E_clIS9_S9_SD_PlEESG_SW_SH_SI_SJ_EUlSW_E1_NS1_11comp_targetILNS1_3genE0ELNS1_11target_archE4294967295ELNS1_3gpuE0ELNS1_3repE0EEENS1_36merge_oddeven_config_static_selectorELNS0_4arch9wavefront6targetE1EEEvSI_, .Lfunc_end2166-_ZN7rocprim17ROCPRIM_400000_NS6detail17trampoline_kernelINS0_14default_configENS1_38merge_sort_block_merge_config_selectorIN3c104HalfElEEZZNS1_27merge_sort_block_merge_implIS3_PS6_N6thrust23THRUST_200600_302600_NS10device_ptrIlEEmNSB_4lessIS6_EEEE10hipError_tT0_T1_T2_jT3_P12ihipStream_tbPNSt15iterator_traitsISH_E10value_typeEPNSN_ISI_E10value_typeEPSJ_NS1_7vsmem_tEENKUlT_SH_SI_SJ_E_clIS9_S9_SD_PlEESG_SW_SH_SI_SJ_EUlSW_E1_NS1_11comp_targetILNS1_3genE0ELNS1_11target_archE4294967295ELNS1_3gpuE0ELNS1_3repE0EEENS1_36merge_oddeven_config_static_selectorELNS0_4arch9wavefront6targetE1EEEvSI_
                                        ; -- End function
	.section	.AMDGPU.csdata,"",@progbits
; Kernel info:
; codeLenInByte = 0
; NumSgprs: 4
; NumVgprs: 0
; NumAgprs: 0
; TotalNumVgprs: 0
; ScratchSize: 0
; MemoryBound: 0
; FloatMode: 240
; IeeeMode: 1
; LDSByteSize: 0 bytes/workgroup (compile time only)
; SGPRBlocks: 0
; VGPRBlocks: 0
; NumSGPRsForWavesPerEU: 4
; NumVGPRsForWavesPerEU: 1
; AccumOffset: 4
; Occupancy: 8
; WaveLimiterHint : 0
; COMPUTE_PGM_RSRC2:SCRATCH_EN: 0
; COMPUTE_PGM_RSRC2:USER_SGPR: 6
; COMPUTE_PGM_RSRC2:TRAP_HANDLER: 0
; COMPUTE_PGM_RSRC2:TGID_X_EN: 1
; COMPUTE_PGM_RSRC2:TGID_Y_EN: 0
; COMPUTE_PGM_RSRC2:TGID_Z_EN: 0
; COMPUTE_PGM_RSRC2:TIDIG_COMP_CNT: 0
; COMPUTE_PGM_RSRC3_GFX90A:ACCUM_OFFSET: 0
; COMPUTE_PGM_RSRC3_GFX90A:TG_SPLIT: 0
	.section	.text._ZN7rocprim17ROCPRIM_400000_NS6detail17trampoline_kernelINS0_14default_configENS1_38merge_sort_block_merge_config_selectorIN3c104HalfElEEZZNS1_27merge_sort_block_merge_implIS3_PS6_N6thrust23THRUST_200600_302600_NS10device_ptrIlEEmNSB_4lessIS6_EEEE10hipError_tT0_T1_T2_jT3_P12ihipStream_tbPNSt15iterator_traitsISH_E10value_typeEPNSN_ISI_E10value_typeEPSJ_NS1_7vsmem_tEENKUlT_SH_SI_SJ_E_clIS9_S9_SD_PlEESG_SW_SH_SI_SJ_EUlSW_E1_NS1_11comp_targetILNS1_3genE10ELNS1_11target_archE1201ELNS1_3gpuE5ELNS1_3repE0EEENS1_36merge_oddeven_config_static_selectorELNS0_4arch9wavefront6targetE1EEEvSI_,"axG",@progbits,_ZN7rocprim17ROCPRIM_400000_NS6detail17trampoline_kernelINS0_14default_configENS1_38merge_sort_block_merge_config_selectorIN3c104HalfElEEZZNS1_27merge_sort_block_merge_implIS3_PS6_N6thrust23THRUST_200600_302600_NS10device_ptrIlEEmNSB_4lessIS6_EEEE10hipError_tT0_T1_T2_jT3_P12ihipStream_tbPNSt15iterator_traitsISH_E10value_typeEPNSN_ISI_E10value_typeEPSJ_NS1_7vsmem_tEENKUlT_SH_SI_SJ_E_clIS9_S9_SD_PlEESG_SW_SH_SI_SJ_EUlSW_E1_NS1_11comp_targetILNS1_3genE10ELNS1_11target_archE1201ELNS1_3gpuE5ELNS1_3repE0EEENS1_36merge_oddeven_config_static_selectorELNS0_4arch9wavefront6targetE1EEEvSI_,comdat
	.protected	_ZN7rocprim17ROCPRIM_400000_NS6detail17trampoline_kernelINS0_14default_configENS1_38merge_sort_block_merge_config_selectorIN3c104HalfElEEZZNS1_27merge_sort_block_merge_implIS3_PS6_N6thrust23THRUST_200600_302600_NS10device_ptrIlEEmNSB_4lessIS6_EEEE10hipError_tT0_T1_T2_jT3_P12ihipStream_tbPNSt15iterator_traitsISH_E10value_typeEPNSN_ISI_E10value_typeEPSJ_NS1_7vsmem_tEENKUlT_SH_SI_SJ_E_clIS9_S9_SD_PlEESG_SW_SH_SI_SJ_EUlSW_E1_NS1_11comp_targetILNS1_3genE10ELNS1_11target_archE1201ELNS1_3gpuE5ELNS1_3repE0EEENS1_36merge_oddeven_config_static_selectorELNS0_4arch9wavefront6targetE1EEEvSI_ ; -- Begin function _ZN7rocprim17ROCPRIM_400000_NS6detail17trampoline_kernelINS0_14default_configENS1_38merge_sort_block_merge_config_selectorIN3c104HalfElEEZZNS1_27merge_sort_block_merge_implIS3_PS6_N6thrust23THRUST_200600_302600_NS10device_ptrIlEEmNSB_4lessIS6_EEEE10hipError_tT0_T1_T2_jT3_P12ihipStream_tbPNSt15iterator_traitsISH_E10value_typeEPNSN_ISI_E10value_typeEPSJ_NS1_7vsmem_tEENKUlT_SH_SI_SJ_E_clIS9_S9_SD_PlEESG_SW_SH_SI_SJ_EUlSW_E1_NS1_11comp_targetILNS1_3genE10ELNS1_11target_archE1201ELNS1_3gpuE5ELNS1_3repE0EEENS1_36merge_oddeven_config_static_selectorELNS0_4arch9wavefront6targetE1EEEvSI_
	.globl	_ZN7rocprim17ROCPRIM_400000_NS6detail17trampoline_kernelINS0_14default_configENS1_38merge_sort_block_merge_config_selectorIN3c104HalfElEEZZNS1_27merge_sort_block_merge_implIS3_PS6_N6thrust23THRUST_200600_302600_NS10device_ptrIlEEmNSB_4lessIS6_EEEE10hipError_tT0_T1_T2_jT3_P12ihipStream_tbPNSt15iterator_traitsISH_E10value_typeEPNSN_ISI_E10value_typeEPSJ_NS1_7vsmem_tEENKUlT_SH_SI_SJ_E_clIS9_S9_SD_PlEESG_SW_SH_SI_SJ_EUlSW_E1_NS1_11comp_targetILNS1_3genE10ELNS1_11target_archE1201ELNS1_3gpuE5ELNS1_3repE0EEENS1_36merge_oddeven_config_static_selectorELNS0_4arch9wavefront6targetE1EEEvSI_
	.p2align	8
	.type	_ZN7rocprim17ROCPRIM_400000_NS6detail17trampoline_kernelINS0_14default_configENS1_38merge_sort_block_merge_config_selectorIN3c104HalfElEEZZNS1_27merge_sort_block_merge_implIS3_PS6_N6thrust23THRUST_200600_302600_NS10device_ptrIlEEmNSB_4lessIS6_EEEE10hipError_tT0_T1_T2_jT3_P12ihipStream_tbPNSt15iterator_traitsISH_E10value_typeEPNSN_ISI_E10value_typeEPSJ_NS1_7vsmem_tEENKUlT_SH_SI_SJ_E_clIS9_S9_SD_PlEESG_SW_SH_SI_SJ_EUlSW_E1_NS1_11comp_targetILNS1_3genE10ELNS1_11target_archE1201ELNS1_3gpuE5ELNS1_3repE0EEENS1_36merge_oddeven_config_static_selectorELNS0_4arch9wavefront6targetE1EEEvSI_,@function
_ZN7rocprim17ROCPRIM_400000_NS6detail17trampoline_kernelINS0_14default_configENS1_38merge_sort_block_merge_config_selectorIN3c104HalfElEEZZNS1_27merge_sort_block_merge_implIS3_PS6_N6thrust23THRUST_200600_302600_NS10device_ptrIlEEmNSB_4lessIS6_EEEE10hipError_tT0_T1_T2_jT3_P12ihipStream_tbPNSt15iterator_traitsISH_E10value_typeEPNSN_ISI_E10value_typeEPSJ_NS1_7vsmem_tEENKUlT_SH_SI_SJ_E_clIS9_S9_SD_PlEESG_SW_SH_SI_SJ_EUlSW_E1_NS1_11comp_targetILNS1_3genE10ELNS1_11target_archE1201ELNS1_3gpuE5ELNS1_3repE0EEENS1_36merge_oddeven_config_static_selectorELNS0_4arch9wavefront6targetE1EEEvSI_: ; @_ZN7rocprim17ROCPRIM_400000_NS6detail17trampoline_kernelINS0_14default_configENS1_38merge_sort_block_merge_config_selectorIN3c104HalfElEEZZNS1_27merge_sort_block_merge_implIS3_PS6_N6thrust23THRUST_200600_302600_NS10device_ptrIlEEmNSB_4lessIS6_EEEE10hipError_tT0_T1_T2_jT3_P12ihipStream_tbPNSt15iterator_traitsISH_E10value_typeEPNSN_ISI_E10value_typeEPSJ_NS1_7vsmem_tEENKUlT_SH_SI_SJ_E_clIS9_S9_SD_PlEESG_SW_SH_SI_SJ_EUlSW_E1_NS1_11comp_targetILNS1_3genE10ELNS1_11target_archE1201ELNS1_3gpuE5ELNS1_3repE0EEENS1_36merge_oddeven_config_static_selectorELNS0_4arch9wavefront6targetE1EEEvSI_
; %bb.0:
	.section	.rodata,"a",@progbits
	.p2align	6, 0x0
	.amdhsa_kernel _ZN7rocprim17ROCPRIM_400000_NS6detail17trampoline_kernelINS0_14default_configENS1_38merge_sort_block_merge_config_selectorIN3c104HalfElEEZZNS1_27merge_sort_block_merge_implIS3_PS6_N6thrust23THRUST_200600_302600_NS10device_ptrIlEEmNSB_4lessIS6_EEEE10hipError_tT0_T1_T2_jT3_P12ihipStream_tbPNSt15iterator_traitsISH_E10value_typeEPNSN_ISI_E10value_typeEPSJ_NS1_7vsmem_tEENKUlT_SH_SI_SJ_E_clIS9_S9_SD_PlEESG_SW_SH_SI_SJ_EUlSW_E1_NS1_11comp_targetILNS1_3genE10ELNS1_11target_archE1201ELNS1_3gpuE5ELNS1_3repE0EEENS1_36merge_oddeven_config_static_selectorELNS0_4arch9wavefront6targetE1EEEvSI_
		.amdhsa_group_segment_fixed_size 0
		.amdhsa_private_segment_fixed_size 0
		.amdhsa_kernarg_size 56
		.amdhsa_user_sgpr_count 6
		.amdhsa_user_sgpr_private_segment_buffer 1
		.amdhsa_user_sgpr_dispatch_ptr 0
		.amdhsa_user_sgpr_queue_ptr 0
		.amdhsa_user_sgpr_kernarg_segment_ptr 1
		.amdhsa_user_sgpr_dispatch_id 0
		.amdhsa_user_sgpr_flat_scratch_init 0
		.amdhsa_user_sgpr_kernarg_preload_length 0
		.amdhsa_user_sgpr_kernarg_preload_offset 0
		.amdhsa_user_sgpr_private_segment_size 0
		.amdhsa_uses_dynamic_stack 0
		.amdhsa_system_sgpr_private_segment_wavefront_offset 0
		.amdhsa_system_sgpr_workgroup_id_x 1
		.amdhsa_system_sgpr_workgroup_id_y 0
		.amdhsa_system_sgpr_workgroup_id_z 0
		.amdhsa_system_sgpr_workgroup_info 0
		.amdhsa_system_vgpr_workitem_id 0
		.amdhsa_next_free_vgpr 1
		.amdhsa_next_free_sgpr 0
		.amdhsa_accum_offset 4
		.amdhsa_reserve_vcc 0
		.amdhsa_reserve_flat_scratch 0
		.amdhsa_float_round_mode_32 0
		.amdhsa_float_round_mode_16_64 0
		.amdhsa_float_denorm_mode_32 3
		.amdhsa_float_denorm_mode_16_64 3
		.amdhsa_dx10_clamp 1
		.amdhsa_ieee_mode 1
		.amdhsa_fp16_overflow 0
		.amdhsa_tg_split 0
		.amdhsa_exception_fp_ieee_invalid_op 0
		.amdhsa_exception_fp_denorm_src 0
		.amdhsa_exception_fp_ieee_div_zero 0
		.amdhsa_exception_fp_ieee_overflow 0
		.amdhsa_exception_fp_ieee_underflow 0
		.amdhsa_exception_fp_ieee_inexact 0
		.amdhsa_exception_int_div_zero 0
	.end_amdhsa_kernel
	.section	.text._ZN7rocprim17ROCPRIM_400000_NS6detail17trampoline_kernelINS0_14default_configENS1_38merge_sort_block_merge_config_selectorIN3c104HalfElEEZZNS1_27merge_sort_block_merge_implIS3_PS6_N6thrust23THRUST_200600_302600_NS10device_ptrIlEEmNSB_4lessIS6_EEEE10hipError_tT0_T1_T2_jT3_P12ihipStream_tbPNSt15iterator_traitsISH_E10value_typeEPNSN_ISI_E10value_typeEPSJ_NS1_7vsmem_tEENKUlT_SH_SI_SJ_E_clIS9_S9_SD_PlEESG_SW_SH_SI_SJ_EUlSW_E1_NS1_11comp_targetILNS1_3genE10ELNS1_11target_archE1201ELNS1_3gpuE5ELNS1_3repE0EEENS1_36merge_oddeven_config_static_selectorELNS0_4arch9wavefront6targetE1EEEvSI_,"axG",@progbits,_ZN7rocprim17ROCPRIM_400000_NS6detail17trampoline_kernelINS0_14default_configENS1_38merge_sort_block_merge_config_selectorIN3c104HalfElEEZZNS1_27merge_sort_block_merge_implIS3_PS6_N6thrust23THRUST_200600_302600_NS10device_ptrIlEEmNSB_4lessIS6_EEEE10hipError_tT0_T1_T2_jT3_P12ihipStream_tbPNSt15iterator_traitsISH_E10value_typeEPNSN_ISI_E10value_typeEPSJ_NS1_7vsmem_tEENKUlT_SH_SI_SJ_E_clIS9_S9_SD_PlEESG_SW_SH_SI_SJ_EUlSW_E1_NS1_11comp_targetILNS1_3genE10ELNS1_11target_archE1201ELNS1_3gpuE5ELNS1_3repE0EEENS1_36merge_oddeven_config_static_selectorELNS0_4arch9wavefront6targetE1EEEvSI_,comdat
.Lfunc_end2167:
	.size	_ZN7rocprim17ROCPRIM_400000_NS6detail17trampoline_kernelINS0_14default_configENS1_38merge_sort_block_merge_config_selectorIN3c104HalfElEEZZNS1_27merge_sort_block_merge_implIS3_PS6_N6thrust23THRUST_200600_302600_NS10device_ptrIlEEmNSB_4lessIS6_EEEE10hipError_tT0_T1_T2_jT3_P12ihipStream_tbPNSt15iterator_traitsISH_E10value_typeEPNSN_ISI_E10value_typeEPSJ_NS1_7vsmem_tEENKUlT_SH_SI_SJ_E_clIS9_S9_SD_PlEESG_SW_SH_SI_SJ_EUlSW_E1_NS1_11comp_targetILNS1_3genE10ELNS1_11target_archE1201ELNS1_3gpuE5ELNS1_3repE0EEENS1_36merge_oddeven_config_static_selectorELNS0_4arch9wavefront6targetE1EEEvSI_, .Lfunc_end2167-_ZN7rocprim17ROCPRIM_400000_NS6detail17trampoline_kernelINS0_14default_configENS1_38merge_sort_block_merge_config_selectorIN3c104HalfElEEZZNS1_27merge_sort_block_merge_implIS3_PS6_N6thrust23THRUST_200600_302600_NS10device_ptrIlEEmNSB_4lessIS6_EEEE10hipError_tT0_T1_T2_jT3_P12ihipStream_tbPNSt15iterator_traitsISH_E10value_typeEPNSN_ISI_E10value_typeEPSJ_NS1_7vsmem_tEENKUlT_SH_SI_SJ_E_clIS9_S9_SD_PlEESG_SW_SH_SI_SJ_EUlSW_E1_NS1_11comp_targetILNS1_3genE10ELNS1_11target_archE1201ELNS1_3gpuE5ELNS1_3repE0EEENS1_36merge_oddeven_config_static_selectorELNS0_4arch9wavefront6targetE1EEEvSI_
                                        ; -- End function
	.section	.AMDGPU.csdata,"",@progbits
; Kernel info:
; codeLenInByte = 0
; NumSgprs: 4
; NumVgprs: 0
; NumAgprs: 0
; TotalNumVgprs: 0
; ScratchSize: 0
; MemoryBound: 0
; FloatMode: 240
; IeeeMode: 1
; LDSByteSize: 0 bytes/workgroup (compile time only)
; SGPRBlocks: 0
; VGPRBlocks: 0
; NumSGPRsForWavesPerEU: 4
; NumVGPRsForWavesPerEU: 1
; AccumOffset: 4
; Occupancy: 8
; WaveLimiterHint : 0
; COMPUTE_PGM_RSRC2:SCRATCH_EN: 0
; COMPUTE_PGM_RSRC2:USER_SGPR: 6
; COMPUTE_PGM_RSRC2:TRAP_HANDLER: 0
; COMPUTE_PGM_RSRC2:TGID_X_EN: 1
; COMPUTE_PGM_RSRC2:TGID_Y_EN: 0
; COMPUTE_PGM_RSRC2:TGID_Z_EN: 0
; COMPUTE_PGM_RSRC2:TIDIG_COMP_CNT: 0
; COMPUTE_PGM_RSRC3_GFX90A:ACCUM_OFFSET: 0
; COMPUTE_PGM_RSRC3_GFX90A:TG_SPLIT: 0
	.section	.text._ZN7rocprim17ROCPRIM_400000_NS6detail17trampoline_kernelINS0_14default_configENS1_38merge_sort_block_merge_config_selectorIN3c104HalfElEEZZNS1_27merge_sort_block_merge_implIS3_PS6_N6thrust23THRUST_200600_302600_NS10device_ptrIlEEmNSB_4lessIS6_EEEE10hipError_tT0_T1_T2_jT3_P12ihipStream_tbPNSt15iterator_traitsISH_E10value_typeEPNSN_ISI_E10value_typeEPSJ_NS1_7vsmem_tEENKUlT_SH_SI_SJ_E_clIS9_S9_SD_PlEESG_SW_SH_SI_SJ_EUlSW_E1_NS1_11comp_targetILNS1_3genE5ELNS1_11target_archE942ELNS1_3gpuE9ELNS1_3repE0EEENS1_36merge_oddeven_config_static_selectorELNS0_4arch9wavefront6targetE1EEEvSI_,"axG",@progbits,_ZN7rocprim17ROCPRIM_400000_NS6detail17trampoline_kernelINS0_14default_configENS1_38merge_sort_block_merge_config_selectorIN3c104HalfElEEZZNS1_27merge_sort_block_merge_implIS3_PS6_N6thrust23THRUST_200600_302600_NS10device_ptrIlEEmNSB_4lessIS6_EEEE10hipError_tT0_T1_T2_jT3_P12ihipStream_tbPNSt15iterator_traitsISH_E10value_typeEPNSN_ISI_E10value_typeEPSJ_NS1_7vsmem_tEENKUlT_SH_SI_SJ_E_clIS9_S9_SD_PlEESG_SW_SH_SI_SJ_EUlSW_E1_NS1_11comp_targetILNS1_3genE5ELNS1_11target_archE942ELNS1_3gpuE9ELNS1_3repE0EEENS1_36merge_oddeven_config_static_selectorELNS0_4arch9wavefront6targetE1EEEvSI_,comdat
	.protected	_ZN7rocprim17ROCPRIM_400000_NS6detail17trampoline_kernelINS0_14default_configENS1_38merge_sort_block_merge_config_selectorIN3c104HalfElEEZZNS1_27merge_sort_block_merge_implIS3_PS6_N6thrust23THRUST_200600_302600_NS10device_ptrIlEEmNSB_4lessIS6_EEEE10hipError_tT0_T1_T2_jT3_P12ihipStream_tbPNSt15iterator_traitsISH_E10value_typeEPNSN_ISI_E10value_typeEPSJ_NS1_7vsmem_tEENKUlT_SH_SI_SJ_E_clIS9_S9_SD_PlEESG_SW_SH_SI_SJ_EUlSW_E1_NS1_11comp_targetILNS1_3genE5ELNS1_11target_archE942ELNS1_3gpuE9ELNS1_3repE0EEENS1_36merge_oddeven_config_static_selectorELNS0_4arch9wavefront6targetE1EEEvSI_ ; -- Begin function _ZN7rocprim17ROCPRIM_400000_NS6detail17trampoline_kernelINS0_14default_configENS1_38merge_sort_block_merge_config_selectorIN3c104HalfElEEZZNS1_27merge_sort_block_merge_implIS3_PS6_N6thrust23THRUST_200600_302600_NS10device_ptrIlEEmNSB_4lessIS6_EEEE10hipError_tT0_T1_T2_jT3_P12ihipStream_tbPNSt15iterator_traitsISH_E10value_typeEPNSN_ISI_E10value_typeEPSJ_NS1_7vsmem_tEENKUlT_SH_SI_SJ_E_clIS9_S9_SD_PlEESG_SW_SH_SI_SJ_EUlSW_E1_NS1_11comp_targetILNS1_3genE5ELNS1_11target_archE942ELNS1_3gpuE9ELNS1_3repE0EEENS1_36merge_oddeven_config_static_selectorELNS0_4arch9wavefront6targetE1EEEvSI_
	.globl	_ZN7rocprim17ROCPRIM_400000_NS6detail17trampoline_kernelINS0_14default_configENS1_38merge_sort_block_merge_config_selectorIN3c104HalfElEEZZNS1_27merge_sort_block_merge_implIS3_PS6_N6thrust23THRUST_200600_302600_NS10device_ptrIlEEmNSB_4lessIS6_EEEE10hipError_tT0_T1_T2_jT3_P12ihipStream_tbPNSt15iterator_traitsISH_E10value_typeEPNSN_ISI_E10value_typeEPSJ_NS1_7vsmem_tEENKUlT_SH_SI_SJ_E_clIS9_S9_SD_PlEESG_SW_SH_SI_SJ_EUlSW_E1_NS1_11comp_targetILNS1_3genE5ELNS1_11target_archE942ELNS1_3gpuE9ELNS1_3repE0EEENS1_36merge_oddeven_config_static_selectorELNS0_4arch9wavefront6targetE1EEEvSI_
	.p2align	8
	.type	_ZN7rocprim17ROCPRIM_400000_NS6detail17trampoline_kernelINS0_14default_configENS1_38merge_sort_block_merge_config_selectorIN3c104HalfElEEZZNS1_27merge_sort_block_merge_implIS3_PS6_N6thrust23THRUST_200600_302600_NS10device_ptrIlEEmNSB_4lessIS6_EEEE10hipError_tT0_T1_T2_jT3_P12ihipStream_tbPNSt15iterator_traitsISH_E10value_typeEPNSN_ISI_E10value_typeEPSJ_NS1_7vsmem_tEENKUlT_SH_SI_SJ_E_clIS9_S9_SD_PlEESG_SW_SH_SI_SJ_EUlSW_E1_NS1_11comp_targetILNS1_3genE5ELNS1_11target_archE942ELNS1_3gpuE9ELNS1_3repE0EEENS1_36merge_oddeven_config_static_selectorELNS0_4arch9wavefront6targetE1EEEvSI_,@function
_ZN7rocprim17ROCPRIM_400000_NS6detail17trampoline_kernelINS0_14default_configENS1_38merge_sort_block_merge_config_selectorIN3c104HalfElEEZZNS1_27merge_sort_block_merge_implIS3_PS6_N6thrust23THRUST_200600_302600_NS10device_ptrIlEEmNSB_4lessIS6_EEEE10hipError_tT0_T1_T2_jT3_P12ihipStream_tbPNSt15iterator_traitsISH_E10value_typeEPNSN_ISI_E10value_typeEPSJ_NS1_7vsmem_tEENKUlT_SH_SI_SJ_E_clIS9_S9_SD_PlEESG_SW_SH_SI_SJ_EUlSW_E1_NS1_11comp_targetILNS1_3genE5ELNS1_11target_archE942ELNS1_3gpuE9ELNS1_3repE0EEENS1_36merge_oddeven_config_static_selectorELNS0_4arch9wavefront6targetE1EEEvSI_: ; @_ZN7rocprim17ROCPRIM_400000_NS6detail17trampoline_kernelINS0_14default_configENS1_38merge_sort_block_merge_config_selectorIN3c104HalfElEEZZNS1_27merge_sort_block_merge_implIS3_PS6_N6thrust23THRUST_200600_302600_NS10device_ptrIlEEmNSB_4lessIS6_EEEE10hipError_tT0_T1_T2_jT3_P12ihipStream_tbPNSt15iterator_traitsISH_E10value_typeEPNSN_ISI_E10value_typeEPSJ_NS1_7vsmem_tEENKUlT_SH_SI_SJ_E_clIS9_S9_SD_PlEESG_SW_SH_SI_SJ_EUlSW_E1_NS1_11comp_targetILNS1_3genE5ELNS1_11target_archE942ELNS1_3gpuE9ELNS1_3repE0EEENS1_36merge_oddeven_config_static_selectorELNS0_4arch9wavefront6targetE1EEEvSI_
; %bb.0:
	.section	.rodata,"a",@progbits
	.p2align	6, 0x0
	.amdhsa_kernel _ZN7rocprim17ROCPRIM_400000_NS6detail17trampoline_kernelINS0_14default_configENS1_38merge_sort_block_merge_config_selectorIN3c104HalfElEEZZNS1_27merge_sort_block_merge_implIS3_PS6_N6thrust23THRUST_200600_302600_NS10device_ptrIlEEmNSB_4lessIS6_EEEE10hipError_tT0_T1_T2_jT3_P12ihipStream_tbPNSt15iterator_traitsISH_E10value_typeEPNSN_ISI_E10value_typeEPSJ_NS1_7vsmem_tEENKUlT_SH_SI_SJ_E_clIS9_S9_SD_PlEESG_SW_SH_SI_SJ_EUlSW_E1_NS1_11comp_targetILNS1_3genE5ELNS1_11target_archE942ELNS1_3gpuE9ELNS1_3repE0EEENS1_36merge_oddeven_config_static_selectorELNS0_4arch9wavefront6targetE1EEEvSI_
		.amdhsa_group_segment_fixed_size 0
		.amdhsa_private_segment_fixed_size 0
		.amdhsa_kernarg_size 56
		.amdhsa_user_sgpr_count 6
		.amdhsa_user_sgpr_private_segment_buffer 1
		.amdhsa_user_sgpr_dispatch_ptr 0
		.amdhsa_user_sgpr_queue_ptr 0
		.amdhsa_user_sgpr_kernarg_segment_ptr 1
		.amdhsa_user_sgpr_dispatch_id 0
		.amdhsa_user_sgpr_flat_scratch_init 0
		.amdhsa_user_sgpr_kernarg_preload_length 0
		.amdhsa_user_sgpr_kernarg_preload_offset 0
		.amdhsa_user_sgpr_private_segment_size 0
		.amdhsa_uses_dynamic_stack 0
		.amdhsa_system_sgpr_private_segment_wavefront_offset 0
		.amdhsa_system_sgpr_workgroup_id_x 1
		.amdhsa_system_sgpr_workgroup_id_y 0
		.amdhsa_system_sgpr_workgroup_id_z 0
		.amdhsa_system_sgpr_workgroup_info 0
		.amdhsa_system_vgpr_workitem_id 0
		.amdhsa_next_free_vgpr 1
		.amdhsa_next_free_sgpr 0
		.amdhsa_accum_offset 4
		.amdhsa_reserve_vcc 0
		.amdhsa_reserve_flat_scratch 0
		.amdhsa_float_round_mode_32 0
		.amdhsa_float_round_mode_16_64 0
		.amdhsa_float_denorm_mode_32 3
		.amdhsa_float_denorm_mode_16_64 3
		.amdhsa_dx10_clamp 1
		.amdhsa_ieee_mode 1
		.amdhsa_fp16_overflow 0
		.amdhsa_tg_split 0
		.amdhsa_exception_fp_ieee_invalid_op 0
		.amdhsa_exception_fp_denorm_src 0
		.amdhsa_exception_fp_ieee_div_zero 0
		.amdhsa_exception_fp_ieee_overflow 0
		.amdhsa_exception_fp_ieee_underflow 0
		.amdhsa_exception_fp_ieee_inexact 0
		.amdhsa_exception_int_div_zero 0
	.end_amdhsa_kernel
	.section	.text._ZN7rocprim17ROCPRIM_400000_NS6detail17trampoline_kernelINS0_14default_configENS1_38merge_sort_block_merge_config_selectorIN3c104HalfElEEZZNS1_27merge_sort_block_merge_implIS3_PS6_N6thrust23THRUST_200600_302600_NS10device_ptrIlEEmNSB_4lessIS6_EEEE10hipError_tT0_T1_T2_jT3_P12ihipStream_tbPNSt15iterator_traitsISH_E10value_typeEPNSN_ISI_E10value_typeEPSJ_NS1_7vsmem_tEENKUlT_SH_SI_SJ_E_clIS9_S9_SD_PlEESG_SW_SH_SI_SJ_EUlSW_E1_NS1_11comp_targetILNS1_3genE5ELNS1_11target_archE942ELNS1_3gpuE9ELNS1_3repE0EEENS1_36merge_oddeven_config_static_selectorELNS0_4arch9wavefront6targetE1EEEvSI_,"axG",@progbits,_ZN7rocprim17ROCPRIM_400000_NS6detail17trampoline_kernelINS0_14default_configENS1_38merge_sort_block_merge_config_selectorIN3c104HalfElEEZZNS1_27merge_sort_block_merge_implIS3_PS6_N6thrust23THRUST_200600_302600_NS10device_ptrIlEEmNSB_4lessIS6_EEEE10hipError_tT0_T1_T2_jT3_P12ihipStream_tbPNSt15iterator_traitsISH_E10value_typeEPNSN_ISI_E10value_typeEPSJ_NS1_7vsmem_tEENKUlT_SH_SI_SJ_E_clIS9_S9_SD_PlEESG_SW_SH_SI_SJ_EUlSW_E1_NS1_11comp_targetILNS1_3genE5ELNS1_11target_archE942ELNS1_3gpuE9ELNS1_3repE0EEENS1_36merge_oddeven_config_static_selectorELNS0_4arch9wavefront6targetE1EEEvSI_,comdat
.Lfunc_end2168:
	.size	_ZN7rocprim17ROCPRIM_400000_NS6detail17trampoline_kernelINS0_14default_configENS1_38merge_sort_block_merge_config_selectorIN3c104HalfElEEZZNS1_27merge_sort_block_merge_implIS3_PS6_N6thrust23THRUST_200600_302600_NS10device_ptrIlEEmNSB_4lessIS6_EEEE10hipError_tT0_T1_T2_jT3_P12ihipStream_tbPNSt15iterator_traitsISH_E10value_typeEPNSN_ISI_E10value_typeEPSJ_NS1_7vsmem_tEENKUlT_SH_SI_SJ_E_clIS9_S9_SD_PlEESG_SW_SH_SI_SJ_EUlSW_E1_NS1_11comp_targetILNS1_3genE5ELNS1_11target_archE942ELNS1_3gpuE9ELNS1_3repE0EEENS1_36merge_oddeven_config_static_selectorELNS0_4arch9wavefront6targetE1EEEvSI_, .Lfunc_end2168-_ZN7rocprim17ROCPRIM_400000_NS6detail17trampoline_kernelINS0_14default_configENS1_38merge_sort_block_merge_config_selectorIN3c104HalfElEEZZNS1_27merge_sort_block_merge_implIS3_PS6_N6thrust23THRUST_200600_302600_NS10device_ptrIlEEmNSB_4lessIS6_EEEE10hipError_tT0_T1_T2_jT3_P12ihipStream_tbPNSt15iterator_traitsISH_E10value_typeEPNSN_ISI_E10value_typeEPSJ_NS1_7vsmem_tEENKUlT_SH_SI_SJ_E_clIS9_S9_SD_PlEESG_SW_SH_SI_SJ_EUlSW_E1_NS1_11comp_targetILNS1_3genE5ELNS1_11target_archE942ELNS1_3gpuE9ELNS1_3repE0EEENS1_36merge_oddeven_config_static_selectorELNS0_4arch9wavefront6targetE1EEEvSI_
                                        ; -- End function
	.section	.AMDGPU.csdata,"",@progbits
; Kernel info:
; codeLenInByte = 0
; NumSgprs: 4
; NumVgprs: 0
; NumAgprs: 0
; TotalNumVgprs: 0
; ScratchSize: 0
; MemoryBound: 0
; FloatMode: 240
; IeeeMode: 1
; LDSByteSize: 0 bytes/workgroup (compile time only)
; SGPRBlocks: 0
; VGPRBlocks: 0
; NumSGPRsForWavesPerEU: 4
; NumVGPRsForWavesPerEU: 1
; AccumOffset: 4
; Occupancy: 8
; WaveLimiterHint : 0
; COMPUTE_PGM_RSRC2:SCRATCH_EN: 0
; COMPUTE_PGM_RSRC2:USER_SGPR: 6
; COMPUTE_PGM_RSRC2:TRAP_HANDLER: 0
; COMPUTE_PGM_RSRC2:TGID_X_EN: 1
; COMPUTE_PGM_RSRC2:TGID_Y_EN: 0
; COMPUTE_PGM_RSRC2:TGID_Z_EN: 0
; COMPUTE_PGM_RSRC2:TIDIG_COMP_CNT: 0
; COMPUTE_PGM_RSRC3_GFX90A:ACCUM_OFFSET: 0
; COMPUTE_PGM_RSRC3_GFX90A:TG_SPLIT: 0
	.section	.text._ZN7rocprim17ROCPRIM_400000_NS6detail17trampoline_kernelINS0_14default_configENS1_38merge_sort_block_merge_config_selectorIN3c104HalfElEEZZNS1_27merge_sort_block_merge_implIS3_PS6_N6thrust23THRUST_200600_302600_NS10device_ptrIlEEmNSB_4lessIS6_EEEE10hipError_tT0_T1_T2_jT3_P12ihipStream_tbPNSt15iterator_traitsISH_E10value_typeEPNSN_ISI_E10value_typeEPSJ_NS1_7vsmem_tEENKUlT_SH_SI_SJ_E_clIS9_S9_SD_PlEESG_SW_SH_SI_SJ_EUlSW_E1_NS1_11comp_targetILNS1_3genE4ELNS1_11target_archE910ELNS1_3gpuE8ELNS1_3repE0EEENS1_36merge_oddeven_config_static_selectorELNS0_4arch9wavefront6targetE1EEEvSI_,"axG",@progbits,_ZN7rocprim17ROCPRIM_400000_NS6detail17trampoline_kernelINS0_14default_configENS1_38merge_sort_block_merge_config_selectorIN3c104HalfElEEZZNS1_27merge_sort_block_merge_implIS3_PS6_N6thrust23THRUST_200600_302600_NS10device_ptrIlEEmNSB_4lessIS6_EEEE10hipError_tT0_T1_T2_jT3_P12ihipStream_tbPNSt15iterator_traitsISH_E10value_typeEPNSN_ISI_E10value_typeEPSJ_NS1_7vsmem_tEENKUlT_SH_SI_SJ_E_clIS9_S9_SD_PlEESG_SW_SH_SI_SJ_EUlSW_E1_NS1_11comp_targetILNS1_3genE4ELNS1_11target_archE910ELNS1_3gpuE8ELNS1_3repE0EEENS1_36merge_oddeven_config_static_selectorELNS0_4arch9wavefront6targetE1EEEvSI_,comdat
	.protected	_ZN7rocprim17ROCPRIM_400000_NS6detail17trampoline_kernelINS0_14default_configENS1_38merge_sort_block_merge_config_selectorIN3c104HalfElEEZZNS1_27merge_sort_block_merge_implIS3_PS6_N6thrust23THRUST_200600_302600_NS10device_ptrIlEEmNSB_4lessIS6_EEEE10hipError_tT0_T1_T2_jT3_P12ihipStream_tbPNSt15iterator_traitsISH_E10value_typeEPNSN_ISI_E10value_typeEPSJ_NS1_7vsmem_tEENKUlT_SH_SI_SJ_E_clIS9_S9_SD_PlEESG_SW_SH_SI_SJ_EUlSW_E1_NS1_11comp_targetILNS1_3genE4ELNS1_11target_archE910ELNS1_3gpuE8ELNS1_3repE0EEENS1_36merge_oddeven_config_static_selectorELNS0_4arch9wavefront6targetE1EEEvSI_ ; -- Begin function _ZN7rocprim17ROCPRIM_400000_NS6detail17trampoline_kernelINS0_14default_configENS1_38merge_sort_block_merge_config_selectorIN3c104HalfElEEZZNS1_27merge_sort_block_merge_implIS3_PS6_N6thrust23THRUST_200600_302600_NS10device_ptrIlEEmNSB_4lessIS6_EEEE10hipError_tT0_T1_T2_jT3_P12ihipStream_tbPNSt15iterator_traitsISH_E10value_typeEPNSN_ISI_E10value_typeEPSJ_NS1_7vsmem_tEENKUlT_SH_SI_SJ_E_clIS9_S9_SD_PlEESG_SW_SH_SI_SJ_EUlSW_E1_NS1_11comp_targetILNS1_3genE4ELNS1_11target_archE910ELNS1_3gpuE8ELNS1_3repE0EEENS1_36merge_oddeven_config_static_selectorELNS0_4arch9wavefront6targetE1EEEvSI_
	.globl	_ZN7rocprim17ROCPRIM_400000_NS6detail17trampoline_kernelINS0_14default_configENS1_38merge_sort_block_merge_config_selectorIN3c104HalfElEEZZNS1_27merge_sort_block_merge_implIS3_PS6_N6thrust23THRUST_200600_302600_NS10device_ptrIlEEmNSB_4lessIS6_EEEE10hipError_tT0_T1_T2_jT3_P12ihipStream_tbPNSt15iterator_traitsISH_E10value_typeEPNSN_ISI_E10value_typeEPSJ_NS1_7vsmem_tEENKUlT_SH_SI_SJ_E_clIS9_S9_SD_PlEESG_SW_SH_SI_SJ_EUlSW_E1_NS1_11comp_targetILNS1_3genE4ELNS1_11target_archE910ELNS1_3gpuE8ELNS1_3repE0EEENS1_36merge_oddeven_config_static_selectorELNS0_4arch9wavefront6targetE1EEEvSI_
	.p2align	8
	.type	_ZN7rocprim17ROCPRIM_400000_NS6detail17trampoline_kernelINS0_14default_configENS1_38merge_sort_block_merge_config_selectorIN3c104HalfElEEZZNS1_27merge_sort_block_merge_implIS3_PS6_N6thrust23THRUST_200600_302600_NS10device_ptrIlEEmNSB_4lessIS6_EEEE10hipError_tT0_T1_T2_jT3_P12ihipStream_tbPNSt15iterator_traitsISH_E10value_typeEPNSN_ISI_E10value_typeEPSJ_NS1_7vsmem_tEENKUlT_SH_SI_SJ_E_clIS9_S9_SD_PlEESG_SW_SH_SI_SJ_EUlSW_E1_NS1_11comp_targetILNS1_3genE4ELNS1_11target_archE910ELNS1_3gpuE8ELNS1_3repE0EEENS1_36merge_oddeven_config_static_selectorELNS0_4arch9wavefront6targetE1EEEvSI_,@function
_ZN7rocprim17ROCPRIM_400000_NS6detail17trampoline_kernelINS0_14default_configENS1_38merge_sort_block_merge_config_selectorIN3c104HalfElEEZZNS1_27merge_sort_block_merge_implIS3_PS6_N6thrust23THRUST_200600_302600_NS10device_ptrIlEEmNSB_4lessIS6_EEEE10hipError_tT0_T1_T2_jT3_P12ihipStream_tbPNSt15iterator_traitsISH_E10value_typeEPNSN_ISI_E10value_typeEPSJ_NS1_7vsmem_tEENKUlT_SH_SI_SJ_E_clIS9_S9_SD_PlEESG_SW_SH_SI_SJ_EUlSW_E1_NS1_11comp_targetILNS1_3genE4ELNS1_11target_archE910ELNS1_3gpuE8ELNS1_3repE0EEENS1_36merge_oddeven_config_static_selectorELNS0_4arch9wavefront6targetE1EEEvSI_: ; @_ZN7rocprim17ROCPRIM_400000_NS6detail17trampoline_kernelINS0_14default_configENS1_38merge_sort_block_merge_config_selectorIN3c104HalfElEEZZNS1_27merge_sort_block_merge_implIS3_PS6_N6thrust23THRUST_200600_302600_NS10device_ptrIlEEmNSB_4lessIS6_EEEE10hipError_tT0_T1_T2_jT3_P12ihipStream_tbPNSt15iterator_traitsISH_E10value_typeEPNSN_ISI_E10value_typeEPSJ_NS1_7vsmem_tEENKUlT_SH_SI_SJ_E_clIS9_S9_SD_PlEESG_SW_SH_SI_SJ_EUlSW_E1_NS1_11comp_targetILNS1_3genE4ELNS1_11target_archE910ELNS1_3gpuE8ELNS1_3repE0EEENS1_36merge_oddeven_config_static_selectorELNS0_4arch9wavefront6targetE1EEEvSI_
; %bb.0:
	s_load_dwordx4 s[8:11], s[4:5], 0x18
	s_waitcnt lgkmcnt(0)
	s_lshr_b32 s2, s10, 8
	s_cmp_lg_u32 s6, s2
	s_cselect_b64 s[0:1], -1, 0
	s_cmp_eq_u32 s6, s2
	s_cselect_b64 s[16:17], -1, 0
	s_lshl_b32 s18, s6, 8
	s_sub_i32 s2, s10, s18
	v_cmp_gt_u32_e64 s[2:3], s2, v0
	s_or_b64 s[0:1], s[0:1], s[2:3]
	s_and_saveexec_b64 s[12:13], s[0:1]
	s_cbranch_execz .LBB2169_26
; %bb.1:
	s_load_dwordx4 s[12:15], s[4:5], 0x0
	s_load_dwordx2 s[0:1], s[4:5], 0x10
	s_mov_b32 s19, 0
	s_lshl_b64 s[20:21], s[18:19], 1
	v_lshlrev_b32_e32 v4, 3, v0
	s_waitcnt lgkmcnt(0)
	s_add_u32 s20, s12, s20
	s_addc_u32 s21, s13, s21
	s_lshl_b64 s[22:23], s[18:19], 3
	s_add_u32 s0, s0, s22
	s_addc_u32 s1, s1, s23
	v_lshlrev_b32_e32 v1, 1, v0
	global_load_dwordx2 v[2:3], v4, s[0:1]
	global_load_ushort v6, v1, s[20:21]
	s_load_dword s20, s[4:5], 0x28
	v_add_u32_e32 v4, s18, v0
	s_waitcnt lgkmcnt(0)
	s_lshr_b32 s0, s20, 8
	s_sub_i32 s1, 0, s0
	s_and_b32 s1, s6, s1
	s_and_b32 s0, s1, s0
	s_lshl_b32 s21, s1, 8
	s_sub_i32 s6, 0, s20
	s_cmp_eq_u32 s0, 0
	s_cselect_b64 s[0:1], -1, 0
	s_and_b64 s[4:5], s[0:1], exec
	s_cselect_b32 s11, s20, s6
	s_add_i32 s11, s11, s21
	s_cmp_lt_u32 s11, s10
	s_cbranch_scc1 .LBB2169_6
; %bb.2:
	s_and_b64 vcc, exec, s[16:17]
	s_cbranch_vccz .LBB2169_7
; %bb.3:
	v_cmp_gt_u32_e32 vcc, s10, v4
	s_mov_b64 s[6:7], 0
	s_mov_b64 s[4:5], 0
                                        ; implicit-def: $vgpr0_vgpr1
	s_and_saveexec_b64 s[18:19], vcc
	s_cbranch_execz .LBB2169_5
; %bb.4:
	v_mov_b32_e32 v5, 0
	v_lshlrev_b64 v[0:1], 3, v[4:5]
	v_mov_b32_e32 v7, s9
	v_add_co_u32_e32 v0, vcc, s8, v0
	v_addc_co_u32_e32 v1, vcc, v7, v1, vcc
	v_lshlrev_b64 v[8:9], 1, v[4:5]
	v_mov_b32_e32 v5, s15
	v_add_co_u32_e32 v8, vcc, s14, v8
	s_mov_b64 s[4:5], exec
	v_addc_co_u32_e32 v9, vcc, v5, v9, vcc
	s_waitcnt vmcnt(0)
	global_store_short v[8:9], v6, off
.LBB2169_5:
	s_or_b64 exec, exec, s[18:19]
	s_and_b64 vcc, exec, s[6:7]
	s_cbranch_vccnz .LBB2169_8
	s_branch .LBB2169_9
.LBB2169_6:
	s_mov_b64 s[4:5], 0
                                        ; implicit-def: $vgpr0_vgpr1
	s_cbranch_execnz .LBB2169_10
	s_branch .LBB2169_24
.LBB2169_7:
	s_mov_b64 s[4:5], 0
                                        ; implicit-def: $vgpr0_vgpr1
	s_cbranch_execz .LBB2169_9
.LBB2169_8:
	v_mov_b32_e32 v5, 0
	v_lshlrev_b64 v[0:1], 1, v[4:5]
	v_mov_b32_e32 v7, s15
	v_add_co_u32_e32 v0, vcc, s14, v0
	v_addc_co_u32_e32 v1, vcc, v7, v1, vcc
	s_waitcnt vmcnt(0)
	global_store_short v[0:1], v6, off
	v_lshlrev_b64 v[0:1], 3, v[4:5]
	v_mov_b32_e32 v5, s9
	v_add_co_u32_e32 v0, vcc, s8, v0
	v_addc_co_u32_e32 v1, vcc, v5, v1, vcc
	s_or_b64 s[4:5], s[4:5], exec
.LBB2169_9:
	s_branch .LBB2169_24
.LBB2169_10:
	s_min_u32 s18, s11, s10
	s_add_i32 s6, s18, s20
	s_min_u32 s10, s6, s10
	s_min_u32 s6, s21, s18
	s_add_i32 s21, s21, s18
	v_subrev_u32_e32 v0, s21, v4
	v_add_u32_e32 v4, s6, v0
	s_and_b64 vcc, exec, s[16:17]
	s_cbranch_vccz .LBB2169_18
; %bb.11:
                                        ; implicit-def: $vgpr0_vgpr1
	s_and_saveexec_b64 s[6:7], s[2:3]
	s_cbranch_execz .LBB2169_17
; %bb.12:
	s_cmp_ge_u32 s11, s10
	v_mov_b32_e32 v0, s18
	s_cbranch_scc1 .LBB2169_16
; %bb.13:
	s_mov_b64 s[2:3], 0
	v_mov_b32_e32 v1, s10
	v_mov_b32_e32 v0, s18
.LBB2169_14:                            ; =>This Inner Loop Header: Depth=1
	v_add_u32_e32 v5, v0, v1
	v_and_b32_e32 v7, -2, v5
	global_load_ushort v7, v7, s[12:13]
	v_lshrrev_b32_e32 v5, 1, v5
	v_add_u32_e32 v8, 1, v5
	s_waitcnt vmcnt(0)
	v_cmp_lt_f16_e32 vcc, v7, v6
	v_cndmask_b32_e64 v9, 0, 1, vcc
	v_cmp_ngt_f16_e32 vcc, v7, v6
	v_cndmask_b32_e64 v7, 0, 1, vcc
	v_cndmask_b32_e64 v7, v7, v9, s[0:1]
	v_and_b32_e32 v7, 1, v7
	v_cmp_eq_u32_e32 vcc, 1, v7
	v_cndmask_b32_e32 v1, v5, v1, vcc
	v_cndmask_b32_e32 v0, v0, v8, vcc
	v_cmp_ge_u32_e32 vcc, v0, v1
	s_or_b64 s[2:3], vcc, s[2:3]
	s_andn2_b64 exec, exec, s[2:3]
	s_cbranch_execnz .LBB2169_14
; %bb.15:
	s_or_b64 exec, exec, s[2:3]
.LBB2169_16:
	v_add_u32_e32 v0, v0, v4
	v_mov_b32_e32 v1, 0
	v_lshlrev_b64 v[8:9], 1, v[0:1]
	v_mov_b32_e32 v5, s15
	v_add_co_u32_e32 v8, vcc, s14, v8
	v_addc_co_u32_e32 v9, vcc, v5, v9, vcc
	v_lshlrev_b64 v[0:1], 3, v[0:1]
	v_mov_b32_e32 v5, s9
	v_add_co_u32_e32 v0, vcc, s8, v0
	s_waitcnt vmcnt(0)
	global_store_short v[8:9], v6, off
	v_addc_co_u32_e32 v1, vcc, v5, v1, vcc
	s_or_b64 s[4:5], s[4:5], exec
.LBB2169_17:
	s_or_b64 exec, exec, s[6:7]
	s_branch .LBB2169_24
.LBB2169_18:
                                        ; implicit-def: $vgpr0_vgpr1
	s_cbranch_execz .LBB2169_24
; %bb.19:
	s_cmp_ge_u32 s11, s10
	v_mov_b32_e32 v0, s18
	s_cbranch_scc1 .LBB2169_23
; %bb.20:
	s_mov_b64 s[2:3], 0
	v_mov_b32_e32 v1, s10
	v_mov_b32_e32 v0, s18
.LBB2169_21:                            ; =>This Inner Loop Header: Depth=1
	v_add_u32_e32 v5, v0, v1
	v_and_b32_e32 v7, -2, v5
	global_load_ushort v7, v7, s[12:13]
	v_lshrrev_b32_e32 v5, 1, v5
	v_add_u32_e32 v8, 1, v5
	s_waitcnt vmcnt(0)
	v_cmp_lt_f16_e32 vcc, v7, v6
	v_cndmask_b32_e64 v9, 0, 1, vcc
	v_cmp_ngt_f16_e32 vcc, v7, v6
	v_cndmask_b32_e64 v7, 0, 1, vcc
	v_cndmask_b32_e64 v7, v7, v9, s[0:1]
	v_and_b32_e32 v7, 1, v7
	v_cmp_eq_u32_e32 vcc, 1, v7
	v_cndmask_b32_e32 v1, v5, v1, vcc
	v_cndmask_b32_e32 v0, v0, v8, vcc
	v_cmp_ge_u32_e32 vcc, v0, v1
	s_or_b64 s[2:3], vcc, s[2:3]
	s_andn2_b64 exec, exec, s[2:3]
	s_cbranch_execnz .LBB2169_21
; %bb.22:
	s_or_b64 exec, exec, s[2:3]
.LBB2169_23:
	v_add_u32_e32 v0, v0, v4
	v_mov_b32_e32 v1, 0
	v_lshlrev_b64 v[4:5], 1, v[0:1]
	v_mov_b32_e32 v7, s15
	v_add_co_u32_e32 v4, vcc, s14, v4
	v_addc_co_u32_e32 v5, vcc, v7, v5, vcc
	v_lshlrev_b64 v[0:1], 3, v[0:1]
	s_waitcnt vmcnt(0)
	global_store_short v[4:5], v6, off
	v_mov_b32_e32 v4, s9
	v_add_co_u32_e32 v0, vcc, s8, v0
	v_addc_co_u32_e32 v1, vcc, v4, v1, vcc
	s_mov_b64 s[4:5], -1
.LBB2169_24:
	s_and_b64 exec, exec, s[4:5]
	s_cbranch_execz .LBB2169_26
; %bb.25:
	s_waitcnt vmcnt(1)
	global_store_dwordx2 v[0:1], v[2:3], off
.LBB2169_26:
	s_endpgm
	.section	.rodata,"a",@progbits
	.p2align	6, 0x0
	.amdhsa_kernel _ZN7rocprim17ROCPRIM_400000_NS6detail17trampoline_kernelINS0_14default_configENS1_38merge_sort_block_merge_config_selectorIN3c104HalfElEEZZNS1_27merge_sort_block_merge_implIS3_PS6_N6thrust23THRUST_200600_302600_NS10device_ptrIlEEmNSB_4lessIS6_EEEE10hipError_tT0_T1_T2_jT3_P12ihipStream_tbPNSt15iterator_traitsISH_E10value_typeEPNSN_ISI_E10value_typeEPSJ_NS1_7vsmem_tEENKUlT_SH_SI_SJ_E_clIS9_S9_SD_PlEESG_SW_SH_SI_SJ_EUlSW_E1_NS1_11comp_targetILNS1_3genE4ELNS1_11target_archE910ELNS1_3gpuE8ELNS1_3repE0EEENS1_36merge_oddeven_config_static_selectorELNS0_4arch9wavefront6targetE1EEEvSI_
		.amdhsa_group_segment_fixed_size 0
		.amdhsa_private_segment_fixed_size 0
		.amdhsa_kernarg_size 56
		.amdhsa_user_sgpr_count 6
		.amdhsa_user_sgpr_private_segment_buffer 1
		.amdhsa_user_sgpr_dispatch_ptr 0
		.amdhsa_user_sgpr_queue_ptr 0
		.amdhsa_user_sgpr_kernarg_segment_ptr 1
		.amdhsa_user_sgpr_dispatch_id 0
		.amdhsa_user_sgpr_flat_scratch_init 0
		.amdhsa_user_sgpr_kernarg_preload_length 0
		.amdhsa_user_sgpr_kernarg_preload_offset 0
		.amdhsa_user_sgpr_private_segment_size 0
		.amdhsa_uses_dynamic_stack 0
		.amdhsa_system_sgpr_private_segment_wavefront_offset 0
		.amdhsa_system_sgpr_workgroup_id_x 1
		.amdhsa_system_sgpr_workgroup_id_y 0
		.amdhsa_system_sgpr_workgroup_id_z 0
		.amdhsa_system_sgpr_workgroup_info 0
		.amdhsa_system_vgpr_workitem_id 0
		.amdhsa_next_free_vgpr 10
		.amdhsa_next_free_sgpr 24
		.amdhsa_accum_offset 12
		.amdhsa_reserve_vcc 1
		.amdhsa_reserve_flat_scratch 0
		.amdhsa_float_round_mode_32 0
		.amdhsa_float_round_mode_16_64 0
		.amdhsa_float_denorm_mode_32 3
		.amdhsa_float_denorm_mode_16_64 3
		.amdhsa_dx10_clamp 1
		.amdhsa_ieee_mode 1
		.amdhsa_fp16_overflow 0
		.amdhsa_tg_split 0
		.amdhsa_exception_fp_ieee_invalid_op 0
		.amdhsa_exception_fp_denorm_src 0
		.amdhsa_exception_fp_ieee_div_zero 0
		.amdhsa_exception_fp_ieee_overflow 0
		.amdhsa_exception_fp_ieee_underflow 0
		.amdhsa_exception_fp_ieee_inexact 0
		.amdhsa_exception_int_div_zero 0
	.end_amdhsa_kernel
	.section	.text._ZN7rocprim17ROCPRIM_400000_NS6detail17trampoline_kernelINS0_14default_configENS1_38merge_sort_block_merge_config_selectorIN3c104HalfElEEZZNS1_27merge_sort_block_merge_implIS3_PS6_N6thrust23THRUST_200600_302600_NS10device_ptrIlEEmNSB_4lessIS6_EEEE10hipError_tT0_T1_T2_jT3_P12ihipStream_tbPNSt15iterator_traitsISH_E10value_typeEPNSN_ISI_E10value_typeEPSJ_NS1_7vsmem_tEENKUlT_SH_SI_SJ_E_clIS9_S9_SD_PlEESG_SW_SH_SI_SJ_EUlSW_E1_NS1_11comp_targetILNS1_3genE4ELNS1_11target_archE910ELNS1_3gpuE8ELNS1_3repE0EEENS1_36merge_oddeven_config_static_selectorELNS0_4arch9wavefront6targetE1EEEvSI_,"axG",@progbits,_ZN7rocprim17ROCPRIM_400000_NS6detail17trampoline_kernelINS0_14default_configENS1_38merge_sort_block_merge_config_selectorIN3c104HalfElEEZZNS1_27merge_sort_block_merge_implIS3_PS6_N6thrust23THRUST_200600_302600_NS10device_ptrIlEEmNSB_4lessIS6_EEEE10hipError_tT0_T1_T2_jT3_P12ihipStream_tbPNSt15iterator_traitsISH_E10value_typeEPNSN_ISI_E10value_typeEPSJ_NS1_7vsmem_tEENKUlT_SH_SI_SJ_E_clIS9_S9_SD_PlEESG_SW_SH_SI_SJ_EUlSW_E1_NS1_11comp_targetILNS1_3genE4ELNS1_11target_archE910ELNS1_3gpuE8ELNS1_3repE0EEENS1_36merge_oddeven_config_static_selectorELNS0_4arch9wavefront6targetE1EEEvSI_,comdat
.Lfunc_end2169:
	.size	_ZN7rocprim17ROCPRIM_400000_NS6detail17trampoline_kernelINS0_14default_configENS1_38merge_sort_block_merge_config_selectorIN3c104HalfElEEZZNS1_27merge_sort_block_merge_implIS3_PS6_N6thrust23THRUST_200600_302600_NS10device_ptrIlEEmNSB_4lessIS6_EEEE10hipError_tT0_T1_T2_jT3_P12ihipStream_tbPNSt15iterator_traitsISH_E10value_typeEPNSN_ISI_E10value_typeEPSJ_NS1_7vsmem_tEENKUlT_SH_SI_SJ_E_clIS9_S9_SD_PlEESG_SW_SH_SI_SJ_EUlSW_E1_NS1_11comp_targetILNS1_3genE4ELNS1_11target_archE910ELNS1_3gpuE8ELNS1_3repE0EEENS1_36merge_oddeven_config_static_selectorELNS0_4arch9wavefront6targetE1EEEvSI_, .Lfunc_end2169-_ZN7rocprim17ROCPRIM_400000_NS6detail17trampoline_kernelINS0_14default_configENS1_38merge_sort_block_merge_config_selectorIN3c104HalfElEEZZNS1_27merge_sort_block_merge_implIS3_PS6_N6thrust23THRUST_200600_302600_NS10device_ptrIlEEmNSB_4lessIS6_EEEE10hipError_tT0_T1_T2_jT3_P12ihipStream_tbPNSt15iterator_traitsISH_E10value_typeEPNSN_ISI_E10value_typeEPSJ_NS1_7vsmem_tEENKUlT_SH_SI_SJ_E_clIS9_S9_SD_PlEESG_SW_SH_SI_SJ_EUlSW_E1_NS1_11comp_targetILNS1_3genE4ELNS1_11target_archE910ELNS1_3gpuE8ELNS1_3repE0EEENS1_36merge_oddeven_config_static_selectorELNS0_4arch9wavefront6targetE1EEEvSI_
                                        ; -- End function
	.section	.AMDGPU.csdata,"",@progbits
; Kernel info:
; codeLenInByte = 836
; NumSgprs: 28
; NumVgprs: 10
; NumAgprs: 0
; TotalNumVgprs: 10
; ScratchSize: 0
; MemoryBound: 0
; FloatMode: 240
; IeeeMode: 1
; LDSByteSize: 0 bytes/workgroup (compile time only)
; SGPRBlocks: 3
; VGPRBlocks: 1
; NumSGPRsForWavesPerEU: 28
; NumVGPRsForWavesPerEU: 10
; AccumOffset: 12
; Occupancy: 8
; WaveLimiterHint : 0
; COMPUTE_PGM_RSRC2:SCRATCH_EN: 0
; COMPUTE_PGM_RSRC2:USER_SGPR: 6
; COMPUTE_PGM_RSRC2:TRAP_HANDLER: 0
; COMPUTE_PGM_RSRC2:TGID_X_EN: 1
; COMPUTE_PGM_RSRC2:TGID_Y_EN: 0
; COMPUTE_PGM_RSRC2:TGID_Z_EN: 0
; COMPUTE_PGM_RSRC2:TIDIG_COMP_CNT: 0
; COMPUTE_PGM_RSRC3_GFX90A:ACCUM_OFFSET: 2
; COMPUTE_PGM_RSRC3_GFX90A:TG_SPLIT: 0
	.section	.text._ZN7rocprim17ROCPRIM_400000_NS6detail17trampoline_kernelINS0_14default_configENS1_38merge_sort_block_merge_config_selectorIN3c104HalfElEEZZNS1_27merge_sort_block_merge_implIS3_PS6_N6thrust23THRUST_200600_302600_NS10device_ptrIlEEmNSB_4lessIS6_EEEE10hipError_tT0_T1_T2_jT3_P12ihipStream_tbPNSt15iterator_traitsISH_E10value_typeEPNSN_ISI_E10value_typeEPSJ_NS1_7vsmem_tEENKUlT_SH_SI_SJ_E_clIS9_S9_SD_PlEESG_SW_SH_SI_SJ_EUlSW_E1_NS1_11comp_targetILNS1_3genE3ELNS1_11target_archE908ELNS1_3gpuE7ELNS1_3repE0EEENS1_36merge_oddeven_config_static_selectorELNS0_4arch9wavefront6targetE1EEEvSI_,"axG",@progbits,_ZN7rocprim17ROCPRIM_400000_NS6detail17trampoline_kernelINS0_14default_configENS1_38merge_sort_block_merge_config_selectorIN3c104HalfElEEZZNS1_27merge_sort_block_merge_implIS3_PS6_N6thrust23THRUST_200600_302600_NS10device_ptrIlEEmNSB_4lessIS6_EEEE10hipError_tT0_T1_T2_jT3_P12ihipStream_tbPNSt15iterator_traitsISH_E10value_typeEPNSN_ISI_E10value_typeEPSJ_NS1_7vsmem_tEENKUlT_SH_SI_SJ_E_clIS9_S9_SD_PlEESG_SW_SH_SI_SJ_EUlSW_E1_NS1_11comp_targetILNS1_3genE3ELNS1_11target_archE908ELNS1_3gpuE7ELNS1_3repE0EEENS1_36merge_oddeven_config_static_selectorELNS0_4arch9wavefront6targetE1EEEvSI_,comdat
	.protected	_ZN7rocprim17ROCPRIM_400000_NS6detail17trampoline_kernelINS0_14default_configENS1_38merge_sort_block_merge_config_selectorIN3c104HalfElEEZZNS1_27merge_sort_block_merge_implIS3_PS6_N6thrust23THRUST_200600_302600_NS10device_ptrIlEEmNSB_4lessIS6_EEEE10hipError_tT0_T1_T2_jT3_P12ihipStream_tbPNSt15iterator_traitsISH_E10value_typeEPNSN_ISI_E10value_typeEPSJ_NS1_7vsmem_tEENKUlT_SH_SI_SJ_E_clIS9_S9_SD_PlEESG_SW_SH_SI_SJ_EUlSW_E1_NS1_11comp_targetILNS1_3genE3ELNS1_11target_archE908ELNS1_3gpuE7ELNS1_3repE0EEENS1_36merge_oddeven_config_static_selectorELNS0_4arch9wavefront6targetE1EEEvSI_ ; -- Begin function _ZN7rocprim17ROCPRIM_400000_NS6detail17trampoline_kernelINS0_14default_configENS1_38merge_sort_block_merge_config_selectorIN3c104HalfElEEZZNS1_27merge_sort_block_merge_implIS3_PS6_N6thrust23THRUST_200600_302600_NS10device_ptrIlEEmNSB_4lessIS6_EEEE10hipError_tT0_T1_T2_jT3_P12ihipStream_tbPNSt15iterator_traitsISH_E10value_typeEPNSN_ISI_E10value_typeEPSJ_NS1_7vsmem_tEENKUlT_SH_SI_SJ_E_clIS9_S9_SD_PlEESG_SW_SH_SI_SJ_EUlSW_E1_NS1_11comp_targetILNS1_3genE3ELNS1_11target_archE908ELNS1_3gpuE7ELNS1_3repE0EEENS1_36merge_oddeven_config_static_selectorELNS0_4arch9wavefront6targetE1EEEvSI_
	.globl	_ZN7rocprim17ROCPRIM_400000_NS6detail17trampoline_kernelINS0_14default_configENS1_38merge_sort_block_merge_config_selectorIN3c104HalfElEEZZNS1_27merge_sort_block_merge_implIS3_PS6_N6thrust23THRUST_200600_302600_NS10device_ptrIlEEmNSB_4lessIS6_EEEE10hipError_tT0_T1_T2_jT3_P12ihipStream_tbPNSt15iterator_traitsISH_E10value_typeEPNSN_ISI_E10value_typeEPSJ_NS1_7vsmem_tEENKUlT_SH_SI_SJ_E_clIS9_S9_SD_PlEESG_SW_SH_SI_SJ_EUlSW_E1_NS1_11comp_targetILNS1_3genE3ELNS1_11target_archE908ELNS1_3gpuE7ELNS1_3repE0EEENS1_36merge_oddeven_config_static_selectorELNS0_4arch9wavefront6targetE1EEEvSI_
	.p2align	8
	.type	_ZN7rocprim17ROCPRIM_400000_NS6detail17trampoline_kernelINS0_14default_configENS1_38merge_sort_block_merge_config_selectorIN3c104HalfElEEZZNS1_27merge_sort_block_merge_implIS3_PS6_N6thrust23THRUST_200600_302600_NS10device_ptrIlEEmNSB_4lessIS6_EEEE10hipError_tT0_T1_T2_jT3_P12ihipStream_tbPNSt15iterator_traitsISH_E10value_typeEPNSN_ISI_E10value_typeEPSJ_NS1_7vsmem_tEENKUlT_SH_SI_SJ_E_clIS9_S9_SD_PlEESG_SW_SH_SI_SJ_EUlSW_E1_NS1_11comp_targetILNS1_3genE3ELNS1_11target_archE908ELNS1_3gpuE7ELNS1_3repE0EEENS1_36merge_oddeven_config_static_selectorELNS0_4arch9wavefront6targetE1EEEvSI_,@function
_ZN7rocprim17ROCPRIM_400000_NS6detail17trampoline_kernelINS0_14default_configENS1_38merge_sort_block_merge_config_selectorIN3c104HalfElEEZZNS1_27merge_sort_block_merge_implIS3_PS6_N6thrust23THRUST_200600_302600_NS10device_ptrIlEEmNSB_4lessIS6_EEEE10hipError_tT0_T1_T2_jT3_P12ihipStream_tbPNSt15iterator_traitsISH_E10value_typeEPNSN_ISI_E10value_typeEPSJ_NS1_7vsmem_tEENKUlT_SH_SI_SJ_E_clIS9_S9_SD_PlEESG_SW_SH_SI_SJ_EUlSW_E1_NS1_11comp_targetILNS1_3genE3ELNS1_11target_archE908ELNS1_3gpuE7ELNS1_3repE0EEENS1_36merge_oddeven_config_static_selectorELNS0_4arch9wavefront6targetE1EEEvSI_: ; @_ZN7rocprim17ROCPRIM_400000_NS6detail17trampoline_kernelINS0_14default_configENS1_38merge_sort_block_merge_config_selectorIN3c104HalfElEEZZNS1_27merge_sort_block_merge_implIS3_PS6_N6thrust23THRUST_200600_302600_NS10device_ptrIlEEmNSB_4lessIS6_EEEE10hipError_tT0_T1_T2_jT3_P12ihipStream_tbPNSt15iterator_traitsISH_E10value_typeEPNSN_ISI_E10value_typeEPSJ_NS1_7vsmem_tEENKUlT_SH_SI_SJ_E_clIS9_S9_SD_PlEESG_SW_SH_SI_SJ_EUlSW_E1_NS1_11comp_targetILNS1_3genE3ELNS1_11target_archE908ELNS1_3gpuE7ELNS1_3repE0EEENS1_36merge_oddeven_config_static_selectorELNS0_4arch9wavefront6targetE1EEEvSI_
; %bb.0:
	.section	.rodata,"a",@progbits
	.p2align	6, 0x0
	.amdhsa_kernel _ZN7rocprim17ROCPRIM_400000_NS6detail17trampoline_kernelINS0_14default_configENS1_38merge_sort_block_merge_config_selectorIN3c104HalfElEEZZNS1_27merge_sort_block_merge_implIS3_PS6_N6thrust23THRUST_200600_302600_NS10device_ptrIlEEmNSB_4lessIS6_EEEE10hipError_tT0_T1_T2_jT3_P12ihipStream_tbPNSt15iterator_traitsISH_E10value_typeEPNSN_ISI_E10value_typeEPSJ_NS1_7vsmem_tEENKUlT_SH_SI_SJ_E_clIS9_S9_SD_PlEESG_SW_SH_SI_SJ_EUlSW_E1_NS1_11comp_targetILNS1_3genE3ELNS1_11target_archE908ELNS1_3gpuE7ELNS1_3repE0EEENS1_36merge_oddeven_config_static_selectorELNS0_4arch9wavefront6targetE1EEEvSI_
		.amdhsa_group_segment_fixed_size 0
		.amdhsa_private_segment_fixed_size 0
		.amdhsa_kernarg_size 56
		.amdhsa_user_sgpr_count 6
		.amdhsa_user_sgpr_private_segment_buffer 1
		.amdhsa_user_sgpr_dispatch_ptr 0
		.amdhsa_user_sgpr_queue_ptr 0
		.amdhsa_user_sgpr_kernarg_segment_ptr 1
		.amdhsa_user_sgpr_dispatch_id 0
		.amdhsa_user_sgpr_flat_scratch_init 0
		.amdhsa_user_sgpr_kernarg_preload_length 0
		.amdhsa_user_sgpr_kernarg_preload_offset 0
		.amdhsa_user_sgpr_private_segment_size 0
		.amdhsa_uses_dynamic_stack 0
		.amdhsa_system_sgpr_private_segment_wavefront_offset 0
		.amdhsa_system_sgpr_workgroup_id_x 1
		.amdhsa_system_sgpr_workgroup_id_y 0
		.amdhsa_system_sgpr_workgroup_id_z 0
		.amdhsa_system_sgpr_workgroup_info 0
		.amdhsa_system_vgpr_workitem_id 0
		.amdhsa_next_free_vgpr 1
		.amdhsa_next_free_sgpr 0
		.amdhsa_accum_offset 4
		.amdhsa_reserve_vcc 0
		.amdhsa_reserve_flat_scratch 0
		.amdhsa_float_round_mode_32 0
		.amdhsa_float_round_mode_16_64 0
		.amdhsa_float_denorm_mode_32 3
		.amdhsa_float_denorm_mode_16_64 3
		.amdhsa_dx10_clamp 1
		.amdhsa_ieee_mode 1
		.amdhsa_fp16_overflow 0
		.amdhsa_tg_split 0
		.amdhsa_exception_fp_ieee_invalid_op 0
		.amdhsa_exception_fp_denorm_src 0
		.amdhsa_exception_fp_ieee_div_zero 0
		.amdhsa_exception_fp_ieee_overflow 0
		.amdhsa_exception_fp_ieee_underflow 0
		.amdhsa_exception_fp_ieee_inexact 0
		.amdhsa_exception_int_div_zero 0
	.end_amdhsa_kernel
	.section	.text._ZN7rocprim17ROCPRIM_400000_NS6detail17trampoline_kernelINS0_14default_configENS1_38merge_sort_block_merge_config_selectorIN3c104HalfElEEZZNS1_27merge_sort_block_merge_implIS3_PS6_N6thrust23THRUST_200600_302600_NS10device_ptrIlEEmNSB_4lessIS6_EEEE10hipError_tT0_T1_T2_jT3_P12ihipStream_tbPNSt15iterator_traitsISH_E10value_typeEPNSN_ISI_E10value_typeEPSJ_NS1_7vsmem_tEENKUlT_SH_SI_SJ_E_clIS9_S9_SD_PlEESG_SW_SH_SI_SJ_EUlSW_E1_NS1_11comp_targetILNS1_3genE3ELNS1_11target_archE908ELNS1_3gpuE7ELNS1_3repE0EEENS1_36merge_oddeven_config_static_selectorELNS0_4arch9wavefront6targetE1EEEvSI_,"axG",@progbits,_ZN7rocprim17ROCPRIM_400000_NS6detail17trampoline_kernelINS0_14default_configENS1_38merge_sort_block_merge_config_selectorIN3c104HalfElEEZZNS1_27merge_sort_block_merge_implIS3_PS6_N6thrust23THRUST_200600_302600_NS10device_ptrIlEEmNSB_4lessIS6_EEEE10hipError_tT0_T1_T2_jT3_P12ihipStream_tbPNSt15iterator_traitsISH_E10value_typeEPNSN_ISI_E10value_typeEPSJ_NS1_7vsmem_tEENKUlT_SH_SI_SJ_E_clIS9_S9_SD_PlEESG_SW_SH_SI_SJ_EUlSW_E1_NS1_11comp_targetILNS1_3genE3ELNS1_11target_archE908ELNS1_3gpuE7ELNS1_3repE0EEENS1_36merge_oddeven_config_static_selectorELNS0_4arch9wavefront6targetE1EEEvSI_,comdat
.Lfunc_end2170:
	.size	_ZN7rocprim17ROCPRIM_400000_NS6detail17trampoline_kernelINS0_14default_configENS1_38merge_sort_block_merge_config_selectorIN3c104HalfElEEZZNS1_27merge_sort_block_merge_implIS3_PS6_N6thrust23THRUST_200600_302600_NS10device_ptrIlEEmNSB_4lessIS6_EEEE10hipError_tT0_T1_T2_jT3_P12ihipStream_tbPNSt15iterator_traitsISH_E10value_typeEPNSN_ISI_E10value_typeEPSJ_NS1_7vsmem_tEENKUlT_SH_SI_SJ_E_clIS9_S9_SD_PlEESG_SW_SH_SI_SJ_EUlSW_E1_NS1_11comp_targetILNS1_3genE3ELNS1_11target_archE908ELNS1_3gpuE7ELNS1_3repE0EEENS1_36merge_oddeven_config_static_selectorELNS0_4arch9wavefront6targetE1EEEvSI_, .Lfunc_end2170-_ZN7rocprim17ROCPRIM_400000_NS6detail17trampoline_kernelINS0_14default_configENS1_38merge_sort_block_merge_config_selectorIN3c104HalfElEEZZNS1_27merge_sort_block_merge_implIS3_PS6_N6thrust23THRUST_200600_302600_NS10device_ptrIlEEmNSB_4lessIS6_EEEE10hipError_tT0_T1_T2_jT3_P12ihipStream_tbPNSt15iterator_traitsISH_E10value_typeEPNSN_ISI_E10value_typeEPSJ_NS1_7vsmem_tEENKUlT_SH_SI_SJ_E_clIS9_S9_SD_PlEESG_SW_SH_SI_SJ_EUlSW_E1_NS1_11comp_targetILNS1_3genE3ELNS1_11target_archE908ELNS1_3gpuE7ELNS1_3repE0EEENS1_36merge_oddeven_config_static_selectorELNS0_4arch9wavefront6targetE1EEEvSI_
                                        ; -- End function
	.section	.AMDGPU.csdata,"",@progbits
; Kernel info:
; codeLenInByte = 0
; NumSgprs: 4
; NumVgprs: 0
; NumAgprs: 0
; TotalNumVgprs: 0
; ScratchSize: 0
; MemoryBound: 0
; FloatMode: 240
; IeeeMode: 1
; LDSByteSize: 0 bytes/workgroup (compile time only)
; SGPRBlocks: 0
; VGPRBlocks: 0
; NumSGPRsForWavesPerEU: 4
; NumVGPRsForWavesPerEU: 1
; AccumOffset: 4
; Occupancy: 8
; WaveLimiterHint : 0
; COMPUTE_PGM_RSRC2:SCRATCH_EN: 0
; COMPUTE_PGM_RSRC2:USER_SGPR: 6
; COMPUTE_PGM_RSRC2:TRAP_HANDLER: 0
; COMPUTE_PGM_RSRC2:TGID_X_EN: 1
; COMPUTE_PGM_RSRC2:TGID_Y_EN: 0
; COMPUTE_PGM_RSRC2:TGID_Z_EN: 0
; COMPUTE_PGM_RSRC2:TIDIG_COMP_CNT: 0
; COMPUTE_PGM_RSRC3_GFX90A:ACCUM_OFFSET: 0
; COMPUTE_PGM_RSRC3_GFX90A:TG_SPLIT: 0
	.section	.text._ZN7rocprim17ROCPRIM_400000_NS6detail17trampoline_kernelINS0_14default_configENS1_38merge_sort_block_merge_config_selectorIN3c104HalfElEEZZNS1_27merge_sort_block_merge_implIS3_PS6_N6thrust23THRUST_200600_302600_NS10device_ptrIlEEmNSB_4lessIS6_EEEE10hipError_tT0_T1_T2_jT3_P12ihipStream_tbPNSt15iterator_traitsISH_E10value_typeEPNSN_ISI_E10value_typeEPSJ_NS1_7vsmem_tEENKUlT_SH_SI_SJ_E_clIS9_S9_SD_PlEESG_SW_SH_SI_SJ_EUlSW_E1_NS1_11comp_targetILNS1_3genE2ELNS1_11target_archE906ELNS1_3gpuE6ELNS1_3repE0EEENS1_36merge_oddeven_config_static_selectorELNS0_4arch9wavefront6targetE1EEEvSI_,"axG",@progbits,_ZN7rocprim17ROCPRIM_400000_NS6detail17trampoline_kernelINS0_14default_configENS1_38merge_sort_block_merge_config_selectorIN3c104HalfElEEZZNS1_27merge_sort_block_merge_implIS3_PS6_N6thrust23THRUST_200600_302600_NS10device_ptrIlEEmNSB_4lessIS6_EEEE10hipError_tT0_T1_T2_jT3_P12ihipStream_tbPNSt15iterator_traitsISH_E10value_typeEPNSN_ISI_E10value_typeEPSJ_NS1_7vsmem_tEENKUlT_SH_SI_SJ_E_clIS9_S9_SD_PlEESG_SW_SH_SI_SJ_EUlSW_E1_NS1_11comp_targetILNS1_3genE2ELNS1_11target_archE906ELNS1_3gpuE6ELNS1_3repE0EEENS1_36merge_oddeven_config_static_selectorELNS0_4arch9wavefront6targetE1EEEvSI_,comdat
	.protected	_ZN7rocprim17ROCPRIM_400000_NS6detail17trampoline_kernelINS0_14default_configENS1_38merge_sort_block_merge_config_selectorIN3c104HalfElEEZZNS1_27merge_sort_block_merge_implIS3_PS6_N6thrust23THRUST_200600_302600_NS10device_ptrIlEEmNSB_4lessIS6_EEEE10hipError_tT0_T1_T2_jT3_P12ihipStream_tbPNSt15iterator_traitsISH_E10value_typeEPNSN_ISI_E10value_typeEPSJ_NS1_7vsmem_tEENKUlT_SH_SI_SJ_E_clIS9_S9_SD_PlEESG_SW_SH_SI_SJ_EUlSW_E1_NS1_11comp_targetILNS1_3genE2ELNS1_11target_archE906ELNS1_3gpuE6ELNS1_3repE0EEENS1_36merge_oddeven_config_static_selectorELNS0_4arch9wavefront6targetE1EEEvSI_ ; -- Begin function _ZN7rocprim17ROCPRIM_400000_NS6detail17trampoline_kernelINS0_14default_configENS1_38merge_sort_block_merge_config_selectorIN3c104HalfElEEZZNS1_27merge_sort_block_merge_implIS3_PS6_N6thrust23THRUST_200600_302600_NS10device_ptrIlEEmNSB_4lessIS6_EEEE10hipError_tT0_T1_T2_jT3_P12ihipStream_tbPNSt15iterator_traitsISH_E10value_typeEPNSN_ISI_E10value_typeEPSJ_NS1_7vsmem_tEENKUlT_SH_SI_SJ_E_clIS9_S9_SD_PlEESG_SW_SH_SI_SJ_EUlSW_E1_NS1_11comp_targetILNS1_3genE2ELNS1_11target_archE906ELNS1_3gpuE6ELNS1_3repE0EEENS1_36merge_oddeven_config_static_selectorELNS0_4arch9wavefront6targetE1EEEvSI_
	.globl	_ZN7rocprim17ROCPRIM_400000_NS6detail17trampoline_kernelINS0_14default_configENS1_38merge_sort_block_merge_config_selectorIN3c104HalfElEEZZNS1_27merge_sort_block_merge_implIS3_PS6_N6thrust23THRUST_200600_302600_NS10device_ptrIlEEmNSB_4lessIS6_EEEE10hipError_tT0_T1_T2_jT3_P12ihipStream_tbPNSt15iterator_traitsISH_E10value_typeEPNSN_ISI_E10value_typeEPSJ_NS1_7vsmem_tEENKUlT_SH_SI_SJ_E_clIS9_S9_SD_PlEESG_SW_SH_SI_SJ_EUlSW_E1_NS1_11comp_targetILNS1_3genE2ELNS1_11target_archE906ELNS1_3gpuE6ELNS1_3repE0EEENS1_36merge_oddeven_config_static_selectorELNS0_4arch9wavefront6targetE1EEEvSI_
	.p2align	8
	.type	_ZN7rocprim17ROCPRIM_400000_NS6detail17trampoline_kernelINS0_14default_configENS1_38merge_sort_block_merge_config_selectorIN3c104HalfElEEZZNS1_27merge_sort_block_merge_implIS3_PS6_N6thrust23THRUST_200600_302600_NS10device_ptrIlEEmNSB_4lessIS6_EEEE10hipError_tT0_T1_T2_jT3_P12ihipStream_tbPNSt15iterator_traitsISH_E10value_typeEPNSN_ISI_E10value_typeEPSJ_NS1_7vsmem_tEENKUlT_SH_SI_SJ_E_clIS9_S9_SD_PlEESG_SW_SH_SI_SJ_EUlSW_E1_NS1_11comp_targetILNS1_3genE2ELNS1_11target_archE906ELNS1_3gpuE6ELNS1_3repE0EEENS1_36merge_oddeven_config_static_selectorELNS0_4arch9wavefront6targetE1EEEvSI_,@function
_ZN7rocprim17ROCPRIM_400000_NS6detail17trampoline_kernelINS0_14default_configENS1_38merge_sort_block_merge_config_selectorIN3c104HalfElEEZZNS1_27merge_sort_block_merge_implIS3_PS6_N6thrust23THRUST_200600_302600_NS10device_ptrIlEEmNSB_4lessIS6_EEEE10hipError_tT0_T1_T2_jT3_P12ihipStream_tbPNSt15iterator_traitsISH_E10value_typeEPNSN_ISI_E10value_typeEPSJ_NS1_7vsmem_tEENKUlT_SH_SI_SJ_E_clIS9_S9_SD_PlEESG_SW_SH_SI_SJ_EUlSW_E1_NS1_11comp_targetILNS1_3genE2ELNS1_11target_archE906ELNS1_3gpuE6ELNS1_3repE0EEENS1_36merge_oddeven_config_static_selectorELNS0_4arch9wavefront6targetE1EEEvSI_: ; @_ZN7rocprim17ROCPRIM_400000_NS6detail17trampoline_kernelINS0_14default_configENS1_38merge_sort_block_merge_config_selectorIN3c104HalfElEEZZNS1_27merge_sort_block_merge_implIS3_PS6_N6thrust23THRUST_200600_302600_NS10device_ptrIlEEmNSB_4lessIS6_EEEE10hipError_tT0_T1_T2_jT3_P12ihipStream_tbPNSt15iterator_traitsISH_E10value_typeEPNSN_ISI_E10value_typeEPSJ_NS1_7vsmem_tEENKUlT_SH_SI_SJ_E_clIS9_S9_SD_PlEESG_SW_SH_SI_SJ_EUlSW_E1_NS1_11comp_targetILNS1_3genE2ELNS1_11target_archE906ELNS1_3gpuE6ELNS1_3repE0EEENS1_36merge_oddeven_config_static_selectorELNS0_4arch9wavefront6targetE1EEEvSI_
; %bb.0:
	.section	.rodata,"a",@progbits
	.p2align	6, 0x0
	.amdhsa_kernel _ZN7rocprim17ROCPRIM_400000_NS6detail17trampoline_kernelINS0_14default_configENS1_38merge_sort_block_merge_config_selectorIN3c104HalfElEEZZNS1_27merge_sort_block_merge_implIS3_PS6_N6thrust23THRUST_200600_302600_NS10device_ptrIlEEmNSB_4lessIS6_EEEE10hipError_tT0_T1_T2_jT3_P12ihipStream_tbPNSt15iterator_traitsISH_E10value_typeEPNSN_ISI_E10value_typeEPSJ_NS1_7vsmem_tEENKUlT_SH_SI_SJ_E_clIS9_S9_SD_PlEESG_SW_SH_SI_SJ_EUlSW_E1_NS1_11comp_targetILNS1_3genE2ELNS1_11target_archE906ELNS1_3gpuE6ELNS1_3repE0EEENS1_36merge_oddeven_config_static_selectorELNS0_4arch9wavefront6targetE1EEEvSI_
		.amdhsa_group_segment_fixed_size 0
		.amdhsa_private_segment_fixed_size 0
		.amdhsa_kernarg_size 56
		.amdhsa_user_sgpr_count 6
		.amdhsa_user_sgpr_private_segment_buffer 1
		.amdhsa_user_sgpr_dispatch_ptr 0
		.amdhsa_user_sgpr_queue_ptr 0
		.amdhsa_user_sgpr_kernarg_segment_ptr 1
		.amdhsa_user_sgpr_dispatch_id 0
		.amdhsa_user_sgpr_flat_scratch_init 0
		.amdhsa_user_sgpr_kernarg_preload_length 0
		.amdhsa_user_sgpr_kernarg_preload_offset 0
		.amdhsa_user_sgpr_private_segment_size 0
		.amdhsa_uses_dynamic_stack 0
		.amdhsa_system_sgpr_private_segment_wavefront_offset 0
		.amdhsa_system_sgpr_workgroup_id_x 1
		.amdhsa_system_sgpr_workgroup_id_y 0
		.amdhsa_system_sgpr_workgroup_id_z 0
		.amdhsa_system_sgpr_workgroup_info 0
		.amdhsa_system_vgpr_workitem_id 0
		.amdhsa_next_free_vgpr 1
		.amdhsa_next_free_sgpr 0
		.amdhsa_accum_offset 4
		.amdhsa_reserve_vcc 0
		.amdhsa_reserve_flat_scratch 0
		.amdhsa_float_round_mode_32 0
		.amdhsa_float_round_mode_16_64 0
		.amdhsa_float_denorm_mode_32 3
		.amdhsa_float_denorm_mode_16_64 3
		.amdhsa_dx10_clamp 1
		.amdhsa_ieee_mode 1
		.amdhsa_fp16_overflow 0
		.amdhsa_tg_split 0
		.amdhsa_exception_fp_ieee_invalid_op 0
		.amdhsa_exception_fp_denorm_src 0
		.amdhsa_exception_fp_ieee_div_zero 0
		.amdhsa_exception_fp_ieee_overflow 0
		.amdhsa_exception_fp_ieee_underflow 0
		.amdhsa_exception_fp_ieee_inexact 0
		.amdhsa_exception_int_div_zero 0
	.end_amdhsa_kernel
	.section	.text._ZN7rocprim17ROCPRIM_400000_NS6detail17trampoline_kernelINS0_14default_configENS1_38merge_sort_block_merge_config_selectorIN3c104HalfElEEZZNS1_27merge_sort_block_merge_implIS3_PS6_N6thrust23THRUST_200600_302600_NS10device_ptrIlEEmNSB_4lessIS6_EEEE10hipError_tT0_T1_T2_jT3_P12ihipStream_tbPNSt15iterator_traitsISH_E10value_typeEPNSN_ISI_E10value_typeEPSJ_NS1_7vsmem_tEENKUlT_SH_SI_SJ_E_clIS9_S9_SD_PlEESG_SW_SH_SI_SJ_EUlSW_E1_NS1_11comp_targetILNS1_3genE2ELNS1_11target_archE906ELNS1_3gpuE6ELNS1_3repE0EEENS1_36merge_oddeven_config_static_selectorELNS0_4arch9wavefront6targetE1EEEvSI_,"axG",@progbits,_ZN7rocprim17ROCPRIM_400000_NS6detail17trampoline_kernelINS0_14default_configENS1_38merge_sort_block_merge_config_selectorIN3c104HalfElEEZZNS1_27merge_sort_block_merge_implIS3_PS6_N6thrust23THRUST_200600_302600_NS10device_ptrIlEEmNSB_4lessIS6_EEEE10hipError_tT0_T1_T2_jT3_P12ihipStream_tbPNSt15iterator_traitsISH_E10value_typeEPNSN_ISI_E10value_typeEPSJ_NS1_7vsmem_tEENKUlT_SH_SI_SJ_E_clIS9_S9_SD_PlEESG_SW_SH_SI_SJ_EUlSW_E1_NS1_11comp_targetILNS1_3genE2ELNS1_11target_archE906ELNS1_3gpuE6ELNS1_3repE0EEENS1_36merge_oddeven_config_static_selectorELNS0_4arch9wavefront6targetE1EEEvSI_,comdat
.Lfunc_end2171:
	.size	_ZN7rocprim17ROCPRIM_400000_NS6detail17trampoline_kernelINS0_14default_configENS1_38merge_sort_block_merge_config_selectorIN3c104HalfElEEZZNS1_27merge_sort_block_merge_implIS3_PS6_N6thrust23THRUST_200600_302600_NS10device_ptrIlEEmNSB_4lessIS6_EEEE10hipError_tT0_T1_T2_jT3_P12ihipStream_tbPNSt15iterator_traitsISH_E10value_typeEPNSN_ISI_E10value_typeEPSJ_NS1_7vsmem_tEENKUlT_SH_SI_SJ_E_clIS9_S9_SD_PlEESG_SW_SH_SI_SJ_EUlSW_E1_NS1_11comp_targetILNS1_3genE2ELNS1_11target_archE906ELNS1_3gpuE6ELNS1_3repE0EEENS1_36merge_oddeven_config_static_selectorELNS0_4arch9wavefront6targetE1EEEvSI_, .Lfunc_end2171-_ZN7rocprim17ROCPRIM_400000_NS6detail17trampoline_kernelINS0_14default_configENS1_38merge_sort_block_merge_config_selectorIN3c104HalfElEEZZNS1_27merge_sort_block_merge_implIS3_PS6_N6thrust23THRUST_200600_302600_NS10device_ptrIlEEmNSB_4lessIS6_EEEE10hipError_tT0_T1_T2_jT3_P12ihipStream_tbPNSt15iterator_traitsISH_E10value_typeEPNSN_ISI_E10value_typeEPSJ_NS1_7vsmem_tEENKUlT_SH_SI_SJ_E_clIS9_S9_SD_PlEESG_SW_SH_SI_SJ_EUlSW_E1_NS1_11comp_targetILNS1_3genE2ELNS1_11target_archE906ELNS1_3gpuE6ELNS1_3repE0EEENS1_36merge_oddeven_config_static_selectorELNS0_4arch9wavefront6targetE1EEEvSI_
                                        ; -- End function
	.section	.AMDGPU.csdata,"",@progbits
; Kernel info:
; codeLenInByte = 0
; NumSgprs: 4
; NumVgprs: 0
; NumAgprs: 0
; TotalNumVgprs: 0
; ScratchSize: 0
; MemoryBound: 0
; FloatMode: 240
; IeeeMode: 1
; LDSByteSize: 0 bytes/workgroup (compile time only)
; SGPRBlocks: 0
; VGPRBlocks: 0
; NumSGPRsForWavesPerEU: 4
; NumVGPRsForWavesPerEU: 1
; AccumOffset: 4
; Occupancy: 8
; WaveLimiterHint : 0
; COMPUTE_PGM_RSRC2:SCRATCH_EN: 0
; COMPUTE_PGM_RSRC2:USER_SGPR: 6
; COMPUTE_PGM_RSRC2:TRAP_HANDLER: 0
; COMPUTE_PGM_RSRC2:TGID_X_EN: 1
; COMPUTE_PGM_RSRC2:TGID_Y_EN: 0
; COMPUTE_PGM_RSRC2:TGID_Z_EN: 0
; COMPUTE_PGM_RSRC2:TIDIG_COMP_CNT: 0
; COMPUTE_PGM_RSRC3_GFX90A:ACCUM_OFFSET: 0
; COMPUTE_PGM_RSRC3_GFX90A:TG_SPLIT: 0
	.section	.text._ZN7rocprim17ROCPRIM_400000_NS6detail17trampoline_kernelINS0_14default_configENS1_38merge_sort_block_merge_config_selectorIN3c104HalfElEEZZNS1_27merge_sort_block_merge_implIS3_PS6_N6thrust23THRUST_200600_302600_NS10device_ptrIlEEmNSB_4lessIS6_EEEE10hipError_tT0_T1_T2_jT3_P12ihipStream_tbPNSt15iterator_traitsISH_E10value_typeEPNSN_ISI_E10value_typeEPSJ_NS1_7vsmem_tEENKUlT_SH_SI_SJ_E_clIS9_S9_SD_PlEESG_SW_SH_SI_SJ_EUlSW_E1_NS1_11comp_targetILNS1_3genE9ELNS1_11target_archE1100ELNS1_3gpuE3ELNS1_3repE0EEENS1_36merge_oddeven_config_static_selectorELNS0_4arch9wavefront6targetE1EEEvSI_,"axG",@progbits,_ZN7rocprim17ROCPRIM_400000_NS6detail17trampoline_kernelINS0_14default_configENS1_38merge_sort_block_merge_config_selectorIN3c104HalfElEEZZNS1_27merge_sort_block_merge_implIS3_PS6_N6thrust23THRUST_200600_302600_NS10device_ptrIlEEmNSB_4lessIS6_EEEE10hipError_tT0_T1_T2_jT3_P12ihipStream_tbPNSt15iterator_traitsISH_E10value_typeEPNSN_ISI_E10value_typeEPSJ_NS1_7vsmem_tEENKUlT_SH_SI_SJ_E_clIS9_S9_SD_PlEESG_SW_SH_SI_SJ_EUlSW_E1_NS1_11comp_targetILNS1_3genE9ELNS1_11target_archE1100ELNS1_3gpuE3ELNS1_3repE0EEENS1_36merge_oddeven_config_static_selectorELNS0_4arch9wavefront6targetE1EEEvSI_,comdat
	.protected	_ZN7rocprim17ROCPRIM_400000_NS6detail17trampoline_kernelINS0_14default_configENS1_38merge_sort_block_merge_config_selectorIN3c104HalfElEEZZNS1_27merge_sort_block_merge_implIS3_PS6_N6thrust23THRUST_200600_302600_NS10device_ptrIlEEmNSB_4lessIS6_EEEE10hipError_tT0_T1_T2_jT3_P12ihipStream_tbPNSt15iterator_traitsISH_E10value_typeEPNSN_ISI_E10value_typeEPSJ_NS1_7vsmem_tEENKUlT_SH_SI_SJ_E_clIS9_S9_SD_PlEESG_SW_SH_SI_SJ_EUlSW_E1_NS1_11comp_targetILNS1_3genE9ELNS1_11target_archE1100ELNS1_3gpuE3ELNS1_3repE0EEENS1_36merge_oddeven_config_static_selectorELNS0_4arch9wavefront6targetE1EEEvSI_ ; -- Begin function _ZN7rocprim17ROCPRIM_400000_NS6detail17trampoline_kernelINS0_14default_configENS1_38merge_sort_block_merge_config_selectorIN3c104HalfElEEZZNS1_27merge_sort_block_merge_implIS3_PS6_N6thrust23THRUST_200600_302600_NS10device_ptrIlEEmNSB_4lessIS6_EEEE10hipError_tT0_T1_T2_jT3_P12ihipStream_tbPNSt15iterator_traitsISH_E10value_typeEPNSN_ISI_E10value_typeEPSJ_NS1_7vsmem_tEENKUlT_SH_SI_SJ_E_clIS9_S9_SD_PlEESG_SW_SH_SI_SJ_EUlSW_E1_NS1_11comp_targetILNS1_3genE9ELNS1_11target_archE1100ELNS1_3gpuE3ELNS1_3repE0EEENS1_36merge_oddeven_config_static_selectorELNS0_4arch9wavefront6targetE1EEEvSI_
	.globl	_ZN7rocprim17ROCPRIM_400000_NS6detail17trampoline_kernelINS0_14default_configENS1_38merge_sort_block_merge_config_selectorIN3c104HalfElEEZZNS1_27merge_sort_block_merge_implIS3_PS6_N6thrust23THRUST_200600_302600_NS10device_ptrIlEEmNSB_4lessIS6_EEEE10hipError_tT0_T1_T2_jT3_P12ihipStream_tbPNSt15iterator_traitsISH_E10value_typeEPNSN_ISI_E10value_typeEPSJ_NS1_7vsmem_tEENKUlT_SH_SI_SJ_E_clIS9_S9_SD_PlEESG_SW_SH_SI_SJ_EUlSW_E1_NS1_11comp_targetILNS1_3genE9ELNS1_11target_archE1100ELNS1_3gpuE3ELNS1_3repE0EEENS1_36merge_oddeven_config_static_selectorELNS0_4arch9wavefront6targetE1EEEvSI_
	.p2align	8
	.type	_ZN7rocprim17ROCPRIM_400000_NS6detail17trampoline_kernelINS0_14default_configENS1_38merge_sort_block_merge_config_selectorIN3c104HalfElEEZZNS1_27merge_sort_block_merge_implIS3_PS6_N6thrust23THRUST_200600_302600_NS10device_ptrIlEEmNSB_4lessIS6_EEEE10hipError_tT0_T1_T2_jT3_P12ihipStream_tbPNSt15iterator_traitsISH_E10value_typeEPNSN_ISI_E10value_typeEPSJ_NS1_7vsmem_tEENKUlT_SH_SI_SJ_E_clIS9_S9_SD_PlEESG_SW_SH_SI_SJ_EUlSW_E1_NS1_11comp_targetILNS1_3genE9ELNS1_11target_archE1100ELNS1_3gpuE3ELNS1_3repE0EEENS1_36merge_oddeven_config_static_selectorELNS0_4arch9wavefront6targetE1EEEvSI_,@function
_ZN7rocprim17ROCPRIM_400000_NS6detail17trampoline_kernelINS0_14default_configENS1_38merge_sort_block_merge_config_selectorIN3c104HalfElEEZZNS1_27merge_sort_block_merge_implIS3_PS6_N6thrust23THRUST_200600_302600_NS10device_ptrIlEEmNSB_4lessIS6_EEEE10hipError_tT0_T1_T2_jT3_P12ihipStream_tbPNSt15iterator_traitsISH_E10value_typeEPNSN_ISI_E10value_typeEPSJ_NS1_7vsmem_tEENKUlT_SH_SI_SJ_E_clIS9_S9_SD_PlEESG_SW_SH_SI_SJ_EUlSW_E1_NS1_11comp_targetILNS1_3genE9ELNS1_11target_archE1100ELNS1_3gpuE3ELNS1_3repE0EEENS1_36merge_oddeven_config_static_selectorELNS0_4arch9wavefront6targetE1EEEvSI_: ; @_ZN7rocprim17ROCPRIM_400000_NS6detail17trampoline_kernelINS0_14default_configENS1_38merge_sort_block_merge_config_selectorIN3c104HalfElEEZZNS1_27merge_sort_block_merge_implIS3_PS6_N6thrust23THRUST_200600_302600_NS10device_ptrIlEEmNSB_4lessIS6_EEEE10hipError_tT0_T1_T2_jT3_P12ihipStream_tbPNSt15iterator_traitsISH_E10value_typeEPNSN_ISI_E10value_typeEPSJ_NS1_7vsmem_tEENKUlT_SH_SI_SJ_E_clIS9_S9_SD_PlEESG_SW_SH_SI_SJ_EUlSW_E1_NS1_11comp_targetILNS1_3genE9ELNS1_11target_archE1100ELNS1_3gpuE3ELNS1_3repE0EEENS1_36merge_oddeven_config_static_selectorELNS0_4arch9wavefront6targetE1EEEvSI_
; %bb.0:
	.section	.rodata,"a",@progbits
	.p2align	6, 0x0
	.amdhsa_kernel _ZN7rocprim17ROCPRIM_400000_NS6detail17trampoline_kernelINS0_14default_configENS1_38merge_sort_block_merge_config_selectorIN3c104HalfElEEZZNS1_27merge_sort_block_merge_implIS3_PS6_N6thrust23THRUST_200600_302600_NS10device_ptrIlEEmNSB_4lessIS6_EEEE10hipError_tT0_T1_T2_jT3_P12ihipStream_tbPNSt15iterator_traitsISH_E10value_typeEPNSN_ISI_E10value_typeEPSJ_NS1_7vsmem_tEENKUlT_SH_SI_SJ_E_clIS9_S9_SD_PlEESG_SW_SH_SI_SJ_EUlSW_E1_NS1_11comp_targetILNS1_3genE9ELNS1_11target_archE1100ELNS1_3gpuE3ELNS1_3repE0EEENS1_36merge_oddeven_config_static_selectorELNS0_4arch9wavefront6targetE1EEEvSI_
		.amdhsa_group_segment_fixed_size 0
		.amdhsa_private_segment_fixed_size 0
		.amdhsa_kernarg_size 56
		.amdhsa_user_sgpr_count 6
		.amdhsa_user_sgpr_private_segment_buffer 1
		.amdhsa_user_sgpr_dispatch_ptr 0
		.amdhsa_user_sgpr_queue_ptr 0
		.amdhsa_user_sgpr_kernarg_segment_ptr 1
		.amdhsa_user_sgpr_dispatch_id 0
		.amdhsa_user_sgpr_flat_scratch_init 0
		.amdhsa_user_sgpr_kernarg_preload_length 0
		.amdhsa_user_sgpr_kernarg_preload_offset 0
		.amdhsa_user_sgpr_private_segment_size 0
		.amdhsa_uses_dynamic_stack 0
		.amdhsa_system_sgpr_private_segment_wavefront_offset 0
		.amdhsa_system_sgpr_workgroup_id_x 1
		.amdhsa_system_sgpr_workgroup_id_y 0
		.amdhsa_system_sgpr_workgroup_id_z 0
		.amdhsa_system_sgpr_workgroup_info 0
		.amdhsa_system_vgpr_workitem_id 0
		.amdhsa_next_free_vgpr 1
		.amdhsa_next_free_sgpr 0
		.amdhsa_accum_offset 4
		.amdhsa_reserve_vcc 0
		.amdhsa_reserve_flat_scratch 0
		.amdhsa_float_round_mode_32 0
		.amdhsa_float_round_mode_16_64 0
		.amdhsa_float_denorm_mode_32 3
		.amdhsa_float_denorm_mode_16_64 3
		.amdhsa_dx10_clamp 1
		.amdhsa_ieee_mode 1
		.amdhsa_fp16_overflow 0
		.amdhsa_tg_split 0
		.amdhsa_exception_fp_ieee_invalid_op 0
		.amdhsa_exception_fp_denorm_src 0
		.amdhsa_exception_fp_ieee_div_zero 0
		.amdhsa_exception_fp_ieee_overflow 0
		.amdhsa_exception_fp_ieee_underflow 0
		.amdhsa_exception_fp_ieee_inexact 0
		.amdhsa_exception_int_div_zero 0
	.end_amdhsa_kernel
	.section	.text._ZN7rocprim17ROCPRIM_400000_NS6detail17trampoline_kernelINS0_14default_configENS1_38merge_sort_block_merge_config_selectorIN3c104HalfElEEZZNS1_27merge_sort_block_merge_implIS3_PS6_N6thrust23THRUST_200600_302600_NS10device_ptrIlEEmNSB_4lessIS6_EEEE10hipError_tT0_T1_T2_jT3_P12ihipStream_tbPNSt15iterator_traitsISH_E10value_typeEPNSN_ISI_E10value_typeEPSJ_NS1_7vsmem_tEENKUlT_SH_SI_SJ_E_clIS9_S9_SD_PlEESG_SW_SH_SI_SJ_EUlSW_E1_NS1_11comp_targetILNS1_3genE9ELNS1_11target_archE1100ELNS1_3gpuE3ELNS1_3repE0EEENS1_36merge_oddeven_config_static_selectorELNS0_4arch9wavefront6targetE1EEEvSI_,"axG",@progbits,_ZN7rocprim17ROCPRIM_400000_NS6detail17trampoline_kernelINS0_14default_configENS1_38merge_sort_block_merge_config_selectorIN3c104HalfElEEZZNS1_27merge_sort_block_merge_implIS3_PS6_N6thrust23THRUST_200600_302600_NS10device_ptrIlEEmNSB_4lessIS6_EEEE10hipError_tT0_T1_T2_jT3_P12ihipStream_tbPNSt15iterator_traitsISH_E10value_typeEPNSN_ISI_E10value_typeEPSJ_NS1_7vsmem_tEENKUlT_SH_SI_SJ_E_clIS9_S9_SD_PlEESG_SW_SH_SI_SJ_EUlSW_E1_NS1_11comp_targetILNS1_3genE9ELNS1_11target_archE1100ELNS1_3gpuE3ELNS1_3repE0EEENS1_36merge_oddeven_config_static_selectorELNS0_4arch9wavefront6targetE1EEEvSI_,comdat
.Lfunc_end2172:
	.size	_ZN7rocprim17ROCPRIM_400000_NS6detail17trampoline_kernelINS0_14default_configENS1_38merge_sort_block_merge_config_selectorIN3c104HalfElEEZZNS1_27merge_sort_block_merge_implIS3_PS6_N6thrust23THRUST_200600_302600_NS10device_ptrIlEEmNSB_4lessIS6_EEEE10hipError_tT0_T1_T2_jT3_P12ihipStream_tbPNSt15iterator_traitsISH_E10value_typeEPNSN_ISI_E10value_typeEPSJ_NS1_7vsmem_tEENKUlT_SH_SI_SJ_E_clIS9_S9_SD_PlEESG_SW_SH_SI_SJ_EUlSW_E1_NS1_11comp_targetILNS1_3genE9ELNS1_11target_archE1100ELNS1_3gpuE3ELNS1_3repE0EEENS1_36merge_oddeven_config_static_selectorELNS0_4arch9wavefront6targetE1EEEvSI_, .Lfunc_end2172-_ZN7rocprim17ROCPRIM_400000_NS6detail17trampoline_kernelINS0_14default_configENS1_38merge_sort_block_merge_config_selectorIN3c104HalfElEEZZNS1_27merge_sort_block_merge_implIS3_PS6_N6thrust23THRUST_200600_302600_NS10device_ptrIlEEmNSB_4lessIS6_EEEE10hipError_tT0_T1_T2_jT3_P12ihipStream_tbPNSt15iterator_traitsISH_E10value_typeEPNSN_ISI_E10value_typeEPSJ_NS1_7vsmem_tEENKUlT_SH_SI_SJ_E_clIS9_S9_SD_PlEESG_SW_SH_SI_SJ_EUlSW_E1_NS1_11comp_targetILNS1_3genE9ELNS1_11target_archE1100ELNS1_3gpuE3ELNS1_3repE0EEENS1_36merge_oddeven_config_static_selectorELNS0_4arch9wavefront6targetE1EEEvSI_
                                        ; -- End function
	.section	.AMDGPU.csdata,"",@progbits
; Kernel info:
; codeLenInByte = 0
; NumSgprs: 4
; NumVgprs: 0
; NumAgprs: 0
; TotalNumVgprs: 0
; ScratchSize: 0
; MemoryBound: 0
; FloatMode: 240
; IeeeMode: 1
; LDSByteSize: 0 bytes/workgroup (compile time only)
; SGPRBlocks: 0
; VGPRBlocks: 0
; NumSGPRsForWavesPerEU: 4
; NumVGPRsForWavesPerEU: 1
; AccumOffset: 4
; Occupancy: 8
; WaveLimiterHint : 0
; COMPUTE_PGM_RSRC2:SCRATCH_EN: 0
; COMPUTE_PGM_RSRC2:USER_SGPR: 6
; COMPUTE_PGM_RSRC2:TRAP_HANDLER: 0
; COMPUTE_PGM_RSRC2:TGID_X_EN: 1
; COMPUTE_PGM_RSRC2:TGID_Y_EN: 0
; COMPUTE_PGM_RSRC2:TGID_Z_EN: 0
; COMPUTE_PGM_RSRC2:TIDIG_COMP_CNT: 0
; COMPUTE_PGM_RSRC3_GFX90A:ACCUM_OFFSET: 0
; COMPUTE_PGM_RSRC3_GFX90A:TG_SPLIT: 0
	.section	.text._ZN7rocprim17ROCPRIM_400000_NS6detail17trampoline_kernelINS0_14default_configENS1_38merge_sort_block_merge_config_selectorIN3c104HalfElEEZZNS1_27merge_sort_block_merge_implIS3_PS6_N6thrust23THRUST_200600_302600_NS10device_ptrIlEEmNSB_4lessIS6_EEEE10hipError_tT0_T1_T2_jT3_P12ihipStream_tbPNSt15iterator_traitsISH_E10value_typeEPNSN_ISI_E10value_typeEPSJ_NS1_7vsmem_tEENKUlT_SH_SI_SJ_E_clIS9_S9_SD_PlEESG_SW_SH_SI_SJ_EUlSW_E1_NS1_11comp_targetILNS1_3genE8ELNS1_11target_archE1030ELNS1_3gpuE2ELNS1_3repE0EEENS1_36merge_oddeven_config_static_selectorELNS0_4arch9wavefront6targetE1EEEvSI_,"axG",@progbits,_ZN7rocprim17ROCPRIM_400000_NS6detail17trampoline_kernelINS0_14default_configENS1_38merge_sort_block_merge_config_selectorIN3c104HalfElEEZZNS1_27merge_sort_block_merge_implIS3_PS6_N6thrust23THRUST_200600_302600_NS10device_ptrIlEEmNSB_4lessIS6_EEEE10hipError_tT0_T1_T2_jT3_P12ihipStream_tbPNSt15iterator_traitsISH_E10value_typeEPNSN_ISI_E10value_typeEPSJ_NS1_7vsmem_tEENKUlT_SH_SI_SJ_E_clIS9_S9_SD_PlEESG_SW_SH_SI_SJ_EUlSW_E1_NS1_11comp_targetILNS1_3genE8ELNS1_11target_archE1030ELNS1_3gpuE2ELNS1_3repE0EEENS1_36merge_oddeven_config_static_selectorELNS0_4arch9wavefront6targetE1EEEvSI_,comdat
	.protected	_ZN7rocprim17ROCPRIM_400000_NS6detail17trampoline_kernelINS0_14default_configENS1_38merge_sort_block_merge_config_selectorIN3c104HalfElEEZZNS1_27merge_sort_block_merge_implIS3_PS6_N6thrust23THRUST_200600_302600_NS10device_ptrIlEEmNSB_4lessIS6_EEEE10hipError_tT0_T1_T2_jT3_P12ihipStream_tbPNSt15iterator_traitsISH_E10value_typeEPNSN_ISI_E10value_typeEPSJ_NS1_7vsmem_tEENKUlT_SH_SI_SJ_E_clIS9_S9_SD_PlEESG_SW_SH_SI_SJ_EUlSW_E1_NS1_11comp_targetILNS1_3genE8ELNS1_11target_archE1030ELNS1_3gpuE2ELNS1_3repE0EEENS1_36merge_oddeven_config_static_selectorELNS0_4arch9wavefront6targetE1EEEvSI_ ; -- Begin function _ZN7rocprim17ROCPRIM_400000_NS6detail17trampoline_kernelINS0_14default_configENS1_38merge_sort_block_merge_config_selectorIN3c104HalfElEEZZNS1_27merge_sort_block_merge_implIS3_PS6_N6thrust23THRUST_200600_302600_NS10device_ptrIlEEmNSB_4lessIS6_EEEE10hipError_tT0_T1_T2_jT3_P12ihipStream_tbPNSt15iterator_traitsISH_E10value_typeEPNSN_ISI_E10value_typeEPSJ_NS1_7vsmem_tEENKUlT_SH_SI_SJ_E_clIS9_S9_SD_PlEESG_SW_SH_SI_SJ_EUlSW_E1_NS1_11comp_targetILNS1_3genE8ELNS1_11target_archE1030ELNS1_3gpuE2ELNS1_3repE0EEENS1_36merge_oddeven_config_static_selectorELNS0_4arch9wavefront6targetE1EEEvSI_
	.globl	_ZN7rocprim17ROCPRIM_400000_NS6detail17trampoline_kernelINS0_14default_configENS1_38merge_sort_block_merge_config_selectorIN3c104HalfElEEZZNS1_27merge_sort_block_merge_implIS3_PS6_N6thrust23THRUST_200600_302600_NS10device_ptrIlEEmNSB_4lessIS6_EEEE10hipError_tT0_T1_T2_jT3_P12ihipStream_tbPNSt15iterator_traitsISH_E10value_typeEPNSN_ISI_E10value_typeEPSJ_NS1_7vsmem_tEENKUlT_SH_SI_SJ_E_clIS9_S9_SD_PlEESG_SW_SH_SI_SJ_EUlSW_E1_NS1_11comp_targetILNS1_3genE8ELNS1_11target_archE1030ELNS1_3gpuE2ELNS1_3repE0EEENS1_36merge_oddeven_config_static_selectorELNS0_4arch9wavefront6targetE1EEEvSI_
	.p2align	8
	.type	_ZN7rocprim17ROCPRIM_400000_NS6detail17trampoline_kernelINS0_14default_configENS1_38merge_sort_block_merge_config_selectorIN3c104HalfElEEZZNS1_27merge_sort_block_merge_implIS3_PS6_N6thrust23THRUST_200600_302600_NS10device_ptrIlEEmNSB_4lessIS6_EEEE10hipError_tT0_T1_T2_jT3_P12ihipStream_tbPNSt15iterator_traitsISH_E10value_typeEPNSN_ISI_E10value_typeEPSJ_NS1_7vsmem_tEENKUlT_SH_SI_SJ_E_clIS9_S9_SD_PlEESG_SW_SH_SI_SJ_EUlSW_E1_NS1_11comp_targetILNS1_3genE8ELNS1_11target_archE1030ELNS1_3gpuE2ELNS1_3repE0EEENS1_36merge_oddeven_config_static_selectorELNS0_4arch9wavefront6targetE1EEEvSI_,@function
_ZN7rocprim17ROCPRIM_400000_NS6detail17trampoline_kernelINS0_14default_configENS1_38merge_sort_block_merge_config_selectorIN3c104HalfElEEZZNS1_27merge_sort_block_merge_implIS3_PS6_N6thrust23THRUST_200600_302600_NS10device_ptrIlEEmNSB_4lessIS6_EEEE10hipError_tT0_T1_T2_jT3_P12ihipStream_tbPNSt15iterator_traitsISH_E10value_typeEPNSN_ISI_E10value_typeEPSJ_NS1_7vsmem_tEENKUlT_SH_SI_SJ_E_clIS9_S9_SD_PlEESG_SW_SH_SI_SJ_EUlSW_E1_NS1_11comp_targetILNS1_3genE8ELNS1_11target_archE1030ELNS1_3gpuE2ELNS1_3repE0EEENS1_36merge_oddeven_config_static_selectorELNS0_4arch9wavefront6targetE1EEEvSI_: ; @_ZN7rocprim17ROCPRIM_400000_NS6detail17trampoline_kernelINS0_14default_configENS1_38merge_sort_block_merge_config_selectorIN3c104HalfElEEZZNS1_27merge_sort_block_merge_implIS3_PS6_N6thrust23THRUST_200600_302600_NS10device_ptrIlEEmNSB_4lessIS6_EEEE10hipError_tT0_T1_T2_jT3_P12ihipStream_tbPNSt15iterator_traitsISH_E10value_typeEPNSN_ISI_E10value_typeEPSJ_NS1_7vsmem_tEENKUlT_SH_SI_SJ_E_clIS9_S9_SD_PlEESG_SW_SH_SI_SJ_EUlSW_E1_NS1_11comp_targetILNS1_3genE8ELNS1_11target_archE1030ELNS1_3gpuE2ELNS1_3repE0EEENS1_36merge_oddeven_config_static_selectorELNS0_4arch9wavefront6targetE1EEEvSI_
; %bb.0:
	.section	.rodata,"a",@progbits
	.p2align	6, 0x0
	.amdhsa_kernel _ZN7rocprim17ROCPRIM_400000_NS6detail17trampoline_kernelINS0_14default_configENS1_38merge_sort_block_merge_config_selectorIN3c104HalfElEEZZNS1_27merge_sort_block_merge_implIS3_PS6_N6thrust23THRUST_200600_302600_NS10device_ptrIlEEmNSB_4lessIS6_EEEE10hipError_tT0_T1_T2_jT3_P12ihipStream_tbPNSt15iterator_traitsISH_E10value_typeEPNSN_ISI_E10value_typeEPSJ_NS1_7vsmem_tEENKUlT_SH_SI_SJ_E_clIS9_S9_SD_PlEESG_SW_SH_SI_SJ_EUlSW_E1_NS1_11comp_targetILNS1_3genE8ELNS1_11target_archE1030ELNS1_3gpuE2ELNS1_3repE0EEENS1_36merge_oddeven_config_static_selectorELNS0_4arch9wavefront6targetE1EEEvSI_
		.amdhsa_group_segment_fixed_size 0
		.amdhsa_private_segment_fixed_size 0
		.amdhsa_kernarg_size 56
		.amdhsa_user_sgpr_count 6
		.amdhsa_user_sgpr_private_segment_buffer 1
		.amdhsa_user_sgpr_dispatch_ptr 0
		.amdhsa_user_sgpr_queue_ptr 0
		.amdhsa_user_sgpr_kernarg_segment_ptr 1
		.amdhsa_user_sgpr_dispatch_id 0
		.amdhsa_user_sgpr_flat_scratch_init 0
		.amdhsa_user_sgpr_kernarg_preload_length 0
		.amdhsa_user_sgpr_kernarg_preload_offset 0
		.amdhsa_user_sgpr_private_segment_size 0
		.amdhsa_uses_dynamic_stack 0
		.amdhsa_system_sgpr_private_segment_wavefront_offset 0
		.amdhsa_system_sgpr_workgroup_id_x 1
		.amdhsa_system_sgpr_workgroup_id_y 0
		.amdhsa_system_sgpr_workgroup_id_z 0
		.amdhsa_system_sgpr_workgroup_info 0
		.amdhsa_system_vgpr_workitem_id 0
		.amdhsa_next_free_vgpr 1
		.amdhsa_next_free_sgpr 0
		.amdhsa_accum_offset 4
		.amdhsa_reserve_vcc 0
		.amdhsa_reserve_flat_scratch 0
		.amdhsa_float_round_mode_32 0
		.amdhsa_float_round_mode_16_64 0
		.amdhsa_float_denorm_mode_32 3
		.amdhsa_float_denorm_mode_16_64 3
		.amdhsa_dx10_clamp 1
		.amdhsa_ieee_mode 1
		.amdhsa_fp16_overflow 0
		.amdhsa_tg_split 0
		.amdhsa_exception_fp_ieee_invalid_op 0
		.amdhsa_exception_fp_denorm_src 0
		.amdhsa_exception_fp_ieee_div_zero 0
		.amdhsa_exception_fp_ieee_overflow 0
		.amdhsa_exception_fp_ieee_underflow 0
		.amdhsa_exception_fp_ieee_inexact 0
		.amdhsa_exception_int_div_zero 0
	.end_amdhsa_kernel
	.section	.text._ZN7rocprim17ROCPRIM_400000_NS6detail17trampoline_kernelINS0_14default_configENS1_38merge_sort_block_merge_config_selectorIN3c104HalfElEEZZNS1_27merge_sort_block_merge_implIS3_PS6_N6thrust23THRUST_200600_302600_NS10device_ptrIlEEmNSB_4lessIS6_EEEE10hipError_tT0_T1_T2_jT3_P12ihipStream_tbPNSt15iterator_traitsISH_E10value_typeEPNSN_ISI_E10value_typeEPSJ_NS1_7vsmem_tEENKUlT_SH_SI_SJ_E_clIS9_S9_SD_PlEESG_SW_SH_SI_SJ_EUlSW_E1_NS1_11comp_targetILNS1_3genE8ELNS1_11target_archE1030ELNS1_3gpuE2ELNS1_3repE0EEENS1_36merge_oddeven_config_static_selectorELNS0_4arch9wavefront6targetE1EEEvSI_,"axG",@progbits,_ZN7rocprim17ROCPRIM_400000_NS6detail17trampoline_kernelINS0_14default_configENS1_38merge_sort_block_merge_config_selectorIN3c104HalfElEEZZNS1_27merge_sort_block_merge_implIS3_PS6_N6thrust23THRUST_200600_302600_NS10device_ptrIlEEmNSB_4lessIS6_EEEE10hipError_tT0_T1_T2_jT3_P12ihipStream_tbPNSt15iterator_traitsISH_E10value_typeEPNSN_ISI_E10value_typeEPSJ_NS1_7vsmem_tEENKUlT_SH_SI_SJ_E_clIS9_S9_SD_PlEESG_SW_SH_SI_SJ_EUlSW_E1_NS1_11comp_targetILNS1_3genE8ELNS1_11target_archE1030ELNS1_3gpuE2ELNS1_3repE0EEENS1_36merge_oddeven_config_static_selectorELNS0_4arch9wavefront6targetE1EEEvSI_,comdat
.Lfunc_end2173:
	.size	_ZN7rocprim17ROCPRIM_400000_NS6detail17trampoline_kernelINS0_14default_configENS1_38merge_sort_block_merge_config_selectorIN3c104HalfElEEZZNS1_27merge_sort_block_merge_implIS3_PS6_N6thrust23THRUST_200600_302600_NS10device_ptrIlEEmNSB_4lessIS6_EEEE10hipError_tT0_T1_T2_jT3_P12ihipStream_tbPNSt15iterator_traitsISH_E10value_typeEPNSN_ISI_E10value_typeEPSJ_NS1_7vsmem_tEENKUlT_SH_SI_SJ_E_clIS9_S9_SD_PlEESG_SW_SH_SI_SJ_EUlSW_E1_NS1_11comp_targetILNS1_3genE8ELNS1_11target_archE1030ELNS1_3gpuE2ELNS1_3repE0EEENS1_36merge_oddeven_config_static_selectorELNS0_4arch9wavefront6targetE1EEEvSI_, .Lfunc_end2173-_ZN7rocprim17ROCPRIM_400000_NS6detail17trampoline_kernelINS0_14default_configENS1_38merge_sort_block_merge_config_selectorIN3c104HalfElEEZZNS1_27merge_sort_block_merge_implIS3_PS6_N6thrust23THRUST_200600_302600_NS10device_ptrIlEEmNSB_4lessIS6_EEEE10hipError_tT0_T1_T2_jT3_P12ihipStream_tbPNSt15iterator_traitsISH_E10value_typeEPNSN_ISI_E10value_typeEPSJ_NS1_7vsmem_tEENKUlT_SH_SI_SJ_E_clIS9_S9_SD_PlEESG_SW_SH_SI_SJ_EUlSW_E1_NS1_11comp_targetILNS1_3genE8ELNS1_11target_archE1030ELNS1_3gpuE2ELNS1_3repE0EEENS1_36merge_oddeven_config_static_selectorELNS0_4arch9wavefront6targetE1EEEvSI_
                                        ; -- End function
	.section	.AMDGPU.csdata,"",@progbits
; Kernel info:
; codeLenInByte = 0
; NumSgprs: 4
; NumVgprs: 0
; NumAgprs: 0
; TotalNumVgprs: 0
; ScratchSize: 0
; MemoryBound: 0
; FloatMode: 240
; IeeeMode: 1
; LDSByteSize: 0 bytes/workgroup (compile time only)
; SGPRBlocks: 0
; VGPRBlocks: 0
; NumSGPRsForWavesPerEU: 4
; NumVGPRsForWavesPerEU: 1
; AccumOffset: 4
; Occupancy: 8
; WaveLimiterHint : 0
; COMPUTE_PGM_RSRC2:SCRATCH_EN: 0
; COMPUTE_PGM_RSRC2:USER_SGPR: 6
; COMPUTE_PGM_RSRC2:TRAP_HANDLER: 0
; COMPUTE_PGM_RSRC2:TGID_X_EN: 1
; COMPUTE_PGM_RSRC2:TGID_Y_EN: 0
; COMPUTE_PGM_RSRC2:TGID_Z_EN: 0
; COMPUTE_PGM_RSRC2:TIDIG_COMP_CNT: 0
; COMPUTE_PGM_RSRC3_GFX90A:ACCUM_OFFSET: 0
; COMPUTE_PGM_RSRC3_GFX90A:TG_SPLIT: 0
	.section	.text._ZN7rocprim17ROCPRIM_400000_NS6detail17trampoline_kernelINS0_14default_configENS1_25transform_config_selectorIN3c104HalfELb1EEEZNS1_14transform_implILb1ES3_S7_PS6_S9_NS0_8identityIS6_EEEE10hipError_tT2_T3_mT4_P12ihipStream_tbEUlT_E_NS1_11comp_targetILNS1_3genE0ELNS1_11target_archE4294967295ELNS1_3gpuE0ELNS1_3repE0EEENS1_30default_config_static_selectorELNS0_4arch9wavefront6targetE1EEEvT1_,"axG",@progbits,_ZN7rocprim17ROCPRIM_400000_NS6detail17trampoline_kernelINS0_14default_configENS1_25transform_config_selectorIN3c104HalfELb1EEEZNS1_14transform_implILb1ES3_S7_PS6_S9_NS0_8identityIS6_EEEE10hipError_tT2_T3_mT4_P12ihipStream_tbEUlT_E_NS1_11comp_targetILNS1_3genE0ELNS1_11target_archE4294967295ELNS1_3gpuE0ELNS1_3repE0EEENS1_30default_config_static_selectorELNS0_4arch9wavefront6targetE1EEEvT1_,comdat
	.protected	_ZN7rocprim17ROCPRIM_400000_NS6detail17trampoline_kernelINS0_14default_configENS1_25transform_config_selectorIN3c104HalfELb1EEEZNS1_14transform_implILb1ES3_S7_PS6_S9_NS0_8identityIS6_EEEE10hipError_tT2_T3_mT4_P12ihipStream_tbEUlT_E_NS1_11comp_targetILNS1_3genE0ELNS1_11target_archE4294967295ELNS1_3gpuE0ELNS1_3repE0EEENS1_30default_config_static_selectorELNS0_4arch9wavefront6targetE1EEEvT1_ ; -- Begin function _ZN7rocprim17ROCPRIM_400000_NS6detail17trampoline_kernelINS0_14default_configENS1_25transform_config_selectorIN3c104HalfELb1EEEZNS1_14transform_implILb1ES3_S7_PS6_S9_NS0_8identityIS6_EEEE10hipError_tT2_T3_mT4_P12ihipStream_tbEUlT_E_NS1_11comp_targetILNS1_3genE0ELNS1_11target_archE4294967295ELNS1_3gpuE0ELNS1_3repE0EEENS1_30default_config_static_selectorELNS0_4arch9wavefront6targetE1EEEvT1_
	.globl	_ZN7rocprim17ROCPRIM_400000_NS6detail17trampoline_kernelINS0_14default_configENS1_25transform_config_selectorIN3c104HalfELb1EEEZNS1_14transform_implILb1ES3_S7_PS6_S9_NS0_8identityIS6_EEEE10hipError_tT2_T3_mT4_P12ihipStream_tbEUlT_E_NS1_11comp_targetILNS1_3genE0ELNS1_11target_archE4294967295ELNS1_3gpuE0ELNS1_3repE0EEENS1_30default_config_static_selectorELNS0_4arch9wavefront6targetE1EEEvT1_
	.p2align	8
	.type	_ZN7rocprim17ROCPRIM_400000_NS6detail17trampoline_kernelINS0_14default_configENS1_25transform_config_selectorIN3c104HalfELb1EEEZNS1_14transform_implILb1ES3_S7_PS6_S9_NS0_8identityIS6_EEEE10hipError_tT2_T3_mT4_P12ihipStream_tbEUlT_E_NS1_11comp_targetILNS1_3genE0ELNS1_11target_archE4294967295ELNS1_3gpuE0ELNS1_3repE0EEENS1_30default_config_static_selectorELNS0_4arch9wavefront6targetE1EEEvT1_,@function
_ZN7rocprim17ROCPRIM_400000_NS6detail17trampoline_kernelINS0_14default_configENS1_25transform_config_selectorIN3c104HalfELb1EEEZNS1_14transform_implILb1ES3_S7_PS6_S9_NS0_8identityIS6_EEEE10hipError_tT2_T3_mT4_P12ihipStream_tbEUlT_E_NS1_11comp_targetILNS1_3genE0ELNS1_11target_archE4294967295ELNS1_3gpuE0ELNS1_3repE0EEENS1_30default_config_static_selectorELNS0_4arch9wavefront6targetE1EEEvT1_: ; @_ZN7rocprim17ROCPRIM_400000_NS6detail17trampoline_kernelINS0_14default_configENS1_25transform_config_selectorIN3c104HalfELb1EEEZNS1_14transform_implILb1ES3_S7_PS6_S9_NS0_8identityIS6_EEEE10hipError_tT2_T3_mT4_P12ihipStream_tbEUlT_E_NS1_11comp_targetILNS1_3genE0ELNS1_11target_archE4294967295ELNS1_3gpuE0ELNS1_3repE0EEENS1_30default_config_static_selectorELNS0_4arch9wavefront6targetE1EEEvT1_
; %bb.0:
	.section	.rodata,"a",@progbits
	.p2align	6, 0x0
	.amdhsa_kernel _ZN7rocprim17ROCPRIM_400000_NS6detail17trampoline_kernelINS0_14default_configENS1_25transform_config_selectorIN3c104HalfELb1EEEZNS1_14transform_implILb1ES3_S7_PS6_S9_NS0_8identityIS6_EEEE10hipError_tT2_T3_mT4_P12ihipStream_tbEUlT_E_NS1_11comp_targetILNS1_3genE0ELNS1_11target_archE4294967295ELNS1_3gpuE0ELNS1_3repE0EEENS1_30default_config_static_selectorELNS0_4arch9wavefront6targetE1EEEvT1_
		.amdhsa_group_segment_fixed_size 0
		.amdhsa_private_segment_fixed_size 0
		.amdhsa_kernarg_size 40
		.amdhsa_user_sgpr_count 6
		.amdhsa_user_sgpr_private_segment_buffer 1
		.amdhsa_user_sgpr_dispatch_ptr 0
		.amdhsa_user_sgpr_queue_ptr 0
		.amdhsa_user_sgpr_kernarg_segment_ptr 1
		.amdhsa_user_sgpr_dispatch_id 0
		.amdhsa_user_sgpr_flat_scratch_init 0
		.amdhsa_user_sgpr_kernarg_preload_length 0
		.amdhsa_user_sgpr_kernarg_preload_offset 0
		.amdhsa_user_sgpr_private_segment_size 0
		.amdhsa_uses_dynamic_stack 0
		.amdhsa_system_sgpr_private_segment_wavefront_offset 0
		.amdhsa_system_sgpr_workgroup_id_x 1
		.amdhsa_system_sgpr_workgroup_id_y 0
		.amdhsa_system_sgpr_workgroup_id_z 0
		.amdhsa_system_sgpr_workgroup_info 0
		.amdhsa_system_vgpr_workitem_id 0
		.amdhsa_next_free_vgpr 1
		.amdhsa_next_free_sgpr 0
		.amdhsa_accum_offset 4
		.amdhsa_reserve_vcc 0
		.amdhsa_reserve_flat_scratch 0
		.amdhsa_float_round_mode_32 0
		.amdhsa_float_round_mode_16_64 0
		.amdhsa_float_denorm_mode_32 3
		.amdhsa_float_denorm_mode_16_64 3
		.amdhsa_dx10_clamp 1
		.amdhsa_ieee_mode 1
		.amdhsa_fp16_overflow 0
		.amdhsa_tg_split 0
		.amdhsa_exception_fp_ieee_invalid_op 0
		.amdhsa_exception_fp_denorm_src 0
		.amdhsa_exception_fp_ieee_div_zero 0
		.amdhsa_exception_fp_ieee_overflow 0
		.amdhsa_exception_fp_ieee_underflow 0
		.amdhsa_exception_fp_ieee_inexact 0
		.amdhsa_exception_int_div_zero 0
	.end_amdhsa_kernel
	.section	.text._ZN7rocprim17ROCPRIM_400000_NS6detail17trampoline_kernelINS0_14default_configENS1_25transform_config_selectorIN3c104HalfELb1EEEZNS1_14transform_implILb1ES3_S7_PS6_S9_NS0_8identityIS6_EEEE10hipError_tT2_T3_mT4_P12ihipStream_tbEUlT_E_NS1_11comp_targetILNS1_3genE0ELNS1_11target_archE4294967295ELNS1_3gpuE0ELNS1_3repE0EEENS1_30default_config_static_selectorELNS0_4arch9wavefront6targetE1EEEvT1_,"axG",@progbits,_ZN7rocprim17ROCPRIM_400000_NS6detail17trampoline_kernelINS0_14default_configENS1_25transform_config_selectorIN3c104HalfELb1EEEZNS1_14transform_implILb1ES3_S7_PS6_S9_NS0_8identityIS6_EEEE10hipError_tT2_T3_mT4_P12ihipStream_tbEUlT_E_NS1_11comp_targetILNS1_3genE0ELNS1_11target_archE4294967295ELNS1_3gpuE0ELNS1_3repE0EEENS1_30default_config_static_selectorELNS0_4arch9wavefront6targetE1EEEvT1_,comdat
.Lfunc_end2174:
	.size	_ZN7rocprim17ROCPRIM_400000_NS6detail17trampoline_kernelINS0_14default_configENS1_25transform_config_selectorIN3c104HalfELb1EEEZNS1_14transform_implILb1ES3_S7_PS6_S9_NS0_8identityIS6_EEEE10hipError_tT2_T3_mT4_P12ihipStream_tbEUlT_E_NS1_11comp_targetILNS1_3genE0ELNS1_11target_archE4294967295ELNS1_3gpuE0ELNS1_3repE0EEENS1_30default_config_static_selectorELNS0_4arch9wavefront6targetE1EEEvT1_, .Lfunc_end2174-_ZN7rocprim17ROCPRIM_400000_NS6detail17trampoline_kernelINS0_14default_configENS1_25transform_config_selectorIN3c104HalfELb1EEEZNS1_14transform_implILb1ES3_S7_PS6_S9_NS0_8identityIS6_EEEE10hipError_tT2_T3_mT4_P12ihipStream_tbEUlT_E_NS1_11comp_targetILNS1_3genE0ELNS1_11target_archE4294967295ELNS1_3gpuE0ELNS1_3repE0EEENS1_30default_config_static_selectorELNS0_4arch9wavefront6targetE1EEEvT1_
                                        ; -- End function
	.section	.AMDGPU.csdata,"",@progbits
; Kernel info:
; codeLenInByte = 0
; NumSgprs: 4
; NumVgprs: 0
; NumAgprs: 0
; TotalNumVgprs: 0
; ScratchSize: 0
; MemoryBound: 0
; FloatMode: 240
; IeeeMode: 1
; LDSByteSize: 0 bytes/workgroup (compile time only)
; SGPRBlocks: 0
; VGPRBlocks: 0
; NumSGPRsForWavesPerEU: 4
; NumVGPRsForWavesPerEU: 1
; AccumOffset: 4
; Occupancy: 8
; WaveLimiterHint : 0
; COMPUTE_PGM_RSRC2:SCRATCH_EN: 0
; COMPUTE_PGM_RSRC2:USER_SGPR: 6
; COMPUTE_PGM_RSRC2:TRAP_HANDLER: 0
; COMPUTE_PGM_RSRC2:TGID_X_EN: 1
; COMPUTE_PGM_RSRC2:TGID_Y_EN: 0
; COMPUTE_PGM_RSRC2:TGID_Z_EN: 0
; COMPUTE_PGM_RSRC2:TIDIG_COMP_CNT: 0
; COMPUTE_PGM_RSRC3_GFX90A:ACCUM_OFFSET: 0
; COMPUTE_PGM_RSRC3_GFX90A:TG_SPLIT: 0
	.section	.text._ZN7rocprim17ROCPRIM_400000_NS6detail17trampoline_kernelINS0_14default_configENS1_25transform_config_selectorIN3c104HalfELb1EEEZNS1_14transform_implILb1ES3_S7_PS6_S9_NS0_8identityIS6_EEEE10hipError_tT2_T3_mT4_P12ihipStream_tbEUlT_E_NS1_11comp_targetILNS1_3genE10ELNS1_11target_archE1201ELNS1_3gpuE5ELNS1_3repE0EEENS1_30default_config_static_selectorELNS0_4arch9wavefront6targetE1EEEvT1_,"axG",@progbits,_ZN7rocprim17ROCPRIM_400000_NS6detail17trampoline_kernelINS0_14default_configENS1_25transform_config_selectorIN3c104HalfELb1EEEZNS1_14transform_implILb1ES3_S7_PS6_S9_NS0_8identityIS6_EEEE10hipError_tT2_T3_mT4_P12ihipStream_tbEUlT_E_NS1_11comp_targetILNS1_3genE10ELNS1_11target_archE1201ELNS1_3gpuE5ELNS1_3repE0EEENS1_30default_config_static_selectorELNS0_4arch9wavefront6targetE1EEEvT1_,comdat
	.protected	_ZN7rocprim17ROCPRIM_400000_NS6detail17trampoline_kernelINS0_14default_configENS1_25transform_config_selectorIN3c104HalfELb1EEEZNS1_14transform_implILb1ES3_S7_PS6_S9_NS0_8identityIS6_EEEE10hipError_tT2_T3_mT4_P12ihipStream_tbEUlT_E_NS1_11comp_targetILNS1_3genE10ELNS1_11target_archE1201ELNS1_3gpuE5ELNS1_3repE0EEENS1_30default_config_static_selectorELNS0_4arch9wavefront6targetE1EEEvT1_ ; -- Begin function _ZN7rocprim17ROCPRIM_400000_NS6detail17trampoline_kernelINS0_14default_configENS1_25transform_config_selectorIN3c104HalfELb1EEEZNS1_14transform_implILb1ES3_S7_PS6_S9_NS0_8identityIS6_EEEE10hipError_tT2_T3_mT4_P12ihipStream_tbEUlT_E_NS1_11comp_targetILNS1_3genE10ELNS1_11target_archE1201ELNS1_3gpuE5ELNS1_3repE0EEENS1_30default_config_static_selectorELNS0_4arch9wavefront6targetE1EEEvT1_
	.globl	_ZN7rocprim17ROCPRIM_400000_NS6detail17trampoline_kernelINS0_14default_configENS1_25transform_config_selectorIN3c104HalfELb1EEEZNS1_14transform_implILb1ES3_S7_PS6_S9_NS0_8identityIS6_EEEE10hipError_tT2_T3_mT4_P12ihipStream_tbEUlT_E_NS1_11comp_targetILNS1_3genE10ELNS1_11target_archE1201ELNS1_3gpuE5ELNS1_3repE0EEENS1_30default_config_static_selectorELNS0_4arch9wavefront6targetE1EEEvT1_
	.p2align	8
	.type	_ZN7rocprim17ROCPRIM_400000_NS6detail17trampoline_kernelINS0_14default_configENS1_25transform_config_selectorIN3c104HalfELb1EEEZNS1_14transform_implILb1ES3_S7_PS6_S9_NS0_8identityIS6_EEEE10hipError_tT2_T3_mT4_P12ihipStream_tbEUlT_E_NS1_11comp_targetILNS1_3genE10ELNS1_11target_archE1201ELNS1_3gpuE5ELNS1_3repE0EEENS1_30default_config_static_selectorELNS0_4arch9wavefront6targetE1EEEvT1_,@function
_ZN7rocprim17ROCPRIM_400000_NS6detail17trampoline_kernelINS0_14default_configENS1_25transform_config_selectorIN3c104HalfELb1EEEZNS1_14transform_implILb1ES3_S7_PS6_S9_NS0_8identityIS6_EEEE10hipError_tT2_T3_mT4_P12ihipStream_tbEUlT_E_NS1_11comp_targetILNS1_3genE10ELNS1_11target_archE1201ELNS1_3gpuE5ELNS1_3repE0EEENS1_30default_config_static_selectorELNS0_4arch9wavefront6targetE1EEEvT1_: ; @_ZN7rocprim17ROCPRIM_400000_NS6detail17trampoline_kernelINS0_14default_configENS1_25transform_config_selectorIN3c104HalfELb1EEEZNS1_14transform_implILb1ES3_S7_PS6_S9_NS0_8identityIS6_EEEE10hipError_tT2_T3_mT4_P12ihipStream_tbEUlT_E_NS1_11comp_targetILNS1_3genE10ELNS1_11target_archE1201ELNS1_3gpuE5ELNS1_3repE0EEENS1_30default_config_static_selectorELNS0_4arch9wavefront6targetE1EEEvT1_
; %bb.0:
	.section	.rodata,"a",@progbits
	.p2align	6, 0x0
	.amdhsa_kernel _ZN7rocprim17ROCPRIM_400000_NS6detail17trampoline_kernelINS0_14default_configENS1_25transform_config_selectorIN3c104HalfELb1EEEZNS1_14transform_implILb1ES3_S7_PS6_S9_NS0_8identityIS6_EEEE10hipError_tT2_T3_mT4_P12ihipStream_tbEUlT_E_NS1_11comp_targetILNS1_3genE10ELNS1_11target_archE1201ELNS1_3gpuE5ELNS1_3repE0EEENS1_30default_config_static_selectorELNS0_4arch9wavefront6targetE1EEEvT1_
		.amdhsa_group_segment_fixed_size 0
		.amdhsa_private_segment_fixed_size 0
		.amdhsa_kernarg_size 40
		.amdhsa_user_sgpr_count 6
		.amdhsa_user_sgpr_private_segment_buffer 1
		.amdhsa_user_sgpr_dispatch_ptr 0
		.amdhsa_user_sgpr_queue_ptr 0
		.amdhsa_user_sgpr_kernarg_segment_ptr 1
		.amdhsa_user_sgpr_dispatch_id 0
		.amdhsa_user_sgpr_flat_scratch_init 0
		.amdhsa_user_sgpr_kernarg_preload_length 0
		.amdhsa_user_sgpr_kernarg_preload_offset 0
		.amdhsa_user_sgpr_private_segment_size 0
		.amdhsa_uses_dynamic_stack 0
		.amdhsa_system_sgpr_private_segment_wavefront_offset 0
		.amdhsa_system_sgpr_workgroup_id_x 1
		.amdhsa_system_sgpr_workgroup_id_y 0
		.amdhsa_system_sgpr_workgroup_id_z 0
		.amdhsa_system_sgpr_workgroup_info 0
		.amdhsa_system_vgpr_workitem_id 0
		.amdhsa_next_free_vgpr 1
		.amdhsa_next_free_sgpr 0
		.amdhsa_accum_offset 4
		.amdhsa_reserve_vcc 0
		.amdhsa_reserve_flat_scratch 0
		.amdhsa_float_round_mode_32 0
		.amdhsa_float_round_mode_16_64 0
		.amdhsa_float_denorm_mode_32 3
		.amdhsa_float_denorm_mode_16_64 3
		.amdhsa_dx10_clamp 1
		.amdhsa_ieee_mode 1
		.amdhsa_fp16_overflow 0
		.amdhsa_tg_split 0
		.amdhsa_exception_fp_ieee_invalid_op 0
		.amdhsa_exception_fp_denorm_src 0
		.amdhsa_exception_fp_ieee_div_zero 0
		.amdhsa_exception_fp_ieee_overflow 0
		.amdhsa_exception_fp_ieee_underflow 0
		.amdhsa_exception_fp_ieee_inexact 0
		.amdhsa_exception_int_div_zero 0
	.end_amdhsa_kernel
	.section	.text._ZN7rocprim17ROCPRIM_400000_NS6detail17trampoline_kernelINS0_14default_configENS1_25transform_config_selectorIN3c104HalfELb1EEEZNS1_14transform_implILb1ES3_S7_PS6_S9_NS0_8identityIS6_EEEE10hipError_tT2_T3_mT4_P12ihipStream_tbEUlT_E_NS1_11comp_targetILNS1_3genE10ELNS1_11target_archE1201ELNS1_3gpuE5ELNS1_3repE0EEENS1_30default_config_static_selectorELNS0_4arch9wavefront6targetE1EEEvT1_,"axG",@progbits,_ZN7rocprim17ROCPRIM_400000_NS6detail17trampoline_kernelINS0_14default_configENS1_25transform_config_selectorIN3c104HalfELb1EEEZNS1_14transform_implILb1ES3_S7_PS6_S9_NS0_8identityIS6_EEEE10hipError_tT2_T3_mT4_P12ihipStream_tbEUlT_E_NS1_11comp_targetILNS1_3genE10ELNS1_11target_archE1201ELNS1_3gpuE5ELNS1_3repE0EEENS1_30default_config_static_selectorELNS0_4arch9wavefront6targetE1EEEvT1_,comdat
.Lfunc_end2175:
	.size	_ZN7rocprim17ROCPRIM_400000_NS6detail17trampoline_kernelINS0_14default_configENS1_25transform_config_selectorIN3c104HalfELb1EEEZNS1_14transform_implILb1ES3_S7_PS6_S9_NS0_8identityIS6_EEEE10hipError_tT2_T3_mT4_P12ihipStream_tbEUlT_E_NS1_11comp_targetILNS1_3genE10ELNS1_11target_archE1201ELNS1_3gpuE5ELNS1_3repE0EEENS1_30default_config_static_selectorELNS0_4arch9wavefront6targetE1EEEvT1_, .Lfunc_end2175-_ZN7rocprim17ROCPRIM_400000_NS6detail17trampoline_kernelINS0_14default_configENS1_25transform_config_selectorIN3c104HalfELb1EEEZNS1_14transform_implILb1ES3_S7_PS6_S9_NS0_8identityIS6_EEEE10hipError_tT2_T3_mT4_P12ihipStream_tbEUlT_E_NS1_11comp_targetILNS1_3genE10ELNS1_11target_archE1201ELNS1_3gpuE5ELNS1_3repE0EEENS1_30default_config_static_selectorELNS0_4arch9wavefront6targetE1EEEvT1_
                                        ; -- End function
	.section	.AMDGPU.csdata,"",@progbits
; Kernel info:
; codeLenInByte = 0
; NumSgprs: 4
; NumVgprs: 0
; NumAgprs: 0
; TotalNumVgprs: 0
; ScratchSize: 0
; MemoryBound: 0
; FloatMode: 240
; IeeeMode: 1
; LDSByteSize: 0 bytes/workgroup (compile time only)
; SGPRBlocks: 0
; VGPRBlocks: 0
; NumSGPRsForWavesPerEU: 4
; NumVGPRsForWavesPerEU: 1
; AccumOffset: 4
; Occupancy: 8
; WaveLimiterHint : 0
; COMPUTE_PGM_RSRC2:SCRATCH_EN: 0
; COMPUTE_PGM_RSRC2:USER_SGPR: 6
; COMPUTE_PGM_RSRC2:TRAP_HANDLER: 0
; COMPUTE_PGM_RSRC2:TGID_X_EN: 1
; COMPUTE_PGM_RSRC2:TGID_Y_EN: 0
; COMPUTE_PGM_RSRC2:TGID_Z_EN: 0
; COMPUTE_PGM_RSRC2:TIDIG_COMP_CNT: 0
; COMPUTE_PGM_RSRC3_GFX90A:ACCUM_OFFSET: 0
; COMPUTE_PGM_RSRC3_GFX90A:TG_SPLIT: 0
	.section	.text._ZN7rocprim17ROCPRIM_400000_NS6detail17trampoline_kernelINS0_14default_configENS1_25transform_config_selectorIN3c104HalfELb1EEEZNS1_14transform_implILb1ES3_S7_PS6_S9_NS0_8identityIS6_EEEE10hipError_tT2_T3_mT4_P12ihipStream_tbEUlT_E_NS1_11comp_targetILNS1_3genE5ELNS1_11target_archE942ELNS1_3gpuE9ELNS1_3repE0EEENS1_30default_config_static_selectorELNS0_4arch9wavefront6targetE1EEEvT1_,"axG",@progbits,_ZN7rocprim17ROCPRIM_400000_NS6detail17trampoline_kernelINS0_14default_configENS1_25transform_config_selectorIN3c104HalfELb1EEEZNS1_14transform_implILb1ES3_S7_PS6_S9_NS0_8identityIS6_EEEE10hipError_tT2_T3_mT4_P12ihipStream_tbEUlT_E_NS1_11comp_targetILNS1_3genE5ELNS1_11target_archE942ELNS1_3gpuE9ELNS1_3repE0EEENS1_30default_config_static_selectorELNS0_4arch9wavefront6targetE1EEEvT1_,comdat
	.protected	_ZN7rocprim17ROCPRIM_400000_NS6detail17trampoline_kernelINS0_14default_configENS1_25transform_config_selectorIN3c104HalfELb1EEEZNS1_14transform_implILb1ES3_S7_PS6_S9_NS0_8identityIS6_EEEE10hipError_tT2_T3_mT4_P12ihipStream_tbEUlT_E_NS1_11comp_targetILNS1_3genE5ELNS1_11target_archE942ELNS1_3gpuE9ELNS1_3repE0EEENS1_30default_config_static_selectorELNS0_4arch9wavefront6targetE1EEEvT1_ ; -- Begin function _ZN7rocprim17ROCPRIM_400000_NS6detail17trampoline_kernelINS0_14default_configENS1_25transform_config_selectorIN3c104HalfELb1EEEZNS1_14transform_implILb1ES3_S7_PS6_S9_NS0_8identityIS6_EEEE10hipError_tT2_T3_mT4_P12ihipStream_tbEUlT_E_NS1_11comp_targetILNS1_3genE5ELNS1_11target_archE942ELNS1_3gpuE9ELNS1_3repE0EEENS1_30default_config_static_selectorELNS0_4arch9wavefront6targetE1EEEvT1_
	.globl	_ZN7rocprim17ROCPRIM_400000_NS6detail17trampoline_kernelINS0_14default_configENS1_25transform_config_selectorIN3c104HalfELb1EEEZNS1_14transform_implILb1ES3_S7_PS6_S9_NS0_8identityIS6_EEEE10hipError_tT2_T3_mT4_P12ihipStream_tbEUlT_E_NS1_11comp_targetILNS1_3genE5ELNS1_11target_archE942ELNS1_3gpuE9ELNS1_3repE0EEENS1_30default_config_static_selectorELNS0_4arch9wavefront6targetE1EEEvT1_
	.p2align	8
	.type	_ZN7rocprim17ROCPRIM_400000_NS6detail17trampoline_kernelINS0_14default_configENS1_25transform_config_selectorIN3c104HalfELb1EEEZNS1_14transform_implILb1ES3_S7_PS6_S9_NS0_8identityIS6_EEEE10hipError_tT2_T3_mT4_P12ihipStream_tbEUlT_E_NS1_11comp_targetILNS1_3genE5ELNS1_11target_archE942ELNS1_3gpuE9ELNS1_3repE0EEENS1_30default_config_static_selectorELNS0_4arch9wavefront6targetE1EEEvT1_,@function
_ZN7rocprim17ROCPRIM_400000_NS6detail17trampoline_kernelINS0_14default_configENS1_25transform_config_selectorIN3c104HalfELb1EEEZNS1_14transform_implILb1ES3_S7_PS6_S9_NS0_8identityIS6_EEEE10hipError_tT2_T3_mT4_P12ihipStream_tbEUlT_E_NS1_11comp_targetILNS1_3genE5ELNS1_11target_archE942ELNS1_3gpuE9ELNS1_3repE0EEENS1_30default_config_static_selectorELNS0_4arch9wavefront6targetE1EEEvT1_: ; @_ZN7rocprim17ROCPRIM_400000_NS6detail17trampoline_kernelINS0_14default_configENS1_25transform_config_selectorIN3c104HalfELb1EEEZNS1_14transform_implILb1ES3_S7_PS6_S9_NS0_8identityIS6_EEEE10hipError_tT2_T3_mT4_P12ihipStream_tbEUlT_E_NS1_11comp_targetILNS1_3genE5ELNS1_11target_archE942ELNS1_3gpuE9ELNS1_3repE0EEENS1_30default_config_static_selectorELNS0_4arch9wavefront6targetE1EEEvT1_
; %bb.0:
	.section	.rodata,"a",@progbits
	.p2align	6, 0x0
	.amdhsa_kernel _ZN7rocprim17ROCPRIM_400000_NS6detail17trampoline_kernelINS0_14default_configENS1_25transform_config_selectorIN3c104HalfELb1EEEZNS1_14transform_implILb1ES3_S7_PS6_S9_NS0_8identityIS6_EEEE10hipError_tT2_T3_mT4_P12ihipStream_tbEUlT_E_NS1_11comp_targetILNS1_3genE5ELNS1_11target_archE942ELNS1_3gpuE9ELNS1_3repE0EEENS1_30default_config_static_selectorELNS0_4arch9wavefront6targetE1EEEvT1_
		.amdhsa_group_segment_fixed_size 0
		.amdhsa_private_segment_fixed_size 0
		.amdhsa_kernarg_size 40
		.amdhsa_user_sgpr_count 6
		.amdhsa_user_sgpr_private_segment_buffer 1
		.amdhsa_user_sgpr_dispatch_ptr 0
		.amdhsa_user_sgpr_queue_ptr 0
		.amdhsa_user_sgpr_kernarg_segment_ptr 1
		.amdhsa_user_sgpr_dispatch_id 0
		.amdhsa_user_sgpr_flat_scratch_init 0
		.amdhsa_user_sgpr_kernarg_preload_length 0
		.amdhsa_user_sgpr_kernarg_preload_offset 0
		.amdhsa_user_sgpr_private_segment_size 0
		.amdhsa_uses_dynamic_stack 0
		.amdhsa_system_sgpr_private_segment_wavefront_offset 0
		.amdhsa_system_sgpr_workgroup_id_x 1
		.amdhsa_system_sgpr_workgroup_id_y 0
		.amdhsa_system_sgpr_workgroup_id_z 0
		.amdhsa_system_sgpr_workgroup_info 0
		.amdhsa_system_vgpr_workitem_id 0
		.amdhsa_next_free_vgpr 1
		.amdhsa_next_free_sgpr 0
		.amdhsa_accum_offset 4
		.amdhsa_reserve_vcc 0
		.amdhsa_reserve_flat_scratch 0
		.amdhsa_float_round_mode_32 0
		.amdhsa_float_round_mode_16_64 0
		.amdhsa_float_denorm_mode_32 3
		.amdhsa_float_denorm_mode_16_64 3
		.amdhsa_dx10_clamp 1
		.amdhsa_ieee_mode 1
		.amdhsa_fp16_overflow 0
		.amdhsa_tg_split 0
		.amdhsa_exception_fp_ieee_invalid_op 0
		.amdhsa_exception_fp_denorm_src 0
		.amdhsa_exception_fp_ieee_div_zero 0
		.amdhsa_exception_fp_ieee_overflow 0
		.amdhsa_exception_fp_ieee_underflow 0
		.amdhsa_exception_fp_ieee_inexact 0
		.amdhsa_exception_int_div_zero 0
	.end_amdhsa_kernel
	.section	.text._ZN7rocprim17ROCPRIM_400000_NS6detail17trampoline_kernelINS0_14default_configENS1_25transform_config_selectorIN3c104HalfELb1EEEZNS1_14transform_implILb1ES3_S7_PS6_S9_NS0_8identityIS6_EEEE10hipError_tT2_T3_mT4_P12ihipStream_tbEUlT_E_NS1_11comp_targetILNS1_3genE5ELNS1_11target_archE942ELNS1_3gpuE9ELNS1_3repE0EEENS1_30default_config_static_selectorELNS0_4arch9wavefront6targetE1EEEvT1_,"axG",@progbits,_ZN7rocprim17ROCPRIM_400000_NS6detail17trampoline_kernelINS0_14default_configENS1_25transform_config_selectorIN3c104HalfELb1EEEZNS1_14transform_implILb1ES3_S7_PS6_S9_NS0_8identityIS6_EEEE10hipError_tT2_T3_mT4_P12ihipStream_tbEUlT_E_NS1_11comp_targetILNS1_3genE5ELNS1_11target_archE942ELNS1_3gpuE9ELNS1_3repE0EEENS1_30default_config_static_selectorELNS0_4arch9wavefront6targetE1EEEvT1_,comdat
.Lfunc_end2176:
	.size	_ZN7rocprim17ROCPRIM_400000_NS6detail17trampoline_kernelINS0_14default_configENS1_25transform_config_selectorIN3c104HalfELb1EEEZNS1_14transform_implILb1ES3_S7_PS6_S9_NS0_8identityIS6_EEEE10hipError_tT2_T3_mT4_P12ihipStream_tbEUlT_E_NS1_11comp_targetILNS1_3genE5ELNS1_11target_archE942ELNS1_3gpuE9ELNS1_3repE0EEENS1_30default_config_static_selectorELNS0_4arch9wavefront6targetE1EEEvT1_, .Lfunc_end2176-_ZN7rocprim17ROCPRIM_400000_NS6detail17trampoline_kernelINS0_14default_configENS1_25transform_config_selectorIN3c104HalfELb1EEEZNS1_14transform_implILb1ES3_S7_PS6_S9_NS0_8identityIS6_EEEE10hipError_tT2_T3_mT4_P12ihipStream_tbEUlT_E_NS1_11comp_targetILNS1_3genE5ELNS1_11target_archE942ELNS1_3gpuE9ELNS1_3repE0EEENS1_30default_config_static_selectorELNS0_4arch9wavefront6targetE1EEEvT1_
                                        ; -- End function
	.section	.AMDGPU.csdata,"",@progbits
; Kernel info:
; codeLenInByte = 0
; NumSgprs: 4
; NumVgprs: 0
; NumAgprs: 0
; TotalNumVgprs: 0
; ScratchSize: 0
; MemoryBound: 0
; FloatMode: 240
; IeeeMode: 1
; LDSByteSize: 0 bytes/workgroup (compile time only)
; SGPRBlocks: 0
; VGPRBlocks: 0
; NumSGPRsForWavesPerEU: 4
; NumVGPRsForWavesPerEU: 1
; AccumOffset: 4
; Occupancy: 8
; WaveLimiterHint : 0
; COMPUTE_PGM_RSRC2:SCRATCH_EN: 0
; COMPUTE_PGM_RSRC2:USER_SGPR: 6
; COMPUTE_PGM_RSRC2:TRAP_HANDLER: 0
; COMPUTE_PGM_RSRC2:TGID_X_EN: 1
; COMPUTE_PGM_RSRC2:TGID_Y_EN: 0
; COMPUTE_PGM_RSRC2:TGID_Z_EN: 0
; COMPUTE_PGM_RSRC2:TIDIG_COMP_CNT: 0
; COMPUTE_PGM_RSRC3_GFX90A:ACCUM_OFFSET: 0
; COMPUTE_PGM_RSRC3_GFX90A:TG_SPLIT: 0
	.section	.text._ZN7rocprim17ROCPRIM_400000_NS6detail17trampoline_kernelINS0_14default_configENS1_25transform_config_selectorIN3c104HalfELb1EEEZNS1_14transform_implILb1ES3_S7_PS6_S9_NS0_8identityIS6_EEEE10hipError_tT2_T3_mT4_P12ihipStream_tbEUlT_E_NS1_11comp_targetILNS1_3genE4ELNS1_11target_archE910ELNS1_3gpuE8ELNS1_3repE0EEENS1_30default_config_static_selectorELNS0_4arch9wavefront6targetE1EEEvT1_,"axG",@progbits,_ZN7rocprim17ROCPRIM_400000_NS6detail17trampoline_kernelINS0_14default_configENS1_25transform_config_selectorIN3c104HalfELb1EEEZNS1_14transform_implILb1ES3_S7_PS6_S9_NS0_8identityIS6_EEEE10hipError_tT2_T3_mT4_P12ihipStream_tbEUlT_E_NS1_11comp_targetILNS1_3genE4ELNS1_11target_archE910ELNS1_3gpuE8ELNS1_3repE0EEENS1_30default_config_static_selectorELNS0_4arch9wavefront6targetE1EEEvT1_,comdat
	.protected	_ZN7rocprim17ROCPRIM_400000_NS6detail17trampoline_kernelINS0_14default_configENS1_25transform_config_selectorIN3c104HalfELb1EEEZNS1_14transform_implILb1ES3_S7_PS6_S9_NS0_8identityIS6_EEEE10hipError_tT2_T3_mT4_P12ihipStream_tbEUlT_E_NS1_11comp_targetILNS1_3genE4ELNS1_11target_archE910ELNS1_3gpuE8ELNS1_3repE0EEENS1_30default_config_static_selectorELNS0_4arch9wavefront6targetE1EEEvT1_ ; -- Begin function _ZN7rocprim17ROCPRIM_400000_NS6detail17trampoline_kernelINS0_14default_configENS1_25transform_config_selectorIN3c104HalfELb1EEEZNS1_14transform_implILb1ES3_S7_PS6_S9_NS0_8identityIS6_EEEE10hipError_tT2_T3_mT4_P12ihipStream_tbEUlT_E_NS1_11comp_targetILNS1_3genE4ELNS1_11target_archE910ELNS1_3gpuE8ELNS1_3repE0EEENS1_30default_config_static_selectorELNS0_4arch9wavefront6targetE1EEEvT1_
	.globl	_ZN7rocprim17ROCPRIM_400000_NS6detail17trampoline_kernelINS0_14default_configENS1_25transform_config_selectorIN3c104HalfELb1EEEZNS1_14transform_implILb1ES3_S7_PS6_S9_NS0_8identityIS6_EEEE10hipError_tT2_T3_mT4_P12ihipStream_tbEUlT_E_NS1_11comp_targetILNS1_3genE4ELNS1_11target_archE910ELNS1_3gpuE8ELNS1_3repE0EEENS1_30default_config_static_selectorELNS0_4arch9wavefront6targetE1EEEvT1_
	.p2align	8
	.type	_ZN7rocprim17ROCPRIM_400000_NS6detail17trampoline_kernelINS0_14default_configENS1_25transform_config_selectorIN3c104HalfELb1EEEZNS1_14transform_implILb1ES3_S7_PS6_S9_NS0_8identityIS6_EEEE10hipError_tT2_T3_mT4_P12ihipStream_tbEUlT_E_NS1_11comp_targetILNS1_3genE4ELNS1_11target_archE910ELNS1_3gpuE8ELNS1_3repE0EEENS1_30default_config_static_selectorELNS0_4arch9wavefront6targetE1EEEvT1_,@function
_ZN7rocprim17ROCPRIM_400000_NS6detail17trampoline_kernelINS0_14default_configENS1_25transform_config_selectorIN3c104HalfELb1EEEZNS1_14transform_implILb1ES3_S7_PS6_S9_NS0_8identityIS6_EEEE10hipError_tT2_T3_mT4_P12ihipStream_tbEUlT_E_NS1_11comp_targetILNS1_3genE4ELNS1_11target_archE910ELNS1_3gpuE8ELNS1_3repE0EEENS1_30default_config_static_selectorELNS0_4arch9wavefront6targetE1EEEvT1_: ; @_ZN7rocprim17ROCPRIM_400000_NS6detail17trampoline_kernelINS0_14default_configENS1_25transform_config_selectorIN3c104HalfELb1EEEZNS1_14transform_implILb1ES3_S7_PS6_S9_NS0_8identityIS6_EEEE10hipError_tT2_T3_mT4_P12ihipStream_tbEUlT_E_NS1_11comp_targetILNS1_3genE4ELNS1_11target_archE910ELNS1_3gpuE8ELNS1_3repE0EEENS1_30default_config_static_selectorELNS0_4arch9wavefront6targetE1EEEvT1_
; %bb.0:
	s_load_dwordx8 s[8:15], s[4:5], 0x0
	s_load_dword s2, s[4:5], 0x28
	s_waitcnt lgkmcnt(0)
	s_lshl_b64 s[0:1], s[10:11], 1
	s_add_u32 s3, s8, s0
	s_addc_u32 s4, s9, s1
	s_add_u32 s20, s14, s0
	s_addc_u32 s21, s15, s1
	s_lshl_b32 s0, s6, 13
	s_mov_b32 s1, 0
	s_add_i32 s2, s2, -1
	s_lshl_b64 s[14:15], s[0:1], 1
	s_add_u32 s16, s3, s14
	s_addc_u32 s17, s4, s15
	s_cmp_lg_u32 s6, s2
	s_mov_b64 s[2:3], -1
	s_cbranch_scc0 .LBB2177_2
; %bb.1:
	v_lshlrev_b32_e32 v1, 4, v0
	global_load_dwordx4 v[2:5], v1, s[16:17]
	s_add_u32 s2, s20, s14
	s_addc_u32 s3, s21, s15
	s_waitcnt vmcnt(0)
	global_store_dwordx4 v1, v[2:5], s[2:3]
	s_mov_b64 s[2:3], 0
.LBB2177_2:
	s_andn2_b64 vcc, exec, s[2:3]
	s_cbranch_vccnz .LBB2177_28
; %bb.3:
	s_sub_i32 s18, s12, s0
	v_cmp_gt_u32_e32 vcc, s18, v0
	v_lshlrev_b32_e32 v1, 1, v0
                                        ; implicit-def: $vgpr2
	s_and_saveexec_b64 s[0:1], vcc
	s_cbranch_execz .LBB2177_5
; %bb.4:
	global_load_ushort v2, v1, s[16:17]
.LBB2177_5:
	s_or_b64 exec, exec, s[0:1]
	v_or_b32_e32 v3, 0x400, v0
	v_cmp_gt_u32_e64 s[0:1], s18, v3
                                        ; implicit-def: $vgpr3
	s_and_saveexec_b64 s[2:3], s[0:1]
	s_cbranch_execz .LBB2177_7
; %bb.6:
	global_load_ushort v3, v1, s[16:17] offset:2048
.LBB2177_7:
	s_or_b64 exec, exec, s[2:3]
	v_or_b32_e32 v5, 0x800, v0
	v_cmp_gt_u32_e64 s[2:3], s18, v5
                                        ; implicit-def: $vgpr4
	s_and_saveexec_b64 s[4:5], s[2:3]
	s_cbranch_execz .LBB2177_9
; %bb.8:
	v_lshlrev_b32_e32 v4, 1, v5
	global_load_ushort v4, v4, s[16:17]
.LBB2177_9:
	s_or_b64 exec, exec, s[4:5]
	v_or_b32_e32 v6, 0xc00, v0
	v_cmp_gt_u32_e64 s[4:5], s18, v6
                                        ; implicit-def: $vgpr5
	s_and_saveexec_b64 s[6:7], s[4:5]
	s_cbranch_execz .LBB2177_11
; %bb.10:
	v_lshlrev_b32_e32 v5, 1, v6
	global_load_ushort v5, v5, s[16:17]
.LBB2177_11:
	s_or_b64 exec, exec, s[6:7]
	v_or_b32_e32 v7, 0x1000, v0
	v_cmp_gt_u32_e64 s[6:7], s18, v7
                                        ; implicit-def: $vgpr6
	s_and_saveexec_b64 s[8:9], s[6:7]
	s_cbranch_execz .LBB2177_13
; %bb.12:
	v_lshlrev_b32_e32 v6, 1, v7
	global_load_ushort v6, v6, s[16:17]
.LBB2177_13:
	s_or_b64 exec, exec, s[8:9]
	v_or_b32_e32 v8, 0x1400, v0
	v_cmp_gt_u32_e64 s[8:9], s18, v8
                                        ; implicit-def: $vgpr7
	s_and_saveexec_b64 s[10:11], s[8:9]
	s_cbranch_execz .LBB2177_15
; %bb.14:
	v_lshlrev_b32_e32 v7, 1, v8
	global_load_ushort v7, v7, s[16:17]
.LBB2177_15:
	s_or_b64 exec, exec, s[10:11]
	v_or_b32_e32 v9, 0x1800, v0
	v_cmp_gt_u32_e64 s[10:11], s18, v9
                                        ; implicit-def: $vgpr8
	s_and_saveexec_b64 s[12:13], s[10:11]
	s_cbranch_execz .LBB2177_17
; %bb.16:
	v_lshlrev_b32_e32 v8, 1, v9
	global_load_ushort v8, v8, s[16:17]
.LBB2177_17:
	s_or_b64 exec, exec, s[12:13]
	v_or_b32_e32 v0, 0x1c00, v0
	v_cmp_gt_u32_e64 s[12:13], s18, v0
                                        ; implicit-def: $vgpr9
	s_and_saveexec_b64 s[18:19], s[12:13]
	s_cbranch_execz .LBB2177_19
; %bb.18:
	v_lshlrev_b32_e32 v0, 1, v0
	global_load_ushort v9, v0, s[16:17]
.LBB2177_19:
	s_or_b64 exec, exec, s[18:19]
	s_add_u32 s14, s20, s14
	s_addc_u32 s15, s21, s15
	v_mov_b32_e32 v10, s15
	v_add_co_u32_e64 v0, s[14:15], s14, v1
	v_addc_co_u32_e64 v1, s[14:15], 0, v10, s[14:15]
	s_and_saveexec_b64 s[14:15], vcc
	s_xor_b64 s[14:15], exec, s[14:15]
	s_cbranch_execnz .LBB2177_29
; %bb.20:
	s_or_b64 exec, exec, s[14:15]
	s_and_saveexec_b64 s[14:15], s[0:1]
	s_cbranch_execnz .LBB2177_30
.LBB2177_21:
	s_or_b64 exec, exec, s[14:15]
	s_and_saveexec_b64 s[0:1], s[2:3]
	s_cbranch_execnz .LBB2177_31
.LBB2177_22:
	s_or_b64 exec, exec, s[0:1]
	s_and_saveexec_b64 s[0:1], s[4:5]
	s_cbranch_execnz .LBB2177_32
.LBB2177_23:
	s_or_b64 exec, exec, s[0:1]
	s_and_saveexec_b64 s[0:1], s[6:7]
	s_cbranch_execnz .LBB2177_33
.LBB2177_24:
	s_or_b64 exec, exec, s[0:1]
	s_and_saveexec_b64 s[0:1], s[8:9]
	s_cbranch_execnz .LBB2177_34
.LBB2177_25:
	s_or_b64 exec, exec, s[0:1]
	s_and_saveexec_b64 s[0:1], s[10:11]
	s_cbranch_execnz .LBB2177_35
.LBB2177_26:
	s_or_b64 exec, exec, s[0:1]
	s_and_saveexec_b64 s[0:1], s[12:13]
	s_cbranch_execz .LBB2177_28
.LBB2177_27:
	v_add_co_u32_e32 v0, vcc, 0x3000, v0
	v_addc_co_u32_e32 v1, vcc, 0, v1, vcc
	s_waitcnt vmcnt(0)
	global_store_short v[0:1], v9, off offset:2048
.LBB2177_28:
	s_endpgm
.LBB2177_29:
	s_waitcnt vmcnt(0)
	global_store_short v[0:1], v2, off
	s_or_b64 exec, exec, s[14:15]
	s_and_saveexec_b64 s[14:15], s[0:1]
	s_cbranch_execz .LBB2177_21
.LBB2177_30:
	s_waitcnt vmcnt(0)
	global_store_short v[0:1], v3, off offset:2048
	s_or_b64 exec, exec, s[14:15]
	s_and_saveexec_b64 s[0:1], s[2:3]
	s_cbranch_execz .LBB2177_22
.LBB2177_31:
	s_waitcnt vmcnt(0)
	v_add_co_u32_e32 v2, vcc, 0x1000, v0
	v_addc_co_u32_e32 v3, vcc, 0, v1, vcc
	global_store_short v[2:3], v4, off
	s_or_b64 exec, exec, s[0:1]
	s_and_saveexec_b64 s[0:1], s[4:5]
	s_cbranch_execz .LBB2177_23
.LBB2177_32:
	s_waitcnt vmcnt(0)
	v_add_co_u32_e32 v2, vcc, 0x1000, v0
	v_addc_co_u32_e32 v3, vcc, 0, v1, vcc
	global_store_short v[2:3], v5, off offset:2048
	s_or_b64 exec, exec, s[0:1]
	s_and_saveexec_b64 s[0:1], s[6:7]
	s_cbranch_execz .LBB2177_24
.LBB2177_33:
	s_waitcnt vmcnt(0)
	v_add_co_u32_e32 v2, vcc, 0x2000, v0
	v_addc_co_u32_e32 v3, vcc, 0, v1, vcc
	global_store_short v[2:3], v6, off
	s_or_b64 exec, exec, s[0:1]
	s_and_saveexec_b64 s[0:1], s[8:9]
	s_cbranch_execz .LBB2177_25
.LBB2177_34:
	s_waitcnt vmcnt(0)
	v_add_co_u32_e32 v2, vcc, 0x2000, v0
	v_addc_co_u32_e32 v3, vcc, 0, v1, vcc
	global_store_short v[2:3], v7, off offset:2048
	s_or_b64 exec, exec, s[0:1]
	s_and_saveexec_b64 s[0:1], s[10:11]
	s_cbranch_execz .LBB2177_26
.LBB2177_35:
	s_waitcnt vmcnt(0)
	v_add_co_u32_e32 v2, vcc, 0x3000, v0
	v_addc_co_u32_e32 v3, vcc, 0, v1, vcc
	global_store_short v[2:3], v8, off
	s_or_b64 exec, exec, s[0:1]
	s_and_saveexec_b64 s[0:1], s[12:13]
	s_cbranch_execnz .LBB2177_27
	s_branch .LBB2177_28
	.section	.rodata,"a",@progbits
	.p2align	6, 0x0
	.amdhsa_kernel _ZN7rocprim17ROCPRIM_400000_NS6detail17trampoline_kernelINS0_14default_configENS1_25transform_config_selectorIN3c104HalfELb1EEEZNS1_14transform_implILb1ES3_S7_PS6_S9_NS0_8identityIS6_EEEE10hipError_tT2_T3_mT4_P12ihipStream_tbEUlT_E_NS1_11comp_targetILNS1_3genE4ELNS1_11target_archE910ELNS1_3gpuE8ELNS1_3repE0EEENS1_30default_config_static_selectorELNS0_4arch9wavefront6targetE1EEEvT1_
		.amdhsa_group_segment_fixed_size 0
		.amdhsa_private_segment_fixed_size 0
		.amdhsa_kernarg_size 296
		.amdhsa_user_sgpr_count 6
		.amdhsa_user_sgpr_private_segment_buffer 1
		.amdhsa_user_sgpr_dispatch_ptr 0
		.amdhsa_user_sgpr_queue_ptr 0
		.amdhsa_user_sgpr_kernarg_segment_ptr 1
		.amdhsa_user_sgpr_dispatch_id 0
		.amdhsa_user_sgpr_flat_scratch_init 0
		.amdhsa_user_sgpr_kernarg_preload_length 0
		.amdhsa_user_sgpr_kernarg_preload_offset 0
		.amdhsa_user_sgpr_private_segment_size 0
		.amdhsa_uses_dynamic_stack 0
		.amdhsa_system_sgpr_private_segment_wavefront_offset 0
		.amdhsa_system_sgpr_workgroup_id_x 1
		.amdhsa_system_sgpr_workgroup_id_y 0
		.amdhsa_system_sgpr_workgroup_id_z 0
		.amdhsa_system_sgpr_workgroup_info 0
		.amdhsa_system_vgpr_workitem_id 0
		.amdhsa_next_free_vgpr 11
		.amdhsa_next_free_sgpr 22
		.amdhsa_accum_offset 12
		.amdhsa_reserve_vcc 1
		.amdhsa_reserve_flat_scratch 0
		.amdhsa_float_round_mode_32 0
		.amdhsa_float_round_mode_16_64 0
		.amdhsa_float_denorm_mode_32 3
		.amdhsa_float_denorm_mode_16_64 3
		.amdhsa_dx10_clamp 1
		.amdhsa_ieee_mode 1
		.amdhsa_fp16_overflow 0
		.amdhsa_tg_split 0
		.amdhsa_exception_fp_ieee_invalid_op 0
		.amdhsa_exception_fp_denorm_src 0
		.amdhsa_exception_fp_ieee_div_zero 0
		.amdhsa_exception_fp_ieee_overflow 0
		.amdhsa_exception_fp_ieee_underflow 0
		.amdhsa_exception_fp_ieee_inexact 0
		.amdhsa_exception_int_div_zero 0
	.end_amdhsa_kernel
	.section	.text._ZN7rocprim17ROCPRIM_400000_NS6detail17trampoline_kernelINS0_14default_configENS1_25transform_config_selectorIN3c104HalfELb1EEEZNS1_14transform_implILb1ES3_S7_PS6_S9_NS0_8identityIS6_EEEE10hipError_tT2_T3_mT4_P12ihipStream_tbEUlT_E_NS1_11comp_targetILNS1_3genE4ELNS1_11target_archE910ELNS1_3gpuE8ELNS1_3repE0EEENS1_30default_config_static_selectorELNS0_4arch9wavefront6targetE1EEEvT1_,"axG",@progbits,_ZN7rocprim17ROCPRIM_400000_NS6detail17trampoline_kernelINS0_14default_configENS1_25transform_config_selectorIN3c104HalfELb1EEEZNS1_14transform_implILb1ES3_S7_PS6_S9_NS0_8identityIS6_EEEE10hipError_tT2_T3_mT4_P12ihipStream_tbEUlT_E_NS1_11comp_targetILNS1_3genE4ELNS1_11target_archE910ELNS1_3gpuE8ELNS1_3repE0EEENS1_30default_config_static_selectorELNS0_4arch9wavefront6targetE1EEEvT1_,comdat
.Lfunc_end2177:
	.size	_ZN7rocprim17ROCPRIM_400000_NS6detail17trampoline_kernelINS0_14default_configENS1_25transform_config_selectorIN3c104HalfELb1EEEZNS1_14transform_implILb1ES3_S7_PS6_S9_NS0_8identityIS6_EEEE10hipError_tT2_T3_mT4_P12ihipStream_tbEUlT_E_NS1_11comp_targetILNS1_3genE4ELNS1_11target_archE910ELNS1_3gpuE8ELNS1_3repE0EEENS1_30default_config_static_selectorELNS0_4arch9wavefront6targetE1EEEvT1_, .Lfunc_end2177-_ZN7rocprim17ROCPRIM_400000_NS6detail17trampoline_kernelINS0_14default_configENS1_25transform_config_selectorIN3c104HalfELb1EEEZNS1_14transform_implILb1ES3_S7_PS6_S9_NS0_8identityIS6_EEEE10hipError_tT2_T3_mT4_P12ihipStream_tbEUlT_E_NS1_11comp_targetILNS1_3genE4ELNS1_11target_archE910ELNS1_3gpuE8ELNS1_3repE0EEENS1_30default_config_static_selectorELNS0_4arch9wavefront6targetE1EEEvT1_
                                        ; -- End function
	.section	.AMDGPU.csdata,"",@progbits
; Kernel info:
; codeLenInByte = 812
; NumSgprs: 26
; NumVgprs: 11
; NumAgprs: 0
; TotalNumVgprs: 11
; ScratchSize: 0
; MemoryBound: 1
; FloatMode: 240
; IeeeMode: 1
; LDSByteSize: 0 bytes/workgroup (compile time only)
; SGPRBlocks: 3
; VGPRBlocks: 1
; NumSGPRsForWavesPerEU: 26
; NumVGPRsForWavesPerEU: 11
; AccumOffset: 12
; Occupancy: 8
; WaveLimiterHint : 0
; COMPUTE_PGM_RSRC2:SCRATCH_EN: 0
; COMPUTE_PGM_RSRC2:USER_SGPR: 6
; COMPUTE_PGM_RSRC2:TRAP_HANDLER: 0
; COMPUTE_PGM_RSRC2:TGID_X_EN: 1
; COMPUTE_PGM_RSRC2:TGID_Y_EN: 0
; COMPUTE_PGM_RSRC2:TGID_Z_EN: 0
; COMPUTE_PGM_RSRC2:TIDIG_COMP_CNT: 0
; COMPUTE_PGM_RSRC3_GFX90A:ACCUM_OFFSET: 2
; COMPUTE_PGM_RSRC3_GFX90A:TG_SPLIT: 0
	.section	.text._ZN7rocprim17ROCPRIM_400000_NS6detail17trampoline_kernelINS0_14default_configENS1_25transform_config_selectorIN3c104HalfELb1EEEZNS1_14transform_implILb1ES3_S7_PS6_S9_NS0_8identityIS6_EEEE10hipError_tT2_T3_mT4_P12ihipStream_tbEUlT_E_NS1_11comp_targetILNS1_3genE3ELNS1_11target_archE908ELNS1_3gpuE7ELNS1_3repE0EEENS1_30default_config_static_selectorELNS0_4arch9wavefront6targetE1EEEvT1_,"axG",@progbits,_ZN7rocprim17ROCPRIM_400000_NS6detail17trampoline_kernelINS0_14default_configENS1_25transform_config_selectorIN3c104HalfELb1EEEZNS1_14transform_implILb1ES3_S7_PS6_S9_NS0_8identityIS6_EEEE10hipError_tT2_T3_mT4_P12ihipStream_tbEUlT_E_NS1_11comp_targetILNS1_3genE3ELNS1_11target_archE908ELNS1_3gpuE7ELNS1_3repE0EEENS1_30default_config_static_selectorELNS0_4arch9wavefront6targetE1EEEvT1_,comdat
	.protected	_ZN7rocprim17ROCPRIM_400000_NS6detail17trampoline_kernelINS0_14default_configENS1_25transform_config_selectorIN3c104HalfELb1EEEZNS1_14transform_implILb1ES3_S7_PS6_S9_NS0_8identityIS6_EEEE10hipError_tT2_T3_mT4_P12ihipStream_tbEUlT_E_NS1_11comp_targetILNS1_3genE3ELNS1_11target_archE908ELNS1_3gpuE7ELNS1_3repE0EEENS1_30default_config_static_selectorELNS0_4arch9wavefront6targetE1EEEvT1_ ; -- Begin function _ZN7rocprim17ROCPRIM_400000_NS6detail17trampoline_kernelINS0_14default_configENS1_25transform_config_selectorIN3c104HalfELb1EEEZNS1_14transform_implILb1ES3_S7_PS6_S9_NS0_8identityIS6_EEEE10hipError_tT2_T3_mT4_P12ihipStream_tbEUlT_E_NS1_11comp_targetILNS1_3genE3ELNS1_11target_archE908ELNS1_3gpuE7ELNS1_3repE0EEENS1_30default_config_static_selectorELNS0_4arch9wavefront6targetE1EEEvT1_
	.globl	_ZN7rocprim17ROCPRIM_400000_NS6detail17trampoline_kernelINS0_14default_configENS1_25transform_config_selectorIN3c104HalfELb1EEEZNS1_14transform_implILb1ES3_S7_PS6_S9_NS0_8identityIS6_EEEE10hipError_tT2_T3_mT4_P12ihipStream_tbEUlT_E_NS1_11comp_targetILNS1_3genE3ELNS1_11target_archE908ELNS1_3gpuE7ELNS1_3repE0EEENS1_30default_config_static_selectorELNS0_4arch9wavefront6targetE1EEEvT1_
	.p2align	8
	.type	_ZN7rocprim17ROCPRIM_400000_NS6detail17trampoline_kernelINS0_14default_configENS1_25transform_config_selectorIN3c104HalfELb1EEEZNS1_14transform_implILb1ES3_S7_PS6_S9_NS0_8identityIS6_EEEE10hipError_tT2_T3_mT4_P12ihipStream_tbEUlT_E_NS1_11comp_targetILNS1_3genE3ELNS1_11target_archE908ELNS1_3gpuE7ELNS1_3repE0EEENS1_30default_config_static_selectorELNS0_4arch9wavefront6targetE1EEEvT1_,@function
_ZN7rocprim17ROCPRIM_400000_NS6detail17trampoline_kernelINS0_14default_configENS1_25transform_config_selectorIN3c104HalfELb1EEEZNS1_14transform_implILb1ES3_S7_PS6_S9_NS0_8identityIS6_EEEE10hipError_tT2_T3_mT4_P12ihipStream_tbEUlT_E_NS1_11comp_targetILNS1_3genE3ELNS1_11target_archE908ELNS1_3gpuE7ELNS1_3repE0EEENS1_30default_config_static_selectorELNS0_4arch9wavefront6targetE1EEEvT1_: ; @_ZN7rocprim17ROCPRIM_400000_NS6detail17trampoline_kernelINS0_14default_configENS1_25transform_config_selectorIN3c104HalfELb1EEEZNS1_14transform_implILb1ES3_S7_PS6_S9_NS0_8identityIS6_EEEE10hipError_tT2_T3_mT4_P12ihipStream_tbEUlT_E_NS1_11comp_targetILNS1_3genE3ELNS1_11target_archE908ELNS1_3gpuE7ELNS1_3repE0EEENS1_30default_config_static_selectorELNS0_4arch9wavefront6targetE1EEEvT1_
; %bb.0:
	.section	.rodata,"a",@progbits
	.p2align	6, 0x0
	.amdhsa_kernel _ZN7rocprim17ROCPRIM_400000_NS6detail17trampoline_kernelINS0_14default_configENS1_25transform_config_selectorIN3c104HalfELb1EEEZNS1_14transform_implILb1ES3_S7_PS6_S9_NS0_8identityIS6_EEEE10hipError_tT2_T3_mT4_P12ihipStream_tbEUlT_E_NS1_11comp_targetILNS1_3genE3ELNS1_11target_archE908ELNS1_3gpuE7ELNS1_3repE0EEENS1_30default_config_static_selectorELNS0_4arch9wavefront6targetE1EEEvT1_
		.amdhsa_group_segment_fixed_size 0
		.amdhsa_private_segment_fixed_size 0
		.amdhsa_kernarg_size 40
		.amdhsa_user_sgpr_count 6
		.amdhsa_user_sgpr_private_segment_buffer 1
		.amdhsa_user_sgpr_dispatch_ptr 0
		.amdhsa_user_sgpr_queue_ptr 0
		.amdhsa_user_sgpr_kernarg_segment_ptr 1
		.amdhsa_user_sgpr_dispatch_id 0
		.amdhsa_user_sgpr_flat_scratch_init 0
		.amdhsa_user_sgpr_kernarg_preload_length 0
		.amdhsa_user_sgpr_kernarg_preload_offset 0
		.amdhsa_user_sgpr_private_segment_size 0
		.amdhsa_uses_dynamic_stack 0
		.amdhsa_system_sgpr_private_segment_wavefront_offset 0
		.amdhsa_system_sgpr_workgroup_id_x 1
		.amdhsa_system_sgpr_workgroup_id_y 0
		.amdhsa_system_sgpr_workgroup_id_z 0
		.amdhsa_system_sgpr_workgroup_info 0
		.amdhsa_system_vgpr_workitem_id 0
		.amdhsa_next_free_vgpr 1
		.amdhsa_next_free_sgpr 0
		.amdhsa_accum_offset 4
		.amdhsa_reserve_vcc 0
		.amdhsa_reserve_flat_scratch 0
		.amdhsa_float_round_mode_32 0
		.amdhsa_float_round_mode_16_64 0
		.amdhsa_float_denorm_mode_32 3
		.amdhsa_float_denorm_mode_16_64 3
		.amdhsa_dx10_clamp 1
		.amdhsa_ieee_mode 1
		.amdhsa_fp16_overflow 0
		.amdhsa_tg_split 0
		.amdhsa_exception_fp_ieee_invalid_op 0
		.amdhsa_exception_fp_denorm_src 0
		.amdhsa_exception_fp_ieee_div_zero 0
		.amdhsa_exception_fp_ieee_overflow 0
		.amdhsa_exception_fp_ieee_underflow 0
		.amdhsa_exception_fp_ieee_inexact 0
		.amdhsa_exception_int_div_zero 0
	.end_amdhsa_kernel
	.section	.text._ZN7rocprim17ROCPRIM_400000_NS6detail17trampoline_kernelINS0_14default_configENS1_25transform_config_selectorIN3c104HalfELb1EEEZNS1_14transform_implILb1ES3_S7_PS6_S9_NS0_8identityIS6_EEEE10hipError_tT2_T3_mT4_P12ihipStream_tbEUlT_E_NS1_11comp_targetILNS1_3genE3ELNS1_11target_archE908ELNS1_3gpuE7ELNS1_3repE0EEENS1_30default_config_static_selectorELNS0_4arch9wavefront6targetE1EEEvT1_,"axG",@progbits,_ZN7rocprim17ROCPRIM_400000_NS6detail17trampoline_kernelINS0_14default_configENS1_25transform_config_selectorIN3c104HalfELb1EEEZNS1_14transform_implILb1ES3_S7_PS6_S9_NS0_8identityIS6_EEEE10hipError_tT2_T3_mT4_P12ihipStream_tbEUlT_E_NS1_11comp_targetILNS1_3genE3ELNS1_11target_archE908ELNS1_3gpuE7ELNS1_3repE0EEENS1_30default_config_static_selectorELNS0_4arch9wavefront6targetE1EEEvT1_,comdat
.Lfunc_end2178:
	.size	_ZN7rocprim17ROCPRIM_400000_NS6detail17trampoline_kernelINS0_14default_configENS1_25transform_config_selectorIN3c104HalfELb1EEEZNS1_14transform_implILb1ES3_S7_PS6_S9_NS0_8identityIS6_EEEE10hipError_tT2_T3_mT4_P12ihipStream_tbEUlT_E_NS1_11comp_targetILNS1_3genE3ELNS1_11target_archE908ELNS1_3gpuE7ELNS1_3repE0EEENS1_30default_config_static_selectorELNS0_4arch9wavefront6targetE1EEEvT1_, .Lfunc_end2178-_ZN7rocprim17ROCPRIM_400000_NS6detail17trampoline_kernelINS0_14default_configENS1_25transform_config_selectorIN3c104HalfELb1EEEZNS1_14transform_implILb1ES3_S7_PS6_S9_NS0_8identityIS6_EEEE10hipError_tT2_T3_mT4_P12ihipStream_tbEUlT_E_NS1_11comp_targetILNS1_3genE3ELNS1_11target_archE908ELNS1_3gpuE7ELNS1_3repE0EEENS1_30default_config_static_selectorELNS0_4arch9wavefront6targetE1EEEvT1_
                                        ; -- End function
	.section	.AMDGPU.csdata,"",@progbits
; Kernel info:
; codeLenInByte = 0
; NumSgprs: 4
; NumVgprs: 0
; NumAgprs: 0
; TotalNumVgprs: 0
; ScratchSize: 0
; MemoryBound: 0
; FloatMode: 240
; IeeeMode: 1
; LDSByteSize: 0 bytes/workgroup (compile time only)
; SGPRBlocks: 0
; VGPRBlocks: 0
; NumSGPRsForWavesPerEU: 4
; NumVGPRsForWavesPerEU: 1
; AccumOffset: 4
; Occupancy: 8
; WaveLimiterHint : 0
; COMPUTE_PGM_RSRC2:SCRATCH_EN: 0
; COMPUTE_PGM_RSRC2:USER_SGPR: 6
; COMPUTE_PGM_RSRC2:TRAP_HANDLER: 0
; COMPUTE_PGM_RSRC2:TGID_X_EN: 1
; COMPUTE_PGM_RSRC2:TGID_Y_EN: 0
; COMPUTE_PGM_RSRC2:TGID_Z_EN: 0
; COMPUTE_PGM_RSRC2:TIDIG_COMP_CNT: 0
; COMPUTE_PGM_RSRC3_GFX90A:ACCUM_OFFSET: 0
; COMPUTE_PGM_RSRC3_GFX90A:TG_SPLIT: 0
	.section	.text._ZN7rocprim17ROCPRIM_400000_NS6detail17trampoline_kernelINS0_14default_configENS1_25transform_config_selectorIN3c104HalfELb1EEEZNS1_14transform_implILb1ES3_S7_PS6_S9_NS0_8identityIS6_EEEE10hipError_tT2_T3_mT4_P12ihipStream_tbEUlT_E_NS1_11comp_targetILNS1_3genE2ELNS1_11target_archE906ELNS1_3gpuE6ELNS1_3repE0EEENS1_30default_config_static_selectorELNS0_4arch9wavefront6targetE1EEEvT1_,"axG",@progbits,_ZN7rocprim17ROCPRIM_400000_NS6detail17trampoline_kernelINS0_14default_configENS1_25transform_config_selectorIN3c104HalfELb1EEEZNS1_14transform_implILb1ES3_S7_PS6_S9_NS0_8identityIS6_EEEE10hipError_tT2_T3_mT4_P12ihipStream_tbEUlT_E_NS1_11comp_targetILNS1_3genE2ELNS1_11target_archE906ELNS1_3gpuE6ELNS1_3repE0EEENS1_30default_config_static_selectorELNS0_4arch9wavefront6targetE1EEEvT1_,comdat
	.protected	_ZN7rocprim17ROCPRIM_400000_NS6detail17trampoline_kernelINS0_14default_configENS1_25transform_config_selectorIN3c104HalfELb1EEEZNS1_14transform_implILb1ES3_S7_PS6_S9_NS0_8identityIS6_EEEE10hipError_tT2_T3_mT4_P12ihipStream_tbEUlT_E_NS1_11comp_targetILNS1_3genE2ELNS1_11target_archE906ELNS1_3gpuE6ELNS1_3repE0EEENS1_30default_config_static_selectorELNS0_4arch9wavefront6targetE1EEEvT1_ ; -- Begin function _ZN7rocprim17ROCPRIM_400000_NS6detail17trampoline_kernelINS0_14default_configENS1_25transform_config_selectorIN3c104HalfELb1EEEZNS1_14transform_implILb1ES3_S7_PS6_S9_NS0_8identityIS6_EEEE10hipError_tT2_T3_mT4_P12ihipStream_tbEUlT_E_NS1_11comp_targetILNS1_3genE2ELNS1_11target_archE906ELNS1_3gpuE6ELNS1_3repE0EEENS1_30default_config_static_selectorELNS0_4arch9wavefront6targetE1EEEvT1_
	.globl	_ZN7rocprim17ROCPRIM_400000_NS6detail17trampoline_kernelINS0_14default_configENS1_25transform_config_selectorIN3c104HalfELb1EEEZNS1_14transform_implILb1ES3_S7_PS6_S9_NS0_8identityIS6_EEEE10hipError_tT2_T3_mT4_P12ihipStream_tbEUlT_E_NS1_11comp_targetILNS1_3genE2ELNS1_11target_archE906ELNS1_3gpuE6ELNS1_3repE0EEENS1_30default_config_static_selectorELNS0_4arch9wavefront6targetE1EEEvT1_
	.p2align	8
	.type	_ZN7rocprim17ROCPRIM_400000_NS6detail17trampoline_kernelINS0_14default_configENS1_25transform_config_selectorIN3c104HalfELb1EEEZNS1_14transform_implILb1ES3_S7_PS6_S9_NS0_8identityIS6_EEEE10hipError_tT2_T3_mT4_P12ihipStream_tbEUlT_E_NS1_11comp_targetILNS1_3genE2ELNS1_11target_archE906ELNS1_3gpuE6ELNS1_3repE0EEENS1_30default_config_static_selectorELNS0_4arch9wavefront6targetE1EEEvT1_,@function
_ZN7rocprim17ROCPRIM_400000_NS6detail17trampoline_kernelINS0_14default_configENS1_25transform_config_selectorIN3c104HalfELb1EEEZNS1_14transform_implILb1ES3_S7_PS6_S9_NS0_8identityIS6_EEEE10hipError_tT2_T3_mT4_P12ihipStream_tbEUlT_E_NS1_11comp_targetILNS1_3genE2ELNS1_11target_archE906ELNS1_3gpuE6ELNS1_3repE0EEENS1_30default_config_static_selectorELNS0_4arch9wavefront6targetE1EEEvT1_: ; @_ZN7rocprim17ROCPRIM_400000_NS6detail17trampoline_kernelINS0_14default_configENS1_25transform_config_selectorIN3c104HalfELb1EEEZNS1_14transform_implILb1ES3_S7_PS6_S9_NS0_8identityIS6_EEEE10hipError_tT2_T3_mT4_P12ihipStream_tbEUlT_E_NS1_11comp_targetILNS1_3genE2ELNS1_11target_archE906ELNS1_3gpuE6ELNS1_3repE0EEENS1_30default_config_static_selectorELNS0_4arch9wavefront6targetE1EEEvT1_
; %bb.0:
	.section	.rodata,"a",@progbits
	.p2align	6, 0x0
	.amdhsa_kernel _ZN7rocprim17ROCPRIM_400000_NS6detail17trampoline_kernelINS0_14default_configENS1_25transform_config_selectorIN3c104HalfELb1EEEZNS1_14transform_implILb1ES3_S7_PS6_S9_NS0_8identityIS6_EEEE10hipError_tT2_T3_mT4_P12ihipStream_tbEUlT_E_NS1_11comp_targetILNS1_3genE2ELNS1_11target_archE906ELNS1_3gpuE6ELNS1_3repE0EEENS1_30default_config_static_selectorELNS0_4arch9wavefront6targetE1EEEvT1_
		.amdhsa_group_segment_fixed_size 0
		.amdhsa_private_segment_fixed_size 0
		.amdhsa_kernarg_size 40
		.amdhsa_user_sgpr_count 6
		.amdhsa_user_sgpr_private_segment_buffer 1
		.amdhsa_user_sgpr_dispatch_ptr 0
		.amdhsa_user_sgpr_queue_ptr 0
		.amdhsa_user_sgpr_kernarg_segment_ptr 1
		.amdhsa_user_sgpr_dispatch_id 0
		.amdhsa_user_sgpr_flat_scratch_init 0
		.amdhsa_user_sgpr_kernarg_preload_length 0
		.amdhsa_user_sgpr_kernarg_preload_offset 0
		.amdhsa_user_sgpr_private_segment_size 0
		.amdhsa_uses_dynamic_stack 0
		.amdhsa_system_sgpr_private_segment_wavefront_offset 0
		.amdhsa_system_sgpr_workgroup_id_x 1
		.amdhsa_system_sgpr_workgroup_id_y 0
		.amdhsa_system_sgpr_workgroup_id_z 0
		.amdhsa_system_sgpr_workgroup_info 0
		.amdhsa_system_vgpr_workitem_id 0
		.amdhsa_next_free_vgpr 1
		.amdhsa_next_free_sgpr 0
		.amdhsa_accum_offset 4
		.amdhsa_reserve_vcc 0
		.amdhsa_reserve_flat_scratch 0
		.amdhsa_float_round_mode_32 0
		.amdhsa_float_round_mode_16_64 0
		.amdhsa_float_denorm_mode_32 3
		.amdhsa_float_denorm_mode_16_64 3
		.amdhsa_dx10_clamp 1
		.amdhsa_ieee_mode 1
		.amdhsa_fp16_overflow 0
		.amdhsa_tg_split 0
		.amdhsa_exception_fp_ieee_invalid_op 0
		.amdhsa_exception_fp_denorm_src 0
		.amdhsa_exception_fp_ieee_div_zero 0
		.amdhsa_exception_fp_ieee_overflow 0
		.amdhsa_exception_fp_ieee_underflow 0
		.amdhsa_exception_fp_ieee_inexact 0
		.amdhsa_exception_int_div_zero 0
	.end_amdhsa_kernel
	.section	.text._ZN7rocprim17ROCPRIM_400000_NS6detail17trampoline_kernelINS0_14default_configENS1_25transform_config_selectorIN3c104HalfELb1EEEZNS1_14transform_implILb1ES3_S7_PS6_S9_NS0_8identityIS6_EEEE10hipError_tT2_T3_mT4_P12ihipStream_tbEUlT_E_NS1_11comp_targetILNS1_3genE2ELNS1_11target_archE906ELNS1_3gpuE6ELNS1_3repE0EEENS1_30default_config_static_selectorELNS0_4arch9wavefront6targetE1EEEvT1_,"axG",@progbits,_ZN7rocprim17ROCPRIM_400000_NS6detail17trampoline_kernelINS0_14default_configENS1_25transform_config_selectorIN3c104HalfELb1EEEZNS1_14transform_implILb1ES3_S7_PS6_S9_NS0_8identityIS6_EEEE10hipError_tT2_T3_mT4_P12ihipStream_tbEUlT_E_NS1_11comp_targetILNS1_3genE2ELNS1_11target_archE906ELNS1_3gpuE6ELNS1_3repE0EEENS1_30default_config_static_selectorELNS0_4arch9wavefront6targetE1EEEvT1_,comdat
.Lfunc_end2179:
	.size	_ZN7rocprim17ROCPRIM_400000_NS6detail17trampoline_kernelINS0_14default_configENS1_25transform_config_selectorIN3c104HalfELb1EEEZNS1_14transform_implILb1ES3_S7_PS6_S9_NS0_8identityIS6_EEEE10hipError_tT2_T3_mT4_P12ihipStream_tbEUlT_E_NS1_11comp_targetILNS1_3genE2ELNS1_11target_archE906ELNS1_3gpuE6ELNS1_3repE0EEENS1_30default_config_static_selectorELNS0_4arch9wavefront6targetE1EEEvT1_, .Lfunc_end2179-_ZN7rocprim17ROCPRIM_400000_NS6detail17trampoline_kernelINS0_14default_configENS1_25transform_config_selectorIN3c104HalfELb1EEEZNS1_14transform_implILb1ES3_S7_PS6_S9_NS0_8identityIS6_EEEE10hipError_tT2_T3_mT4_P12ihipStream_tbEUlT_E_NS1_11comp_targetILNS1_3genE2ELNS1_11target_archE906ELNS1_3gpuE6ELNS1_3repE0EEENS1_30default_config_static_selectorELNS0_4arch9wavefront6targetE1EEEvT1_
                                        ; -- End function
	.section	.AMDGPU.csdata,"",@progbits
; Kernel info:
; codeLenInByte = 0
; NumSgprs: 4
; NumVgprs: 0
; NumAgprs: 0
; TotalNumVgprs: 0
; ScratchSize: 0
; MemoryBound: 0
; FloatMode: 240
; IeeeMode: 1
; LDSByteSize: 0 bytes/workgroup (compile time only)
; SGPRBlocks: 0
; VGPRBlocks: 0
; NumSGPRsForWavesPerEU: 4
; NumVGPRsForWavesPerEU: 1
; AccumOffset: 4
; Occupancy: 8
; WaveLimiterHint : 0
; COMPUTE_PGM_RSRC2:SCRATCH_EN: 0
; COMPUTE_PGM_RSRC2:USER_SGPR: 6
; COMPUTE_PGM_RSRC2:TRAP_HANDLER: 0
; COMPUTE_PGM_RSRC2:TGID_X_EN: 1
; COMPUTE_PGM_RSRC2:TGID_Y_EN: 0
; COMPUTE_PGM_RSRC2:TGID_Z_EN: 0
; COMPUTE_PGM_RSRC2:TIDIG_COMP_CNT: 0
; COMPUTE_PGM_RSRC3_GFX90A:ACCUM_OFFSET: 0
; COMPUTE_PGM_RSRC3_GFX90A:TG_SPLIT: 0
	.section	.text._ZN7rocprim17ROCPRIM_400000_NS6detail17trampoline_kernelINS0_14default_configENS1_25transform_config_selectorIN3c104HalfELb1EEEZNS1_14transform_implILb1ES3_S7_PS6_S9_NS0_8identityIS6_EEEE10hipError_tT2_T3_mT4_P12ihipStream_tbEUlT_E_NS1_11comp_targetILNS1_3genE9ELNS1_11target_archE1100ELNS1_3gpuE3ELNS1_3repE0EEENS1_30default_config_static_selectorELNS0_4arch9wavefront6targetE1EEEvT1_,"axG",@progbits,_ZN7rocprim17ROCPRIM_400000_NS6detail17trampoline_kernelINS0_14default_configENS1_25transform_config_selectorIN3c104HalfELb1EEEZNS1_14transform_implILb1ES3_S7_PS6_S9_NS0_8identityIS6_EEEE10hipError_tT2_T3_mT4_P12ihipStream_tbEUlT_E_NS1_11comp_targetILNS1_3genE9ELNS1_11target_archE1100ELNS1_3gpuE3ELNS1_3repE0EEENS1_30default_config_static_selectorELNS0_4arch9wavefront6targetE1EEEvT1_,comdat
	.protected	_ZN7rocprim17ROCPRIM_400000_NS6detail17trampoline_kernelINS0_14default_configENS1_25transform_config_selectorIN3c104HalfELb1EEEZNS1_14transform_implILb1ES3_S7_PS6_S9_NS0_8identityIS6_EEEE10hipError_tT2_T3_mT4_P12ihipStream_tbEUlT_E_NS1_11comp_targetILNS1_3genE9ELNS1_11target_archE1100ELNS1_3gpuE3ELNS1_3repE0EEENS1_30default_config_static_selectorELNS0_4arch9wavefront6targetE1EEEvT1_ ; -- Begin function _ZN7rocprim17ROCPRIM_400000_NS6detail17trampoline_kernelINS0_14default_configENS1_25transform_config_selectorIN3c104HalfELb1EEEZNS1_14transform_implILb1ES3_S7_PS6_S9_NS0_8identityIS6_EEEE10hipError_tT2_T3_mT4_P12ihipStream_tbEUlT_E_NS1_11comp_targetILNS1_3genE9ELNS1_11target_archE1100ELNS1_3gpuE3ELNS1_3repE0EEENS1_30default_config_static_selectorELNS0_4arch9wavefront6targetE1EEEvT1_
	.globl	_ZN7rocprim17ROCPRIM_400000_NS6detail17trampoline_kernelINS0_14default_configENS1_25transform_config_selectorIN3c104HalfELb1EEEZNS1_14transform_implILb1ES3_S7_PS6_S9_NS0_8identityIS6_EEEE10hipError_tT2_T3_mT4_P12ihipStream_tbEUlT_E_NS1_11comp_targetILNS1_3genE9ELNS1_11target_archE1100ELNS1_3gpuE3ELNS1_3repE0EEENS1_30default_config_static_selectorELNS0_4arch9wavefront6targetE1EEEvT1_
	.p2align	8
	.type	_ZN7rocprim17ROCPRIM_400000_NS6detail17trampoline_kernelINS0_14default_configENS1_25transform_config_selectorIN3c104HalfELb1EEEZNS1_14transform_implILb1ES3_S7_PS6_S9_NS0_8identityIS6_EEEE10hipError_tT2_T3_mT4_P12ihipStream_tbEUlT_E_NS1_11comp_targetILNS1_3genE9ELNS1_11target_archE1100ELNS1_3gpuE3ELNS1_3repE0EEENS1_30default_config_static_selectorELNS0_4arch9wavefront6targetE1EEEvT1_,@function
_ZN7rocprim17ROCPRIM_400000_NS6detail17trampoline_kernelINS0_14default_configENS1_25transform_config_selectorIN3c104HalfELb1EEEZNS1_14transform_implILb1ES3_S7_PS6_S9_NS0_8identityIS6_EEEE10hipError_tT2_T3_mT4_P12ihipStream_tbEUlT_E_NS1_11comp_targetILNS1_3genE9ELNS1_11target_archE1100ELNS1_3gpuE3ELNS1_3repE0EEENS1_30default_config_static_selectorELNS0_4arch9wavefront6targetE1EEEvT1_: ; @_ZN7rocprim17ROCPRIM_400000_NS6detail17trampoline_kernelINS0_14default_configENS1_25transform_config_selectorIN3c104HalfELb1EEEZNS1_14transform_implILb1ES3_S7_PS6_S9_NS0_8identityIS6_EEEE10hipError_tT2_T3_mT4_P12ihipStream_tbEUlT_E_NS1_11comp_targetILNS1_3genE9ELNS1_11target_archE1100ELNS1_3gpuE3ELNS1_3repE0EEENS1_30default_config_static_selectorELNS0_4arch9wavefront6targetE1EEEvT1_
; %bb.0:
	.section	.rodata,"a",@progbits
	.p2align	6, 0x0
	.amdhsa_kernel _ZN7rocprim17ROCPRIM_400000_NS6detail17trampoline_kernelINS0_14default_configENS1_25transform_config_selectorIN3c104HalfELb1EEEZNS1_14transform_implILb1ES3_S7_PS6_S9_NS0_8identityIS6_EEEE10hipError_tT2_T3_mT4_P12ihipStream_tbEUlT_E_NS1_11comp_targetILNS1_3genE9ELNS1_11target_archE1100ELNS1_3gpuE3ELNS1_3repE0EEENS1_30default_config_static_selectorELNS0_4arch9wavefront6targetE1EEEvT1_
		.amdhsa_group_segment_fixed_size 0
		.amdhsa_private_segment_fixed_size 0
		.amdhsa_kernarg_size 40
		.amdhsa_user_sgpr_count 6
		.amdhsa_user_sgpr_private_segment_buffer 1
		.amdhsa_user_sgpr_dispatch_ptr 0
		.amdhsa_user_sgpr_queue_ptr 0
		.amdhsa_user_sgpr_kernarg_segment_ptr 1
		.amdhsa_user_sgpr_dispatch_id 0
		.amdhsa_user_sgpr_flat_scratch_init 0
		.amdhsa_user_sgpr_kernarg_preload_length 0
		.amdhsa_user_sgpr_kernarg_preload_offset 0
		.amdhsa_user_sgpr_private_segment_size 0
		.amdhsa_uses_dynamic_stack 0
		.amdhsa_system_sgpr_private_segment_wavefront_offset 0
		.amdhsa_system_sgpr_workgroup_id_x 1
		.amdhsa_system_sgpr_workgroup_id_y 0
		.amdhsa_system_sgpr_workgroup_id_z 0
		.amdhsa_system_sgpr_workgroup_info 0
		.amdhsa_system_vgpr_workitem_id 0
		.amdhsa_next_free_vgpr 1
		.amdhsa_next_free_sgpr 0
		.amdhsa_accum_offset 4
		.amdhsa_reserve_vcc 0
		.amdhsa_reserve_flat_scratch 0
		.amdhsa_float_round_mode_32 0
		.amdhsa_float_round_mode_16_64 0
		.amdhsa_float_denorm_mode_32 3
		.amdhsa_float_denorm_mode_16_64 3
		.amdhsa_dx10_clamp 1
		.amdhsa_ieee_mode 1
		.amdhsa_fp16_overflow 0
		.amdhsa_tg_split 0
		.amdhsa_exception_fp_ieee_invalid_op 0
		.amdhsa_exception_fp_denorm_src 0
		.amdhsa_exception_fp_ieee_div_zero 0
		.amdhsa_exception_fp_ieee_overflow 0
		.amdhsa_exception_fp_ieee_underflow 0
		.amdhsa_exception_fp_ieee_inexact 0
		.amdhsa_exception_int_div_zero 0
	.end_amdhsa_kernel
	.section	.text._ZN7rocprim17ROCPRIM_400000_NS6detail17trampoline_kernelINS0_14default_configENS1_25transform_config_selectorIN3c104HalfELb1EEEZNS1_14transform_implILb1ES3_S7_PS6_S9_NS0_8identityIS6_EEEE10hipError_tT2_T3_mT4_P12ihipStream_tbEUlT_E_NS1_11comp_targetILNS1_3genE9ELNS1_11target_archE1100ELNS1_3gpuE3ELNS1_3repE0EEENS1_30default_config_static_selectorELNS0_4arch9wavefront6targetE1EEEvT1_,"axG",@progbits,_ZN7rocprim17ROCPRIM_400000_NS6detail17trampoline_kernelINS0_14default_configENS1_25transform_config_selectorIN3c104HalfELb1EEEZNS1_14transform_implILb1ES3_S7_PS6_S9_NS0_8identityIS6_EEEE10hipError_tT2_T3_mT4_P12ihipStream_tbEUlT_E_NS1_11comp_targetILNS1_3genE9ELNS1_11target_archE1100ELNS1_3gpuE3ELNS1_3repE0EEENS1_30default_config_static_selectorELNS0_4arch9wavefront6targetE1EEEvT1_,comdat
.Lfunc_end2180:
	.size	_ZN7rocprim17ROCPRIM_400000_NS6detail17trampoline_kernelINS0_14default_configENS1_25transform_config_selectorIN3c104HalfELb1EEEZNS1_14transform_implILb1ES3_S7_PS6_S9_NS0_8identityIS6_EEEE10hipError_tT2_T3_mT4_P12ihipStream_tbEUlT_E_NS1_11comp_targetILNS1_3genE9ELNS1_11target_archE1100ELNS1_3gpuE3ELNS1_3repE0EEENS1_30default_config_static_selectorELNS0_4arch9wavefront6targetE1EEEvT1_, .Lfunc_end2180-_ZN7rocprim17ROCPRIM_400000_NS6detail17trampoline_kernelINS0_14default_configENS1_25transform_config_selectorIN3c104HalfELb1EEEZNS1_14transform_implILb1ES3_S7_PS6_S9_NS0_8identityIS6_EEEE10hipError_tT2_T3_mT4_P12ihipStream_tbEUlT_E_NS1_11comp_targetILNS1_3genE9ELNS1_11target_archE1100ELNS1_3gpuE3ELNS1_3repE0EEENS1_30default_config_static_selectorELNS0_4arch9wavefront6targetE1EEEvT1_
                                        ; -- End function
	.section	.AMDGPU.csdata,"",@progbits
; Kernel info:
; codeLenInByte = 0
; NumSgprs: 4
; NumVgprs: 0
; NumAgprs: 0
; TotalNumVgprs: 0
; ScratchSize: 0
; MemoryBound: 0
; FloatMode: 240
; IeeeMode: 1
; LDSByteSize: 0 bytes/workgroup (compile time only)
; SGPRBlocks: 0
; VGPRBlocks: 0
; NumSGPRsForWavesPerEU: 4
; NumVGPRsForWavesPerEU: 1
; AccumOffset: 4
; Occupancy: 8
; WaveLimiterHint : 0
; COMPUTE_PGM_RSRC2:SCRATCH_EN: 0
; COMPUTE_PGM_RSRC2:USER_SGPR: 6
; COMPUTE_PGM_RSRC2:TRAP_HANDLER: 0
; COMPUTE_PGM_RSRC2:TGID_X_EN: 1
; COMPUTE_PGM_RSRC2:TGID_Y_EN: 0
; COMPUTE_PGM_RSRC2:TGID_Z_EN: 0
; COMPUTE_PGM_RSRC2:TIDIG_COMP_CNT: 0
; COMPUTE_PGM_RSRC3_GFX90A:ACCUM_OFFSET: 0
; COMPUTE_PGM_RSRC3_GFX90A:TG_SPLIT: 0
	.section	.text._ZN7rocprim17ROCPRIM_400000_NS6detail17trampoline_kernelINS0_14default_configENS1_25transform_config_selectorIN3c104HalfELb1EEEZNS1_14transform_implILb1ES3_S7_PS6_S9_NS0_8identityIS6_EEEE10hipError_tT2_T3_mT4_P12ihipStream_tbEUlT_E_NS1_11comp_targetILNS1_3genE8ELNS1_11target_archE1030ELNS1_3gpuE2ELNS1_3repE0EEENS1_30default_config_static_selectorELNS0_4arch9wavefront6targetE1EEEvT1_,"axG",@progbits,_ZN7rocprim17ROCPRIM_400000_NS6detail17trampoline_kernelINS0_14default_configENS1_25transform_config_selectorIN3c104HalfELb1EEEZNS1_14transform_implILb1ES3_S7_PS6_S9_NS0_8identityIS6_EEEE10hipError_tT2_T3_mT4_P12ihipStream_tbEUlT_E_NS1_11comp_targetILNS1_3genE8ELNS1_11target_archE1030ELNS1_3gpuE2ELNS1_3repE0EEENS1_30default_config_static_selectorELNS0_4arch9wavefront6targetE1EEEvT1_,comdat
	.protected	_ZN7rocprim17ROCPRIM_400000_NS6detail17trampoline_kernelINS0_14default_configENS1_25transform_config_selectorIN3c104HalfELb1EEEZNS1_14transform_implILb1ES3_S7_PS6_S9_NS0_8identityIS6_EEEE10hipError_tT2_T3_mT4_P12ihipStream_tbEUlT_E_NS1_11comp_targetILNS1_3genE8ELNS1_11target_archE1030ELNS1_3gpuE2ELNS1_3repE0EEENS1_30default_config_static_selectorELNS0_4arch9wavefront6targetE1EEEvT1_ ; -- Begin function _ZN7rocprim17ROCPRIM_400000_NS6detail17trampoline_kernelINS0_14default_configENS1_25transform_config_selectorIN3c104HalfELb1EEEZNS1_14transform_implILb1ES3_S7_PS6_S9_NS0_8identityIS6_EEEE10hipError_tT2_T3_mT4_P12ihipStream_tbEUlT_E_NS1_11comp_targetILNS1_3genE8ELNS1_11target_archE1030ELNS1_3gpuE2ELNS1_3repE0EEENS1_30default_config_static_selectorELNS0_4arch9wavefront6targetE1EEEvT1_
	.globl	_ZN7rocprim17ROCPRIM_400000_NS6detail17trampoline_kernelINS0_14default_configENS1_25transform_config_selectorIN3c104HalfELb1EEEZNS1_14transform_implILb1ES3_S7_PS6_S9_NS0_8identityIS6_EEEE10hipError_tT2_T3_mT4_P12ihipStream_tbEUlT_E_NS1_11comp_targetILNS1_3genE8ELNS1_11target_archE1030ELNS1_3gpuE2ELNS1_3repE0EEENS1_30default_config_static_selectorELNS0_4arch9wavefront6targetE1EEEvT1_
	.p2align	8
	.type	_ZN7rocprim17ROCPRIM_400000_NS6detail17trampoline_kernelINS0_14default_configENS1_25transform_config_selectorIN3c104HalfELb1EEEZNS1_14transform_implILb1ES3_S7_PS6_S9_NS0_8identityIS6_EEEE10hipError_tT2_T3_mT4_P12ihipStream_tbEUlT_E_NS1_11comp_targetILNS1_3genE8ELNS1_11target_archE1030ELNS1_3gpuE2ELNS1_3repE0EEENS1_30default_config_static_selectorELNS0_4arch9wavefront6targetE1EEEvT1_,@function
_ZN7rocprim17ROCPRIM_400000_NS6detail17trampoline_kernelINS0_14default_configENS1_25transform_config_selectorIN3c104HalfELb1EEEZNS1_14transform_implILb1ES3_S7_PS6_S9_NS0_8identityIS6_EEEE10hipError_tT2_T3_mT4_P12ihipStream_tbEUlT_E_NS1_11comp_targetILNS1_3genE8ELNS1_11target_archE1030ELNS1_3gpuE2ELNS1_3repE0EEENS1_30default_config_static_selectorELNS0_4arch9wavefront6targetE1EEEvT1_: ; @_ZN7rocprim17ROCPRIM_400000_NS6detail17trampoline_kernelINS0_14default_configENS1_25transform_config_selectorIN3c104HalfELb1EEEZNS1_14transform_implILb1ES3_S7_PS6_S9_NS0_8identityIS6_EEEE10hipError_tT2_T3_mT4_P12ihipStream_tbEUlT_E_NS1_11comp_targetILNS1_3genE8ELNS1_11target_archE1030ELNS1_3gpuE2ELNS1_3repE0EEENS1_30default_config_static_selectorELNS0_4arch9wavefront6targetE1EEEvT1_
; %bb.0:
	.section	.rodata,"a",@progbits
	.p2align	6, 0x0
	.amdhsa_kernel _ZN7rocprim17ROCPRIM_400000_NS6detail17trampoline_kernelINS0_14default_configENS1_25transform_config_selectorIN3c104HalfELb1EEEZNS1_14transform_implILb1ES3_S7_PS6_S9_NS0_8identityIS6_EEEE10hipError_tT2_T3_mT4_P12ihipStream_tbEUlT_E_NS1_11comp_targetILNS1_3genE8ELNS1_11target_archE1030ELNS1_3gpuE2ELNS1_3repE0EEENS1_30default_config_static_selectorELNS0_4arch9wavefront6targetE1EEEvT1_
		.amdhsa_group_segment_fixed_size 0
		.amdhsa_private_segment_fixed_size 0
		.amdhsa_kernarg_size 40
		.amdhsa_user_sgpr_count 6
		.amdhsa_user_sgpr_private_segment_buffer 1
		.amdhsa_user_sgpr_dispatch_ptr 0
		.amdhsa_user_sgpr_queue_ptr 0
		.amdhsa_user_sgpr_kernarg_segment_ptr 1
		.amdhsa_user_sgpr_dispatch_id 0
		.amdhsa_user_sgpr_flat_scratch_init 0
		.amdhsa_user_sgpr_kernarg_preload_length 0
		.amdhsa_user_sgpr_kernarg_preload_offset 0
		.amdhsa_user_sgpr_private_segment_size 0
		.amdhsa_uses_dynamic_stack 0
		.amdhsa_system_sgpr_private_segment_wavefront_offset 0
		.amdhsa_system_sgpr_workgroup_id_x 1
		.amdhsa_system_sgpr_workgroup_id_y 0
		.amdhsa_system_sgpr_workgroup_id_z 0
		.amdhsa_system_sgpr_workgroup_info 0
		.amdhsa_system_vgpr_workitem_id 0
		.amdhsa_next_free_vgpr 1
		.amdhsa_next_free_sgpr 0
		.amdhsa_accum_offset 4
		.amdhsa_reserve_vcc 0
		.amdhsa_reserve_flat_scratch 0
		.amdhsa_float_round_mode_32 0
		.amdhsa_float_round_mode_16_64 0
		.amdhsa_float_denorm_mode_32 3
		.amdhsa_float_denorm_mode_16_64 3
		.amdhsa_dx10_clamp 1
		.amdhsa_ieee_mode 1
		.amdhsa_fp16_overflow 0
		.amdhsa_tg_split 0
		.amdhsa_exception_fp_ieee_invalid_op 0
		.amdhsa_exception_fp_denorm_src 0
		.amdhsa_exception_fp_ieee_div_zero 0
		.amdhsa_exception_fp_ieee_overflow 0
		.amdhsa_exception_fp_ieee_underflow 0
		.amdhsa_exception_fp_ieee_inexact 0
		.amdhsa_exception_int_div_zero 0
	.end_amdhsa_kernel
	.section	.text._ZN7rocprim17ROCPRIM_400000_NS6detail17trampoline_kernelINS0_14default_configENS1_25transform_config_selectorIN3c104HalfELb1EEEZNS1_14transform_implILb1ES3_S7_PS6_S9_NS0_8identityIS6_EEEE10hipError_tT2_T3_mT4_P12ihipStream_tbEUlT_E_NS1_11comp_targetILNS1_3genE8ELNS1_11target_archE1030ELNS1_3gpuE2ELNS1_3repE0EEENS1_30default_config_static_selectorELNS0_4arch9wavefront6targetE1EEEvT1_,"axG",@progbits,_ZN7rocprim17ROCPRIM_400000_NS6detail17trampoline_kernelINS0_14default_configENS1_25transform_config_selectorIN3c104HalfELb1EEEZNS1_14transform_implILb1ES3_S7_PS6_S9_NS0_8identityIS6_EEEE10hipError_tT2_T3_mT4_P12ihipStream_tbEUlT_E_NS1_11comp_targetILNS1_3genE8ELNS1_11target_archE1030ELNS1_3gpuE2ELNS1_3repE0EEENS1_30default_config_static_selectorELNS0_4arch9wavefront6targetE1EEEvT1_,comdat
.Lfunc_end2181:
	.size	_ZN7rocprim17ROCPRIM_400000_NS6detail17trampoline_kernelINS0_14default_configENS1_25transform_config_selectorIN3c104HalfELb1EEEZNS1_14transform_implILb1ES3_S7_PS6_S9_NS0_8identityIS6_EEEE10hipError_tT2_T3_mT4_P12ihipStream_tbEUlT_E_NS1_11comp_targetILNS1_3genE8ELNS1_11target_archE1030ELNS1_3gpuE2ELNS1_3repE0EEENS1_30default_config_static_selectorELNS0_4arch9wavefront6targetE1EEEvT1_, .Lfunc_end2181-_ZN7rocprim17ROCPRIM_400000_NS6detail17trampoline_kernelINS0_14default_configENS1_25transform_config_selectorIN3c104HalfELb1EEEZNS1_14transform_implILb1ES3_S7_PS6_S9_NS0_8identityIS6_EEEE10hipError_tT2_T3_mT4_P12ihipStream_tbEUlT_E_NS1_11comp_targetILNS1_3genE8ELNS1_11target_archE1030ELNS1_3gpuE2ELNS1_3repE0EEENS1_30default_config_static_selectorELNS0_4arch9wavefront6targetE1EEEvT1_
                                        ; -- End function
	.section	.AMDGPU.csdata,"",@progbits
; Kernel info:
; codeLenInByte = 0
; NumSgprs: 4
; NumVgprs: 0
; NumAgprs: 0
; TotalNumVgprs: 0
; ScratchSize: 0
; MemoryBound: 0
; FloatMode: 240
; IeeeMode: 1
; LDSByteSize: 0 bytes/workgroup (compile time only)
; SGPRBlocks: 0
; VGPRBlocks: 0
; NumSGPRsForWavesPerEU: 4
; NumVGPRsForWavesPerEU: 1
; AccumOffset: 4
; Occupancy: 8
; WaveLimiterHint : 0
; COMPUTE_PGM_RSRC2:SCRATCH_EN: 0
; COMPUTE_PGM_RSRC2:USER_SGPR: 6
; COMPUTE_PGM_RSRC2:TRAP_HANDLER: 0
; COMPUTE_PGM_RSRC2:TGID_X_EN: 1
; COMPUTE_PGM_RSRC2:TGID_Y_EN: 0
; COMPUTE_PGM_RSRC2:TGID_Z_EN: 0
; COMPUTE_PGM_RSRC2:TIDIG_COMP_CNT: 0
; COMPUTE_PGM_RSRC3_GFX90A:ACCUM_OFFSET: 0
; COMPUTE_PGM_RSRC3_GFX90A:TG_SPLIT: 0
	.section	.text._ZN7rocprim17ROCPRIM_400000_NS6detail17trampoline_kernelINS0_14default_configENS1_22reduce_config_selectorIiEEZNS1_11reduce_implILb1ES3_N6thrust23THRUST_200600_302600_NS11hip_rocprim35transform_pair_of_input_iterators_tIiPN3c104HalfESD_NS8_12not_equal_toISC_EEEEPiiNS8_4plusIiEEEE10hipError_tPvRmT1_T2_T3_mT4_P12ihipStream_tbEUlT_E0_NS1_11comp_targetILNS1_3genE0ELNS1_11target_archE4294967295ELNS1_3gpuE0ELNS1_3repE0EEENS1_30default_config_static_selectorELNS0_4arch9wavefront6targetE1EEEvSN_,"axG",@progbits,_ZN7rocprim17ROCPRIM_400000_NS6detail17trampoline_kernelINS0_14default_configENS1_22reduce_config_selectorIiEEZNS1_11reduce_implILb1ES3_N6thrust23THRUST_200600_302600_NS11hip_rocprim35transform_pair_of_input_iterators_tIiPN3c104HalfESD_NS8_12not_equal_toISC_EEEEPiiNS8_4plusIiEEEE10hipError_tPvRmT1_T2_T3_mT4_P12ihipStream_tbEUlT_E0_NS1_11comp_targetILNS1_3genE0ELNS1_11target_archE4294967295ELNS1_3gpuE0ELNS1_3repE0EEENS1_30default_config_static_selectorELNS0_4arch9wavefront6targetE1EEEvSN_,comdat
	.protected	_ZN7rocprim17ROCPRIM_400000_NS6detail17trampoline_kernelINS0_14default_configENS1_22reduce_config_selectorIiEEZNS1_11reduce_implILb1ES3_N6thrust23THRUST_200600_302600_NS11hip_rocprim35transform_pair_of_input_iterators_tIiPN3c104HalfESD_NS8_12not_equal_toISC_EEEEPiiNS8_4plusIiEEEE10hipError_tPvRmT1_T2_T3_mT4_P12ihipStream_tbEUlT_E0_NS1_11comp_targetILNS1_3genE0ELNS1_11target_archE4294967295ELNS1_3gpuE0ELNS1_3repE0EEENS1_30default_config_static_selectorELNS0_4arch9wavefront6targetE1EEEvSN_ ; -- Begin function _ZN7rocprim17ROCPRIM_400000_NS6detail17trampoline_kernelINS0_14default_configENS1_22reduce_config_selectorIiEEZNS1_11reduce_implILb1ES3_N6thrust23THRUST_200600_302600_NS11hip_rocprim35transform_pair_of_input_iterators_tIiPN3c104HalfESD_NS8_12not_equal_toISC_EEEEPiiNS8_4plusIiEEEE10hipError_tPvRmT1_T2_T3_mT4_P12ihipStream_tbEUlT_E0_NS1_11comp_targetILNS1_3genE0ELNS1_11target_archE4294967295ELNS1_3gpuE0ELNS1_3repE0EEENS1_30default_config_static_selectorELNS0_4arch9wavefront6targetE1EEEvSN_
	.globl	_ZN7rocprim17ROCPRIM_400000_NS6detail17trampoline_kernelINS0_14default_configENS1_22reduce_config_selectorIiEEZNS1_11reduce_implILb1ES3_N6thrust23THRUST_200600_302600_NS11hip_rocprim35transform_pair_of_input_iterators_tIiPN3c104HalfESD_NS8_12not_equal_toISC_EEEEPiiNS8_4plusIiEEEE10hipError_tPvRmT1_T2_T3_mT4_P12ihipStream_tbEUlT_E0_NS1_11comp_targetILNS1_3genE0ELNS1_11target_archE4294967295ELNS1_3gpuE0ELNS1_3repE0EEENS1_30default_config_static_selectorELNS0_4arch9wavefront6targetE1EEEvSN_
	.p2align	8
	.type	_ZN7rocprim17ROCPRIM_400000_NS6detail17trampoline_kernelINS0_14default_configENS1_22reduce_config_selectorIiEEZNS1_11reduce_implILb1ES3_N6thrust23THRUST_200600_302600_NS11hip_rocprim35transform_pair_of_input_iterators_tIiPN3c104HalfESD_NS8_12not_equal_toISC_EEEEPiiNS8_4plusIiEEEE10hipError_tPvRmT1_T2_T3_mT4_P12ihipStream_tbEUlT_E0_NS1_11comp_targetILNS1_3genE0ELNS1_11target_archE4294967295ELNS1_3gpuE0ELNS1_3repE0EEENS1_30default_config_static_selectorELNS0_4arch9wavefront6targetE1EEEvSN_,@function
_ZN7rocprim17ROCPRIM_400000_NS6detail17trampoline_kernelINS0_14default_configENS1_22reduce_config_selectorIiEEZNS1_11reduce_implILb1ES3_N6thrust23THRUST_200600_302600_NS11hip_rocprim35transform_pair_of_input_iterators_tIiPN3c104HalfESD_NS8_12not_equal_toISC_EEEEPiiNS8_4plusIiEEEE10hipError_tPvRmT1_T2_T3_mT4_P12ihipStream_tbEUlT_E0_NS1_11comp_targetILNS1_3genE0ELNS1_11target_archE4294967295ELNS1_3gpuE0ELNS1_3repE0EEENS1_30default_config_static_selectorELNS0_4arch9wavefront6targetE1EEEvSN_: ; @_ZN7rocprim17ROCPRIM_400000_NS6detail17trampoline_kernelINS0_14default_configENS1_22reduce_config_selectorIiEEZNS1_11reduce_implILb1ES3_N6thrust23THRUST_200600_302600_NS11hip_rocprim35transform_pair_of_input_iterators_tIiPN3c104HalfESD_NS8_12not_equal_toISC_EEEEPiiNS8_4plusIiEEEE10hipError_tPvRmT1_T2_T3_mT4_P12ihipStream_tbEUlT_E0_NS1_11comp_targetILNS1_3genE0ELNS1_11target_archE4294967295ELNS1_3gpuE0ELNS1_3repE0EEENS1_30default_config_static_selectorELNS0_4arch9wavefront6targetE1EEEvSN_
; %bb.0:
	.section	.rodata,"a",@progbits
	.p2align	6, 0x0
	.amdhsa_kernel _ZN7rocprim17ROCPRIM_400000_NS6detail17trampoline_kernelINS0_14default_configENS1_22reduce_config_selectorIiEEZNS1_11reduce_implILb1ES3_N6thrust23THRUST_200600_302600_NS11hip_rocprim35transform_pair_of_input_iterators_tIiPN3c104HalfESD_NS8_12not_equal_toISC_EEEEPiiNS8_4plusIiEEEE10hipError_tPvRmT1_T2_T3_mT4_P12ihipStream_tbEUlT_E0_NS1_11comp_targetILNS1_3genE0ELNS1_11target_archE4294967295ELNS1_3gpuE0ELNS1_3repE0EEENS1_30default_config_static_selectorELNS0_4arch9wavefront6targetE1EEEvSN_
		.amdhsa_group_segment_fixed_size 0
		.amdhsa_private_segment_fixed_size 0
		.amdhsa_kernarg_size 72
		.amdhsa_user_sgpr_count 6
		.amdhsa_user_sgpr_private_segment_buffer 1
		.amdhsa_user_sgpr_dispatch_ptr 0
		.amdhsa_user_sgpr_queue_ptr 0
		.amdhsa_user_sgpr_kernarg_segment_ptr 1
		.amdhsa_user_sgpr_dispatch_id 0
		.amdhsa_user_sgpr_flat_scratch_init 0
		.amdhsa_user_sgpr_kernarg_preload_length 0
		.amdhsa_user_sgpr_kernarg_preload_offset 0
		.amdhsa_user_sgpr_private_segment_size 0
		.amdhsa_uses_dynamic_stack 0
		.amdhsa_system_sgpr_private_segment_wavefront_offset 0
		.amdhsa_system_sgpr_workgroup_id_x 1
		.amdhsa_system_sgpr_workgroup_id_y 0
		.amdhsa_system_sgpr_workgroup_id_z 0
		.amdhsa_system_sgpr_workgroup_info 0
		.amdhsa_system_vgpr_workitem_id 0
		.amdhsa_next_free_vgpr 1
		.amdhsa_next_free_sgpr 0
		.amdhsa_accum_offset 4
		.amdhsa_reserve_vcc 0
		.amdhsa_reserve_flat_scratch 0
		.amdhsa_float_round_mode_32 0
		.amdhsa_float_round_mode_16_64 0
		.amdhsa_float_denorm_mode_32 3
		.amdhsa_float_denorm_mode_16_64 3
		.amdhsa_dx10_clamp 1
		.amdhsa_ieee_mode 1
		.amdhsa_fp16_overflow 0
		.amdhsa_tg_split 0
		.amdhsa_exception_fp_ieee_invalid_op 0
		.amdhsa_exception_fp_denorm_src 0
		.amdhsa_exception_fp_ieee_div_zero 0
		.amdhsa_exception_fp_ieee_overflow 0
		.amdhsa_exception_fp_ieee_underflow 0
		.amdhsa_exception_fp_ieee_inexact 0
		.amdhsa_exception_int_div_zero 0
	.end_amdhsa_kernel
	.section	.text._ZN7rocprim17ROCPRIM_400000_NS6detail17trampoline_kernelINS0_14default_configENS1_22reduce_config_selectorIiEEZNS1_11reduce_implILb1ES3_N6thrust23THRUST_200600_302600_NS11hip_rocprim35transform_pair_of_input_iterators_tIiPN3c104HalfESD_NS8_12not_equal_toISC_EEEEPiiNS8_4plusIiEEEE10hipError_tPvRmT1_T2_T3_mT4_P12ihipStream_tbEUlT_E0_NS1_11comp_targetILNS1_3genE0ELNS1_11target_archE4294967295ELNS1_3gpuE0ELNS1_3repE0EEENS1_30default_config_static_selectorELNS0_4arch9wavefront6targetE1EEEvSN_,"axG",@progbits,_ZN7rocprim17ROCPRIM_400000_NS6detail17trampoline_kernelINS0_14default_configENS1_22reduce_config_selectorIiEEZNS1_11reduce_implILb1ES3_N6thrust23THRUST_200600_302600_NS11hip_rocprim35transform_pair_of_input_iterators_tIiPN3c104HalfESD_NS8_12not_equal_toISC_EEEEPiiNS8_4plusIiEEEE10hipError_tPvRmT1_T2_T3_mT4_P12ihipStream_tbEUlT_E0_NS1_11comp_targetILNS1_3genE0ELNS1_11target_archE4294967295ELNS1_3gpuE0ELNS1_3repE0EEENS1_30default_config_static_selectorELNS0_4arch9wavefront6targetE1EEEvSN_,comdat
.Lfunc_end2182:
	.size	_ZN7rocprim17ROCPRIM_400000_NS6detail17trampoline_kernelINS0_14default_configENS1_22reduce_config_selectorIiEEZNS1_11reduce_implILb1ES3_N6thrust23THRUST_200600_302600_NS11hip_rocprim35transform_pair_of_input_iterators_tIiPN3c104HalfESD_NS8_12not_equal_toISC_EEEEPiiNS8_4plusIiEEEE10hipError_tPvRmT1_T2_T3_mT4_P12ihipStream_tbEUlT_E0_NS1_11comp_targetILNS1_3genE0ELNS1_11target_archE4294967295ELNS1_3gpuE0ELNS1_3repE0EEENS1_30default_config_static_selectorELNS0_4arch9wavefront6targetE1EEEvSN_, .Lfunc_end2182-_ZN7rocprim17ROCPRIM_400000_NS6detail17trampoline_kernelINS0_14default_configENS1_22reduce_config_selectorIiEEZNS1_11reduce_implILb1ES3_N6thrust23THRUST_200600_302600_NS11hip_rocprim35transform_pair_of_input_iterators_tIiPN3c104HalfESD_NS8_12not_equal_toISC_EEEEPiiNS8_4plusIiEEEE10hipError_tPvRmT1_T2_T3_mT4_P12ihipStream_tbEUlT_E0_NS1_11comp_targetILNS1_3genE0ELNS1_11target_archE4294967295ELNS1_3gpuE0ELNS1_3repE0EEENS1_30default_config_static_selectorELNS0_4arch9wavefront6targetE1EEEvSN_
                                        ; -- End function
	.section	.AMDGPU.csdata,"",@progbits
; Kernel info:
; codeLenInByte = 0
; NumSgprs: 4
; NumVgprs: 0
; NumAgprs: 0
; TotalNumVgprs: 0
; ScratchSize: 0
; MemoryBound: 0
; FloatMode: 240
; IeeeMode: 1
; LDSByteSize: 0 bytes/workgroup (compile time only)
; SGPRBlocks: 0
; VGPRBlocks: 0
; NumSGPRsForWavesPerEU: 4
; NumVGPRsForWavesPerEU: 1
; AccumOffset: 4
; Occupancy: 8
; WaveLimiterHint : 0
; COMPUTE_PGM_RSRC2:SCRATCH_EN: 0
; COMPUTE_PGM_RSRC2:USER_SGPR: 6
; COMPUTE_PGM_RSRC2:TRAP_HANDLER: 0
; COMPUTE_PGM_RSRC2:TGID_X_EN: 1
; COMPUTE_PGM_RSRC2:TGID_Y_EN: 0
; COMPUTE_PGM_RSRC2:TGID_Z_EN: 0
; COMPUTE_PGM_RSRC2:TIDIG_COMP_CNT: 0
; COMPUTE_PGM_RSRC3_GFX90A:ACCUM_OFFSET: 0
; COMPUTE_PGM_RSRC3_GFX90A:TG_SPLIT: 0
	.section	.text._ZN7rocprim17ROCPRIM_400000_NS6detail17trampoline_kernelINS0_14default_configENS1_22reduce_config_selectorIiEEZNS1_11reduce_implILb1ES3_N6thrust23THRUST_200600_302600_NS11hip_rocprim35transform_pair_of_input_iterators_tIiPN3c104HalfESD_NS8_12not_equal_toISC_EEEEPiiNS8_4plusIiEEEE10hipError_tPvRmT1_T2_T3_mT4_P12ihipStream_tbEUlT_E0_NS1_11comp_targetILNS1_3genE5ELNS1_11target_archE942ELNS1_3gpuE9ELNS1_3repE0EEENS1_30default_config_static_selectorELNS0_4arch9wavefront6targetE1EEEvSN_,"axG",@progbits,_ZN7rocprim17ROCPRIM_400000_NS6detail17trampoline_kernelINS0_14default_configENS1_22reduce_config_selectorIiEEZNS1_11reduce_implILb1ES3_N6thrust23THRUST_200600_302600_NS11hip_rocprim35transform_pair_of_input_iterators_tIiPN3c104HalfESD_NS8_12not_equal_toISC_EEEEPiiNS8_4plusIiEEEE10hipError_tPvRmT1_T2_T3_mT4_P12ihipStream_tbEUlT_E0_NS1_11comp_targetILNS1_3genE5ELNS1_11target_archE942ELNS1_3gpuE9ELNS1_3repE0EEENS1_30default_config_static_selectorELNS0_4arch9wavefront6targetE1EEEvSN_,comdat
	.protected	_ZN7rocprim17ROCPRIM_400000_NS6detail17trampoline_kernelINS0_14default_configENS1_22reduce_config_selectorIiEEZNS1_11reduce_implILb1ES3_N6thrust23THRUST_200600_302600_NS11hip_rocprim35transform_pair_of_input_iterators_tIiPN3c104HalfESD_NS8_12not_equal_toISC_EEEEPiiNS8_4plusIiEEEE10hipError_tPvRmT1_T2_T3_mT4_P12ihipStream_tbEUlT_E0_NS1_11comp_targetILNS1_3genE5ELNS1_11target_archE942ELNS1_3gpuE9ELNS1_3repE0EEENS1_30default_config_static_selectorELNS0_4arch9wavefront6targetE1EEEvSN_ ; -- Begin function _ZN7rocprim17ROCPRIM_400000_NS6detail17trampoline_kernelINS0_14default_configENS1_22reduce_config_selectorIiEEZNS1_11reduce_implILb1ES3_N6thrust23THRUST_200600_302600_NS11hip_rocprim35transform_pair_of_input_iterators_tIiPN3c104HalfESD_NS8_12not_equal_toISC_EEEEPiiNS8_4plusIiEEEE10hipError_tPvRmT1_T2_T3_mT4_P12ihipStream_tbEUlT_E0_NS1_11comp_targetILNS1_3genE5ELNS1_11target_archE942ELNS1_3gpuE9ELNS1_3repE0EEENS1_30default_config_static_selectorELNS0_4arch9wavefront6targetE1EEEvSN_
	.globl	_ZN7rocprim17ROCPRIM_400000_NS6detail17trampoline_kernelINS0_14default_configENS1_22reduce_config_selectorIiEEZNS1_11reduce_implILb1ES3_N6thrust23THRUST_200600_302600_NS11hip_rocprim35transform_pair_of_input_iterators_tIiPN3c104HalfESD_NS8_12not_equal_toISC_EEEEPiiNS8_4plusIiEEEE10hipError_tPvRmT1_T2_T3_mT4_P12ihipStream_tbEUlT_E0_NS1_11comp_targetILNS1_3genE5ELNS1_11target_archE942ELNS1_3gpuE9ELNS1_3repE0EEENS1_30default_config_static_selectorELNS0_4arch9wavefront6targetE1EEEvSN_
	.p2align	8
	.type	_ZN7rocprim17ROCPRIM_400000_NS6detail17trampoline_kernelINS0_14default_configENS1_22reduce_config_selectorIiEEZNS1_11reduce_implILb1ES3_N6thrust23THRUST_200600_302600_NS11hip_rocprim35transform_pair_of_input_iterators_tIiPN3c104HalfESD_NS8_12not_equal_toISC_EEEEPiiNS8_4plusIiEEEE10hipError_tPvRmT1_T2_T3_mT4_P12ihipStream_tbEUlT_E0_NS1_11comp_targetILNS1_3genE5ELNS1_11target_archE942ELNS1_3gpuE9ELNS1_3repE0EEENS1_30default_config_static_selectorELNS0_4arch9wavefront6targetE1EEEvSN_,@function
_ZN7rocprim17ROCPRIM_400000_NS6detail17trampoline_kernelINS0_14default_configENS1_22reduce_config_selectorIiEEZNS1_11reduce_implILb1ES3_N6thrust23THRUST_200600_302600_NS11hip_rocprim35transform_pair_of_input_iterators_tIiPN3c104HalfESD_NS8_12not_equal_toISC_EEEEPiiNS8_4plusIiEEEE10hipError_tPvRmT1_T2_T3_mT4_P12ihipStream_tbEUlT_E0_NS1_11comp_targetILNS1_3genE5ELNS1_11target_archE942ELNS1_3gpuE9ELNS1_3repE0EEENS1_30default_config_static_selectorELNS0_4arch9wavefront6targetE1EEEvSN_: ; @_ZN7rocprim17ROCPRIM_400000_NS6detail17trampoline_kernelINS0_14default_configENS1_22reduce_config_selectorIiEEZNS1_11reduce_implILb1ES3_N6thrust23THRUST_200600_302600_NS11hip_rocprim35transform_pair_of_input_iterators_tIiPN3c104HalfESD_NS8_12not_equal_toISC_EEEEPiiNS8_4plusIiEEEE10hipError_tPvRmT1_T2_T3_mT4_P12ihipStream_tbEUlT_E0_NS1_11comp_targetILNS1_3genE5ELNS1_11target_archE942ELNS1_3gpuE9ELNS1_3repE0EEENS1_30default_config_static_selectorELNS0_4arch9wavefront6targetE1EEEvSN_
; %bb.0:
	.section	.rodata,"a",@progbits
	.p2align	6, 0x0
	.amdhsa_kernel _ZN7rocprim17ROCPRIM_400000_NS6detail17trampoline_kernelINS0_14default_configENS1_22reduce_config_selectorIiEEZNS1_11reduce_implILb1ES3_N6thrust23THRUST_200600_302600_NS11hip_rocprim35transform_pair_of_input_iterators_tIiPN3c104HalfESD_NS8_12not_equal_toISC_EEEEPiiNS8_4plusIiEEEE10hipError_tPvRmT1_T2_T3_mT4_P12ihipStream_tbEUlT_E0_NS1_11comp_targetILNS1_3genE5ELNS1_11target_archE942ELNS1_3gpuE9ELNS1_3repE0EEENS1_30default_config_static_selectorELNS0_4arch9wavefront6targetE1EEEvSN_
		.amdhsa_group_segment_fixed_size 0
		.amdhsa_private_segment_fixed_size 0
		.amdhsa_kernarg_size 72
		.amdhsa_user_sgpr_count 6
		.amdhsa_user_sgpr_private_segment_buffer 1
		.amdhsa_user_sgpr_dispatch_ptr 0
		.amdhsa_user_sgpr_queue_ptr 0
		.amdhsa_user_sgpr_kernarg_segment_ptr 1
		.amdhsa_user_sgpr_dispatch_id 0
		.amdhsa_user_sgpr_flat_scratch_init 0
		.amdhsa_user_sgpr_kernarg_preload_length 0
		.amdhsa_user_sgpr_kernarg_preload_offset 0
		.amdhsa_user_sgpr_private_segment_size 0
		.amdhsa_uses_dynamic_stack 0
		.amdhsa_system_sgpr_private_segment_wavefront_offset 0
		.amdhsa_system_sgpr_workgroup_id_x 1
		.amdhsa_system_sgpr_workgroup_id_y 0
		.amdhsa_system_sgpr_workgroup_id_z 0
		.amdhsa_system_sgpr_workgroup_info 0
		.amdhsa_system_vgpr_workitem_id 0
		.amdhsa_next_free_vgpr 1
		.amdhsa_next_free_sgpr 0
		.amdhsa_accum_offset 4
		.amdhsa_reserve_vcc 0
		.amdhsa_reserve_flat_scratch 0
		.amdhsa_float_round_mode_32 0
		.amdhsa_float_round_mode_16_64 0
		.amdhsa_float_denorm_mode_32 3
		.amdhsa_float_denorm_mode_16_64 3
		.amdhsa_dx10_clamp 1
		.amdhsa_ieee_mode 1
		.amdhsa_fp16_overflow 0
		.amdhsa_tg_split 0
		.amdhsa_exception_fp_ieee_invalid_op 0
		.amdhsa_exception_fp_denorm_src 0
		.amdhsa_exception_fp_ieee_div_zero 0
		.amdhsa_exception_fp_ieee_overflow 0
		.amdhsa_exception_fp_ieee_underflow 0
		.amdhsa_exception_fp_ieee_inexact 0
		.amdhsa_exception_int_div_zero 0
	.end_amdhsa_kernel
	.section	.text._ZN7rocprim17ROCPRIM_400000_NS6detail17trampoline_kernelINS0_14default_configENS1_22reduce_config_selectorIiEEZNS1_11reduce_implILb1ES3_N6thrust23THRUST_200600_302600_NS11hip_rocprim35transform_pair_of_input_iterators_tIiPN3c104HalfESD_NS8_12not_equal_toISC_EEEEPiiNS8_4plusIiEEEE10hipError_tPvRmT1_T2_T3_mT4_P12ihipStream_tbEUlT_E0_NS1_11comp_targetILNS1_3genE5ELNS1_11target_archE942ELNS1_3gpuE9ELNS1_3repE0EEENS1_30default_config_static_selectorELNS0_4arch9wavefront6targetE1EEEvSN_,"axG",@progbits,_ZN7rocprim17ROCPRIM_400000_NS6detail17trampoline_kernelINS0_14default_configENS1_22reduce_config_selectorIiEEZNS1_11reduce_implILb1ES3_N6thrust23THRUST_200600_302600_NS11hip_rocprim35transform_pair_of_input_iterators_tIiPN3c104HalfESD_NS8_12not_equal_toISC_EEEEPiiNS8_4plusIiEEEE10hipError_tPvRmT1_T2_T3_mT4_P12ihipStream_tbEUlT_E0_NS1_11comp_targetILNS1_3genE5ELNS1_11target_archE942ELNS1_3gpuE9ELNS1_3repE0EEENS1_30default_config_static_selectorELNS0_4arch9wavefront6targetE1EEEvSN_,comdat
.Lfunc_end2183:
	.size	_ZN7rocprim17ROCPRIM_400000_NS6detail17trampoline_kernelINS0_14default_configENS1_22reduce_config_selectorIiEEZNS1_11reduce_implILb1ES3_N6thrust23THRUST_200600_302600_NS11hip_rocprim35transform_pair_of_input_iterators_tIiPN3c104HalfESD_NS8_12not_equal_toISC_EEEEPiiNS8_4plusIiEEEE10hipError_tPvRmT1_T2_T3_mT4_P12ihipStream_tbEUlT_E0_NS1_11comp_targetILNS1_3genE5ELNS1_11target_archE942ELNS1_3gpuE9ELNS1_3repE0EEENS1_30default_config_static_selectorELNS0_4arch9wavefront6targetE1EEEvSN_, .Lfunc_end2183-_ZN7rocprim17ROCPRIM_400000_NS6detail17trampoline_kernelINS0_14default_configENS1_22reduce_config_selectorIiEEZNS1_11reduce_implILb1ES3_N6thrust23THRUST_200600_302600_NS11hip_rocprim35transform_pair_of_input_iterators_tIiPN3c104HalfESD_NS8_12not_equal_toISC_EEEEPiiNS8_4plusIiEEEE10hipError_tPvRmT1_T2_T3_mT4_P12ihipStream_tbEUlT_E0_NS1_11comp_targetILNS1_3genE5ELNS1_11target_archE942ELNS1_3gpuE9ELNS1_3repE0EEENS1_30default_config_static_selectorELNS0_4arch9wavefront6targetE1EEEvSN_
                                        ; -- End function
	.section	.AMDGPU.csdata,"",@progbits
; Kernel info:
; codeLenInByte = 0
; NumSgprs: 4
; NumVgprs: 0
; NumAgprs: 0
; TotalNumVgprs: 0
; ScratchSize: 0
; MemoryBound: 0
; FloatMode: 240
; IeeeMode: 1
; LDSByteSize: 0 bytes/workgroup (compile time only)
; SGPRBlocks: 0
; VGPRBlocks: 0
; NumSGPRsForWavesPerEU: 4
; NumVGPRsForWavesPerEU: 1
; AccumOffset: 4
; Occupancy: 8
; WaveLimiterHint : 0
; COMPUTE_PGM_RSRC2:SCRATCH_EN: 0
; COMPUTE_PGM_RSRC2:USER_SGPR: 6
; COMPUTE_PGM_RSRC2:TRAP_HANDLER: 0
; COMPUTE_PGM_RSRC2:TGID_X_EN: 1
; COMPUTE_PGM_RSRC2:TGID_Y_EN: 0
; COMPUTE_PGM_RSRC2:TGID_Z_EN: 0
; COMPUTE_PGM_RSRC2:TIDIG_COMP_CNT: 0
; COMPUTE_PGM_RSRC3_GFX90A:ACCUM_OFFSET: 0
; COMPUTE_PGM_RSRC3_GFX90A:TG_SPLIT: 0
	.section	.text._ZN7rocprim17ROCPRIM_400000_NS6detail17trampoline_kernelINS0_14default_configENS1_22reduce_config_selectorIiEEZNS1_11reduce_implILb1ES3_N6thrust23THRUST_200600_302600_NS11hip_rocprim35transform_pair_of_input_iterators_tIiPN3c104HalfESD_NS8_12not_equal_toISC_EEEEPiiNS8_4plusIiEEEE10hipError_tPvRmT1_T2_T3_mT4_P12ihipStream_tbEUlT_E0_NS1_11comp_targetILNS1_3genE4ELNS1_11target_archE910ELNS1_3gpuE8ELNS1_3repE0EEENS1_30default_config_static_selectorELNS0_4arch9wavefront6targetE1EEEvSN_,"axG",@progbits,_ZN7rocprim17ROCPRIM_400000_NS6detail17trampoline_kernelINS0_14default_configENS1_22reduce_config_selectorIiEEZNS1_11reduce_implILb1ES3_N6thrust23THRUST_200600_302600_NS11hip_rocprim35transform_pair_of_input_iterators_tIiPN3c104HalfESD_NS8_12not_equal_toISC_EEEEPiiNS8_4plusIiEEEE10hipError_tPvRmT1_T2_T3_mT4_P12ihipStream_tbEUlT_E0_NS1_11comp_targetILNS1_3genE4ELNS1_11target_archE910ELNS1_3gpuE8ELNS1_3repE0EEENS1_30default_config_static_selectorELNS0_4arch9wavefront6targetE1EEEvSN_,comdat
	.protected	_ZN7rocprim17ROCPRIM_400000_NS6detail17trampoline_kernelINS0_14default_configENS1_22reduce_config_selectorIiEEZNS1_11reduce_implILb1ES3_N6thrust23THRUST_200600_302600_NS11hip_rocprim35transform_pair_of_input_iterators_tIiPN3c104HalfESD_NS8_12not_equal_toISC_EEEEPiiNS8_4plusIiEEEE10hipError_tPvRmT1_T2_T3_mT4_P12ihipStream_tbEUlT_E0_NS1_11comp_targetILNS1_3genE4ELNS1_11target_archE910ELNS1_3gpuE8ELNS1_3repE0EEENS1_30default_config_static_selectorELNS0_4arch9wavefront6targetE1EEEvSN_ ; -- Begin function _ZN7rocprim17ROCPRIM_400000_NS6detail17trampoline_kernelINS0_14default_configENS1_22reduce_config_selectorIiEEZNS1_11reduce_implILb1ES3_N6thrust23THRUST_200600_302600_NS11hip_rocprim35transform_pair_of_input_iterators_tIiPN3c104HalfESD_NS8_12not_equal_toISC_EEEEPiiNS8_4plusIiEEEE10hipError_tPvRmT1_T2_T3_mT4_P12ihipStream_tbEUlT_E0_NS1_11comp_targetILNS1_3genE4ELNS1_11target_archE910ELNS1_3gpuE8ELNS1_3repE0EEENS1_30default_config_static_selectorELNS0_4arch9wavefront6targetE1EEEvSN_
	.globl	_ZN7rocprim17ROCPRIM_400000_NS6detail17trampoline_kernelINS0_14default_configENS1_22reduce_config_selectorIiEEZNS1_11reduce_implILb1ES3_N6thrust23THRUST_200600_302600_NS11hip_rocprim35transform_pair_of_input_iterators_tIiPN3c104HalfESD_NS8_12not_equal_toISC_EEEEPiiNS8_4plusIiEEEE10hipError_tPvRmT1_T2_T3_mT4_P12ihipStream_tbEUlT_E0_NS1_11comp_targetILNS1_3genE4ELNS1_11target_archE910ELNS1_3gpuE8ELNS1_3repE0EEENS1_30default_config_static_selectorELNS0_4arch9wavefront6targetE1EEEvSN_
	.p2align	8
	.type	_ZN7rocprim17ROCPRIM_400000_NS6detail17trampoline_kernelINS0_14default_configENS1_22reduce_config_selectorIiEEZNS1_11reduce_implILb1ES3_N6thrust23THRUST_200600_302600_NS11hip_rocprim35transform_pair_of_input_iterators_tIiPN3c104HalfESD_NS8_12not_equal_toISC_EEEEPiiNS8_4plusIiEEEE10hipError_tPvRmT1_T2_T3_mT4_P12ihipStream_tbEUlT_E0_NS1_11comp_targetILNS1_3genE4ELNS1_11target_archE910ELNS1_3gpuE8ELNS1_3repE0EEENS1_30default_config_static_selectorELNS0_4arch9wavefront6targetE1EEEvSN_,@function
_ZN7rocprim17ROCPRIM_400000_NS6detail17trampoline_kernelINS0_14default_configENS1_22reduce_config_selectorIiEEZNS1_11reduce_implILb1ES3_N6thrust23THRUST_200600_302600_NS11hip_rocprim35transform_pair_of_input_iterators_tIiPN3c104HalfESD_NS8_12not_equal_toISC_EEEEPiiNS8_4plusIiEEEE10hipError_tPvRmT1_T2_T3_mT4_P12ihipStream_tbEUlT_E0_NS1_11comp_targetILNS1_3genE4ELNS1_11target_archE910ELNS1_3gpuE8ELNS1_3repE0EEENS1_30default_config_static_selectorELNS0_4arch9wavefront6targetE1EEEvSN_: ; @_ZN7rocprim17ROCPRIM_400000_NS6detail17trampoline_kernelINS0_14default_configENS1_22reduce_config_selectorIiEEZNS1_11reduce_implILb1ES3_N6thrust23THRUST_200600_302600_NS11hip_rocprim35transform_pair_of_input_iterators_tIiPN3c104HalfESD_NS8_12not_equal_toISC_EEEEPiiNS8_4plusIiEEEE10hipError_tPvRmT1_T2_T3_mT4_P12ihipStream_tbEUlT_E0_NS1_11comp_targetILNS1_3genE4ELNS1_11target_archE910ELNS1_3gpuE8ELNS1_3repE0EEENS1_30default_config_static_selectorELNS0_4arch9wavefront6targetE1EEEvSN_
; %bb.0:
	s_load_dwordx8 s[16:23], s[4:5], 0x18
	s_load_dwordx4 s[0:3], s[4:5], 0x0
	s_load_dwordx2 s[24:25], s[4:5], 0x38
	v_lshlrev_b32_e32 v10, 1, v0
	v_mbcnt_lo_u32_b32 v1, -1, 0
	s_waitcnt lgkmcnt(0)
	s_lshl_b64 s[8:9], s[16:17], 1
	s_add_u32 s10, s0, s8
	s_addc_u32 s11, s1, s9
	s_add_u32 s12, s2, s8
	s_addc_u32 s13, s3, s9
	s_lshl_b32 s0, s6, 10
	s_mov_b32 s1, 0
	s_lshr_b64 s[2:3], s[18:19], 10
	s_lshl_b64 s[8:9], s[0:1], 1
	s_add_u32 s14, s10, s8
	s_addc_u32 s15, s11, s9
	s_add_u32 s16, s12, s8
	s_mov_b32 s7, s1
	s_addc_u32 s17, s13, s9
	s_cmp_lg_u64 s[2:3], s[6:7]
	s_cbranch_scc0 .LBB2184_6
; %bb.1:
	global_load_ushort v2, v10, s[14:15]
	global_load_ushort v5, v10, s[16:17]
	global_load_ushort v6, v10, s[14:15] offset:512
	global_load_ushort v7, v10, s[16:17] offset:512
	;; [unrolled: 1-line block ×14, first 2 shown]
	v_mbcnt_hi_u32_b32 v3, -1, v1
	v_lshlrev_b32_e32 v4, 2, v3
	s_waitcnt vmcnt(14)
	v_cmp_neq_f16_e32 vcc, v2, v5
	v_cndmask_b32_e64 v2, 0, 1, vcc
	s_waitcnt vmcnt(12)
	v_cmp_neq_f16_e32 vcc, v6, v7
	v_cndmask_b32_e64 v5, 0, 1, vcc
	;; [unrolled: 3-line block ×4, first 2 shown]
	s_waitcnt vmcnt(6)
	v_cmp_neq_f16_e32 vcc, v13, v14
	v_addc_co_u32_e32 v2, vcc, 0, v2, vcc
	s_waitcnt vmcnt(4)
	v_cmp_neq_f16_e32 vcc, v15, v16
	v_addc_co_u32_e32 v2, vcc, v2, v5, vcc
	;; [unrolled: 3-line block ×4, first 2 shown]
	v_or_b32_e32 v5, 0xfc, v4
	s_nop 0
	v_add_u32_dpp v2, v2, v2 quad_perm:[1,0,3,2] row_mask:0xf bank_mask:0xf bound_ctrl:1
	v_cmp_eq_u32_e32 vcc, 0, v3
	s_nop 0
	v_add_u32_dpp v2, v2, v2 quad_perm:[2,3,0,1] row_mask:0xf bank_mask:0xf bound_ctrl:1
	s_nop 1
	v_add_u32_dpp v2, v2, v2 row_ror:4 row_mask:0xf bank_mask:0xf bound_ctrl:1
	s_nop 1
	v_add_u32_dpp v2, v2, v2 row_ror:8 row_mask:0xf bank_mask:0xf bound_ctrl:1
	s_nop 1
	v_add_u32_dpp v2, v2, v2 row_bcast:15 row_mask:0xf bank_mask:0xf bound_ctrl:1
	s_nop 1
	v_add_u32_dpp v2, v2, v2 row_bcast:31 row_mask:0xf bank_mask:0xf bound_ctrl:1
	ds_bpermute_b32 v2, v5, v2
	s_and_saveexec_b64 s[2:3], vcc
	s_cbranch_execz .LBB2184_3
; %bb.2:
	v_lshrrev_b32_e32 v5, 4, v0
	v_and_b32_e32 v5, 4, v5
	s_waitcnt lgkmcnt(0)
	ds_write_b32 v5, v2
.LBB2184_3:
	s_or_b64 exec, exec, s[2:3]
	v_cmp_gt_u32_e32 vcc, 64, v0
	s_waitcnt lgkmcnt(0)
	s_barrier
	s_and_saveexec_b64 s[2:3], vcc
	s_cbranch_execz .LBB2184_5
; %bb.4:
	v_and_b32_e32 v2, 1, v3
	v_lshlrev_b32_e32 v2, 2, v2
	ds_read_b32 v2, v2
	v_or_b32_e32 v3, 4, v4
	s_waitcnt lgkmcnt(0)
	ds_bpermute_b32 v3, v3, v2
	s_waitcnt lgkmcnt(0)
	v_add_u32_e32 v2, v3, v2
.LBB2184_5:
	s_or_b64 exec, exec, s[2:3]
	s_load_dword s28, s[4:5], 0x40
	s_branch .LBB2184_28
.LBB2184_6:
                                        ; implicit-def: $vgpr2
	s_load_dword s28, s[4:5], 0x40
	s_cbranch_execz .LBB2184_28
; %bb.7:
	s_sub_i32 s29, s18, s0
	v_cmp_gt_u32_e32 vcc, s29, v0
                                        ; implicit-def: $vgpr2_vgpr3_vgpr4_vgpr5_vgpr6_vgpr7_vgpr8_vgpr9
	s_and_saveexec_b64 s[0:1], vcc
	s_cbranch_execz .LBB2184_9
; %bb.8:
	global_load_ushort v2, v10, s[14:15]
	global_load_ushort v3, v10, s[16:17]
	s_waitcnt vmcnt(0)
	v_cmp_neq_f16_e32 vcc, v2, v3
	v_cndmask_b32_e64 v2, 0, 1, vcc
.LBB2184_9:
	s_or_b64 exec, exec, s[0:1]
	v_or_b32_e32 v11, 0x80, v0
	v_cmp_gt_u32_e32 vcc, s29, v11
	s_and_saveexec_b64 s[2:3], vcc
	s_cbranch_execz .LBB2184_11
; %bb.10:
	global_load_ushort v3, v10, s[14:15] offset:256
	global_load_ushort v11, v10, s[16:17] offset:256
	s_waitcnt vmcnt(0)
	v_cmp_neq_f16_e64 s[0:1], v3, v11
	v_cndmask_b32_e64 v3, 0, 1, s[0:1]
.LBB2184_11:
	s_or_b64 exec, exec, s[2:3]
	v_or_b32_e32 v11, 0x100, v0
	v_cmp_gt_u32_e64 s[0:1], s29, v11
	s_and_saveexec_b64 s[4:5], s[0:1]
	s_cbranch_execz .LBB2184_13
; %bb.12:
	global_load_ushort v4, v10, s[14:15] offset:512
	global_load_ushort v11, v10, s[16:17] offset:512
	s_waitcnt vmcnt(0)
	v_cmp_neq_f16_e64 s[2:3], v4, v11
	v_cndmask_b32_e64 v4, 0, 1, s[2:3]
.LBB2184_13:
	s_or_b64 exec, exec, s[4:5]
	v_or_b32_e32 v11, 0x180, v0
	v_cmp_gt_u32_e64 s[2:3], s29, v11
	s_and_saveexec_b64 s[8:9], s[2:3]
	;; [unrolled: 12-line block ×6, first 2 shown]
	s_cbranch_execz .LBB2184_23
; %bb.22:
	global_load_ushort v9, v10, s[14:15] offset:1792
	global_load_ushort v11, v10, s[16:17] offset:1792
	s_waitcnt vmcnt(0)
	v_cmp_neq_f16_e64 s[14:15], v9, v11
	v_cndmask_b32_e64 v9, 0, 1, s[14:15]
.LBB2184_23:
	s_or_b64 exec, exec, s[26:27]
	v_cndmask_b32_e32 v3, 0, v3, vcc
	v_add_u32_e32 v2, v3, v2
	v_cndmask_b32_e64 v3, 0, v4, s[0:1]
	v_cndmask_b32_e64 v4, 0, v5, s[2:3]
	v_add3_u32 v2, v2, v3, v4
	v_cndmask_b32_e64 v3, 0, v6, s[4:5]
	v_cndmask_b32_e64 v4, 0, v7, s[8:9]
	v_add3_u32 v2, v2, v3, v4
	v_cndmask_b32_e64 v3, 0, v8, s[10:11]
	v_cndmask_b32_e64 v4, 0, v9, s[12:13]
	v_mbcnt_hi_u32_b32 v1, -1, v1
	v_add3_u32 v2, v2, v3, v4
	v_and_b32_e32 v3, 63, v1
	v_cmp_ne_u32_e32 vcc, 63, v3
	v_addc_co_u32_e32 v4, vcc, 0, v1, vcc
	v_lshlrev_b32_e32 v4, 2, v4
	ds_bpermute_b32 v4, v4, v2
	s_min_u32 s2, s29, 0x80
	v_and_b32_e32 v5, 64, v0
	v_sub_u32_e64 v5, s2, v5 clamp
	v_add_u32_e32 v6, 1, v3
	v_cmp_lt_u32_e32 vcc, v6, v5
	s_waitcnt lgkmcnt(0)
	v_cndmask_b32_e32 v4, 0, v4, vcc
	v_cmp_gt_u32_e32 vcc, 62, v3
	v_add_u32_e32 v2, v2, v4
	v_cndmask_b32_e64 v4, 0, 1, vcc
	v_lshlrev_b32_e32 v4, 1, v4
	v_add_lshl_u32 v4, v4, v1, 2
	ds_bpermute_b32 v4, v4, v2
	v_add_u32_e32 v6, 2, v3
	v_cmp_lt_u32_e32 vcc, v6, v5
	v_add_u32_e32 v6, 4, v3
	s_waitcnt lgkmcnt(0)
	v_cndmask_b32_e32 v4, 0, v4, vcc
	v_cmp_gt_u32_e32 vcc, 60, v3
	v_add_u32_e32 v2, v2, v4
	v_cndmask_b32_e64 v4, 0, 1, vcc
	v_lshlrev_b32_e32 v4, 2, v4
	v_add_lshl_u32 v4, v4, v1, 2
	ds_bpermute_b32 v4, v4, v2
	v_cmp_lt_u32_e32 vcc, v6, v5
	v_add_u32_e32 v6, 8, v3
	s_waitcnt lgkmcnt(0)
	v_cndmask_b32_e32 v4, 0, v4, vcc
	v_cmp_gt_u32_e32 vcc, 56, v3
	v_add_u32_e32 v2, v2, v4
	v_cndmask_b32_e64 v4, 0, 1, vcc
	v_lshlrev_b32_e32 v4, 3, v4
	v_add_lshl_u32 v4, v4, v1, 2
	ds_bpermute_b32 v4, v4, v2
	;; [unrolled: 10-line block ×3, first 2 shown]
	v_cmp_lt_u32_e32 vcc, v6, v5
	s_waitcnt lgkmcnt(0)
	v_cndmask_b32_e32 v4, 0, v4, vcc
	v_cmp_gt_u32_e32 vcc, 32, v3
	v_add_u32_e32 v2, v2, v4
	v_cndmask_b32_e64 v4, 0, 1, vcc
	v_lshlrev_b32_e32 v4, 5, v4
	v_add_lshl_u32 v4, v4, v1, 2
	ds_bpermute_b32 v4, v4, v2
	v_add_u32_e32 v3, 32, v3
	v_cmp_lt_u32_e32 vcc, v3, v5
	s_waitcnt lgkmcnt(0)
	v_cndmask_b32_e32 v3, 0, v4, vcc
	v_add_u32_e32 v2, v2, v3
	v_cmp_eq_u32_e32 vcc, 0, v1
	s_and_saveexec_b64 s[0:1], vcc
	s_cbranch_execz .LBB2184_25
; %bb.24:
	v_lshrrev_b32_e32 v3, 4, v0
	v_and_b32_e32 v3, 4, v3
	ds_write_b32 v3, v2 offset:8
.LBB2184_25:
	s_or_b64 exec, exec, s[0:1]
	v_cmp_gt_u32_e32 vcc, 2, v0
	s_waitcnt lgkmcnt(0)
	s_barrier
	s_and_saveexec_b64 s[0:1], vcc
	s_cbranch_execz .LBB2184_27
; %bb.26:
	v_lshlrev_b32_e32 v2, 2, v1
	ds_read_b32 v3, v2 offset:8
	v_or_b32_e32 v2, 4, v2
	s_add_i32 s2, s2, 63
	v_and_b32_e32 v1, 1, v1
	s_lshr_b32 s2, s2, 6
	s_waitcnt lgkmcnt(0)
	ds_bpermute_b32 v2, v2, v3
	v_add_u32_e32 v1, 1, v1
	v_cmp_gt_u32_e32 vcc, s2, v1
	s_waitcnt lgkmcnt(0)
	v_cndmask_b32_e32 v1, 0, v2, vcc
	v_add_u32_e32 v2, v1, v3
.LBB2184_27:
	s_or_b64 exec, exec, s[0:1]
.LBB2184_28:
	v_cmp_eq_u32_e32 vcc, 0, v0
	s_and_saveexec_b64 s[0:1], vcc
	s_cbranch_execnz .LBB2184_30
; %bb.29:
	s_endpgm
.LBB2184_30:
	s_mul_i32 s0, s24, s23
	s_mul_hi_u32 s1, s24, s22
	s_add_i32 s0, s1, s0
	s_mul_i32 s1, s25, s22
	s_add_i32 s1, s0, s1
	s_mul_i32 s0, s24, s22
	s_lshl_b64 s[0:1], s[0:1], 2
	s_add_u32 s2, s20, s0
	s_addc_u32 s3, s21, s1
	s_cmp_eq_u64 s[18:19], 0
	s_cselect_b64 vcc, -1, 0
	s_lshl_b64 s[0:1], s[6:7], 2
	s_waitcnt lgkmcnt(0)
	v_mov_b32_e32 v0, s28
	s_add_u32 s0, s2, s0
	v_cndmask_b32_e32 v0, v2, v0, vcc
	s_addc_u32 s1, s3, s1
	v_mov_b32_e32 v1, 0
	global_store_dword v1, v0, s[0:1]
	s_endpgm
	.section	.rodata,"a",@progbits
	.p2align	6, 0x0
	.amdhsa_kernel _ZN7rocprim17ROCPRIM_400000_NS6detail17trampoline_kernelINS0_14default_configENS1_22reduce_config_selectorIiEEZNS1_11reduce_implILb1ES3_N6thrust23THRUST_200600_302600_NS11hip_rocprim35transform_pair_of_input_iterators_tIiPN3c104HalfESD_NS8_12not_equal_toISC_EEEEPiiNS8_4plusIiEEEE10hipError_tPvRmT1_T2_T3_mT4_P12ihipStream_tbEUlT_E0_NS1_11comp_targetILNS1_3genE4ELNS1_11target_archE910ELNS1_3gpuE8ELNS1_3repE0EEENS1_30default_config_static_selectorELNS0_4arch9wavefront6targetE1EEEvSN_
		.amdhsa_group_segment_fixed_size 16
		.amdhsa_private_segment_fixed_size 0
		.amdhsa_kernarg_size 72
		.amdhsa_user_sgpr_count 6
		.amdhsa_user_sgpr_private_segment_buffer 1
		.amdhsa_user_sgpr_dispatch_ptr 0
		.amdhsa_user_sgpr_queue_ptr 0
		.amdhsa_user_sgpr_kernarg_segment_ptr 1
		.amdhsa_user_sgpr_dispatch_id 0
		.amdhsa_user_sgpr_flat_scratch_init 0
		.amdhsa_user_sgpr_kernarg_preload_length 0
		.amdhsa_user_sgpr_kernarg_preload_offset 0
		.amdhsa_user_sgpr_private_segment_size 0
		.amdhsa_uses_dynamic_stack 0
		.amdhsa_system_sgpr_private_segment_wavefront_offset 0
		.amdhsa_system_sgpr_workgroup_id_x 1
		.amdhsa_system_sgpr_workgroup_id_y 0
		.amdhsa_system_sgpr_workgroup_id_z 0
		.amdhsa_system_sgpr_workgroup_info 0
		.amdhsa_system_vgpr_workitem_id 0
		.amdhsa_next_free_vgpr 21
		.amdhsa_next_free_sgpr 30
		.amdhsa_accum_offset 24
		.amdhsa_reserve_vcc 1
		.amdhsa_reserve_flat_scratch 0
		.amdhsa_float_round_mode_32 0
		.amdhsa_float_round_mode_16_64 0
		.amdhsa_float_denorm_mode_32 3
		.amdhsa_float_denorm_mode_16_64 3
		.amdhsa_dx10_clamp 1
		.amdhsa_ieee_mode 1
		.amdhsa_fp16_overflow 0
		.amdhsa_tg_split 0
		.amdhsa_exception_fp_ieee_invalid_op 0
		.amdhsa_exception_fp_denorm_src 0
		.amdhsa_exception_fp_ieee_div_zero 0
		.amdhsa_exception_fp_ieee_overflow 0
		.amdhsa_exception_fp_ieee_underflow 0
		.amdhsa_exception_fp_ieee_inexact 0
		.amdhsa_exception_int_div_zero 0
	.end_amdhsa_kernel
	.section	.text._ZN7rocprim17ROCPRIM_400000_NS6detail17trampoline_kernelINS0_14default_configENS1_22reduce_config_selectorIiEEZNS1_11reduce_implILb1ES3_N6thrust23THRUST_200600_302600_NS11hip_rocprim35transform_pair_of_input_iterators_tIiPN3c104HalfESD_NS8_12not_equal_toISC_EEEEPiiNS8_4plusIiEEEE10hipError_tPvRmT1_T2_T3_mT4_P12ihipStream_tbEUlT_E0_NS1_11comp_targetILNS1_3genE4ELNS1_11target_archE910ELNS1_3gpuE8ELNS1_3repE0EEENS1_30default_config_static_selectorELNS0_4arch9wavefront6targetE1EEEvSN_,"axG",@progbits,_ZN7rocprim17ROCPRIM_400000_NS6detail17trampoline_kernelINS0_14default_configENS1_22reduce_config_selectorIiEEZNS1_11reduce_implILb1ES3_N6thrust23THRUST_200600_302600_NS11hip_rocprim35transform_pair_of_input_iterators_tIiPN3c104HalfESD_NS8_12not_equal_toISC_EEEEPiiNS8_4plusIiEEEE10hipError_tPvRmT1_T2_T3_mT4_P12ihipStream_tbEUlT_E0_NS1_11comp_targetILNS1_3genE4ELNS1_11target_archE910ELNS1_3gpuE8ELNS1_3repE0EEENS1_30default_config_static_selectorELNS0_4arch9wavefront6targetE1EEEvSN_,comdat
.Lfunc_end2184:
	.size	_ZN7rocprim17ROCPRIM_400000_NS6detail17trampoline_kernelINS0_14default_configENS1_22reduce_config_selectorIiEEZNS1_11reduce_implILb1ES3_N6thrust23THRUST_200600_302600_NS11hip_rocprim35transform_pair_of_input_iterators_tIiPN3c104HalfESD_NS8_12not_equal_toISC_EEEEPiiNS8_4plusIiEEEE10hipError_tPvRmT1_T2_T3_mT4_P12ihipStream_tbEUlT_E0_NS1_11comp_targetILNS1_3genE4ELNS1_11target_archE910ELNS1_3gpuE8ELNS1_3repE0EEENS1_30default_config_static_selectorELNS0_4arch9wavefront6targetE1EEEvSN_, .Lfunc_end2184-_ZN7rocprim17ROCPRIM_400000_NS6detail17trampoline_kernelINS0_14default_configENS1_22reduce_config_selectorIiEEZNS1_11reduce_implILb1ES3_N6thrust23THRUST_200600_302600_NS11hip_rocprim35transform_pair_of_input_iterators_tIiPN3c104HalfESD_NS8_12not_equal_toISC_EEEEPiiNS8_4plusIiEEEE10hipError_tPvRmT1_T2_T3_mT4_P12ihipStream_tbEUlT_E0_NS1_11comp_targetILNS1_3genE4ELNS1_11target_archE910ELNS1_3gpuE8ELNS1_3repE0EEENS1_30default_config_static_selectorELNS0_4arch9wavefront6targetE1EEEvSN_
                                        ; -- End function
	.section	.AMDGPU.csdata,"",@progbits
; Kernel info:
; codeLenInByte = 1692
; NumSgprs: 34
; NumVgprs: 21
; NumAgprs: 0
; TotalNumVgprs: 21
; ScratchSize: 0
; MemoryBound: 0
; FloatMode: 240
; IeeeMode: 1
; LDSByteSize: 16 bytes/workgroup (compile time only)
; SGPRBlocks: 4
; VGPRBlocks: 2
; NumSGPRsForWavesPerEU: 34
; NumVGPRsForWavesPerEU: 21
; AccumOffset: 24
; Occupancy: 8
; WaveLimiterHint : 0
; COMPUTE_PGM_RSRC2:SCRATCH_EN: 0
; COMPUTE_PGM_RSRC2:USER_SGPR: 6
; COMPUTE_PGM_RSRC2:TRAP_HANDLER: 0
; COMPUTE_PGM_RSRC2:TGID_X_EN: 1
; COMPUTE_PGM_RSRC2:TGID_Y_EN: 0
; COMPUTE_PGM_RSRC2:TGID_Z_EN: 0
; COMPUTE_PGM_RSRC2:TIDIG_COMP_CNT: 0
; COMPUTE_PGM_RSRC3_GFX90A:ACCUM_OFFSET: 5
; COMPUTE_PGM_RSRC3_GFX90A:TG_SPLIT: 0
	.section	.text._ZN7rocprim17ROCPRIM_400000_NS6detail17trampoline_kernelINS0_14default_configENS1_22reduce_config_selectorIiEEZNS1_11reduce_implILb1ES3_N6thrust23THRUST_200600_302600_NS11hip_rocprim35transform_pair_of_input_iterators_tIiPN3c104HalfESD_NS8_12not_equal_toISC_EEEEPiiNS8_4plusIiEEEE10hipError_tPvRmT1_T2_T3_mT4_P12ihipStream_tbEUlT_E0_NS1_11comp_targetILNS1_3genE3ELNS1_11target_archE908ELNS1_3gpuE7ELNS1_3repE0EEENS1_30default_config_static_selectorELNS0_4arch9wavefront6targetE1EEEvSN_,"axG",@progbits,_ZN7rocprim17ROCPRIM_400000_NS6detail17trampoline_kernelINS0_14default_configENS1_22reduce_config_selectorIiEEZNS1_11reduce_implILb1ES3_N6thrust23THRUST_200600_302600_NS11hip_rocprim35transform_pair_of_input_iterators_tIiPN3c104HalfESD_NS8_12not_equal_toISC_EEEEPiiNS8_4plusIiEEEE10hipError_tPvRmT1_T2_T3_mT4_P12ihipStream_tbEUlT_E0_NS1_11comp_targetILNS1_3genE3ELNS1_11target_archE908ELNS1_3gpuE7ELNS1_3repE0EEENS1_30default_config_static_selectorELNS0_4arch9wavefront6targetE1EEEvSN_,comdat
	.protected	_ZN7rocprim17ROCPRIM_400000_NS6detail17trampoline_kernelINS0_14default_configENS1_22reduce_config_selectorIiEEZNS1_11reduce_implILb1ES3_N6thrust23THRUST_200600_302600_NS11hip_rocprim35transform_pair_of_input_iterators_tIiPN3c104HalfESD_NS8_12not_equal_toISC_EEEEPiiNS8_4plusIiEEEE10hipError_tPvRmT1_T2_T3_mT4_P12ihipStream_tbEUlT_E0_NS1_11comp_targetILNS1_3genE3ELNS1_11target_archE908ELNS1_3gpuE7ELNS1_3repE0EEENS1_30default_config_static_selectorELNS0_4arch9wavefront6targetE1EEEvSN_ ; -- Begin function _ZN7rocprim17ROCPRIM_400000_NS6detail17trampoline_kernelINS0_14default_configENS1_22reduce_config_selectorIiEEZNS1_11reduce_implILb1ES3_N6thrust23THRUST_200600_302600_NS11hip_rocprim35transform_pair_of_input_iterators_tIiPN3c104HalfESD_NS8_12not_equal_toISC_EEEEPiiNS8_4plusIiEEEE10hipError_tPvRmT1_T2_T3_mT4_P12ihipStream_tbEUlT_E0_NS1_11comp_targetILNS1_3genE3ELNS1_11target_archE908ELNS1_3gpuE7ELNS1_3repE0EEENS1_30default_config_static_selectorELNS0_4arch9wavefront6targetE1EEEvSN_
	.globl	_ZN7rocprim17ROCPRIM_400000_NS6detail17trampoline_kernelINS0_14default_configENS1_22reduce_config_selectorIiEEZNS1_11reduce_implILb1ES3_N6thrust23THRUST_200600_302600_NS11hip_rocprim35transform_pair_of_input_iterators_tIiPN3c104HalfESD_NS8_12not_equal_toISC_EEEEPiiNS8_4plusIiEEEE10hipError_tPvRmT1_T2_T3_mT4_P12ihipStream_tbEUlT_E0_NS1_11comp_targetILNS1_3genE3ELNS1_11target_archE908ELNS1_3gpuE7ELNS1_3repE0EEENS1_30default_config_static_selectorELNS0_4arch9wavefront6targetE1EEEvSN_
	.p2align	8
	.type	_ZN7rocprim17ROCPRIM_400000_NS6detail17trampoline_kernelINS0_14default_configENS1_22reduce_config_selectorIiEEZNS1_11reduce_implILb1ES3_N6thrust23THRUST_200600_302600_NS11hip_rocprim35transform_pair_of_input_iterators_tIiPN3c104HalfESD_NS8_12not_equal_toISC_EEEEPiiNS8_4plusIiEEEE10hipError_tPvRmT1_T2_T3_mT4_P12ihipStream_tbEUlT_E0_NS1_11comp_targetILNS1_3genE3ELNS1_11target_archE908ELNS1_3gpuE7ELNS1_3repE0EEENS1_30default_config_static_selectorELNS0_4arch9wavefront6targetE1EEEvSN_,@function
_ZN7rocprim17ROCPRIM_400000_NS6detail17trampoline_kernelINS0_14default_configENS1_22reduce_config_selectorIiEEZNS1_11reduce_implILb1ES3_N6thrust23THRUST_200600_302600_NS11hip_rocprim35transform_pair_of_input_iterators_tIiPN3c104HalfESD_NS8_12not_equal_toISC_EEEEPiiNS8_4plusIiEEEE10hipError_tPvRmT1_T2_T3_mT4_P12ihipStream_tbEUlT_E0_NS1_11comp_targetILNS1_3genE3ELNS1_11target_archE908ELNS1_3gpuE7ELNS1_3repE0EEENS1_30default_config_static_selectorELNS0_4arch9wavefront6targetE1EEEvSN_: ; @_ZN7rocprim17ROCPRIM_400000_NS6detail17trampoline_kernelINS0_14default_configENS1_22reduce_config_selectorIiEEZNS1_11reduce_implILb1ES3_N6thrust23THRUST_200600_302600_NS11hip_rocprim35transform_pair_of_input_iterators_tIiPN3c104HalfESD_NS8_12not_equal_toISC_EEEEPiiNS8_4plusIiEEEE10hipError_tPvRmT1_T2_T3_mT4_P12ihipStream_tbEUlT_E0_NS1_11comp_targetILNS1_3genE3ELNS1_11target_archE908ELNS1_3gpuE7ELNS1_3repE0EEENS1_30default_config_static_selectorELNS0_4arch9wavefront6targetE1EEEvSN_
; %bb.0:
	.section	.rodata,"a",@progbits
	.p2align	6, 0x0
	.amdhsa_kernel _ZN7rocprim17ROCPRIM_400000_NS6detail17trampoline_kernelINS0_14default_configENS1_22reduce_config_selectorIiEEZNS1_11reduce_implILb1ES3_N6thrust23THRUST_200600_302600_NS11hip_rocprim35transform_pair_of_input_iterators_tIiPN3c104HalfESD_NS8_12not_equal_toISC_EEEEPiiNS8_4plusIiEEEE10hipError_tPvRmT1_T2_T3_mT4_P12ihipStream_tbEUlT_E0_NS1_11comp_targetILNS1_3genE3ELNS1_11target_archE908ELNS1_3gpuE7ELNS1_3repE0EEENS1_30default_config_static_selectorELNS0_4arch9wavefront6targetE1EEEvSN_
		.amdhsa_group_segment_fixed_size 0
		.amdhsa_private_segment_fixed_size 0
		.amdhsa_kernarg_size 72
		.amdhsa_user_sgpr_count 6
		.amdhsa_user_sgpr_private_segment_buffer 1
		.amdhsa_user_sgpr_dispatch_ptr 0
		.amdhsa_user_sgpr_queue_ptr 0
		.amdhsa_user_sgpr_kernarg_segment_ptr 1
		.amdhsa_user_sgpr_dispatch_id 0
		.amdhsa_user_sgpr_flat_scratch_init 0
		.amdhsa_user_sgpr_kernarg_preload_length 0
		.amdhsa_user_sgpr_kernarg_preload_offset 0
		.amdhsa_user_sgpr_private_segment_size 0
		.amdhsa_uses_dynamic_stack 0
		.amdhsa_system_sgpr_private_segment_wavefront_offset 0
		.amdhsa_system_sgpr_workgroup_id_x 1
		.amdhsa_system_sgpr_workgroup_id_y 0
		.amdhsa_system_sgpr_workgroup_id_z 0
		.amdhsa_system_sgpr_workgroup_info 0
		.amdhsa_system_vgpr_workitem_id 0
		.amdhsa_next_free_vgpr 1
		.amdhsa_next_free_sgpr 0
		.amdhsa_accum_offset 4
		.amdhsa_reserve_vcc 0
		.amdhsa_reserve_flat_scratch 0
		.amdhsa_float_round_mode_32 0
		.amdhsa_float_round_mode_16_64 0
		.amdhsa_float_denorm_mode_32 3
		.amdhsa_float_denorm_mode_16_64 3
		.amdhsa_dx10_clamp 1
		.amdhsa_ieee_mode 1
		.amdhsa_fp16_overflow 0
		.amdhsa_tg_split 0
		.amdhsa_exception_fp_ieee_invalid_op 0
		.amdhsa_exception_fp_denorm_src 0
		.amdhsa_exception_fp_ieee_div_zero 0
		.amdhsa_exception_fp_ieee_overflow 0
		.amdhsa_exception_fp_ieee_underflow 0
		.amdhsa_exception_fp_ieee_inexact 0
		.amdhsa_exception_int_div_zero 0
	.end_amdhsa_kernel
	.section	.text._ZN7rocprim17ROCPRIM_400000_NS6detail17trampoline_kernelINS0_14default_configENS1_22reduce_config_selectorIiEEZNS1_11reduce_implILb1ES3_N6thrust23THRUST_200600_302600_NS11hip_rocprim35transform_pair_of_input_iterators_tIiPN3c104HalfESD_NS8_12not_equal_toISC_EEEEPiiNS8_4plusIiEEEE10hipError_tPvRmT1_T2_T3_mT4_P12ihipStream_tbEUlT_E0_NS1_11comp_targetILNS1_3genE3ELNS1_11target_archE908ELNS1_3gpuE7ELNS1_3repE0EEENS1_30default_config_static_selectorELNS0_4arch9wavefront6targetE1EEEvSN_,"axG",@progbits,_ZN7rocprim17ROCPRIM_400000_NS6detail17trampoline_kernelINS0_14default_configENS1_22reduce_config_selectorIiEEZNS1_11reduce_implILb1ES3_N6thrust23THRUST_200600_302600_NS11hip_rocprim35transform_pair_of_input_iterators_tIiPN3c104HalfESD_NS8_12not_equal_toISC_EEEEPiiNS8_4plusIiEEEE10hipError_tPvRmT1_T2_T3_mT4_P12ihipStream_tbEUlT_E0_NS1_11comp_targetILNS1_3genE3ELNS1_11target_archE908ELNS1_3gpuE7ELNS1_3repE0EEENS1_30default_config_static_selectorELNS0_4arch9wavefront6targetE1EEEvSN_,comdat
.Lfunc_end2185:
	.size	_ZN7rocprim17ROCPRIM_400000_NS6detail17trampoline_kernelINS0_14default_configENS1_22reduce_config_selectorIiEEZNS1_11reduce_implILb1ES3_N6thrust23THRUST_200600_302600_NS11hip_rocprim35transform_pair_of_input_iterators_tIiPN3c104HalfESD_NS8_12not_equal_toISC_EEEEPiiNS8_4plusIiEEEE10hipError_tPvRmT1_T2_T3_mT4_P12ihipStream_tbEUlT_E0_NS1_11comp_targetILNS1_3genE3ELNS1_11target_archE908ELNS1_3gpuE7ELNS1_3repE0EEENS1_30default_config_static_selectorELNS0_4arch9wavefront6targetE1EEEvSN_, .Lfunc_end2185-_ZN7rocprim17ROCPRIM_400000_NS6detail17trampoline_kernelINS0_14default_configENS1_22reduce_config_selectorIiEEZNS1_11reduce_implILb1ES3_N6thrust23THRUST_200600_302600_NS11hip_rocprim35transform_pair_of_input_iterators_tIiPN3c104HalfESD_NS8_12not_equal_toISC_EEEEPiiNS8_4plusIiEEEE10hipError_tPvRmT1_T2_T3_mT4_P12ihipStream_tbEUlT_E0_NS1_11comp_targetILNS1_3genE3ELNS1_11target_archE908ELNS1_3gpuE7ELNS1_3repE0EEENS1_30default_config_static_selectorELNS0_4arch9wavefront6targetE1EEEvSN_
                                        ; -- End function
	.section	.AMDGPU.csdata,"",@progbits
; Kernel info:
; codeLenInByte = 0
; NumSgprs: 4
; NumVgprs: 0
; NumAgprs: 0
; TotalNumVgprs: 0
; ScratchSize: 0
; MemoryBound: 0
; FloatMode: 240
; IeeeMode: 1
; LDSByteSize: 0 bytes/workgroup (compile time only)
; SGPRBlocks: 0
; VGPRBlocks: 0
; NumSGPRsForWavesPerEU: 4
; NumVGPRsForWavesPerEU: 1
; AccumOffset: 4
; Occupancy: 8
; WaveLimiterHint : 0
; COMPUTE_PGM_RSRC2:SCRATCH_EN: 0
; COMPUTE_PGM_RSRC2:USER_SGPR: 6
; COMPUTE_PGM_RSRC2:TRAP_HANDLER: 0
; COMPUTE_PGM_RSRC2:TGID_X_EN: 1
; COMPUTE_PGM_RSRC2:TGID_Y_EN: 0
; COMPUTE_PGM_RSRC2:TGID_Z_EN: 0
; COMPUTE_PGM_RSRC2:TIDIG_COMP_CNT: 0
; COMPUTE_PGM_RSRC3_GFX90A:ACCUM_OFFSET: 0
; COMPUTE_PGM_RSRC3_GFX90A:TG_SPLIT: 0
	.section	.text._ZN7rocprim17ROCPRIM_400000_NS6detail17trampoline_kernelINS0_14default_configENS1_22reduce_config_selectorIiEEZNS1_11reduce_implILb1ES3_N6thrust23THRUST_200600_302600_NS11hip_rocprim35transform_pair_of_input_iterators_tIiPN3c104HalfESD_NS8_12not_equal_toISC_EEEEPiiNS8_4plusIiEEEE10hipError_tPvRmT1_T2_T3_mT4_P12ihipStream_tbEUlT_E0_NS1_11comp_targetILNS1_3genE2ELNS1_11target_archE906ELNS1_3gpuE6ELNS1_3repE0EEENS1_30default_config_static_selectorELNS0_4arch9wavefront6targetE1EEEvSN_,"axG",@progbits,_ZN7rocprim17ROCPRIM_400000_NS6detail17trampoline_kernelINS0_14default_configENS1_22reduce_config_selectorIiEEZNS1_11reduce_implILb1ES3_N6thrust23THRUST_200600_302600_NS11hip_rocprim35transform_pair_of_input_iterators_tIiPN3c104HalfESD_NS8_12not_equal_toISC_EEEEPiiNS8_4plusIiEEEE10hipError_tPvRmT1_T2_T3_mT4_P12ihipStream_tbEUlT_E0_NS1_11comp_targetILNS1_3genE2ELNS1_11target_archE906ELNS1_3gpuE6ELNS1_3repE0EEENS1_30default_config_static_selectorELNS0_4arch9wavefront6targetE1EEEvSN_,comdat
	.protected	_ZN7rocprim17ROCPRIM_400000_NS6detail17trampoline_kernelINS0_14default_configENS1_22reduce_config_selectorIiEEZNS1_11reduce_implILb1ES3_N6thrust23THRUST_200600_302600_NS11hip_rocprim35transform_pair_of_input_iterators_tIiPN3c104HalfESD_NS8_12not_equal_toISC_EEEEPiiNS8_4plusIiEEEE10hipError_tPvRmT1_T2_T3_mT4_P12ihipStream_tbEUlT_E0_NS1_11comp_targetILNS1_3genE2ELNS1_11target_archE906ELNS1_3gpuE6ELNS1_3repE0EEENS1_30default_config_static_selectorELNS0_4arch9wavefront6targetE1EEEvSN_ ; -- Begin function _ZN7rocprim17ROCPRIM_400000_NS6detail17trampoline_kernelINS0_14default_configENS1_22reduce_config_selectorIiEEZNS1_11reduce_implILb1ES3_N6thrust23THRUST_200600_302600_NS11hip_rocprim35transform_pair_of_input_iterators_tIiPN3c104HalfESD_NS8_12not_equal_toISC_EEEEPiiNS8_4plusIiEEEE10hipError_tPvRmT1_T2_T3_mT4_P12ihipStream_tbEUlT_E0_NS1_11comp_targetILNS1_3genE2ELNS1_11target_archE906ELNS1_3gpuE6ELNS1_3repE0EEENS1_30default_config_static_selectorELNS0_4arch9wavefront6targetE1EEEvSN_
	.globl	_ZN7rocprim17ROCPRIM_400000_NS6detail17trampoline_kernelINS0_14default_configENS1_22reduce_config_selectorIiEEZNS1_11reduce_implILb1ES3_N6thrust23THRUST_200600_302600_NS11hip_rocprim35transform_pair_of_input_iterators_tIiPN3c104HalfESD_NS8_12not_equal_toISC_EEEEPiiNS8_4plusIiEEEE10hipError_tPvRmT1_T2_T3_mT4_P12ihipStream_tbEUlT_E0_NS1_11comp_targetILNS1_3genE2ELNS1_11target_archE906ELNS1_3gpuE6ELNS1_3repE0EEENS1_30default_config_static_selectorELNS0_4arch9wavefront6targetE1EEEvSN_
	.p2align	8
	.type	_ZN7rocprim17ROCPRIM_400000_NS6detail17trampoline_kernelINS0_14default_configENS1_22reduce_config_selectorIiEEZNS1_11reduce_implILb1ES3_N6thrust23THRUST_200600_302600_NS11hip_rocprim35transform_pair_of_input_iterators_tIiPN3c104HalfESD_NS8_12not_equal_toISC_EEEEPiiNS8_4plusIiEEEE10hipError_tPvRmT1_T2_T3_mT4_P12ihipStream_tbEUlT_E0_NS1_11comp_targetILNS1_3genE2ELNS1_11target_archE906ELNS1_3gpuE6ELNS1_3repE0EEENS1_30default_config_static_selectorELNS0_4arch9wavefront6targetE1EEEvSN_,@function
_ZN7rocprim17ROCPRIM_400000_NS6detail17trampoline_kernelINS0_14default_configENS1_22reduce_config_selectorIiEEZNS1_11reduce_implILb1ES3_N6thrust23THRUST_200600_302600_NS11hip_rocprim35transform_pair_of_input_iterators_tIiPN3c104HalfESD_NS8_12not_equal_toISC_EEEEPiiNS8_4plusIiEEEE10hipError_tPvRmT1_T2_T3_mT4_P12ihipStream_tbEUlT_E0_NS1_11comp_targetILNS1_3genE2ELNS1_11target_archE906ELNS1_3gpuE6ELNS1_3repE0EEENS1_30default_config_static_selectorELNS0_4arch9wavefront6targetE1EEEvSN_: ; @_ZN7rocprim17ROCPRIM_400000_NS6detail17trampoline_kernelINS0_14default_configENS1_22reduce_config_selectorIiEEZNS1_11reduce_implILb1ES3_N6thrust23THRUST_200600_302600_NS11hip_rocprim35transform_pair_of_input_iterators_tIiPN3c104HalfESD_NS8_12not_equal_toISC_EEEEPiiNS8_4plusIiEEEE10hipError_tPvRmT1_T2_T3_mT4_P12ihipStream_tbEUlT_E0_NS1_11comp_targetILNS1_3genE2ELNS1_11target_archE906ELNS1_3gpuE6ELNS1_3repE0EEENS1_30default_config_static_selectorELNS0_4arch9wavefront6targetE1EEEvSN_
; %bb.0:
	.section	.rodata,"a",@progbits
	.p2align	6, 0x0
	.amdhsa_kernel _ZN7rocprim17ROCPRIM_400000_NS6detail17trampoline_kernelINS0_14default_configENS1_22reduce_config_selectorIiEEZNS1_11reduce_implILb1ES3_N6thrust23THRUST_200600_302600_NS11hip_rocprim35transform_pair_of_input_iterators_tIiPN3c104HalfESD_NS8_12not_equal_toISC_EEEEPiiNS8_4plusIiEEEE10hipError_tPvRmT1_T2_T3_mT4_P12ihipStream_tbEUlT_E0_NS1_11comp_targetILNS1_3genE2ELNS1_11target_archE906ELNS1_3gpuE6ELNS1_3repE0EEENS1_30default_config_static_selectorELNS0_4arch9wavefront6targetE1EEEvSN_
		.amdhsa_group_segment_fixed_size 0
		.amdhsa_private_segment_fixed_size 0
		.amdhsa_kernarg_size 72
		.amdhsa_user_sgpr_count 6
		.amdhsa_user_sgpr_private_segment_buffer 1
		.amdhsa_user_sgpr_dispatch_ptr 0
		.amdhsa_user_sgpr_queue_ptr 0
		.amdhsa_user_sgpr_kernarg_segment_ptr 1
		.amdhsa_user_sgpr_dispatch_id 0
		.amdhsa_user_sgpr_flat_scratch_init 0
		.amdhsa_user_sgpr_kernarg_preload_length 0
		.amdhsa_user_sgpr_kernarg_preload_offset 0
		.amdhsa_user_sgpr_private_segment_size 0
		.amdhsa_uses_dynamic_stack 0
		.amdhsa_system_sgpr_private_segment_wavefront_offset 0
		.amdhsa_system_sgpr_workgroup_id_x 1
		.amdhsa_system_sgpr_workgroup_id_y 0
		.amdhsa_system_sgpr_workgroup_id_z 0
		.amdhsa_system_sgpr_workgroup_info 0
		.amdhsa_system_vgpr_workitem_id 0
		.amdhsa_next_free_vgpr 1
		.amdhsa_next_free_sgpr 0
		.amdhsa_accum_offset 4
		.amdhsa_reserve_vcc 0
		.amdhsa_reserve_flat_scratch 0
		.amdhsa_float_round_mode_32 0
		.amdhsa_float_round_mode_16_64 0
		.amdhsa_float_denorm_mode_32 3
		.amdhsa_float_denorm_mode_16_64 3
		.amdhsa_dx10_clamp 1
		.amdhsa_ieee_mode 1
		.amdhsa_fp16_overflow 0
		.amdhsa_tg_split 0
		.amdhsa_exception_fp_ieee_invalid_op 0
		.amdhsa_exception_fp_denorm_src 0
		.amdhsa_exception_fp_ieee_div_zero 0
		.amdhsa_exception_fp_ieee_overflow 0
		.amdhsa_exception_fp_ieee_underflow 0
		.amdhsa_exception_fp_ieee_inexact 0
		.amdhsa_exception_int_div_zero 0
	.end_amdhsa_kernel
	.section	.text._ZN7rocprim17ROCPRIM_400000_NS6detail17trampoline_kernelINS0_14default_configENS1_22reduce_config_selectorIiEEZNS1_11reduce_implILb1ES3_N6thrust23THRUST_200600_302600_NS11hip_rocprim35transform_pair_of_input_iterators_tIiPN3c104HalfESD_NS8_12not_equal_toISC_EEEEPiiNS8_4plusIiEEEE10hipError_tPvRmT1_T2_T3_mT4_P12ihipStream_tbEUlT_E0_NS1_11comp_targetILNS1_3genE2ELNS1_11target_archE906ELNS1_3gpuE6ELNS1_3repE0EEENS1_30default_config_static_selectorELNS0_4arch9wavefront6targetE1EEEvSN_,"axG",@progbits,_ZN7rocprim17ROCPRIM_400000_NS6detail17trampoline_kernelINS0_14default_configENS1_22reduce_config_selectorIiEEZNS1_11reduce_implILb1ES3_N6thrust23THRUST_200600_302600_NS11hip_rocprim35transform_pair_of_input_iterators_tIiPN3c104HalfESD_NS8_12not_equal_toISC_EEEEPiiNS8_4plusIiEEEE10hipError_tPvRmT1_T2_T3_mT4_P12ihipStream_tbEUlT_E0_NS1_11comp_targetILNS1_3genE2ELNS1_11target_archE906ELNS1_3gpuE6ELNS1_3repE0EEENS1_30default_config_static_selectorELNS0_4arch9wavefront6targetE1EEEvSN_,comdat
.Lfunc_end2186:
	.size	_ZN7rocprim17ROCPRIM_400000_NS6detail17trampoline_kernelINS0_14default_configENS1_22reduce_config_selectorIiEEZNS1_11reduce_implILb1ES3_N6thrust23THRUST_200600_302600_NS11hip_rocprim35transform_pair_of_input_iterators_tIiPN3c104HalfESD_NS8_12not_equal_toISC_EEEEPiiNS8_4plusIiEEEE10hipError_tPvRmT1_T2_T3_mT4_P12ihipStream_tbEUlT_E0_NS1_11comp_targetILNS1_3genE2ELNS1_11target_archE906ELNS1_3gpuE6ELNS1_3repE0EEENS1_30default_config_static_selectorELNS0_4arch9wavefront6targetE1EEEvSN_, .Lfunc_end2186-_ZN7rocprim17ROCPRIM_400000_NS6detail17trampoline_kernelINS0_14default_configENS1_22reduce_config_selectorIiEEZNS1_11reduce_implILb1ES3_N6thrust23THRUST_200600_302600_NS11hip_rocprim35transform_pair_of_input_iterators_tIiPN3c104HalfESD_NS8_12not_equal_toISC_EEEEPiiNS8_4plusIiEEEE10hipError_tPvRmT1_T2_T3_mT4_P12ihipStream_tbEUlT_E0_NS1_11comp_targetILNS1_3genE2ELNS1_11target_archE906ELNS1_3gpuE6ELNS1_3repE0EEENS1_30default_config_static_selectorELNS0_4arch9wavefront6targetE1EEEvSN_
                                        ; -- End function
	.section	.AMDGPU.csdata,"",@progbits
; Kernel info:
; codeLenInByte = 0
; NumSgprs: 4
; NumVgprs: 0
; NumAgprs: 0
; TotalNumVgprs: 0
; ScratchSize: 0
; MemoryBound: 0
; FloatMode: 240
; IeeeMode: 1
; LDSByteSize: 0 bytes/workgroup (compile time only)
; SGPRBlocks: 0
; VGPRBlocks: 0
; NumSGPRsForWavesPerEU: 4
; NumVGPRsForWavesPerEU: 1
; AccumOffset: 4
; Occupancy: 8
; WaveLimiterHint : 0
; COMPUTE_PGM_RSRC2:SCRATCH_EN: 0
; COMPUTE_PGM_RSRC2:USER_SGPR: 6
; COMPUTE_PGM_RSRC2:TRAP_HANDLER: 0
; COMPUTE_PGM_RSRC2:TGID_X_EN: 1
; COMPUTE_PGM_RSRC2:TGID_Y_EN: 0
; COMPUTE_PGM_RSRC2:TGID_Z_EN: 0
; COMPUTE_PGM_RSRC2:TIDIG_COMP_CNT: 0
; COMPUTE_PGM_RSRC3_GFX90A:ACCUM_OFFSET: 0
; COMPUTE_PGM_RSRC3_GFX90A:TG_SPLIT: 0
	.section	.text._ZN7rocprim17ROCPRIM_400000_NS6detail17trampoline_kernelINS0_14default_configENS1_22reduce_config_selectorIiEEZNS1_11reduce_implILb1ES3_N6thrust23THRUST_200600_302600_NS11hip_rocprim35transform_pair_of_input_iterators_tIiPN3c104HalfESD_NS8_12not_equal_toISC_EEEEPiiNS8_4plusIiEEEE10hipError_tPvRmT1_T2_T3_mT4_P12ihipStream_tbEUlT_E0_NS1_11comp_targetILNS1_3genE10ELNS1_11target_archE1201ELNS1_3gpuE5ELNS1_3repE0EEENS1_30default_config_static_selectorELNS0_4arch9wavefront6targetE1EEEvSN_,"axG",@progbits,_ZN7rocprim17ROCPRIM_400000_NS6detail17trampoline_kernelINS0_14default_configENS1_22reduce_config_selectorIiEEZNS1_11reduce_implILb1ES3_N6thrust23THRUST_200600_302600_NS11hip_rocprim35transform_pair_of_input_iterators_tIiPN3c104HalfESD_NS8_12not_equal_toISC_EEEEPiiNS8_4plusIiEEEE10hipError_tPvRmT1_T2_T3_mT4_P12ihipStream_tbEUlT_E0_NS1_11comp_targetILNS1_3genE10ELNS1_11target_archE1201ELNS1_3gpuE5ELNS1_3repE0EEENS1_30default_config_static_selectorELNS0_4arch9wavefront6targetE1EEEvSN_,comdat
	.protected	_ZN7rocprim17ROCPRIM_400000_NS6detail17trampoline_kernelINS0_14default_configENS1_22reduce_config_selectorIiEEZNS1_11reduce_implILb1ES3_N6thrust23THRUST_200600_302600_NS11hip_rocprim35transform_pair_of_input_iterators_tIiPN3c104HalfESD_NS8_12not_equal_toISC_EEEEPiiNS8_4plusIiEEEE10hipError_tPvRmT1_T2_T3_mT4_P12ihipStream_tbEUlT_E0_NS1_11comp_targetILNS1_3genE10ELNS1_11target_archE1201ELNS1_3gpuE5ELNS1_3repE0EEENS1_30default_config_static_selectorELNS0_4arch9wavefront6targetE1EEEvSN_ ; -- Begin function _ZN7rocprim17ROCPRIM_400000_NS6detail17trampoline_kernelINS0_14default_configENS1_22reduce_config_selectorIiEEZNS1_11reduce_implILb1ES3_N6thrust23THRUST_200600_302600_NS11hip_rocprim35transform_pair_of_input_iterators_tIiPN3c104HalfESD_NS8_12not_equal_toISC_EEEEPiiNS8_4plusIiEEEE10hipError_tPvRmT1_T2_T3_mT4_P12ihipStream_tbEUlT_E0_NS1_11comp_targetILNS1_3genE10ELNS1_11target_archE1201ELNS1_3gpuE5ELNS1_3repE0EEENS1_30default_config_static_selectorELNS0_4arch9wavefront6targetE1EEEvSN_
	.globl	_ZN7rocprim17ROCPRIM_400000_NS6detail17trampoline_kernelINS0_14default_configENS1_22reduce_config_selectorIiEEZNS1_11reduce_implILb1ES3_N6thrust23THRUST_200600_302600_NS11hip_rocprim35transform_pair_of_input_iterators_tIiPN3c104HalfESD_NS8_12not_equal_toISC_EEEEPiiNS8_4plusIiEEEE10hipError_tPvRmT1_T2_T3_mT4_P12ihipStream_tbEUlT_E0_NS1_11comp_targetILNS1_3genE10ELNS1_11target_archE1201ELNS1_3gpuE5ELNS1_3repE0EEENS1_30default_config_static_selectorELNS0_4arch9wavefront6targetE1EEEvSN_
	.p2align	8
	.type	_ZN7rocprim17ROCPRIM_400000_NS6detail17trampoline_kernelINS0_14default_configENS1_22reduce_config_selectorIiEEZNS1_11reduce_implILb1ES3_N6thrust23THRUST_200600_302600_NS11hip_rocprim35transform_pair_of_input_iterators_tIiPN3c104HalfESD_NS8_12not_equal_toISC_EEEEPiiNS8_4plusIiEEEE10hipError_tPvRmT1_T2_T3_mT4_P12ihipStream_tbEUlT_E0_NS1_11comp_targetILNS1_3genE10ELNS1_11target_archE1201ELNS1_3gpuE5ELNS1_3repE0EEENS1_30default_config_static_selectorELNS0_4arch9wavefront6targetE1EEEvSN_,@function
_ZN7rocprim17ROCPRIM_400000_NS6detail17trampoline_kernelINS0_14default_configENS1_22reduce_config_selectorIiEEZNS1_11reduce_implILb1ES3_N6thrust23THRUST_200600_302600_NS11hip_rocprim35transform_pair_of_input_iterators_tIiPN3c104HalfESD_NS8_12not_equal_toISC_EEEEPiiNS8_4plusIiEEEE10hipError_tPvRmT1_T2_T3_mT4_P12ihipStream_tbEUlT_E0_NS1_11comp_targetILNS1_3genE10ELNS1_11target_archE1201ELNS1_3gpuE5ELNS1_3repE0EEENS1_30default_config_static_selectorELNS0_4arch9wavefront6targetE1EEEvSN_: ; @_ZN7rocprim17ROCPRIM_400000_NS6detail17trampoline_kernelINS0_14default_configENS1_22reduce_config_selectorIiEEZNS1_11reduce_implILb1ES3_N6thrust23THRUST_200600_302600_NS11hip_rocprim35transform_pair_of_input_iterators_tIiPN3c104HalfESD_NS8_12not_equal_toISC_EEEEPiiNS8_4plusIiEEEE10hipError_tPvRmT1_T2_T3_mT4_P12ihipStream_tbEUlT_E0_NS1_11comp_targetILNS1_3genE10ELNS1_11target_archE1201ELNS1_3gpuE5ELNS1_3repE0EEENS1_30default_config_static_selectorELNS0_4arch9wavefront6targetE1EEEvSN_
; %bb.0:
	.section	.rodata,"a",@progbits
	.p2align	6, 0x0
	.amdhsa_kernel _ZN7rocprim17ROCPRIM_400000_NS6detail17trampoline_kernelINS0_14default_configENS1_22reduce_config_selectorIiEEZNS1_11reduce_implILb1ES3_N6thrust23THRUST_200600_302600_NS11hip_rocprim35transform_pair_of_input_iterators_tIiPN3c104HalfESD_NS8_12not_equal_toISC_EEEEPiiNS8_4plusIiEEEE10hipError_tPvRmT1_T2_T3_mT4_P12ihipStream_tbEUlT_E0_NS1_11comp_targetILNS1_3genE10ELNS1_11target_archE1201ELNS1_3gpuE5ELNS1_3repE0EEENS1_30default_config_static_selectorELNS0_4arch9wavefront6targetE1EEEvSN_
		.amdhsa_group_segment_fixed_size 0
		.amdhsa_private_segment_fixed_size 0
		.amdhsa_kernarg_size 72
		.amdhsa_user_sgpr_count 6
		.amdhsa_user_sgpr_private_segment_buffer 1
		.amdhsa_user_sgpr_dispatch_ptr 0
		.amdhsa_user_sgpr_queue_ptr 0
		.amdhsa_user_sgpr_kernarg_segment_ptr 1
		.amdhsa_user_sgpr_dispatch_id 0
		.amdhsa_user_sgpr_flat_scratch_init 0
		.amdhsa_user_sgpr_kernarg_preload_length 0
		.amdhsa_user_sgpr_kernarg_preload_offset 0
		.amdhsa_user_sgpr_private_segment_size 0
		.amdhsa_uses_dynamic_stack 0
		.amdhsa_system_sgpr_private_segment_wavefront_offset 0
		.amdhsa_system_sgpr_workgroup_id_x 1
		.amdhsa_system_sgpr_workgroup_id_y 0
		.amdhsa_system_sgpr_workgroup_id_z 0
		.amdhsa_system_sgpr_workgroup_info 0
		.amdhsa_system_vgpr_workitem_id 0
		.amdhsa_next_free_vgpr 1
		.amdhsa_next_free_sgpr 0
		.amdhsa_accum_offset 4
		.amdhsa_reserve_vcc 0
		.amdhsa_reserve_flat_scratch 0
		.amdhsa_float_round_mode_32 0
		.amdhsa_float_round_mode_16_64 0
		.amdhsa_float_denorm_mode_32 3
		.amdhsa_float_denorm_mode_16_64 3
		.amdhsa_dx10_clamp 1
		.amdhsa_ieee_mode 1
		.amdhsa_fp16_overflow 0
		.amdhsa_tg_split 0
		.amdhsa_exception_fp_ieee_invalid_op 0
		.amdhsa_exception_fp_denorm_src 0
		.amdhsa_exception_fp_ieee_div_zero 0
		.amdhsa_exception_fp_ieee_overflow 0
		.amdhsa_exception_fp_ieee_underflow 0
		.amdhsa_exception_fp_ieee_inexact 0
		.amdhsa_exception_int_div_zero 0
	.end_amdhsa_kernel
	.section	.text._ZN7rocprim17ROCPRIM_400000_NS6detail17trampoline_kernelINS0_14default_configENS1_22reduce_config_selectorIiEEZNS1_11reduce_implILb1ES3_N6thrust23THRUST_200600_302600_NS11hip_rocprim35transform_pair_of_input_iterators_tIiPN3c104HalfESD_NS8_12not_equal_toISC_EEEEPiiNS8_4plusIiEEEE10hipError_tPvRmT1_T2_T3_mT4_P12ihipStream_tbEUlT_E0_NS1_11comp_targetILNS1_3genE10ELNS1_11target_archE1201ELNS1_3gpuE5ELNS1_3repE0EEENS1_30default_config_static_selectorELNS0_4arch9wavefront6targetE1EEEvSN_,"axG",@progbits,_ZN7rocprim17ROCPRIM_400000_NS6detail17trampoline_kernelINS0_14default_configENS1_22reduce_config_selectorIiEEZNS1_11reduce_implILb1ES3_N6thrust23THRUST_200600_302600_NS11hip_rocprim35transform_pair_of_input_iterators_tIiPN3c104HalfESD_NS8_12not_equal_toISC_EEEEPiiNS8_4plusIiEEEE10hipError_tPvRmT1_T2_T3_mT4_P12ihipStream_tbEUlT_E0_NS1_11comp_targetILNS1_3genE10ELNS1_11target_archE1201ELNS1_3gpuE5ELNS1_3repE0EEENS1_30default_config_static_selectorELNS0_4arch9wavefront6targetE1EEEvSN_,comdat
.Lfunc_end2187:
	.size	_ZN7rocprim17ROCPRIM_400000_NS6detail17trampoline_kernelINS0_14default_configENS1_22reduce_config_selectorIiEEZNS1_11reduce_implILb1ES3_N6thrust23THRUST_200600_302600_NS11hip_rocprim35transform_pair_of_input_iterators_tIiPN3c104HalfESD_NS8_12not_equal_toISC_EEEEPiiNS8_4plusIiEEEE10hipError_tPvRmT1_T2_T3_mT4_P12ihipStream_tbEUlT_E0_NS1_11comp_targetILNS1_3genE10ELNS1_11target_archE1201ELNS1_3gpuE5ELNS1_3repE0EEENS1_30default_config_static_selectorELNS0_4arch9wavefront6targetE1EEEvSN_, .Lfunc_end2187-_ZN7rocprim17ROCPRIM_400000_NS6detail17trampoline_kernelINS0_14default_configENS1_22reduce_config_selectorIiEEZNS1_11reduce_implILb1ES3_N6thrust23THRUST_200600_302600_NS11hip_rocprim35transform_pair_of_input_iterators_tIiPN3c104HalfESD_NS8_12not_equal_toISC_EEEEPiiNS8_4plusIiEEEE10hipError_tPvRmT1_T2_T3_mT4_P12ihipStream_tbEUlT_E0_NS1_11comp_targetILNS1_3genE10ELNS1_11target_archE1201ELNS1_3gpuE5ELNS1_3repE0EEENS1_30default_config_static_selectorELNS0_4arch9wavefront6targetE1EEEvSN_
                                        ; -- End function
	.section	.AMDGPU.csdata,"",@progbits
; Kernel info:
; codeLenInByte = 0
; NumSgprs: 4
; NumVgprs: 0
; NumAgprs: 0
; TotalNumVgprs: 0
; ScratchSize: 0
; MemoryBound: 0
; FloatMode: 240
; IeeeMode: 1
; LDSByteSize: 0 bytes/workgroup (compile time only)
; SGPRBlocks: 0
; VGPRBlocks: 0
; NumSGPRsForWavesPerEU: 4
; NumVGPRsForWavesPerEU: 1
; AccumOffset: 4
; Occupancy: 8
; WaveLimiterHint : 0
; COMPUTE_PGM_RSRC2:SCRATCH_EN: 0
; COMPUTE_PGM_RSRC2:USER_SGPR: 6
; COMPUTE_PGM_RSRC2:TRAP_HANDLER: 0
; COMPUTE_PGM_RSRC2:TGID_X_EN: 1
; COMPUTE_PGM_RSRC2:TGID_Y_EN: 0
; COMPUTE_PGM_RSRC2:TGID_Z_EN: 0
; COMPUTE_PGM_RSRC2:TIDIG_COMP_CNT: 0
; COMPUTE_PGM_RSRC3_GFX90A:ACCUM_OFFSET: 0
; COMPUTE_PGM_RSRC3_GFX90A:TG_SPLIT: 0
	.section	.text._ZN7rocprim17ROCPRIM_400000_NS6detail17trampoline_kernelINS0_14default_configENS1_22reduce_config_selectorIiEEZNS1_11reduce_implILb1ES3_N6thrust23THRUST_200600_302600_NS11hip_rocprim35transform_pair_of_input_iterators_tIiPN3c104HalfESD_NS8_12not_equal_toISC_EEEEPiiNS8_4plusIiEEEE10hipError_tPvRmT1_T2_T3_mT4_P12ihipStream_tbEUlT_E0_NS1_11comp_targetILNS1_3genE10ELNS1_11target_archE1200ELNS1_3gpuE4ELNS1_3repE0EEENS1_30default_config_static_selectorELNS0_4arch9wavefront6targetE1EEEvSN_,"axG",@progbits,_ZN7rocprim17ROCPRIM_400000_NS6detail17trampoline_kernelINS0_14default_configENS1_22reduce_config_selectorIiEEZNS1_11reduce_implILb1ES3_N6thrust23THRUST_200600_302600_NS11hip_rocprim35transform_pair_of_input_iterators_tIiPN3c104HalfESD_NS8_12not_equal_toISC_EEEEPiiNS8_4plusIiEEEE10hipError_tPvRmT1_T2_T3_mT4_P12ihipStream_tbEUlT_E0_NS1_11comp_targetILNS1_3genE10ELNS1_11target_archE1200ELNS1_3gpuE4ELNS1_3repE0EEENS1_30default_config_static_selectorELNS0_4arch9wavefront6targetE1EEEvSN_,comdat
	.protected	_ZN7rocprim17ROCPRIM_400000_NS6detail17trampoline_kernelINS0_14default_configENS1_22reduce_config_selectorIiEEZNS1_11reduce_implILb1ES3_N6thrust23THRUST_200600_302600_NS11hip_rocprim35transform_pair_of_input_iterators_tIiPN3c104HalfESD_NS8_12not_equal_toISC_EEEEPiiNS8_4plusIiEEEE10hipError_tPvRmT1_T2_T3_mT4_P12ihipStream_tbEUlT_E0_NS1_11comp_targetILNS1_3genE10ELNS1_11target_archE1200ELNS1_3gpuE4ELNS1_3repE0EEENS1_30default_config_static_selectorELNS0_4arch9wavefront6targetE1EEEvSN_ ; -- Begin function _ZN7rocprim17ROCPRIM_400000_NS6detail17trampoline_kernelINS0_14default_configENS1_22reduce_config_selectorIiEEZNS1_11reduce_implILb1ES3_N6thrust23THRUST_200600_302600_NS11hip_rocprim35transform_pair_of_input_iterators_tIiPN3c104HalfESD_NS8_12not_equal_toISC_EEEEPiiNS8_4plusIiEEEE10hipError_tPvRmT1_T2_T3_mT4_P12ihipStream_tbEUlT_E0_NS1_11comp_targetILNS1_3genE10ELNS1_11target_archE1200ELNS1_3gpuE4ELNS1_3repE0EEENS1_30default_config_static_selectorELNS0_4arch9wavefront6targetE1EEEvSN_
	.globl	_ZN7rocprim17ROCPRIM_400000_NS6detail17trampoline_kernelINS0_14default_configENS1_22reduce_config_selectorIiEEZNS1_11reduce_implILb1ES3_N6thrust23THRUST_200600_302600_NS11hip_rocprim35transform_pair_of_input_iterators_tIiPN3c104HalfESD_NS8_12not_equal_toISC_EEEEPiiNS8_4plusIiEEEE10hipError_tPvRmT1_T2_T3_mT4_P12ihipStream_tbEUlT_E0_NS1_11comp_targetILNS1_3genE10ELNS1_11target_archE1200ELNS1_3gpuE4ELNS1_3repE0EEENS1_30default_config_static_selectorELNS0_4arch9wavefront6targetE1EEEvSN_
	.p2align	8
	.type	_ZN7rocprim17ROCPRIM_400000_NS6detail17trampoline_kernelINS0_14default_configENS1_22reduce_config_selectorIiEEZNS1_11reduce_implILb1ES3_N6thrust23THRUST_200600_302600_NS11hip_rocprim35transform_pair_of_input_iterators_tIiPN3c104HalfESD_NS8_12not_equal_toISC_EEEEPiiNS8_4plusIiEEEE10hipError_tPvRmT1_T2_T3_mT4_P12ihipStream_tbEUlT_E0_NS1_11comp_targetILNS1_3genE10ELNS1_11target_archE1200ELNS1_3gpuE4ELNS1_3repE0EEENS1_30default_config_static_selectorELNS0_4arch9wavefront6targetE1EEEvSN_,@function
_ZN7rocprim17ROCPRIM_400000_NS6detail17trampoline_kernelINS0_14default_configENS1_22reduce_config_selectorIiEEZNS1_11reduce_implILb1ES3_N6thrust23THRUST_200600_302600_NS11hip_rocprim35transform_pair_of_input_iterators_tIiPN3c104HalfESD_NS8_12not_equal_toISC_EEEEPiiNS8_4plusIiEEEE10hipError_tPvRmT1_T2_T3_mT4_P12ihipStream_tbEUlT_E0_NS1_11comp_targetILNS1_3genE10ELNS1_11target_archE1200ELNS1_3gpuE4ELNS1_3repE0EEENS1_30default_config_static_selectorELNS0_4arch9wavefront6targetE1EEEvSN_: ; @_ZN7rocprim17ROCPRIM_400000_NS6detail17trampoline_kernelINS0_14default_configENS1_22reduce_config_selectorIiEEZNS1_11reduce_implILb1ES3_N6thrust23THRUST_200600_302600_NS11hip_rocprim35transform_pair_of_input_iterators_tIiPN3c104HalfESD_NS8_12not_equal_toISC_EEEEPiiNS8_4plusIiEEEE10hipError_tPvRmT1_T2_T3_mT4_P12ihipStream_tbEUlT_E0_NS1_11comp_targetILNS1_3genE10ELNS1_11target_archE1200ELNS1_3gpuE4ELNS1_3repE0EEENS1_30default_config_static_selectorELNS0_4arch9wavefront6targetE1EEEvSN_
; %bb.0:
	.section	.rodata,"a",@progbits
	.p2align	6, 0x0
	.amdhsa_kernel _ZN7rocprim17ROCPRIM_400000_NS6detail17trampoline_kernelINS0_14default_configENS1_22reduce_config_selectorIiEEZNS1_11reduce_implILb1ES3_N6thrust23THRUST_200600_302600_NS11hip_rocprim35transform_pair_of_input_iterators_tIiPN3c104HalfESD_NS8_12not_equal_toISC_EEEEPiiNS8_4plusIiEEEE10hipError_tPvRmT1_T2_T3_mT4_P12ihipStream_tbEUlT_E0_NS1_11comp_targetILNS1_3genE10ELNS1_11target_archE1200ELNS1_3gpuE4ELNS1_3repE0EEENS1_30default_config_static_selectorELNS0_4arch9wavefront6targetE1EEEvSN_
		.amdhsa_group_segment_fixed_size 0
		.amdhsa_private_segment_fixed_size 0
		.amdhsa_kernarg_size 72
		.amdhsa_user_sgpr_count 6
		.amdhsa_user_sgpr_private_segment_buffer 1
		.amdhsa_user_sgpr_dispatch_ptr 0
		.amdhsa_user_sgpr_queue_ptr 0
		.amdhsa_user_sgpr_kernarg_segment_ptr 1
		.amdhsa_user_sgpr_dispatch_id 0
		.amdhsa_user_sgpr_flat_scratch_init 0
		.amdhsa_user_sgpr_kernarg_preload_length 0
		.amdhsa_user_sgpr_kernarg_preload_offset 0
		.amdhsa_user_sgpr_private_segment_size 0
		.amdhsa_uses_dynamic_stack 0
		.amdhsa_system_sgpr_private_segment_wavefront_offset 0
		.amdhsa_system_sgpr_workgroup_id_x 1
		.amdhsa_system_sgpr_workgroup_id_y 0
		.amdhsa_system_sgpr_workgroup_id_z 0
		.amdhsa_system_sgpr_workgroup_info 0
		.amdhsa_system_vgpr_workitem_id 0
		.amdhsa_next_free_vgpr 1
		.amdhsa_next_free_sgpr 0
		.amdhsa_accum_offset 4
		.amdhsa_reserve_vcc 0
		.amdhsa_reserve_flat_scratch 0
		.amdhsa_float_round_mode_32 0
		.amdhsa_float_round_mode_16_64 0
		.amdhsa_float_denorm_mode_32 3
		.amdhsa_float_denorm_mode_16_64 3
		.amdhsa_dx10_clamp 1
		.amdhsa_ieee_mode 1
		.amdhsa_fp16_overflow 0
		.amdhsa_tg_split 0
		.amdhsa_exception_fp_ieee_invalid_op 0
		.amdhsa_exception_fp_denorm_src 0
		.amdhsa_exception_fp_ieee_div_zero 0
		.amdhsa_exception_fp_ieee_overflow 0
		.amdhsa_exception_fp_ieee_underflow 0
		.amdhsa_exception_fp_ieee_inexact 0
		.amdhsa_exception_int_div_zero 0
	.end_amdhsa_kernel
	.section	.text._ZN7rocprim17ROCPRIM_400000_NS6detail17trampoline_kernelINS0_14default_configENS1_22reduce_config_selectorIiEEZNS1_11reduce_implILb1ES3_N6thrust23THRUST_200600_302600_NS11hip_rocprim35transform_pair_of_input_iterators_tIiPN3c104HalfESD_NS8_12not_equal_toISC_EEEEPiiNS8_4plusIiEEEE10hipError_tPvRmT1_T2_T3_mT4_P12ihipStream_tbEUlT_E0_NS1_11comp_targetILNS1_3genE10ELNS1_11target_archE1200ELNS1_3gpuE4ELNS1_3repE0EEENS1_30default_config_static_selectorELNS0_4arch9wavefront6targetE1EEEvSN_,"axG",@progbits,_ZN7rocprim17ROCPRIM_400000_NS6detail17trampoline_kernelINS0_14default_configENS1_22reduce_config_selectorIiEEZNS1_11reduce_implILb1ES3_N6thrust23THRUST_200600_302600_NS11hip_rocprim35transform_pair_of_input_iterators_tIiPN3c104HalfESD_NS8_12not_equal_toISC_EEEEPiiNS8_4plusIiEEEE10hipError_tPvRmT1_T2_T3_mT4_P12ihipStream_tbEUlT_E0_NS1_11comp_targetILNS1_3genE10ELNS1_11target_archE1200ELNS1_3gpuE4ELNS1_3repE0EEENS1_30default_config_static_selectorELNS0_4arch9wavefront6targetE1EEEvSN_,comdat
.Lfunc_end2188:
	.size	_ZN7rocprim17ROCPRIM_400000_NS6detail17trampoline_kernelINS0_14default_configENS1_22reduce_config_selectorIiEEZNS1_11reduce_implILb1ES3_N6thrust23THRUST_200600_302600_NS11hip_rocprim35transform_pair_of_input_iterators_tIiPN3c104HalfESD_NS8_12not_equal_toISC_EEEEPiiNS8_4plusIiEEEE10hipError_tPvRmT1_T2_T3_mT4_P12ihipStream_tbEUlT_E0_NS1_11comp_targetILNS1_3genE10ELNS1_11target_archE1200ELNS1_3gpuE4ELNS1_3repE0EEENS1_30default_config_static_selectorELNS0_4arch9wavefront6targetE1EEEvSN_, .Lfunc_end2188-_ZN7rocprim17ROCPRIM_400000_NS6detail17trampoline_kernelINS0_14default_configENS1_22reduce_config_selectorIiEEZNS1_11reduce_implILb1ES3_N6thrust23THRUST_200600_302600_NS11hip_rocprim35transform_pair_of_input_iterators_tIiPN3c104HalfESD_NS8_12not_equal_toISC_EEEEPiiNS8_4plusIiEEEE10hipError_tPvRmT1_T2_T3_mT4_P12ihipStream_tbEUlT_E0_NS1_11comp_targetILNS1_3genE10ELNS1_11target_archE1200ELNS1_3gpuE4ELNS1_3repE0EEENS1_30default_config_static_selectorELNS0_4arch9wavefront6targetE1EEEvSN_
                                        ; -- End function
	.section	.AMDGPU.csdata,"",@progbits
; Kernel info:
; codeLenInByte = 0
; NumSgprs: 4
; NumVgprs: 0
; NumAgprs: 0
; TotalNumVgprs: 0
; ScratchSize: 0
; MemoryBound: 0
; FloatMode: 240
; IeeeMode: 1
; LDSByteSize: 0 bytes/workgroup (compile time only)
; SGPRBlocks: 0
; VGPRBlocks: 0
; NumSGPRsForWavesPerEU: 4
; NumVGPRsForWavesPerEU: 1
; AccumOffset: 4
; Occupancy: 8
; WaveLimiterHint : 0
; COMPUTE_PGM_RSRC2:SCRATCH_EN: 0
; COMPUTE_PGM_RSRC2:USER_SGPR: 6
; COMPUTE_PGM_RSRC2:TRAP_HANDLER: 0
; COMPUTE_PGM_RSRC2:TGID_X_EN: 1
; COMPUTE_PGM_RSRC2:TGID_Y_EN: 0
; COMPUTE_PGM_RSRC2:TGID_Z_EN: 0
; COMPUTE_PGM_RSRC2:TIDIG_COMP_CNT: 0
; COMPUTE_PGM_RSRC3_GFX90A:ACCUM_OFFSET: 0
; COMPUTE_PGM_RSRC3_GFX90A:TG_SPLIT: 0
	.section	.text._ZN7rocprim17ROCPRIM_400000_NS6detail17trampoline_kernelINS0_14default_configENS1_22reduce_config_selectorIiEEZNS1_11reduce_implILb1ES3_N6thrust23THRUST_200600_302600_NS11hip_rocprim35transform_pair_of_input_iterators_tIiPN3c104HalfESD_NS8_12not_equal_toISC_EEEEPiiNS8_4plusIiEEEE10hipError_tPvRmT1_T2_T3_mT4_P12ihipStream_tbEUlT_E0_NS1_11comp_targetILNS1_3genE9ELNS1_11target_archE1100ELNS1_3gpuE3ELNS1_3repE0EEENS1_30default_config_static_selectorELNS0_4arch9wavefront6targetE1EEEvSN_,"axG",@progbits,_ZN7rocprim17ROCPRIM_400000_NS6detail17trampoline_kernelINS0_14default_configENS1_22reduce_config_selectorIiEEZNS1_11reduce_implILb1ES3_N6thrust23THRUST_200600_302600_NS11hip_rocprim35transform_pair_of_input_iterators_tIiPN3c104HalfESD_NS8_12not_equal_toISC_EEEEPiiNS8_4plusIiEEEE10hipError_tPvRmT1_T2_T3_mT4_P12ihipStream_tbEUlT_E0_NS1_11comp_targetILNS1_3genE9ELNS1_11target_archE1100ELNS1_3gpuE3ELNS1_3repE0EEENS1_30default_config_static_selectorELNS0_4arch9wavefront6targetE1EEEvSN_,comdat
	.protected	_ZN7rocprim17ROCPRIM_400000_NS6detail17trampoline_kernelINS0_14default_configENS1_22reduce_config_selectorIiEEZNS1_11reduce_implILb1ES3_N6thrust23THRUST_200600_302600_NS11hip_rocprim35transform_pair_of_input_iterators_tIiPN3c104HalfESD_NS8_12not_equal_toISC_EEEEPiiNS8_4plusIiEEEE10hipError_tPvRmT1_T2_T3_mT4_P12ihipStream_tbEUlT_E0_NS1_11comp_targetILNS1_3genE9ELNS1_11target_archE1100ELNS1_3gpuE3ELNS1_3repE0EEENS1_30default_config_static_selectorELNS0_4arch9wavefront6targetE1EEEvSN_ ; -- Begin function _ZN7rocprim17ROCPRIM_400000_NS6detail17trampoline_kernelINS0_14default_configENS1_22reduce_config_selectorIiEEZNS1_11reduce_implILb1ES3_N6thrust23THRUST_200600_302600_NS11hip_rocprim35transform_pair_of_input_iterators_tIiPN3c104HalfESD_NS8_12not_equal_toISC_EEEEPiiNS8_4plusIiEEEE10hipError_tPvRmT1_T2_T3_mT4_P12ihipStream_tbEUlT_E0_NS1_11comp_targetILNS1_3genE9ELNS1_11target_archE1100ELNS1_3gpuE3ELNS1_3repE0EEENS1_30default_config_static_selectorELNS0_4arch9wavefront6targetE1EEEvSN_
	.globl	_ZN7rocprim17ROCPRIM_400000_NS6detail17trampoline_kernelINS0_14default_configENS1_22reduce_config_selectorIiEEZNS1_11reduce_implILb1ES3_N6thrust23THRUST_200600_302600_NS11hip_rocprim35transform_pair_of_input_iterators_tIiPN3c104HalfESD_NS8_12not_equal_toISC_EEEEPiiNS8_4plusIiEEEE10hipError_tPvRmT1_T2_T3_mT4_P12ihipStream_tbEUlT_E0_NS1_11comp_targetILNS1_3genE9ELNS1_11target_archE1100ELNS1_3gpuE3ELNS1_3repE0EEENS1_30default_config_static_selectorELNS0_4arch9wavefront6targetE1EEEvSN_
	.p2align	8
	.type	_ZN7rocprim17ROCPRIM_400000_NS6detail17trampoline_kernelINS0_14default_configENS1_22reduce_config_selectorIiEEZNS1_11reduce_implILb1ES3_N6thrust23THRUST_200600_302600_NS11hip_rocprim35transform_pair_of_input_iterators_tIiPN3c104HalfESD_NS8_12not_equal_toISC_EEEEPiiNS8_4plusIiEEEE10hipError_tPvRmT1_T2_T3_mT4_P12ihipStream_tbEUlT_E0_NS1_11comp_targetILNS1_3genE9ELNS1_11target_archE1100ELNS1_3gpuE3ELNS1_3repE0EEENS1_30default_config_static_selectorELNS0_4arch9wavefront6targetE1EEEvSN_,@function
_ZN7rocprim17ROCPRIM_400000_NS6detail17trampoline_kernelINS0_14default_configENS1_22reduce_config_selectorIiEEZNS1_11reduce_implILb1ES3_N6thrust23THRUST_200600_302600_NS11hip_rocprim35transform_pair_of_input_iterators_tIiPN3c104HalfESD_NS8_12not_equal_toISC_EEEEPiiNS8_4plusIiEEEE10hipError_tPvRmT1_T2_T3_mT4_P12ihipStream_tbEUlT_E0_NS1_11comp_targetILNS1_3genE9ELNS1_11target_archE1100ELNS1_3gpuE3ELNS1_3repE0EEENS1_30default_config_static_selectorELNS0_4arch9wavefront6targetE1EEEvSN_: ; @_ZN7rocprim17ROCPRIM_400000_NS6detail17trampoline_kernelINS0_14default_configENS1_22reduce_config_selectorIiEEZNS1_11reduce_implILb1ES3_N6thrust23THRUST_200600_302600_NS11hip_rocprim35transform_pair_of_input_iterators_tIiPN3c104HalfESD_NS8_12not_equal_toISC_EEEEPiiNS8_4plusIiEEEE10hipError_tPvRmT1_T2_T3_mT4_P12ihipStream_tbEUlT_E0_NS1_11comp_targetILNS1_3genE9ELNS1_11target_archE1100ELNS1_3gpuE3ELNS1_3repE0EEENS1_30default_config_static_selectorELNS0_4arch9wavefront6targetE1EEEvSN_
; %bb.0:
	.section	.rodata,"a",@progbits
	.p2align	6, 0x0
	.amdhsa_kernel _ZN7rocprim17ROCPRIM_400000_NS6detail17trampoline_kernelINS0_14default_configENS1_22reduce_config_selectorIiEEZNS1_11reduce_implILb1ES3_N6thrust23THRUST_200600_302600_NS11hip_rocprim35transform_pair_of_input_iterators_tIiPN3c104HalfESD_NS8_12not_equal_toISC_EEEEPiiNS8_4plusIiEEEE10hipError_tPvRmT1_T2_T3_mT4_P12ihipStream_tbEUlT_E0_NS1_11comp_targetILNS1_3genE9ELNS1_11target_archE1100ELNS1_3gpuE3ELNS1_3repE0EEENS1_30default_config_static_selectorELNS0_4arch9wavefront6targetE1EEEvSN_
		.amdhsa_group_segment_fixed_size 0
		.amdhsa_private_segment_fixed_size 0
		.amdhsa_kernarg_size 72
		.amdhsa_user_sgpr_count 6
		.amdhsa_user_sgpr_private_segment_buffer 1
		.amdhsa_user_sgpr_dispatch_ptr 0
		.amdhsa_user_sgpr_queue_ptr 0
		.amdhsa_user_sgpr_kernarg_segment_ptr 1
		.amdhsa_user_sgpr_dispatch_id 0
		.amdhsa_user_sgpr_flat_scratch_init 0
		.amdhsa_user_sgpr_kernarg_preload_length 0
		.amdhsa_user_sgpr_kernarg_preload_offset 0
		.amdhsa_user_sgpr_private_segment_size 0
		.amdhsa_uses_dynamic_stack 0
		.amdhsa_system_sgpr_private_segment_wavefront_offset 0
		.amdhsa_system_sgpr_workgroup_id_x 1
		.amdhsa_system_sgpr_workgroup_id_y 0
		.amdhsa_system_sgpr_workgroup_id_z 0
		.amdhsa_system_sgpr_workgroup_info 0
		.amdhsa_system_vgpr_workitem_id 0
		.amdhsa_next_free_vgpr 1
		.amdhsa_next_free_sgpr 0
		.amdhsa_accum_offset 4
		.amdhsa_reserve_vcc 0
		.amdhsa_reserve_flat_scratch 0
		.amdhsa_float_round_mode_32 0
		.amdhsa_float_round_mode_16_64 0
		.amdhsa_float_denorm_mode_32 3
		.amdhsa_float_denorm_mode_16_64 3
		.amdhsa_dx10_clamp 1
		.amdhsa_ieee_mode 1
		.amdhsa_fp16_overflow 0
		.amdhsa_tg_split 0
		.amdhsa_exception_fp_ieee_invalid_op 0
		.amdhsa_exception_fp_denorm_src 0
		.amdhsa_exception_fp_ieee_div_zero 0
		.amdhsa_exception_fp_ieee_overflow 0
		.amdhsa_exception_fp_ieee_underflow 0
		.amdhsa_exception_fp_ieee_inexact 0
		.amdhsa_exception_int_div_zero 0
	.end_amdhsa_kernel
	.section	.text._ZN7rocprim17ROCPRIM_400000_NS6detail17trampoline_kernelINS0_14default_configENS1_22reduce_config_selectorIiEEZNS1_11reduce_implILb1ES3_N6thrust23THRUST_200600_302600_NS11hip_rocprim35transform_pair_of_input_iterators_tIiPN3c104HalfESD_NS8_12not_equal_toISC_EEEEPiiNS8_4plusIiEEEE10hipError_tPvRmT1_T2_T3_mT4_P12ihipStream_tbEUlT_E0_NS1_11comp_targetILNS1_3genE9ELNS1_11target_archE1100ELNS1_3gpuE3ELNS1_3repE0EEENS1_30default_config_static_selectorELNS0_4arch9wavefront6targetE1EEEvSN_,"axG",@progbits,_ZN7rocprim17ROCPRIM_400000_NS6detail17trampoline_kernelINS0_14default_configENS1_22reduce_config_selectorIiEEZNS1_11reduce_implILb1ES3_N6thrust23THRUST_200600_302600_NS11hip_rocprim35transform_pair_of_input_iterators_tIiPN3c104HalfESD_NS8_12not_equal_toISC_EEEEPiiNS8_4plusIiEEEE10hipError_tPvRmT1_T2_T3_mT4_P12ihipStream_tbEUlT_E0_NS1_11comp_targetILNS1_3genE9ELNS1_11target_archE1100ELNS1_3gpuE3ELNS1_3repE0EEENS1_30default_config_static_selectorELNS0_4arch9wavefront6targetE1EEEvSN_,comdat
.Lfunc_end2189:
	.size	_ZN7rocprim17ROCPRIM_400000_NS6detail17trampoline_kernelINS0_14default_configENS1_22reduce_config_selectorIiEEZNS1_11reduce_implILb1ES3_N6thrust23THRUST_200600_302600_NS11hip_rocprim35transform_pair_of_input_iterators_tIiPN3c104HalfESD_NS8_12not_equal_toISC_EEEEPiiNS8_4plusIiEEEE10hipError_tPvRmT1_T2_T3_mT4_P12ihipStream_tbEUlT_E0_NS1_11comp_targetILNS1_3genE9ELNS1_11target_archE1100ELNS1_3gpuE3ELNS1_3repE0EEENS1_30default_config_static_selectorELNS0_4arch9wavefront6targetE1EEEvSN_, .Lfunc_end2189-_ZN7rocprim17ROCPRIM_400000_NS6detail17trampoline_kernelINS0_14default_configENS1_22reduce_config_selectorIiEEZNS1_11reduce_implILb1ES3_N6thrust23THRUST_200600_302600_NS11hip_rocprim35transform_pair_of_input_iterators_tIiPN3c104HalfESD_NS8_12not_equal_toISC_EEEEPiiNS8_4plusIiEEEE10hipError_tPvRmT1_T2_T3_mT4_P12ihipStream_tbEUlT_E0_NS1_11comp_targetILNS1_3genE9ELNS1_11target_archE1100ELNS1_3gpuE3ELNS1_3repE0EEENS1_30default_config_static_selectorELNS0_4arch9wavefront6targetE1EEEvSN_
                                        ; -- End function
	.section	.AMDGPU.csdata,"",@progbits
; Kernel info:
; codeLenInByte = 0
; NumSgprs: 4
; NumVgprs: 0
; NumAgprs: 0
; TotalNumVgprs: 0
; ScratchSize: 0
; MemoryBound: 0
; FloatMode: 240
; IeeeMode: 1
; LDSByteSize: 0 bytes/workgroup (compile time only)
; SGPRBlocks: 0
; VGPRBlocks: 0
; NumSGPRsForWavesPerEU: 4
; NumVGPRsForWavesPerEU: 1
; AccumOffset: 4
; Occupancy: 8
; WaveLimiterHint : 0
; COMPUTE_PGM_RSRC2:SCRATCH_EN: 0
; COMPUTE_PGM_RSRC2:USER_SGPR: 6
; COMPUTE_PGM_RSRC2:TRAP_HANDLER: 0
; COMPUTE_PGM_RSRC2:TGID_X_EN: 1
; COMPUTE_PGM_RSRC2:TGID_Y_EN: 0
; COMPUTE_PGM_RSRC2:TGID_Z_EN: 0
; COMPUTE_PGM_RSRC2:TIDIG_COMP_CNT: 0
; COMPUTE_PGM_RSRC3_GFX90A:ACCUM_OFFSET: 0
; COMPUTE_PGM_RSRC3_GFX90A:TG_SPLIT: 0
	.section	.text._ZN7rocprim17ROCPRIM_400000_NS6detail17trampoline_kernelINS0_14default_configENS1_22reduce_config_selectorIiEEZNS1_11reduce_implILb1ES3_N6thrust23THRUST_200600_302600_NS11hip_rocprim35transform_pair_of_input_iterators_tIiPN3c104HalfESD_NS8_12not_equal_toISC_EEEEPiiNS8_4plusIiEEEE10hipError_tPvRmT1_T2_T3_mT4_P12ihipStream_tbEUlT_E0_NS1_11comp_targetILNS1_3genE8ELNS1_11target_archE1030ELNS1_3gpuE2ELNS1_3repE0EEENS1_30default_config_static_selectorELNS0_4arch9wavefront6targetE1EEEvSN_,"axG",@progbits,_ZN7rocprim17ROCPRIM_400000_NS6detail17trampoline_kernelINS0_14default_configENS1_22reduce_config_selectorIiEEZNS1_11reduce_implILb1ES3_N6thrust23THRUST_200600_302600_NS11hip_rocprim35transform_pair_of_input_iterators_tIiPN3c104HalfESD_NS8_12not_equal_toISC_EEEEPiiNS8_4plusIiEEEE10hipError_tPvRmT1_T2_T3_mT4_P12ihipStream_tbEUlT_E0_NS1_11comp_targetILNS1_3genE8ELNS1_11target_archE1030ELNS1_3gpuE2ELNS1_3repE0EEENS1_30default_config_static_selectorELNS0_4arch9wavefront6targetE1EEEvSN_,comdat
	.protected	_ZN7rocprim17ROCPRIM_400000_NS6detail17trampoline_kernelINS0_14default_configENS1_22reduce_config_selectorIiEEZNS1_11reduce_implILb1ES3_N6thrust23THRUST_200600_302600_NS11hip_rocprim35transform_pair_of_input_iterators_tIiPN3c104HalfESD_NS8_12not_equal_toISC_EEEEPiiNS8_4plusIiEEEE10hipError_tPvRmT1_T2_T3_mT4_P12ihipStream_tbEUlT_E0_NS1_11comp_targetILNS1_3genE8ELNS1_11target_archE1030ELNS1_3gpuE2ELNS1_3repE0EEENS1_30default_config_static_selectorELNS0_4arch9wavefront6targetE1EEEvSN_ ; -- Begin function _ZN7rocprim17ROCPRIM_400000_NS6detail17trampoline_kernelINS0_14default_configENS1_22reduce_config_selectorIiEEZNS1_11reduce_implILb1ES3_N6thrust23THRUST_200600_302600_NS11hip_rocprim35transform_pair_of_input_iterators_tIiPN3c104HalfESD_NS8_12not_equal_toISC_EEEEPiiNS8_4plusIiEEEE10hipError_tPvRmT1_T2_T3_mT4_P12ihipStream_tbEUlT_E0_NS1_11comp_targetILNS1_3genE8ELNS1_11target_archE1030ELNS1_3gpuE2ELNS1_3repE0EEENS1_30default_config_static_selectorELNS0_4arch9wavefront6targetE1EEEvSN_
	.globl	_ZN7rocprim17ROCPRIM_400000_NS6detail17trampoline_kernelINS0_14default_configENS1_22reduce_config_selectorIiEEZNS1_11reduce_implILb1ES3_N6thrust23THRUST_200600_302600_NS11hip_rocprim35transform_pair_of_input_iterators_tIiPN3c104HalfESD_NS8_12not_equal_toISC_EEEEPiiNS8_4plusIiEEEE10hipError_tPvRmT1_T2_T3_mT4_P12ihipStream_tbEUlT_E0_NS1_11comp_targetILNS1_3genE8ELNS1_11target_archE1030ELNS1_3gpuE2ELNS1_3repE0EEENS1_30default_config_static_selectorELNS0_4arch9wavefront6targetE1EEEvSN_
	.p2align	8
	.type	_ZN7rocprim17ROCPRIM_400000_NS6detail17trampoline_kernelINS0_14default_configENS1_22reduce_config_selectorIiEEZNS1_11reduce_implILb1ES3_N6thrust23THRUST_200600_302600_NS11hip_rocprim35transform_pair_of_input_iterators_tIiPN3c104HalfESD_NS8_12not_equal_toISC_EEEEPiiNS8_4plusIiEEEE10hipError_tPvRmT1_T2_T3_mT4_P12ihipStream_tbEUlT_E0_NS1_11comp_targetILNS1_3genE8ELNS1_11target_archE1030ELNS1_3gpuE2ELNS1_3repE0EEENS1_30default_config_static_selectorELNS0_4arch9wavefront6targetE1EEEvSN_,@function
_ZN7rocprim17ROCPRIM_400000_NS6detail17trampoline_kernelINS0_14default_configENS1_22reduce_config_selectorIiEEZNS1_11reduce_implILb1ES3_N6thrust23THRUST_200600_302600_NS11hip_rocprim35transform_pair_of_input_iterators_tIiPN3c104HalfESD_NS8_12not_equal_toISC_EEEEPiiNS8_4plusIiEEEE10hipError_tPvRmT1_T2_T3_mT4_P12ihipStream_tbEUlT_E0_NS1_11comp_targetILNS1_3genE8ELNS1_11target_archE1030ELNS1_3gpuE2ELNS1_3repE0EEENS1_30default_config_static_selectorELNS0_4arch9wavefront6targetE1EEEvSN_: ; @_ZN7rocprim17ROCPRIM_400000_NS6detail17trampoline_kernelINS0_14default_configENS1_22reduce_config_selectorIiEEZNS1_11reduce_implILb1ES3_N6thrust23THRUST_200600_302600_NS11hip_rocprim35transform_pair_of_input_iterators_tIiPN3c104HalfESD_NS8_12not_equal_toISC_EEEEPiiNS8_4plusIiEEEE10hipError_tPvRmT1_T2_T3_mT4_P12ihipStream_tbEUlT_E0_NS1_11comp_targetILNS1_3genE8ELNS1_11target_archE1030ELNS1_3gpuE2ELNS1_3repE0EEENS1_30default_config_static_selectorELNS0_4arch9wavefront6targetE1EEEvSN_
; %bb.0:
	.section	.rodata,"a",@progbits
	.p2align	6, 0x0
	.amdhsa_kernel _ZN7rocprim17ROCPRIM_400000_NS6detail17trampoline_kernelINS0_14default_configENS1_22reduce_config_selectorIiEEZNS1_11reduce_implILb1ES3_N6thrust23THRUST_200600_302600_NS11hip_rocprim35transform_pair_of_input_iterators_tIiPN3c104HalfESD_NS8_12not_equal_toISC_EEEEPiiNS8_4plusIiEEEE10hipError_tPvRmT1_T2_T3_mT4_P12ihipStream_tbEUlT_E0_NS1_11comp_targetILNS1_3genE8ELNS1_11target_archE1030ELNS1_3gpuE2ELNS1_3repE0EEENS1_30default_config_static_selectorELNS0_4arch9wavefront6targetE1EEEvSN_
		.amdhsa_group_segment_fixed_size 0
		.amdhsa_private_segment_fixed_size 0
		.amdhsa_kernarg_size 72
		.amdhsa_user_sgpr_count 6
		.amdhsa_user_sgpr_private_segment_buffer 1
		.amdhsa_user_sgpr_dispatch_ptr 0
		.amdhsa_user_sgpr_queue_ptr 0
		.amdhsa_user_sgpr_kernarg_segment_ptr 1
		.amdhsa_user_sgpr_dispatch_id 0
		.amdhsa_user_sgpr_flat_scratch_init 0
		.amdhsa_user_sgpr_kernarg_preload_length 0
		.amdhsa_user_sgpr_kernarg_preload_offset 0
		.amdhsa_user_sgpr_private_segment_size 0
		.amdhsa_uses_dynamic_stack 0
		.amdhsa_system_sgpr_private_segment_wavefront_offset 0
		.amdhsa_system_sgpr_workgroup_id_x 1
		.amdhsa_system_sgpr_workgroup_id_y 0
		.amdhsa_system_sgpr_workgroup_id_z 0
		.amdhsa_system_sgpr_workgroup_info 0
		.amdhsa_system_vgpr_workitem_id 0
		.amdhsa_next_free_vgpr 1
		.amdhsa_next_free_sgpr 0
		.amdhsa_accum_offset 4
		.amdhsa_reserve_vcc 0
		.amdhsa_reserve_flat_scratch 0
		.amdhsa_float_round_mode_32 0
		.amdhsa_float_round_mode_16_64 0
		.amdhsa_float_denorm_mode_32 3
		.amdhsa_float_denorm_mode_16_64 3
		.amdhsa_dx10_clamp 1
		.amdhsa_ieee_mode 1
		.amdhsa_fp16_overflow 0
		.amdhsa_tg_split 0
		.amdhsa_exception_fp_ieee_invalid_op 0
		.amdhsa_exception_fp_denorm_src 0
		.amdhsa_exception_fp_ieee_div_zero 0
		.amdhsa_exception_fp_ieee_overflow 0
		.amdhsa_exception_fp_ieee_underflow 0
		.amdhsa_exception_fp_ieee_inexact 0
		.amdhsa_exception_int_div_zero 0
	.end_amdhsa_kernel
	.section	.text._ZN7rocprim17ROCPRIM_400000_NS6detail17trampoline_kernelINS0_14default_configENS1_22reduce_config_selectorIiEEZNS1_11reduce_implILb1ES3_N6thrust23THRUST_200600_302600_NS11hip_rocprim35transform_pair_of_input_iterators_tIiPN3c104HalfESD_NS8_12not_equal_toISC_EEEEPiiNS8_4plusIiEEEE10hipError_tPvRmT1_T2_T3_mT4_P12ihipStream_tbEUlT_E0_NS1_11comp_targetILNS1_3genE8ELNS1_11target_archE1030ELNS1_3gpuE2ELNS1_3repE0EEENS1_30default_config_static_selectorELNS0_4arch9wavefront6targetE1EEEvSN_,"axG",@progbits,_ZN7rocprim17ROCPRIM_400000_NS6detail17trampoline_kernelINS0_14default_configENS1_22reduce_config_selectorIiEEZNS1_11reduce_implILb1ES3_N6thrust23THRUST_200600_302600_NS11hip_rocprim35transform_pair_of_input_iterators_tIiPN3c104HalfESD_NS8_12not_equal_toISC_EEEEPiiNS8_4plusIiEEEE10hipError_tPvRmT1_T2_T3_mT4_P12ihipStream_tbEUlT_E0_NS1_11comp_targetILNS1_3genE8ELNS1_11target_archE1030ELNS1_3gpuE2ELNS1_3repE0EEENS1_30default_config_static_selectorELNS0_4arch9wavefront6targetE1EEEvSN_,comdat
.Lfunc_end2190:
	.size	_ZN7rocprim17ROCPRIM_400000_NS6detail17trampoline_kernelINS0_14default_configENS1_22reduce_config_selectorIiEEZNS1_11reduce_implILb1ES3_N6thrust23THRUST_200600_302600_NS11hip_rocprim35transform_pair_of_input_iterators_tIiPN3c104HalfESD_NS8_12not_equal_toISC_EEEEPiiNS8_4plusIiEEEE10hipError_tPvRmT1_T2_T3_mT4_P12ihipStream_tbEUlT_E0_NS1_11comp_targetILNS1_3genE8ELNS1_11target_archE1030ELNS1_3gpuE2ELNS1_3repE0EEENS1_30default_config_static_selectorELNS0_4arch9wavefront6targetE1EEEvSN_, .Lfunc_end2190-_ZN7rocprim17ROCPRIM_400000_NS6detail17trampoline_kernelINS0_14default_configENS1_22reduce_config_selectorIiEEZNS1_11reduce_implILb1ES3_N6thrust23THRUST_200600_302600_NS11hip_rocprim35transform_pair_of_input_iterators_tIiPN3c104HalfESD_NS8_12not_equal_toISC_EEEEPiiNS8_4plusIiEEEE10hipError_tPvRmT1_T2_T3_mT4_P12ihipStream_tbEUlT_E0_NS1_11comp_targetILNS1_3genE8ELNS1_11target_archE1030ELNS1_3gpuE2ELNS1_3repE0EEENS1_30default_config_static_selectorELNS0_4arch9wavefront6targetE1EEEvSN_
                                        ; -- End function
	.section	.AMDGPU.csdata,"",@progbits
; Kernel info:
; codeLenInByte = 0
; NumSgprs: 4
; NumVgprs: 0
; NumAgprs: 0
; TotalNumVgprs: 0
; ScratchSize: 0
; MemoryBound: 0
; FloatMode: 240
; IeeeMode: 1
; LDSByteSize: 0 bytes/workgroup (compile time only)
; SGPRBlocks: 0
; VGPRBlocks: 0
; NumSGPRsForWavesPerEU: 4
; NumVGPRsForWavesPerEU: 1
; AccumOffset: 4
; Occupancy: 8
; WaveLimiterHint : 0
; COMPUTE_PGM_RSRC2:SCRATCH_EN: 0
; COMPUTE_PGM_RSRC2:USER_SGPR: 6
; COMPUTE_PGM_RSRC2:TRAP_HANDLER: 0
; COMPUTE_PGM_RSRC2:TGID_X_EN: 1
; COMPUTE_PGM_RSRC2:TGID_Y_EN: 0
; COMPUTE_PGM_RSRC2:TGID_Z_EN: 0
; COMPUTE_PGM_RSRC2:TIDIG_COMP_CNT: 0
; COMPUTE_PGM_RSRC3_GFX90A:ACCUM_OFFSET: 0
; COMPUTE_PGM_RSRC3_GFX90A:TG_SPLIT: 0
	.section	.text._ZN7rocprim17ROCPRIM_400000_NS6detail17trampoline_kernelINS0_14default_configENS1_22reduce_config_selectorIiEEZNS1_11reduce_implILb1ES3_N6thrust23THRUST_200600_302600_NS11hip_rocprim35transform_pair_of_input_iterators_tIiPN3c104HalfESD_NS8_12not_equal_toISC_EEEEPiiNS8_4plusIiEEEE10hipError_tPvRmT1_T2_T3_mT4_P12ihipStream_tbEUlT_E1_NS1_11comp_targetILNS1_3genE0ELNS1_11target_archE4294967295ELNS1_3gpuE0ELNS1_3repE0EEENS1_30default_config_static_selectorELNS0_4arch9wavefront6targetE1EEEvSN_,"axG",@progbits,_ZN7rocprim17ROCPRIM_400000_NS6detail17trampoline_kernelINS0_14default_configENS1_22reduce_config_selectorIiEEZNS1_11reduce_implILb1ES3_N6thrust23THRUST_200600_302600_NS11hip_rocprim35transform_pair_of_input_iterators_tIiPN3c104HalfESD_NS8_12not_equal_toISC_EEEEPiiNS8_4plusIiEEEE10hipError_tPvRmT1_T2_T3_mT4_P12ihipStream_tbEUlT_E1_NS1_11comp_targetILNS1_3genE0ELNS1_11target_archE4294967295ELNS1_3gpuE0ELNS1_3repE0EEENS1_30default_config_static_selectorELNS0_4arch9wavefront6targetE1EEEvSN_,comdat
	.protected	_ZN7rocprim17ROCPRIM_400000_NS6detail17trampoline_kernelINS0_14default_configENS1_22reduce_config_selectorIiEEZNS1_11reduce_implILb1ES3_N6thrust23THRUST_200600_302600_NS11hip_rocprim35transform_pair_of_input_iterators_tIiPN3c104HalfESD_NS8_12not_equal_toISC_EEEEPiiNS8_4plusIiEEEE10hipError_tPvRmT1_T2_T3_mT4_P12ihipStream_tbEUlT_E1_NS1_11comp_targetILNS1_3genE0ELNS1_11target_archE4294967295ELNS1_3gpuE0ELNS1_3repE0EEENS1_30default_config_static_selectorELNS0_4arch9wavefront6targetE1EEEvSN_ ; -- Begin function _ZN7rocprim17ROCPRIM_400000_NS6detail17trampoline_kernelINS0_14default_configENS1_22reduce_config_selectorIiEEZNS1_11reduce_implILb1ES3_N6thrust23THRUST_200600_302600_NS11hip_rocprim35transform_pair_of_input_iterators_tIiPN3c104HalfESD_NS8_12not_equal_toISC_EEEEPiiNS8_4plusIiEEEE10hipError_tPvRmT1_T2_T3_mT4_P12ihipStream_tbEUlT_E1_NS1_11comp_targetILNS1_3genE0ELNS1_11target_archE4294967295ELNS1_3gpuE0ELNS1_3repE0EEENS1_30default_config_static_selectorELNS0_4arch9wavefront6targetE1EEEvSN_
	.globl	_ZN7rocprim17ROCPRIM_400000_NS6detail17trampoline_kernelINS0_14default_configENS1_22reduce_config_selectorIiEEZNS1_11reduce_implILb1ES3_N6thrust23THRUST_200600_302600_NS11hip_rocprim35transform_pair_of_input_iterators_tIiPN3c104HalfESD_NS8_12not_equal_toISC_EEEEPiiNS8_4plusIiEEEE10hipError_tPvRmT1_T2_T3_mT4_P12ihipStream_tbEUlT_E1_NS1_11comp_targetILNS1_3genE0ELNS1_11target_archE4294967295ELNS1_3gpuE0ELNS1_3repE0EEENS1_30default_config_static_selectorELNS0_4arch9wavefront6targetE1EEEvSN_
	.p2align	8
	.type	_ZN7rocprim17ROCPRIM_400000_NS6detail17trampoline_kernelINS0_14default_configENS1_22reduce_config_selectorIiEEZNS1_11reduce_implILb1ES3_N6thrust23THRUST_200600_302600_NS11hip_rocprim35transform_pair_of_input_iterators_tIiPN3c104HalfESD_NS8_12not_equal_toISC_EEEEPiiNS8_4plusIiEEEE10hipError_tPvRmT1_T2_T3_mT4_P12ihipStream_tbEUlT_E1_NS1_11comp_targetILNS1_3genE0ELNS1_11target_archE4294967295ELNS1_3gpuE0ELNS1_3repE0EEENS1_30default_config_static_selectorELNS0_4arch9wavefront6targetE1EEEvSN_,@function
_ZN7rocprim17ROCPRIM_400000_NS6detail17trampoline_kernelINS0_14default_configENS1_22reduce_config_selectorIiEEZNS1_11reduce_implILb1ES3_N6thrust23THRUST_200600_302600_NS11hip_rocprim35transform_pair_of_input_iterators_tIiPN3c104HalfESD_NS8_12not_equal_toISC_EEEEPiiNS8_4plusIiEEEE10hipError_tPvRmT1_T2_T3_mT4_P12ihipStream_tbEUlT_E1_NS1_11comp_targetILNS1_3genE0ELNS1_11target_archE4294967295ELNS1_3gpuE0ELNS1_3repE0EEENS1_30default_config_static_selectorELNS0_4arch9wavefront6targetE1EEEvSN_: ; @_ZN7rocprim17ROCPRIM_400000_NS6detail17trampoline_kernelINS0_14default_configENS1_22reduce_config_selectorIiEEZNS1_11reduce_implILb1ES3_N6thrust23THRUST_200600_302600_NS11hip_rocprim35transform_pair_of_input_iterators_tIiPN3c104HalfESD_NS8_12not_equal_toISC_EEEEPiiNS8_4plusIiEEEE10hipError_tPvRmT1_T2_T3_mT4_P12ihipStream_tbEUlT_E1_NS1_11comp_targetILNS1_3genE0ELNS1_11target_archE4294967295ELNS1_3gpuE0ELNS1_3repE0EEENS1_30default_config_static_selectorELNS0_4arch9wavefront6targetE1EEEvSN_
; %bb.0:
	.section	.rodata,"a",@progbits
	.p2align	6, 0x0
	.amdhsa_kernel _ZN7rocprim17ROCPRIM_400000_NS6detail17trampoline_kernelINS0_14default_configENS1_22reduce_config_selectorIiEEZNS1_11reduce_implILb1ES3_N6thrust23THRUST_200600_302600_NS11hip_rocprim35transform_pair_of_input_iterators_tIiPN3c104HalfESD_NS8_12not_equal_toISC_EEEEPiiNS8_4plusIiEEEE10hipError_tPvRmT1_T2_T3_mT4_P12ihipStream_tbEUlT_E1_NS1_11comp_targetILNS1_3genE0ELNS1_11target_archE4294967295ELNS1_3gpuE0ELNS1_3repE0EEENS1_30default_config_static_selectorELNS0_4arch9wavefront6targetE1EEEvSN_
		.amdhsa_group_segment_fixed_size 0
		.amdhsa_private_segment_fixed_size 0
		.amdhsa_kernarg_size 56
		.amdhsa_user_sgpr_count 6
		.amdhsa_user_sgpr_private_segment_buffer 1
		.amdhsa_user_sgpr_dispatch_ptr 0
		.amdhsa_user_sgpr_queue_ptr 0
		.amdhsa_user_sgpr_kernarg_segment_ptr 1
		.amdhsa_user_sgpr_dispatch_id 0
		.amdhsa_user_sgpr_flat_scratch_init 0
		.amdhsa_user_sgpr_kernarg_preload_length 0
		.amdhsa_user_sgpr_kernarg_preload_offset 0
		.amdhsa_user_sgpr_private_segment_size 0
		.amdhsa_uses_dynamic_stack 0
		.amdhsa_system_sgpr_private_segment_wavefront_offset 0
		.amdhsa_system_sgpr_workgroup_id_x 1
		.amdhsa_system_sgpr_workgroup_id_y 0
		.amdhsa_system_sgpr_workgroup_id_z 0
		.amdhsa_system_sgpr_workgroup_info 0
		.amdhsa_system_vgpr_workitem_id 0
		.amdhsa_next_free_vgpr 1
		.amdhsa_next_free_sgpr 0
		.amdhsa_accum_offset 4
		.amdhsa_reserve_vcc 0
		.amdhsa_reserve_flat_scratch 0
		.amdhsa_float_round_mode_32 0
		.amdhsa_float_round_mode_16_64 0
		.amdhsa_float_denorm_mode_32 3
		.amdhsa_float_denorm_mode_16_64 3
		.amdhsa_dx10_clamp 1
		.amdhsa_ieee_mode 1
		.amdhsa_fp16_overflow 0
		.amdhsa_tg_split 0
		.amdhsa_exception_fp_ieee_invalid_op 0
		.amdhsa_exception_fp_denorm_src 0
		.amdhsa_exception_fp_ieee_div_zero 0
		.amdhsa_exception_fp_ieee_overflow 0
		.amdhsa_exception_fp_ieee_underflow 0
		.amdhsa_exception_fp_ieee_inexact 0
		.amdhsa_exception_int_div_zero 0
	.end_amdhsa_kernel
	.section	.text._ZN7rocprim17ROCPRIM_400000_NS6detail17trampoline_kernelINS0_14default_configENS1_22reduce_config_selectorIiEEZNS1_11reduce_implILb1ES3_N6thrust23THRUST_200600_302600_NS11hip_rocprim35transform_pair_of_input_iterators_tIiPN3c104HalfESD_NS8_12not_equal_toISC_EEEEPiiNS8_4plusIiEEEE10hipError_tPvRmT1_T2_T3_mT4_P12ihipStream_tbEUlT_E1_NS1_11comp_targetILNS1_3genE0ELNS1_11target_archE4294967295ELNS1_3gpuE0ELNS1_3repE0EEENS1_30default_config_static_selectorELNS0_4arch9wavefront6targetE1EEEvSN_,"axG",@progbits,_ZN7rocprim17ROCPRIM_400000_NS6detail17trampoline_kernelINS0_14default_configENS1_22reduce_config_selectorIiEEZNS1_11reduce_implILb1ES3_N6thrust23THRUST_200600_302600_NS11hip_rocprim35transform_pair_of_input_iterators_tIiPN3c104HalfESD_NS8_12not_equal_toISC_EEEEPiiNS8_4plusIiEEEE10hipError_tPvRmT1_T2_T3_mT4_P12ihipStream_tbEUlT_E1_NS1_11comp_targetILNS1_3genE0ELNS1_11target_archE4294967295ELNS1_3gpuE0ELNS1_3repE0EEENS1_30default_config_static_selectorELNS0_4arch9wavefront6targetE1EEEvSN_,comdat
.Lfunc_end2191:
	.size	_ZN7rocprim17ROCPRIM_400000_NS6detail17trampoline_kernelINS0_14default_configENS1_22reduce_config_selectorIiEEZNS1_11reduce_implILb1ES3_N6thrust23THRUST_200600_302600_NS11hip_rocprim35transform_pair_of_input_iterators_tIiPN3c104HalfESD_NS8_12not_equal_toISC_EEEEPiiNS8_4plusIiEEEE10hipError_tPvRmT1_T2_T3_mT4_P12ihipStream_tbEUlT_E1_NS1_11comp_targetILNS1_3genE0ELNS1_11target_archE4294967295ELNS1_3gpuE0ELNS1_3repE0EEENS1_30default_config_static_selectorELNS0_4arch9wavefront6targetE1EEEvSN_, .Lfunc_end2191-_ZN7rocprim17ROCPRIM_400000_NS6detail17trampoline_kernelINS0_14default_configENS1_22reduce_config_selectorIiEEZNS1_11reduce_implILb1ES3_N6thrust23THRUST_200600_302600_NS11hip_rocprim35transform_pair_of_input_iterators_tIiPN3c104HalfESD_NS8_12not_equal_toISC_EEEEPiiNS8_4plusIiEEEE10hipError_tPvRmT1_T2_T3_mT4_P12ihipStream_tbEUlT_E1_NS1_11comp_targetILNS1_3genE0ELNS1_11target_archE4294967295ELNS1_3gpuE0ELNS1_3repE0EEENS1_30default_config_static_selectorELNS0_4arch9wavefront6targetE1EEEvSN_
                                        ; -- End function
	.section	.AMDGPU.csdata,"",@progbits
; Kernel info:
; codeLenInByte = 0
; NumSgprs: 4
; NumVgprs: 0
; NumAgprs: 0
; TotalNumVgprs: 0
; ScratchSize: 0
; MemoryBound: 0
; FloatMode: 240
; IeeeMode: 1
; LDSByteSize: 0 bytes/workgroup (compile time only)
; SGPRBlocks: 0
; VGPRBlocks: 0
; NumSGPRsForWavesPerEU: 4
; NumVGPRsForWavesPerEU: 1
; AccumOffset: 4
; Occupancy: 8
; WaveLimiterHint : 0
; COMPUTE_PGM_RSRC2:SCRATCH_EN: 0
; COMPUTE_PGM_RSRC2:USER_SGPR: 6
; COMPUTE_PGM_RSRC2:TRAP_HANDLER: 0
; COMPUTE_PGM_RSRC2:TGID_X_EN: 1
; COMPUTE_PGM_RSRC2:TGID_Y_EN: 0
; COMPUTE_PGM_RSRC2:TGID_Z_EN: 0
; COMPUTE_PGM_RSRC2:TIDIG_COMP_CNT: 0
; COMPUTE_PGM_RSRC3_GFX90A:ACCUM_OFFSET: 0
; COMPUTE_PGM_RSRC3_GFX90A:TG_SPLIT: 0
	.section	.text._ZN7rocprim17ROCPRIM_400000_NS6detail17trampoline_kernelINS0_14default_configENS1_22reduce_config_selectorIiEEZNS1_11reduce_implILb1ES3_N6thrust23THRUST_200600_302600_NS11hip_rocprim35transform_pair_of_input_iterators_tIiPN3c104HalfESD_NS8_12not_equal_toISC_EEEEPiiNS8_4plusIiEEEE10hipError_tPvRmT1_T2_T3_mT4_P12ihipStream_tbEUlT_E1_NS1_11comp_targetILNS1_3genE5ELNS1_11target_archE942ELNS1_3gpuE9ELNS1_3repE0EEENS1_30default_config_static_selectorELNS0_4arch9wavefront6targetE1EEEvSN_,"axG",@progbits,_ZN7rocprim17ROCPRIM_400000_NS6detail17trampoline_kernelINS0_14default_configENS1_22reduce_config_selectorIiEEZNS1_11reduce_implILb1ES3_N6thrust23THRUST_200600_302600_NS11hip_rocprim35transform_pair_of_input_iterators_tIiPN3c104HalfESD_NS8_12not_equal_toISC_EEEEPiiNS8_4plusIiEEEE10hipError_tPvRmT1_T2_T3_mT4_P12ihipStream_tbEUlT_E1_NS1_11comp_targetILNS1_3genE5ELNS1_11target_archE942ELNS1_3gpuE9ELNS1_3repE0EEENS1_30default_config_static_selectorELNS0_4arch9wavefront6targetE1EEEvSN_,comdat
	.protected	_ZN7rocprim17ROCPRIM_400000_NS6detail17trampoline_kernelINS0_14default_configENS1_22reduce_config_selectorIiEEZNS1_11reduce_implILb1ES3_N6thrust23THRUST_200600_302600_NS11hip_rocprim35transform_pair_of_input_iterators_tIiPN3c104HalfESD_NS8_12not_equal_toISC_EEEEPiiNS8_4plusIiEEEE10hipError_tPvRmT1_T2_T3_mT4_P12ihipStream_tbEUlT_E1_NS1_11comp_targetILNS1_3genE5ELNS1_11target_archE942ELNS1_3gpuE9ELNS1_3repE0EEENS1_30default_config_static_selectorELNS0_4arch9wavefront6targetE1EEEvSN_ ; -- Begin function _ZN7rocprim17ROCPRIM_400000_NS6detail17trampoline_kernelINS0_14default_configENS1_22reduce_config_selectorIiEEZNS1_11reduce_implILb1ES3_N6thrust23THRUST_200600_302600_NS11hip_rocprim35transform_pair_of_input_iterators_tIiPN3c104HalfESD_NS8_12not_equal_toISC_EEEEPiiNS8_4plusIiEEEE10hipError_tPvRmT1_T2_T3_mT4_P12ihipStream_tbEUlT_E1_NS1_11comp_targetILNS1_3genE5ELNS1_11target_archE942ELNS1_3gpuE9ELNS1_3repE0EEENS1_30default_config_static_selectorELNS0_4arch9wavefront6targetE1EEEvSN_
	.globl	_ZN7rocprim17ROCPRIM_400000_NS6detail17trampoline_kernelINS0_14default_configENS1_22reduce_config_selectorIiEEZNS1_11reduce_implILb1ES3_N6thrust23THRUST_200600_302600_NS11hip_rocprim35transform_pair_of_input_iterators_tIiPN3c104HalfESD_NS8_12not_equal_toISC_EEEEPiiNS8_4plusIiEEEE10hipError_tPvRmT1_T2_T3_mT4_P12ihipStream_tbEUlT_E1_NS1_11comp_targetILNS1_3genE5ELNS1_11target_archE942ELNS1_3gpuE9ELNS1_3repE0EEENS1_30default_config_static_selectorELNS0_4arch9wavefront6targetE1EEEvSN_
	.p2align	8
	.type	_ZN7rocprim17ROCPRIM_400000_NS6detail17trampoline_kernelINS0_14default_configENS1_22reduce_config_selectorIiEEZNS1_11reduce_implILb1ES3_N6thrust23THRUST_200600_302600_NS11hip_rocprim35transform_pair_of_input_iterators_tIiPN3c104HalfESD_NS8_12not_equal_toISC_EEEEPiiNS8_4plusIiEEEE10hipError_tPvRmT1_T2_T3_mT4_P12ihipStream_tbEUlT_E1_NS1_11comp_targetILNS1_3genE5ELNS1_11target_archE942ELNS1_3gpuE9ELNS1_3repE0EEENS1_30default_config_static_selectorELNS0_4arch9wavefront6targetE1EEEvSN_,@function
_ZN7rocprim17ROCPRIM_400000_NS6detail17trampoline_kernelINS0_14default_configENS1_22reduce_config_selectorIiEEZNS1_11reduce_implILb1ES3_N6thrust23THRUST_200600_302600_NS11hip_rocprim35transform_pair_of_input_iterators_tIiPN3c104HalfESD_NS8_12not_equal_toISC_EEEEPiiNS8_4plusIiEEEE10hipError_tPvRmT1_T2_T3_mT4_P12ihipStream_tbEUlT_E1_NS1_11comp_targetILNS1_3genE5ELNS1_11target_archE942ELNS1_3gpuE9ELNS1_3repE0EEENS1_30default_config_static_selectorELNS0_4arch9wavefront6targetE1EEEvSN_: ; @_ZN7rocprim17ROCPRIM_400000_NS6detail17trampoline_kernelINS0_14default_configENS1_22reduce_config_selectorIiEEZNS1_11reduce_implILb1ES3_N6thrust23THRUST_200600_302600_NS11hip_rocprim35transform_pair_of_input_iterators_tIiPN3c104HalfESD_NS8_12not_equal_toISC_EEEEPiiNS8_4plusIiEEEE10hipError_tPvRmT1_T2_T3_mT4_P12ihipStream_tbEUlT_E1_NS1_11comp_targetILNS1_3genE5ELNS1_11target_archE942ELNS1_3gpuE9ELNS1_3repE0EEENS1_30default_config_static_selectorELNS0_4arch9wavefront6targetE1EEEvSN_
; %bb.0:
	.section	.rodata,"a",@progbits
	.p2align	6, 0x0
	.amdhsa_kernel _ZN7rocprim17ROCPRIM_400000_NS6detail17trampoline_kernelINS0_14default_configENS1_22reduce_config_selectorIiEEZNS1_11reduce_implILb1ES3_N6thrust23THRUST_200600_302600_NS11hip_rocprim35transform_pair_of_input_iterators_tIiPN3c104HalfESD_NS8_12not_equal_toISC_EEEEPiiNS8_4plusIiEEEE10hipError_tPvRmT1_T2_T3_mT4_P12ihipStream_tbEUlT_E1_NS1_11comp_targetILNS1_3genE5ELNS1_11target_archE942ELNS1_3gpuE9ELNS1_3repE0EEENS1_30default_config_static_selectorELNS0_4arch9wavefront6targetE1EEEvSN_
		.amdhsa_group_segment_fixed_size 0
		.amdhsa_private_segment_fixed_size 0
		.amdhsa_kernarg_size 56
		.amdhsa_user_sgpr_count 6
		.amdhsa_user_sgpr_private_segment_buffer 1
		.amdhsa_user_sgpr_dispatch_ptr 0
		.amdhsa_user_sgpr_queue_ptr 0
		.amdhsa_user_sgpr_kernarg_segment_ptr 1
		.amdhsa_user_sgpr_dispatch_id 0
		.amdhsa_user_sgpr_flat_scratch_init 0
		.amdhsa_user_sgpr_kernarg_preload_length 0
		.amdhsa_user_sgpr_kernarg_preload_offset 0
		.amdhsa_user_sgpr_private_segment_size 0
		.amdhsa_uses_dynamic_stack 0
		.amdhsa_system_sgpr_private_segment_wavefront_offset 0
		.amdhsa_system_sgpr_workgroup_id_x 1
		.amdhsa_system_sgpr_workgroup_id_y 0
		.amdhsa_system_sgpr_workgroup_id_z 0
		.amdhsa_system_sgpr_workgroup_info 0
		.amdhsa_system_vgpr_workitem_id 0
		.amdhsa_next_free_vgpr 1
		.amdhsa_next_free_sgpr 0
		.amdhsa_accum_offset 4
		.amdhsa_reserve_vcc 0
		.amdhsa_reserve_flat_scratch 0
		.amdhsa_float_round_mode_32 0
		.amdhsa_float_round_mode_16_64 0
		.amdhsa_float_denorm_mode_32 3
		.amdhsa_float_denorm_mode_16_64 3
		.amdhsa_dx10_clamp 1
		.amdhsa_ieee_mode 1
		.amdhsa_fp16_overflow 0
		.amdhsa_tg_split 0
		.amdhsa_exception_fp_ieee_invalid_op 0
		.amdhsa_exception_fp_denorm_src 0
		.amdhsa_exception_fp_ieee_div_zero 0
		.amdhsa_exception_fp_ieee_overflow 0
		.amdhsa_exception_fp_ieee_underflow 0
		.amdhsa_exception_fp_ieee_inexact 0
		.amdhsa_exception_int_div_zero 0
	.end_amdhsa_kernel
	.section	.text._ZN7rocprim17ROCPRIM_400000_NS6detail17trampoline_kernelINS0_14default_configENS1_22reduce_config_selectorIiEEZNS1_11reduce_implILb1ES3_N6thrust23THRUST_200600_302600_NS11hip_rocprim35transform_pair_of_input_iterators_tIiPN3c104HalfESD_NS8_12not_equal_toISC_EEEEPiiNS8_4plusIiEEEE10hipError_tPvRmT1_T2_T3_mT4_P12ihipStream_tbEUlT_E1_NS1_11comp_targetILNS1_3genE5ELNS1_11target_archE942ELNS1_3gpuE9ELNS1_3repE0EEENS1_30default_config_static_selectorELNS0_4arch9wavefront6targetE1EEEvSN_,"axG",@progbits,_ZN7rocprim17ROCPRIM_400000_NS6detail17trampoline_kernelINS0_14default_configENS1_22reduce_config_selectorIiEEZNS1_11reduce_implILb1ES3_N6thrust23THRUST_200600_302600_NS11hip_rocprim35transform_pair_of_input_iterators_tIiPN3c104HalfESD_NS8_12not_equal_toISC_EEEEPiiNS8_4plusIiEEEE10hipError_tPvRmT1_T2_T3_mT4_P12ihipStream_tbEUlT_E1_NS1_11comp_targetILNS1_3genE5ELNS1_11target_archE942ELNS1_3gpuE9ELNS1_3repE0EEENS1_30default_config_static_selectorELNS0_4arch9wavefront6targetE1EEEvSN_,comdat
.Lfunc_end2192:
	.size	_ZN7rocprim17ROCPRIM_400000_NS6detail17trampoline_kernelINS0_14default_configENS1_22reduce_config_selectorIiEEZNS1_11reduce_implILb1ES3_N6thrust23THRUST_200600_302600_NS11hip_rocprim35transform_pair_of_input_iterators_tIiPN3c104HalfESD_NS8_12not_equal_toISC_EEEEPiiNS8_4plusIiEEEE10hipError_tPvRmT1_T2_T3_mT4_P12ihipStream_tbEUlT_E1_NS1_11comp_targetILNS1_3genE5ELNS1_11target_archE942ELNS1_3gpuE9ELNS1_3repE0EEENS1_30default_config_static_selectorELNS0_4arch9wavefront6targetE1EEEvSN_, .Lfunc_end2192-_ZN7rocprim17ROCPRIM_400000_NS6detail17trampoline_kernelINS0_14default_configENS1_22reduce_config_selectorIiEEZNS1_11reduce_implILb1ES3_N6thrust23THRUST_200600_302600_NS11hip_rocprim35transform_pair_of_input_iterators_tIiPN3c104HalfESD_NS8_12not_equal_toISC_EEEEPiiNS8_4plusIiEEEE10hipError_tPvRmT1_T2_T3_mT4_P12ihipStream_tbEUlT_E1_NS1_11comp_targetILNS1_3genE5ELNS1_11target_archE942ELNS1_3gpuE9ELNS1_3repE0EEENS1_30default_config_static_selectorELNS0_4arch9wavefront6targetE1EEEvSN_
                                        ; -- End function
	.section	.AMDGPU.csdata,"",@progbits
; Kernel info:
; codeLenInByte = 0
; NumSgprs: 4
; NumVgprs: 0
; NumAgprs: 0
; TotalNumVgprs: 0
; ScratchSize: 0
; MemoryBound: 0
; FloatMode: 240
; IeeeMode: 1
; LDSByteSize: 0 bytes/workgroup (compile time only)
; SGPRBlocks: 0
; VGPRBlocks: 0
; NumSGPRsForWavesPerEU: 4
; NumVGPRsForWavesPerEU: 1
; AccumOffset: 4
; Occupancy: 8
; WaveLimiterHint : 0
; COMPUTE_PGM_RSRC2:SCRATCH_EN: 0
; COMPUTE_PGM_RSRC2:USER_SGPR: 6
; COMPUTE_PGM_RSRC2:TRAP_HANDLER: 0
; COMPUTE_PGM_RSRC2:TGID_X_EN: 1
; COMPUTE_PGM_RSRC2:TGID_Y_EN: 0
; COMPUTE_PGM_RSRC2:TGID_Z_EN: 0
; COMPUTE_PGM_RSRC2:TIDIG_COMP_CNT: 0
; COMPUTE_PGM_RSRC3_GFX90A:ACCUM_OFFSET: 0
; COMPUTE_PGM_RSRC3_GFX90A:TG_SPLIT: 0
	.section	.text._ZN7rocprim17ROCPRIM_400000_NS6detail17trampoline_kernelINS0_14default_configENS1_22reduce_config_selectorIiEEZNS1_11reduce_implILb1ES3_N6thrust23THRUST_200600_302600_NS11hip_rocprim35transform_pair_of_input_iterators_tIiPN3c104HalfESD_NS8_12not_equal_toISC_EEEEPiiNS8_4plusIiEEEE10hipError_tPvRmT1_T2_T3_mT4_P12ihipStream_tbEUlT_E1_NS1_11comp_targetILNS1_3genE4ELNS1_11target_archE910ELNS1_3gpuE8ELNS1_3repE0EEENS1_30default_config_static_selectorELNS0_4arch9wavefront6targetE1EEEvSN_,"axG",@progbits,_ZN7rocprim17ROCPRIM_400000_NS6detail17trampoline_kernelINS0_14default_configENS1_22reduce_config_selectorIiEEZNS1_11reduce_implILb1ES3_N6thrust23THRUST_200600_302600_NS11hip_rocprim35transform_pair_of_input_iterators_tIiPN3c104HalfESD_NS8_12not_equal_toISC_EEEEPiiNS8_4plusIiEEEE10hipError_tPvRmT1_T2_T3_mT4_P12ihipStream_tbEUlT_E1_NS1_11comp_targetILNS1_3genE4ELNS1_11target_archE910ELNS1_3gpuE8ELNS1_3repE0EEENS1_30default_config_static_selectorELNS0_4arch9wavefront6targetE1EEEvSN_,comdat
	.protected	_ZN7rocprim17ROCPRIM_400000_NS6detail17trampoline_kernelINS0_14default_configENS1_22reduce_config_selectorIiEEZNS1_11reduce_implILb1ES3_N6thrust23THRUST_200600_302600_NS11hip_rocprim35transform_pair_of_input_iterators_tIiPN3c104HalfESD_NS8_12not_equal_toISC_EEEEPiiNS8_4plusIiEEEE10hipError_tPvRmT1_T2_T3_mT4_P12ihipStream_tbEUlT_E1_NS1_11comp_targetILNS1_3genE4ELNS1_11target_archE910ELNS1_3gpuE8ELNS1_3repE0EEENS1_30default_config_static_selectorELNS0_4arch9wavefront6targetE1EEEvSN_ ; -- Begin function _ZN7rocprim17ROCPRIM_400000_NS6detail17trampoline_kernelINS0_14default_configENS1_22reduce_config_selectorIiEEZNS1_11reduce_implILb1ES3_N6thrust23THRUST_200600_302600_NS11hip_rocprim35transform_pair_of_input_iterators_tIiPN3c104HalfESD_NS8_12not_equal_toISC_EEEEPiiNS8_4plusIiEEEE10hipError_tPvRmT1_T2_T3_mT4_P12ihipStream_tbEUlT_E1_NS1_11comp_targetILNS1_3genE4ELNS1_11target_archE910ELNS1_3gpuE8ELNS1_3repE0EEENS1_30default_config_static_selectorELNS0_4arch9wavefront6targetE1EEEvSN_
	.globl	_ZN7rocprim17ROCPRIM_400000_NS6detail17trampoline_kernelINS0_14default_configENS1_22reduce_config_selectorIiEEZNS1_11reduce_implILb1ES3_N6thrust23THRUST_200600_302600_NS11hip_rocprim35transform_pair_of_input_iterators_tIiPN3c104HalfESD_NS8_12not_equal_toISC_EEEEPiiNS8_4plusIiEEEE10hipError_tPvRmT1_T2_T3_mT4_P12ihipStream_tbEUlT_E1_NS1_11comp_targetILNS1_3genE4ELNS1_11target_archE910ELNS1_3gpuE8ELNS1_3repE0EEENS1_30default_config_static_selectorELNS0_4arch9wavefront6targetE1EEEvSN_
	.p2align	8
	.type	_ZN7rocprim17ROCPRIM_400000_NS6detail17trampoline_kernelINS0_14default_configENS1_22reduce_config_selectorIiEEZNS1_11reduce_implILb1ES3_N6thrust23THRUST_200600_302600_NS11hip_rocprim35transform_pair_of_input_iterators_tIiPN3c104HalfESD_NS8_12not_equal_toISC_EEEEPiiNS8_4plusIiEEEE10hipError_tPvRmT1_T2_T3_mT4_P12ihipStream_tbEUlT_E1_NS1_11comp_targetILNS1_3genE4ELNS1_11target_archE910ELNS1_3gpuE8ELNS1_3repE0EEENS1_30default_config_static_selectorELNS0_4arch9wavefront6targetE1EEEvSN_,@function
_ZN7rocprim17ROCPRIM_400000_NS6detail17trampoline_kernelINS0_14default_configENS1_22reduce_config_selectorIiEEZNS1_11reduce_implILb1ES3_N6thrust23THRUST_200600_302600_NS11hip_rocprim35transform_pair_of_input_iterators_tIiPN3c104HalfESD_NS8_12not_equal_toISC_EEEEPiiNS8_4plusIiEEEE10hipError_tPvRmT1_T2_T3_mT4_P12ihipStream_tbEUlT_E1_NS1_11comp_targetILNS1_3genE4ELNS1_11target_archE910ELNS1_3gpuE8ELNS1_3repE0EEENS1_30default_config_static_selectorELNS0_4arch9wavefront6targetE1EEEvSN_: ; @_ZN7rocprim17ROCPRIM_400000_NS6detail17trampoline_kernelINS0_14default_configENS1_22reduce_config_selectorIiEEZNS1_11reduce_implILb1ES3_N6thrust23THRUST_200600_302600_NS11hip_rocprim35transform_pair_of_input_iterators_tIiPN3c104HalfESD_NS8_12not_equal_toISC_EEEEPiiNS8_4plusIiEEEE10hipError_tPvRmT1_T2_T3_mT4_P12ihipStream_tbEUlT_E1_NS1_11comp_targetILNS1_3genE4ELNS1_11target_archE910ELNS1_3gpuE8ELNS1_3repE0EEENS1_30default_config_static_selectorELNS0_4arch9wavefront6targetE1EEEvSN_
; %bb.0:
	s_load_dword s33, s[4:5], 0x4
	s_load_dwordx4 s[40:43], s[4:5], 0x8
	s_load_dwordx4 s[36:39], s[4:5], 0x20
	s_waitcnt lgkmcnt(0)
	s_cmp_lt_i32 s33, 8
	s_cbranch_scc1 .LBB2193_11
; %bb.1:
	s_cmp_gt_i32 s33, 15
	s_cbranch_scc0 .LBB2193_12
; %bb.2:
	s_cmp_gt_i32 s33, 31
	s_cbranch_scc0 .LBB2193_13
; %bb.3:
	s_cmp_eq_u32 s33, 32
	s_mov_b64 s[8:9], 0
	s_cbranch_scc0 .LBB2193_14
; %bb.4:
	s_mov_b32 s7, 0
	s_lshl_b32 s14, s6, 12
	s_mov_b32 s15, s7
	s_lshr_b64 s[0:1], s[36:37], 12
	s_lshl_b64 s[2:3], s[14:15], 1
	s_add_u32 s10, s40, s2
	s_addc_u32 s11, s41, s3
	s_add_u32 s12, s42, s2
	s_addc_u32 s13, s43, s3
	s_cmp_lg_u64 s[0:1], s[6:7]
	s_cbranch_scc0 .LBB2193_23
; %bb.5:
	v_lshlrev_b32_e32 v1, 1, v0
	global_load_ushort v6, v1, s[10:11]
	global_load_ushort v7, v1, s[12:13]
	global_load_ushort v8, v1, s[10:11] offset:1024
	global_load_ushort v9, v1, s[12:13] offset:1024
	;; [unrolled: 1-line block ×4, first 2 shown]
	v_mov_b32_e32 v2, s11
	v_add_co_u32_e32 v3, vcc, s10, v1
	v_addc_co_u32_e32 v4, vcc, 0, v2, vcc
	v_mov_b32_e32 v2, s13
	v_add_co_u32_e32 v5, vcc, s12, v1
	v_addc_co_u32_e32 v12, vcc, 0, v2, vcc
	s_movk_i32 s0, 0x1000
	v_add_co_u32_e32 v2, vcc, s0, v3
	global_load_ushort v13, v1, s[10:11] offset:512
	global_load_ushort v14, v1, s[12:13] offset:512
	;; [unrolled: 1-line block ×10, first 2 shown]
	v_addc_co_u32_e32 v3, vcc, 0, v4, vcc
	global_load_ushort v23, v[2:3], off
	v_add_co_u32_e32 v4, vcc, s0, v5
	v_addc_co_u32_e32 v5, vcc, 0, v12, vcc
	global_load_ushort v12, v[4:5], off
	global_load_ushort v24, v[2:3], off offset:512
	global_load_ushort v25, v[4:5], off offset:512
	;; [unrolled: 1-line block ×14, first 2 shown]
	global_load_ushort v38, v1, s[10:11] offset:256
	global_load_ushort v39, v1, s[12:13] offset:256
	;; [unrolled: 1-line block ×16, first 2 shown]
	global_load_ushort v54, v[2:3], off offset:256
	global_load_ushort v55, v[4:5], off offset:256
	;; [unrolled: 1-line block ×7, first 2 shown]
	s_waitcnt vmcnt(53)
	v_cmp_neq_f16_e32 vcc, v6, v7
	global_load_ushort v1, v[4:5], off offset:1792
	global_load_ushort v6, v[2:3], off offset:2304
	s_waitcnt vmcnt(53)
	v_cmp_neq_f16_e64 s[0:1], v8, v9
	global_load_ushort v7, v[4:5], off offset:2304
	global_load_ushort v8, v[2:3], off offset:2816
	s_waitcnt vmcnt(53)
	v_cmp_neq_f16_e64 s[2:3], v10, v11
	global_load_ushort v9, v[4:5], off offset:2816
	global_load_ushort v10, v[2:3], off offset:3328
	;; [unrolled: 1-line block ×5, first 2 shown]
	v_cndmask_b32_e64 v2, 0, 1, vcc
	v_cndmask_b32_e64 v4, 0, 1, s[0:1]
	s_waitcnt vmcnt(56)
	v_cmp_neq_f16_e32 vcc, v13, v14
	v_cndmask_b32_e64 v3, 0, 1, vcc
	s_waitcnt vmcnt(54)
	v_cmp_neq_f16_e32 vcc, v15, v16
	v_cndmask_b32_e64 v5, 0, 1, vcc
	s_waitcnt vmcnt(52)
	v_cmp_neq_f16_e32 vcc, v17, v18
	v_cndmask_b32_e64 v14, 0, 1, vcc
	s_waitcnt vmcnt(50)
	v_cmp_neq_f16_e32 vcc, v19, v20
	v_cndmask_b32_e64 v15, 0, 1, vcc
	s_waitcnt vmcnt(48)
	v_cmp_neq_f16_e32 vcc, v21, v22
	v_cndmask_b32_e64 v16, 0, 1, vcc
	v_cndmask_b32_e64 v13, 0, 1, s[2:3]
	s_waitcnt vmcnt(46)
	v_cmp_neq_f16_e32 vcc, v23, v12
	v_cndmask_b32_e64 v12, 0, 1, vcc
	s_waitcnt vmcnt(44)
	v_cmp_neq_f16_e32 vcc, v24, v25
	v_cndmask_b32_e64 v17, 0, 1, vcc
	;; [unrolled: 3-line block ×8, first 2 shown]
	s_waitcnt vmcnt(30)
	v_cmp_neq_f16_e32 vcc, v38, v39
	v_addc_co_u32_e32 v2, vcc, 0, v2, vcc
	s_waitcnt vmcnt(28)
	v_cmp_neq_f16_e32 vcc, v40, v41
	v_addc_co_u32_e32 v2, vcc, v2, v3, vcc
	;; [unrolled: 3-line block ×16, first 2 shown]
	v_mbcnt_lo_u32_b32 v2, -1, 0
	s_nop 0
	v_add_u32_dpp v1, v1, v1 quad_perm:[1,0,3,2] row_mask:0xf bank_mask:0xf bound_ctrl:1
	v_mbcnt_hi_u32_b32 v2, -1, v2
	v_lshlrev_b32_e32 v3, 2, v2
	v_add_u32_dpp v1, v1, v1 quad_perm:[2,3,0,1] row_mask:0xf bank_mask:0xf bound_ctrl:1
	v_or_b32_e32 v4, 0xfc, v3
	v_cmp_eq_u32_e32 vcc, 0, v2
	v_add_u32_dpp v1, v1, v1 row_ror:4 row_mask:0xf bank_mask:0xf bound_ctrl:1
	s_nop 1
	v_add_u32_dpp v1, v1, v1 row_ror:8 row_mask:0xf bank_mask:0xf bound_ctrl:1
	s_nop 1
	v_add_u32_dpp v1, v1, v1 row_bcast:15 row_mask:0xf bank_mask:0xf bound_ctrl:1
	s_nop 1
	v_add_u32_dpp v1, v1, v1 row_bcast:31 row_mask:0xf bank_mask:0xf bound_ctrl:1
	ds_bpermute_b32 v1, v4, v1
	s_and_saveexec_b64 s[0:1], vcc
	s_cbranch_execz .LBB2193_7
; %bb.6:
	v_lshrrev_b32_e32 v4, 4, v0
	v_and_b32_e32 v4, 4, v4
	s_waitcnt lgkmcnt(0)
	ds_write_b32 v4, v1 offset:24
.LBB2193_7:
	s_or_b64 exec, exec, s[0:1]
	v_cmp_gt_u32_e32 vcc, 64, v0
	s_waitcnt lgkmcnt(0)
	s_barrier
	s_and_saveexec_b64 s[0:1], vcc
	s_cbranch_execz .LBB2193_9
; %bb.8:
	v_and_b32_e32 v1, 1, v2
	v_lshlrev_b32_e32 v1, 2, v1
	ds_read_b32 v1, v1 offset:24
	v_or_b32_e32 v2, 4, v3
	s_waitcnt lgkmcnt(0)
	ds_bpermute_b32 v2, v2, v1
	s_waitcnt lgkmcnt(0)
	v_add_u32_e32 v1, v2, v1
.LBB2193_9:
	s_or_b64 exec, exec, s[0:1]
.LBB2193_10:
	v_cmp_eq_u32_e64 s[0:1], 0, v0
	s_and_b64 vcc, exec, s[8:9]
	s_cbranch_vccnz .LBB2193_15
	s_branch .LBB2193_93
.LBB2193_11:
	s_mov_b64 s[0:1], 0
                                        ; implicit-def: $vgpr1
	s_cbranch_execnz .LBB2193_166
	s_branch .LBB2193_224
.LBB2193_12:
	s_mov_b64 s[0:1], 0
                                        ; implicit-def: $vgpr1
	s_cbranch_execnz .LBB2193_134
	s_branch .LBB2193_142
.LBB2193_13:
	s_mov_b64 s[8:9], -1
.LBB2193_14:
	s_mov_b64 s[0:1], 0
                                        ; implicit-def: $vgpr1
	s_and_b64 vcc, exec, s[8:9]
	s_cbranch_vccz .LBB2193_93
.LBB2193_15:
	s_cmp_eq_u32 s33, 16
	s_cbranch_scc0 .LBB2193_22
; %bb.16:
	s_mov_b32 s7, 0
	s_lshl_b32 s0, s6, 11
	s_mov_b32 s1, s7
	s_lshr_b64 s[2:3], s[36:37], 11
	s_lshl_b64 s[8:9], s[0:1], 1
	s_add_u32 s34, s40, s8
	s_addc_u32 s35, s41, s9
	s_add_u32 s44, s42, s8
	s_addc_u32 s45, s43, s9
	s_cmp_lg_u64 s[2:3], s[6:7]
	s_cbranch_scc0 .LBB2193_94
; %bb.17:
	v_lshlrev_b32_e32 v1, 1, v0
	global_load_ushort v4, v1, s[34:35]
	global_load_ushort v5, v1, s[44:45]
	global_load_ushort v6, v1, s[34:35] offset:512
	global_load_ushort v7, v1, s[44:45] offset:512
	;; [unrolled: 1-line block ×30, first 2 shown]
	v_mbcnt_lo_u32_b32 v1, -1, 0
	v_mbcnt_hi_u32_b32 v2, -1, v1
	v_lshlrev_b32_e32 v3, 2, v2
	s_waitcnt vmcnt(30)
	v_cmp_neq_f16_e32 vcc, v4, v5
	v_cndmask_b32_e64 v1, 0, 1, vcc
	s_waitcnt vmcnt(28)
	v_cmp_neq_f16_e32 vcc, v6, v7
	v_cndmask_b32_e64 v4, 0, 1, vcc
	;; [unrolled: 3-line block ×8, first 2 shown]
	s_waitcnt vmcnt(14)
	v_cmp_neq_f16_e32 vcc, v20, v21
	v_addc_co_u32_e32 v1, vcc, 0, v1, vcc
	s_waitcnt vmcnt(12)
	v_cmp_neq_f16_e32 vcc, v22, v23
	v_addc_co_u32_e32 v1, vcc, v1, v4, vcc
	;; [unrolled: 3-line block ×8, first 2 shown]
	v_or_b32_e32 v4, 0xfc, v3
	s_nop 0
	v_add_u32_dpp v1, v1, v1 quad_perm:[1,0,3,2] row_mask:0xf bank_mask:0xf bound_ctrl:1
	v_cmp_eq_u32_e32 vcc, 0, v2
	s_nop 0
	v_add_u32_dpp v1, v1, v1 quad_perm:[2,3,0,1] row_mask:0xf bank_mask:0xf bound_ctrl:1
	s_nop 1
	v_add_u32_dpp v1, v1, v1 row_ror:4 row_mask:0xf bank_mask:0xf bound_ctrl:1
	s_nop 1
	v_add_u32_dpp v1, v1, v1 row_ror:8 row_mask:0xf bank_mask:0xf bound_ctrl:1
	s_nop 1
	v_add_u32_dpp v1, v1, v1 row_bcast:15 row_mask:0xf bank_mask:0xf bound_ctrl:1
	s_nop 1
	v_add_u32_dpp v1, v1, v1 row_bcast:31 row_mask:0xf bank_mask:0xf bound_ctrl:1
	ds_bpermute_b32 v1, v4, v1
	s_and_saveexec_b64 s[2:3], vcc
	s_cbranch_execz .LBB2193_19
; %bb.18:
	v_lshrrev_b32_e32 v4, 4, v0
	v_and_b32_e32 v4, 4, v4
	s_waitcnt lgkmcnt(0)
	ds_write_b32 v4, v1
.LBB2193_19:
	s_or_b64 exec, exec, s[2:3]
	v_cmp_gt_u32_e32 vcc, 64, v0
	s_waitcnt lgkmcnt(0)
	s_barrier
	s_and_saveexec_b64 s[2:3], vcc
	s_cbranch_execz .LBB2193_21
; %bb.20:
	v_and_b32_e32 v1, 1, v2
	v_lshlrev_b32_e32 v1, 2, v1
	ds_read_b32 v1, v1
	v_or_b32_e32 v2, 4, v3
	s_waitcnt lgkmcnt(0)
	ds_bpermute_b32 v2, v2, v1
	s_waitcnt lgkmcnt(0)
	v_add_u32_e32 v1, v2, v1
.LBB2193_21:
	s_or_b64 exec, exec, s[2:3]
	s_mov_b64 s[2:3], 0
	s_branch .LBB2193_95
.LBB2193_22:
                                        ; implicit-def: $vgpr1
	s_branch .LBB2193_142
.LBB2193_23:
                                        ; implicit-def: $vgpr1
	s_cbranch_execz .LBB2193_10
; %bb.24:
	s_sub_i32 s2, s36, s14
	v_cmp_gt_u32_e32 vcc, s2, v0
                                        ; implicit-def: $vgpr1
	s_and_saveexec_b64 s[0:1], vcc
	s_cbranch_execz .LBB2193_26
; %bb.25:
	v_lshlrev_b32_e32 v1, 1, v0
	global_load_ushort v2, v1, s[10:11]
	global_load_ushort v3, v1, s[12:13]
	s_waitcnt vmcnt(0)
	v_cmp_neq_f16_e32 vcc, v2, v3
	v_cndmask_b32_e64 v1, 0, 1, vcc
.LBB2193_26:
	s_or_b64 exec, exec, s[0:1]
	v_or_b32_e32 v2, 0x80, v0
	v_cmp_gt_u32_e32 vcc, s2, v2
	v_mov_b32_e32 v2, 0
	v_mov_b32_e32 v3, 0
	s_and_saveexec_b64 s[0:1], vcc
	s_cbranch_execz .LBB2193_28
; %bb.27:
	v_lshlrev_b32_e32 v3, 1, v0
	global_load_ushort v4, v3, s[10:11] offset:256
	global_load_ushort v5, v3, s[12:13] offset:256
	s_waitcnt vmcnt(0)
	v_cmp_neq_f16_e32 vcc, v4, v5
	v_cndmask_b32_e64 v3, 0, 1, vcc
.LBB2193_28:
	s_or_b64 exec, exec, s[0:1]
	v_or_b32_e32 v4, 0x100, v0
	v_cmp_gt_u32_e32 vcc, s2, v4
	s_and_saveexec_b64 s[0:1], vcc
	s_cbranch_execz .LBB2193_30
; %bb.29:
	v_lshlrev_b32_e32 v2, 1, v0
	global_load_ushort v4, v2, s[10:11] offset:512
	global_load_ushort v5, v2, s[12:13] offset:512
	s_waitcnt vmcnt(0)
	v_cmp_neq_f16_e32 vcc, v4, v5
	v_cndmask_b32_e64 v2, 0, 1, vcc
.LBB2193_30:
	s_or_b64 exec, exec, s[0:1]
	v_or_b32_e32 v4, 0x180, v0
	v_cmp_gt_u32_e32 vcc, s2, v4
	v_mov_b32_e32 v4, 0
	v_mov_b32_e32 v5, 0
	s_and_saveexec_b64 s[0:1], vcc
	s_cbranch_execz .LBB2193_32
; %bb.31:
	v_lshlrev_b32_e32 v5, 1, v0
	global_load_ushort v6, v5, s[10:11] offset:768
	global_load_ushort v7, v5, s[12:13] offset:768
	s_waitcnt vmcnt(0)
	v_cmp_neq_f16_e32 vcc, v6, v7
	v_cndmask_b32_e64 v5, 0, 1, vcc
.LBB2193_32:
	s_or_b64 exec, exec, s[0:1]
	v_or_b32_e32 v6, 0x200, v0
	v_cmp_gt_u32_e32 vcc, s2, v6
	s_and_saveexec_b64 s[0:1], vcc
	s_cbranch_execz .LBB2193_34
; %bb.33:
	v_lshlrev_b32_e32 v4, 1, v0
	global_load_ushort v6, v4, s[10:11] offset:1024
	global_load_ushort v7, v4, s[12:13] offset:1024
	s_waitcnt vmcnt(0)
	v_cmp_neq_f16_e32 vcc, v6, v7
	v_cndmask_b32_e64 v4, 0, 1, vcc
.LBB2193_34:
	;; [unrolled: 28-line block ×7, first 2 shown]
	s_or_b64 exec, exec, s[0:1]
	v_or_b32_e32 v16, 0x780, v0
	v_cmp_gt_u32_e32 vcc, s2, v16
	v_mov_b32_e32 v16, 0
	v_mov_b32_e32 v17, 0
	s_and_saveexec_b64 s[0:1], vcc
	s_cbranch_execz .LBB2193_56
; %bb.55:
	v_lshlrev_b32_e32 v17, 1, v0
	global_load_ushort v18, v17, s[10:11] offset:3840
	global_load_ushort v19, v17, s[12:13] offset:3840
	s_waitcnt vmcnt(0)
	v_cmp_neq_f16_e32 vcc, v18, v19
	v_cndmask_b32_e64 v17, 0, 1, vcc
.LBB2193_56:
	s_or_b64 exec, exec, s[0:1]
	v_or_b32_e32 v18, 0x800, v0
	v_cmp_gt_u32_e32 vcc, s2, v18
	s_and_saveexec_b64 s[0:1], vcc
	s_cbranch_execz .LBB2193_58
; %bb.57:
	v_lshlrev_b32_e32 v16, 1, v18
	global_load_ushort v18, v16, s[10:11]
	global_load_ushort v19, v16, s[12:13]
	s_waitcnt vmcnt(0)
	v_cmp_neq_f16_e32 vcc, v18, v19
	v_cndmask_b32_e64 v16, 0, 1, vcc
.LBB2193_58:
	s_or_b64 exec, exec, s[0:1]
	v_or_b32_e32 v20, 0x880, v0
	v_cmp_gt_u32_e32 vcc, s2, v20
	v_mov_b32_e32 v18, 0
	v_mov_b32_e32 v19, 0
	s_and_saveexec_b64 s[0:1], vcc
	s_cbranch_execz .LBB2193_60
; %bb.59:
	v_lshlrev_b32_e32 v19, 1, v20
	global_load_ushort v20, v19, s[10:11]
	global_load_ushort v21, v19, s[12:13]
	s_waitcnt vmcnt(0)
	v_cmp_neq_f16_e32 vcc, v20, v21
	v_cndmask_b32_e64 v19, 0, 1, vcc
.LBB2193_60:
	s_or_b64 exec, exec, s[0:1]
	v_or_b32_e32 v20, 0x900, v0
	v_cmp_gt_u32_e32 vcc, s2, v20
	s_and_saveexec_b64 s[0:1], vcc
	s_cbranch_execz .LBB2193_62
; %bb.61:
	v_lshlrev_b32_e32 v18, 1, v20
	global_load_ushort v20, v18, s[10:11]
	global_load_ushort v21, v18, s[12:13]
	s_waitcnt vmcnt(0)
	v_cmp_neq_f16_e32 vcc, v20, v21
	v_cndmask_b32_e64 v18, 0, 1, vcc
.LBB2193_62:
	s_or_b64 exec, exec, s[0:1]
	v_or_b32_e32 v22, 0x980, v0
	v_cmp_gt_u32_e32 vcc, s2, v22
	v_mov_b32_e32 v20, 0
	v_mov_b32_e32 v21, 0
	s_and_saveexec_b64 s[0:1], vcc
	s_cbranch_execz .LBB2193_64
; %bb.63:
	v_lshlrev_b32_e32 v21, 1, v22
	global_load_ushort v22, v21, s[10:11]
	global_load_ushort v23, v21, s[12:13]
	s_waitcnt vmcnt(0)
	v_cmp_neq_f16_e32 vcc, v22, v23
	v_cndmask_b32_e64 v21, 0, 1, vcc
.LBB2193_64:
	;; [unrolled: 28-line block ×7, first 2 shown]
	s_or_b64 exec, exec, s[0:1]
	v_or_b32_e32 v32, 0xf00, v0
	v_cmp_gt_u32_e32 vcc, s2, v32
	s_and_saveexec_b64 s[0:1], vcc
	s_cbranch_execz .LBB2193_86
; %bb.85:
	v_lshlrev_b32_e32 v30, 1, v32
	global_load_ushort v32, v30, s[10:11]
	global_load_ushort v33, v30, s[12:13]
	s_waitcnt vmcnt(0)
	v_cmp_neq_f16_e32 vcc, v32, v33
	v_cndmask_b32_e64 v30, 0, 1, vcc
.LBB2193_86:
	s_or_b64 exec, exec, s[0:1]
	v_or_b32_e32 v33, 0xf80, v0
	v_cmp_gt_u32_e32 vcc, s2, v33
	v_mov_b32_e32 v32, 0
	s_and_saveexec_b64 s[0:1], vcc
	s_cbranch_execz .LBB2193_88
; %bb.87:
	v_lshlrev_b32_e32 v32, 1, v33
	global_load_ushort v33, v32, s[10:11]
	global_load_ushort v34, v32, s[12:13]
	s_waitcnt vmcnt(0)
	v_cmp_neq_f16_e32 vcc, v33, v34
	v_cndmask_b32_e64 v32, 0, 1, vcc
.LBB2193_88:
	s_or_b64 exec, exec, s[0:1]
	v_add_u32_e32 v1, v3, v1
	v_add3_u32 v1, v1, v2, v5
	v_add3_u32 v1, v1, v4, v7
	;; [unrolled: 1-line block ×10, first 2 shown]
	v_mbcnt_lo_u32_b32 v2, -1, 0
	v_add3_u32 v1, v1, v22, v25
	v_mbcnt_hi_u32_b32 v2, -1, v2
	v_add3_u32 v1, v1, v24, v27
	v_and_b32_e32 v3, 63, v2
	v_add3_u32 v1, v1, v26, v29
	v_cmp_ne_u32_e32 vcc, 63, v3
	v_add3_u32 v1, v1, v28, v31
	v_addc_co_u32_e32 v4, vcc, 0, v2, vcc
	v_add3_u32 v1, v1, v30, v32
	v_lshlrev_b32_e32 v4, 2, v4
	ds_bpermute_b32 v4, v4, v1
	s_min_u32 s2, s2, 0x80
	v_and_b32_e32 v5, 64, v0
	v_sub_u32_e64 v5, s2, v5 clamp
	v_add_u32_e32 v6, 1, v3
	v_cmp_lt_u32_e32 vcc, v6, v5
	s_waitcnt lgkmcnt(0)
	v_cndmask_b32_e32 v4, 0, v4, vcc
	v_cmp_gt_u32_e32 vcc, 62, v3
	v_add_u32_e32 v1, v4, v1
	v_cndmask_b32_e64 v4, 0, 1, vcc
	v_lshlrev_b32_e32 v4, 1, v4
	v_add_lshl_u32 v4, v4, v2, 2
	ds_bpermute_b32 v4, v4, v1
	v_add_u32_e32 v6, 2, v3
	v_cmp_lt_u32_e32 vcc, v6, v5
	v_add_u32_e32 v6, 4, v3
	s_waitcnt lgkmcnt(0)
	v_cndmask_b32_e32 v4, 0, v4, vcc
	v_cmp_gt_u32_e32 vcc, 60, v3
	v_add_u32_e32 v1, v1, v4
	v_cndmask_b32_e64 v4, 0, 1, vcc
	v_lshlrev_b32_e32 v4, 2, v4
	v_add_lshl_u32 v4, v4, v2, 2
	ds_bpermute_b32 v4, v4, v1
	v_cmp_lt_u32_e32 vcc, v6, v5
	v_add_u32_e32 v6, 8, v3
	s_waitcnt lgkmcnt(0)
	v_cndmask_b32_e32 v4, 0, v4, vcc
	v_cmp_gt_u32_e32 vcc, 56, v3
	v_add_u32_e32 v1, v1, v4
	v_cndmask_b32_e64 v4, 0, 1, vcc
	v_lshlrev_b32_e32 v4, 3, v4
	v_add_lshl_u32 v4, v4, v2, 2
	ds_bpermute_b32 v4, v4, v1
	;; [unrolled: 10-line block ×3, first 2 shown]
	v_cmp_lt_u32_e32 vcc, v6, v5
	s_waitcnt lgkmcnt(0)
	v_cndmask_b32_e32 v4, 0, v4, vcc
	v_cmp_gt_u32_e32 vcc, 32, v3
	v_add_u32_e32 v1, v1, v4
	v_cndmask_b32_e64 v4, 0, 1, vcc
	v_lshlrev_b32_e32 v4, 5, v4
	v_add_lshl_u32 v4, v4, v2, 2
	ds_bpermute_b32 v4, v4, v1
	v_add_u32_e32 v3, 32, v3
	v_cmp_lt_u32_e32 vcc, v3, v5
	s_waitcnt lgkmcnt(0)
	v_cndmask_b32_e32 v3, 0, v4, vcc
	v_add_u32_e32 v1, v1, v3
	v_cmp_eq_u32_e32 vcc, 0, v2
	s_and_saveexec_b64 s[0:1], vcc
	s_cbranch_execz .LBB2193_90
; %bb.89:
	v_lshrrev_b32_e32 v3, 4, v0
	v_and_b32_e32 v3, 4, v3
	ds_write_b32 v3, v1 offset:48
.LBB2193_90:
	s_or_b64 exec, exec, s[0:1]
	v_cmp_gt_u32_e32 vcc, 2, v0
	s_waitcnt lgkmcnt(0)
	s_barrier
	s_and_saveexec_b64 s[0:1], vcc
	s_cbranch_execz .LBB2193_92
; %bb.91:
	v_lshlrev_b32_e32 v1, 2, v2
	ds_read_b32 v3, v1 offset:48
	v_or_b32_e32 v1, 4, v1
	s_add_i32 s2, s2, 63
	v_and_b32_e32 v2, 1, v2
	s_lshr_b32 s2, s2, 6
	s_waitcnt lgkmcnt(0)
	ds_bpermute_b32 v1, v1, v3
	v_add_u32_e32 v2, 1, v2
	v_cmp_gt_u32_e32 vcc, s2, v2
	s_waitcnt lgkmcnt(0)
	v_cndmask_b32_e32 v1, 0, v1, vcc
	v_add_u32_e32 v1, v1, v3
.LBB2193_92:
	s_or_b64 exec, exec, s[0:1]
	v_cmp_eq_u32_e64 s[0:1], 0, v0
	s_and_b64 vcc, exec, s[8:9]
	s_cbranch_vccnz .LBB2193_15
.LBB2193_93:
	s_branch .LBB2193_142
.LBB2193_94:
	s_mov_b64 s[2:3], -1
                                        ; implicit-def: $vgpr1
.LBB2193_95:
	s_and_b64 vcc, exec, s[2:3]
	s_cbranch_vccz .LBB2193_133
; %bb.96:
	s_sub_i32 s48, s36, s0
	v_cmp_gt_u32_e32 vcc, s48, v0
                                        ; implicit-def: $vgpr2_vgpr3_vgpr4_vgpr5_vgpr6_vgpr7_vgpr8_vgpr9_vgpr10_vgpr11_vgpr12_vgpr13_vgpr14_vgpr15_vgpr16_vgpr17
	s_and_saveexec_b64 s[0:1], vcc
	s_cbranch_execz .LBB2193_98
; %bb.97:
	v_lshlrev_b32_e32 v1, 1, v0
	global_load_ushort v2, v1, s[34:35]
	global_load_ushort v3, v1, s[44:45]
	s_waitcnt vmcnt(0)
	v_cmp_neq_f16_e32 vcc, v2, v3
	v_cndmask_b32_e64 v2, 0, 1, vcc
.LBB2193_98:
	s_or_b64 exec, exec, s[0:1]
	v_or_b32_e32 v1, 0x80, v0
	v_cmp_gt_u32_e32 vcc, s48, v1
	s_and_saveexec_b64 s[2:3], vcc
	s_cbranch_execz .LBB2193_100
; %bb.99:
	v_lshlrev_b32_e32 v1, 1, v0
	global_load_ushort v3, v1, s[34:35] offset:256
	global_load_ushort v18, v1, s[44:45] offset:256
	s_waitcnt vmcnt(0)
	v_cmp_neq_f16_e64 s[0:1], v3, v18
	v_cndmask_b32_e64 v3, 0, 1, s[0:1]
.LBB2193_100:
	s_or_b64 exec, exec, s[2:3]
	v_or_b32_e32 v1, 0x100, v0
	v_cmp_gt_u32_e64 s[0:1], s48, v1
	s_and_saveexec_b64 s[8:9], s[0:1]
	s_cbranch_execz .LBB2193_102
; %bb.101:
	v_lshlrev_b32_e32 v1, 1, v0
	global_load_ushort v4, v1, s[34:35] offset:512
	global_load_ushort v18, v1, s[44:45] offset:512
	s_waitcnt vmcnt(0)
	v_cmp_neq_f16_e64 s[2:3], v4, v18
	v_cndmask_b32_e64 v4, 0, 1, s[2:3]
.LBB2193_102:
	s_or_b64 exec, exec, s[8:9]
	v_or_b32_e32 v1, 0x180, v0
	v_cmp_gt_u32_e64 s[2:3], s48, v1
	s_and_saveexec_b64 s[10:11], s[2:3]
	;; [unrolled: 13-line block ×13, first 2 shown]
	s_cbranch_execz .LBB2193_126
; %bb.125:
	v_lshlrev_b32_e32 v1, 1, v0
	global_load_ushort v16, v1, s[34:35] offset:3584
	s_nop 0
	global_load_ushort v1, v1, s[44:45] offset:3584
	s_waitcnt vmcnt(0)
	v_cmp_neq_f16_e64 s[30:31], v16, v1
	v_cndmask_b32_e64 v16, 0, 1, s[30:31]
.LBB2193_126:
	s_or_b64 exec, exec, s[46:47]
	v_or_b32_e32 v1, 0x780, v0
	v_cmp_gt_u32_e64 s[30:31], s48, v1
	s_and_saveexec_b64 s[46:47], s[30:31]
	s_cbranch_execz .LBB2193_128
; %bb.127:
	v_lshlrev_b32_e32 v1, 1, v0
	global_load_ushort v17, v1, s[34:35] offset:3840
	s_nop 0
	global_load_ushort v1, v1, s[44:45] offset:3840
	s_waitcnt vmcnt(0)
	v_cmp_neq_f16_e64 s[34:35], v17, v1
	v_cndmask_b32_e64 v17, 0, 1, s[34:35]
.LBB2193_128:
	s_or_b64 exec, exec, s[46:47]
	v_cndmask_b32_e32 v1, 0, v3, vcc
	v_add_u32_e32 v1, v1, v2
	v_cndmask_b32_e64 v2, 0, v4, s[0:1]
	v_cndmask_b32_e64 v3, 0, v5, s[2:3]
	v_add3_u32 v1, v1, v2, v3
	v_cndmask_b32_e64 v2, 0, v6, s[8:9]
	v_cndmask_b32_e64 v3, 0, v7, s[10:11]
	v_add3_u32 v1, v1, v2, v3
	;; [unrolled: 3-line block ×7, first 2 shown]
	v_mbcnt_lo_u32_b32 v2, -1, 0
	v_mbcnt_hi_u32_b32 v2, -1, v2
	v_and_b32_e32 v3, 63, v2
	v_cmp_ne_u32_e32 vcc, 63, v3
	v_addc_co_u32_e32 v4, vcc, 0, v2, vcc
	v_lshlrev_b32_e32 v4, 2, v4
	ds_bpermute_b32 v4, v4, v1
	s_min_u32 s2, s48, 0x80
	v_and_b32_e32 v5, 64, v0
	v_sub_u32_e64 v5, s2, v5 clamp
	v_add_u32_e32 v6, 1, v3
	v_cmp_lt_u32_e32 vcc, v6, v5
	s_waitcnt lgkmcnt(0)
	v_cndmask_b32_e32 v4, 0, v4, vcc
	v_cmp_gt_u32_e32 vcc, 62, v3
	v_add_u32_e32 v1, v1, v4
	v_cndmask_b32_e64 v4, 0, 1, vcc
	v_lshlrev_b32_e32 v4, 1, v4
	v_add_lshl_u32 v4, v4, v2, 2
	ds_bpermute_b32 v4, v4, v1
	v_add_u32_e32 v6, 2, v3
	v_cmp_lt_u32_e32 vcc, v6, v5
	v_add_u32_e32 v6, 4, v3
	s_waitcnt lgkmcnt(0)
	v_cndmask_b32_e32 v4, 0, v4, vcc
	v_cmp_gt_u32_e32 vcc, 60, v3
	v_add_u32_e32 v1, v1, v4
	v_cndmask_b32_e64 v4, 0, 1, vcc
	v_lshlrev_b32_e32 v4, 2, v4
	v_add_lshl_u32 v4, v4, v2, 2
	ds_bpermute_b32 v4, v4, v1
	v_cmp_lt_u32_e32 vcc, v6, v5
	v_add_u32_e32 v6, 8, v3
	s_waitcnt lgkmcnt(0)
	v_cndmask_b32_e32 v4, 0, v4, vcc
	v_cmp_gt_u32_e32 vcc, 56, v3
	v_add_u32_e32 v1, v1, v4
	v_cndmask_b32_e64 v4, 0, 1, vcc
	v_lshlrev_b32_e32 v4, 3, v4
	v_add_lshl_u32 v4, v4, v2, 2
	ds_bpermute_b32 v4, v4, v1
	;; [unrolled: 10-line block ×3, first 2 shown]
	v_cmp_lt_u32_e32 vcc, v6, v5
	s_waitcnt lgkmcnt(0)
	v_cndmask_b32_e32 v4, 0, v4, vcc
	v_cmp_gt_u32_e32 vcc, 32, v3
	v_add_u32_e32 v1, v1, v4
	v_cndmask_b32_e64 v4, 0, 1, vcc
	v_lshlrev_b32_e32 v4, 5, v4
	v_add_lshl_u32 v4, v4, v2, 2
	ds_bpermute_b32 v4, v4, v1
	v_add_u32_e32 v3, 32, v3
	v_cmp_lt_u32_e32 vcc, v3, v5
	s_waitcnt lgkmcnt(0)
	v_cndmask_b32_e32 v3, 0, v4, vcc
	v_add_u32_e32 v1, v1, v3
	v_cmp_eq_u32_e32 vcc, 0, v2
	s_and_saveexec_b64 s[0:1], vcc
	s_cbranch_execz .LBB2193_130
; %bb.129:
	v_lshrrev_b32_e32 v3, 4, v0
	v_and_b32_e32 v3, 4, v3
	ds_write_b32 v3, v1 offset:48
.LBB2193_130:
	s_or_b64 exec, exec, s[0:1]
	v_cmp_gt_u32_e32 vcc, 2, v0
	s_waitcnt lgkmcnt(0)
	s_barrier
	s_and_saveexec_b64 s[0:1], vcc
	s_cbranch_execz .LBB2193_132
; %bb.131:
	v_lshlrev_b32_e32 v1, 2, v2
	ds_read_b32 v3, v1 offset:48
	v_or_b32_e32 v1, 4, v1
	s_add_i32 s2, s2, 63
	v_and_b32_e32 v2, 1, v2
	s_lshr_b32 s2, s2, 6
	s_waitcnt lgkmcnt(0)
	ds_bpermute_b32 v1, v1, v3
	v_add_u32_e32 v2, 1, v2
	v_cmp_gt_u32_e32 vcc, s2, v2
	s_waitcnt lgkmcnt(0)
	v_cndmask_b32_e32 v1, 0, v1, vcc
	v_add_u32_e32 v1, v1, v3
.LBB2193_132:
	s_or_b64 exec, exec, s[0:1]
.LBB2193_133:
	v_cmp_eq_u32_e64 s[0:1], 0, v0
	s_branch .LBB2193_142
.LBB2193_134:
	s_cmp_eq_u32 s33, 8
	s_cbranch_scc0 .LBB2193_141
; %bb.135:
	s_mov_b32 s7, 0
	s_lshl_b32 s0, s6, 10
	s_mov_b32 s1, s7
	s_lshr_b64 s[2:3], s[36:37], 10
	s_lshl_b64 s[8:9], s[0:1], 1
	s_add_u32 s16, s40, s8
	s_addc_u32 s17, s41, s9
	s_add_u32 s18, s42, s8
	s_addc_u32 s19, s43, s9
	s_cmp_lg_u64 s[2:3], s[6:7]
	s_cbranch_scc0 .LBB2193_143
; %bb.136:
	v_lshlrev_b32_e32 v1, 1, v0
	global_load_ushort v4, v1, s[16:17]
	global_load_ushort v5, v1, s[18:19]
	global_load_ushort v6, v1, s[16:17] offset:512
	global_load_ushort v7, v1, s[18:19] offset:512
	;; [unrolled: 1-line block ×13, first 2 shown]
	s_nop 0
	global_load_ushort v1, v1, s[18:19] offset:1792
	v_mbcnt_lo_u32_b32 v2, -1, 0
	v_mbcnt_hi_u32_b32 v2, -1, v2
	v_lshlrev_b32_e32 v3, 2, v2
	s_waitcnt vmcnt(14)
	v_cmp_neq_f16_e32 vcc, v4, v5
	v_cndmask_b32_e64 v4, 0, 1, vcc
	s_waitcnt vmcnt(12)
	v_cmp_neq_f16_e32 vcc, v6, v7
	v_cndmask_b32_e64 v5, 0, 1, vcc
	;; [unrolled: 3-line block ×4, first 2 shown]
	s_waitcnt vmcnt(6)
	v_cmp_neq_f16_e32 vcc, v12, v13
	v_addc_co_u32_e32 v4, vcc, 0, v4, vcc
	s_waitcnt vmcnt(4)
	v_cmp_neq_f16_e32 vcc, v14, v15
	v_addc_co_u32_e32 v4, vcc, v4, v5, vcc
	;; [unrolled: 3-line block ×4, first 2 shown]
	v_or_b32_e32 v4, 0xfc, v3
	s_nop 0
	v_add_u32_dpp v1, v1, v1 quad_perm:[1,0,3,2] row_mask:0xf bank_mask:0xf bound_ctrl:1
	v_cmp_eq_u32_e32 vcc, 0, v2
	s_nop 0
	v_add_u32_dpp v1, v1, v1 quad_perm:[2,3,0,1] row_mask:0xf bank_mask:0xf bound_ctrl:1
	s_nop 1
	v_add_u32_dpp v1, v1, v1 row_ror:4 row_mask:0xf bank_mask:0xf bound_ctrl:1
	s_nop 1
	v_add_u32_dpp v1, v1, v1 row_ror:8 row_mask:0xf bank_mask:0xf bound_ctrl:1
	s_nop 1
	v_add_u32_dpp v1, v1, v1 row_bcast:15 row_mask:0xf bank_mask:0xf bound_ctrl:1
	s_nop 1
	v_add_u32_dpp v1, v1, v1 row_bcast:31 row_mask:0xf bank_mask:0xf bound_ctrl:1
	ds_bpermute_b32 v1, v4, v1
	s_and_saveexec_b64 s[2:3], vcc
	s_cbranch_execz .LBB2193_138
; %bb.137:
	v_lshrrev_b32_e32 v4, 4, v0
	v_and_b32_e32 v4, 4, v4
	s_waitcnt lgkmcnt(0)
	ds_write_b32 v4, v1 offset:40
.LBB2193_138:
	s_or_b64 exec, exec, s[2:3]
	v_cmp_gt_u32_e32 vcc, 64, v0
	s_waitcnt lgkmcnt(0)
	s_barrier
	s_and_saveexec_b64 s[2:3], vcc
	s_cbranch_execz .LBB2193_140
; %bb.139:
	v_and_b32_e32 v1, 1, v2
	v_lshlrev_b32_e32 v1, 2, v1
	ds_read_b32 v1, v1 offset:40
	v_or_b32_e32 v2, 4, v3
	s_waitcnt lgkmcnt(0)
	ds_bpermute_b32 v2, v2, v1
	s_waitcnt lgkmcnt(0)
	v_add_u32_e32 v1, v2, v1
.LBB2193_140:
	s_or_b64 exec, exec, s[2:3]
	s_branch .LBB2193_165
.LBB2193_141:
                                        ; implicit-def: $vgpr1
.LBB2193_142:
	s_branch .LBB2193_224
.LBB2193_143:
                                        ; implicit-def: $vgpr1
	s_cbranch_execz .LBB2193_165
; %bb.144:
	s_sub_i32 s22, s36, s0
	v_cmp_gt_u32_e32 vcc, s22, v0
                                        ; implicit-def: $vgpr2_vgpr3_vgpr4_vgpr5_vgpr6_vgpr7_vgpr8_vgpr9
	s_and_saveexec_b64 s[0:1], vcc
	s_cbranch_execz .LBB2193_146
; %bb.145:
	v_lshlrev_b32_e32 v1, 1, v0
	global_load_ushort v2, v1, s[16:17]
	global_load_ushort v3, v1, s[18:19]
	s_waitcnt vmcnt(0)
	v_cmp_neq_f16_e32 vcc, v2, v3
	v_cndmask_b32_e64 v2, 0, 1, vcc
.LBB2193_146:
	s_or_b64 exec, exec, s[0:1]
	v_or_b32_e32 v1, 0x80, v0
	v_cmp_gt_u32_e32 vcc, s22, v1
	s_and_saveexec_b64 s[2:3], vcc
	s_cbranch_execz .LBB2193_148
; %bb.147:
	v_lshlrev_b32_e32 v1, 1, v0
	global_load_ushort v3, v1, s[16:17] offset:256
	global_load_ushort v10, v1, s[18:19] offset:256
	s_waitcnt vmcnt(0)
	v_cmp_neq_f16_e64 s[0:1], v3, v10
	v_cndmask_b32_e64 v3, 0, 1, s[0:1]
.LBB2193_148:
	s_or_b64 exec, exec, s[2:3]
	v_or_b32_e32 v1, 0x100, v0
	v_cmp_gt_u32_e64 s[0:1], s22, v1
	s_and_saveexec_b64 s[8:9], s[0:1]
	s_cbranch_execz .LBB2193_150
; %bb.149:
	v_lshlrev_b32_e32 v1, 1, v0
	global_load_ushort v4, v1, s[16:17] offset:512
	global_load_ushort v10, v1, s[18:19] offset:512
	s_waitcnt vmcnt(0)
	v_cmp_neq_f16_e64 s[2:3], v4, v10
	v_cndmask_b32_e64 v4, 0, 1, s[2:3]
.LBB2193_150:
	s_or_b64 exec, exec, s[8:9]
	v_or_b32_e32 v1, 0x180, v0
	v_cmp_gt_u32_e64 s[2:3], s22, v1
	s_and_saveexec_b64 s[10:11], s[2:3]
	;; [unrolled: 13-line block ×6, first 2 shown]
	s_cbranch_execz .LBB2193_160
; %bb.159:
	v_lshlrev_b32_e32 v1, 1, v0
	global_load_ushort v9, v1, s[16:17] offset:1792
	global_load_ushort v10, v1, s[18:19] offset:1792
	s_waitcnt vmcnt(0)
	v_cmp_neq_f16_e64 s[16:17], v9, v10
	v_cndmask_b32_e64 v9, 0, 1, s[16:17]
.LBB2193_160:
	s_or_b64 exec, exec, s[20:21]
	v_cndmask_b32_e32 v1, 0, v3, vcc
	v_add_u32_e32 v1, v1, v2
	v_cndmask_b32_e64 v2, 0, v4, s[0:1]
	v_cndmask_b32_e64 v3, 0, v5, s[2:3]
	v_add3_u32 v1, v1, v2, v3
	v_cndmask_b32_e64 v2, 0, v6, s[8:9]
	v_cndmask_b32_e64 v3, 0, v7, s[10:11]
	v_add3_u32 v1, v1, v2, v3
	;; [unrolled: 3-line block ×3, first 2 shown]
	v_mbcnt_lo_u32_b32 v2, -1, 0
	v_mbcnt_hi_u32_b32 v2, -1, v2
	v_and_b32_e32 v3, 63, v2
	v_cmp_ne_u32_e32 vcc, 63, v3
	v_addc_co_u32_e32 v4, vcc, 0, v2, vcc
	v_lshlrev_b32_e32 v4, 2, v4
	ds_bpermute_b32 v4, v4, v1
	s_min_u32 s2, s22, 0x80
	v_and_b32_e32 v5, 64, v0
	v_sub_u32_e64 v5, s2, v5 clamp
	v_add_u32_e32 v6, 1, v3
	v_cmp_lt_u32_e32 vcc, v6, v5
	s_waitcnt lgkmcnt(0)
	v_cndmask_b32_e32 v4, 0, v4, vcc
	v_cmp_gt_u32_e32 vcc, 62, v3
	v_add_u32_e32 v1, v1, v4
	v_cndmask_b32_e64 v4, 0, 1, vcc
	v_lshlrev_b32_e32 v4, 1, v4
	v_add_lshl_u32 v4, v4, v2, 2
	ds_bpermute_b32 v4, v4, v1
	v_add_u32_e32 v6, 2, v3
	v_cmp_lt_u32_e32 vcc, v6, v5
	v_add_u32_e32 v6, 4, v3
	s_waitcnt lgkmcnt(0)
	v_cndmask_b32_e32 v4, 0, v4, vcc
	v_cmp_gt_u32_e32 vcc, 60, v3
	v_add_u32_e32 v1, v1, v4
	v_cndmask_b32_e64 v4, 0, 1, vcc
	v_lshlrev_b32_e32 v4, 2, v4
	v_add_lshl_u32 v4, v4, v2, 2
	ds_bpermute_b32 v4, v4, v1
	v_cmp_lt_u32_e32 vcc, v6, v5
	v_add_u32_e32 v6, 8, v3
	s_waitcnt lgkmcnt(0)
	v_cndmask_b32_e32 v4, 0, v4, vcc
	v_cmp_gt_u32_e32 vcc, 56, v3
	v_add_u32_e32 v1, v1, v4
	v_cndmask_b32_e64 v4, 0, 1, vcc
	v_lshlrev_b32_e32 v4, 3, v4
	v_add_lshl_u32 v4, v4, v2, 2
	ds_bpermute_b32 v4, v4, v1
	;; [unrolled: 10-line block ×3, first 2 shown]
	v_cmp_lt_u32_e32 vcc, v6, v5
	s_waitcnt lgkmcnt(0)
	v_cndmask_b32_e32 v4, 0, v4, vcc
	v_cmp_gt_u32_e32 vcc, 32, v3
	v_add_u32_e32 v1, v1, v4
	v_cndmask_b32_e64 v4, 0, 1, vcc
	v_lshlrev_b32_e32 v4, 5, v4
	v_add_lshl_u32 v4, v4, v2, 2
	ds_bpermute_b32 v4, v4, v1
	v_add_u32_e32 v3, 32, v3
	v_cmp_lt_u32_e32 vcc, v3, v5
	s_waitcnt lgkmcnt(0)
	v_cndmask_b32_e32 v3, 0, v4, vcc
	v_add_u32_e32 v1, v1, v3
	v_cmp_eq_u32_e32 vcc, 0, v2
	s_and_saveexec_b64 s[0:1], vcc
	s_cbranch_execz .LBB2193_162
; %bb.161:
	v_lshrrev_b32_e32 v3, 4, v0
	v_and_b32_e32 v3, 4, v3
	ds_write_b32 v3, v1 offset:48
.LBB2193_162:
	s_or_b64 exec, exec, s[0:1]
	v_cmp_gt_u32_e32 vcc, 2, v0
	s_waitcnt lgkmcnt(0)
	s_barrier
	s_and_saveexec_b64 s[0:1], vcc
	s_cbranch_execz .LBB2193_164
; %bb.163:
	v_lshlrev_b32_e32 v1, 2, v2
	ds_read_b32 v3, v1 offset:48
	v_or_b32_e32 v1, 4, v1
	s_add_i32 s2, s2, 63
	v_and_b32_e32 v2, 1, v2
	s_lshr_b32 s2, s2, 6
	s_waitcnt lgkmcnt(0)
	ds_bpermute_b32 v1, v1, v3
	v_add_u32_e32 v2, 1, v2
	v_cmp_gt_u32_e32 vcc, s2, v2
	s_waitcnt lgkmcnt(0)
	v_cndmask_b32_e32 v1, 0, v1, vcc
	v_add_u32_e32 v1, v1, v3
.LBB2193_164:
	s_or_b64 exec, exec, s[0:1]
.LBB2193_165:
	v_cmp_eq_u32_e64 s[0:1], 0, v0
	s_branch .LBB2193_224
.LBB2193_166:
	s_cmp_gt_i32 s33, 1
	s_cbranch_scc0 .LBB2193_175
; %bb.167:
	s_cmp_gt_i32 s33, 3
	s_cbranch_scc0 .LBB2193_176
; %bb.168:
	s_cmp_eq_u32 s33, 4
	s_cbranch_scc0 .LBB2193_177
; %bb.169:
	s_mov_b32 s7, 0
	s_lshl_b32 s0, s6, 9
	s_mov_b32 s1, s7
	s_lshr_b64 s[2:3], s[36:37], 9
	s_lshl_b64 s[10:11], s[0:1], 1
	s_add_u32 s8, s40, s10
	s_addc_u32 s9, s41, s11
	s_add_u32 s10, s42, s10
	s_addc_u32 s11, s43, s11
	s_cmp_lg_u64 s[2:3], s[6:7]
	s_cbranch_scc0 .LBB2193_179
; %bb.170:
	v_lshlrev_b32_e32 v1, 1, v0
	global_load_ushort v4, v1, s[8:9]
	global_load_ushort v5, v1, s[10:11]
	global_load_ushort v6, v1, s[8:9] offset:512
	global_load_ushort v7, v1, s[10:11] offset:512
	;; [unrolled: 1-line block ×6, first 2 shown]
	v_mbcnt_lo_u32_b32 v1, -1, 0
	v_mbcnt_hi_u32_b32 v2, -1, v1
	v_lshlrev_b32_e32 v3, 2, v2
	s_waitcnt vmcnt(6)
	v_cmp_neq_f16_e32 vcc, v4, v5
	v_cndmask_b32_e64 v1, 0, 1, vcc
	s_waitcnt vmcnt(4)
	v_cmp_neq_f16_e32 vcc, v6, v7
	v_cndmask_b32_e64 v4, 0, 1, vcc
	s_waitcnt vmcnt(2)
	v_cmp_neq_f16_e32 vcc, v8, v9
	v_addc_co_u32_e32 v1, vcc, 0, v1, vcc
	s_waitcnt vmcnt(0)
	v_cmp_neq_f16_e32 vcc, v11, v10
	v_addc_co_u32_e32 v1, vcc, v1, v4, vcc
	v_or_b32_e32 v4, 0xfc, v3
	s_nop 0
	v_add_u32_dpp v1, v1, v1 quad_perm:[1,0,3,2] row_mask:0xf bank_mask:0xf bound_ctrl:1
	v_cmp_eq_u32_e32 vcc, 0, v2
	s_nop 0
	v_add_u32_dpp v1, v1, v1 quad_perm:[2,3,0,1] row_mask:0xf bank_mask:0xf bound_ctrl:1
	s_nop 1
	v_add_u32_dpp v1, v1, v1 row_ror:4 row_mask:0xf bank_mask:0xf bound_ctrl:1
	s_nop 1
	v_add_u32_dpp v1, v1, v1 row_ror:8 row_mask:0xf bank_mask:0xf bound_ctrl:1
	s_nop 1
	v_add_u32_dpp v1, v1, v1 row_bcast:15 row_mask:0xf bank_mask:0xf bound_ctrl:1
	s_nop 1
	v_add_u32_dpp v1, v1, v1 row_bcast:31 row_mask:0xf bank_mask:0xf bound_ctrl:1
	ds_bpermute_b32 v1, v4, v1
	s_and_saveexec_b64 s[2:3], vcc
	s_cbranch_execz .LBB2193_172
; %bb.171:
	v_lshrrev_b32_e32 v4, 4, v0
	v_and_b32_e32 v4, 4, v4
	s_waitcnt lgkmcnt(0)
	ds_write_b32 v4, v1 offset:32
.LBB2193_172:
	s_or_b64 exec, exec, s[2:3]
	v_cmp_gt_u32_e32 vcc, 64, v0
	s_waitcnt lgkmcnt(0)
	s_barrier
	s_and_saveexec_b64 s[2:3], vcc
	s_cbranch_execz .LBB2193_174
; %bb.173:
	v_and_b32_e32 v1, 1, v2
	v_lshlrev_b32_e32 v1, 2, v1
	ds_read_b32 v1, v1 offset:32
	v_or_b32_e32 v2, 4, v3
	s_waitcnt lgkmcnt(0)
	ds_bpermute_b32 v2, v2, v1
	s_waitcnt lgkmcnt(0)
	v_add_u32_e32 v1, v2, v1
.LBB2193_174:
	s_or_b64 exec, exec, s[2:3]
	s_mov_b64 s[2:3], 0
	s_branch .LBB2193_180
.LBB2193_175:
                                        ; implicit-def: $vgpr1
	s_cbranch_execnz .LBB2193_215
	s_branch .LBB2193_224
.LBB2193_176:
                                        ; implicit-def: $vgpr1
	s_cbranch_execz .LBB2193_178
	s_branch .LBB2193_195
.LBB2193_177:
                                        ; implicit-def: $vgpr1
.LBB2193_178:
	s_branch .LBB2193_224
.LBB2193_179:
	s_mov_b64 s[2:3], -1
                                        ; implicit-def: $vgpr1
.LBB2193_180:
	s_and_b64 vcc, exec, s[2:3]
	s_cbranch_vccz .LBB2193_194
; %bb.181:
	s_sub_i32 s14, s36, s0
	v_cmp_gt_u32_e32 vcc, s14, v0
                                        ; implicit-def: $vgpr2_vgpr3_vgpr4_vgpr5
	s_and_saveexec_b64 s[0:1], vcc
	s_cbranch_execz .LBB2193_183
; %bb.182:
	v_lshlrev_b32_e32 v1, 1, v0
	global_load_ushort v2, v1, s[8:9]
	global_load_ushort v3, v1, s[10:11]
	s_waitcnt vmcnt(0)
	v_cmp_neq_f16_e32 vcc, v2, v3
	v_cndmask_b32_e64 v2, 0, 1, vcc
.LBB2193_183:
	s_or_b64 exec, exec, s[0:1]
	v_or_b32_e32 v1, 0x80, v0
	v_cmp_gt_u32_e32 vcc, s14, v1
	s_and_saveexec_b64 s[2:3], vcc
	s_cbranch_execz .LBB2193_185
; %bb.184:
	v_lshlrev_b32_e32 v1, 1, v0
	global_load_ushort v3, v1, s[8:9] offset:256
	global_load_ushort v6, v1, s[10:11] offset:256
	s_waitcnt vmcnt(0)
	v_cmp_neq_f16_e64 s[0:1], v3, v6
	v_cndmask_b32_e64 v3, 0, 1, s[0:1]
.LBB2193_185:
	s_or_b64 exec, exec, s[2:3]
	v_or_b32_e32 v1, 0x100, v0
	v_cmp_gt_u32_e64 s[0:1], s14, v1
	s_and_saveexec_b64 s[12:13], s[0:1]
	s_cbranch_execz .LBB2193_187
; %bb.186:
	v_lshlrev_b32_e32 v1, 1, v0
	global_load_ushort v4, v1, s[8:9] offset:512
	global_load_ushort v6, v1, s[10:11] offset:512
	s_waitcnt vmcnt(0)
	v_cmp_neq_f16_e64 s[2:3], v4, v6
	v_cndmask_b32_e64 v4, 0, 1, s[2:3]
.LBB2193_187:
	s_or_b64 exec, exec, s[12:13]
	v_or_b32_e32 v1, 0x180, v0
	v_cmp_gt_u32_e64 s[2:3], s14, v1
	s_and_saveexec_b64 s[12:13], s[2:3]
	s_cbranch_execz .LBB2193_189
; %bb.188:
	v_lshlrev_b32_e32 v1, 1, v0
	global_load_ushort v5, v1, s[8:9] offset:768
	global_load_ushort v6, v1, s[10:11] offset:768
	s_waitcnt vmcnt(0)
	v_cmp_neq_f16_e64 s[8:9], v5, v6
	v_cndmask_b32_e64 v5, 0, 1, s[8:9]
.LBB2193_189:
	s_or_b64 exec, exec, s[12:13]
	v_cndmask_b32_e32 v1, 0, v3, vcc
	v_add_u32_e32 v1, v1, v2
	v_cndmask_b32_e64 v2, 0, v4, s[0:1]
	v_cndmask_b32_e64 v3, 0, v5, s[2:3]
	v_add3_u32 v1, v1, v2, v3
	v_mbcnt_lo_u32_b32 v2, -1, 0
	v_mbcnt_hi_u32_b32 v2, -1, v2
	v_and_b32_e32 v3, 63, v2
	v_cmp_ne_u32_e32 vcc, 63, v3
	v_addc_co_u32_e32 v4, vcc, 0, v2, vcc
	v_lshlrev_b32_e32 v4, 2, v4
	ds_bpermute_b32 v4, v4, v1
	s_min_u32 s2, s14, 0x80
	v_and_b32_e32 v5, 64, v0
	v_sub_u32_e64 v5, s2, v5 clamp
	v_add_u32_e32 v6, 1, v3
	v_cmp_lt_u32_e32 vcc, v6, v5
	s_waitcnt lgkmcnt(0)
	v_cndmask_b32_e32 v4, 0, v4, vcc
	v_cmp_gt_u32_e32 vcc, 62, v3
	v_add_u32_e32 v1, v4, v1
	v_cndmask_b32_e64 v4, 0, 1, vcc
	v_lshlrev_b32_e32 v4, 1, v4
	v_add_lshl_u32 v4, v4, v2, 2
	ds_bpermute_b32 v4, v4, v1
	v_add_u32_e32 v6, 2, v3
	v_cmp_lt_u32_e32 vcc, v6, v5
	v_add_u32_e32 v6, 4, v3
	s_waitcnt lgkmcnt(0)
	v_cndmask_b32_e32 v4, 0, v4, vcc
	v_cmp_gt_u32_e32 vcc, 60, v3
	v_add_u32_e32 v1, v1, v4
	v_cndmask_b32_e64 v4, 0, 1, vcc
	v_lshlrev_b32_e32 v4, 2, v4
	v_add_lshl_u32 v4, v4, v2, 2
	ds_bpermute_b32 v4, v4, v1
	v_cmp_lt_u32_e32 vcc, v6, v5
	v_add_u32_e32 v6, 8, v3
	s_waitcnt lgkmcnt(0)
	v_cndmask_b32_e32 v4, 0, v4, vcc
	v_cmp_gt_u32_e32 vcc, 56, v3
	v_add_u32_e32 v1, v1, v4
	v_cndmask_b32_e64 v4, 0, 1, vcc
	v_lshlrev_b32_e32 v4, 3, v4
	v_add_lshl_u32 v4, v4, v2, 2
	ds_bpermute_b32 v4, v4, v1
	;; [unrolled: 10-line block ×3, first 2 shown]
	v_cmp_lt_u32_e32 vcc, v6, v5
	s_waitcnt lgkmcnt(0)
	v_cndmask_b32_e32 v4, 0, v4, vcc
	v_cmp_gt_u32_e32 vcc, 32, v3
	v_add_u32_e32 v1, v1, v4
	v_cndmask_b32_e64 v4, 0, 1, vcc
	v_lshlrev_b32_e32 v4, 5, v4
	v_add_lshl_u32 v4, v4, v2, 2
	ds_bpermute_b32 v4, v4, v1
	v_add_u32_e32 v3, 32, v3
	v_cmp_lt_u32_e32 vcc, v3, v5
	s_waitcnt lgkmcnt(0)
	v_cndmask_b32_e32 v3, 0, v4, vcc
	v_add_u32_e32 v1, v1, v3
	v_cmp_eq_u32_e32 vcc, 0, v2
	s_and_saveexec_b64 s[0:1], vcc
	s_cbranch_execz .LBB2193_191
; %bb.190:
	v_lshrrev_b32_e32 v3, 4, v0
	v_and_b32_e32 v3, 4, v3
	ds_write_b32 v3, v1 offset:48
.LBB2193_191:
	s_or_b64 exec, exec, s[0:1]
	v_cmp_gt_u32_e32 vcc, 2, v0
	s_waitcnt lgkmcnt(0)
	s_barrier
	s_and_saveexec_b64 s[0:1], vcc
	s_cbranch_execz .LBB2193_193
; %bb.192:
	v_lshlrev_b32_e32 v1, 2, v2
	ds_read_b32 v3, v1 offset:48
	v_or_b32_e32 v1, 4, v1
	s_add_i32 s2, s2, 63
	v_and_b32_e32 v2, 1, v2
	s_lshr_b32 s2, s2, 6
	s_waitcnt lgkmcnt(0)
	ds_bpermute_b32 v1, v1, v3
	v_add_u32_e32 v2, 1, v2
	v_cmp_gt_u32_e32 vcc, s2, v2
	s_waitcnt lgkmcnt(0)
	v_cndmask_b32_e32 v1, 0, v1, vcc
	v_add_u32_e32 v1, v1, v3
.LBB2193_193:
	s_or_b64 exec, exec, s[0:1]
.LBB2193_194:
	v_cmp_eq_u32_e64 s[0:1], 0, v0
	s_branch .LBB2193_178
.LBB2193_195:
	s_cmp_eq_u32 s33, 2
	s_cbranch_scc0 .LBB2193_202
; %bb.196:
	s_mov_b32 s7, 0
	s_lshl_b32 s10, s6, 8
	s_mov_b32 s11, s7
	s_lshr_b64 s[0:1], s[36:37], 8
	s_lshl_b64 s[8:9], s[10:11], 1
	s_add_u32 s2, s40, s8
	s_addc_u32 s3, s41, s9
	s_add_u32 s8, s42, s8
	s_addc_u32 s9, s43, s9
	s_cmp_lg_u64 s[0:1], s[6:7]
	s_cbranch_scc0 .LBB2193_203
; %bb.197:
	v_lshlrev_b32_e32 v1, 1, v0
	global_load_ushort v4, v1, s[2:3]
	global_load_ushort v5, v1, s[8:9]
	global_load_ushort v6, v1, s[8:9] offset:256
	global_load_ushort v7, v1, s[2:3] offset:256
	v_mbcnt_lo_u32_b32 v1, -1, 0
	v_mbcnt_hi_u32_b32 v2, -1, v1
	v_lshlrev_b32_e32 v3, 2, v2
	s_waitcnt vmcnt(2)
	v_cmp_neq_f16_e32 vcc, v4, v5
	v_cndmask_b32_e64 v1, 0, 1, vcc
	s_waitcnt vmcnt(0)
	v_cmp_neq_f16_e32 vcc, v7, v6
	v_addc_co_u32_e64 v4, s[0:1], 0, v1, vcc
	s_nop 1
	v_mov_b32_dpp v4, v4 quad_perm:[1,0,3,2] row_mask:0xf bank_mask:0xf bound_ctrl:1
	v_addc_co_u32_e32 v1, vcc, v4, v1, vcc
	v_or_b32_e32 v4, 0xfc, v3
	s_nop 0
	v_add_u32_dpp v1, v1, v1 quad_perm:[2,3,0,1] row_mask:0xf bank_mask:0xf bound_ctrl:1
	v_cmp_eq_u32_e32 vcc, 0, v2
	s_nop 0
	v_add_u32_dpp v1, v1, v1 row_ror:4 row_mask:0xf bank_mask:0xf bound_ctrl:1
	s_nop 1
	v_add_u32_dpp v1, v1, v1 row_ror:8 row_mask:0xf bank_mask:0xf bound_ctrl:1
	s_nop 1
	v_add_u32_dpp v1, v1, v1 row_bcast:15 row_mask:0xf bank_mask:0xf bound_ctrl:1
	s_nop 1
	v_add_u32_dpp v1, v1, v1 row_bcast:31 row_mask:0xf bank_mask:0xf bound_ctrl:1
	ds_bpermute_b32 v1, v4, v1
	s_and_saveexec_b64 s[0:1], vcc
	s_cbranch_execz .LBB2193_199
; %bb.198:
	v_lshrrev_b32_e32 v4, 4, v0
	v_and_b32_e32 v4, 4, v4
	s_waitcnt lgkmcnt(0)
	ds_write_b32 v4, v1 offset:16
.LBB2193_199:
	s_or_b64 exec, exec, s[0:1]
	v_cmp_gt_u32_e32 vcc, 64, v0
	s_waitcnt lgkmcnt(0)
	s_barrier
	s_and_saveexec_b64 s[0:1], vcc
	s_cbranch_execz .LBB2193_201
; %bb.200:
	v_and_b32_e32 v1, 1, v2
	v_lshlrev_b32_e32 v1, 2, v1
	ds_read_b32 v1, v1 offset:16
	v_or_b32_e32 v2, 4, v3
	s_waitcnt lgkmcnt(0)
	ds_bpermute_b32 v2, v2, v1
	s_waitcnt lgkmcnt(0)
	v_add_u32_e32 v1, v2, v1
.LBB2193_201:
	s_or_b64 exec, exec, s[0:1]
	s_mov_b64 s[0:1], 0
	s_branch .LBB2193_204
.LBB2193_202:
                                        ; implicit-def: $vgpr1
	s_branch .LBB2193_224
.LBB2193_203:
	s_mov_b64 s[0:1], -1
                                        ; implicit-def: $vgpr1
.LBB2193_204:
	s_and_b64 vcc, exec, s[0:1]
	s_cbranch_vccz .LBB2193_214
; %bb.205:
	s_sub_i32 s12, s36, s10
	v_cmp_gt_u32_e32 vcc, s12, v0
                                        ; implicit-def: $vgpr2_vgpr3
	s_and_saveexec_b64 s[0:1], vcc
	s_cbranch_execz .LBB2193_207
; %bb.206:
	v_lshlrev_b32_e32 v1, 1, v0
	global_load_ushort v2, v1, s[2:3]
	global_load_ushort v3, v1, s[8:9]
	s_waitcnt vmcnt(0)
	v_cmp_neq_f16_e32 vcc, v2, v3
	v_cndmask_b32_e64 v2, 0, 1, vcc
.LBB2193_207:
	s_or_b64 exec, exec, s[0:1]
	v_or_b32_e32 v1, 0x80, v0
	v_cmp_gt_u32_e32 vcc, s12, v1
	s_and_saveexec_b64 s[10:11], vcc
	s_cbranch_execz .LBB2193_209
; %bb.208:
	v_lshlrev_b32_e32 v1, 1, v0
	global_load_ushort v3, v1, s[2:3] offset:256
	global_load_ushort v4, v1, s[8:9] offset:256
	s_waitcnt vmcnt(0)
	v_cmp_neq_f16_e64 s[0:1], v3, v4
	v_cndmask_b32_e64 v3, 0, 1, s[0:1]
.LBB2193_209:
	s_or_b64 exec, exec, s[10:11]
	v_cndmask_b32_e32 v1, 0, v3, vcc
	v_add_u32_e32 v1, v1, v2
	v_mbcnt_lo_u32_b32 v2, -1, 0
	v_mbcnt_hi_u32_b32 v2, -1, v2
	v_and_b32_e32 v3, 63, v2
	v_cmp_ne_u32_e32 vcc, 63, v3
	v_addc_co_u32_e32 v4, vcc, 0, v2, vcc
	v_lshlrev_b32_e32 v4, 2, v4
	ds_bpermute_b32 v4, v4, v1
	s_min_u32 s2, s12, 0x80
	v_and_b32_e32 v5, 64, v0
	v_sub_u32_e64 v5, s2, v5 clamp
	v_add_u32_e32 v6, 1, v3
	v_cmp_lt_u32_e32 vcc, v6, v5
	s_waitcnt lgkmcnt(0)
	v_cndmask_b32_e32 v4, 0, v4, vcc
	v_cmp_gt_u32_e32 vcc, 62, v3
	v_add_u32_e32 v1, v4, v1
	v_cndmask_b32_e64 v4, 0, 1, vcc
	v_lshlrev_b32_e32 v4, 1, v4
	v_add_lshl_u32 v4, v4, v2, 2
	ds_bpermute_b32 v4, v4, v1
	v_add_u32_e32 v6, 2, v3
	v_cmp_lt_u32_e32 vcc, v6, v5
	v_add_u32_e32 v6, 4, v3
	s_waitcnt lgkmcnt(0)
	v_cndmask_b32_e32 v4, 0, v4, vcc
	v_cmp_gt_u32_e32 vcc, 60, v3
	v_add_u32_e32 v1, v1, v4
	v_cndmask_b32_e64 v4, 0, 1, vcc
	v_lshlrev_b32_e32 v4, 2, v4
	v_add_lshl_u32 v4, v4, v2, 2
	ds_bpermute_b32 v4, v4, v1
	v_cmp_lt_u32_e32 vcc, v6, v5
	v_add_u32_e32 v6, 8, v3
	s_waitcnt lgkmcnt(0)
	v_cndmask_b32_e32 v4, 0, v4, vcc
	v_cmp_gt_u32_e32 vcc, 56, v3
	v_add_u32_e32 v1, v1, v4
	v_cndmask_b32_e64 v4, 0, 1, vcc
	v_lshlrev_b32_e32 v4, 3, v4
	v_add_lshl_u32 v4, v4, v2, 2
	ds_bpermute_b32 v4, v4, v1
	;; [unrolled: 10-line block ×3, first 2 shown]
	v_cmp_lt_u32_e32 vcc, v6, v5
	s_waitcnt lgkmcnt(0)
	v_cndmask_b32_e32 v4, 0, v4, vcc
	v_cmp_gt_u32_e32 vcc, 32, v3
	v_add_u32_e32 v1, v1, v4
	v_cndmask_b32_e64 v4, 0, 1, vcc
	v_lshlrev_b32_e32 v4, 5, v4
	v_add_lshl_u32 v4, v4, v2, 2
	ds_bpermute_b32 v4, v4, v1
	v_add_u32_e32 v3, 32, v3
	v_cmp_lt_u32_e32 vcc, v3, v5
	s_waitcnt lgkmcnt(0)
	v_cndmask_b32_e32 v3, 0, v4, vcc
	v_add_u32_e32 v1, v1, v3
	v_cmp_eq_u32_e32 vcc, 0, v2
	s_and_saveexec_b64 s[0:1], vcc
	s_cbranch_execz .LBB2193_211
; %bb.210:
	v_lshrrev_b32_e32 v3, 4, v0
	v_and_b32_e32 v3, 4, v3
	ds_write_b32 v3, v1 offset:48
.LBB2193_211:
	s_or_b64 exec, exec, s[0:1]
	v_cmp_gt_u32_e32 vcc, 2, v0
	s_waitcnt lgkmcnt(0)
	s_barrier
	s_and_saveexec_b64 s[0:1], vcc
	s_cbranch_execz .LBB2193_213
; %bb.212:
	v_lshlrev_b32_e32 v1, 2, v2
	ds_read_b32 v3, v1 offset:48
	v_or_b32_e32 v1, 4, v1
	s_add_i32 s2, s2, 63
	v_and_b32_e32 v2, 1, v2
	s_lshr_b32 s2, s2, 6
	s_waitcnt lgkmcnt(0)
	ds_bpermute_b32 v1, v1, v3
	v_add_u32_e32 v2, 1, v2
	v_cmp_gt_u32_e32 vcc, s2, v2
	s_waitcnt lgkmcnt(0)
	v_cndmask_b32_e32 v1, 0, v1, vcc
	v_add_u32_e32 v1, v1, v3
.LBB2193_213:
	s_or_b64 exec, exec, s[0:1]
.LBB2193_214:
	v_cmp_eq_u32_e64 s[0:1], 0, v0
	s_branch .LBB2193_224
.LBB2193_215:
	s_cmp_eq_u32 s33, 1
	s_cbranch_scc0 .LBB2193_223
; %bb.216:
	s_mov_b32 s3, 0
	s_lshl_b32 s2, s6, 7
	s_mov_b32 s7, s3
	s_lshr_b64 s[0:1], s[36:37], 7
	s_cmp_lg_u64 s[0:1], s[6:7]
	v_mbcnt_lo_u32_b32 v2, -1, 0
	s_cbranch_scc0 .LBB2193_227
; %bb.217:
	s_lshl_b64 s[0:1], s[2:3], 1
	s_add_u32 s8, s40, s0
	s_addc_u32 s9, s41, s1
	s_add_u32 s0, s42, s0
	v_lshlrev_b32_e32 v1, 1, v0
	s_addc_u32 s1, s43, s1
	global_load_ushort v5, v1, s[8:9]
	global_load_ushort v6, v1, s[0:1]
	v_mbcnt_hi_u32_b32 v3, -1, v2
	v_lshlrev_b32_e32 v4, 2, v3
	s_waitcnt vmcnt(0)
	v_cmp_neq_f16_e32 vcc, v5, v6
	v_cndmask_b32_e64 v1, 0, 1, vcc
	s_nop 1
	v_mov_b32_dpp v1, v1 quad_perm:[1,0,3,2] row_mask:0xf bank_mask:0xf bound_ctrl:1
	v_addc_co_u32_e64 v5, s[0:1], 0, v1, vcc
	s_nop 1
	v_mov_b32_dpp v5, v5 quad_perm:[2,3,0,1] row_mask:0xf bank_mask:0xf bound_ctrl:1
	v_addc_co_u32_e32 v1, vcc, v5, v1, vcc
	v_or_b32_e32 v5, 0xfc, v4
	s_nop 0
	v_add_u32_dpp v1, v1, v1 row_ror:4 row_mask:0xf bank_mask:0xf bound_ctrl:1
	v_cmp_eq_u32_e32 vcc, 0, v3
	s_nop 0
	v_add_u32_dpp v1, v1, v1 row_ror:8 row_mask:0xf bank_mask:0xf bound_ctrl:1
	s_nop 1
	v_add_u32_dpp v1, v1, v1 row_bcast:15 row_mask:0xf bank_mask:0xf bound_ctrl:1
	s_nop 1
	v_add_u32_dpp v1, v1, v1 row_bcast:31 row_mask:0xf bank_mask:0xf bound_ctrl:1
	ds_bpermute_b32 v1, v5, v1
	s_and_saveexec_b64 s[0:1], vcc
	s_cbranch_execz .LBB2193_219
; %bb.218:
	v_lshrrev_b32_e32 v5, 4, v0
	v_and_b32_e32 v5, 4, v5
	s_waitcnt lgkmcnt(0)
	ds_write_b32 v5, v1 offset:8
.LBB2193_219:
	s_or_b64 exec, exec, s[0:1]
	v_cmp_gt_u32_e32 vcc, 64, v0
	s_waitcnt lgkmcnt(0)
	s_barrier
	s_and_saveexec_b64 s[0:1], vcc
	s_cbranch_execz .LBB2193_221
; %bb.220:
	v_and_b32_e32 v1, 1, v3
	v_lshlrev_b32_e32 v1, 2, v1
	ds_read_b32 v1, v1 offset:8
	v_or_b32_e32 v3, 4, v4
	s_waitcnt lgkmcnt(0)
	ds_bpermute_b32 v3, v3, v1
	s_waitcnt lgkmcnt(0)
	v_add_u32_e32 v1, v3, v1
.LBB2193_221:
	s_or_b64 exec, exec, s[0:1]
.LBB2193_222:
	v_cmp_eq_u32_e64 s[0:1], 0, v0
	s_and_saveexec_b64 s[2:3], s[0:1]
	s_cbranch_execnz .LBB2193_225
	s_branch .LBB2193_226
.LBB2193_223:
                                        ; implicit-def: $vgpr1
                                        ; implicit-def: $sgpr6_sgpr7
.LBB2193_224:
	s_and_saveexec_b64 s[2:3], s[0:1]
	s_cbranch_execz .LBB2193_226
.LBB2193_225:
	s_lshl_b64 s[0:1], s[6:7], 2
	s_load_dword s2, s[4:5], 0x30
	s_add_u32 s0, s38, s0
	s_addc_u32 s1, s39, s1
	s_cmp_lg_u64 s[36:37], 0
	s_cselect_b64 vcc, -1, 0
	v_cndmask_b32_e32 v1, 0, v1, vcc
	v_mov_b32_e32 v0, 0
	s_waitcnt lgkmcnt(0)
	v_add_u32_e32 v1, s2, v1
	global_store_dword v0, v1, s[0:1]
.LBB2193_226:
	s_endpgm
.LBB2193_227:
                                        ; implicit-def: $vgpr1
	s_cbranch_execz .LBB2193_222
; %bb.228:
	s_sub_i32 s8, s36, s2
	v_cmp_gt_u32_e32 vcc, s8, v0
                                        ; implicit-def: $vgpr1
	s_and_saveexec_b64 s[0:1], vcc
	s_cbranch_execz .LBB2193_230
; %bb.229:
	s_lshl_b64 s[2:3], s[2:3], 1
	s_add_u32 s10, s40, s2
	s_addc_u32 s11, s41, s3
	v_lshlrev_b32_e32 v1, 1, v0
	s_add_u32 s2, s42, s2
	s_addc_u32 s3, s43, s3
	global_load_ushort v3, v1, s[10:11]
	global_load_ushort v4, v1, s[2:3]
	s_waitcnt vmcnt(0)
	v_cmp_neq_f16_e32 vcc, v3, v4
	v_cndmask_b32_e64 v1, 0, 1, vcc
.LBB2193_230:
	s_or_b64 exec, exec, s[0:1]
	v_mbcnt_hi_u32_b32 v2, -1, v2
	v_and_b32_e32 v3, 63, v2
	v_cmp_ne_u32_e32 vcc, 63, v3
	v_addc_co_u32_e32 v4, vcc, 0, v2, vcc
	v_lshlrev_b32_e32 v4, 2, v4
	ds_bpermute_b32 v4, v4, v1
	s_min_u32 s2, s8, 0x80
	v_and_b32_e32 v5, 64, v0
	v_sub_u32_e64 v5, s2, v5 clamp
	v_add_u32_e32 v6, 1, v3
	v_cmp_lt_u32_e32 vcc, v6, v5
	s_waitcnt lgkmcnt(0)
	v_cndmask_b32_e32 v4, 0, v4, vcc
	v_cmp_gt_u32_e32 vcc, 62, v3
	v_add_u32_e32 v1, v4, v1
	v_cndmask_b32_e64 v4, 0, 1, vcc
	v_lshlrev_b32_e32 v4, 1, v4
	v_add_lshl_u32 v4, v4, v2, 2
	ds_bpermute_b32 v4, v4, v1
	v_add_u32_e32 v6, 2, v3
	v_cmp_lt_u32_e32 vcc, v6, v5
	v_add_u32_e32 v6, 4, v3
	s_waitcnt lgkmcnt(0)
	v_cndmask_b32_e32 v4, 0, v4, vcc
	v_cmp_gt_u32_e32 vcc, 60, v3
	v_add_u32_e32 v1, v1, v4
	v_cndmask_b32_e64 v4, 0, 1, vcc
	v_lshlrev_b32_e32 v4, 2, v4
	v_add_lshl_u32 v4, v4, v2, 2
	ds_bpermute_b32 v4, v4, v1
	v_cmp_lt_u32_e32 vcc, v6, v5
	v_add_u32_e32 v6, 8, v3
	s_waitcnt lgkmcnt(0)
	v_cndmask_b32_e32 v4, 0, v4, vcc
	v_cmp_gt_u32_e32 vcc, 56, v3
	v_add_u32_e32 v1, v1, v4
	v_cndmask_b32_e64 v4, 0, 1, vcc
	v_lshlrev_b32_e32 v4, 3, v4
	v_add_lshl_u32 v4, v4, v2, 2
	ds_bpermute_b32 v4, v4, v1
	;; [unrolled: 10-line block ×3, first 2 shown]
	v_cmp_lt_u32_e32 vcc, v6, v5
	s_waitcnt lgkmcnt(0)
	v_cndmask_b32_e32 v4, 0, v4, vcc
	v_cmp_gt_u32_e32 vcc, 32, v3
	v_add_u32_e32 v1, v1, v4
	v_cndmask_b32_e64 v4, 0, 1, vcc
	v_lshlrev_b32_e32 v4, 5, v4
	v_add_lshl_u32 v4, v4, v2, 2
	ds_bpermute_b32 v4, v4, v1
	v_add_u32_e32 v3, 32, v3
	v_cmp_lt_u32_e32 vcc, v3, v5
	s_waitcnt lgkmcnt(0)
	v_cndmask_b32_e32 v3, 0, v4, vcc
	v_add_u32_e32 v1, v1, v3
	v_cmp_eq_u32_e32 vcc, 0, v2
	s_and_saveexec_b64 s[0:1], vcc
	s_cbranch_execz .LBB2193_232
; %bb.231:
	v_lshrrev_b32_e32 v3, 4, v0
	v_and_b32_e32 v3, 4, v3
	ds_write_b32 v3, v1 offset:48
.LBB2193_232:
	s_or_b64 exec, exec, s[0:1]
	v_cmp_gt_u32_e32 vcc, 2, v0
	s_waitcnt lgkmcnt(0)
	s_barrier
	s_and_saveexec_b64 s[0:1], vcc
	s_cbranch_execz .LBB2193_234
; %bb.233:
	v_lshlrev_b32_e32 v1, 2, v2
	ds_read_b32 v3, v1 offset:48
	v_or_b32_e32 v1, 4, v1
	s_add_i32 s2, s2, 63
	v_and_b32_e32 v2, 1, v2
	s_lshr_b32 s2, s2, 6
	s_waitcnt lgkmcnt(0)
	ds_bpermute_b32 v1, v1, v3
	v_add_u32_e32 v2, 1, v2
	v_cmp_gt_u32_e32 vcc, s2, v2
	s_waitcnt lgkmcnt(0)
	v_cndmask_b32_e32 v1, 0, v1, vcc
	v_add_u32_e32 v1, v1, v3
.LBB2193_234:
	s_or_b64 exec, exec, s[0:1]
	v_cmp_eq_u32_e64 s[0:1], 0, v0
	s_and_saveexec_b64 s[2:3], s[0:1]
	s_cbranch_execnz .LBB2193_225
	s_branch .LBB2193_226
	.section	.rodata,"a",@progbits
	.p2align	6, 0x0
	.amdhsa_kernel _ZN7rocprim17ROCPRIM_400000_NS6detail17trampoline_kernelINS0_14default_configENS1_22reduce_config_selectorIiEEZNS1_11reduce_implILb1ES3_N6thrust23THRUST_200600_302600_NS11hip_rocprim35transform_pair_of_input_iterators_tIiPN3c104HalfESD_NS8_12not_equal_toISC_EEEEPiiNS8_4plusIiEEEE10hipError_tPvRmT1_T2_T3_mT4_P12ihipStream_tbEUlT_E1_NS1_11comp_targetILNS1_3genE4ELNS1_11target_archE910ELNS1_3gpuE8ELNS1_3repE0EEENS1_30default_config_static_selectorELNS0_4arch9wavefront6targetE1EEEvSN_
		.amdhsa_group_segment_fixed_size 56
		.amdhsa_private_segment_fixed_size 0
		.amdhsa_kernarg_size 56
		.amdhsa_user_sgpr_count 6
		.amdhsa_user_sgpr_private_segment_buffer 1
		.amdhsa_user_sgpr_dispatch_ptr 0
		.amdhsa_user_sgpr_queue_ptr 0
		.amdhsa_user_sgpr_kernarg_segment_ptr 1
		.amdhsa_user_sgpr_dispatch_id 0
		.amdhsa_user_sgpr_flat_scratch_init 0
		.amdhsa_user_sgpr_kernarg_preload_length 0
		.amdhsa_user_sgpr_kernarg_preload_offset 0
		.amdhsa_user_sgpr_private_segment_size 0
		.amdhsa_uses_dynamic_stack 0
		.amdhsa_system_sgpr_private_segment_wavefront_offset 0
		.amdhsa_system_sgpr_workgroup_id_x 1
		.amdhsa_system_sgpr_workgroup_id_y 0
		.amdhsa_system_sgpr_workgroup_id_z 0
		.amdhsa_system_sgpr_workgroup_info 0
		.amdhsa_system_vgpr_workitem_id 0
		.amdhsa_next_free_vgpr 63
		.amdhsa_next_free_sgpr 49
		.amdhsa_accum_offset 64
		.amdhsa_reserve_vcc 1
		.amdhsa_reserve_flat_scratch 0
		.amdhsa_float_round_mode_32 0
		.amdhsa_float_round_mode_16_64 0
		.amdhsa_float_denorm_mode_32 3
		.amdhsa_float_denorm_mode_16_64 3
		.amdhsa_dx10_clamp 1
		.amdhsa_ieee_mode 1
		.amdhsa_fp16_overflow 0
		.amdhsa_tg_split 0
		.amdhsa_exception_fp_ieee_invalid_op 0
		.amdhsa_exception_fp_denorm_src 0
		.amdhsa_exception_fp_ieee_div_zero 0
		.amdhsa_exception_fp_ieee_overflow 0
		.amdhsa_exception_fp_ieee_underflow 0
		.amdhsa_exception_fp_ieee_inexact 0
		.amdhsa_exception_int_div_zero 0
	.end_amdhsa_kernel
	.section	.text._ZN7rocprim17ROCPRIM_400000_NS6detail17trampoline_kernelINS0_14default_configENS1_22reduce_config_selectorIiEEZNS1_11reduce_implILb1ES3_N6thrust23THRUST_200600_302600_NS11hip_rocprim35transform_pair_of_input_iterators_tIiPN3c104HalfESD_NS8_12not_equal_toISC_EEEEPiiNS8_4plusIiEEEE10hipError_tPvRmT1_T2_T3_mT4_P12ihipStream_tbEUlT_E1_NS1_11comp_targetILNS1_3genE4ELNS1_11target_archE910ELNS1_3gpuE8ELNS1_3repE0EEENS1_30default_config_static_selectorELNS0_4arch9wavefront6targetE1EEEvSN_,"axG",@progbits,_ZN7rocprim17ROCPRIM_400000_NS6detail17trampoline_kernelINS0_14default_configENS1_22reduce_config_selectorIiEEZNS1_11reduce_implILb1ES3_N6thrust23THRUST_200600_302600_NS11hip_rocprim35transform_pair_of_input_iterators_tIiPN3c104HalfESD_NS8_12not_equal_toISC_EEEEPiiNS8_4plusIiEEEE10hipError_tPvRmT1_T2_T3_mT4_P12ihipStream_tbEUlT_E1_NS1_11comp_targetILNS1_3genE4ELNS1_11target_archE910ELNS1_3gpuE8ELNS1_3repE0EEENS1_30default_config_static_selectorELNS0_4arch9wavefront6targetE1EEEvSN_,comdat
.Lfunc_end2193:
	.size	_ZN7rocprim17ROCPRIM_400000_NS6detail17trampoline_kernelINS0_14default_configENS1_22reduce_config_selectorIiEEZNS1_11reduce_implILb1ES3_N6thrust23THRUST_200600_302600_NS11hip_rocprim35transform_pair_of_input_iterators_tIiPN3c104HalfESD_NS8_12not_equal_toISC_EEEEPiiNS8_4plusIiEEEE10hipError_tPvRmT1_T2_T3_mT4_P12ihipStream_tbEUlT_E1_NS1_11comp_targetILNS1_3genE4ELNS1_11target_archE910ELNS1_3gpuE8ELNS1_3repE0EEENS1_30default_config_static_selectorELNS0_4arch9wavefront6targetE1EEEvSN_, .Lfunc_end2193-_ZN7rocprim17ROCPRIM_400000_NS6detail17trampoline_kernelINS0_14default_configENS1_22reduce_config_selectorIiEEZNS1_11reduce_implILb1ES3_N6thrust23THRUST_200600_302600_NS11hip_rocprim35transform_pair_of_input_iterators_tIiPN3c104HalfESD_NS8_12not_equal_toISC_EEEEPiiNS8_4plusIiEEEE10hipError_tPvRmT1_T2_T3_mT4_P12ihipStream_tbEUlT_E1_NS1_11comp_targetILNS1_3genE4ELNS1_11target_archE910ELNS1_3gpuE8ELNS1_3repE0EEENS1_30default_config_static_selectorELNS0_4arch9wavefront6targetE1EEEvSN_
                                        ; -- End function
	.section	.AMDGPU.csdata,"",@progbits
; Kernel info:
; codeLenInByte = 11204
; NumSgprs: 53
; NumVgprs: 63
; NumAgprs: 0
; TotalNumVgprs: 63
; ScratchSize: 0
; MemoryBound: 0
; FloatMode: 240
; IeeeMode: 1
; LDSByteSize: 56 bytes/workgroup (compile time only)
; SGPRBlocks: 6
; VGPRBlocks: 7
; NumSGPRsForWavesPerEU: 53
; NumVGPRsForWavesPerEU: 63
; AccumOffset: 64
; Occupancy: 8
; WaveLimiterHint : 0
; COMPUTE_PGM_RSRC2:SCRATCH_EN: 0
; COMPUTE_PGM_RSRC2:USER_SGPR: 6
; COMPUTE_PGM_RSRC2:TRAP_HANDLER: 0
; COMPUTE_PGM_RSRC2:TGID_X_EN: 1
; COMPUTE_PGM_RSRC2:TGID_Y_EN: 0
; COMPUTE_PGM_RSRC2:TGID_Z_EN: 0
; COMPUTE_PGM_RSRC2:TIDIG_COMP_CNT: 0
; COMPUTE_PGM_RSRC3_GFX90A:ACCUM_OFFSET: 15
; COMPUTE_PGM_RSRC3_GFX90A:TG_SPLIT: 0
	.section	.text._ZN7rocprim17ROCPRIM_400000_NS6detail17trampoline_kernelINS0_14default_configENS1_22reduce_config_selectorIiEEZNS1_11reduce_implILb1ES3_N6thrust23THRUST_200600_302600_NS11hip_rocprim35transform_pair_of_input_iterators_tIiPN3c104HalfESD_NS8_12not_equal_toISC_EEEEPiiNS8_4plusIiEEEE10hipError_tPvRmT1_T2_T3_mT4_P12ihipStream_tbEUlT_E1_NS1_11comp_targetILNS1_3genE3ELNS1_11target_archE908ELNS1_3gpuE7ELNS1_3repE0EEENS1_30default_config_static_selectorELNS0_4arch9wavefront6targetE1EEEvSN_,"axG",@progbits,_ZN7rocprim17ROCPRIM_400000_NS6detail17trampoline_kernelINS0_14default_configENS1_22reduce_config_selectorIiEEZNS1_11reduce_implILb1ES3_N6thrust23THRUST_200600_302600_NS11hip_rocprim35transform_pair_of_input_iterators_tIiPN3c104HalfESD_NS8_12not_equal_toISC_EEEEPiiNS8_4plusIiEEEE10hipError_tPvRmT1_T2_T3_mT4_P12ihipStream_tbEUlT_E1_NS1_11comp_targetILNS1_3genE3ELNS1_11target_archE908ELNS1_3gpuE7ELNS1_3repE0EEENS1_30default_config_static_selectorELNS0_4arch9wavefront6targetE1EEEvSN_,comdat
	.protected	_ZN7rocprim17ROCPRIM_400000_NS6detail17trampoline_kernelINS0_14default_configENS1_22reduce_config_selectorIiEEZNS1_11reduce_implILb1ES3_N6thrust23THRUST_200600_302600_NS11hip_rocprim35transform_pair_of_input_iterators_tIiPN3c104HalfESD_NS8_12not_equal_toISC_EEEEPiiNS8_4plusIiEEEE10hipError_tPvRmT1_T2_T3_mT4_P12ihipStream_tbEUlT_E1_NS1_11comp_targetILNS1_3genE3ELNS1_11target_archE908ELNS1_3gpuE7ELNS1_3repE0EEENS1_30default_config_static_selectorELNS0_4arch9wavefront6targetE1EEEvSN_ ; -- Begin function _ZN7rocprim17ROCPRIM_400000_NS6detail17trampoline_kernelINS0_14default_configENS1_22reduce_config_selectorIiEEZNS1_11reduce_implILb1ES3_N6thrust23THRUST_200600_302600_NS11hip_rocprim35transform_pair_of_input_iterators_tIiPN3c104HalfESD_NS8_12not_equal_toISC_EEEEPiiNS8_4plusIiEEEE10hipError_tPvRmT1_T2_T3_mT4_P12ihipStream_tbEUlT_E1_NS1_11comp_targetILNS1_3genE3ELNS1_11target_archE908ELNS1_3gpuE7ELNS1_3repE0EEENS1_30default_config_static_selectorELNS0_4arch9wavefront6targetE1EEEvSN_
	.globl	_ZN7rocprim17ROCPRIM_400000_NS6detail17trampoline_kernelINS0_14default_configENS1_22reduce_config_selectorIiEEZNS1_11reduce_implILb1ES3_N6thrust23THRUST_200600_302600_NS11hip_rocprim35transform_pair_of_input_iterators_tIiPN3c104HalfESD_NS8_12not_equal_toISC_EEEEPiiNS8_4plusIiEEEE10hipError_tPvRmT1_T2_T3_mT4_P12ihipStream_tbEUlT_E1_NS1_11comp_targetILNS1_3genE3ELNS1_11target_archE908ELNS1_3gpuE7ELNS1_3repE0EEENS1_30default_config_static_selectorELNS0_4arch9wavefront6targetE1EEEvSN_
	.p2align	8
	.type	_ZN7rocprim17ROCPRIM_400000_NS6detail17trampoline_kernelINS0_14default_configENS1_22reduce_config_selectorIiEEZNS1_11reduce_implILb1ES3_N6thrust23THRUST_200600_302600_NS11hip_rocprim35transform_pair_of_input_iterators_tIiPN3c104HalfESD_NS8_12not_equal_toISC_EEEEPiiNS8_4plusIiEEEE10hipError_tPvRmT1_T2_T3_mT4_P12ihipStream_tbEUlT_E1_NS1_11comp_targetILNS1_3genE3ELNS1_11target_archE908ELNS1_3gpuE7ELNS1_3repE0EEENS1_30default_config_static_selectorELNS0_4arch9wavefront6targetE1EEEvSN_,@function
_ZN7rocprim17ROCPRIM_400000_NS6detail17trampoline_kernelINS0_14default_configENS1_22reduce_config_selectorIiEEZNS1_11reduce_implILb1ES3_N6thrust23THRUST_200600_302600_NS11hip_rocprim35transform_pair_of_input_iterators_tIiPN3c104HalfESD_NS8_12not_equal_toISC_EEEEPiiNS8_4plusIiEEEE10hipError_tPvRmT1_T2_T3_mT4_P12ihipStream_tbEUlT_E1_NS1_11comp_targetILNS1_3genE3ELNS1_11target_archE908ELNS1_3gpuE7ELNS1_3repE0EEENS1_30default_config_static_selectorELNS0_4arch9wavefront6targetE1EEEvSN_: ; @_ZN7rocprim17ROCPRIM_400000_NS6detail17trampoline_kernelINS0_14default_configENS1_22reduce_config_selectorIiEEZNS1_11reduce_implILb1ES3_N6thrust23THRUST_200600_302600_NS11hip_rocprim35transform_pair_of_input_iterators_tIiPN3c104HalfESD_NS8_12not_equal_toISC_EEEEPiiNS8_4plusIiEEEE10hipError_tPvRmT1_T2_T3_mT4_P12ihipStream_tbEUlT_E1_NS1_11comp_targetILNS1_3genE3ELNS1_11target_archE908ELNS1_3gpuE7ELNS1_3repE0EEENS1_30default_config_static_selectorELNS0_4arch9wavefront6targetE1EEEvSN_
; %bb.0:
	.section	.rodata,"a",@progbits
	.p2align	6, 0x0
	.amdhsa_kernel _ZN7rocprim17ROCPRIM_400000_NS6detail17trampoline_kernelINS0_14default_configENS1_22reduce_config_selectorIiEEZNS1_11reduce_implILb1ES3_N6thrust23THRUST_200600_302600_NS11hip_rocprim35transform_pair_of_input_iterators_tIiPN3c104HalfESD_NS8_12not_equal_toISC_EEEEPiiNS8_4plusIiEEEE10hipError_tPvRmT1_T2_T3_mT4_P12ihipStream_tbEUlT_E1_NS1_11comp_targetILNS1_3genE3ELNS1_11target_archE908ELNS1_3gpuE7ELNS1_3repE0EEENS1_30default_config_static_selectorELNS0_4arch9wavefront6targetE1EEEvSN_
		.amdhsa_group_segment_fixed_size 0
		.amdhsa_private_segment_fixed_size 0
		.amdhsa_kernarg_size 56
		.amdhsa_user_sgpr_count 6
		.amdhsa_user_sgpr_private_segment_buffer 1
		.amdhsa_user_sgpr_dispatch_ptr 0
		.amdhsa_user_sgpr_queue_ptr 0
		.amdhsa_user_sgpr_kernarg_segment_ptr 1
		.amdhsa_user_sgpr_dispatch_id 0
		.amdhsa_user_sgpr_flat_scratch_init 0
		.amdhsa_user_sgpr_kernarg_preload_length 0
		.amdhsa_user_sgpr_kernarg_preload_offset 0
		.amdhsa_user_sgpr_private_segment_size 0
		.amdhsa_uses_dynamic_stack 0
		.amdhsa_system_sgpr_private_segment_wavefront_offset 0
		.amdhsa_system_sgpr_workgroup_id_x 1
		.amdhsa_system_sgpr_workgroup_id_y 0
		.amdhsa_system_sgpr_workgroup_id_z 0
		.amdhsa_system_sgpr_workgroup_info 0
		.amdhsa_system_vgpr_workitem_id 0
		.amdhsa_next_free_vgpr 1
		.amdhsa_next_free_sgpr 0
		.amdhsa_accum_offset 4
		.amdhsa_reserve_vcc 0
		.amdhsa_reserve_flat_scratch 0
		.amdhsa_float_round_mode_32 0
		.amdhsa_float_round_mode_16_64 0
		.amdhsa_float_denorm_mode_32 3
		.amdhsa_float_denorm_mode_16_64 3
		.amdhsa_dx10_clamp 1
		.amdhsa_ieee_mode 1
		.amdhsa_fp16_overflow 0
		.amdhsa_tg_split 0
		.amdhsa_exception_fp_ieee_invalid_op 0
		.amdhsa_exception_fp_denorm_src 0
		.amdhsa_exception_fp_ieee_div_zero 0
		.amdhsa_exception_fp_ieee_overflow 0
		.amdhsa_exception_fp_ieee_underflow 0
		.amdhsa_exception_fp_ieee_inexact 0
		.amdhsa_exception_int_div_zero 0
	.end_amdhsa_kernel
	.section	.text._ZN7rocprim17ROCPRIM_400000_NS6detail17trampoline_kernelINS0_14default_configENS1_22reduce_config_selectorIiEEZNS1_11reduce_implILb1ES3_N6thrust23THRUST_200600_302600_NS11hip_rocprim35transform_pair_of_input_iterators_tIiPN3c104HalfESD_NS8_12not_equal_toISC_EEEEPiiNS8_4plusIiEEEE10hipError_tPvRmT1_T2_T3_mT4_P12ihipStream_tbEUlT_E1_NS1_11comp_targetILNS1_3genE3ELNS1_11target_archE908ELNS1_3gpuE7ELNS1_3repE0EEENS1_30default_config_static_selectorELNS0_4arch9wavefront6targetE1EEEvSN_,"axG",@progbits,_ZN7rocprim17ROCPRIM_400000_NS6detail17trampoline_kernelINS0_14default_configENS1_22reduce_config_selectorIiEEZNS1_11reduce_implILb1ES3_N6thrust23THRUST_200600_302600_NS11hip_rocprim35transform_pair_of_input_iterators_tIiPN3c104HalfESD_NS8_12not_equal_toISC_EEEEPiiNS8_4plusIiEEEE10hipError_tPvRmT1_T2_T3_mT4_P12ihipStream_tbEUlT_E1_NS1_11comp_targetILNS1_3genE3ELNS1_11target_archE908ELNS1_3gpuE7ELNS1_3repE0EEENS1_30default_config_static_selectorELNS0_4arch9wavefront6targetE1EEEvSN_,comdat
.Lfunc_end2194:
	.size	_ZN7rocprim17ROCPRIM_400000_NS6detail17trampoline_kernelINS0_14default_configENS1_22reduce_config_selectorIiEEZNS1_11reduce_implILb1ES3_N6thrust23THRUST_200600_302600_NS11hip_rocprim35transform_pair_of_input_iterators_tIiPN3c104HalfESD_NS8_12not_equal_toISC_EEEEPiiNS8_4plusIiEEEE10hipError_tPvRmT1_T2_T3_mT4_P12ihipStream_tbEUlT_E1_NS1_11comp_targetILNS1_3genE3ELNS1_11target_archE908ELNS1_3gpuE7ELNS1_3repE0EEENS1_30default_config_static_selectorELNS0_4arch9wavefront6targetE1EEEvSN_, .Lfunc_end2194-_ZN7rocprim17ROCPRIM_400000_NS6detail17trampoline_kernelINS0_14default_configENS1_22reduce_config_selectorIiEEZNS1_11reduce_implILb1ES3_N6thrust23THRUST_200600_302600_NS11hip_rocprim35transform_pair_of_input_iterators_tIiPN3c104HalfESD_NS8_12not_equal_toISC_EEEEPiiNS8_4plusIiEEEE10hipError_tPvRmT1_T2_T3_mT4_P12ihipStream_tbEUlT_E1_NS1_11comp_targetILNS1_3genE3ELNS1_11target_archE908ELNS1_3gpuE7ELNS1_3repE0EEENS1_30default_config_static_selectorELNS0_4arch9wavefront6targetE1EEEvSN_
                                        ; -- End function
	.section	.AMDGPU.csdata,"",@progbits
; Kernel info:
; codeLenInByte = 0
; NumSgprs: 4
; NumVgprs: 0
; NumAgprs: 0
; TotalNumVgprs: 0
; ScratchSize: 0
; MemoryBound: 0
; FloatMode: 240
; IeeeMode: 1
; LDSByteSize: 0 bytes/workgroup (compile time only)
; SGPRBlocks: 0
; VGPRBlocks: 0
; NumSGPRsForWavesPerEU: 4
; NumVGPRsForWavesPerEU: 1
; AccumOffset: 4
; Occupancy: 8
; WaveLimiterHint : 0
; COMPUTE_PGM_RSRC2:SCRATCH_EN: 0
; COMPUTE_PGM_RSRC2:USER_SGPR: 6
; COMPUTE_PGM_RSRC2:TRAP_HANDLER: 0
; COMPUTE_PGM_RSRC2:TGID_X_EN: 1
; COMPUTE_PGM_RSRC2:TGID_Y_EN: 0
; COMPUTE_PGM_RSRC2:TGID_Z_EN: 0
; COMPUTE_PGM_RSRC2:TIDIG_COMP_CNT: 0
; COMPUTE_PGM_RSRC3_GFX90A:ACCUM_OFFSET: 0
; COMPUTE_PGM_RSRC3_GFX90A:TG_SPLIT: 0
	.section	.text._ZN7rocprim17ROCPRIM_400000_NS6detail17trampoline_kernelINS0_14default_configENS1_22reduce_config_selectorIiEEZNS1_11reduce_implILb1ES3_N6thrust23THRUST_200600_302600_NS11hip_rocprim35transform_pair_of_input_iterators_tIiPN3c104HalfESD_NS8_12not_equal_toISC_EEEEPiiNS8_4plusIiEEEE10hipError_tPvRmT1_T2_T3_mT4_P12ihipStream_tbEUlT_E1_NS1_11comp_targetILNS1_3genE2ELNS1_11target_archE906ELNS1_3gpuE6ELNS1_3repE0EEENS1_30default_config_static_selectorELNS0_4arch9wavefront6targetE1EEEvSN_,"axG",@progbits,_ZN7rocprim17ROCPRIM_400000_NS6detail17trampoline_kernelINS0_14default_configENS1_22reduce_config_selectorIiEEZNS1_11reduce_implILb1ES3_N6thrust23THRUST_200600_302600_NS11hip_rocprim35transform_pair_of_input_iterators_tIiPN3c104HalfESD_NS8_12not_equal_toISC_EEEEPiiNS8_4plusIiEEEE10hipError_tPvRmT1_T2_T3_mT4_P12ihipStream_tbEUlT_E1_NS1_11comp_targetILNS1_3genE2ELNS1_11target_archE906ELNS1_3gpuE6ELNS1_3repE0EEENS1_30default_config_static_selectorELNS0_4arch9wavefront6targetE1EEEvSN_,comdat
	.protected	_ZN7rocprim17ROCPRIM_400000_NS6detail17trampoline_kernelINS0_14default_configENS1_22reduce_config_selectorIiEEZNS1_11reduce_implILb1ES3_N6thrust23THRUST_200600_302600_NS11hip_rocprim35transform_pair_of_input_iterators_tIiPN3c104HalfESD_NS8_12not_equal_toISC_EEEEPiiNS8_4plusIiEEEE10hipError_tPvRmT1_T2_T3_mT4_P12ihipStream_tbEUlT_E1_NS1_11comp_targetILNS1_3genE2ELNS1_11target_archE906ELNS1_3gpuE6ELNS1_3repE0EEENS1_30default_config_static_selectorELNS0_4arch9wavefront6targetE1EEEvSN_ ; -- Begin function _ZN7rocprim17ROCPRIM_400000_NS6detail17trampoline_kernelINS0_14default_configENS1_22reduce_config_selectorIiEEZNS1_11reduce_implILb1ES3_N6thrust23THRUST_200600_302600_NS11hip_rocprim35transform_pair_of_input_iterators_tIiPN3c104HalfESD_NS8_12not_equal_toISC_EEEEPiiNS8_4plusIiEEEE10hipError_tPvRmT1_T2_T3_mT4_P12ihipStream_tbEUlT_E1_NS1_11comp_targetILNS1_3genE2ELNS1_11target_archE906ELNS1_3gpuE6ELNS1_3repE0EEENS1_30default_config_static_selectorELNS0_4arch9wavefront6targetE1EEEvSN_
	.globl	_ZN7rocprim17ROCPRIM_400000_NS6detail17trampoline_kernelINS0_14default_configENS1_22reduce_config_selectorIiEEZNS1_11reduce_implILb1ES3_N6thrust23THRUST_200600_302600_NS11hip_rocprim35transform_pair_of_input_iterators_tIiPN3c104HalfESD_NS8_12not_equal_toISC_EEEEPiiNS8_4plusIiEEEE10hipError_tPvRmT1_T2_T3_mT4_P12ihipStream_tbEUlT_E1_NS1_11comp_targetILNS1_3genE2ELNS1_11target_archE906ELNS1_3gpuE6ELNS1_3repE0EEENS1_30default_config_static_selectorELNS0_4arch9wavefront6targetE1EEEvSN_
	.p2align	8
	.type	_ZN7rocprim17ROCPRIM_400000_NS6detail17trampoline_kernelINS0_14default_configENS1_22reduce_config_selectorIiEEZNS1_11reduce_implILb1ES3_N6thrust23THRUST_200600_302600_NS11hip_rocprim35transform_pair_of_input_iterators_tIiPN3c104HalfESD_NS8_12not_equal_toISC_EEEEPiiNS8_4plusIiEEEE10hipError_tPvRmT1_T2_T3_mT4_P12ihipStream_tbEUlT_E1_NS1_11comp_targetILNS1_3genE2ELNS1_11target_archE906ELNS1_3gpuE6ELNS1_3repE0EEENS1_30default_config_static_selectorELNS0_4arch9wavefront6targetE1EEEvSN_,@function
_ZN7rocprim17ROCPRIM_400000_NS6detail17trampoline_kernelINS0_14default_configENS1_22reduce_config_selectorIiEEZNS1_11reduce_implILb1ES3_N6thrust23THRUST_200600_302600_NS11hip_rocprim35transform_pair_of_input_iterators_tIiPN3c104HalfESD_NS8_12not_equal_toISC_EEEEPiiNS8_4plusIiEEEE10hipError_tPvRmT1_T2_T3_mT4_P12ihipStream_tbEUlT_E1_NS1_11comp_targetILNS1_3genE2ELNS1_11target_archE906ELNS1_3gpuE6ELNS1_3repE0EEENS1_30default_config_static_selectorELNS0_4arch9wavefront6targetE1EEEvSN_: ; @_ZN7rocprim17ROCPRIM_400000_NS6detail17trampoline_kernelINS0_14default_configENS1_22reduce_config_selectorIiEEZNS1_11reduce_implILb1ES3_N6thrust23THRUST_200600_302600_NS11hip_rocprim35transform_pair_of_input_iterators_tIiPN3c104HalfESD_NS8_12not_equal_toISC_EEEEPiiNS8_4plusIiEEEE10hipError_tPvRmT1_T2_T3_mT4_P12ihipStream_tbEUlT_E1_NS1_11comp_targetILNS1_3genE2ELNS1_11target_archE906ELNS1_3gpuE6ELNS1_3repE0EEENS1_30default_config_static_selectorELNS0_4arch9wavefront6targetE1EEEvSN_
; %bb.0:
	.section	.rodata,"a",@progbits
	.p2align	6, 0x0
	.amdhsa_kernel _ZN7rocprim17ROCPRIM_400000_NS6detail17trampoline_kernelINS0_14default_configENS1_22reduce_config_selectorIiEEZNS1_11reduce_implILb1ES3_N6thrust23THRUST_200600_302600_NS11hip_rocprim35transform_pair_of_input_iterators_tIiPN3c104HalfESD_NS8_12not_equal_toISC_EEEEPiiNS8_4plusIiEEEE10hipError_tPvRmT1_T2_T3_mT4_P12ihipStream_tbEUlT_E1_NS1_11comp_targetILNS1_3genE2ELNS1_11target_archE906ELNS1_3gpuE6ELNS1_3repE0EEENS1_30default_config_static_selectorELNS0_4arch9wavefront6targetE1EEEvSN_
		.amdhsa_group_segment_fixed_size 0
		.amdhsa_private_segment_fixed_size 0
		.amdhsa_kernarg_size 56
		.amdhsa_user_sgpr_count 6
		.amdhsa_user_sgpr_private_segment_buffer 1
		.amdhsa_user_sgpr_dispatch_ptr 0
		.amdhsa_user_sgpr_queue_ptr 0
		.amdhsa_user_sgpr_kernarg_segment_ptr 1
		.amdhsa_user_sgpr_dispatch_id 0
		.amdhsa_user_sgpr_flat_scratch_init 0
		.amdhsa_user_sgpr_kernarg_preload_length 0
		.amdhsa_user_sgpr_kernarg_preload_offset 0
		.amdhsa_user_sgpr_private_segment_size 0
		.amdhsa_uses_dynamic_stack 0
		.amdhsa_system_sgpr_private_segment_wavefront_offset 0
		.amdhsa_system_sgpr_workgroup_id_x 1
		.amdhsa_system_sgpr_workgroup_id_y 0
		.amdhsa_system_sgpr_workgroup_id_z 0
		.amdhsa_system_sgpr_workgroup_info 0
		.amdhsa_system_vgpr_workitem_id 0
		.amdhsa_next_free_vgpr 1
		.amdhsa_next_free_sgpr 0
		.amdhsa_accum_offset 4
		.amdhsa_reserve_vcc 0
		.amdhsa_reserve_flat_scratch 0
		.amdhsa_float_round_mode_32 0
		.amdhsa_float_round_mode_16_64 0
		.amdhsa_float_denorm_mode_32 3
		.amdhsa_float_denorm_mode_16_64 3
		.amdhsa_dx10_clamp 1
		.amdhsa_ieee_mode 1
		.amdhsa_fp16_overflow 0
		.amdhsa_tg_split 0
		.amdhsa_exception_fp_ieee_invalid_op 0
		.amdhsa_exception_fp_denorm_src 0
		.amdhsa_exception_fp_ieee_div_zero 0
		.amdhsa_exception_fp_ieee_overflow 0
		.amdhsa_exception_fp_ieee_underflow 0
		.amdhsa_exception_fp_ieee_inexact 0
		.amdhsa_exception_int_div_zero 0
	.end_amdhsa_kernel
	.section	.text._ZN7rocprim17ROCPRIM_400000_NS6detail17trampoline_kernelINS0_14default_configENS1_22reduce_config_selectorIiEEZNS1_11reduce_implILb1ES3_N6thrust23THRUST_200600_302600_NS11hip_rocprim35transform_pair_of_input_iterators_tIiPN3c104HalfESD_NS8_12not_equal_toISC_EEEEPiiNS8_4plusIiEEEE10hipError_tPvRmT1_T2_T3_mT4_P12ihipStream_tbEUlT_E1_NS1_11comp_targetILNS1_3genE2ELNS1_11target_archE906ELNS1_3gpuE6ELNS1_3repE0EEENS1_30default_config_static_selectorELNS0_4arch9wavefront6targetE1EEEvSN_,"axG",@progbits,_ZN7rocprim17ROCPRIM_400000_NS6detail17trampoline_kernelINS0_14default_configENS1_22reduce_config_selectorIiEEZNS1_11reduce_implILb1ES3_N6thrust23THRUST_200600_302600_NS11hip_rocprim35transform_pair_of_input_iterators_tIiPN3c104HalfESD_NS8_12not_equal_toISC_EEEEPiiNS8_4plusIiEEEE10hipError_tPvRmT1_T2_T3_mT4_P12ihipStream_tbEUlT_E1_NS1_11comp_targetILNS1_3genE2ELNS1_11target_archE906ELNS1_3gpuE6ELNS1_3repE0EEENS1_30default_config_static_selectorELNS0_4arch9wavefront6targetE1EEEvSN_,comdat
.Lfunc_end2195:
	.size	_ZN7rocprim17ROCPRIM_400000_NS6detail17trampoline_kernelINS0_14default_configENS1_22reduce_config_selectorIiEEZNS1_11reduce_implILb1ES3_N6thrust23THRUST_200600_302600_NS11hip_rocprim35transform_pair_of_input_iterators_tIiPN3c104HalfESD_NS8_12not_equal_toISC_EEEEPiiNS8_4plusIiEEEE10hipError_tPvRmT1_T2_T3_mT4_P12ihipStream_tbEUlT_E1_NS1_11comp_targetILNS1_3genE2ELNS1_11target_archE906ELNS1_3gpuE6ELNS1_3repE0EEENS1_30default_config_static_selectorELNS0_4arch9wavefront6targetE1EEEvSN_, .Lfunc_end2195-_ZN7rocprim17ROCPRIM_400000_NS6detail17trampoline_kernelINS0_14default_configENS1_22reduce_config_selectorIiEEZNS1_11reduce_implILb1ES3_N6thrust23THRUST_200600_302600_NS11hip_rocprim35transform_pair_of_input_iterators_tIiPN3c104HalfESD_NS8_12not_equal_toISC_EEEEPiiNS8_4plusIiEEEE10hipError_tPvRmT1_T2_T3_mT4_P12ihipStream_tbEUlT_E1_NS1_11comp_targetILNS1_3genE2ELNS1_11target_archE906ELNS1_3gpuE6ELNS1_3repE0EEENS1_30default_config_static_selectorELNS0_4arch9wavefront6targetE1EEEvSN_
                                        ; -- End function
	.section	.AMDGPU.csdata,"",@progbits
; Kernel info:
; codeLenInByte = 0
; NumSgprs: 4
; NumVgprs: 0
; NumAgprs: 0
; TotalNumVgprs: 0
; ScratchSize: 0
; MemoryBound: 0
; FloatMode: 240
; IeeeMode: 1
; LDSByteSize: 0 bytes/workgroup (compile time only)
; SGPRBlocks: 0
; VGPRBlocks: 0
; NumSGPRsForWavesPerEU: 4
; NumVGPRsForWavesPerEU: 1
; AccumOffset: 4
; Occupancy: 8
; WaveLimiterHint : 0
; COMPUTE_PGM_RSRC2:SCRATCH_EN: 0
; COMPUTE_PGM_RSRC2:USER_SGPR: 6
; COMPUTE_PGM_RSRC2:TRAP_HANDLER: 0
; COMPUTE_PGM_RSRC2:TGID_X_EN: 1
; COMPUTE_PGM_RSRC2:TGID_Y_EN: 0
; COMPUTE_PGM_RSRC2:TGID_Z_EN: 0
; COMPUTE_PGM_RSRC2:TIDIG_COMP_CNT: 0
; COMPUTE_PGM_RSRC3_GFX90A:ACCUM_OFFSET: 0
; COMPUTE_PGM_RSRC3_GFX90A:TG_SPLIT: 0
	.section	.text._ZN7rocprim17ROCPRIM_400000_NS6detail17trampoline_kernelINS0_14default_configENS1_22reduce_config_selectorIiEEZNS1_11reduce_implILb1ES3_N6thrust23THRUST_200600_302600_NS11hip_rocprim35transform_pair_of_input_iterators_tIiPN3c104HalfESD_NS8_12not_equal_toISC_EEEEPiiNS8_4plusIiEEEE10hipError_tPvRmT1_T2_T3_mT4_P12ihipStream_tbEUlT_E1_NS1_11comp_targetILNS1_3genE10ELNS1_11target_archE1201ELNS1_3gpuE5ELNS1_3repE0EEENS1_30default_config_static_selectorELNS0_4arch9wavefront6targetE1EEEvSN_,"axG",@progbits,_ZN7rocprim17ROCPRIM_400000_NS6detail17trampoline_kernelINS0_14default_configENS1_22reduce_config_selectorIiEEZNS1_11reduce_implILb1ES3_N6thrust23THRUST_200600_302600_NS11hip_rocprim35transform_pair_of_input_iterators_tIiPN3c104HalfESD_NS8_12not_equal_toISC_EEEEPiiNS8_4plusIiEEEE10hipError_tPvRmT1_T2_T3_mT4_P12ihipStream_tbEUlT_E1_NS1_11comp_targetILNS1_3genE10ELNS1_11target_archE1201ELNS1_3gpuE5ELNS1_3repE0EEENS1_30default_config_static_selectorELNS0_4arch9wavefront6targetE1EEEvSN_,comdat
	.protected	_ZN7rocprim17ROCPRIM_400000_NS6detail17trampoline_kernelINS0_14default_configENS1_22reduce_config_selectorIiEEZNS1_11reduce_implILb1ES3_N6thrust23THRUST_200600_302600_NS11hip_rocprim35transform_pair_of_input_iterators_tIiPN3c104HalfESD_NS8_12not_equal_toISC_EEEEPiiNS8_4plusIiEEEE10hipError_tPvRmT1_T2_T3_mT4_P12ihipStream_tbEUlT_E1_NS1_11comp_targetILNS1_3genE10ELNS1_11target_archE1201ELNS1_3gpuE5ELNS1_3repE0EEENS1_30default_config_static_selectorELNS0_4arch9wavefront6targetE1EEEvSN_ ; -- Begin function _ZN7rocprim17ROCPRIM_400000_NS6detail17trampoline_kernelINS0_14default_configENS1_22reduce_config_selectorIiEEZNS1_11reduce_implILb1ES3_N6thrust23THRUST_200600_302600_NS11hip_rocprim35transform_pair_of_input_iterators_tIiPN3c104HalfESD_NS8_12not_equal_toISC_EEEEPiiNS8_4plusIiEEEE10hipError_tPvRmT1_T2_T3_mT4_P12ihipStream_tbEUlT_E1_NS1_11comp_targetILNS1_3genE10ELNS1_11target_archE1201ELNS1_3gpuE5ELNS1_3repE0EEENS1_30default_config_static_selectorELNS0_4arch9wavefront6targetE1EEEvSN_
	.globl	_ZN7rocprim17ROCPRIM_400000_NS6detail17trampoline_kernelINS0_14default_configENS1_22reduce_config_selectorIiEEZNS1_11reduce_implILb1ES3_N6thrust23THRUST_200600_302600_NS11hip_rocprim35transform_pair_of_input_iterators_tIiPN3c104HalfESD_NS8_12not_equal_toISC_EEEEPiiNS8_4plusIiEEEE10hipError_tPvRmT1_T2_T3_mT4_P12ihipStream_tbEUlT_E1_NS1_11comp_targetILNS1_3genE10ELNS1_11target_archE1201ELNS1_3gpuE5ELNS1_3repE0EEENS1_30default_config_static_selectorELNS0_4arch9wavefront6targetE1EEEvSN_
	.p2align	8
	.type	_ZN7rocprim17ROCPRIM_400000_NS6detail17trampoline_kernelINS0_14default_configENS1_22reduce_config_selectorIiEEZNS1_11reduce_implILb1ES3_N6thrust23THRUST_200600_302600_NS11hip_rocprim35transform_pair_of_input_iterators_tIiPN3c104HalfESD_NS8_12not_equal_toISC_EEEEPiiNS8_4plusIiEEEE10hipError_tPvRmT1_T2_T3_mT4_P12ihipStream_tbEUlT_E1_NS1_11comp_targetILNS1_3genE10ELNS1_11target_archE1201ELNS1_3gpuE5ELNS1_3repE0EEENS1_30default_config_static_selectorELNS0_4arch9wavefront6targetE1EEEvSN_,@function
_ZN7rocprim17ROCPRIM_400000_NS6detail17trampoline_kernelINS0_14default_configENS1_22reduce_config_selectorIiEEZNS1_11reduce_implILb1ES3_N6thrust23THRUST_200600_302600_NS11hip_rocprim35transform_pair_of_input_iterators_tIiPN3c104HalfESD_NS8_12not_equal_toISC_EEEEPiiNS8_4plusIiEEEE10hipError_tPvRmT1_T2_T3_mT4_P12ihipStream_tbEUlT_E1_NS1_11comp_targetILNS1_3genE10ELNS1_11target_archE1201ELNS1_3gpuE5ELNS1_3repE0EEENS1_30default_config_static_selectorELNS0_4arch9wavefront6targetE1EEEvSN_: ; @_ZN7rocprim17ROCPRIM_400000_NS6detail17trampoline_kernelINS0_14default_configENS1_22reduce_config_selectorIiEEZNS1_11reduce_implILb1ES3_N6thrust23THRUST_200600_302600_NS11hip_rocprim35transform_pair_of_input_iterators_tIiPN3c104HalfESD_NS8_12not_equal_toISC_EEEEPiiNS8_4plusIiEEEE10hipError_tPvRmT1_T2_T3_mT4_P12ihipStream_tbEUlT_E1_NS1_11comp_targetILNS1_3genE10ELNS1_11target_archE1201ELNS1_3gpuE5ELNS1_3repE0EEENS1_30default_config_static_selectorELNS0_4arch9wavefront6targetE1EEEvSN_
; %bb.0:
	.section	.rodata,"a",@progbits
	.p2align	6, 0x0
	.amdhsa_kernel _ZN7rocprim17ROCPRIM_400000_NS6detail17trampoline_kernelINS0_14default_configENS1_22reduce_config_selectorIiEEZNS1_11reduce_implILb1ES3_N6thrust23THRUST_200600_302600_NS11hip_rocprim35transform_pair_of_input_iterators_tIiPN3c104HalfESD_NS8_12not_equal_toISC_EEEEPiiNS8_4plusIiEEEE10hipError_tPvRmT1_T2_T3_mT4_P12ihipStream_tbEUlT_E1_NS1_11comp_targetILNS1_3genE10ELNS1_11target_archE1201ELNS1_3gpuE5ELNS1_3repE0EEENS1_30default_config_static_selectorELNS0_4arch9wavefront6targetE1EEEvSN_
		.amdhsa_group_segment_fixed_size 0
		.amdhsa_private_segment_fixed_size 0
		.amdhsa_kernarg_size 56
		.amdhsa_user_sgpr_count 6
		.amdhsa_user_sgpr_private_segment_buffer 1
		.amdhsa_user_sgpr_dispatch_ptr 0
		.amdhsa_user_sgpr_queue_ptr 0
		.amdhsa_user_sgpr_kernarg_segment_ptr 1
		.amdhsa_user_sgpr_dispatch_id 0
		.amdhsa_user_sgpr_flat_scratch_init 0
		.amdhsa_user_sgpr_kernarg_preload_length 0
		.amdhsa_user_sgpr_kernarg_preload_offset 0
		.amdhsa_user_sgpr_private_segment_size 0
		.amdhsa_uses_dynamic_stack 0
		.amdhsa_system_sgpr_private_segment_wavefront_offset 0
		.amdhsa_system_sgpr_workgroup_id_x 1
		.amdhsa_system_sgpr_workgroup_id_y 0
		.amdhsa_system_sgpr_workgroup_id_z 0
		.amdhsa_system_sgpr_workgroup_info 0
		.amdhsa_system_vgpr_workitem_id 0
		.amdhsa_next_free_vgpr 1
		.amdhsa_next_free_sgpr 0
		.amdhsa_accum_offset 4
		.amdhsa_reserve_vcc 0
		.amdhsa_reserve_flat_scratch 0
		.amdhsa_float_round_mode_32 0
		.amdhsa_float_round_mode_16_64 0
		.amdhsa_float_denorm_mode_32 3
		.amdhsa_float_denorm_mode_16_64 3
		.amdhsa_dx10_clamp 1
		.amdhsa_ieee_mode 1
		.amdhsa_fp16_overflow 0
		.amdhsa_tg_split 0
		.amdhsa_exception_fp_ieee_invalid_op 0
		.amdhsa_exception_fp_denorm_src 0
		.amdhsa_exception_fp_ieee_div_zero 0
		.amdhsa_exception_fp_ieee_overflow 0
		.amdhsa_exception_fp_ieee_underflow 0
		.amdhsa_exception_fp_ieee_inexact 0
		.amdhsa_exception_int_div_zero 0
	.end_amdhsa_kernel
	.section	.text._ZN7rocprim17ROCPRIM_400000_NS6detail17trampoline_kernelINS0_14default_configENS1_22reduce_config_selectorIiEEZNS1_11reduce_implILb1ES3_N6thrust23THRUST_200600_302600_NS11hip_rocprim35transform_pair_of_input_iterators_tIiPN3c104HalfESD_NS8_12not_equal_toISC_EEEEPiiNS8_4plusIiEEEE10hipError_tPvRmT1_T2_T3_mT4_P12ihipStream_tbEUlT_E1_NS1_11comp_targetILNS1_3genE10ELNS1_11target_archE1201ELNS1_3gpuE5ELNS1_3repE0EEENS1_30default_config_static_selectorELNS0_4arch9wavefront6targetE1EEEvSN_,"axG",@progbits,_ZN7rocprim17ROCPRIM_400000_NS6detail17trampoline_kernelINS0_14default_configENS1_22reduce_config_selectorIiEEZNS1_11reduce_implILb1ES3_N6thrust23THRUST_200600_302600_NS11hip_rocprim35transform_pair_of_input_iterators_tIiPN3c104HalfESD_NS8_12not_equal_toISC_EEEEPiiNS8_4plusIiEEEE10hipError_tPvRmT1_T2_T3_mT4_P12ihipStream_tbEUlT_E1_NS1_11comp_targetILNS1_3genE10ELNS1_11target_archE1201ELNS1_3gpuE5ELNS1_3repE0EEENS1_30default_config_static_selectorELNS0_4arch9wavefront6targetE1EEEvSN_,comdat
.Lfunc_end2196:
	.size	_ZN7rocprim17ROCPRIM_400000_NS6detail17trampoline_kernelINS0_14default_configENS1_22reduce_config_selectorIiEEZNS1_11reduce_implILb1ES3_N6thrust23THRUST_200600_302600_NS11hip_rocprim35transform_pair_of_input_iterators_tIiPN3c104HalfESD_NS8_12not_equal_toISC_EEEEPiiNS8_4plusIiEEEE10hipError_tPvRmT1_T2_T3_mT4_P12ihipStream_tbEUlT_E1_NS1_11comp_targetILNS1_3genE10ELNS1_11target_archE1201ELNS1_3gpuE5ELNS1_3repE0EEENS1_30default_config_static_selectorELNS0_4arch9wavefront6targetE1EEEvSN_, .Lfunc_end2196-_ZN7rocprim17ROCPRIM_400000_NS6detail17trampoline_kernelINS0_14default_configENS1_22reduce_config_selectorIiEEZNS1_11reduce_implILb1ES3_N6thrust23THRUST_200600_302600_NS11hip_rocprim35transform_pair_of_input_iterators_tIiPN3c104HalfESD_NS8_12not_equal_toISC_EEEEPiiNS8_4plusIiEEEE10hipError_tPvRmT1_T2_T3_mT4_P12ihipStream_tbEUlT_E1_NS1_11comp_targetILNS1_3genE10ELNS1_11target_archE1201ELNS1_3gpuE5ELNS1_3repE0EEENS1_30default_config_static_selectorELNS0_4arch9wavefront6targetE1EEEvSN_
                                        ; -- End function
	.section	.AMDGPU.csdata,"",@progbits
; Kernel info:
; codeLenInByte = 0
; NumSgprs: 4
; NumVgprs: 0
; NumAgprs: 0
; TotalNumVgprs: 0
; ScratchSize: 0
; MemoryBound: 0
; FloatMode: 240
; IeeeMode: 1
; LDSByteSize: 0 bytes/workgroup (compile time only)
; SGPRBlocks: 0
; VGPRBlocks: 0
; NumSGPRsForWavesPerEU: 4
; NumVGPRsForWavesPerEU: 1
; AccumOffset: 4
; Occupancy: 8
; WaveLimiterHint : 0
; COMPUTE_PGM_RSRC2:SCRATCH_EN: 0
; COMPUTE_PGM_RSRC2:USER_SGPR: 6
; COMPUTE_PGM_RSRC2:TRAP_HANDLER: 0
; COMPUTE_PGM_RSRC2:TGID_X_EN: 1
; COMPUTE_PGM_RSRC2:TGID_Y_EN: 0
; COMPUTE_PGM_RSRC2:TGID_Z_EN: 0
; COMPUTE_PGM_RSRC2:TIDIG_COMP_CNT: 0
; COMPUTE_PGM_RSRC3_GFX90A:ACCUM_OFFSET: 0
; COMPUTE_PGM_RSRC3_GFX90A:TG_SPLIT: 0
	.section	.text._ZN7rocprim17ROCPRIM_400000_NS6detail17trampoline_kernelINS0_14default_configENS1_22reduce_config_selectorIiEEZNS1_11reduce_implILb1ES3_N6thrust23THRUST_200600_302600_NS11hip_rocprim35transform_pair_of_input_iterators_tIiPN3c104HalfESD_NS8_12not_equal_toISC_EEEEPiiNS8_4plusIiEEEE10hipError_tPvRmT1_T2_T3_mT4_P12ihipStream_tbEUlT_E1_NS1_11comp_targetILNS1_3genE10ELNS1_11target_archE1200ELNS1_3gpuE4ELNS1_3repE0EEENS1_30default_config_static_selectorELNS0_4arch9wavefront6targetE1EEEvSN_,"axG",@progbits,_ZN7rocprim17ROCPRIM_400000_NS6detail17trampoline_kernelINS0_14default_configENS1_22reduce_config_selectorIiEEZNS1_11reduce_implILb1ES3_N6thrust23THRUST_200600_302600_NS11hip_rocprim35transform_pair_of_input_iterators_tIiPN3c104HalfESD_NS8_12not_equal_toISC_EEEEPiiNS8_4plusIiEEEE10hipError_tPvRmT1_T2_T3_mT4_P12ihipStream_tbEUlT_E1_NS1_11comp_targetILNS1_3genE10ELNS1_11target_archE1200ELNS1_3gpuE4ELNS1_3repE0EEENS1_30default_config_static_selectorELNS0_4arch9wavefront6targetE1EEEvSN_,comdat
	.protected	_ZN7rocprim17ROCPRIM_400000_NS6detail17trampoline_kernelINS0_14default_configENS1_22reduce_config_selectorIiEEZNS1_11reduce_implILb1ES3_N6thrust23THRUST_200600_302600_NS11hip_rocprim35transform_pair_of_input_iterators_tIiPN3c104HalfESD_NS8_12not_equal_toISC_EEEEPiiNS8_4plusIiEEEE10hipError_tPvRmT1_T2_T3_mT4_P12ihipStream_tbEUlT_E1_NS1_11comp_targetILNS1_3genE10ELNS1_11target_archE1200ELNS1_3gpuE4ELNS1_3repE0EEENS1_30default_config_static_selectorELNS0_4arch9wavefront6targetE1EEEvSN_ ; -- Begin function _ZN7rocprim17ROCPRIM_400000_NS6detail17trampoline_kernelINS0_14default_configENS1_22reduce_config_selectorIiEEZNS1_11reduce_implILb1ES3_N6thrust23THRUST_200600_302600_NS11hip_rocprim35transform_pair_of_input_iterators_tIiPN3c104HalfESD_NS8_12not_equal_toISC_EEEEPiiNS8_4plusIiEEEE10hipError_tPvRmT1_T2_T3_mT4_P12ihipStream_tbEUlT_E1_NS1_11comp_targetILNS1_3genE10ELNS1_11target_archE1200ELNS1_3gpuE4ELNS1_3repE0EEENS1_30default_config_static_selectorELNS0_4arch9wavefront6targetE1EEEvSN_
	.globl	_ZN7rocprim17ROCPRIM_400000_NS6detail17trampoline_kernelINS0_14default_configENS1_22reduce_config_selectorIiEEZNS1_11reduce_implILb1ES3_N6thrust23THRUST_200600_302600_NS11hip_rocprim35transform_pair_of_input_iterators_tIiPN3c104HalfESD_NS8_12not_equal_toISC_EEEEPiiNS8_4plusIiEEEE10hipError_tPvRmT1_T2_T3_mT4_P12ihipStream_tbEUlT_E1_NS1_11comp_targetILNS1_3genE10ELNS1_11target_archE1200ELNS1_3gpuE4ELNS1_3repE0EEENS1_30default_config_static_selectorELNS0_4arch9wavefront6targetE1EEEvSN_
	.p2align	8
	.type	_ZN7rocprim17ROCPRIM_400000_NS6detail17trampoline_kernelINS0_14default_configENS1_22reduce_config_selectorIiEEZNS1_11reduce_implILb1ES3_N6thrust23THRUST_200600_302600_NS11hip_rocprim35transform_pair_of_input_iterators_tIiPN3c104HalfESD_NS8_12not_equal_toISC_EEEEPiiNS8_4plusIiEEEE10hipError_tPvRmT1_T2_T3_mT4_P12ihipStream_tbEUlT_E1_NS1_11comp_targetILNS1_3genE10ELNS1_11target_archE1200ELNS1_3gpuE4ELNS1_3repE0EEENS1_30default_config_static_selectorELNS0_4arch9wavefront6targetE1EEEvSN_,@function
_ZN7rocprim17ROCPRIM_400000_NS6detail17trampoline_kernelINS0_14default_configENS1_22reduce_config_selectorIiEEZNS1_11reduce_implILb1ES3_N6thrust23THRUST_200600_302600_NS11hip_rocprim35transform_pair_of_input_iterators_tIiPN3c104HalfESD_NS8_12not_equal_toISC_EEEEPiiNS8_4plusIiEEEE10hipError_tPvRmT1_T2_T3_mT4_P12ihipStream_tbEUlT_E1_NS1_11comp_targetILNS1_3genE10ELNS1_11target_archE1200ELNS1_3gpuE4ELNS1_3repE0EEENS1_30default_config_static_selectorELNS0_4arch9wavefront6targetE1EEEvSN_: ; @_ZN7rocprim17ROCPRIM_400000_NS6detail17trampoline_kernelINS0_14default_configENS1_22reduce_config_selectorIiEEZNS1_11reduce_implILb1ES3_N6thrust23THRUST_200600_302600_NS11hip_rocprim35transform_pair_of_input_iterators_tIiPN3c104HalfESD_NS8_12not_equal_toISC_EEEEPiiNS8_4plusIiEEEE10hipError_tPvRmT1_T2_T3_mT4_P12ihipStream_tbEUlT_E1_NS1_11comp_targetILNS1_3genE10ELNS1_11target_archE1200ELNS1_3gpuE4ELNS1_3repE0EEENS1_30default_config_static_selectorELNS0_4arch9wavefront6targetE1EEEvSN_
; %bb.0:
	.section	.rodata,"a",@progbits
	.p2align	6, 0x0
	.amdhsa_kernel _ZN7rocprim17ROCPRIM_400000_NS6detail17trampoline_kernelINS0_14default_configENS1_22reduce_config_selectorIiEEZNS1_11reduce_implILb1ES3_N6thrust23THRUST_200600_302600_NS11hip_rocprim35transform_pair_of_input_iterators_tIiPN3c104HalfESD_NS8_12not_equal_toISC_EEEEPiiNS8_4plusIiEEEE10hipError_tPvRmT1_T2_T3_mT4_P12ihipStream_tbEUlT_E1_NS1_11comp_targetILNS1_3genE10ELNS1_11target_archE1200ELNS1_3gpuE4ELNS1_3repE0EEENS1_30default_config_static_selectorELNS0_4arch9wavefront6targetE1EEEvSN_
		.amdhsa_group_segment_fixed_size 0
		.amdhsa_private_segment_fixed_size 0
		.amdhsa_kernarg_size 56
		.amdhsa_user_sgpr_count 6
		.amdhsa_user_sgpr_private_segment_buffer 1
		.amdhsa_user_sgpr_dispatch_ptr 0
		.amdhsa_user_sgpr_queue_ptr 0
		.amdhsa_user_sgpr_kernarg_segment_ptr 1
		.amdhsa_user_sgpr_dispatch_id 0
		.amdhsa_user_sgpr_flat_scratch_init 0
		.amdhsa_user_sgpr_kernarg_preload_length 0
		.amdhsa_user_sgpr_kernarg_preload_offset 0
		.amdhsa_user_sgpr_private_segment_size 0
		.amdhsa_uses_dynamic_stack 0
		.amdhsa_system_sgpr_private_segment_wavefront_offset 0
		.amdhsa_system_sgpr_workgroup_id_x 1
		.amdhsa_system_sgpr_workgroup_id_y 0
		.amdhsa_system_sgpr_workgroup_id_z 0
		.amdhsa_system_sgpr_workgroup_info 0
		.amdhsa_system_vgpr_workitem_id 0
		.amdhsa_next_free_vgpr 1
		.amdhsa_next_free_sgpr 0
		.amdhsa_accum_offset 4
		.amdhsa_reserve_vcc 0
		.amdhsa_reserve_flat_scratch 0
		.amdhsa_float_round_mode_32 0
		.amdhsa_float_round_mode_16_64 0
		.amdhsa_float_denorm_mode_32 3
		.amdhsa_float_denorm_mode_16_64 3
		.amdhsa_dx10_clamp 1
		.amdhsa_ieee_mode 1
		.amdhsa_fp16_overflow 0
		.amdhsa_tg_split 0
		.amdhsa_exception_fp_ieee_invalid_op 0
		.amdhsa_exception_fp_denorm_src 0
		.amdhsa_exception_fp_ieee_div_zero 0
		.amdhsa_exception_fp_ieee_overflow 0
		.amdhsa_exception_fp_ieee_underflow 0
		.amdhsa_exception_fp_ieee_inexact 0
		.amdhsa_exception_int_div_zero 0
	.end_amdhsa_kernel
	.section	.text._ZN7rocprim17ROCPRIM_400000_NS6detail17trampoline_kernelINS0_14default_configENS1_22reduce_config_selectorIiEEZNS1_11reduce_implILb1ES3_N6thrust23THRUST_200600_302600_NS11hip_rocprim35transform_pair_of_input_iterators_tIiPN3c104HalfESD_NS8_12not_equal_toISC_EEEEPiiNS8_4plusIiEEEE10hipError_tPvRmT1_T2_T3_mT4_P12ihipStream_tbEUlT_E1_NS1_11comp_targetILNS1_3genE10ELNS1_11target_archE1200ELNS1_3gpuE4ELNS1_3repE0EEENS1_30default_config_static_selectorELNS0_4arch9wavefront6targetE1EEEvSN_,"axG",@progbits,_ZN7rocprim17ROCPRIM_400000_NS6detail17trampoline_kernelINS0_14default_configENS1_22reduce_config_selectorIiEEZNS1_11reduce_implILb1ES3_N6thrust23THRUST_200600_302600_NS11hip_rocprim35transform_pair_of_input_iterators_tIiPN3c104HalfESD_NS8_12not_equal_toISC_EEEEPiiNS8_4plusIiEEEE10hipError_tPvRmT1_T2_T3_mT4_P12ihipStream_tbEUlT_E1_NS1_11comp_targetILNS1_3genE10ELNS1_11target_archE1200ELNS1_3gpuE4ELNS1_3repE0EEENS1_30default_config_static_selectorELNS0_4arch9wavefront6targetE1EEEvSN_,comdat
.Lfunc_end2197:
	.size	_ZN7rocprim17ROCPRIM_400000_NS6detail17trampoline_kernelINS0_14default_configENS1_22reduce_config_selectorIiEEZNS1_11reduce_implILb1ES3_N6thrust23THRUST_200600_302600_NS11hip_rocprim35transform_pair_of_input_iterators_tIiPN3c104HalfESD_NS8_12not_equal_toISC_EEEEPiiNS8_4plusIiEEEE10hipError_tPvRmT1_T2_T3_mT4_P12ihipStream_tbEUlT_E1_NS1_11comp_targetILNS1_3genE10ELNS1_11target_archE1200ELNS1_3gpuE4ELNS1_3repE0EEENS1_30default_config_static_selectorELNS0_4arch9wavefront6targetE1EEEvSN_, .Lfunc_end2197-_ZN7rocprim17ROCPRIM_400000_NS6detail17trampoline_kernelINS0_14default_configENS1_22reduce_config_selectorIiEEZNS1_11reduce_implILb1ES3_N6thrust23THRUST_200600_302600_NS11hip_rocprim35transform_pair_of_input_iterators_tIiPN3c104HalfESD_NS8_12not_equal_toISC_EEEEPiiNS8_4plusIiEEEE10hipError_tPvRmT1_T2_T3_mT4_P12ihipStream_tbEUlT_E1_NS1_11comp_targetILNS1_3genE10ELNS1_11target_archE1200ELNS1_3gpuE4ELNS1_3repE0EEENS1_30default_config_static_selectorELNS0_4arch9wavefront6targetE1EEEvSN_
                                        ; -- End function
	.section	.AMDGPU.csdata,"",@progbits
; Kernel info:
; codeLenInByte = 0
; NumSgprs: 4
; NumVgprs: 0
; NumAgprs: 0
; TotalNumVgprs: 0
; ScratchSize: 0
; MemoryBound: 0
; FloatMode: 240
; IeeeMode: 1
; LDSByteSize: 0 bytes/workgroup (compile time only)
; SGPRBlocks: 0
; VGPRBlocks: 0
; NumSGPRsForWavesPerEU: 4
; NumVGPRsForWavesPerEU: 1
; AccumOffset: 4
; Occupancy: 8
; WaveLimiterHint : 0
; COMPUTE_PGM_RSRC2:SCRATCH_EN: 0
; COMPUTE_PGM_RSRC2:USER_SGPR: 6
; COMPUTE_PGM_RSRC2:TRAP_HANDLER: 0
; COMPUTE_PGM_RSRC2:TGID_X_EN: 1
; COMPUTE_PGM_RSRC2:TGID_Y_EN: 0
; COMPUTE_PGM_RSRC2:TGID_Z_EN: 0
; COMPUTE_PGM_RSRC2:TIDIG_COMP_CNT: 0
; COMPUTE_PGM_RSRC3_GFX90A:ACCUM_OFFSET: 0
; COMPUTE_PGM_RSRC3_GFX90A:TG_SPLIT: 0
	.section	.text._ZN7rocprim17ROCPRIM_400000_NS6detail17trampoline_kernelINS0_14default_configENS1_22reduce_config_selectorIiEEZNS1_11reduce_implILb1ES3_N6thrust23THRUST_200600_302600_NS11hip_rocprim35transform_pair_of_input_iterators_tIiPN3c104HalfESD_NS8_12not_equal_toISC_EEEEPiiNS8_4plusIiEEEE10hipError_tPvRmT1_T2_T3_mT4_P12ihipStream_tbEUlT_E1_NS1_11comp_targetILNS1_3genE9ELNS1_11target_archE1100ELNS1_3gpuE3ELNS1_3repE0EEENS1_30default_config_static_selectorELNS0_4arch9wavefront6targetE1EEEvSN_,"axG",@progbits,_ZN7rocprim17ROCPRIM_400000_NS6detail17trampoline_kernelINS0_14default_configENS1_22reduce_config_selectorIiEEZNS1_11reduce_implILb1ES3_N6thrust23THRUST_200600_302600_NS11hip_rocprim35transform_pair_of_input_iterators_tIiPN3c104HalfESD_NS8_12not_equal_toISC_EEEEPiiNS8_4plusIiEEEE10hipError_tPvRmT1_T2_T3_mT4_P12ihipStream_tbEUlT_E1_NS1_11comp_targetILNS1_3genE9ELNS1_11target_archE1100ELNS1_3gpuE3ELNS1_3repE0EEENS1_30default_config_static_selectorELNS0_4arch9wavefront6targetE1EEEvSN_,comdat
	.protected	_ZN7rocprim17ROCPRIM_400000_NS6detail17trampoline_kernelINS0_14default_configENS1_22reduce_config_selectorIiEEZNS1_11reduce_implILb1ES3_N6thrust23THRUST_200600_302600_NS11hip_rocprim35transform_pair_of_input_iterators_tIiPN3c104HalfESD_NS8_12not_equal_toISC_EEEEPiiNS8_4plusIiEEEE10hipError_tPvRmT1_T2_T3_mT4_P12ihipStream_tbEUlT_E1_NS1_11comp_targetILNS1_3genE9ELNS1_11target_archE1100ELNS1_3gpuE3ELNS1_3repE0EEENS1_30default_config_static_selectorELNS0_4arch9wavefront6targetE1EEEvSN_ ; -- Begin function _ZN7rocprim17ROCPRIM_400000_NS6detail17trampoline_kernelINS0_14default_configENS1_22reduce_config_selectorIiEEZNS1_11reduce_implILb1ES3_N6thrust23THRUST_200600_302600_NS11hip_rocprim35transform_pair_of_input_iterators_tIiPN3c104HalfESD_NS8_12not_equal_toISC_EEEEPiiNS8_4plusIiEEEE10hipError_tPvRmT1_T2_T3_mT4_P12ihipStream_tbEUlT_E1_NS1_11comp_targetILNS1_3genE9ELNS1_11target_archE1100ELNS1_3gpuE3ELNS1_3repE0EEENS1_30default_config_static_selectorELNS0_4arch9wavefront6targetE1EEEvSN_
	.globl	_ZN7rocprim17ROCPRIM_400000_NS6detail17trampoline_kernelINS0_14default_configENS1_22reduce_config_selectorIiEEZNS1_11reduce_implILb1ES3_N6thrust23THRUST_200600_302600_NS11hip_rocprim35transform_pair_of_input_iterators_tIiPN3c104HalfESD_NS8_12not_equal_toISC_EEEEPiiNS8_4plusIiEEEE10hipError_tPvRmT1_T2_T3_mT4_P12ihipStream_tbEUlT_E1_NS1_11comp_targetILNS1_3genE9ELNS1_11target_archE1100ELNS1_3gpuE3ELNS1_3repE0EEENS1_30default_config_static_selectorELNS0_4arch9wavefront6targetE1EEEvSN_
	.p2align	8
	.type	_ZN7rocprim17ROCPRIM_400000_NS6detail17trampoline_kernelINS0_14default_configENS1_22reduce_config_selectorIiEEZNS1_11reduce_implILb1ES3_N6thrust23THRUST_200600_302600_NS11hip_rocprim35transform_pair_of_input_iterators_tIiPN3c104HalfESD_NS8_12not_equal_toISC_EEEEPiiNS8_4plusIiEEEE10hipError_tPvRmT1_T2_T3_mT4_P12ihipStream_tbEUlT_E1_NS1_11comp_targetILNS1_3genE9ELNS1_11target_archE1100ELNS1_3gpuE3ELNS1_3repE0EEENS1_30default_config_static_selectorELNS0_4arch9wavefront6targetE1EEEvSN_,@function
_ZN7rocprim17ROCPRIM_400000_NS6detail17trampoline_kernelINS0_14default_configENS1_22reduce_config_selectorIiEEZNS1_11reduce_implILb1ES3_N6thrust23THRUST_200600_302600_NS11hip_rocprim35transform_pair_of_input_iterators_tIiPN3c104HalfESD_NS8_12not_equal_toISC_EEEEPiiNS8_4plusIiEEEE10hipError_tPvRmT1_T2_T3_mT4_P12ihipStream_tbEUlT_E1_NS1_11comp_targetILNS1_3genE9ELNS1_11target_archE1100ELNS1_3gpuE3ELNS1_3repE0EEENS1_30default_config_static_selectorELNS0_4arch9wavefront6targetE1EEEvSN_: ; @_ZN7rocprim17ROCPRIM_400000_NS6detail17trampoline_kernelINS0_14default_configENS1_22reduce_config_selectorIiEEZNS1_11reduce_implILb1ES3_N6thrust23THRUST_200600_302600_NS11hip_rocprim35transform_pair_of_input_iterators_tIiPN3c104HalfESD_NS8_12not_equal_toISC_EEEEPiiNS8_4plusIiEEEE10hipError_tPvRmT1_T2_T3_mT4_P12ihipStream_tbEUlT_E1_NS1_11comp_targetILNS1_3genE9ELNS1_11target_archE1100ELNS1_3gpuE3ELNS1_3repE0EEENS1_30default_config_static_selectorELNS0_4arch9wavefront6targetE1EEEvSN_
; %bb.0:
	.section	.rodata,"a",@progbits
	.p2align	6, 0x0
	.amdhsa_kernel _ZN7rocprim17ROCPRIM_400000_NS6detail17trampoline_kernelINS0_14default_configENS1_22reduce_config_selectorIiEEZNS1_11reduce_implILb1ES3_N6thrust23THRUST_200600_302600_NS11hip_rocprim35transform_pair_of_input_iterators_tIiPN3c104HalfESD_NS8_12not_equal_toISC_EEEEPiiNS8_4plusIiEEEE10hipError_tPvRmT1_T2_T3_mT4_P12ihipStream_tbEUlT_E1_NS1_11comp_targetILNS1_3genE9ELNS1_11target_archE1100ELNS1_3gpuE3ELNS1_3repE0EEENS1_30default_config_static_selectorELNS0_4arch9wavefront6targetE1EEEvSN_
		.amdhsa_group_segment_fixed_size 0
		.amdhsa_private_segment_fixed_size 0
		.amdhsa_kernarg_size 56
		.amdhsa_user_sgpr_count 6
		.amdhsa_user_sgpr_private_segment_buffer 1
		.amdhsa_user_sgpr_dispatch_ptr 0
		.amdhsa_user_sgpr_queue_ptr 0
		.amdhsa_user_sgpr_kernarg_segment_ptr 1
		.amdhsa_user_sgpr_dispatch_id 0
		.amdhsa_user_sgpr_flat_scratch_init 0
		.amdhsa_user_sgpr_kernarg_preload_length 0
		.amdhsa_user_sgpr_kernarg_preload_offset 0
		.amdhsa_user_sgpr_private_segment_size 0
		.amdhsa_uses_dynamic_stack 0
		.amdhsa_system_sgpr_private_segment_wavefront_offset 0
		.amdhsa_system_sgpr_workgroup_id_x 1
		.amdhsa_system_sgpr_workgroup_id_y 0
		.amdhsa_system_sgpr_workgroup_id_z 0
		.amdhsa_system_sgpr_workgroup_info 0
		.amdhsa_system_vgpr_workitem_id 0
		.amdhsa_next_free_vgpr 1
		.amdhsa_next_free_sgpr 0
		.amdhsa_accum_offset 4
		.amdhsa_reserve_vcc 0
		.amdhsa_reserve_flat_scratch 0
		.amdhsa_float_round_mode_32 0
		.amdhsa_float_round_mode_16_64 0
		.amdhsa_float_denorm_mode_32 3
		.amdhsa_float_denorm_mode_16_64 3
		.amdhsa_dx10_clamp 1
		.amdhsa_ieee_mode 1
		.amdhsa_fp16_overflow 0
		.amdhsa_tg_split 0
		.amdhsa_exception_fp_ieee_invalid_op 0
		.amdhsa_exception_fp_denorm_src 0
		.amdhsa_exception_fp_ieee_div_zero 0
		.amdhsa_exception_fp_ieee_overflow 0
		.amdhsa_exception_fp_ieee_underflow 0
		.amdhsa_exception_fp_ieee_inexact 0
		.amdhsa_exception_int_div_zero 0
	.end_amdhsa_kernel
	.section	.text._ZN7rocprim17ROCPRIM_400000_NS6detail17trampoline_kernelINS0_14default_configENS1_22reduce_config_selectorIiEEZNS1_11reduce_implILb1ES3_N6thrust23THRUST_200600_302600_NS11hip_rocprim35transform_pair_of_input_iterators_tIiPN3c104HalfESD_NS8_12not_equal_toISC_EEEEPiiNS8_4plusIiEEEE10hipError_tPvRmT1_T2_T3_mT4_P12ihipStream_tbEUlT_E1_NS1_11comp_targetILNS1_3genE9ELNS1_11target_archE1100ELNS1_3gpuE3ELNS1_3repE0EEENS1_30default_config_static_selectorELNS0_4arch9wavefront6targetE1EEEvSN_,"axG",@progbits,_ZN7rocprim17ROCPRIM_400000_NS6detail17trampoline_kernelINS0_14default_configENS1_22reduce_config_selectorIiEEZNS1_11reduce_implILb1ES3_N6thrust23THRUST_200600_302600_NS11hip_rocprim35transform_pair_of_input_iterators_tIiPN3c104HalfESD_NS8_12not_equal_toISC_EEEEPiiNS8_4plusIiEEEE10hipError_tPvRmT1_T2_T3_mT4_P12ihipStream_tbEUlT_E1_NS1_11comp_targetILNS1_3genE9ELNS1_11target_archE1100ELNS1_3gpuE3ELNS1_3repE0EEENS1_30default_config_static_selectorELNS0_4arch9wavefront6targetE1EEEvSN_,comdat
.Lfunc_end2198:
	.size	_ZN7rocprim17ROCPRIM_400000_NS6detail17trampoline_kernelINS0_14default_configENS1_22reduce_config_selectorIiEEZNS1_11reduce_implILb1ES3_N6thrust23THRUST_200600_302600_NS11hip_rocprim35transform_pair_of_input_iterators_tIiPN3c104HalfESD_NS8_12not_equal_toISC_EEEEPiiNS8_4plusIiEEEE10hipError_tPvRmT1_T2_T3_mT4_P12ihipStream_tbEUlT_E1_NS1_11comp_targetILNS1_3genE9ELNS1_11target_archE1100ELNS1_3gpuE3ELNS1_3repE0EEENS1_30default_config_static_selectorELNS0_4arch9wavefront6targetE1EEEvSN_, .Lfunc_end2198-_ZN7rocprim17ROCPRIM_400000_NS6detail17trampoline_kernelINS0_14default_configENS1_22reduce_config_selectorIiEEZNS1_11reduce_implILb1ES3_N6thrust23THRUST_200600_302600_NS11hip_rocprim35transform_pair_of_input_iterators_tIiPN3c104HalfESD_NS8_12not_equal_toISC_EEEEPiiNS8_4plusIiEEEE10hipError_tPvRmT1_T2_T3_mT4_P12ihipStream_tbEUlT_E1_NS1_11comp_targetILNS1_3genE9ELNS1_11target_archE1100ELNS1_3gpuE3ELNS1_3repE0EEENS1_30default_config_static_selectorELNS0_4arch9wavefront6targetE1EEEvSN_
                                        ; -- End function
	.section	.AMDGPU.csdata,"",@progbits
; Kernel info:
; codeLenInByte = 0
; NumSgprs: 4
; NumVgprs: 0
; NumAgprs: 0
; TotalNumVgprs: 0
; ScratchSize: 0
; MemoryBound: 0
; FloatMode: 240
; IeeeMode: 1
; LDSByteSize: 0 bytes/workgroup (compile time only)
; SGPRBlocks: 0
; VGPRBlocks: 0
; NumSGPRsForWavesPerEU: 4
; NumVGPRsForWavesPerEU: 1
; AccumOffset: 4
; Occupancy: 8
; WaveLimiterHint : 0
; COMPUTE_PGM_RSRC2:SCRATCH_EN: 0
; COMPUTE_PGM_RSRC2:USER_SGPR: 6
; COMPUTE_PGM_RSRC2:TRAP_HANDLER: 0
; COMPUTE_PGM_RSRC2:TGID_X_EN: 1
; COMPUTE_PGM_RSRC2:TGID_Y_EN: 0
; COMPUTE_PGM_RSRC2:TGID_Z_EN: 0
; COMPUTE_PGM_RSRC2:TIDIG_COMP_CNT: 0
; COMPUTE_PGM_RSRC3_GFX90A:ACCUM_OFFSET: 0
; COMPUTE_PGM_RSRC3_GFX90A:TG_SPLIT: 0
	.section	.text._ZN7rocprim17ROCPRIM_400000_NS6detail17trampoline_kernelINS0_14default_configENS1_22reduce_config_selectorIiEEZNS1_11reduce_implILb1ES3_N6thrust23THRUST_200600_302600_NS11hip_rocprim35transform_pair_of_input_iterators_tIiPN3c104HalfESD_NS8_12not_equal_toISC_EEEEPiiNS8_4plusIiEEEE10hipError_tPvRmT1_T2_T3_mT4_P12ihipStream_tbEUlT_E1_NS1_11comp_targetILNS1_3genE8ELNS1_11target_archE1030ELNS1_3gpuE2ELNS1_3repE0EEENS1_30default_config_static_selectorELNS0_4arch9wavefront6targetE1EEEvSN_,"axG",@progbits,_ZN7rocprim17ROCPRIM_400000_NS6detail17trampoline_kernelINS0_14default_configENS1_22reduce_config_selectorIiEEZNS1_11reduce_implILb1ES3_N6thrust23THRUST_200600_302600_NS11hip_rocprim35transform_pair_of_input_iterators_tIiPN3c104HalfESD_NS8_12not_equal_toISC_EEEEPiiNS8_4plusIiEEEE10hipError_tPvRmT1_T2_T3_mT4_P12ihipStream_tbEUlT_E1_NS1_11comp_targetILNS1_3genE8ELNS1_11target_archE1030ELNS1_3gpuE2ELNS1_3repE0EEENS1_30default_config_static_selectorELNS0_4arch9wavefront6targetE1EEEvSN_,comdat
	.protected	_ZN7rocprim17ROCPRIM_400000_NS6detail17trampoline_kernelINS0_14default_configENS1_22reduce_config_selectorIiEEZNS1_11reduce_implILb1ES3_N6thrust23THRUST_200600_302600_NS11hip_rocprim35transform_pair_of_input_iterators_tIiPN3c104HalfESD_NS8_12not_equal_toISC_EEEEPiiNS8_4plusIiEEEE10hipError_tPvRmT1_T2_T3_mT4_P12ihipStream_tbEUlT_E1_NS1_11comp_targetILNS1_3genE8ELNS1_11target_archE1030ELNS1_3gpuE2ELNS1_3repE0EEENS1_30default_config_static_selectorELNS0_4arch9wavefront6targetE1EEEvSN_ ; -- Begin function _ZN7rocprim17ROCPRIM_400000_NS6detail17trampoline_kernelINS0_14default_configENS1_22reduce_config_selectorIiEEZNS1_11reduce_implILb1ES3_N6thrust23THRUST_200600_302600_NS11hip_rocprim35transform_pair_of_input_iterators_tIiPN3c104HalfESD_NS8_12not_equal_toISC_EEEEPiiNS8_4plusIiEEEE10hipError_tPvRmT1_T2_T3_mT4_P12ihipStream_tbEUlT_E1_NS1_11comp_targetILNS1_3genE8ELNS1_11target_archE1030ELNS1_3gpuE2ELNS1_3repE0EEENS1_30default_config_static_selectorELNS0_4arch9wavefront6targetE1EEEvSN_
	.globl	_ZN7rocprim17ROCPRIM_400000_NS6detail17trampoline_kernelINS0_14default_configENS1_22reduce_config_selectorIiEEZNS1_11reduce_implILb1ES3_N6thrust23THRUST_200600_302600_NS11hip_rocprim35transform_pair_of_input_iterators_tIiPN3c104HalfESD_NS8_12not_equal_toISC_EEEEPiiNS8_4plusIiEEEE10hipError_tPvRmT1_T2_T3_mT4_P12ihipStream_tbEUlT_E1_NS1_11comp_targetILNS1_3genE8ELNS1_11target_archE1030ELNS1_3gpuE2ELNS1_3repE0EEENS1_30default_config_static_selectorELNS0_4arch9wavefront6targetE1EEEvSN_
	.p2align	8
	.type	_ZN7rocprim17ROCPRIM_400000_NS6detail17trampoline_kernelINS0_14default_configENS1_22reduce_config_selectorIiEEZNS1_11reduce_implILb1ES3_N6thrust23THRUST_200600_302600_NS11hip_rocprim35transform_pair_of_input_iterators_tIiPN3c104HalfESD_NS8_12not_equal_toISC_EEEEPiiNS8_4plusIiEEEE10hipError_tPvRmT1_T2_T3_mT4_P12ihipStream_tbEUlT_E1_NS1_11comp_targetILNS1_3genE8ELNS1_11target_archE1030ELNS1_3gpuE2ELNS1_3repE0EEENS1_30default_config_static_selectorELNS0_4arch9wavefront6targetE1EEEvSN_,@function
_ZN7rocprim17ROCPRIM_400000_NS6detail17trampoline_kernelINS0_14default_configENS1_22reduce_config_selectorIiEEZNS1_11reduce_implILb1ES3_N6thrust23THRUST_200600_302600_NS11hip_rocprim35transform_pair_of_input_iterators_tIiPN3c104HalfESD_NS8_12not_equal_toISC_EEEEPiiNS8_4plusIiEEEE10hipError_tPvRmT1_T2_T3_mT4_P12ihipStream_tbEUlT_E1_NS1_11comp_targetILNS1_3genE8ELNS1_11target_archE1030ELNS1_3gpuE2ELNS1_3repE0EEENS1_30default_config_static_selectorELNS0_4arch9wavefront6targetE1EEEvSN_: ; @_ZN7rocprim17ROCPRIM_400000_NS6detail17trampoline_kernelINS0_14default_configENS1_22reduce_config_selectorIiEEZNS1_11reduce_implILb1ES3_N6thrust23THRUST_200600_302600_NS11hip_rocprim35transform_pair_of_input_iterators_tIiPN3c104HalfESD_NS8_12not_equal_toISC_EEEEPiiNS8_4plusIiEEEE10hipError_tPvRmT1_T2_T3_mT4_P12ihipStream_tbEUlT_E1_NS1_11comp_targetILNS1_3genE8ELNS1_11target_archE1030ELNS1_3gpuE2ELNS1_3repE0EEENS1_30default_config_static_selectorELNS0_4arch9wavefront6targetE1EEEvSN_
; %bb.0:
	.section	.rodata,"a",@progbits
	.p2align	6, 0x0
	.amdhsa_kernel _ZN7rocprim17ROCPRIM_400000_NS6detail17trampoline_kernelINS0_14default_configENS1_22reduce_config_selectorIiEEZNS1_11reduce_implILb1ES3_N6thrust23THRUST_200600_302600_NS11hip_rocprim35transform_pair_of_input_iterators_tIiPN3c104HalfESD_NS8_12not_equal_toISC_EEEEPiiNS8_4plusIiEEEE10hipError_tPvRmT1_T2_T3_mT4_P12ihipStream_tbEUlT_E1_NS1_11comp_targetILNS1_3genE8ELNS1_11target_archE1030ELNS1_3gpuE2ELNS1_3repE0EEENS1_30default_config_static_selectorELNS0_4arch9wavefront6targetE1EEEvSN_
		.amdhsa_group_segment_fixed_size 0
		.amdhsa_private_segment_fixed_size 0
		.amdhsa_kernarg_size 56
		.amdhsa_user_sgpr_count 6
		.amdhsa_user_sgpr_private_segment_buffer 1
		.amdhsa_user_sgpr_dispatch_ptr 0
		.amdhsa_user_sgpr_queue_ptr 0
		.amdhsa_user_sgpr_kernarg_segment_ptr 1
		.amdhsa_user_sgpr_dispatch_id 0
		.amdhsa_user_sgpr_flat_scratch_init 0
		.amdhsa_user_sgpr_kernarg_preload_length 0
		.amdhsa_user_sgpr_kernarg_preload_offset 0
		.amdhsa_user_sgpr_private_segment_size 0
		.amdhsa_uses_dynamic_stack 0
		.amdhsa_system_sgpr_private_segment_wavefront_offset 0
		.amdhsa_system_sgpr_workgroup_id_x 1
		.amdhsa_system_sgpr_workgroup_id_y 0
		.amdhsa_system_sgpr_workgroup_id_z 0
		.amdhsa_system_sgpr_workgroup_info 0
		.amdhsa_system_vgpr_workitem_id 0
		.amdhsa_next_free_vgpr 1
		.amdhsa_next_free_sgpr 0
		.amdhsa_accum_offset 4
		.amdhsa_reserve_vcc 0
		.amdhsa_reserve_flat_scratch 0
		.amdhsa_float_round_mode_32 0
		.amdhsa_float_round_mode_16_64 0
		.amdhsa_float_denorm_mode_32 3
		.amdhsa_float_denorm_mode_16_64 3
		.amdhsa_dx10_clamp 1
		.amdhsa_ieee_mode 1
		.amdhsa_fp16_overflow 0
		.amdhsa_tg_split 0
		.amdhsa_exception_fp_ieee_invalid_op 0
		.amdhsa_exception_fp_denorm_src 0
		.amdhsa_exception_fp_ieee_div_zero 0
		.amdhsa_exception_fp_ieee_overflow 0
		.amdhsa_exception_fp_ieee_underflow 0
		.amdhsa_exception_fp_ieee_inexact 0
		.amdhsa_exception_int_div_zero 0
	.end_amdhsa_kernel
	.section	.text._ZN7rocprim17ROCPRIM_400000_NS6detail17trampoline_kernelINS0_14default_configENS1_22reduce_config_selectorIiEEZNS1_11reduce_implILb1ES3_N6thrust23THRUST_200600_302600_NS11hip_rocprim35transform_pair_of_input_iterators_tIiPN3c104HalfESD_NS8_12not_equal_toISC_EEEEPiiNS8_4plusIiEEEE10hipError_tPvRmT1_T2_T3_mT4_P12ihipStream_tbEUlT_E1_NS1_11comp_targetILNS1_3genE8ELNS1_11target_archE1030ELNS1_3gpuE2ELNS1_3repE0EEENS1_30default_config_static_selectorELNS0_4arch9wavefront6targetE1EEEvSN_,"axG",@progbits,_ZN7rocprim17ROCPRIM_400000_NS6detail17trampoline_kernelINS0_14default_configENS1_22reduce_config_selectorIiEEZNS1_11reduce_implILb1ES3_N6thrust23THRUST_200600_302600_NS11hip_rocprim35transform_pair_of_input_iterators_tIiPN3c104HalfESD_NS8_12not_equal_toISC_EEEEPiiNS8_4plusIiEEEE10hipError_tPvRmT1_T2_T3_mT4_P12ihipStream_tbEUlT_E1_NS1_11comp_targetILNS1_3genE8ELNS1_11target_archE1030ELNS1_3gpuE2ELNS1_3repE0EEENS1_30default_config_static_selectorELNS0_4arch9wavefront6targetE1EEEvSN_,comdat
.Lfunc_end2199:
	.size	_ZN7rocprim17ROCPRIM_400000_NS6detail17trampoline_kernelINS0_14default_configENS1_22reduce_config_selectorIiEEZNS1_11reduce_implILb1ES3_N6thrust23THRUST_200600_302600_NS11hip_rocprim35transform_pair_of_input_iterators_tIiPN3c104HalfESD_NS8_12not_equal_toISC_EEEEPiiNS8_4plusIiEEEE10hipError_tPvRmT1_T2_T3_mT4_P12ihipStream_tbEUlT_E1_NS1_11comp_targetILNS1_3genE8ELNS1_11target_archE1030ELNS1_3gpuE2ELNS1_3repE0EEENS1_30default_config_static_selectorELNS0_4arch9wavefront6targetE1EEEvSN_, .Lfunc_end2199-_ZN7rocprim17ROCPRIM_400000_NS6detail17trampoline_kernelINS0_14default_configENS1_22reduce_config_selectorIiEEZNS1_11reduce_implILb1ES3_N6thrust23THRUST_200600_302600_NS11hip_rocprim35transform_pair_of_input_iterators_tIiPN3c104HalfESD_NS8_12not_equal_toISC_EEEEPiiNS8_4plusIiEEEE10hipError_tPvRmT1_T2_T3_mT4_P12ihipStream_tbEUlT_E1_NS1_11comp_targetILNS1_3genE8ELNS1_11target_archE1030ELNS1_3gpuE2ELNS1_3repE0EEENS1_30default_config_static_selectorELNS0_4arch9wavefront6targetE1EEEvSN_
                                        ; -- End function
	.section	.AMDGPU.csdata,"",@progbits
; Kernel info:
; codeLenInByte = 0
; NumSgprs: 4
; NumVgprs: 0
; NumAgprs: 0
; TotalNumVgprs: 0
; ScratchSize: 0
; MemoryBound: 0
; FloatMode: 240
; IeeeMode: 1
; LDSByteSize: 0 bytes/workgroup (compile time only)
; SGPRBlocks: 0
; VGPRBlocks: 0
; NumSGPRsForWavesPerEU: 4
; NumVGPRsForWavesPerEU: 1
; AccumOffset: 4
; Occupancy: 8
; WaveLimiterHint : 0
; COMPUTE_PGM_RSRC2:SCRATCH_EN: 0
; COMPUTE_PGM_RSRC2:USER_SGPR: 6
; COMPUTE_PGM_RSRC2:TRAP_HANDLER: 0
; COMPUTE_PGM_RSRC2:TGID_X_EN: 1
; COMPUTE_PGM_RSRC2:TGID_Y_EN: 0
; COMPUTE_PGM_RSRC2:TGID_Z_EN: 0
; COMPUTE_PGM_RSRC2:TIDIG_COMP_CNT: 0
; COMPUTE_PGM_RSRC3_GFX90A:ACCUM_OFFSET: 0
; COMPUTE_PGM_RSRC3_GFX90A:TG_SPLIT: 0
	.section	.text._ZN7rocprim17ROCPRIM_400000_NS6detail17trampoline_kernelINS0_14default_configENS1_29reduce_by_key_config_selectorIN3c104HalfElN6thrust23THRUST_200600_302600_NS4plusIlEEEEZZNS1_33reduce_by_key_impl_wrapped_configILNS1_25lookback_scan_determinismE0ES3_SB_PS6_NS8_17constant_iteratorIiNS8_11use_defaultESG_EENS8_10device_ptrIS6_EENSI_IlEEPmSA_NS8_8equal_toIS6_EEEE10hipError_tPvRmT2_T3_mT4_T5_T6_T7_T8_P12ihipStream_tbENKUlT_T0_E_clISt17integral_constantIbLb0EES15_EEDaS10_S11_EUlS10_E_NS1_11comp_targetILNS1_3genE0ELNS1_11target_archE4294967295ELNS1_3gpuE0ELNS1_3repE0EEENS1_30default_config_static_selectorELNS0_4arch9wavefront6targetE1EEEvT1_,"axG",@progbits,_ZN7rocprim17ROCPRIM_400000_NS6detail17trampoline_kernelINS0_14default_configENS1_29reduce_by_key_config_selectorIN3c104HalfElN6thrust23THRUST_200600_302600_NS4plusIlEEEEZZNS1_33reduce_by_key_impl_wrapped_configILNS1_25lookback_scan_determinismE0ES3_SB_PS6_NS8_17constant_iteratorIiNS8_11use_defaultESG_EENS8_10device_ptrIS6_EENSI_IlEEPmSA_NS8_8equal_toIS6_EEEE10hipError_tPvRmT2_T3_mT4_T5_T6_T7_T8_P12ihipStream_tbENKUlT_T0_E_clISt17integral_constantIbLb0EES15_EEDaS10_S11_EUlS10_E_NS1_11comp_targetILNS1_3genE0ELNS1_11target_archE4294967295ELNS1_3gpuE0ELNS1_3repE0EEENS1_30default_config_static_selectorELNS0_4arch9wavefront6targetE1EEEvT1_,comdat
	.protected	_ZN7rocprim17ROCPRIM_400000_NS6detail17trampoline_kernelINS0_14default_configENS1_29reduce_by_key_config_selectorIN3c104HalfElN6thrust23THRUST_200600_302600_NS4plusIlEEEEZZNS1_33reduce_by_key_impl_wrapped_configILNS1_25lookback_scan_determinismE0ES3_SB_PS6_NS8_17constant_iteratorIiNS8_11use_defaultESG_EENS8_10device_ptrIS6_EENSI_IlEEPmSA_NS8_8equal_toIS6_EEEE10hipError_tPvRmT2_T3_mT4_T5_T6_T7_T8_P12ihipStream_tbENKUlT_T0_E_clISt17integral_constantIbLb0EES15_EEDaS10_S11_EUlS10_E_NS1_11comp_targetILNS1_3genE0ELNS1_11target_archE4294967295ELNS1_3gpuE0ELNS1_3repE0EEENS1_30default_config_static_selectorELNS0_4arch9wavefront6targetE1EEEvT1_ ; -- Begin function _ZN7rocprim17ROCPRIM_400000_NS6detail17trampoline_kernelINS0_14default_configENS1_29reduce_by_key_config_selectorIN3c104HalfElN6thrust23THRUST_200600_302600_NS4plusIlEEEEZZNS1_33reduce_by_key_impl_wrapped_configILNS1_25lookback_scan_determinismE0ES3_SB_PS6_NS8_17constant_iteratorIiNS8_11use_defaultESG_EENS8_10device_ptrIS6_EENSI_IlEEPmSA_NS8_8equal_toIS6_EEEE10hipError_tPvRmT2_T3_mT4_T5_T6_T7_T8_P12ihipStream_tbENKUlT_T0_E_clISt17integral_constantIbLb0EES15_EEDaS10_S11_EUlS10_E_NS1_11comp_targetILNS1_3genE0ELNS1_11target_archE4294967295ELNS1_3gpuE0ELNS1_3repE0EEENS1_30default_config_static_selectorELNS0_4arch9wavefront6targetE1EEEvT1_
	.globl	_ZN7rocprim17ROCPRIM_400000_NS6detail17trampoline_kernelINS0_14default_configENS1_29reduce_by_key_config_selectorIN3c104HalfElN6thrust23THRUST_200600_302600_NS4plusIlEEEEZZNS1_33reduce_by_key_impl_wrapped_configILNS1_25lookback_scan_determinismE0ES3_SB_PS6_NS8_17constant_iteratorIiNS8_11use_defaultESG_EENS8_10device_ptrIS6_EENSI_IlEEPmSA_NS8_8equal_toIS6_EEEE10hipError_tPvRmT2_T3_mT4_T5_T6_T7_T8_P12ihipStream_tbENKUlT_T0_E_clISt17integral_constantIbLb0EES15_EEDaS10_S11_EUlS10_E_NS1_11comp_targetILNS1_3genE0ELNS1_11target_archE4294967295ELNS1_3gpuE0ELNS1_3repE0EEENS1_30default_config_static_selectorELNS0_4arch9wavefront6targetE1EEEvT1_
	.p2align	8
	.type	_ZN7rocprim17ROCPRIM_400000_NS6detail17trampoline_kernelINS0_14default_configENS1_29reduce_by_key_config_selectorIN3c104HalfElN6thrust23THRUST_200600_302600_NS4plusIlEEEEZZNS1_33reduce_by_key_impl_wrapped_configILNS1_25lookback_scan_determinismE0ES3_SB_PS6_NS8_17constant_iteratorIiNS8_11use_defaultESG_EENS8_10device_ptrIS6_EENSI_IlEEPmSA_NS8_8equal_toIS6_EEEE10hipError_tPvRmT2_T3_mT4_T5_T6_T7_T8_P12ihipStream_tbENKUlT_T0_E_clISt17integral_constantIbLb0EES15_EEDaS10_S11_EUlS10_E_NS1_11comp_targetILNS1_3genE0ELNS1_11target_archE4294967295ELNS1_3gpuE0ELNS1_3repE0EEENS1_30default_config_static_selectorELNS0_4arch9wavefront6targetE1EEEvT1_,@function
_ZN7rocprim17ROCPRIM_400000_NS6detail17trampoline_kernelINS0_14default_configENS1_29reduce_by_key_config_selectorIN3c104HalfElN6thrust23THRUST_200600_302600_NS4plusIlEEEEZZNS1_33reduce_by_key_impl_wrapped_configILNS1_25lookback_scan_determinismE0ES3_SB_PS6_NS8_17constant_iteratorIiNS8_11use_defaultESG_EENS8_10device_ptrIS6_EENSI_IlEEPmSA_NS8_8equal_toIS6_EEEE10hipError_tPvRmT2_T3_mT4_T5_T6_T7_T8_P12ihipStream_tbENKUlT_T0_E_clISt17integral_constantIbLb0EES15_EEDaS10_S11_EUlS10_E_NS1_11comp_targetILNS1_3genE0ELNS1_11target_archE4294967295ELNS1_3gpuE0ELNS1_3repE0EEENS1_30default_config_static_selectorELNS0_4arch9wavefront6targetE1EEEvT1_: ; @_ZN7rocprim17ROCPRIM_400000_NS6detail17trampoline_kernelINS0_14default_configENS1_29reduce_by_key_config_selectorIN3c104HalfElN6thrust23THRUST_200600_302600_NS4plusIlEEEEZZNS1_33reduce_by_key_impl_wrapped_configILNS1_25lookback_scan_determinismE0ES3_SB_PS6_NS8_17constant_iteratorIiNS8_11use_defaultESG_EENS8_10device_ptrIS6_EENSI_IlEEPmSA_NS8_8equal_toIS6_EEEE10hipError_tPvRmT2_T3_mT4_T5_T6_T7_T8_P12ihipStream_tbENKUlT_T0_E_clISt17integral_constantIbLb0EES15_EEDaS10_S11_EUlS10_E_NS1_11comp_targetILNS1_3genE0ELNS1_11target_archE4294967295ELNS1_3gpuE0ELNS1_3repE0EEENS1_30default_config_static_selectorELNS0_4arch9wavefront6targetE1EEEvT1_
; %bb.0:
	.section	.rodata,"a",@progbits
	.p2align	6, 0x0
	.amdhsa_kernel _ZN7rocprim17ROCPRIM_400000_NS6detail17trampoline_kernelINS0_14default_configENS1_29reduce_by_key_config_selectorIN3c104HalfElN6thrust23THRUST_200600_302600_NS4plusIlEEEEZZNS1_33reduce_by_key_impl_wrapped_configILNS1_25lookback_scan_determinismE0ES3_SB_PS6_NS8_17constant_iteratorIiNS8_11use_defaultESG_EENS8_10device_ptrIS6_EENSI_IlEEPmSA_NS8_8equal_toIS6_EEEE10hipError_tPvRmT2_T3_mT4_T5_T6_T7_T8_P12ihipStream_tbENKUlT_T0_E_clISt17integral_constantIbLb0EES15_EEDaS10_S11_EUlS10_E_NS1_11comp_targetILNS1_3genE0ELNS1_11target_archE4294967295ELNS1_3gpuE0ELNS1_3repE0EEENS1_30default_config_static_selectorELNS0_4arch9wavefront6targetE1EEEvT1_
		.amdhsa_group_segment_fixed_size 0
		.amdhsa_private_segment_fixed_size 0
		.amdhsa_kernarg_size 144
		.amdhsa_user_sgpr_count 6
		.amdhsa_user_sgpr_private_segment_buffer 1
		.amdhsa_user_sgpr_dispatch_ptr 0
		.amdhsa_user_sgpr_queue_ptr 0
		.amdhsa_user_sgpr_kernarg_segment_ptr 1
		.amdhsa_user_sgpr_dispatch_id 0
		.amdhsa_user_sgpr_flat_scratch_init 0
		.amdhsa_user_sgpr_kernarg_preload_length 0
		.amdhsa_user_sgpr_kernarg_preload_offset 0
		.amdhsa_user_sgpr_private_segment_size 0
		.amdhsa_uses_dynamic_stack 0
		.amdhsa_system_sgpr_private_segment_wavefront_offset 0
		.amdhsa_system_sgpr_workgroup_id_x 1
		.amdhsa_system_sgpr_workgroup_id_y 0
		.amdhsa_system_sgpr_workgroup_id_z 0
		.amdhsa_system_sgpr_workgroup_info 0
		.amdhsa_system_vgpr_workitem_id 0
		.amdhsa_next_free_vgpr 1
		.amdhsa_next_free_sgpr 0
		.amdhsa_accum_offset 4
		.amdhsa_reserve_vcc 0
		.amdhsa_reserve_flat_scratch 0
		.amdhsa_float_round_mode_32 0
		.amdhsa_float_round_mode_16_64 0
		.amdhsa_float_denorm_mode_32 3
		.amdhsa_float_denorm_mode_16_64 3
		.amdhsa_dx10_clamp 1
		.amdhsa_ieee_mode 1
		.amdhsa_fp16_overflow 0
		.amdhsa_tg_split 0
		.amdhsa_exception_fp_ieee_invalid_op 0
		.amdhsa_exception_fp_denorm_src 0
		.amdhsa_exception_fp_ieee_div_zero 0
		.amdhsa_exception_fp_ieee_overflow 0
		.amdhsa_exception_fp_ieee_underflow 0
		.amdhsa_exception_fp_ieee_inexact 0
		.amdhsa_exception_int_div_zero 0
	.end_amdhsa_kernel
	.section	.text._ZN7rocprim17ROCPRIM_400000_NS6detail17trampoline_kernelINS0_14default_configENS1_29reduce_by_key_config_selectorIN3c104HalfElN6thrust23THRUST_200600_302600_NS4plusIlEEEEZZNS1_33reduce_by_key_impl_wrapped_configILNS1_25lookback_scan_determinismE0ES3_SB_PS6_NS8_17constant_iteratorIiNS8_11use_defaultESG_EENS8_10device_ptrIS6_EENSI_IlEEPmSA_NS8_8equal_toIS6_EEEE10hipError_tPvRmT2_T3_mT4_T5_T6_T7_T8_P12ihipStream_tbENKUlT_T0_E_clISt17integral_constantIbLb0EES15_EEDaS10_S11_EUlS10_E_NS1_11comp_targetILNS1_3genE0ELNS1_11target_archE4294967295ELNS1_3gpuE0ELNS1_3repE0EEENS1_30default_config_static_selectorELNS0_4arch9wavefront6targetE1EEEvT1_,"axG",@progbits,_ZN7rocprim17ROCPRIM_400000_NS6detail17trampoline_kernelINS0_14default_configENS1_29reduce_by_key_config_selectorIN3c104HalfElN6thrust23THRUST_200600_302600_NS4plusIlEEEEZZNS1_33reduce_by_key_impl_wrapped_configILNS1_25lookback_scan_determinismE0ES3_SB_PS6_NS8_17constant_iteratorIiNS8_11use_defaultESG_EENS8_10device_ptrIS6_EENSI_IlEEPmSA_NS8_8equal_toIS6_EEEE10hipError_tPvRmT2_T3_mT4_T5_T6_T7_T8_P12ihipStream_tbENKUlT_T0_E_clISt17integral_constantIbLb0EES15_EEDaS10_S11_EUlS10_E_NS1_11comp_targetILNS1_3genE0ELNS1_11target_archE4294967295ELNS1_3gpuE0ELNS1_3repE0EEENS1_30default_config_static_selectorELNS0_4arch9wavefront6targetE1EEEvT1_,comdat
.Lfunc_end2200:
	.size	_ZN7rocprim17ROCPRIM_400000_NS6detail17trampoline_kernelINS0_14default_configENS1_29reduce_by_key_config_selectorIN3c104HalfElN6thrust23THRUST_200600_302600_NS4plusIlEEEEZZNS1_33reduce_by_key_impl_wrapped_configILNS1_25lookback_scan_determinismE0ES3_SB_PS6_NS8_17constant_iteratorIiNS8_11use_defaultESG_EENS8_10device_ptrIS6_EENSI_IlEEPmSA_NS8_8equal_toIS6_EEEE10hipError_tPvRmT2_T3_mT4_T5_T6_T7_T8_P12ihipStream_tbENKUlT_T0_E_clISt17integral_constantIbLb0EES15_EEDaS10_S11_EUlS10_E_NS1_11comp_targetILNS1_3genE0ELNS1_11target_archE4294967295ELNS1_3gpuE0ELNS1_3repE0EEENS1_30default_config_static_selectorELNS0_4arch9wavefront6targetE1EEEvT1_, .Lfunc_end2200-_ZN7rocprim17ROCPRIM_400000_NS6detail17trampoline_kernelINS0_14default_configENS1_29reduce_by_key_config_selectorIN3c104HalfElN6thrust23THRUST_200600_302600_NS4plusIlEEEEZZNS1_33reduce_by_key_impl_wrapped_configILNS1_25lookback_scan_determinismE0ES3_SB_PS6_NS8_17constant_iteratorIiNS8_11use_defaultESG_EENS8_10device_ptrIS6_EENSI_IlEEPmSA_NS8_8equal_toIS6_EEEE10hipError_tPvRmT2_T3_mT4_T5_T6_T7_T8_P12ihipStream_tbENKUlT_T0_E_clISt17integral_constantIbLb0EES15_EEDaS10_S11_EUlS10_E_NS1_11comp_targetILNS1_3genE0ELNS1_11target_archE4294967295ELNS1_3gpuE0ELNS1_3repE0EEENS1_30default_config_static_selectorELNS0_4arch9wavefront6targetE1EEEvT1_
                                        ; -- End function
	.section	.AMDGPU.csdata,"",@progbits
; Kernel info:
; codeLenInByte = 0
; NumSgprs: 4
; NumVgprs: 0
; NumAgprs: 0
; TotalNumVgprs: 0
; ScratchSize: 0
; MemoryBound: 0
; FloatMode: 240
; IeeeMode: 1
; LDSByteSize: 0 bytes/workgroup (compile time only)
; SGPRBlocks: 0
; VGPRBlocks: 0
; NumSGPRsForWavesPerEU: 4
; NumVGPRsForWavesPerEU: 1
; AccumOffset: 4
; Occupancy: 8
; WaveLimiterHint : 0
; COMPUTE_PGM_RSRC2:SCRATCH_EN: 0
; COMPUTE_PGM_RSRC2:USER_SGPR: 6
; COMPUTE_PGM_RSRC2:TRAP_HANDLER: 0
; COMPUTE_PGM_RSRC2:TGID_X_EN: 1
; COMPUTE_PGM_RSRC2:TGID_Y_EN: 0
; COMPUTE_PGM_RSRC2:TGID_Z_EN: 0
; COMPUTE_PGM_RSRC2:TIDIG_COMP_CNT: 0
; COMPUTE_PGM_RSRC3_GFX90A:ACCUM_OFFSET: 0
; COMPUTE_PGM_RSRC3_GFX90A:TG_SPLIT: 0
	.section	.text._ZN7rocprim17ROCPRIM_400000_NS6detail17trampoline_kernelINS0_14default_configENS1_29reduce_by_key_config_selectorIN3c104HalfElN6thrust23THRUST_200600_302600_NS4plusIlEEEEZZNS1_33reduce_by_key_impl_wrapped_configILNS1_25lookback_scan_determinismE0ES3_SB_PS6_NS8_17constant_iteratorIiNS8_11use_defaultESG_EENS8_10device_ptrIS6_EENSI_IlEEPmSA_NS8_8equal_toIS6_EEEE10hipError_tPvRmT2_T3_mT4_T5_T6_T7_T8_P12ihipStream_tbENKUlT_T0_E_clISt17integral_constantIbLb0EES15_EEDaS10_S11_EUlS10_E_NS1_11comp_targetILNS1_3genE5ELNS1_11target_archE942ELNS1_3gpuE9ELNS1_3repE0EEENS1_30default_config_static_selectorELNS0_4arch9wavefront6targetE1EEEvT1_,"axG",@progbits,_ZN7rocprim17ROCPRIM_400000_NS6detail17trampoline_kernelINS0_14default_configENS1_29reduce_by_key_config_selectorIN3c104HalfElN6thrust23THRUST_200600_302600_NS4plusIlEEEEZZNS1_33reduce_by_key_impl_wrapped_configILNS1_25lookback_scan_determinismE0ES3_SB_PS6_NS8_17constant_iteratorIiNS8_11use_defaultESG_EENS8_10device_ptrIS6_EENSI_IlEEPmSA_NS8_8equal_toIS6_EEEE10hipError_tPvRmT2_T3_mT4_T5_T6_T7_T8_P12ihipStream_tbENKUlT_T0_E_clISt17integral_constantIbLb0EES15_EEDaS10_S11_EUlS10_E_NS1_11comp_targetILNS1_3genE5ELNS1_11target_archE942ELNS1_3gpuE9ELNS1_3repE0EEENS1_30default_config_static_selectorELNS0_4arch9wavefront6targetE1EEEvT1_,comdat
	.protected	_ZN7rocprim17ROCPRIM_400000_NS6detail17trampoline_kernelINS0_14default_configENS1_29reduce_by_key_config_selectorIN3c104HalfElN6thrust23THRUST_200600_302600_NS4plusIlEEEEZZNS1_33reduce_by_key_impl_wrapped_configILNS1_25lookback_scan_determinismE0ES3_SB_PS6_NS8_17constant_iteratorIiNS8_11use_defaultESG_EENS8_10device_ptrIS6_EENSI_IlEEPmSA_NS8_8equal_toIS6_EEEE10hipError_tPvRmT2_T3_mT4_T5_T6_T7_T8_P12ihipStream_tbENKUlT_T0_E_clISt17integral_constantIbLb0EES15_EEDaS10_S11_EUlS10_E_NS1_11comp_targetILNS1_3genE5ELNS1_11target_archE942ELNS1_3gpuE9ELNS1_3repE0EEENS1_30default_config_static_selectorELNS0_4arch9wavefront6targetE1EEEvT1_ ; -- Begin function _ZN7rocprim17ROCPRIM_400000_NS6detail17trampoline_kernelINS0_14default_configENS1_29reduce_by_key_config_selectorIN3c104HalfElN6thrust23THRUST_200600_302600_NS4plusIlEEEEZZNS1_33reduce_by_key_impl_wrapped_configILNS1_25lookback_scan_determinismE0ES3_SB_PS6_NS8_17constant_iteratorIiNS8_11use_defaultESG_EENS8_10device_ptrIS6_EENSI_IlEEPmSA_NS8_8equal_toIS6_EEEE10hipError_tPvRmT2_T3_mT4_T5_T6_T7_T8_P12ihipStream_tbENKUlT_T0_E_clISt17integral_constantIbLb0EES15_EEDaS10_S11_EUlS10_E_NS1_11comp_targetILNS1_3genE5ELNS1_11target_archE942ELNS1_3gpuE9ELNS1_3repE0EEENS1_30default_config_static_selectorELNS0_4arch9wavefront6targetE1EEEvT1_
	.globl	_ZN7rocprim17ROCPRIM_400000_NS6detail17trampoline_kernelINS0_14default_configENS1_29reduce_by_key_config_selectorIN3c104HalfElN6thrust23THRUST_200600_302600_NS4plusIlEEEEZZNS1_33reduce_by_key_impl_wrapped_configILNS1_25lookback_scan_determinismE0ES3_SB_PS6_NS8_17constant_iteratorIiNS8_11use_defaultESG_EENS8_10device_ptrIS6_EENSI_IlEEPmSA_NS8_8equal_toIS6_EEEE10hipError_tPvRmT2_T3_mT4_T5_T6_T7_T8_P12ihipStream_tbENKUlT_T0_E_clISt17integral_constantIbLb0EES15_EEDaS10_S11_EUlS10_E_NS1_11comp_targetILNS1_3genE5ELNS1_11target_archE942ELNS1_3gpuE9ELNS1_3repE0EEENS1_30default_config_static_selectorELNS0_4arch9wavefront6targetE1EEEvT1_
	.p2align	8
	.type	_ZN7rocprim17ROCPRIM_400000_NS6detail17trampoline_kernelINS0_14default_configENS1_29reduce_by_key_config_selectorIN3c104HalfElN6thrust23THRUST_200600_302600_NS4plusIlEEEEZZNS1_33reduce_by_key_impl_wrapped_configILNS1_25lookback_scan_determinismE0ES3_SB_PS6_NS8_17constant_iteratorIiNS8_11use_defaultESG_EENS8_10device_ptrIS6_EENSI_IlEEPmSA_NS8_8equal_toIS6_EEEE10hipError_tPvRmT2_T3_mT4_T5_T6_T7_T8_P12ihipStream_tbENKUlT_T0_E_clISt17integral_constantIbLb0EES15_EEDaS10_S11_EUlS10_E_NS1_11comp_targetILNS1_3genE5ELNS1_11target_archE942ELNS1_3gpuE9ELNS1_3repE0EEENS1_30default_config_static_selectorELNS0_4arch9wavefront6targetE1EEEvT1_,@function
_ZN7rocprim17ROCPRIM_400000_NS6detail17trampoline_kernelINS0_14default_configENS1_29reduce_by_key_config_selectorIN3c104HalfElN6thrust23THRUST_200600_302600_NS4plusIlEEEEZZNS1_33reduce_by_key_impl_wrapped_configILNS1_25lookback_scan_determinismE0ES3_SB_PS6_NS8_17constant_iteratorIiNS8_11use_defaultESG_EENS8_10device_ptrIS6_EENSI_IlEEPmSA_NS8_8equal_toIS6_EEEE10hipError_tPvRmT2_T3_mT4_T5_T6_T7_T8_P12ihipStream_tbENKUlT_T0_E_clISt17integral_constantIbLb0EES15_EEDaS10_S11_EUlS10_E_NS1_11comp_targetILNS1_3genE5ELNS1_11target_archE942ELNS1_3gpuE9ELNS1_3repE0EEENS1_30default_config_static_selectorELNS0_4arch9wavefront6targetE1EEEvT1_: ; @_ZN7rocprim17ROCPRIM_400000_NS6detail17trampoline_kernelINS0_14default_configENS1_29reduce_by_key_config_selectorIN3c104HalfElN6thrust23THRUST_200600_302600_NS4plusIlEEEEZZNS1_33reduce_by_key_impl_wrapped_configILNS1_25lookback_scan_determinismE0ES3_SB_PS6_NS8_17constant_iteratorIiNS8_11use_defaultESG_EENS8_10device_ptrIS6_EENSI_IlEEPmSA_NS8_8equal_toIS6_EEEE10hipError_tPvRmT2_T3_mT4_T5_T6_T7_T8_P12ihipStream_tbENKUlT_T0_E_clISt17integral_constantIbLb0EES15_EEDaS10_S11_EUlS10_E_NS1_11comp_targetILNS1_3genE5ELNS1_11target_archE942ELNS1_3gpuE9ELNS1_3repE0EEENS1_30default_config_static_selectorELNS0_4arch9wavefront6targetE1EEEvT1_
; %bb.0:
	.section	.rodata,"a",@progbits
	.p2align	6, 0x0
	.amdhsa_kernel _ZN7rocprim17ROCPRIM_400000_NS6detail17trampoline_kernelINS0_14default_configENS1_29reduce_by_key_config_selectorIN3c104HalfElN6thrust23THRUST_200600_302600_NS4plusIlEEEEZZNS1_33reduce_by_key_impl_wrapped_configILNS1_25lookback_scan_determinismE0ES3_SB_PS6_NS8_17constant_iteratorIiNS8_11use_defaultESG_EENS8_10device_ptrIS6_EENSI_IlEEPmSA_NS8_8equal_toIS6_EEEE10hipError_tPvRmT2_T3_mT4_T5_T6_T7_T8_P12ihipStream_tbENKUlT_T0_E_clISt17integral_constantIbLb0EES15_EEDaS10_S11_EUlS10_E_NS1_11comp_targetILNS1_3genE5ELNS1_11target_archE942ELNS1_3gpuE9ELNS1_3repE0EEENS1_30default_config_static_selectorELNS0_4arch9wavefront6targetE1EEEvT1_
		.amdhsa_group_segment_fixed_size 0
		.amdhsa_private_segment_fixed_size 0
		.amdhsa_kernarg_size 144
		.amdhsa_user_sgpr_count 6
		.amdhsa_user_sgpr_private_segment_buffer 1
		.amdhsa_user_sgpr_dispatch_ptr 0
		.amdhsa_user_sgpr_queue_ptr 0
		.amdhsa_user_sgpr_kernarg_segment_ptr 1
		.amdhsa_user_sgpr_dispatch_id 0
		.amdhsa_user_sgpr_flat_scratch_init 0
		.amdhsa_user_sgpr_kernarg_preload_length 0
		.amdhsa_user_sgpr_kernarg_preload_offset 0
		.amdhsa_user_sgpr_private_segment_size 0
		.amdhsa_uses_dynamic_stack 0
		.amdhsa_system_sgpr_private_segment_wavefront_offset 0
		.amdhsa_system_sgpr_workgroup_id_x 1
		.amdhsa_system_sgpr_workgroup_id_y 0
		.amdhsa_system_sgpr_workgroup_id_z 0
		.amdhsa_system_sgpr_workgroup_info 0
		.amdhsa_system_vgpr_workitem_id 0
		.amdhsa_next_free_vgpr 1
		.amdhsa_next_free_sgpr 0
		.amdhsa_accum_offset 4
		.amdhsa_reserve_vcc 0
		.amdhsa_reserve_flat_scratch 0
		.amdhsa_float_round_mode_32 0
		.amdhsa_float_round_mode_16_64 0
		.amdhsa_float_denorm_mode_32 3
		.amdhsa_float_denorm_mode_16_64 3
		.amdhsa_dx10_clamp 1
		.amdhsa_ieee_mode 1
		.amdhsa_fp16_overflow 0
		.amdhsa_tg_split 0
		.amdhsa_exception_fp_ieee_invalid_op 0
		.amdhsa_exception_fp_denorm_src 0
		.amdhsa_exception_fp_ieee_div_zero 0
		.amdhsa_exception_fp_ieee_overflow 0
		.amdhsa_exception_fp_ieee_underflow 0
		.amdhsa_exception_fp_ieee_inexact 0
		.amdhsa_exception_int_div_zero 0
	.end_amdhsa_kernel
	.section	.text._ZN7rocprim17ROCPRIM_400000_NS6detail17trampoline_kernelINS0_14default_configENS1_29reduce_by_key_config_selectorIN3c104HalfElN6thrust23THRUST_200600_302600_NS4plusIlEEEEZZNS1_33reduce_by_key_impl_wrapped_configILNS1_25lookback_scan_determinismE0ES3_SB_PS6_NS8_17constant_iteratorIiNS8_11use_defaultESG_EENS8_10device_ptrIS6_EENSI_IlEEPmSA_NS8_8equal_toIS6_EEEE10hipError_tPvRmT2_T3_mT4_T5_T6_T7_T8_P12ihipStream_tbENKUlT_T0_E_clISt17integral_constantIbLb0EES15_EEDaS10_S11_EUlS10_E_NS1_11comp_targetILNS1_3genE5ELNS1_11target_archE942ELNS1_3gpuE9ELNS1_3repE0EEENS1_30default_config_static_selectorELNS0_4arch9wavefront6targetE1EEEvT1_,"axG",@progbits,_ZN7rocprim17ROCPRIM_400000_NS6detail17trampoline_kernelINS0_14default_configENS1_29reduce_by_key_config_selectorIN3c104HalfElN6thrust23THRUST_200600_302600_NS4plusIlEEEEZZNS1_33reduce_by_key_impl_wrapped_configILNS1_25lookback_scan_determinismE0ES3_SB_PS6_NS8_17constant_iteratorIiNS8_11use_defaultESG_EENS8_10device_ptrIS6_EENSI_IlEEPmSA_NS8_8equal_toIS6_EEEE10hipError_tPvRmT2_T3_mT4_T5_T6_T7_T8_P12ihipStream_tbENKUlT_T0_E_clISt17integral_constantIbLb0EES15_EEDaS10_S11_EUlS10_E_NS1_11comp_targetILNS1_3genE5ELNS1_11target_archE942ELNS1_3gpuE9ELNS1_3repE0EEENS1_30default_config_static_selectorELNS0_4arch9wavefront6targetE1EEEvT1_,comdat
.Lfunc_end2201:
	.size	_ZN7rocprim17ROCPRIM_400000_NS6detail17trampoline_kernelINS0_14default_configENS1_29reduce_by_key_config_selectorIN3c104HalfElN6thrust23THRUST_200600_302600_NS4plusIlEEEEZZNS1_33reduce_by_key_impl_wrapped_configILNS1_25lookback_scan_determinismE0ES3_SB_PS6_NS8_17constant_iteratorIiNS8_11use_defaultESG_EENS8_10device_ptrIS6_EENSI_IlEEPmSA_NS8_8equal_toIS6_EEEE10hipError_tPvRmT2_T3_mT4_T5_T6_T7_T8_P12ihipStream_tbENKUlT_T0_E_clISt17integral_constantIbLb0EES15_EEDaS10_S11_EUlS10_E_NS1_11comp_targetILNS1_3genE5ELNS1_11target_archE942ELNS1_3gpuE9ELNS1_3repE0EEENS1_30default_config_static_selectorELNS0_4arch9wavefront6targetE1EEEvT1_, .Lfunc_end2201-_ZN7rocprim17ROCPRIM_400000_NS6detail17trampoline_kernelINS0_14default_configENS1_29reduce_by_key_config_selectorIN3c104HalfElN6thrust23THRUST_200600_302600_NS4plusIlEEEEZZNS1_33reduce_by_key_impl_wrapped_configILNS1_25lookback_scan_determinismE0ES3_SB_PS6_NS8_17constant_iteratorIiNS8_11use_defaultESG_EENS8_10device_ptrIS6_EENSI_IlEEPmSA_NS8_8equal_toIS6_EEEE10hipError_tPvRmT2_T3_mT4_T5_T6_T7_T8_P12ihipStream_tbENKUlT_T0_E_clISt17integral_constantIbLb0EES15_EEDaS10_S11_EUlS10_E_NS1_11comp_targetILNS1_3genE5ELNS1_11target_archE942ELNS1_3gpuE9ELNS1_3repE0EEENS1_30default_config_static_selectorELNS0_4arch9wavefront6targetE1EEEvT1_
                                        ; -- End function
	.section	.AMDGPU.csdata,"",@progbits
; Kernel info:
; codeLenInByte = 0
; NumSgprs: 4
; NumVgprs: 0
; NumAgprs: 0
; TotalNumVgprs: 0
; ScratchSize: 0
; MemoryBound: 0
; FloatMode: 240
; IeeeMode: 1
; LDSByteSize: 0 bytes/workgroup (compile time only)
; SGPRBlocks: 0
; VGPRBlocks: 0
; NumSGPRsForWavesPerEU: 4
; NumVGPRsForWavesPerEU: 1
; AccumOffset: 4
; Occupancy: 8
; WaveLimiterHint : 0
; COMPUTE_PGM_RSRC2:SCRATCH_EN: 0
; COMPUTE_PGM_RSRC2:USER_SGPR: 6
; COMPUTE_PGM_RSRC2:TRAP_HANDLER: 0
; COMPUTE_PGM_RSRC2:TGID_X_EN: 1
; COMPUTE_PGM_RSRC2:TGID_Y_EN: 0
; COMPUTE_PGM_RSRC2:TGID_Z_EN: 0
; COMPUTE_PGM_RSRC2:TIDIG_COMP_CNT: 0
; COMPUTE_PGM_RSRC3_GFX90A:ACCUM_OFFSET: 0
; COMPUTE_PGM_RSRC3_GFX90A:TG_SPLIT: 0
	.section	.text._ZN7rocprim17ROCPRIM_400000_NS6detail17trampoline_kernelINS0_14default_configENS1_29reduce_by_key_config_selectorIN3c104HalfElN6thrust23THRUST_200600_302600_NS4plusIlEEEEZZNS1_33reduce_by_key_impl_wrapped_configILNS1_25lookback_scan_determinismE0ES3_SB_PS6_NS8_17constant_iteratorIiNS8_11use_defaultESG_EENS8_10device_ptrIS6_EENSI_IlEEPmSA_NS8_8equal_toIS6_EEEE10hipError_tPvRmT2_T3_mT4_T5_T6_T7_T8_P12ihipStream_tbENKUlT_T0_E_clISt17integral_constantIbLb0EES15_EEDaS10_S11_EUlS10_E_NS1_11comp_targetILNS1_3genE4ELNS1_11target_archE910ELNS1_3gpuE8ELNS1_3repE0EEENS1_30default_config_static_selectorELNS0_4arch9wavefront6targetE1EEEvT1_,"axG",@progbits,_ZN7rocprim17ROCPRIM_400000_NS6detail17trampoline_kernelINS0_14default_configENS1_29reduce_by_key_config_selectorIN3c104HalfElN6thrust23THRUST_200600_302600_NS4plusIlEEEEZZNS1_33reduce_by_key_impl_wrapped_configILNS1_25lookback_scan_determinismE0ES3_SB_PS6_NS8_17constant_iteratorIiNS8_11use_defaultESG_EENS8_10device_ptrIS6_EENSI_IlEEPmSA_NS8_8equal_toIS6_EEEE10hipError_tPvRmT2_T3_mT4_T5_T6_T7_T8_P12ihipStream_tbENKUlT_T0_E_clISt17integral_constantIbLb0EES15_EEDaS10_S11_EUlS10_E_NS1_11comp_targetILNS1_3genE4ELNS1_11target_archE910ELNS1_3gpuE8ELNS1_3repE0EEENS1_30default_config_static_selectorELNS0_4arch9wavefront6targetE1EEEvT1_,comdat
	.protected	_ZN7rocprim17ROCPRIM_400000_NS6detail17trampoline_kernelINS0_14default_configENS1_29reduce_by_key_config_selectorIN3c104HalfElN6thrust23THRUST_200600_302600_NS4plusIlEEEEZZNS1_33reduce_by_key_impl_wrapped_configILNS1_25lookback_scan_determinismE0ES3_SB_PS6_NS8_17constant_iteratorIiNS8_11use_defaultESG_EENS8_10device_ptrIS6_EENSI_IlEEPmSA_NS8_8equal_toIS6_EEEE10hipError_tPvRmT2_T3_mT4_T5_T6_T7_T8_P12ihipStream_tbENKUlT_T0_E_clISt17integral_constantIbLb0EES15_EEDaS10_S11_EUlS10_E_NS1_11comp_targetILNS1_3genE4ELNS1_11target_archE910ELNS1_3gpuE8ELNS1_3repE0EEENS1_30default_config_static_selectorELNS0_4arch9wavefront6targetE1EEEvT1_ ; -- Begin function _ZN7rocprim17ROCPRIM_400000_NS6detail17trampoline_kernelINS0_14default_configENS1_29reduce_by_key_config_selectorIN3c104HalfElN6thrust23THRUST_200600_302600_NS4plusIlEEEEZZNS1_33reduce_by_key_impl_wrapped_configILNS1_25lookback_scan_determinismE0ES3_SB_PS6_NS8_17constant_iteratorIiNS8_11use_defaultESG_EENS8_10device_ptrIS6_EENSI_IlEEPmSA_NS8_8equal_toIS6_EEEE10hipError_tPvRmT2_T3_mT4_T5_T6_T7_T8_P12ihipStream_tbENKUlT_T0_E_clISt17integral_constantIbLb0EES15_EEDaS10_S11_EUlS10_E_NS1_11comp_targetILNS1_3genE4ELNS1_11target_archE910ELNS1_3gpuE8ELNS1_3repE0EEENS1_30default_config_static_selectorELNS0_4arch9wavefront6targetE1EEEvT1_
	.globl	_ZN7rocprim17ROCPRIM_400000_NS6detail17trampoline_kernelINS0_14default_configENS1_29reduce_by_key_config_selectorIN3c104HalfElN6thrust23THRUST_200600_302600_NS4plusIlEEEEZZNS1_33reduce_by_key_impl_wrapped_configILNS1_25lookback_scan_determinismE0ES3_SB_PS6_NS8_17constant_iteratorIiNS8_11use_defaultESG_EENS8_10device_ptrIS6_EENSI_IlEEPmSA_NS8_8equal_toIS6_EEEE10hipError_tPvRmT2_T3_mT4_T5_T6_T7_T8_P12ihipStream_tbENKUlT_T0_E_clISt17integral_constantIbLb0EES15_EEDaS10_S11_EUlS10_E_NS1_11comp_targetILNS1_3genE4ELNS1_11target_archE910ELNS1_3gpuE8ELNS1_3repE0EEENS1_30default_config_static_selectorELNS0_4arch9wavefront6targetE1EEEvT1_
	.p2align	8
	.type	_ZN7rocprim17ROCPRIM_400000_NS6detail17trampoline_kernelINS0_14default_configENS1_29reduce_by_key_config_selectorIN3c104HalfElN6thrust23THRUST_200600_302600_NS4plusIlEEEEZZNS1_33reduce_by_key_impl_wrapped_configILNS1_25lookback_scan_determinismE0ES3_SB_PS6_NS8_17constant_iteratorIiNS8_11use_defaultESG_EENS8_10device_ptrIS6_EENSI_IlEEPmSA_NS8_8equal_toIS6_EEEE10hipError_tPvRmT2_T3_mT4_T5_T6_T7_T8_P12ihipStream_tbENKUlT_T0_E_clISt17integral_constantIbLb0EES15_EEDaS10_S11_EUlS10_E_NS1_11comp_targetILNS1_3genE4ELNS1_11target_archE910ELNS1_3gpuE8ELNS1_3repE0EEENS1_30default_config_static_selectorELNS0_4arch9wavefront6targetE1EEEvT1_,@function
_ZN7rocprim17ROCPRIM_400000_NS6detail17trampoline_kernelINS0_14default_configENS1_29reduce_by_key_config_selectorIN3c104HalfElN6thrust23THRUST_200600_302600_NS4plusIlEEEEZZNS1_33reduce_by_key_impl_wrapped_configILNS1_25lookback_scan_determinismE0ES3_SB_PS6_NS8_17constant_iteratorIiNS8_11use_defaultESG_EENS8_10device_ptrIS6_EENSI_IlEEPmSA_NS8_8equal_toIS6_EEEE10hipError_tPvRmT2_T3_mT4_T5_T6_T7_T8_P12ihipStream_tbENKUlT_T0_E_clISt17integral_constantIbLb0EES15_EEDaS10_S11_EUlS10_E_NS1_11comp_targetILNS1_3genE4ELNS1_11target_archE910ELNS1_3gpuE8ELNS1_3repE0EEENS1_30default_config_static_selectorELNS0_4arch9wavefront6targetE1EEEvT1_: ; @_ZN7rocprim17ROCPRIM_400000_NS6detail17trampoline_kernelINS0_14default_configENS1_29reduce_by_key_config_selectorIN3c104HalfElN6thrust23THRUST_200600_302600_NS4plusIlEEEEZZNS1_33reduce_by_key_impl_wrapped_configILNS1_25lookback_scan_determinismE0ES3_SB_PS6_NS8_17constant_iteratorIiNS8_11use_defaultESG_EENS8_10device_ptrIS6_EENSI_IlEEPmSA_NS8_8equal_toIS6_EEEE10hipError_tPvRmT2_T3_mT4_T5_T6_T7_T8_P12ihipStream_tbENKUlT_T0_E_clISt17integral_constantIbLb0EES15_EEDaS10_S11_EUlS10_E_NS1_11comp_targetILNS1_3genE4ELNS1_11target_archE910ELNS1_3gpuE8ELNS1_3repE0EEENS1_30default_config_static_selectorELNS0_4arch9wavefront6targetE1EEEvT1_
; %bb.0:
	s_load_dwordx16 s[36:51], s[4:5], 0x40
	s_load_dwordx4 s[8:11], s[4:5], 0x0
	s_load_dword s2, s[4:5], 0x18
	s_load_dwordx4 s[52:55], s[4:5], 0x20
	s_load_dwordx2 s[34:35], s[4:5], 0x30
	s_waitcnt lgkmcnt(0)
	s_mul_i32 s0, s44, s43
	s_mul_hi_u32 s1, s44, s42
	s_add_i32 s0, s1, s0
	s_mul_i32 s1, s45, s42
	s_add_i32 s3, s0, s1
	s_lshl_b64 s[0:1], s[10:11], 1
	s_add_u32 s8, s8, s0
	s_addc_u32 s9, s9, s1
	s_mul_i32 s0, s6, 0xf00
	s_mov_b32 s1, 0
	s_lshl_b64 s[0:1], s[0:1], 1
	s_add_u32 s8, s8, s0
	s_mul_i32 s7, s44, s42
	s_addc_u32 s9, s9, s1
	s_add_u32 s10, s7, s6
	s_addc_u32 s11, s3, 0
	s_add_u32 s14, s46, -1
	s_addc_u32 s15, s47, -1
	s_cmp_eq_u64 s[10:11], s[14:15]
	s_cselect_b64 s[44:45], -1, 0
	s_cmp_lg_u64 s[10:11], s[14:15]
	s_mov_b64 s[12:13], -1
	s_cselect_b64 s[0:1], -1, 0
	s_mul_i32 s33, s14, 0xfffff100
	s_and_b64 vcc, exec, s[44:45]
	v_mad_u32_u24 v40, v0, 15, 1
	v_mad_u32_u24 v42, v0, 15, 3
	;; [unrolled: 1-line block ×7, first 2 shown]
	s_cbranch_vccnz .LBB2202_2
; %bb.1:
	v_lshlrev_b32_e32 v1, 1, v0
	v_mov_b32_e32 v2, s9
	v_add_co_u32_e32 v3, vcc, s8, v1
	v_addc_co_u32_e32 v4, vcc, 0, v2, vcc
	v_add_co_u32_e32 v2, vcc, 0x1000, v3
	v_addc_co_u32_e32 v3, vcc, 0, v4, vcc
	global_load_ushort v5, v1, s[8:9]
	global_load_ushort v13, v1, s[8:9] offset:512
	global_load_ushort v16, v1, s[8:9] offset:1024
	global_load_ushort v17, v1, s[8:9] offset:1536
	global_load_ushort v18, v1, s[8:9] offset:2048
	global_load_ushort v19, v1, s[8:9] offset:2560
	global_load_ushort v20, v1, s[8:9] offset:3072
	global_load_ushort v21, v1, s[8:9] offset:3584
	global_load_ushort v4, v[2:3], off
	global_load_ushort v22, v[2:3], off offset:512
	global_load_ushort v23, v[2:3], off offset:1024
	;; [unrolled: 1-line block ×6, first 2 shown]
	v_mad_u32_u24 v29, v0, 28, v1
	s_ashr_i32 s3, s2, 31
	s_movk_i32 s7, 0xffea
	v_mul_u32_u24_e32 v6, 15, v0
	v_mad_u32_u24 v11, v0, 15, 1
	v_mad_u32_u24 v12, v0, 15, 3
	;; [unrolled: 1-line block ×7, first 2 shown]
	v_pk_mov_b32 v[14:15], s[2:3], s[2:3] op_sel:[0,1]
	v_mad_i32_i24 v30, v0, s7, v29
	s_waitcnt vmcnt(14)
	ds_write_b16 v1, v5
	s_waitcnt vmcnt(13)
	ds_write_b16 v1, v13 offset:512
	s_waitcnt vmcnt(12)
	ds_write_b16 v1, v16 offset:1024
	;; [unrolled: 2-line block ×14, first 2 shown]
	s_waitcnt lgkmcnt(0)
	s_barrier
	ds_read_u16 v1, v29
	ds_read_b128 v[2:5], v29 offset:2
	ds_read_b96 v[22:24], v29 offset:18
	s_waitcnt lgkmcnt(0)
	s_barrier
	ds_write2st64_b64 v30, v[14:15], v[14:15] offset1:4
	ds_write2st64_b64 v30, v[14:15], v[14:15] offset0:8 offset1:12
	ds_write2st64_b64 v30, v[14:15], v[14:15] offset0:16 offset1:20
	;; [unrolled: 1-line block ×6, first 2 shown]
	ds_write_b64 v30, v[14:15] offset:28672
	s_waitcnt lgkmcnt(0)
	s_barrier
	s_load_dwordx2 s[30:31], s[4:5], 0x80
	s_add_i32 s33, s33, s48
	s_cbranch_execz .LBB2202_3
	s_branch .LBB2202_34
.LBB2202_2:
                                        ; implicit-def: $vgpr2
                                        ; implicit-def: $vgpr22
                                        ; implicit-def: $vgpr25
                                        ; implicit-def: $vgpr7
                                        ; implicit-def: $vgpr8
                                        ; implicit-def: $vgpr9
                                        ; implicit-def: $vgpr10
                                        ; implicit-def: $vgpr12
                                        ; implicit-def: $vgpr11
                                        ; implicit-def: $vgpr6
                                        ; implicit-def: $vgpr1
	s_load_dwordx2 s[30:31], s[4:5], 0x80
	s_andn2_b64 vcc, exec, s[12:13]
	s_add_i32 s33, s33, s48
	s_cbranch_vccnz .LBB2202_34
.LBB2202_3:
	v_cmp_gt_u32_e32 vcc, s33, v0
                                        ; implicit-def: $vgpr1
	s_and_saveexec_b64 s[4:5], vcc
	s_cbranch_execz .LBB2202_5
; %bb.4:
	v_lshlrev_b32_e32 v1, 1, v0
	global_load_ushort v1, v1, s[8:9]
.LBB2202_5:
	s_or_b64 exec, exec, s[4:5]
	v_or_b32_e32 v2, 0x100, v0
	v_cmp_gt_u32_e32 vcc, s33, v2
                                        ; implicit-def: $vgpr2
	s_and_saveexec_b64 s[4:5], vcc
	s_cbranch_execz .LBB2202_7
; %bb.6:
	v_lshlrev_b32_e32 v2, 1, v0
	global_load_ushort v2, v2, s[8:9] offset:512
.LBB2202_7:
	s_or_b64 exec, exec, s[4:5]
	v_or_b32_e32 v3, 0x200, v0
	v_cmp_gt_u32_e32 vcc, s33, v3
                                        ; implicit-def: $vgpr3
	s_and_saveexec_b64 s[4:5], vcc
	s_cbranch_execz .LBB2202_9
; %bb.8:
	v_lshlrev_b32_e32 v3, 1, v0
	global_load_ushort v3, v3, s[8:9] offset:1024
.LBB2202_9:
	s_or_b64 exec, exec, s[4:5]
	v_or_b32_e32 v4, 0x300, v0
	v_cmp_gt_u32_e32 vcc, s33, v4
                                        ; implicit-def: $vgpr4
	s_and_saveexec_b64 s[4:5], vcc
	s_cbranch_execz .LBB2202_11
; %bb.10:
	v_lshlrev_b32_e32 v4, 1, v0
	global_load_ushort v4, v4, s[8:9] offset:1536
.LBB2202_11:
	s_or_b64 exec, exec, s[4:5]
	v_or_b32_e32 v5, 0x400, v0
	v_cmp_gt_u32_e32 vcc, s33, v5
                                        ; implicit-def: $vgpr5
	s_and_saveexec_b64 s[4:5], vcc
	s_cbranch_execz .LBB2202_13
; %bb.12:
	v_lshlrev_b32_e32 v5, 1, v0
	global_load_ushort v5, v5, s[8:9] offset:2048
.LBB2202_13:
	s_or_b64 exec, exec, s[4:5]
	v_or_b32_e32 v6, 0x500, v0
	v_cmp_gt_u32_e32 vcc, s33, v6
                                        ; implicit-def: $vgpr6
	s_and_saveexec_b64 s[4:5], vcc
	s_cbranch_execz .LBB2202_15
; %bb.14:
	v_lshlrev_b32_e32 v6, 1, v0
	global_load_ushort v6, v6, s[8:9] offset:2560
.LBB2202_15:
	s_or_b64 exec, exec, s[4:5]
	v_or_b32_e32 v7, 0x600, v0
	v_cmp_gt_u32_e32 vcc, s33, v7
                                        ; implicit-def: $vgpr7
	s_and_saveexec_b64 s[4:5], vcc
	s_cbranch_execz .LBB2202_17
; %bb.16:
	v_lshlrev_b32_e32 v7, 1, v0
	global_load_ushort v7, v7, s[8:9] offset:3072
.LBB2202_17:
	s_or_b64 exec, exec, s[4:5]
	v_or_b32_e32 v8, 0x700, v0
	v_cmp_gt_u32_e32 vcc, s33, v8
                                        ; implicit-def: $vgpr8
	s_and_saveexec_b64 s[4:5], vcc
	s_cbranch_execz .LBB2202_19
; %bb.18:
	v_lshlrev_b32_e32 v8, 1, v0
	global_load_ushort v8, v8, s[8:9] offset:3584
.LBB2202_19:
	s_or_b64 exec, exec, s[4:5]
	v_or_b32_e32 v10, 0x800, v0
	v_cmp_gt_u32_e32 vcc, s33, v10
                                        ; implicit-def: $vgpr9
	s_and_saveexec_b64 s[4:5], vcc
	s_cbranch_execz .LBB2202_21
; %bb.20:
	v_lshlrev_b32_e32 v9, 1, v10
	global_load_ushort v9, v9, s[8:9]
.LBB2202_21:
	s_or_b64 exec, exec, s[4:5]
	v_or_b32_e32 v11, 0x900, v0
	v_cmp_gt_u32_e32 vcc, s33, v11
                                        ; implicit-def: $vgpr10
	s_and_saveexec_b64 s[4:5], vcc
	s_cbranch_execz .LBB2202_23
; %bb.22:
	v_lshlrev_b32_e32 v10, 1, v11
	global_load_ushort v10, v10, s[8:9]
.LBB2202_23:
	s_or_b64 exec, exec, s[4:5]
	v_or_b32_e32 v12, 0xa00, v0
	v_cmp_gt_u32_e32 vcc, s33, v12
                                        ; implicit-def: $vgpr11
	s_and_saveexec_b64 s[4:5], vcc
	s_cbranch_execz .LBB2202_25
; %bb.24:
	v_lshlrev_b32_e32 v11, 1, v12
	global_load_ushort v11, v11, s[8:9]
.LBB2202_25:
	s_or_b64 exec, exec, s[4:5]
	v_or_b32_e32 v13, 0xb00, v0
	v_cmp_gt_u32_e32 vcc, s33, v13
                                        ; implicit-def: $vgpr12
	s_and_saveexec_b64 s[4:5], vcc
	s_cbranch_execz .LBB2202_27
; %bb.26:
	v_lshlrev_b32_e32 v12, 1, v13
	global_load_ushort v12, v12, s[8:9]
.LBB2202_27:
	s_or_b64 exec, exec, s[4:5]
	v_or_b32_e32 v14, 0xc00, v0
	v_cmp_gt_u32_e32 vcc, s33, v14
                                        ; implicit-def: $vgpr13
	s_and_saveexec_b64 s[4:5], vcc
	s_cbranch_execz .LBB2202_29
; %bb.28:
	v_lshlrev_b32_e32 v13, 1, v14
	global_load_ushort v13, v13, s[8:9]
.LBB2202_29:
	s_or_b64 exec, exec, s[4:5]
	v_or_b32_e32 v15, 0xd00, v0
	v_cmp_gt_u32_e32 vcc, s33, v15
                                        ; implicit-def: $vgpr14
	s_and_saveexec_b64 s[4:5], vcc
	s_cbranch_execz .LBB2202_31
; %bb.30:
	v_lshlrev_b32_e32 v14, 1, v15
	global_load_ushort v14, v14, s[8:9]
.LBB2202_31:
	s_or_b64 exec, exec, s[4:5]
	v_or_b32_e32 v16, 0xe00, v0
	v_cmp_gt_u32_e32 vcc, s33, v16
                                        ; implicit-def: $vgpr15
	s_and_saveexec_b64 s[4:5], vcc
	s_cbranch_execz .LBB2202_33
; %bb.32:
	v_lshlrev_b32_e32 v15, 1, v16
	global_load_ushort v15, v15, s[8:9]
.LBB2202_33:
	s_or_b64 exec, exec, s[4:5]
	v_lshlrev_b32_e32 v16, 1, v0
	s_waitcnt vmcnt(0)
	ds_write_b16 v16, v1
	ds_write_b16 v16, v2 offset:512
	ds_write_b16 v16, v3 offset:1024
	;; [unrolled: 1-line block ×14, first 2 shown]
	v_mad_u32_u24 v7, v0, 28, v16
	s_waitcnt lgkmcnt(0)
	s_barrier
	ds_read_u16 v1, v7
	ds_read_b128 v[2:5], v7 offset:2
	ds_read_b96 v[22:24], v7 offset:18
	s_ashr_i32 s3, s2, 31
	s_movk_i32 s4, 0xffea
	v_mad_i32_i24 v7, v0, s4, v7
	v_pk_mov_b32 v[8:9], s[2:3], s[2:3] op_sel:[0,1]
	v_mul_u32_u24_e32 v6, 15, v0
	s_waitcnt lgkmcnt(0)
	s_barrier
	ds_write2st64_b64 v7, v[8:9], v[8:9] offset1:4
	ds_write2st64_b64 v7, v[8:9], v[8:9] offset0:8 offset1:12
	ds_write2st64_b64 v7, v[8:9], v[8:9] offset0:16 offset1:20
	;; [unrolled: 1-line block ×6, first 2 shown]
	ds_write_b64 v7, v[8:9] offset:28672
	v_mov_b32_e32 v25, v52
	v_mov_b32_e32 v7, v50
	;; [unrolled: 1-line block ×7, first 2 shown]
	s_waitcnt lgkmcnt(0)
	s_barrier
.LBB2202_34:
	v_lshlrev_b32_e32 v6, 3, v6
	v_lshlrev_b32_e32 v11, 3, v11
	;; [unrolled: 1-line block ×4, first 2 shown]
	s_waitcnt lgkmcnt(0)
	ds_read2_b64 v[18:21], v6 offset1:2
	ds_read2_b64 v[14:17], v6 offset0:4 offset1:6
	v_lshlrev_b32_e32 v9, 3, v9
	ds_read_b64 v[38:39], v11
	ds_read_b64 v[36:37], v12
	;; [unrolled: 1-line block ×4, first 2 shown]
	ds_read2_b64 v[10:13], v6 offset0:8 offset1:10
	v_lshlrev_b32_e32 v26, 3, v8
	v_lshlrev_b32_e32 v27, 3, v7
	ds_read2_b64 v[6:9], v6 offset0:12 offset1:14
	v_lshlrev_b32_e32 v25, 3, v25
	ds_read_b64 v[32:33], v26
	ds_read_b64 v[28:29], v27
	;; [unrolled: 1-line block ×3, first 2 shown]
	s_cmp_eq_u64 s[10:11], 0
	s_cselect_b64 s[46:47], -1, 0
	s_cmp_lg_u64 s[10:11], 0
	s_mov_b64 s[4:5], 0
	s_cselect_b64 s[12:13], -1, 0
	s_and_b64 vcc, exec, s[0:1]
	s_waitcnt lgkmcnt(0)
	s_barrier
	s_cbranch_vccz .LBB2202_40
; %bb.35:
	s_and_b64 vcc, exec, s[12:13]
	s_cbranch_vccz .LBB2202_41
; %bb.36:
	v_mov_b32_e32 v25, 0
	global_load_ushort v41, v25, s[8:9] offset:-2
	v_lshrrev_b32_e32 v43, 16, v24
	v_lshlrev_b32_e32 v25, 1, v0
	v_cmp_neq_f16_e32 vcc, v24, v43
	v_cmp_neq_f16_sdwa s[4:5], v23, v24 src0_sel:WORD_1 src1_sel:DWORD
	v_cmp_neq_f16_sdwa s[14:15], v23, v23 src0_sel:DWORD src1_sel:WORD_1
	v_cmp_neq_f16_sdwa s[16:17], v22, v23 src0_sel:WORD_1 src1_sel:DWORD
	v_cmp_neq_f16_sdwa s[18:19], v22, v22 src0_sel:DWORD src1_sel:WORD_1
	;; [unrolled: 2-line block ×6, first 2 shown]
	v_cmp_neq_f16_e64 s[0:1], v1, v2
	v_cmp_ne_u32_e64 s[2:3], 0, v0
	ds_write_b16 v25, v43
	s_waitcnt lgkmcnt(0)
	s_barrier
	s_and_saveexec_b64 s[62:63], s[2:3]
	s_cbranch_execz .LBB2202_38
; %bb.37:
	v_add_u32_e32 v25, -2, v25
	s_waitcnt vmcnt(0)
	ds_read_u16 v41, v25
.LBB2202_38:
	s_or_b64 exec, exec, s[62:63]
	v_cndmask_b32_e64 v25, 0, 1, vcc
	v_cndmask_b32_e64 v76, 0, 1, s[4:5]
	v_cndmask_b32_e64 v77, 0, 1, s[14:15]
	v_cndmask_b32_e64 v78, 0, 1, s[16:17]
	v_cndmask_b32_e64 v79, 0, 1, s[18:19]
	v_cndmask_b32_e64 v80, 0, 1, s[20:21]
	v_cndmask_b32_e64 v81, 0, 1, s[22:23]
	v_cndmask_b32_e64 v82, 0, 1, s[24:25]
	v_cndmask_b32_e64 v83, 0, 1, s[26:27]
	v_cndmask_b32_e64 v84, 0, 1, s[28:29]
	v_cndmask_b32_e64 v85, 0, 1, s[56:57]
	v_cndmask_b32_e64 v86, 0, 1, s[58:59]
	v_cndmask_b32_e64 v87, 0, 1, s[60:61]
	v_cndmask_b32_e64 v88, 0, 1, s[0:1]
	s_waitcnt vmcnt(0) lgkmcnt(0)
	v_cmp_neq_f16_e64 s[0:1], v1, v41
	s_mov_b64 s[4:5], -1
.LBB2202_39:
                                        ; implicit-def: $sgpr7
	s_branch .LBB2202_53
.LBB2202_40:
                                        ; implicit-def: $sgpr0_sgpr1
                                        ; implicit-def: $vgpr25
                                        ; implicit-def: $vgpr76
                                        ; implicit-def: $vgpr77
                                        ; implicit-def: $vgpr78
                                        ; implicit-def: $vgpr79
                                        ; implicit-def: $vgpr80
                                        ; implicit-def: $vgpr81
                                        ; implicit-def: $vgpr82
                                        ; implicit-def: $vgpr83
                                        ; implicit-def: $vgpr84
                                        ; implicit-def: $vgpr85
                                        ; implicit-def: $vgpr86
                                        ; implicit-def: $vgpr87
                                        ; implicit-def: $vgpr88
                                        ; implicit-def: $sgpr7
	s_cbranch_execnz .LBB2202_45
	s_branch .LBB2202_53
.LBB2202_41:
                                        ; implicit-def: $sgpr0_sgpr1
                                        ; implicit-def: $vgpr25
                                        ; implicit-def: $vgpr76
                                        ; implicit-def: $vgpr77
                                        ; implicit-def: $vgpr78
                                        ; implicit-def: $vgpr79
                                        ; implicit-def: $vgpr80
                                        ; implicit-def: $vgpr81
                                        ; implicit-def: $vgpr82
                                        ; implicit-def: $vgpr83
                                        ; implicit-def: $vgpr84
                                        ; implicit-def: $vgpr85
                                        ; implicit-def: $vgpr86
                                        ; implicit-def: $vgpr87
                                        ; implicit-def: $vgpr88
	s_cbranch_execz .LBB2202_39
; %bb.42:
	v_cmp_neq_f16_sdwa s[0:1], v23, v24 src0_sel:WORD_1 src1_sel:DWORD
	v_cndmask_b32_e64 v76, 0, 1, s[0:1]
	v_cmp_neq_f16_sdwa s[0:1], v23, v23 src0_sel:DWORD src1_sel:WORD_1
	v_cndmask_b32_e64 v77, 0, 1, s[0:1]
	v_cmp_neq_f16_sdwa s[0:1], v22, v23 src0_sel:WORD_1 src1_sel:DWORD
	v_cndmask_b32_e64 v78, 0, 1, s[0:1]
	v_cmp_neq_f16_sdwa s[0:1], v22, v22 src0_sel:DWORD src1_sel:WORD_1
	v_cndmask_b32_e64 v79, 0, 1, s[0:1]
	v_cmp_neq_f16_sdwa s[0:1], v5, v22 src0_sel:WORD_1 src1_sel:DWORD
	v_cndmask_b32_e64 v80, 0, 1, s[0:1]
	v_cmp_neq_f16_sdwa s[0:1], v5, v5 src0_sel:DWORD src1_sel:WORD_1
	v_cndmask_b32_e64 v81, 0, 1, s[0:1]
	v_cmp_neq_f16_sdwa s[0:1], v4, v5 src0_sel:WORD_1 src1_sel:DWORD
	v_cndmask_b32_e64 v82, 0, 1, s[0:1]
	v_cmp_neq_f16_sdwa s[0:1], v4, v4 src0_sel:DWORD src1_sel:WORD_1
	v_cndmask_b32_e64 v83, 0, 1, s[0:1]
	v_cmp_neq_f16_sdwa s[0:1], v3, v4 src0_sel:WORD_1 src1_sel:DWORD
	v_lshrrev_b32_e32 v25, 16, v24
	v_cndmask_b32_e64 v84, 0, 1, s[0:1]
	v_cmp_neq_f16_sdwa s[0:1], v3, v3 src0_sel:DWORD src1_sel:WORD_1
	v_lshlrev_b32_e32 v41, 1, v0
	v_cmp_neq_f16_e32 vcc, v24, v25
	v_cndmask_b32_e64 v85, 0, 1, s[0:1]
	v_cmp_neq_f16_sdwa s[0:1], v2, v3 src0_sel:WORD_1 src1_sel:DWORD
	ds_write_b16 v41, v25
	v_cndmask_b32_e64 v25, 0, 1, vcc
	v_cndmask_b32_e64 v86, 0, 1, s[0:1]
	v_cmp_neq_f16_sdwa s[0:1], v2, v2 src0_sel:DWORD src1_sel:WORD_1
	v_cmp_neq_f16_e32 vcc, v1, v2
	s_mov_b32 s7, 1
	v_cndmask_b32_e64 v87, 0, 1, s[0:1]
	v_cndmask_b32_e64 v88, 0, 1, vcc
	v_cmp_ne_u32_e32 vcc, 0, v0
	s_waitcnt lgkmcnt(0)
	s_barrier
	s_waitcnt lgkmcnt(0)
                                        ; implicit-def: $sgpr0_sgpr1
	s_and_saveexec_b64 s[2:3], vcc
	s_xor_b64 s[2:3], exec, s[2:3]
	s_cbranch_execz .LBB2202_44
; %bb.43:
	v_add_u32_e32 v41, -2, v41
	ds_read_u16 v41, v41
	s_or_b64 s[4:5], s[4:5], exec
	s_waitcnt lgkmcnt(0)
	v_cmp_neq_f16_e32 vcc, v41, v1
	s_and_b64 s[0:1], vcc, exec
.LBB2202_44:
	s_or_b64 exec, exec, s[2:3]
	s_branch .LBB2202_53
.LBB2202_45:
	s_mul_hi_u32 s1, s10, 0xfffff100
	s_mul_i32 s0, s11, 0xfffff100
	s_sub_i32 s1, s1, s10
	s_add_i32 s1, s1, s0
	s_mul_i32 s0, s10, 0xfffff100
	s_add_u32 s10, s0, s48
	s_addc_u32 s11, s1, s49
	s_and_b64 vcc, exec, s[12:13]
	v_lshrrev_b32_e32 v70, 16, v24
	v_mad_u32_u24 v54, v0, 15, 14
	v_cmp_neq_f16_sdwa s[58:59], v23, v24 src0_sel:WORD_1 src1_sel:DWORD
	v_mad_u32_u24 v66, v0, 15, 12
	v_cmp_neq_f16_sdwa s[12:13], v23, v23 src0_sel:DWORD src1_sel:WORD_1
	v_cmp_neq_f16_sdwa s[16:17], v22, v23 src0_sel:WORD_1 src1_sel:DWORD
	v_mad_u32_u24 v64, v0, 15, 10
	v_cmp_neq_f16_sdwa s[20:21], v22, v22 src0_sel:DWORD src1_sel:WORD_1
	;; [unrolled: 3-line block ×6, first 2 shown]
	v_cmp_neq_f16_e64 s[2:3], v1, v2
	v_cmp_ne_u32_e64 s[0:1], 0, v0
	s_cbranch_vccz .LBB2202_50
; %bb.46:
	v_mov_b32_e32 v55, 0
	global_load_ushort v71, v55, s[8:9] offset:-2
	v_cmp_gt_u64_e32 vcc, s[10:11], v[54:55]
	v_cmp_neq_f16_e64 s[4:5], v24, v70
	v_mov_b32_e32 v53, v55
	s_and_b64 s[4:5], vcc, s[4:5]
	v_cmp_gt_u64_e32 vcc, s[10:11], v[52:53]
	v_mov_b32_e32 v67, v55
	s_and_b64 s[8:9], vcc, s[58:59]
	v_cmp_gt_u64_e32 vcc, s[10:11], v[66:67]
	;; [unrolled: 3-line block ×13, first 2 shown]
	v_lshlrev_b32_e32 v25, 1, v0
	v_mul_u32_u24_e32 v68, 15, v0
	s_and_b64 s[2:3], vcc, s[2:3]
	ds_write_b16 v25, v70
	s_waitcnt lgkmcnt(0)
	s_barrier
	s_and_saveexec_b64 s[58:59], s[0:1]
	s_cbranch_execz .LBB2202_48
; %bb.47:
	v_add_u32_e32 v25, -2, v25
	s_waitcnt vmcnt(0)
	ds_read_u16 v71, v25
.LBB2202_48:
	s_or_b64 exec, exec, s[58:59]
	v_mov_b32_e32 v69, v55
	v_cmp_gt_u64_e32 vcc, s[10:11], v[68:69]
	s_waitcnt vmcnt(0) lgkmcnt(0)
	v_cmp_neq_f16_e64 s[0:1], v1, v71
	v_cndmask_b32_e64 v25, 0, 1, s[4:5]
	v_cndmask_b32_e64 v76, 0, 1, s[8:9]
	;; [unrolled: 1-line block ×14, first 2 shown]
	s_and_b64 s[0:1], vcc, s[0:1]
	s_mov_b64 s[4:5], -1
.LBB2202_49:
                                        ; implicit-def: $sgpr7
	v_mov_b32_e32 v89, s7
	s_and_saveexec_b64 s[2:3], s[4:5]
	s_cbranch_execnz .LBB2202_54
	s_branch .LBB2202_55
.LBB2202_50:
                                        ; implicit-def: $sgpr0_sgpr1
                                        ; implicit-def: $vgpr25
                                        ; implicit-def: $vgpr76
                                        ; implicit-def: $vgpr77
                                        ; implicit-def: $vgpr78
                                        ; implicit-def: $vgpr79
                                        ; implicit-def: $vgpr80
                                        ; implicit-def: $vgpr81
                                        ; implicit-def: $vgpr82
                                        ; implicit-def: $vgpr83
                                        ; implicit-def: $vgpr84
                                        ; implicit-def: $vgpr85
                                        ; implicit-def: $vgpr86
                                        ; implicit-def: $vgpr87
                                        ; implicit-def: $vgpr88
	s_cbranch_execz .LBB2202_49
; %bb.51:
	v_mov_b32_e32 v55, 0
	v_cmp_gt_u64_e32 vcc, s[10:11], v[54:55]
	v_cmp_neq_f16_e64 s[0:1], v24, v70
	s_and_b64 s[0:1], vcc, s[0:1]
	v_mov_b32_e32 v53, v55
	v_cndmask_b32_e64 v25, 0, 1, s[0:1]
	v_cmp_gt_u64_e32 vcc, s[10:11], v[52:53]
	v_cmp_neq_f16_sdwa s[0:1], v23, v24 src0_sel:WORD_1 src1_sel:DWORD
	s_and_b64 s[0:1], vcc, s[0:1]
	v_mov_b32_e32 v67, v55
	v_cndmask_b32_e64 v76, 0, 1, s[0:1]
	v_cmp_gt_u64_e32 vcc, s[10:11], v[66:67]
	v_cmp_neq_f16_sdwa s[0:1], v23, v23 src0_sel:DWORD src1_sel:WORD_1
	s_and_b64 s[0:1], vcc, s[0:1]
	v_mov_b32_e32 v51, v55
	v_cndmask_b32_e64 v77, 0, 1, s[0:1]
	v_cmp_gt_u64_e32 vcc, s[10:11], v[50:51]
	v_cmp_neq_f16_sdwa s[0:1], v22, v23 src0_sel:WORD_1 src1_sel:DWORD
	s_and_b64 s[0:1], vcc, s[0:1]
	v_mov_b32_e32 v65, v55
	v_cndmask_b32_e64 v78, 0, 1, s[0:1]
	v_cmp_gt_u64_e32 vcc, s[10:11], v[64:65]
	v_cmp_neq_f16_sdwa s[0:1], v22, v22 src0_sel:DWORD src1_sel:WORD_1
	;; [unrolled: 10-line block ×6, first 2 shown]
	s_and_b64 s[0:1], vcc, s[0:1]
	v_mov_b32_e32 v41, v55
	v_cndmask_b32_e64 v87, 0, 1, s[0:1]
	v_cmp_gt_u64_e32 vcc, s[10:11], v[40:41]
	v_cmp_neq_f16_e64 s[0:1], v1, v2
	s_and_b64 s[0:1], vcc, s[0:1]
	s_mov_b32 s7, 1
	v_lshlrev_b32_e32 v68, 1, v0
	v_cndmask_b32_e64 v88, 0, 1, s[0:1]
	v_cmp_ne_u32_e32 vcc, 0, v0
	ds_write_b16 v68, v70
	s_waitcnt lgkmcnt(0)
	s_barrier
	s_waitcnt lgkmcnt(0)
                                        ; implicit-def: $sgpr0_sgpr1
	s_and_saveexec_b64 s[2:3], vcc
	s_cbranch_execz .LBB2202_202
; %bb.52:
	v_add_u32_e32 v40, -2, v68
	ds_read_u16 v40, v40
	v_mul_u32_u24_e32 v54, 15, v0
	v_cmp_gt_u64_e32 vcc, s[10:11], v[54:55]
	s_or_b64 s[4:5], s[4:5], exec
	s_waitcnt lgkmcnt(0)
	v_cmp_neq_f16_e64 s[0:1], v40, v1
	s_and_b64 s[0:1], vcc, s[0:1]
	s_and_b64 s[0:1], s[0:1], exec
	s_or_b64 exec, exec, s[2:3]
.LBB2202_53:
	v_mov_b32_e32 v89, s7
	s_and_saveexec_b64 s[2:3], s[4:5]
.LBB2202_54:
	v_cndmask_b32_e64 v89, 0, 1, s[0:1]
.LBB2202_55:
	s_or_b64 exec, exec, s[2:3]
	s_cmp_eq_u64 s[42:43], 0
	v_add3_u32 v40, v88, v89, v87
	s_cselect_b64 s[42:43], -1, 0
	s_cmp_lg_u32 s6, 0
	v_cmp_eq_u32_e64 s[24:25], 0, v88
	v_cmp_eq_u32_e64 s[22:23], 0, v87
	v_cmp_eq_u32_e64 s[20:21], 0, v86
	v_add3_u32 v92, v40, v86, v85
	v_cmp_eq_u32_e64 s[18:19], 0, v85
	v_cmp_eq_u32_e64 s[16:17], 0, v84
	;; [unrolled: 1-line block ×10, first 2 shown]
	v_cmp_eq_u32_e32 vcc, 0, v25
	v_mbcnt_lo_u32_b32 v91, -1, 0
	s_cbranch_scc0 .LBB2202_122
; %bb.56:
	v_cndmask_b32_e64 v41, 0, v18, s[24:25]
	v_cndmask_b32_e64 v40, 0, v19, s[24:25]
	v_add_co_u32_e64 v41, s[26:27], v41, v38
	v_addc_co_u32_e64 v40, s[26:27], v40, v39, s[26:27]
	v_cndmask_b32_e64 v41, 0, v41, s[22:23]
	v_cndmask_b32_e64 v40, 0, v40, s[22:23]
	v_add_co_u32_e64 v41, s[26:27], v41, v20
	v_addc_co_u32_e64 v40, s[26:27], v40, v21, s[26:27]
	;; [unrolled: 4-line block ×11, first 2 shown]
	v_cndmask_b32_e64 v41, 0, v41, s[2:3]
	v_add3_u32 v42, v92, v84, v83
	v_cndmask_b32_e64 v40, 0, v40, s[2:3]
	v_add_co_u32_e64 v41, s[26:27], v41, v6
	v_add3_u32 v42, v42, v82, v81
	v_addc_co_u32_e64 v40, s[26:27], v40, v7, s[26:27]
	v_cndmask_b32_e64 v41, 0, v41, s[0:1]
	v_add3_u32 v42, v42, v80, v79
	v_cndmask_b32_e64 v40, 0, v40, s[0:1]
	v_add_co_u32_e64 v41, s[26:27], v41, v26
	v_add3_u32 v42, v42, v78, v77
	v_addc_co_u32_e64 v40, s[26:27], v40, v27, s[26:27]
	v_cndmask_b32_e32 v41, 0, v41, vcc
	v_add3_u32 v44, v42, v76, v25
	v_cndmask_b32_e32 v40, 0, v40, vcc
	v_add_co_u32_e32 v42, vcc, v41, v8
	v_mbcnt_hi_u32_b32 v45, -1, v91
	v_addc_co_u32_e32 v43, vcc, v40, v9, vcc
	v_and_b32_e32 v40, 15, v45
	v_mov_b32_dpp v46, v44 row_shr:1 row_mask:0xf bank_mask:0xf
	v_mov_b32_dpp v41, v42 row_shr:1 row_mask:0xf bank_mask:0xf
	;; [unrolled: 1-line block ×3, first 2 shown]
	v_cmp_ne_u32_e32 vcc, 0, v40
	s_and_saveexec_b64 s[26:27], vcc
; %bb.57:
	v_cmp_eq_u32_e32 vcc, 0, v44
	v_cndmask_b32_e32 v41, 0, v41, vcc
	v_add_u32_e32 v46, v46, v44
	v_cndmask_b32_e32 v44, 0, v47, vcc
	v_add_co_u32_e32 v42, vcc, v41, v42
	v_addc_co_u32_e32 v43, vcc, v44, v43, vcc
	v_mov_b32_e32 v44, v46
; %bb.58:
	s_or_b64 exec, exec, s[26:27]
	s_nop 0
	v_mov_b32_dpp v46, v44 row_shr:2 row_mask:0xf bank_mask:0xf
	v_mov_b32_dpp v41, v42 row_shr:2 row_mask:0xf bank_mask:0xf
	v_mov_b32_dpp v47, v43 row_shr:2 row_mask:0xf bank_mask:0xf
	v_cmp_lt_u32_e32 vcc, 1, v40
	s_and_saveexec_b64 s[26:27], vcc
; %bb.59:
	v_cmp_eq_u32_e32 vcc, 0, v44
	v_cndmask_b32_e32 v41, 0, v41, vcc
	v_add_u32_e32 v46, v46, v44
	v_cndmask_b32_e32 v44, 0, v47, vcc
	v_add_co_u32_e32 v42, vcc, v41, v42
	v_addc_co_u32_e32 v43, vcc, v44, v43, vcc
	v_mov_b32_e32 v44, v46
; %bb.60:
	s_or_b64 exec, exec, s[26:27]
	s_nop 0
	v_mov_b32_dpp v46, v44 row_shr:4 row_mask:0xf bank_mask:0xf
	v_mov_b32_dpp v41, v42 row_shr:4 row_mask:0xf bank_mask:0xf
	v_mov_b32_dpp v47, v43 row_shr:4 row_mask:0xf bank_mask:0xf
	v_cmp_lt_u32_e32 vcc, 3, v40
	;; [unrolled: 16-line block ×3, first 2 shown]
	s_and_saveexec_b64 s[26:27], vcc
; %bb.63:
	v_cmp_eq_u32_e32 vcc, 0, v44
	v_cndmask_b32_e32 v41, 0, v41, vcc
	v_add_u32_e32 v40, v46, v44
	v_cndmask_b32_e32 v44, 0, v47, vcc
	v_add_co_u32_e32 v42, vcc, v41, v42
	v_addc_co_u32_e32 v43, vcc, v44, v43, vcc
	v_mov_b32_e32 v44, v40
; %bb.64:
	s_or_b64 exec, exec, s[26:27]
	v_and_b32_e32 v47, 16, v45
	v_mov_b32_dpp v41, v44 row_bcast:15 row_mask:0xf bank_mask:0xf
	v_mov_b32_dpp v40, v42 row_bcast:15 row_mask:0xf bank_mask:0xf
	;; [unrolled: 1-line block ×3, first 2 shown]
	v_cmp_ne_u32_e32 vcc, 0, v47
	s_and_saveexec_b64 s[26:27], vcc
; %bb.65:
	v_cmp_eq_u32_e32 vcc, 0, v44
	v_cndmask_b32_e32 v40, 0, v40, vcc
	v_add_u32_e32 v41, v41, v44
	v_cndmask_b32_e32 v44, 0, v46, vcc
	v_add_co_u32_e32 v42, vcc, v40, v42
	v_addc_co_u32_e32 v43, vcc, v44, v43, vcc
	v_mov_b32_e32 v44, v41
; %bb.66:
	s_or_b64 exec, exec, s[26:27]
	s_nop 0
	v_mov_b32_dpp v41, v44 row_bcast:31 row_mask:0xf bank_mask:0xf
	v_mov_b32_dpp v40, v42 row_bcast:31 row_mask:0xf bank_mask:0xf
	;; [unrolled: 1-line block ×3, first 2 shown]
	v_cmp_lt_u32_e32 vcc, 31, v45
	s_and_saveexec_b64 s[26:27], vcc
; %bb.67:
	v_cmp_eq_u32_e32 vcc, 0, v44
	v_cndmask_b32_e32 v40, 0, v40, vcc
	v_add_u32_e32 v41, v41, v44
	v_cndmask_b32_e32 v44, 0, v46, vcc
	v_add_co_u32_e32 v42, vcc, v40, v42
	v_addc_co_u32_e32 v43, vcc, v44, v43, vcc
	v_mov_b32_e32 v44, v41
; %bb.68:
	s_or_b64 exec, exec, s[26:27]
	v_lshrrev_b32_e32 v40, 6, v0
	v_or_b32_e32 v41, 63, v0
	v_cmp_eq_u32_e32 vcc, v41, v0
	v_lshlrev_b32_e32 v46, 4, v40
	s_and_saveexec_b64 s[26:27], vcc
	s_cbranch_execz .LBB2202_70
; %bb.69:
	ds_write_b32 v46, v44 offset:1056
	ds_write_b64 v46, v[42:43] offset:1064
.LBB2202_70:
	s_or_b64 exec, exec, s[26:27]
	v_cmp_gt_u32_e32 vcc, 4, v0
	s_waitcnt lgkmcnt(0)
	s_barrier
	s_and_saveexec_b64 s[26:27], vcc
	s_cbranch_execz .LBB2202_76
; %bb.71:
	v_lshlrev_b32_e32 v47, 4, v0
	ds_read_b32 v48, v47 offset:1056
	ds_read_b64 v[40:41], v47 offset:1064
	v_and_b32_e32 v49, 3, v45
	v_cmp_ne_u32_e32 vcc, 0, v49
	s_waitcnt lgkmcnt(1)
	v_mov_b32_dpp v51, v48 row_shr:1 row_mask:0xf bank_mask:0xf
	s_waitcnt lgkmcnt(0)
	v_mov_b32_dpp v50, v40 row_shr:1 row_mask:0xf bank_mask:0xf
	v_mov_b32_dpp v52, v41 row_shr:1 row_mask:0xf bank_mask:0xf
	s_and_saveexec_b64 s[48:49], vcc
; %bb.72:
	v_cmp_eq_u32_e32 vcc, 0, v48
	v_cndmask_b32_e32 v50, 0, v50, vcc
	v_add_u32_e32 v51, v51, v48
	v_cndmask_b32_e32 v48, 0, v52, vcc
	v_add_co_u32_e32 v40, vcc, v50, v40
	v_addc_co_u32_e32 v41, vcc, v48, v41, vcc
	v_mov_b32_e32 v48, v51
; %bb.73:
	s_or_b64 exec, exec, s[48:49]
	s_nop 0
	v_mov_b32_dpp v51, v48 row_shr:2 row_mask:0xf bank_mask:0xf
	v_mov_b32_dpp v50, v40 row_shr:2 row_mask:0xf bank_mask:0xf
	;; [unrolled: 1-line block ×3, first 2 shown]
	v_cmp_lt_u32_e32 vcc, 1, v49
	s_and_saveexec_b64 s[48:49], vcc
; %bb.74:
	v_cmp_eq_u32_e32 vcc, 0, v48
	v_cndmask_b32_e32 v50, 0, v50, vcc
	v_add_u32_e32 v49, v51, v48
	v_cndmask_b32_e32 v48, 0, v52, vcc
	v_add_co_u32_e32 v40, vcc, v50, v40
	v_addc_co_u32_e32 v41, vcc, v48, v41, vcc
	v_mov_b32_e32 v48, v49
; %bb.75:
	s_or_b64 exec, exec, s[48:49]
	ds_write_b32 v47, v48 offset:1056
	ds_write_b64 v47, v[40:41] offset:1064
.LBB2202_76:
	s_or_b64 exec, exec, s[26:27]
	v_cmp_gt_u32_e32 vcc, 64, v0
	v_cmp_lt_u32_e64 s[26:27], 63, v0
	v_pk_mov_b32 v[40:41], 0, 0
	v_mov_b32_e32 v52, 0
	s_waitcnt lgkmcnt(0)
	s_barrier
	s_and_saveexec_b64 s[48:49], s[26:27]
	s_cbranch_execz .LBB2202_78
; %bb.77:
	ds_read_b32 v52, v46 offset:1040
	ds_read_b64 v[40:41], v46 offset:1048
	v_cmp_eq_u32_e64 s[26:27], 0, v44
	s_waitcnt lgkmcnt(1)
	v_add_u32_e32 v46, v52, v44
	s_waitcnt lgkmcnt(0)
	v_cndmask_b32_e64 v47, 0, v40, s[26:27]
	v_cndmask_b32_e64 v44, 0, v41, s[26:27]
	v_add_co_u32_e64 v42, s[26:27], v47, v42
	v_addc_co_u32_e64 v43, s[26:27], v44, v43, s[26:27]
	v_mov_b32_e32 v44, v46
.LBB2202_78:
	s_or_b64 exec, exec, s[48:49]
	v_add_u32_e32 v46, -1, v45
	v_and_b32_e32 v47, 64, v45
	v_cmp_lt_i32_e64 s[26:27], v46, v47
	v_cndmask_b32_e64 v46, v46, v45, s[26:27]
	v_lshlrev_b32_e32 v46, 2, v46
	ds_bpermute_b32 v53, v46, v44
	ds_bpermute_b32 v54, v46, v42
	;; [unrolled: 1-line block ×3, first 2 shown]
	v_cmp_eq_u32_e64 s[26:27], 0, v45
	s_and_saveexec_b64 s[48:49], vcc
	s_cbranch_execz .LBB2202_121
; %bb.79:
	v_mov_b32_e32 v47, 0
	ds_read_b32 v56, v47 offset:1104
	ds_read_b64 v[42:43], v47 offset:1112
	s_and_saveexec_b64 s[56:57], s[26:27]
	s_cbranch_execz .LBB2202_81
; %bb.80:
	s_add_i32 s58, s6, 64
	s_mov_b32 s59, 0
	s_lshl_b64 s[60:61], s[58:59], 4
	s_add_u32 s60, s36, s60
	s_addc_u32 s61, s37, s61
	v_mov_b32_e32 v44, s58
	v_mov_b32_e32 v46, 1
	s_waitcnt lgkmcnt(1)
	global_store_dword v47, v56, s[60:61]
	s_waitcnt lgkmcnt(0)
	global_store_dwordx2 v47, v[42:43], s[60:61] offset:8
	s_waitcnt vmcnt(0)
	buffer_wbinvl1_vol
	global_store_byte v44, v46, s[40:41]
.LBB2202_81:
	s_or_b64 exec, exec, s[56:57]
	v_xad_u32 v44, v45, -1, s6
	v_add_u32_e32 v46, 64, v44
	global_load_ubyte v57, v46, s[40:41] glc
	s_waitcnt vmcnt(0)
	v_cmp_eq_u16_e32 vcc, 0, v57
	s_and_saveexec_b64 s[56:57], vcc
	s_cbranch_execz .LBB2202_85
; %bb.82:
	v_mov_b32_e32 v49, s41
	v_add_co_u32_e32 v48, vcc, s40, v46
	v_addc_co_u32_e32 v49, vcc, 0, v49, vcc
	s_mov_b64 s[58:59], 0
.LBB2202_83:                            ; =>This Inner Loop Header: Depth=1
	global_load_ubyte v57, v[48:49], off glc
	s_waitcnt vmcnt(0)
	v_cmp_ne_u16_e32 vcc, 0, v57
	s_or_b64 s[58:59], vcc, s[58:59]
	s_andn2_b64 exec, exec, s[58:59]
	s_cbranch_execnz .LBB2202_83
; %bb.84:
	s_or_b64 exec, exec, s[58:59]
.LBB2202_85:
	s_or_b64 exec, exec, s[56:57]
	v_mov_b32_e32 v48, s39
	v_mov_b32_e32 v49, s37
	v_cmp_eq_u16_e32 vcc, 1, v57
	v_cndmask_b32_e32 v48, v48, v49, vcc
	v_mov_b32_e32 v49, s38
	v_mov_b32_e32 v50, s36
	v_cndmask_b32_e32 v49, v49, v50, vcc
	v_lshlrev_b64 v[46:47], 4, v[46:47]
	v_add_co_u32_e32 v46, vcc, v49, v46
	v_addc_co_u32_e32 v47, vcc, v48, v47, vcc
	s_waitcnt lgkmcnt(0)
	buffer_wbinvl1_vol
	global_load_dword v72, v[46:47], off
	global_load_dwordx2 v[50:51], v[46:47], off offset:8
	v_cmp_eq_u16_e32 vcc, 2, v57
	v_lshlrev_b64 v[46:47], v45, -1
	v_and_b32_e32 v58, 63, v45
	v_and_b32_e32 v48, vcc_hi, v47
	v_and_b32_e32 v62, vcc_lo, v46
	v_cmp_ne_u32_e32 vcc, 63, v58
	v_addc_co_u32_e32 v49, vcc, 0, v45, vcc
	v_lshlrev_b32_e32 v59, 2, v49
	v_or_b32_e32 v48, 0x80000000, v48
	v_ffbl_b32_e32 v48, v48
	v_add_u32_e32 v48, 32, v48
	v_ffbl_b32_e32 v62, v62
	v_min_u32_e32 v48, v62, v48
	v_cmp_lt_u32_e32 vcc, v58, v48
	s_waitcnt vmcnt(1)
	ds_bpermute_b32 v60, v59, v72
	s_waitcnt vmcnt(0)
	ds_bpermute_b32 v49, v59, v50
	ds_bpermute_b32 v61, v59, v51
	s_and_saveexec_b64 s[56:57], vcc
	s_cbranch_execz .LBB2202_87
; %bb.86:
	v_cmp_eq_u32_e32 vcc, 0, v72
	s_waitcnt lgkmcnt(1)
	v_cndmask_b32_e32 v49, 0, v49, vcc
	v_add_u32_e32 v60, v60, v72
	s_waitcnt lgkmcnt(0)
	v_cndmask_b32_e32 v61, 0, v61, vcc
	v_add_co_u32_e32 v50, vcc, v49, v50
	v_addc_co_u32_e32 v51, vcc, v61, v51, vcc
	v_mov_b32_e32 v72, v60
.LBB2202_87:
	s_or_b64 exec, exec, s[56:57]
	v_cmp_gt_u32_e32 vcc, 62, v58
	s_waitcnt lgkmcnt(1)
	v_cndmask_b32_e64 v49, 0, 1, vcc
	v_lshlrev_b32_e32 v49, 1, v49
	v_add_lshl_u32 v60, v49, v45, 2
	ds_bpermute_b32 v62, v60, v72
	ds_bpermute_b32 v49, v60, v50
	ds_bpermute_b32 v63, v60, v51
	s_waitcnt lgkmcnt(3)
	v_add_u32_e32 v61, 2, v58
	v_cmp_le_u32_e32 vcc, v61, v48
	s_and_saveexec_b64 s[56:57], vcc
	s_cbranch_execz .LBB2202_89
; %bb.88:
	v_cmp_eq_u32_e32 vcc, 0, v72
	s_waitcnt lgkmcnt(1)
	v_cndmask_b32_e32 v49, 0, v49, vcc
	v_add_u32_e32 v62, v62, v72
	s_waitcnt lgkmcnt(0)
	v_cndmask_b32_e32 v63, 0, v63, vcc
	v_add_co_u32_e32 v50, vcc, v49, v50
	v_addc_co_u32_e32 v51, vcc, v63, v51, vcc
	v_mov_b32_e32 v72, v62
.LBB2202_89:
	s_or_b64 exec, exec, s[56:57]
	v_cmp_gt_u32_e32 vcc, 60, v58
	s_waitcnt lgkmcnt(1)
	v_cndmask_b32_e64 v49, 0, 1, vcc
	v_lshlrev_b32_e32 v49, 2, v49
	v_add_lshl_u32 v62, v49, v45, 2
	ds_bpermute_b32 v64, v62, v72
	ds_bpermute_b32 v49, v62, v50
	ds_bpermute_b32 v65, v62, v51
	s_waitcnt lgkmcnt(3)
	v_add_u32_e32 v63, 4, v58
	v_cmp_le_u32_e32 vcc, v63, v48
	;; [unrolled: 25-line block ×4, first 2 shown]
	s_and_saveexec_b64 s[56:57], vcc
	s_cbranch_execz .LBB2202_95
; %bb.94:
	v_cmp_eq_u32_e32 vcc, 0, v72
	s_waitcnt lgkmcnt(1)
	v_cndmask_b32_e32 v49, 0, v49, vcc
	v_add_u32_e32 v68, v68, v72
	s_waitcnt lgkmcnt(0)
	v_cndmask_b32_e32 v69, 0, v69, vcc
	v_add_co_u32_e32 v50, vcc, v49, v50
	v_addc_co_u32_e32 v51, vcc, v69, v51, vcc
	v_mov_b32_e32 v72, v68
.LBB2202_95:
	s_or_b64 exec, exec, s[56:57]
	v_cmp_gt_u32_e32 vcc, 32, v58
	s_waitcnt lgkmcnt(1)
	v_cndmask_b32_e64 v49, 0, 1, vcc
	v_lshlrev_b32_e32 v49, 5, v49
	v_add_lshl_u32 v68, v49, v45, 2
	ds_bpermute_b32 v49, v68, v72
	ds_bpermute_b32 v45, v68, v50
	s_waitcnt lgkmcnt(2)
	ds_bpermute_b32 v69, v68, v51
	v_add_u32_e32 v70, 32, v58
	v_cmp_le_u32_e32 vcc, v70, v48
	s_and_saveexec_b64 s[56:57], vcc
	s_cbranch_execz .LBB2202_97
; %bb.96:
	v_cmp_eq_u32_e32 vcc, 0, v72
	s_waitcnt lgkmcnt(1)
	v_cndmask_b32_e32 v45, 0, v45, vcc
	v_add_u32_e32 v48, v49, v72
	s_waitcnt lgkmcnt(0)
	v_cndmask_b32_e32 v49, 0, v69, vcc
	v_add_co_u32_e32 v50, vcc, v45, v50
	v_addc_co_u32_e32 v51, vcc, v49, v51, vcc
	v_mov_b32_e32 v72, v48
.LBB2202_97:
	s_or_b64 exec, exec, s[56:57]
	s_waitcnt lgkmcnt(1)
	v_mov_b32_e32 v45, 0
	v_mov_b32_e32 v71, 2
	s_branch .LBB2202_99
.LBB2202_98:                            ;   in Loop: Header=BB2202_99 Depth=1
	s_or_b64 exec, exec, s[56:57]
	v_cmp_eq_u32_e32 vcc, 0, v69
	v_cndmask_b32_e32 v50, 0, v50, vcc
	v_cndmask_b32_e32 v51, 0, v51, vcc
	v_add_co_u32_e32 v50, vcc, v50, v48
	v_subrev_u32_e32 v44, 64, v44
	v_add_u32_e32 v72, v73, v69
	v_addc_co_u32_e32 v51, vcc, v51, v49, vcc
.LBB2202_99:                            ; =>This Loop Header: Depth=1
                                        ;     Child Loop BB2202_102 Depth 2
	v_cmp_ne_u16_sdwa s[56:57], v57, v71 src0_sel:BYTE_0 src1_sel:DWORD
	v_pk_mov_b32 v[48:49], v[50:51], v[50:51] op_sel:[0,1]
	v_cndmask_b32_e64 v50, 0, 1, s[56:57]
	;;#ASMSTART
	;;#ASMEND
	v_cmp_ne_u32_e32 vcc, 0, v50
	s_cmp_lg_u64 vcc, exec
	s_waitcnt lgkmcnt(0)
	v_mov_b32_e32 v69, v72
	s_cbranch_scc1 .LBB2202_116
; %bb.100:                              ;   in Loop: Header=BB2202_99 Depth=1
	global_load_ubyte v57, v44, s[40:41] glc
	s_waitcnt vmcnt(0)
	v_cmp_eq_u16_e32 vcc, 0, v57
	s_and_saveexec_b64 s[56:57], vcc
	s_cbranch_execz .LBB2202_104
; %bb.101:                              ;   in Loop: Header=BB2202_99 Depth=1
	v_mov_b32_e32 v51, s41
	v_add_co_u32_e32 v50, vcc, s40, v44
	v_addc_co_u32_e32 v51, vcc, 0, v51, vcc
	s_mov_b64 s[58:59], 0
.LBB2202_102:                           ;   Parent Loop BB2202_99 Depth=1
                                        ; =>  This Inner Loop Header: Depth=2
	global_load_ubyte v57, v[50:51], off glc
	s_waitcnt vmcnt(0)
	v_cmp_ne_u16_e32 vcc, 0, v57
	s_or_b64 s[58:59], vcc, s[58:59]
	s_andn2_b64 exec, exec, s[58:59]
	s_cbranch_execnz .LBB2202_102
; %bb.103:                              ;   in Loop: Header=BB2202_99 Depth=1
	s_or_b64 exec, exec, s[58:59]
.LBB2202_104:                           ;   in Loop: Header=BB2202_99 Depth=1
	s_or_b64 exec, exec, s[56:57]
	v_mov_b32_e32 v50, s39
	v_mov_b32_e32 v51, s37
	v_cmp_eq_u16_e32 vcc, 1, v57
	v_cndmask_b32_e32 v72, v50, v51, vcc
	v_mov_b32_e32 v50, s38
	v_mov_b32_e32 v51, s36
	v_cndmask_b32_e32 v73, v50, v51, vcc
	v_lshlrev_b64 v[50:51], 4, v[44:45]
	v_add_co_u32_e32 v50, vcc, v73, v50
	v_addc_co_u32_e32 v51, vcc, v72, v51, vcc
	buffer_wbinvl1_vol
	global_load_dword v73, v[50:51], off
	s_nop 0
	global_load_dwordx2 v[50:51], v[50:51], off offset:8
	v_cmp_eq_u16_e32 vcc, 2, v57
	v_and_b32_e32 v72, vcc_hi, v47
	v_or_b32_e32 v72, 0x80000000, v72
	v_and_b32_e32 v93, vcc_lo, v46
	v_ffbl_b32_e32 v72, v72
	v_add_u32_e32 v72, 32, v72
	v_ffbl_b32_e32 v93, v93
	v_min_u32_e32 v72, v93, v72
	v_cmp_lt_u32_e32 vcc, v58, v72
	s_waitcnt vmcnt(1)
	ds_bpermute_b32 v75, v59, v73
	s_waitcnt vmcnt(0)
	ds_bpermute_b32 v74, v59, v50
	ds_bpermute_b32 v90, v59, v51
	s_and_saveexec_b64 s[56:57], vcc
	s_cbranch_execz .LBB2202_106
; %bb.105:                              ;   in Loop: Header=BB2202_99 Depth=1
	v_cmp_eq_u32_e32 vcc, 0, v73
	s_waitcnt lgkmcnt(1)
	v_cndmask_b32_e32 v74, 0, v74, vcc
	v_add_u32_e32 v75, v75, v73
	s_waitcnt lgkmcnt(0)
	v_cndmask_b32_e32 v73, 0, v90, vcc
	v_add_co_u32_e32 v50, vcc, v74, v50
	v_addc_co_u32_e32 v51, vcc, v73, v51, vcc
	v_mov_b32_e32 v73, v75
.LBB2202_106:                           ;   in Loop: Header=BB2202_99 Depth=1
	s_or_b64 exec, exec, s[56:57]
	s_waitcnt lgkmcnt(2)
	ds_bpermute_b32 v75, v60, v73
	s_waitcnt lgkmcnt(2)
	ds_bpermute_b32 v74, v60, v50
	s_waitcnt lgkmcnt(2)
	ds_bpermute_b32 v90, v60, v51
	v_cmp_le_u32_e32 vcc, v61, v72
	s_and_saveexec_b64 s[56:57], vcc
	s_cbranch_execz .LBB2202_108
; %bb.107:                              ;   in Loop: Header=BB2202_99 Depth=1
	v_cmp_eq_u32_e32 vcc, 0, v73
	s_waitcnt lgkmcnt(1)
	v_cndmask_b32_e32 v74, 0, v74, vcc
	v_add_u32_e32 v75, v75, v73
	s_waitcnt lgkmcnt(0)
	v_cndmask_b32_e32 v73, 0, v90, vcc
	v_add_co_u32_e32 v50, vcc, v74, v50
	v_addc_co_u32_e32 v51, vcc, v73, v51, vcc
	v_mov_b32_e32 v73, v75
.LBB2202_108:                           ;   in Loop: Header=BB2202_99 Depth=1
	s_or_b64 exec, exec, s[56:57]
	s_waitcnt lgkmcnt(2)
	ds_bpermute_b32 v75, v62, v73
	s_waitcnt lgkmcnt(2)
	ds_bpermute_b32 v74, v62, v50
	s_waitcnt lgkmcnt(2)
	ds_bpermute_b32 v90, v62, v51
	v_cmp_le_u32_e32 vcc, v63, v72
	;; [unrolled: 21-line block ×5, first 2 shown]
	s_and_saveexec_b64 s[56:57], vcc
	s_cbranch_execz .LBB2202_98
; %bb.115:                              ;   in Loop: Header=BB2202_99 Depth=1
	v_cmp_eq_u32_e32 vcc, 0, v73
	s_waitcnt lgkmcnt(1)
	v_cndmask_b32_e32 v74, 0, v74, vcc
	v_add_u32_e32 v72, v75, v73
	s_waitcnt lgkmcnt(0)
	v_cndmask_b32_e32 v73, 0, v90, vcc
	v_add_co_u32_e32 v50, vcc, v74, v50
	v_addc_co_u32_e32 v51, vcc, v73, v51, vcc
	v_mov_b32_e32 v73, v72
	s_branch .LBB2202_98
.LBB2202_116:                           ;   in Loop: Header=BB2202_99 Depth=1
                                        ; implicit-def: $vgpr50_vgpr51
                                        ; implicit-def: $vgpr72
                                        ; implicit-def: $vgpr57
	s_cbranch_execz .LBB2202_99
; %bb.117:
	s_and_saveexec_b64 s[36:37], s[26:27]
	s_cbranch_execz .LBB2202_119
; %bb.118:
	s_mov_b32 s7, 0
	v_cmp_eq_u32_e32 vcc, 0, v56
	s_add_i32 s6, s6, 64
	v_cndmask_b32_e32 v44, 0, v48, vcc
	s_lshl_b64 s[56:57], s[6:7], 4
	v_cndmask_b32_e32 v45, 0, v49, vcc
	v_add_co_u32_e32 v44, vcc, v44, v42
	s_add_u32 s56, s38, s56
	v_add_u32_e32 v46, v69, v56
	v_addc_co_u32_e32 v45, vcc, v45, v43, vcc
	s_addc_u32 s57, s39, s57
	v_mov_b32_e32 v47, 0
	global_store_dword v47, v46, s[56:57]
	global_store_dwordx2 v47, v[44:45], s[56:57] offset:8
	v_mov_b32_e32 v44, s6
	v_mov_b32_e32 v45, 2
	s_waitcnt vmcnt(0) lgkmcnt(0)
	buffer_wbinvl1_vol
	global_store_byte v44, v45, s[40:41]
	ds_write_b32 v47, v56 offset:1024
	ds_write_b64 v47, v[42:43] offset:1032
	ds_write_b32 v47, v69 offset:1040
	ds_write_b64 v47, v[48:49] offset:1048
.LBB2202_119:
	s_or_b64 exec, exec, s[36:37]
	v_cmp_eq_u32_e32 vcc, 0, v0
	s_and_b64 exec, exec, vcc
	s_cbranch_execz .LBB2202_121
; %bb.120:
	v_mov_b32_e32 v42, 0
	ds_write_b32 v42, v69 offset:1104
	ds_write_b64 v42, v[48:49] offset:1112
.LBB2202_121:
	s_or_b64 exec, exec, s[48:49]
	v_mov_b32_e32 v45, 0
	s_waitcnt lgkmcnt(0)
	s_barrier
	ds_read_b32 v44, v45 offset:1104
	ds_read_b64 v[42:43], v45 offset:1112
	v_cndmask_b32_e64 v46, v53, v52, s[26:27]
	v_cmp_eq_u32_e32 vcc, 0, v46
	v_cndmask_b32_e64 v40, v54, v40, s[26:27]
	v_cndmask_b32_e64 v41, v55, v41, s[26:27]
	s_waitcnt lgkmcnt(0)
	v_cndmask_b32_e32 v48, 0, v42, vcc
	v_cndmask_b32_e32 v47, 0, v43, vcc
	v_add_co_u32_e32 v40, vcc, v48, v40
	v_addc_co_u32_e32 v41, vcc, v47, v41, vcc
	v_cmp_eq_u32_e32 vcc, 0, v0
	v_cndmask_b32_e64 v46, v46, 0, vcc
	v_cndmask_b32_e32 v71, v41, v43, vcc
	v_cndmask_b32_e32 v70, v40, v42, vcc
	v_cmp_eq_u32_e32 vcc, 0, v89
	v_cndmask_b32_e32 v41, 0, v70, vcc
	v_add_u32_e32 v90, v44, v46
	v_cndmask_b32_e32 v40, 0, v71, vcc
	v_add_co_u32_e32 v46, vcc, v41, v18
	v_addc_co_u32_e32 v47, vcc, v40, v19, vcc
	v_cndmask_b32_e64 v41, 0, v46, s[24:25]
	v_cndmask_b32_e64 v40, 0, v47, s[24:25]
	v_add_co_u32_e32 v48, vcc, v41, v38
	v_addc_co_u32_e32 v49, vcc, v40, v39, vcc
	v_cndmask_b32_e64 v41, 0, v48, s[22:23]
	v_cndmask_b32_e64 v40, 0, v49, s[22:23]
	;; [unrolled: 4-line block ×11, first 2 shown]
	v_add_co_u32_e32 v68, vcc, v41, v28
	v_addc_co_u32_e32 v69, vcc, v40, v29, vcc
	s_barrier
	ds_read_b32 v40, v45 offset:1024
	ds_read_b64 v[42:43], v45 offset:1032
	ds_read_b32 v44, v45 offset:1040
	ds_read_b64 v[94:95], v45 offset:1048
	v_cndmask_b32_e64 v72, 0, v68, s[2:3]
	v_cndmask_b32_e64 v41, 0, v69, s[2:3]
	v_add_co_u32_e32 v72, vcc, v72, v6
	v_addc_co_u32_e32 v73, vcc, v41, v7, vcc
	s_waitcnt lgkmcnt(3)
	v_cmp_eq_u32_e32 vcc, 0, v40
	s_waitcnt lgkmcnt(0)
	v_cndmask_b32_e32 v45, 0, v94, vcc
	v_cndmask_b32_e32 v41, 0, v95, vcc
	v_add_co_u32_e32 v42, vcc, v45, v42
	v_cndmask_b32_e64 v75, 0, v73, s[0:1]
	v_cndmask_b32_e64 v74, 0, v72, s[0:1]
	v_addc_co_u32_e32 v43, vcc, v41, v43, vcc
	s_branch .LBB2202_150
.LBB2202_122:
                                        ; implicit-def: $vgpr40
                                        ; implicit-def: $vgpr42_vgpr43
                                        ; implicit-def: $vgpr44
                                        ; implicit-def: $vgpr70_vgpr71
                                        ; implicit-def: $vgpr46_vgpr47
                                        ; implicit-def: $vgpr48_vgpr49
                                        ; implicit-def: $vgpr50_vgpr51
                                        ; implicit-def: $vgpr52_vgpr53
                                        ; implicit-def: $vgpr54_vgpr55
                                        ; implicit-def: $vgpr56_vgpr57
                                        ; implicit-def: $vgpr58_vgpr59
                                        ; implicit-def: $vgpr60_vgpr61
                                        ; implicit-def: $vgpr62_vgpr63
                                        ; implicit-def: $vgpr64_vgpr65
                                        ; implicit-def: $vgpr66_vgpr67
                                        ; implicit-def: $vgpr68_vgpr69
                                        ; implicit-def: $vgpr72_vgpr73
                                        ; implicit-def: $vgpr74_vgpr75
                                        ; implicit-def: $vgpr90
	s_cbranch_execz .LBB2202_150
; %bb.123:
	s_and_b64 s[0:1], s[42:43], exec
	s_cselect_b32 s1, 0, s31
	s_cselect_b32 s0, 0, s30
	s_cmp_eq_u64 s[0:1], 0
	v_pk_mov_b32 v[44:45], v[18:19], v[18:19] op_sel:[0,1]
	s_cbranch_scc1 .LBB2202_125
; %bb.124:
	v_mov_b32_e32 v40, 0
	global_load_dwordx2 v[44:45], v40, s[0:1]
.LBB2202_125:
	v_cmp_eq_u32_e64 s[22:23], 0, v88
	v_cndmask_b32_e64 v41, 0, v18, s[22:23]
	v_cndmask_b32_e64 v40, 0, v19, s[22:23]
	v_add_co_u32_e32 v41, vcc, v41, v38
	v_cmp_eq_u32_e64 s[20:21], 0, v87
	v_addc_co_u32_e32 v40, vcc, v40, v39, vcc
	v_cndmask_b32_e64 v41, 0, v41, s[20:21]
	v_cndmask_b32_e64 v40, 0, v40, s[20:21]
	v_add_co_u32_e32 v41, vcc, v41, v20
	v_cmp_eq_u32_e64 s[18:19], 0, v86
	v_addc_co_u32_e32 v40, vcc, v40, v21, vcc
	;; [unrolled: 5-line block ×11, first 2 shown]
	v_cndmask_b32_e64 v41, 0, v41, s[2:3]
	v_cndmask_b32_e64 v40, 0, v40, s[2:3]
	v_add_co_u32_e32 v41, vcc, v41, v6
	v_addc_co_u32_e32 v40, vcc, v40, v7, vcc
	v_cmp_eq_u32_e32 vcc, 0, v76
	v_cndmask_b32_e32 v41, 0, v41, vcc
	v_add3_u32 v42, v92, v84, v83
	v_cndmask_b32_e32 v40, 0, v40, vcc
	v_add_co_u32_e64 v41, s[24:25], v41, v26
	v_add3_u32 v42, v42, v82, v81
	v_addc_co_u32_e64 v40, s[24:25], v40, v27, s[24:25]
	v_add3_u32 v42, v42, v80, v79
	v_cmp_eq_u32_e64 s[24:25], 0, v25
	v_add3_u32 v42, v42, v78, v77
	v_cndmask_b32_e64 v41, 0, v41, s[24:25]
	v_add3_u32 v43, v42, v76, v25
	v_cndmask_b32_e64 v40, 0, v40, s[24:25]
	v_add_co_u32_e64 v8, s[24:25], v41, v8
	v_mbcnt_hi_u32_b32 v42, -1, v91
	v_addc_co_u32_e64 v9, s[24:25], v40, v9, s[24:25]
	v_and_b32_e32 v40, 15, v42
	v_mov_b32_dpp v46, v43 row_shr:1 row_mask:0xf bank_mask:0xf
	v_mov_b32_dpp v41, v8 row_shr:1 row_mask:0xf bank_mask:0xf
	;; [unrolled: 1-line block ×3, first 2 shown]
	v_cmp_ne_u32_e64 s[24:25], 0, v40
	s_and_saveexec_b64 s[26:27], s[24:25]
; %bb.126:
	v_cmp_eq_u32_e64 s[24:25], 0, v43
	v_cndmask_b32_e64 v41, 0, v41, s[24:25]
	v_add_u32_e32 v46, v46, v43
	v_cndmask_b32_e64 v43, 0, v47, s[24:25]
	v_add_co_u32_e64 v8, s[24:25], v41, v8
	v_addc_co_u32_e64 v9, s[24:25], v43, v9, s[24:25]
	v_mov_b32_e32 v43, v46
; %bb.127:
	s_or_b64 exec, exec, s[26:27]
	s_nop 0
	v_mov_b32_dpp v46, v43 row_shr:2 row_mask:0xf bank_mask:0xf
	v_mov_b32_dpp v41, v8 row_shr:2 row_mask:0xf bank_mask:0xf
	v_mov_b32_dpp v47, v9 row_shr:2 row_mask:0xf bank_mask:0xf
	v_cmp_lt_u32_e64 s[24:25], 1, v40
	s_and_saveexec_b64 s[26:27], s[24:25]
; %bb.128:
	v_cmp_eq_u32_e64 s[24:25], 0, v43
	v_cndmask_b32_e64 v41, 0, v41, s[24:25]
	v_add_u32_e32 v46, v46, v43
	v_cndmask_b32_e64 v43, 0, v47, s[24:25]
	v_add_co_u32_e64 v8, s[24:25], v41, v8
	v_addc_co_u32_e64 v9, s[24:25], v43, v9, s[24:25]
	v_mov_b32_e32 v43, v46
; %bb.129:
	s_or_b64 exec, exec, s[26:27]
	s_nop 0
	v_mov_b32_dpp v46, v43 row_shr:4 row_mask:0xf bank_mask:0xf
	v_mov_b32_dpp v41, v8 row_shr:4 row_mask:0xf bank_mask:0xf
	v_mov_b32_dpp v47, v9 row_shr:4 row_mask:0xf bank_mask:0xf
	v_cmp_lt_u32_e64 s[24:25], 3, v40
	;; [unrolled: 16-line block ×3, first 2 shown]
	s_and_saveexec_b64 s[26:27], s[24:25]
; %bb.132:
	v_cmp_eq_u32_e64 s[24:25], 0, v43
	v_cndmask_b32_e64 v41, 0, v41, s[24:25]
	v_add_u32_e32 v40, v46, v43
	v_cndmask_b32_e64 v43, 0, v47, s[24:25]
	v_add_co_u32_e64 v8, s[24:25], v41, v8
	v_addc_co_u32_e64 v9, s[24:25], v43, v9, s[24:25]
	v_mov_b32_e32 v43, v40
; %bb.133:
	s_or_b64 exec, exec, s[26:27]
	v_and_b32_e32 v47, 16, v42
	v_mov_b32_dpp v41, v43 row_bcast:15 row_mask:0xf bank_mask:0xf
	v_mov_b32_dpp v40, v8 row_bcast:15 row_mask:0xf bank_mask:0xf
	v_mov_b32_dpp v46, v9 row_bcast:15 row_mask:0xf bank_mask:0xf
	v_cmp_ne_u32_e64 s[24:25], 0, v47
	s_and_saveexec_b64 s[26:27], s[24:25]
; %bb.134:
	v_cmp_eq_u32_e64 s[24:25], 0, v43
	v_cndmask_b32_e64 v40, 0, v40, s[24:25]
	v_add_u32_e32 v41, v41, v43
	v_cndmask_b32_e64 v43, 0, v46, s[24:25]
	v_add_co_u32_e64 v8, s[24:25], v40, v8
	v_addc_co_u32_e64 v9, s[24:25], v43, v9, s[24:25]
	v_mov_b32_e32 v43, v41
; %bb.135:
	s_or_b64 exec, exec, s[26:27]
	s_nop 0
	v_mov_b32_dpp v41, v43 row_bcast:31 row_mask:0xf bank_mask:0xf
	v_mov_b32_dpp v40, v8 row_bcast:31 row_mask:0xf bank_mask:0xf
	;; [unrolled: 1-line block ×3, first 2 shown]
	v_cmp_lt_u32_e64 s[24:25], 31, v42
	s_and_saveexec_b64 s[26:27], s[24:25]
; %bb.136:
	v_cmp_eq_u32_e64 s[24:25], 0, v43
	v_cndmask_b32_e64 v40, 0, v40, s[24:25]
	v_add_u32_e32 v41, v41, v43
	v_cndmask_b32_e64 v43, 0, v46, s[24:25]
	v_add_co_u32_e64 v8, s[24:25], v40, v8
	v_addc_co_u32_e64 v9, s[24:25], v43, v9, s[24:25]
	v_mov_b32_e32 v43, v41
; %bb.137:
	s_or_b64 exec, exec, s[26:27]
	v_lshrrev_b32_e32 v40, 6, v0
	v_or_b32_e32 v41, 63, v0
	v_cmp_eq_u32_e64 s[24:25], v41, v0
	v_lshlrev_b32_e32 v46, 4, v40
	s_and_saveexec_b64 s[26:27], s[24:25]
	s_cbranch_execz .LBB2202_139
; %bb.138:
	ds_write_b32 v46, v43 offset:1056
	ds_write_b64 v46, v[8:9] offset:1064
.LBB2202_139:
	s_or_b64 exec, exec, s[26:27]
	v_cmp_gt_u32_e64 s[24:25], 4, v0
	s_waitcnt lgkmcnt(0)
	s_barrier
	s_and_saveexec_b64 s[26:27], s[24:25]
	s_cbranch_execz .LBB2202_145
; %bb.140:
	v_lshlrev_b32_e32 v47, 4, v0
	ds_read_b32 v48, v47 offset:1056
	ds_read_b64 v[40:41], v47 offset:1064
	v_and_b32_e32 v49, 3, v42
	v_cmp_ne_u32_e64 s[24:25], 0, v49
	s_waitcnt lgkmcnt(1)
	v_mov_b32_dpp v51, v48 row_shr:1 row_mask:0xf bank_mask:0xf
	s_waitcnt lgkmcnt(0)
	v_mov_b32_dpp v50, v40 row_shr:1 row_mask:0xf bank_mask:0xf
	v_mov_b32_dpp v52, v41 row_shr:1 row_mask:0xf bank_mask:0xf
	s_and_saveexec_b64 s[28:29], s[24:25]
; %bb.141:
	v_cmp_eq_u32_e64 s[24:25], 0, v48
	v_cndmask_b32_e64 v50, 0, v50, s[24:25]
	v_add_u32_e32 v51, v51, v48
	v_cndmask_b32_e64 v48, 0, v52, s[24:25]
	v_add_co_u32_e64 v40, s[24:25], v50, v40
	v_addc_co_u32_e64 v41, s[24:25], v48, v41, s[24:25]
	v_mov_b32_e32 v48, v51
; %bb.142:
	s_or_b64 exec, exec, s[28:29]
	s_nop 0
	v_mov_b32_dpp v51, v48 row_shr:2 row_mask:0xf bank_mask:0xf
	v_mov_b32_dpp v50, v40 row_shr:2 row_mask:0xf bank_mask:0xf
	v_mov_b32_dpp v52, v41 row_shr:2 row_mask:0xf bank_mask:0xf
	v_cmp_lt_u32_e64 s[24:25], 1, v49
	s_and_saveexec_b64 s[28:29], s[24:25]
; %bb.143:
	v_cmp_eq_u32_e64 s[24:25], 0, v48
	v_cndmask_b32_e64 v50, 0, v50, s[24:25]
	v_add_u32_e32 v49, v51, v48
	v_cndmask_b32_e64 v48, 0, v52, s[24:25]
	v_add_co_u32_e64 v40, s[24:25], v50, v40
	v_addc_co_u32_e64 v41, s[24:25], v48, v41, s[24:25]
	v_mov_b32_e32 v48, v49
; %bb.144:
	s_or_b64 exec, exec, s[28:29]
	ds_write_b32 v47, v48 offset:1056
	ds_write_b64 v47, v[40:41] offset:1064
.LBB2202_145:
	s_or_b64 exec, exec, s[26:27]
	v_cmp_lt_u32_e64 s[24:25], 63, v0
	v_mov_b32_e32 v91, 0
	v_mov_b32_e32 v47, 0
	s_waitcnt vmcnt(0)
	v_pk_mov_b32 v[40:41], v[44:45], v[44:45] op_sel:[0,1]
	s_waitcnt lgkmcnt(0)
	s_barrier
	s_and_saveexec_b64 s[26:27], s[24:25]
	s_cbranch_execz .LBB2202_147
; %bb.146:
	ds_read_b32 v47, v46 offset:1040
	ds_read_b64 v[40:41], v46 offset:1048
	s_waitcnt lgkmcnt(1)
	v_cmp_eq_u32_e64 s[24:25], 0, v47
	v_cndmask_b32_e64 v48, 0, v44, s[24:25]
	v_cndmask_b32_e64 v46, 0, v45, s[24:25]
	s_waitcnt lgkmcnt(0)
	v_add_co_u32_e64 v40, s[24:25], v48, v40
	v_addc_co_u32_e64 v41, s[24:25], v46, v41, s[24:25]
.LBB2202_147:
	s_or_b64 exec, exec, s[26:27]
	v_cmp_eq_u32_e64 s[24:25], 0, v43
	v_cndmask_b32_e64 v48, 0, v40, s[24:25]
	v_add_u32_e32 v46, v47, v43
	v_cndmask_b32_e64 v43, 0, v41, s[24:25]
	v_add_co_u32_e64 v8, s[24:25], v48, v8
	v_addc_co_u32_e64 v9, s[24:25], v43, v9, s[24:25]
	v_add_u32_e32 v43, -1, v42
	v_and_b32_e32 v48, 64, v42
	v_cmp_lt_i32_e64 s[24:25], v43, v48
	v_cndmask_b32_e64 v43, v43, v42, s[24:25]
	v_lshlrev_b32_e32 v43, 2, v43
	ds_bpermute_b32 v46, v43, v46
	ds_bpermute_b32 v9, v43, v9
	ds_bpermute_b32 v8, v43, v8
	v_cmp_eq_u32_e64 s[24:25], 0, v42
	v_cmp_eq_u32_e64 s[26:27], 0, v89
	s_waitcnt lgkmcnt(2)
	v_cndmask_b32_e64 v90, v46, v47, s[24:25]
	s_waitcnt lgkmcnt(1)
	v_cndmask_b32_e64 v71, v9, v41, s[24:25]
	;; [unrolled: 2-line block ×3, first 2 shown]
	v_cmp_eq_u32_e64 s[24:25], 0, v0
	v_cndmask_b32_e64 v8, v70, v44, s[24:25]
	v_cndmask_b32_e64 v9, v71, v45, s[24:25]
	v_cndmask_b32_e64 v8, 0, v8, s[26:27]
	v_cndmask_b32_e64 v9, 0, v9, s[26:27]
	v_add_co_u32_e64 v46, s[26:27], v8, v18
	v_addc_co_u32_e64 v47, s[26:27], v9, v19, s[26:27]
	v_cndmask_b32_e64 v9, 0, v46, s[22:23]
	v_cndmask_b32_e64 v8, 0, v47, s[22:23]
	v_add_co_u32_e64 v48, s[22:23], v9, v38
	v_addc_co_u32_e64 v49, s[22:23], v8, v39, s[22:23]
	v_cndmask_b32_e64 v9, 0, v48, s[20:21]
	v_cndmask_b32_e64 v8, 0, v49, s[20:21]
	;; [unrolled: 4-line block ×11, first 2 shown]
	v_add_co_u32_e64 v68, s[0:1], v9, v28
	v_addc_co_u32_e64 v69, s[0:1], v8, v29, s[0:1]
	v_cndmask_b32_e64 v9, 0, v68, s[2:3]
	ds_read_b32 v40, v91 offset:1104
	v_cndmask_b32_e64 v8, 0, v69, s[2:3]
	v_add_co_u32_e64 v72, s[0:1], v9, v6
	v_addc_co_u32_e64 v73, s[0:1], v8, v7, s[0:1]
	ds_read_b64 v[6:7], v91 offset:1112
	v_cndmask_b32_e32 v75, 0, v73, vcc
	v_cndmask_b32_e32 v74, 0, v72, vcc
	s_waitcnt lgkmcnt(1)
	v_cmp_eq_u32_e32 vcc, 0, v40
	v_cndmask_b32_e32 v9, 0, v44, vcc
	v_cndmask_b32_e32 v8, 0, v45, vcc
	s_waitcnt lgkmcnt(0)
	v_add_co_u32_e32 v42, vcc, v9, v6
	v_addc_co_u32_e32 v43, vcc, v8, v7, vcc
	s_and_saveexec_b64 s[0:1], s[24:25]
	s_cbranch_execz .LBB2202_149
; %bb.148:
	v_mov_b32_e32 v90, 0
	v_mov_b32_e32 v6, 2
	v_pk_mov_b32 v[70:71], v[44:45], v[44:45] op_sel:[0,1]
	global_store_dword v90, v40, s[38:39] offset:1024
	global_store_dwordx2 v90, v[42:43], s[38:39] offset:1032
	s_waitcnt vmcnt(0)
	buffer_wbinvl1_vol
	global_store_byte v90, v6, s[40:41] offset:64
.LBB2202_149:
	s_or_b64 exec, exec, s[0:1]
	v_mov_b32_e32 v44, 0
.LBB2202_150:
	s_and_b64 s[0:1], s[42:43], exec
	s_cselect_b32 s1, 0, s51
	s_cselect_b32 s0, 0, s50
	s_cmp_eq_u64 s[0:1], 0
	v_pk_mov_b32 v[8:9], 0, 0
	s_barrier
	s_cbranch_scc1 .LBB2202_152
; %bb.151:
	v_mov_b32_e32 v6, 0
	global_load_dwordx2 v[8:9], v6, s[0:1]
.LBB2202_152:
	s_waitcnt vmcnt(0)
	v_lshlrev_b64 v[6:7], 1, v[8:9]
	v_mov_b32_e32 v10, s53
	v_add_co_u32_e32 v11, vcc, s52, v6
	v_mov_b32_e32 v45, 0
	v_addc_co_u32_e32 v10, vcc, v10, v7, vcc
	v_lshlrev_b64 v[6:7], 1, v[44:45]
	v_add_co_u32_e32 v32, vcc, v11, v6
	v_addc_co_u32_e32 v33, vcc, v10, v7, vcc
	v_cmp_eq_u32_e32 vcc, 0, v89
	v_cndmask_b32_e64 v6, 1, 2, vcc
	v_cmp_eq_u32_e32 vcc, 0, v88
	v_cndmask_b32_e64 v7, 1, 2, vcc
	v_cmp_eq_u32_e32 vcc, 0, v87
	v_and_b32_e32 v6, v7, v6
	v_cndmask_b32_e64 v7, 1, 2, vcc
	v_cmp_eq_u32_e32 vcc, 0, v86
	v_add_u32_e32 v31, v90, v89
	v_and_b32_e32 v6, v6, v7
	v_cndmask_b32_e64 v7, 1, 2, vcc
	v_cmp_eq_u32_e32 vcc, 0, v85
	v_add_u32_e32 v30, v31, v88
	;; [unrolled: 4-line block ×12, first 2 shown]
	v_and_b32_e32 v6, v6, v7
	v_cndmask_b32_e64 v7, 1, 2, vcc
	s_movk_i32 s30, 0x100
	v_add_u32_e32 v13, v14, v77
	v_and_b32_e32 v6, v6, v7
	v_cmp_gt_u32_e32 vcc, s30, v40
	v_add_u32_e32 v12, v13, v76
	v_cmp_ne_u32_e64 s[28:29], 0, v89
	v_cmp_ne_u32_e64 s[26:27], 0, v88
	;; [unrolled: 1-line block ×15, first 2 shown]
	s_mov_b64 s[36:37], -1
	v_cmp_gt_i16_e64 s[30:31], 2, v6
	s_cbranch_vccz .LBB2202_159
; %bb.153:
	s_and_saveexec_b64 s[36:37], s[30:31]
	s_cbranch_execz .LBB2202_158
; %bb.154:
	v_cmp_ne_u16_e32 vcc, 1, v6
	s_mov_b64 s[38:39], 0
	s_and_saveexec_b64 s[30:31], vcc
	s_xor_b64 s[30:31], exec, s[30:31]
	s_cbranch_execnz .LBB2202_203
; %bb.155:
	s_andn2_saveexec_b64 s[30:31], s[30:31]
	s_cbranch_execnz .LBB2202_219
.LBB2202_156:
	s_or_b64 exec, exec, s[30:31]
	s_and_b64 exec, exec, s[38:39]
	s_cbranch_execz .LBB2202_158
.LBB2202_157:
	v_sub_u32_e32 v10, v12, v44
	v_mov_b32_e32 v11, 0
	v_lshlrev_b64 v[10:11], 1, v[10:11]
	v_add_co_u32_e32 v10, vcc, v32, v10
	v_addc_co_u32_e32 v11, vcc, v33, v11, vcc
	global_store_short_d16_hi v[10:11], v24, off
.LBB2202_158:
	s_or_b64 exec, exec, s[36:37]
	s_mov_b64 s[36:37], 0
.LBB2202_159:
	s_and_b64 vcc, exec, s[36:37]
	s_cbranch_vccz .LBB2202_181
; %bb.160:
	v_cmp_gt_i16_e32 vcc, 2, v6
	s_and_saveexec_b64 s[30:31], vcc
	s_cbranch_execz .LBB2202_165
; %bb.161:
	v_cmp_ne_u16_e32 vcc, 1, v6
	s_mov_b64 s[38:39], 0
	s_and_saveexec_b64 s[36:37], vcc
	s_xor_b64 s[36:37], exec, s[36:37]
	s_cbranch_execnz .LBB2202_220
; %bb.162:
	s_andn2_saveexec_b64 s[0:1], s[36:37]
	s_cbranch_execnz .LBB2202_236
.LBB2202_163:
	s_or_b64 exec, exec, s[0:1]
	s_and_b64 exec, exec, s[38:39]
	s_cbranch_execz .LBB2202_165
.LBB2202_164:
	v_sub_u32_e32 v1, v12, v44
	v_lshlrev_b32_e32 v1, 1, v1
	ds_write_b16_d16_hi v1, v24
.LBB2202_165:
	s_or_b64 exec, exec, s[30:31]
	v_cmp_lt_u32_e32 vcc, v0, v40
	s_waitcnt lgkmcnt(0)
	s_barrier
	s_and_saveexec_b64 s[2:3], vcc
	s_cbranch_execz .LBB2202_180
; %bb.166:
	v_xad_u32 v1, v0, -1, v40
	s_movk_i32 s0, 0x1700
	v_cmp_gt_u32_e64 s[4:5], s0, v1
	s_movk_i32 s0, 0x16ff
	v_cmp_lt_u32_e32 vcc, s0, v1
	v_mov_b32_e32 v2, v0
	s_and_saveexec_b64 s[6:7], vcc
	s_cbranch_execz .LBB2202_177
; %bb.167:
	v_sub_u32_e32 v2, v0, v40
	v_or_b32_e32 v2, 0xff, v2
	v_cmp_ge_u32_e32 vcc, v2, v0
	s_mov_b64 s[0:1], -1
	v_mov_b32_e32 v2, v0
	s_and_saveexec_b64 s[8:9], vcc
	s_cbranch_execz .LBB2202_176
; %bb.168:
	v_lshrrev_b32_e32 v22, 8, v1
	v_add_u32_e32 v4, -3, v22
	v_or_b32_e32 v3, 0x300, v0
	v_or_b32_e32 v2, 0x200, v0
	v_lshrrev_b32_e32 v5, 2, v4
	v_or_b32_e32 v1, 0x100, v0
	v_add_u32_e32 v24, 1, v5
	v_cmp_lt_u32_e32 vcc, 11, v4
	v_pk_mov_b32 v[6:7], v[2:3], v[2:3] op_sel:[0,1]
	v_mov_b32_e32 v36, 0
	v_lshlrev_b32_e32 v23, 1, v0
	v_pk_mov_b32 v[4:5], v[0:1], v[0:1] op_sel:[0,1]
	s_and_saveexec_b64 s[10:11], vcc
	s_cbranch_execz .LBB2202_172
; %bb.169:
	v_pk_mov_b32 v[6:7], v[2:3], v[2:3] op_sel:[0,1]
	v_and_b32_e32 v34, 0x7ffffffc, v24
	s_mov_b32 s14, 0
	s_mov_b64 s[12:13], 0
	v_mov_b32_e32 v11, 0
	v_mov_b32_e32 v35, v23
	v_pk_mov_b32 v[4:5], v[0:1], v[0:1] op_sel:[0,1]
.LBB2202_170:                           ; =>This Inner Loop Header: Depth=1
	v_mov_b32_e32 v10, v4
	v_lshlrev_b64 v[104:105], 1, v[10:11]
	v_add_u32_e32 v38, 0x400, v5
	v_mov_b32_e32 v39, v11
	v_add_co_u32_e64 v104, s[0:1], v32, v104
	v_lshlrev_b64 v[38:39], 1, v[38:39]
	v_addc_co_u32_e64 v105, s[0:1], v33, v105, s[0:1]
	v_add_u32_e32 v36, 0x400, v6
	v_mov_b32_e32 v37, v11
	v_add_co_u32_e64 v38, s[0:1], v32, v38
	v_lshlrev_b64 v[106:107], 1, v[36:37]
	v_addc_co_u32_e64 v39, s[0:1], v33, v39, s[0:1]
	v_add_u32_e32 v2, 0x400, v7
	v_mov_b32_e32 v3, v11
	v_add_co_u32_e64 v106, s[0:1], v32, v106
	v_add_u32_e32 v34, -4, v34
	v_mov_b32_e32 v10, v5
	v_lshlrev_b64 v[2:3], 1, v[2:3]
	v_addc_co_u32_e64 v107, s[0:1], v33, v107, s[0:1]
	v_add_u32_e32 v96, 0x800, v5
	v_mov_b32_e32 v97, v11
	s_add_i32 s14, s14, 16
	v_cmp_eq_u32_e32 vcc, 0, v34
	v_lshlrev_b64 v[108:109], 1, v[10:11]
	v_add_co_u32_e64 v2, s[0:1], v32, v2
	v_lshlrev_b64 v[96:97], 1, v[96:97]
	v_mov_b32_e32 v10, v6
	v_addc_co_u32_e64 v3, s[0:1], v33, v3, s[0:1]
	s_or_b64 s[12:13], vcc, s[12:13]
	v_add_co_u32_e32 v108, vcc, v32, v108
	v_add_u32_e32 v94, 0x800, v6
	v_mov_b32_e32 v95, v11
	v_add_co_u32_e64 v96, s[0:1], v32, v96
	v_addc_co_u32_e32 v109, vcc, v33, v109, vcc
	v_lshlrev_b64 v[110:111], 1, v[10:11]
	v_lshlrev_b64 v[94:95], 1, v[94:95]
	v_addc_co_u32_e64 v97, s[0:1], v33, v97, s[0:1]
	v_mov_b32_e32 v10, v7
	v_add_co_u32_e32 v110, vcc, v32, v110
	ds_read_u16 v1, v35
	ds_read_u16 v41, v35 offset:512
	ds_read_u16 v91, v35 offset:1024
	;; [unrolled: 1-line block ×7, first 2 shown]
	v_add_u32_e32 v92, 0x800, v7
	v_mov_b32_e32 v93, v11
	v_add_co_u32_e64 v94, s[0:1], v32, v94
	v_addc_co_u32_e32 v111, vcc, v33, v111, vcc
	v_lshlrev_b64 v[112:113], 1, v[10:11]
	v_lshlrev_b64 v[92:93], 1, v[92:93]
	v_addc_co_u32_e64 v95, s[0:1], v33, v95, s[0:1]
	v_add_u32_e32 v10, 0x400, v4
	v_add_co_u32_e32 v112, vcc, v32, v112
	v_add_u32_e32 v102, 0xc00, v5
	v_mov_b32_e32 v103, v11
	ds_read_u16 v119, v35 offset:4096
	ds_read_u16 v120, v35 offset:4608
	;; [unrolled: 1-line block ×8, first 2 shown]
	v_add_co_u32_e64 v92, s[0:1], v32, v92
	v_addc_co_u32_e32 v113, vcc, v33, v113, vcc
	s_waitcnt lgkmcnt(14)
	global_store_short v[104:105], v1, off
	global_store_short v[108:109], v41, off
	s_waitcnt lgkmcnt(13)
	global_store_short v[110:111], v91, off
	v_lshlrev_b64 v[104:105], 1, v[10:11]
	v_lshlrev_b64 v[102:103], 1, v[102:103]
	v_addc_co_u32_e64 v93, s[0:1], v33, v93, s[0:1]
	v_add_u32_e32 v10, 0x800, v4
	v_add_co_u32_e32 v104, vcc, v32, v104
	v_add_u32_e32 v100, 0xc00, v6
	v_mov_b32_e32 v101, v11
	v_add_co_u32_e64 v102, s[0:1], v32, v102
	v_addc_co_u32_e32 v105, vcc, v33, v105, vcc
	v_lshlrev_b64 v[108:109], 1, v[10:11]
	v_lshlrev_b64 v[100:101], 1, v[100:101]
	v_addc_co_u32_e64 v103, s[0:1], v33, v103, s[0:1]
	s_waitcnt lgkmcnt(12)
	global_store_short v[112:113], v114, off
	v_add_u32_e32 v10, 0xc00, v4
	s_waitcnt lgkmcnt(11)
	global_store_short v[104:105], v115, off
	s_waitcnt lgkmcnt(10)
	global_store_short v[38:39], v116, off
	;; [unrolled: 2-line block ×4, first 2 shown]
	v_add_co_u32_e32 v2, vcc, v32, v108
	v_add_u32_e32 v98, 0xc00, v7
	v_mov_b32_e32 v99, v11
	v_add_co_u32_e64 v100, s[0:1], v32, v100
	v_addc_co_u32_e32 v3, vcc, v33, v109, vcc
	v_lshlrev_b64 v[38:39], 1, v[10:11]
	v_lshlrev_b64 v[98:99], 1, v[98:99]
	v_addc_co_u32_e64 v101, s[0:1], v33, v101, s[0:1]
	s_waitcnt lgkmcnt(7)
	global_store_short v[2:3], v119, off
	s_waitcnt lgkmcnt(6)
	global_store_short v[96:97], v120, off
	;; [unrolled: 2-line block ×4, first 2 shown]
	v_add_co_u32_e32 v2, vcc, v32, v38
	v_add_u32_e32 v35, 0x2000, v35
	v_add_u32_e32 v5, 0x1000, v5
	v_mov_b32_e32 v36, s14
	v_add_co_u32_e64 v98, s[0:1], v32, v98
	v_add_u32_e32 v6, 0x1000, v6
	v_add_u32_e32 v7, 0x1000, v7
	;; [unrolled: 1-line block ×3, first 2 shown]
	v_addc_co_u32_e32 v3, vcc, v33, v39, vcc
	v_addc_co_u32_e64 v99, s[0:1], v33, v99, s[0:1]
	s_waitcnt lgkmcnt(3)
	global_store_short v[2:3], v123, off
	s_waitcnt lgkmcnt(2)
	global_store_short v[102:103], v124, off
	;; [unrolled: 2-line block ×4, first 2 shown]
	s_andn2_b64 exec, exec, s[12:13]
	s_cbranch_execnz .LBB2202_170
; %bb.171:
	s_or_b64 exec, exec, s[12:13]
.LBB2202_172:
	s_or_b64 exec, exec, s[10:11]
	v_and_b32_e32 v1, 3, v24
	v_cmp_ne_u32_e32 vcc, 0, v1
	s_and_saveexec_b64 s[10:11], vcc
	s_cbranch_execz .LBB2202_175
; %bb.173:
	v_lshl_or_b32 v10, v36, 9, v23
	s_mov_b64 s[12:13], 0
	v_mov_b32_e32 v3, 0
.LBB2202_174:                           ; =>This Inner Loop Header: Depth=1
	v_mov_b32_e32 v2, v4
	v_add_u32_e32 v1, -1, v1
	v_lshlrev_b64 v[34:35], 1, v[2:3]
	v_mov_b32_e32 v2, v5
	v_cmp_eq_u32_e32 vcc, 0, v1
	v_lshlrev_b64 v[36:37], 1, v[2:3]
	ds_read_u16 v11, v10
	ds_read_u16 v23, v10 offset:512
	ds_read_u16 v24, v10 offset:1024
	;; [unrolled: 1-line block ×3, first 2 shown]
	v_mov_b32_e32 v2, v6
	s_or_b64 s[12:13], vcc, s[12:13]
	v_add_co_u32_e32 v36, vcc, v32, v36
	v_addc_co_u32_e32 v37, vcc, v33, v37, vcc
	v_lshlrev_b64 v[38:39], 1, v[2:3]
	v_mov_b32_e32 v2, v7
	v_add_co_u32_e32 v38, vcc, v32, v38
	v_add_co_u32_e64 v34, s[0:1], v32, v34
	v_addc_co_u32_e32 v39, vcc, v33, v39, vcc
	v_lshlrev_b64 v[92:93], 1, v[2:3]
	v_add_u32_e32 v4, 0x400, v4
	v_add_u32_e32 v10, 0x800, v10
	;; [unrolled: 1-line block ×3, first 2 shown]
	v_addc_co_u32_e64 v35, s[0:1], v33, v35, s[0:1]
	v_add_u32_e32 v6, 0x400, v6
	v_add_u32_e32 v7, 0x400, v7
	v_add_co_u32_e32 v92, vcc, v32, v92
	v_addc_co_u32_e32 v93, vcc, v33, v93, vcc
	s_waitcnt lgkmcnt(3)
	global_store_short v[34:35], v11, off
	s_waitcnt lgkmcnt(2)
	global_store_short v[36:37], v23, off
	;; [unrolled: 2-line block ×4, first 2 shown]
	s_andn2_b64 exec, exec, s[12:13]
	s_cbranch_execnz .LBB2202_174
.LBB2202_175:
	s_or_b64 exec, exec, s[10:11]
	v_add_u32_e32 v1, 1, v22
	v_and_b32_e32 v3, 0x1fffffc, v1
	v_cmp_ne_u32_e32 vcc, v1, v3
	v_lshl_or_b32 v2, v3, 8, v0
	s_orn2_b64 s[0:1], vcc, exec
.LBB2202_176:
	s_or_b64 exec, exec, s[8:9]
	s_andn2_b64 s[4:5], s[4:5], exec
	s_and_b64 s[0:1], s[0:1], exec
	s_or_b64 s[4:5], s[4:5], s[0:1]
.LBB2202_177:
	s_or_b64 exec, exec, s[6:7]
	s_and_b64 exec, exec, s[4:5]
	s_cbranch_execz .LBB2202_180
; %bb.178:
	v_lshlrev_b32_e32 v1, 1, v2
	s_mov_b64 s[0:1], 0
	v_mov_b32_e32 v3, 0
.LBB2202_179:                           ; =>This Inner Loop Header: Depth=1
	v_lshlrev_b64 v[4:5], 1, v[2:3]
	ds_read_u16 v6, v1
	v_add_co_u32_e32 v4, vcc, v32, v4
	v_add_u32_e32 v2, 0x100, v2
	v_addc_co_u32_e32 v5, vcc, v33, v5, vcc
	v_cmp_ge_u32_e32 vcc, v2, v40
	v_add_u32_e32 v1, 0x200, v1
	s_or_b64 s[0:1], vcc, s[0:1]
	s_waitcnt lgkmcnt(0)
	global_store_short v[4:5], v6, off
	s_andn2_b64 exec, exec, s[0:1]
	s_cbranch_execnz .LBB2202_179
.LBB2202_180:
	s_or_b64 exec, exec, s[2:3]
.LBB2202_181:
	v_add_co_u32_e32 v2, vcc, v74, v26
	s_cmpk_lg_i32 s33, 0xf00
	v_addc_co_u32_e32 v3, vcc, v75, v27, vcc
	s_cselect_b64 s[0:1], -1, 0
	v_cndmask_b32_e64 v10, 0, 1, s[46:47]
	s_and_b64 s[0:1], s[44:45], s[0:1]
	v_cmp_eq_u32_e32 vcc, 0, v0
	v_sub_u32_e32 v1, v40, v10
	v_cndmask_b32_e64 v4, 0, 1, s[0:1]
	s_and_b64 s[0:1], vcc, s[46:47]
	v_add_u32_e32 v1, v1, v4
	v_cndmask_b32_e64 v4, v89, 0, s[0:1]
	s_mul_hi_u32 s0, s33, 0x88888889
	s_lshr_b32 s0, s0, 3
	v_mad_i32_i24 v5, v0, -15, s33
	v_cmp_eq_u32_e32 vcc, s0, v0
	v_cmp_ne_u32_e64 s[0:1], 0, v5
	v_cndmask_b32_e64 v6, 1, v4, s[0:1]
	v_cmp_ne_u32_e64 s[0:1], 1, v5
	v_cndmask_b32_e64 v7, 1, v88, s[0:1]
	v_cmp_ne_u32_e64 s[0:1], 2, v5
	v_cndmask_b32_e64 v11, 1, v87, s[0:1]
	v_cmp_ne_u32_e64 s[0:1], 3, v5
	v_cndmask_b32_e64 v22, 1, v86, s[0:1]
	v_cmp_ne_u32_e64 s[0:1], 4, v5
	v_cndmask_b32_e64 v23, 1, v85, s[0:1]
	v_cmp_ne_u32_e64 s[0:1], 5, v5
	v_cndmask_b32_e64 v24, 1, v84, s[0:1]
	v_cmp_ne_u32_e64 s[0:1], 6, v5
	v_cndmask_b32_e64 v26, 1, v83, s[0:1]
	v_cmp_ne_u32_e64 s[0:1], 7, v5
	v_cndmask_b32_e64 v27, 1, v82, s[0:1]
	v_cmp_ne_u32_e64 s[0:1], 8, v5
	v_cndmask_b32_e64 v32, 1, v81, s[0:1]
	v_cmp_ne_u32_e64 s[0:1], 9, v5
	v_cndmask_b32_e64 v33, 1, v80, s[0:1]
	v_cmp_ne_u32_e64 s[0:1], 10, v5
	v_cndmask_b32_e64 v34, 1, v79, s[0:1]
	v_cmp_ne_u32_e64 s[0:1], 11, v5
	v_cndmask_b32_e64 v35, 1, v78, s[0:1]
	v_cmp_ne_u32_e64 s[0:1], 12, v5
	v_cndmask_b32_e64 v36, 1, v77, s[0:1]
	v_cmp_ne_u32_e64 s[0:1], 13, v5
	v_cndmask_b32_e64 v37, 1, v76, s[0:1]
	v_cmp_ne_u32_e64 s[0:1], 14, v5
	v_cndmask_b32_e64 v5, 1, v25, s[0:1]
	s_and_b64 vcc, s[44:45], vcc
	v_cndmask_b32_e32 v25, v25, v5, vcc
	v_cndmask_b32_e32 v39, v4, v6, vcc
	v_lshlrev_b64 v[4:5], 3, v[8:9]
	v_cndmask_b32_e32 v37, v76, v37, vcc
	v_cndmask_b32_e32 v36, v77, v36, vcc
	;; [unrolled: 1-line block ×13, first 2 shown]
	v_mov_b32_e32 v6, s55
	v_add_co_u32_e32 v7, vcc, s54, v4
	v_addc_co_u32_e32 v6, vcc, v6, v5, vcc
	v_lshlrev_b64 v[4:5], 3, v[44:45]
	v_add_co_u32_e32 v4, vcc, v7, v4
	v_addc_co_u32_e32 v5, vcc, v6, v5, vcc
	v_lshlrev_b32_e32 v6, 3, v10
	v_add_co_u32_e32 v6, vcc, v6, v4
	v_addc_co_u32_e32 v7, vcc, 0, v5, vcc
	v_add_co_u32_e32 v6, vcc, -8, v6
	v_addc_co_u32_e32 v7, vcc, -1, v7, vcc
	v_cmp_eq_u32_e32 vcc, 0, v39
	v_cmp_ne_u32_e64 s[28:29], 0, v39
	v_cndmask_b32_e64 v39, 1, 2, vcc
	v_cmp_eq_u32_e32 vcc, 0, v38
	v_cmp_ne_u32_e64 s[26:27], 0, v38
	v_cndmask_b32_e64 v38, 1, 2, vcc
	v_cmp_eq_u32_e32 vcc, 0, v11
	v_and_b32_e32 v38, v38, v39
	v_cmp_ne_u32_e64 s[24:25], 0, v11
	v_cndmask_b32_e64 v11, 1, 2, vcc
	v_cmp_eq_u32_e32 vcc, 0, v22
	v_and_b32_e32 v11, v38, v11
	;; [unrolled: 4-line block ×3, first 2 shown]
	v_cndmask_b32_e64 v22, 1, 2, vcc
	v_cmp_eq_u32_e32 vcc, 0, v24
	v_and_b32_e32 v11, v11, v22
	v_cndmask_b32_e64 v22, 1, 2, vcc
	v_cmp_eq_u32_e32 vcc, 0, v26
	v_and_b32_e32 v11, v11, v22
	;; [unrolled: 3-line block ×10, first 2 shown]
	v_cndmask_b32_e64 v22, 1, 2, vcc
	s_movk_i32 s30, 0x100
	v_and_b32_e32 v11, v11, v22
	v_cmp_gt_u32_e32 vcc, s30, v1
	v_add_u32_e32 v10, v44, v10
	v_cmp_ne_u32_e64 s[20:21], 0, v23
	v_cmp_ne_u32_e64 s[18:19], 0, v24
	;; [unrolled: 1-line block ×11, first 2 shown]
	s_mov_b64 s[36:37], -1
	v_cmp_gt_i16_e64 s[30:31], 2, v11
	s_barrier
	s_cbranch_vccz .LBB2202_188
; %bb.182:
	s_and_saveexec_b64 s[36:37], s[30:31]
	s_cbranch_execz .LBB2202_187
; %bb.183:
	v_cmp_ne_u16_e32 vcc, 1, v11
	s_mov_b64 s[38:39], 0
	s_and_saveexec_b64 s[30:31], vcc
	s_xor_b64 s[30:31], exec, s[30:31]
	s_cbranch_execnz .LBB2202_237
; %bb.184:
	s_andn2_saveexec_b64 s[30:31], s[30:31]
	s_cbranch_execnz .LBB2202_253
.LBB2202_185:
	s_or_b64 exec, exec, s[30:31]
	s_and_b64 exec, exec, s[38:39]
	s_cbranch_execz .LBB2202_187
.LBB2202_186:
	v_sub_u32_e32 v22, v12, v10
	v_mov_b32_e32 v23, 0
	v_lshlrev_b64 v[22:23], 3, v[22:23]
	v_add_co_u32_e32 v22, vcc, v6, v22
	v_addc_co_u32_e32 v23, vcc, v7, v23, vcc
	global_store_dwordx2 v[22:23], v[2:3], off
.LBB2202_187:
	s_or_b64 exec, exec, s[36:37]
	s_mov_b64 s[36:37], 0
.LBB2202_188:
	s_and_b64 vcc, exec, s[36:37]
	s_cbranch_vccz .LBB2202_198
; %bb.189:
	v_cmp_gt_i16_e32 vcc, 2, v11
	s_and_saveexec_b64 s[30:31], vcc
	s_cbranch_execz .LBB2202_194
; %bb.190:
	v_cmp_ne_u16_e32 vcc, 1, v11
	s_mov_b64 s[38:39], 0
	s_and_saveexec_b64 s[36:37], vcc
	s_xor_b64 s[36:37], exec, s[36:37]
	s_cbranch_execnz .LBB2202_254
; %bb.191:
	s_andn2_saveexec_b64 s[0:1], s[36:37]
	s_cbranch_execnz .LBB2202_270
.LBB2202_192:
	s_or_b64 exec, exec, s[0:1]
	s_and_b64 exec, exec, s[38:39]
	s_cbranch_execz .LBB2202_194
.LBB2202_193:
	v_sub_u32_e32 v10, v12, v10
	v_lshlrev_b32_e32 v10, 3, v10
	ds_write_b64 v10, v[2:3]
.LBB2202_194:
	s_or_b64 exec, exec, s[30:31]
	v_cmp_lt_u32_e32 vcc, v0, v1
	s_waitcnt lgkmcnt(0)
	s_barrier
	s_and_saveexec_b64 s[0:1], vcc
	s_cbranch_execz .LBB2202_197
; %bb.195:
	v_lshlrev_b32_e32 v10, 3, v0
	s_mov_b64 s[2:3], 0
	v_mov_b32_e32 v3, 0
	v_mov_b32_e32 v2, v0
.LBB2202_196:                           ; =>This Inner Loop Header: Depth=1
	v_lshlrev_b64 v[12:13], 3, v[2:3]
	ds_read_b64 v[14:15], v10
	v_add_co_u32_e32 v12, vcc, v6, v12
	v_add_u32_e32 v2, 0x100, v2
	v_addc_co_u32_e32 v13, vcc, v7, v13, vcc
	v_cmp_ge_u32_e32 vcc, v2, v1
	v_add_u32_e32 v10, 0x800, v10
	s_or_b64 s[2:3], vcc, s[2:3]
	s_waitcnt lgkmcnt(0)
	global_store_dwordx2 v[12:13], v[14:15], off
	s_andn2_b64 exec, exec, s[2:3]
	s_cbranch_execnz .LBB2202_196
.LBB2202_197:
	s_or_b64 exec, exec, s[0:1]
.LBB2202_198:
	s_movk_i32 s0, 0xff
	v_cmp_eq_u32_e32 vcc, s0, v0
	s_and_b64 s[0:1], vcc, s[44:45]
	s_and_saveexec_b64 s[2:3], s[0:1]
	s_cbranch_execz .LBB2202_201
; %bb.199:
	v_add_co_u32_e32 v0, vcc, v40, v44
	v_addc_co_u32_e64 v1, s[0:1], 0, 0, vcc
	v_add_co_u32_e32 v0, vcc, v0, v8
	v_mov_b32_e32 v41, 0
	v_addc_co_u32_e32 v1, vcc, v1, v9, vcc
	s_cmpk_lg_i32 s33, 0xf00
	global_store_dwordx2 v41, v[0:1], s[34:35]
	s_cbranch_scc1 .LBB2202_201
; %bb.200:
	v_lshlrev_b64 v[0:1], 3, v[40:41]
	v_add_co_u32_e32 v0, vcc, v4, v0
	v_addc_co_u32_e32 v1, vcc, v5, v1, vcc
	global_store_dwordx2 v[0:1], v[42:43], off offset:-8
.LBB2202_201:
	s_endpgm
.LBB2202_202:
	s_or_b64 exec, exec, s[2:3]
	v_mov_b32_e32 v89, s7
	s_and_saveexec_b64 s[2:3], s[4:5]
	s_cbranch_execnz .LBB2202_54
	s_branch .LBB2202_55
.LBB2202_203:
	s_and_saveexec_b64 s[38:39], s[28:29]
	s_cbranch_execnz .LBB2202_271
; %bb.204:
	s_or_b64 exec, exec, s[38:39]
	s_and_saveexec_b64 s[38:39], s[26:27]
	s_cbranch_execnz .LBB2202_272
.LBB2202_205:
	s_or_b64 exec, exec, s[38:39]
	s_and_saveexec_b64 s[38:39], s[24:25]
	s_cbranch_execnz .LBB2202_273
.LBB2202_206:
	s_or_b64 exec, exec, s[38:39]
	s_and_saveexec_b64 s[38:39], s[22:23]
	s_cbranch_execnz .LBB2202_274
.LBB2202_207:
	s_or_b64 exec, exec, s[38:39]
	s_and_saveexec_b64 s[38:39], s[20:21]
	s_cbranch_execnz .LBB2202_275
.LBB2202_208:
	s_or_b64 exec, exec, s[38:39]
	s_and_saveexec_b64 s[38:39], s[18:19]
	s_cbranch_execnz .LBB2202_276
.LBB2202_209:
	s_or_b64 exec, exec, s[38:39]
	s_and_saveexec_b64 s[38:39], s[16:17]
	s_cbranch_execnz .LBB2202_277
.LBB2202_210:
	s_or_b64 exec, exec, s[38:39]
	s_and_saveexec_b64 s[38:39], s[14:15]
	s_cbranch_execnz .LBB2202_278
.LBB2202_211:
	s_or_b64 exec, exec, s[38:39]
	s_and_saveexec_b64 s[38:39], s[12:13]
	s_cbranch_execnz .LBB2202_279
.LBB2202_212:
	s_or_b64 exec, exec, s[38:39]
	s_and_saveexec_b64 s[38:39], s[10:11]
	s_cbranch_execnz .LBB2202_280
.LBB2202_213:
	s_or_b64 exec, exec, s[38:39]
	s_and_saveexec_b64 s[38:39], s[8:9]
	s_cbranch_execnz .LBB2202_281
.LBB2202_214:
	s_or_b64 exec, exec, s[38:39]
	s_and_saveexec_b64 s[38:39], s[6:7]
	s_cbranch_execnz .LBB2202_282
.LBB2202_215:
	s_or_b64 exec, exec, s[38:39]
	s_and_saveexec_b64 s[38:39], s[4:5]
	s_cbranch_execnz .LBB2202_283
.LBB2202_216:
	s_or_b64 exec, exec, s[38:39]
	s_and_saveexec_b64 s[38:39], s[2:3]
	s_cbranch_execz .LBB2202_218
.LBB2202_217:
	v_sub_u32_e32 v10, v13, v44
	v_mov_b32_e32 v11, 0
	v_lshlrev_b64 v[10:11], 1, v[10:11]
	v_add_co_u32_e32 v10, vcc, v32, v10
	v_addc_co_u32_e32 v11, vcc, v33, v11, vcc
	global_store_short v[10:11], v24, off
.LBB2202_218:
	s_or_b64 exec, exec, s[38:39]
	s_and_b64 s[38:39], s[0:1], exec
	s_andn2_saveexec_b64 s[30:31], s[30:31]
	s_cbranch_execz .LBB2202_156
.LBB2202_219:
	v_sub_u32_e32 v10, v90, v44
	v_mov_b32_e32 v11, 0
	v_lshlrev_b64 v[34:35], 1, v[10:11]
	v_add_co_u32_e32 v34, vcc, v32, v34
	v_addc_co_u32_e32 v35, vcc, v33, v35, vcc
	v_sub_u32_e32 v10, v31, v44
	global_store_short v[34:35], v1, off
	v_lshlrev_b64 v[34:35], 1, v[10:11]
	v_add_co_u32_e32 v34, vcc, v32, v34
	v_addc_co_u32_e32 v35, vcc, v33, v35, vcc
	v_sub_u32_e32 v10, v30, v44
	global_store_short v[34:35], v2, off
	v_lshlrev_b64 v[34:35], 1, v[10:11]
	v_add_co_u32_e32 v34, vcc, v32, v34
	v_addc_co_u32_e32 v35, vcc, v33, v35, vcc
	v_sub_u32_e32 v10, v29, v44
	global_store_short_d16_hi v[34:35], v2, off
	v_lshlrev_b64 v[34:35], 1, v[10:11]
	v_add_co_u32_e32 v34, vcc, v32, v34
	v_addc_co_u32_e32 v35, vcc, v33, v35, vcc
	v_sub_u32_e32 v10, v28, v44
	global_store_short v[34:35], v3, off
	v_lshlrev_b64 v[34:35], 1, v[10:11]
	v_add_co_u32_e32 v34, vcc, v32, v34
	v_addc_co_u32_e32 v35, vcc, v33, v35, vcc
	v_sub_u32_e32 v10, v21, v44
	global_store_short_d16_hi v[34:35], v3, off
	;; [unrolled: 10-line block ×5, first 2 shown]
	v_lshlrev_b64 v[34:35], 1, v[10:11]
	v_add_co_u32_e32 v34, vcc, v32, v34
	v_addc_co_u32_e32 v35, vcc, v33, v35, vcc
	v_sub_u32_e32 v10, v14, v44
	global_store_short v[34:35], v23, off
	v_lshlrev_b64 v[34:35], 1, v[10:11]
	v_add_co_u32_e32 v34, vcc, v32, v34
	v_sub_u32_e32 v10, v13, v44
	v_addc_co_u32_e32 v35, vcc, v33, v35, vcc
	v_lshlrev_b64 v[10:11], 1, v[10:11]
	v_add_co_u32_e32 v10, vcc, v32, v10
	v_addc_co_u32_e32 v11, vcc, v33, v11, vcc
	s_or_b64 s[38:39], s[38:39], exec
	global_store_short_d16_hi v[34:35], v23, off
	global_store_short v[10:11], v24, off
	s_or_b64 exec, exec, s[30:31]
	s_and_b64 exec, exec, s[38:39]
	s_cbranch_execnz .LBB2202_157
	s_branch .LBB2202_158
.LBB2202_220:
	s_and_saveexec_b64 s[38:39], s[28:29]
	s_cbranch_execnz .LBB2202_284
; %bb.221:
	s_or_b64 exec, exec, s[38:39]
	s_and_saveexec_b64 s[28:29], s[26:27]
	s_cbranch_execnz .LBB2202_285
.LBB2202_222:
	s_or_b64 exec, exec, s[28:29]
	s_and_saveexec_b64 s[26:27], s[24:25]
	s_cbranch_execnz .LBB2202_286
.LBB2202_223:
	s_or_b64 exec, exec, s[26:27]
	s_and_saveexec_b64 s[24:25], s[22:23]
	s_cbranch_execnz .LBB2202_287
.LBB2202_224:
	s_or_b64 exec, exec, s[24:25]
	s_and_saveexec_b64 s[22:23], s[20:21]
	s_cbranch_execnz .LBB2202_288
.LBB2202_225:
	s_or_b64 exec, exec, s[22:23]
	s_and_saveexec_b64 s[20:21], s[18:19]
	s_cbranch_execnz .LBB2202_289
.LBB2202_226:
	s_or_b64 exec, exec, s[20:21]
	s_and_saveexec_b64 s[18:19], s[16:17]
	s_cbranch_execnz .LBB2202_290
.LBB2202_227:
	s_or_b64 exec, exec, s[18:19]
	s_and_saveexec_b64 s[16:17], s[14:15]
	s_cbranch_execnz .LBB2202_291
.LBB2202_228:
	s_or_b64 exec, exec, s[16:17]
	s_and_saveexec_b64 s[14:15], s[12:13]
	s_cbranch_execnz .LBB2202_292
.LBB2202_229:
	s_or_b64 exec, exec, s[14:15]
	s_and_saveexec_b64 s[12:13], s[10:11]
	s_cbranch_execnz .LBB2202_293
.LBB2202_230:
	s_or_b64 exec, exec, s[12:13]
	s_and_saveexec_b64 s[10:11], s[8:9]
	s_cbranch_execnz .LBB2202_294
.LBB2202_231:
	s_or_b64 exec, exec, s[10:11]
	s_and_saveexec_b64 s[8:9], s[6:7]
	s_cbranch_execnz .LBB2202_295
.LBB2202_232:
	s_or_b64 exec, exec, s[8:9]
	s_and_saveexec_b64 s[6:7], s[4:5]
	s_cbranch_execnz .LBB2202_296
.LBB2202_233:
	s_or_b64 exec, exec, s[6:7]
	s_and_saveexec_b64 s[4:5], s[2:3]
	s_cbranch_execz .LBB2202_235
.LBB2202_234:
	v_sub_u32_e32 v1, v13, v44
	v_lshlrev_b32_e32 v1, 1, v1
	ds_write_b16 v1, v24
.LBB2202_235:
	s_or_b64 exec, exec, s[4:5]
	s_and_b64 s[38:39], s[0:1], exec
                                        ; implicit-def: $vgpr1
                                        ; implicit-def: $vgpr2
	s_andn2_saveexec_b64 s[0:1], s[36:37]
	s_cbranch_execz .LBB2202_163
.LBB2202_236:
	v_sub_u32_e32 v6, v90, v44
	v_lshlrev_b32_e32 v6, 1, v6
	ds_write_b16 v6, v1
	v_sub_u32_e32 v1, v31, v44
	v_lshlrev_b32_e32 v1, 1, v1
	ds_write_b16 v1, v2
	v_sub_u32_e32 v1, v30, v44
	v_lshlrev_b32_e32 v1, 1, v1
	ds_write_b16_d16_hi v1, v2
	v_sub_u32_e32 v1, v29, v44
	v_lshlrev_b32_e32 v1, 1, v1
	ds_write_b16 v1, v3
	v_sub_u32_e32 v1, v28, v44
	v_lshlrev_b32_e32 v1, 1, v1
	ds_write_b16_d16_hi v1, v3
	;; [unrolled: 6-line block ×6, first 2 shown]
	v_sub_u32_e32 v1, v13, v44
	v_lshlrev_b32_e32 v1, 1, v1
	s_or_b64 s[38:39], s[38:39], exec
	ds_write_b16 v1, v24
	s_or_b64 exec, exec, s[0:1]
	s_and_b64 exec, exec, s[38:39]
	s_cbranch_execnz .LBB2202_164
	s_branch .LBB2202_165
.LBB2202_237:
	s_and_saveexec_b64 s[38:39], s[28:29]
	s_cbranch_execnz .LBB2202_297
; %bb.238:
	s_or_b64 exec, exec, s[38:39]
	s_and_saveexec_b64 s[38:39], s[26:27]
	s_cbranch_execnz .LBB2202_298
.LBB2202_239:
	s_or_b64 exec, exec, s[38:39]
	s_and_saveexec_b64 s[38:39], s[24:25]
	s_cbranch_execnz .LBB2202_299
.LBB2202_240:
	s_or_b64 exec, exec, s[38:39]
	s_and_saveexec_b64 s[38:39], s[22:23]
	s_cbranch_execnz .LBB2202_300
.LBB2202_241:
	s_or_b64 exec, exec, s[38:39]
	s_and_saveexec_b64 s[38:39], s[20:21]
	s_cbranch_execnz .LBB2202_301
.LBB2202_242:
	s_or_b64 exec, exec, s[38:39]
	s_and_saveexec_b64 s[38:39], s[18:19]
	s_cbranch_execnz .LBB2202_302
.LBB2202_243:
	s_or_b64 exec, exec, s[38:39]
	s_and_saveexec_b64 s[38:39], s[16:17]
	s_cbranch_execnz .LBB2202_303
.LBB2202_244:
	s_or_b64 exec, exec, s[38:39]
	s_and_saveexec_b64 s[38:39], s[14:15]
	s_cbranch_execnz .LBB2202_304
.LBB2202_245:
	s_or_b64 exec, exec, s[38:39]
	s_and_saveexec_b64 s[38:39], s[12:13]
	s_cbranch_execnz .LBB2202_305
.LBB2202_246:
	s_or_b64 exec, exec, s[38:39]
	s_and_saveexec_b64 s[38:39], s[10:11]
	s_cbranch_execnz .LBB2202_306
.LBB2202_247:
	s_or_b64 exec, exec, s[38:39]
	s_and_saveexec_b64 s[38:39], s[8:9]
	s_cbranch_execnz .LBB2202_307
.LBB2202_248:
	s_or_b64 exec, exec, s[38:39]
	s_and_saveexec_b64 s[38:39], s[6:7]
	s_cbranch_execnz .LBB2202_308
.LBB2202_249:
	s_or_b64 exec, exec, s[38:39]
	s_and_saveexec_b64 s[38:39], s[4:5]
	s_cbranch_execnz .LBB2202_309
.LBB2202_250:
	s_or_b64 exec, exec, s[38:39]
	s_and_saveexec_b64 s[38:39], s[2:3]
	s_cbranch_execz .LBB2202_252
.LBB2202_251:
	v_sub_u32_e32 v22, v13, v10
	v_mov_b32_e32 v23, 0
	v_lshlrev_b64 v[22:23], 3, v[22:23]
	v_add_co_u32_e32 v22, vcc, v6, v22
	v_addc_co_u32_e32 v23, vcc, v7, v23, vcc
	global_store_dwordx2 v[22:23], v[72:73], off
.LBB2202_252:
	s_or_b64 exec, exec, s[38:39]
	s_and_b64 s[38:39], s[0:1], exec
	s_andn2_saveexec_b64 s[30:31], s[30:31]
	s_cbranch_execz .LBB2202_185
.LBB2202_253:
	v_sub_u32_e32 v22, v90, v10
	v_mov_b32_e32 v23, 0
	v_lshlrev_b64 v[24:25], 3, v[22:23]
	v_add_co_u32_e32 v24, vcc, v6, v24
	v_addc_co_u32_e32 v25, vcc, v7, v25, vcc
	v_sub_u32_e32 v22, v31, v10
	global_store_dwordx2 v[24:25], v[70:71], off
	v_lshlrev_b64 v[24:25], 3, v[22:23]
	v_add_co_u32_e32 v24, vcc, v6, v24
	v_addc_co_u32_e32 v25, vcc, v7, v25, vcc
	v_sub_u32_e32 v22, v30, v10
	global_store_dwordx2 v[24:25], v[46:47], off
	;; [unrolled: 5-line block ×12, first 2 shown]
	v_lshlrev_b64 v[24:25], 3, v[22:23]
	v_add_co_u32_e32 v24, vcc, v6, v24
	v_sub_u32_e32 v22, v13, v10
	v_addc_co_u32_e32 v25, vcc, v7, v25, vcc
	v_lshlrev_b64 v[22:23], 3, v[22:23]
	v_add_co_u32_e32 v22, vcc, v6, v22
	v_addc_co_u32_e32 v23, vcc, v7, v23, vcc
	s_or_b64 s[38:39], s[38:39], exec
	global_store_dwordx2 v[24:25], v[68:69], off
	global_store_dwordx2 v[22:23], v[72:73], off
	s_or_b64 exec, exec, s[30:31]
	s_and_b64 exec, exec, s[38:39]
	s_cbranch_execnz .LBB2202_186
	s_branch .LBB2202_187
.LBB2202_254:
	s_and_saveexec_b64 s[38:39], s[28:29]
	s_cbranch_execnz .LBB2202_310
; %bb.255:
	s_or_b64 exec, exec, s[38:39]
	s_and_saveexec_b64 s[28:29], s[26:27]
	s_cbranch_execnz .LBB2202_311
.LBB2202_256:
	s_or_b64 exec, exec, s[28:29]
	s_and_saveexec_b64 s[26:27], s[24:25]
	s_cbranch_execnz .LBB2202_312
.LBB2202_257:
	s_or_b64 exec, exec, s[26:27]
	s_and_saveexec_b64 s[24:25], s[22:23]
	s_cbranch_execnz .LBB2202_313
.LBB2202_258:
	s_or_b64 exec, exec, s[24:25]
	s_and_saveexec_b64 s[22:23], s[20:21]
	s_cbranch_execnz .LBB2202_314
.LBB2202_259:
	s_or_b64 exec, exec, s[22:23]
	s_and_saveexec_b64 s[20:21], s[18:19]
	s_cbranch_execnz .LBB2202_315
.LBB2202_260:
	s_or_b64 exec, exec, s[20:21]
	s_and_saveexec_b64 s[18:19], s[16:17]
	s_cbranch_execnz .LBB2202_316
.LBB2202_261:
	s_or_b64 exec, exec, s[18:19]
	s_and_saveexec_b64 s[16:17], s[14:15]
	s_cbranch_execnz .LBB2202_317
.LBB2202_262:
	s_or_b64 exec, exec, s[16:17]
	s_and_saveexec_b64 s[14:15], s[12:13]
	s_cbranch_execnz .LBB2202_318
.LBB2202_263:
	s_or_b64 exec, exec, s[14:15]
	s_and_saveexec_b64 s[12:13], s[10:11]
	s_cbranch_execnz .LBB2202_319
.LBB2202_264:
	s_or_b64 exec, exec, s[12:13]
	s_and_saveexec_b64 s[10:11], s[8:9]
	s_cbranch_execnz .LBB2202_320
.LBB2202_265:
	s_or_b64 exec, exec, s[10:11]
	s_and_saveexec_b64 s[8:9], s[6:7]
	s_cbranch_execnz .LBB2202_321
.LBB2202_266:
	s_or_b64 exec, exec, s[8:9]
	s_and_saveexec_b64 s[6:7], s[4:5]
	s_cbranch_execnz .LBB2202_322
.LBB2202_267:
	s_or_b64 exec, exec, s[6:7]
	s_and_saveexec_b64 s[4:5], s[2:3]
	s_cbranch_execz .LBB2202_269
.LBB2202_268:
	v_sub_u32_e32 v11, v13, v10
	v_lshlrev_b32_e32 v11, 3, v11
	ds_write_b64 v11, v[72:73]
.LBB2202_269:
	s_or_b64 exec, exec, s[4:5]
	s_and_b64 s[38:39], s[0:1], exec
                                        ; implicit-def: $vgpr70_vgpr71
                                        ; implicit-def: $vgpr46_vgpr47
                                        ; implicit-def: $vgpr48_vgpr49
                                        ; implicit-def: $vgpr50_vgpr51
                                        ; implicit-def: $vgpr52_vgpr53
                                        ; implicit-def: $vgpr54_vgpr55
                                        ; implicit-def: $vgpr56_vgpr57
                                        ; implicit-def: $vgpr58_vgpr59
                                        ; implicit-def: $vgpr60_vgpr61
                                        ; implicit-def: $vgpr62_vgpr63
                                        ; implicit-def: $vgpr64_vgpr65
                                        ; implicit-def: $vgpr66_vgpr67
                                        ; implicit-def: $vgpr68_vgpr69
                                        ; implicit-def: $vgpr72_vgpr73
                                        ; implicit-def: $vgpr90
                                        ; implicit-def: $vgpr31
                                        ; implicit-def: $vgpr30
                                        ; implicit-def: $vgpr29
                                        ; implicit-def: $vgpr28
                                        ; implicit-def: $vgpr21
                                        ; implicit-def: $vgpr20
                                        ; implicit-def: $vgpr19
                                        ; implicit-def: $vgpr18
                                        ; implicit-def: $vgpr17
                                        ; implicit-def: $vgpr16
                                        ; implicit-def: $vgpr15
                                        ; implicit-def: $vgpr14
                                        ; implicit-def: $vgpr13
	s_andn2_saveexec_b64 s[0:1], s[36:37]
	s_cbranch_execz .LBB2202_192
.LBB2202_270:
	v_sub_u32_e32 v11, v90, v10
	v_lshlrev_b32_e32 v11, 3, v11
	ds_write_b64 v11, v[70:71]
	v_sub_u32_e32 v11, v31, v10
	v_lshlrev_b32_e32 v11, 3, v11
	ds_write_b64 v11, v[46:47]
	;; [unrolled: 3-line block ×13, first 2 shown]
	v_sub_u32_e32 v11, v13, v10
	v_lshlrev_b32_e32 v11, 3, v11
	s_or_b64 s[38:39], s[38:39], exec
	ds_write_b64 v11, v[72:73]
	s_or_b64 exec, exec, s[0:1]
	s_and_b64 exec, exec, s[38:39]
	s_cbranch_execnz .LBB2202_193
	s_branch .LBB2202_194
.LBB2202_271:
	v_sub_u32_e32 v10, v90, v44
	v_mov_b32_e32 v11, 0
	v_lshlrev_b64 v[10:11], 1, v[10:11]
	v_add_co_u32_e32 v10, vcc, v32, v10
	v_addc_co_u32_e32 v11, vcc, v33, v11, vcc
	global_store_short v[10:11], v1, off
	s_or_b64 exec, exec, s[38:39]
	s_and_saveexec_b64 s[38:39], s[26:27]
	s_cbranch_execz .LBB2202_205
.LBB2202_272:
	v_sub_u32_e32 v10, v31, v44
	v_mov_b32_e32 v11, 0
	v_lshlrev_b64 v[10:11], 1, v[10:11]
	v_add_co_u32_e32 v10, vcc, v32, v10
	v_addc_co_u32_e32 v11, vcc, v33, v11, vcc
	global_store_short v[10:11], v2, off
	s_or_b64 exec, exec, s[38:39]
	s_and_saveexec_b64 s[38:39], s[24:25]
	s_cbranch_execz .LBB2202_206
.LBB2202_273:
	v_sub_u32_e32 v10, v30, v44
	v_mov_b32_e32 v11, 0
	v_lshlrev_b64 v[10:11], 1, v[10:11]
	v_add_co_u32_e32 v10, vcc, v32, v10
	v_addc_co_u32_e32 v11, vcc, v33, v11, vcc
	global_store_short_d16_hi v[10:11], v2, off
	s_or_b64 exec, exec, s[38:39]
	s_and_saveexec_b64 s[38:39], s[22:23]
	s_cbranch_execz .LBB2202_207
.LBB2202_274:
	v_sub_u32_e32 v10, v29, v44
	v_mov_b32_e32 v11, 0
	v_lshlrev_b64 v[10:11], 1, v[10:11]
	v_add_co_u32_e32 v10, vcc, v32, v10
	v_addc_co_u32_e32 v11, vcc, v33, v11, vcc
	global_store_short v[10:11], v3, off
	s_or_b64 exec, exec, s[38:39]
	s_and_saveexec_b64 s[38:39], s[20:21]
	s_cbranch_execz .LBB2202_208
.LBB2202_275:
	v_sub_u32_e32 v10, v28, v44
	v_mov_b32_e32 v11, 0
	v_lshlrev_b64 v[10:11], 1, v[10:11]
	v_add_co_u32_e32 v10, vcc, v32, v10
	v_addc_co_u32_e32 v11, vcc, v33, v11, vcc
	global_store_short_d16_hi v[10:11], v3, off
	s_or_b64 exec, exec, s[38:39]
	s_and_saveexec_b64 s[38:39], s[18:19]
	s_cbranch_execz .LBB2202_209
.LBB2202_276:
	v_sub_u32_e32 v10, v21, v44
	v_mov_b32_e32 v11, 0
	v_lshlrev_b64 v[10:11], 1, v[10:11]
	v_add_co_u32_e32 v10, vcc, v32, v10
	v_addc_co_u32_e32 v11, vcc, v33, v11, vcc
	global_store_short v[10:11], v4, off
	s_or_b64 exec, exec, s[38:39]
	s_and_saveexec_b64 s[38:39], s[16:17]
	s_cbranch_execz .LBB2202_210
.LBB2202_277:
	v_sub_u32_e32 v10, v20, v44
	v_mov_b32_e32 v11, 0
	v_lshlrev_b64 v[10:11], 1, v[10:11]
	v_add_co_u32_e32 v10, vcc, v32, v10
	v_addc_co_u32_e32 v11, vcc, v33, v11, vcc
	global_store_short_d16_hi v[10:11], v4, off
	s_or_b64 exec, exec, s[38:39]
	s_and_saveexec_b64 s[38:39], s[14:15]
	s_cbranch_execz .LBB2202_211
.LBB2202_278:
	v_sub_u32_e32 v10, v19, v44
	v_mov_b32_e32 v11, 0
	v_lshlrev_b64 v[10:11], 1, v[10:11]
	v_add_co_u32_e32 v10, vcc, v32, v10
	v_addc_co_u32_e32 v11, vcc, v33, v11, vcc
	global_store_short v[10:11], v5, off
	s_or_b64 exec, exec, s[38:39]
	s_and_saveexec_b64 s[38:39], s[12:13]
	s_cbranch_execz .LBB2202_212
.LBB2202_279:
	v_sub_u32_e32 v10, v18, v44
	v_mov_b32_e32 v11, 0
	v_lshlrev_b64 v[10:11], 1, v[10:11]
	v_add_co_u32_e32 v10, vcc, v32, v10
	v_addc_co_u32_e32 v11, vcc, v33, v11, vcc
	global_store_short_d16_hi v[10:11], v5, off
	s_or_b64 exec, exec, s[38:39]
	s_and_saveexec_b64 s[38:39], s[10:11]
	s_cbranch_execz .LBB2202_213
.LBB2202_280:
	v_sub_u32_e32 v10, v17, v44
	v_mov_b32_e32 v11, 0
	v_lshlrev_b64 v[10:11], 1, v[10:11]
	v_add_co_u32_e32 v10, vcc, v32, v10
	v_addc_co_u32_e32 v11, vcc, v33, v11, vcc
	global_store_short v[10:11], v22, off
	s_or_b64 exec, exec, s[38:39]
	s_and_saveexec_b64 s[38:39], s[8:9]
	s_cbranch_execz .LBB2202_214
.LBB2202_281:
	v_sub_u32_e32 v10, v16, v44
	v_mov_b32_e32 v11, 0
	v_lshlrev_b64 v[10:11], 1, v[10:11]
	v_add_co_u32_e32 v10, vcc, v32, v10
	v_addc_co_u32_e32 v11, vcc, v33, v11, vcc
	global_store_short_d16_hi v[10:11], v22, off
	s_or_b64 exec, exec, s[38:39]
	s_and_saveexec_b64 s[38:39], s[6:7]
	s_cbranch_execz .LBB2202_215
.LBB2202_282:
	v_sub_u32_e32 v10, v15, v44
	v_mov_b32_e32 v11, 0
	v_lshlrev_b64 v[10:11], 1, v[10:11]
	v_add_co_u32_e32 v10, vcc, v32, v10
	v_addc_co_u32_e32 v11, vcc, v33, v11, vcc
	global_store_short v[10:11], v23, off
	s_or_b64 exec, exec, s[38:39]
	s_and_saveexec_b64 s[38:39], s[4:5]
	s_cbranch_execz .LBB2202_216
.LBB2202_283:
	v_sub_u32_e32 v10, v14, v44
	v_mov_b32_e32 v11, 0
	v_lshlrev_b64 v[10:11], 1, v[10:11]
	v_add_co_u32_e32 v10, vcc, v32, v10
	v_addc_co_u32_e32 v11, vcc, v33, v11, vcc
	global_store_short_d16_hi v[10:11], v23, off
	s_or_b64 exec, exec, s[38:39]
	s_and_saveexec_b64 s[38:39], s[2:3]
	s_cbranch_execnz .LBB2202_217
	s_branch .LBB2202_218
.LBB2202_284:
	v_sub_u32_e32 v6, v90, v44
	v_lshlrev_b32_e32 v6, 1, v6
	ds_write_b16 v6, v1
	s_or_b64 exec, exec, s[38:39]
	s_and_saveexec_b64 s[28:29], s[26:27]
	s_cbranch_execz .LBB2202_222
.LBB2202_285:
	v_sub_u32_e32 v1, v31, v44
	v_lshlrev_b32_e32 v1, 1, v1
	ds_write_b16 v1, v2
	s_or_b64 exec, exec, s[28:29]
	s_and_saveexec_b64 s[26:27], s[24:25]
	s_cbranch_execz .LBB2202_223
.LBB2202_286:
	v_sub_u32_e32 v1, v30, v44
	v_lshlrev_b32_e32 v1, 1, v1
	ds_write_b16_d16_hi v1, v2
	s_or_b64 exec, exec, s[26:27]
	s_and_saveexec_b64 s[24:25], s[22:23]
	s_cbranch_execz .LBB2202_224
.LBB2202_287:
	v_sub_u32_e32 v1, v29, v44
	v_lshlrev_b32_e32 v1, 1, v1
	ds_write_b16 v1, v3
	s_or_b64 exec, exec, s[24:25]
	s_and_saveexec_b64 s[22:23], s[20:21]
	s_cbranch_execz .LBB2202_225
.LBB2202_288:
	v_sub_u32_e32 v1, v28, v44
	v_lshlrev_b32_e32 v1, 1, v1
	ds_write_b16_d16_hi v1, v3
	s_or_b64 exec, exec, s[22:23]
	s_and_saveexec_b64 s[20:21], s[18:19]
	s_cbranch_execz .LBB2202_226
.LBB2202_289:
	v_sub_u32_e32 v1, v21, v44
	v_lshlrev_b32_e32 v1, 1, v1
	ds_write_b16 v1, v4
	s_or_b64 exec, exec, s[20:21]
	s_and_saveexec_b64 s[18:19], s[16:17]
	s_cbranch_execz .LBB2202_227
.LBB2202_290:
	v_sub_u32_e32 v1, v20, v44
	v_lshlrev_b32_e32 v1, 1, v1
	ds_write_b16_d16_hi v1, v4
	s_or_b64 exec, exec, s[18:19]
	s_and_saveexec_b64 s[16:17], s[14:15]
	s_cbranch_execz .LBB2202_228
.LBB2202_291:
	v_sub_u32_e32 v1, v19, v44
	v_lshlrev_b32_e32 v1, 1, v1
	ds_write_b16 v1, v5
	s_or_b64 exec, exec, s[16:17]
	s_and_saveexec_b64 s[14:15], s[12:13]
	s_cbranch_execz .LBB2202_229
.LBB2202_292:
	v_sub_u32_e32 v1, v18, v44
	v_lshlrev_b32_e32 v1, 1, v1
	ds_write_b16_d16_hi v1, v5
	s_or_b64 exec, exec, s[14:15]
	s_and_saveexec_b64 s[12:13], s[10:11]
	s_cbranch_execz .LBB2202_230
.LBB2202_293:
	v_sub_u32_e32 v1, v17, v44
	v_lshlrev_b32_e32 v1, 1, v1
	ds_write_b16 v1, v22
	s_or_b64 exec, exec, s[12:13]
	s_and_saveexec_b64 s[10:11], s[8:9]
	s_cbranch_execz .LBB2202_231
.LBB2202_294:
	v_sub_u32_e32 v1, v16, v44
	v_lshlrev_b32_e32 v1, 1, v1
	ds_write_b16_d16_hi v1, v22
	s_or_b64 exec, exec, s[10:11]
	s_and_saveexec_b64 s[8:9], s[6:7]
	s_cbranch_execz .LBB2202_232
.LBB2202_295:
	v_sub_u32_e32 v1, v15, v44
	v_lshlrev_b32_e32 v1, 1, v1
	ds_write_b16 v1, v23
	s_or_b64 exec, exec, s[8:9]
	s_and_saveexec_b64 s[6:7], s[4:5]
	s_cbranch_execz .LBB2202_233
.LBB2202_296:
	v_sub_u32_e32 v1, v14, v44
	v_lshlrev_b32_e32 v1, 1, v1
	ds_write_b16_d16_hi v1, v23
	s_or_b64 exec, exec, s[6:7]
	s_and_saveexec_b64 s[4:5], s[2:3]
	s_cbranch_execnz .LBB2202_234
	s_branch .LBB2202_235
.LBB2202_297:
	v_sub_u32_e32 v22, v90, v10
	v_mov_b32_e32 v23, 0
	v_lshlrev_b64 v[22:23], 3, v[22:23]
	v_add_co_u32_e32 v22, vcc, v6, v22
	v_addc_co_u32_e32 v23, vcc, v7, v23, vcc
	global_store_dwordx2 v[22:23], v[70:71], off
	s_or_b64 exec, exec, s[38:39]
	s_and_saveexec_b64 s[38:39], s[26:27]
	s_cbranch_execz .LBB2202_239
.LBB2202_298:
	v_sub_u32_e32 v22, v31, v10
	v_mov_b32_e32 v23, 0
	v_lshlrev_b64 v[22:23], 3, v[22:23]
	v_add_co_u32_e32 v22, vcc, v6, v22
	v_addc_co_u32_e32 v23, vcc, v7, v23, vcc
	global_store_dwordx2 v[22:23], v[46:47], off
	s_or_b64 exec, exec, s[38:39]
	s_and_saveexec_b64 s[38:39], s[24:25]
	s_cbranch_execz .LBB2202_240
.LBB2202_299:
	v_sub_u32_e32 v22, v30, v10
	v_mov_b32_e32 v23, 0
	v_lshlrev_b64 v[22:23], 3, v[22:23]
	v_add_co_u32_e32 v22, vcc, v6, v22
	v_addc_co_u32_e32 v23, vcc, v7, v23, vcc
	global_store_dwordx2 v[22:23], v[48:49], off
	s_or_b64 exec, exec, s[38:39]
	s_and_saveexec_b64 s[38:39], s[22:23]
	s_cbranch_execz .LBB2202_241
.LBB2202_300:
	v_sub_u32_e32 v22, v29, v10
	v_mov_b32_e32 v23, 0
	v_lshlrev_b64 v[22:23], 3, v[22:23]
	v_add_co_u32_e32 v22, vcc, v6, v22
	v_addc_co_u32_e32 v23, vcc, v7, v23, vcc
	global_store_dwordx2 v[22:23], v[50:51], off
	s_or_b64 exec, exec, s[38:39]
	s_and_saveexec_b64 s[38:39], s[20:21]
	s_cbranch_execz .LBB2202_242
.LBB2202_301:
	v_sub_u32_e32 v22, v28, v10
	v_mov_b32_e32 v23, 0
	v_lshlrev_b64 v[22:23], 3, v[22:23]
	v_add_co_u32_e32 v22, vcc, v6, v22
	v_addc_co_u32_e32 v23, vcc, v7, v23, vcc
	global_store_dwordx2 v[22:23], v[52:53], off
	s_or_b64 exec, exec, s[38:39]
	s_and_saveexec_b64 s[38:39], s[18:19]
	s_cbranch_execz .LBB2202_243
.LBB2202_302:
	v_sub_u32_e32 v22, v21, v10
	v_mov_b32_e32 v23, 0
	v_lshlrev_b64 v[22:23], 3, v[22:23]
	v_add_co_u32_e32 v22, vcc, v6, v22
	v_addc_co_u32_e32 v23, vcc, v7, v23, vcc
	global_store_dwordx2 v[22:23], v[54:55], off
	s_or_b64 exec, exec, s[38:39]
	s_and_saveexec_b64 s[38:39], s[16:17]
	s_cbranch_execz .LBB2202_244
.LBB2202_303:
	v_sub_u32_e32 v22, v20, v10
	v_mov_b32_e32 v23, 0
	v_lshlrev_b64 v[22:23], 3, v[22:23]
	v_add_co_u32_e32 v22, vcc, v6, v22
	v_addc_co_u32_e32 v23, vcc, v7, v23, vcc
	global_store_dwordx2 v[22:23], v[56:57], off
	s_or_b64 exec, exec, s[38:39]
	s_and_saveexec_b64 s[38:39], s[14:15]
	s_cbranch_execz .LBB2202_245
.LBB2202_304:
	v_sub_u32_e32 v22, v19, v10
	v_mov_b32_e32 v23, 0
	v_lshlrev_b64 v[22:23], 3, v[22:23]
	v_add_co_u32_e32 v22, vcc, v6, v22
	v_addc_co_u32_e32 v23, vcc, v7, v23, vcc
	global_store_dwordx2 v[22:23], v[58:59], off
	s_or_b64 exec, exec, s[38:39]
	s_and_saveexec_b64 s[38:39], s[12:13]
	s_cbranch_execz .LBB2202_246
.LBB2202_305:
	v_sub_u32_e32 v22, v18, v10
	v_mov_b32_e32 v23, 0
	v_lshlrev_b64 v[22:23], 3, v[22:23]
	v_add_co_u32_e32 v22, vcc, v6, v22
	v_addc_co_u32_e32 v23, vcc, v7, v23, vcc
	global_store_dwordx2 v[22:23], v[60:61], off
	s_or_b64 exec, exec, s[38:39]
	s_and_saveexec_b64 s[38:39], s[10:11]
	s_cbranch_execz .LBB2202_247
.LBB2202_306:
	v_sub_u32_e32 v22, v17, v10
	v_mov_b32_e32 v23, 0
	v_lshlrev_b64 v[22:23], 3, v[22:23]
	v_add_co_u32_e32 v22, vcc, v6, v22
	v_addc_co_u32_e32 v23, vcc, v7, v23, vcc
	global_store_dwordx2 v[22:23], v[62:63], off
	s_or_b64 exec, exec, s[38:39]
	s_and_saveexec_b64 s[38:39], s[8:9]
	s_cbranch_execz .LBB2202_248
.LBB2202_307:
	v_sub_u32_e32 v22, v16, v10
	v_mov_b32_e32 v23, 0
	v_lshlrev_b64 v[22:23], 3, v[22:23]
	v_add_co_u32_e32 v22, vcc, v6, v22
	v_addc_co_u32_e32 v23, vcc, v7, v23, vcc
	global_store_dwordx2 v[22:23], v[64:65], off
	s_or_b64 exec, exec, s[38:39]
	s_and_saveexec_b64 s[38:39], s[6:7]
	s_cbranch_execz .LBB2202_249
.LBB2202_308:
	v_sub_u32_e32 v22, v15, v10
	v_mov_b32_e32 v23, 0
	v_lshlrev_b64 v[22:23], 3, v[22:23]
	v_add_co_u32_e32 v22, vcc, v6, v22
	v_addc_co_u32_e32 v23, vcc, v7, v23, vcc
	global_store_dwordx2 v[22:23], v[66:67], off
	s_or_b64 exec, exec, s[38:39]
	s_and_saveexec_b64 s[38:39], s[4:5]
	s_cbranch_execz .LBB2202_250
.LBB2202_309:
	v_sub_u32_e32 v22, v14, v10
	v_mov_b32_e32 v23, 0
	v_lshlrev_b64 v[22:23], 3, v[22:23]
	v_add_co_u32_e32 v22, vcc, v6, v22
	v_addc_co_u32_e32 v23, vcc, v7, v23, vcc
	global_store_dwordx2 v[22:23], v[68:69], off
	s_or_b64 exec, exec, s[38:39]
	s_and_saveexec_b64 s[38:39], s[2:3]
	s_cbranch_execnz .LBB2202_251
	s_branch .LBB2202_252
.LBB2202_310:
	v_sub_u32_e32 v11, v90, v10
	v_lshlrev_b32_e32 v11, 3, v11
	ds_write_b64 v11, v[70:71]
	s_or_b64 exec, exec, s[38:39]
	s_and_saveexec_b64 s[28:29], s[26:27]
	s_cbranch_execz .LBB2202_256
.LBB2202_311:
	v_sub_u32_e32 v11, v31, v10
	v_lshlrev_b32_e32 v11, 3, v11
	ds_write_b64 v11, v[46:47]
	s_or_b64 exec, exec, s[28:29]
	s_and_saveexec_b64 s[26:27], s[24:25]
	s_cbranch_execz .LBB2202_257
.LBB2202_312:
	v_sub_u32_e32 v11, v30, v10
	v_lshlrev_b32_e32 v11, 3, v11
	ds_write_b64 v11, v[48:49]
	s_or_b64 exec, exec, s[26:27]
	s_and_saveexec_b64 s[24:25], s[22:23]
	s_cbranch_execz .LBB2202_258
.LBB2202_313:
	v_sub_u32_e32 v11, v29, v10
	v_lshlrev_b32_e32 v11, 3, v11
	ds_write_b64 v11, v[50:51]
	s_or_b64 exec, exec, s[24:25]
	s_and_saveexec_b64 s[22:23], s[20:21]
	s_cbranch_execz .LBB2202_259
.LBB2202_314:
	v_sub_u32_e32 v11, v28, v10
	v_lshlrev_b32_e32 v11, 3, v11
	ds_write_b64 v11, v[52:53]
	s_or_b64 exec, exec, s[22:23]
	s_and_saveexec_b64 s[20:21], s[18:19]
	s_cbranch_execz .LBB2202_260
.LBB2202_315:
	v_sub_u32_e32 v11, v21, v10
	v_lshlrev_b32_e32 v11, 3, v11
	ds_write_b64 v11, v[54:55]
	s_or_b64 exec, exec, s[20:21]
	s_and_saveexec_b64 s[18:19], s[16:17]
	s_cbranch_execz .LBB2202_261
.LBB2202_316:
	v_sub_u32_e32 v11, v20, v10
	v_lshlrev_b32_e32 v11, 3, v11
	ds_write_b64 v11, v[56:57]
	s_or_b64 exec, exec, s[18:19]
	s_and_saveexec_b64 s[16:17], s[14:15]
	s_cbranch_execz .LBB2202_262
.LBB2202_317:
	v_sub_u32_e32 v11, v19, v10
	v_lshlrev_b32_e32 v11, 3, v11
	ds_write_b64 v11, v[58:59]
	s_or_b64 exec, exec, s[16:17]
	s_and_saveexec_b64 s[14:15], s[12:13]
	s_cbranch_execz .LBB2202_263
.LBB2202_318:
	v_sub_u32_e32 v11, v18, v10
	v_lshlrev_b32_e32 v11, 3, v11
	ds_write_b64 v11, v[60:61]
	s_or_b64 exec, exec, s[14:15]
	s_and_saveexec_b64 s[12:13], s[10:11]
	s_cbranch_execz .LBB2202_264
.LBB2202_319:
	v_sub_u32_e32 v11, v17, v10
	v_lshlrev_b32_e32 v11, 3, v11
	ds_write_b64 v11, v[62:63]
	s_or_b64 exec, exec, s[12:13]
	s_and_saveexec_b64 s[10:11], s[8:9]
	s_cbranch_execz .LBB2202_265
.LBB2202_320:
	v_sub_u32_e32 v11, v16, v10
	v_lshlrev_b32_e32 v11, 3, v11
	ds_write_b64 v11, v[64:65]
	s_or_b64 exec, exec, s[10:11]
	s_and_saveexec_b64 s[8:9], s[6:7]
	s_cbranch_execz .LBB2202_266
.LBB2202_321:
	v_sub_u32_e32 v11, v15, v10
	v_lshlrev_b32_e32 v11, 3, v11
	ds_write_b64 v11, v[66:67]
	s_or_b64 exec, exec, s[8:9]
	s_and_saveexec_b64 s[6:7], s[4:5]
	s_cbranch_execz .LBB2202_267
.LBB2202_322:
	v_sub_u32_e32 v11, v14, v10
	v_lshlrev_b32_e32 v11, 3, v11
	ds_write_b64 v11, v[68:69]
	s_or_b64 exec, exec, s[6:7]
	s_and_saveexec_b64 s[4:5], s[2:3]
	s_cbranch_execnz .LBB2202_268
	s_branch .LBB2202_269
	.section	.rodata,"a",@progbits
	.p2align	6, 0x0
	.amdhsa_kernel _ZN7rocprim17ROCPRIM_400000_NS6detail17trampoline_kernelINS0_14default_configENS1_29reduce_by_key_config_selectorIN3c104HalfElN6thrust23THRUST_200600_302600_NS4plusIlEEEEZZNS1_33reduce_by_key_impl_wrapped_configILNS1_25lookback_scan_determinismE0ES3_SB_PS6_NS8_17constant_iteratorIiNS8_11use_defaultESG_EENS8_10device_ptrIS6_EENSI_IlEEPmSA_NS8_8equal_toIS6_EEEE10hipError_tPvRmT2_T3_mT4_T5_T6_T7_T8_P12ihipStream_tbENKUlT_T0_E_clISt17integral_constantIbLb0EES15_EEDaS10_S11_EUlS10_E_NS1_11comp_targetILNS1_3genE4ELNS1_11target_archE910ELNS1_3gpuE8ELNS1_3repE0EEENS1_30default_config_static_selectorELNS0_4arch9wavefront6targetE1EEEvT1_
		.amdhsa_group_segment_fixed_size 30720
		.amdhsa_private_segment_fixed_size 0
		.amdhsa_kernarg_size 144
		.amdhsa_user_sgpr_count 6
		.amdhsa_user_sgpr_private_segment_buffer 1
		.amdhsa_user_sgpr_dispatch_ptr 0
		.amdhsa_user_sgpr_queue_ptr 0
		.amdhsa_user_sgpr_kernarg_segment_ptr 1
		.amdhsa_user_sgpr_dispatch_id 0
		.amdhsa_user_sgpr_flat_scratch_init 0
		.amdhsa_user_sgpr_kernarg_preload_length 0
		.amdhsa_user_sgpr_kernarg_preload_offset 0
		.amdhsa_user_sgpr_private_segment_size 0
		.amdhsa_uses_dynamic_stack 0
		.amdhsa_system_sgpr_private_segment_wavefront_offset 0
		.amdhsa_system_sgpr_workgroup_id_x 1
		.amdhsa_system_sgpr_workgroup_id_y 0
		.amdhsa_system_sgpr_workgroup_id_z 0
		.amdhsa_system_sgpr_workgroup_info 0
		.amdhsa_system_vgpr_workitem_id 0
		.amdhsa_next_free_vgpr 127
		.amdhsa_next_free_sgpr 64
		.amdhsa_accum_offset 128
		.amdhsa_reserve_vcc 1
		.amdhsa_reserve_flat_scratch 0
		.amdhsa_float_round_mode_32 0
		.amdhsa_float_round_mode_16_64 0
		.amdhsa_float_denorm_mode_32 3
		.amdhsa_float_denorm_mode_16_64 3
		.amdhsa_dx10_clamp 1
		.amdhsa_ieee_mode 1
		.amdhsa_fp16_overflow 0
		.amdhsa_tg_split 0
		.amdhsa_exception_fp_ieee_invalid_op 0
		.amdhsa_exception_fp_denorm_src 0
		.amdhsa_exception_fp_ieee_div_zero 0
		.amdhsa_exception_fp_ieee_overflow 0
		.amdhsa_exception_fp_ieee_underflow 0
		.amdhsa_exception_fp_ieee_inexact 0
		.amdhsa_exception_int_div_zero 0
	.end_amdhsa_kernel
	.section	.text._ZN7rocprim17ROCPRIM_400000_NS6detail17trampoline_kernelINS0_14default_configENS1_29reduce_by_key_config_selectorIN3c104HalfElN6thrust23THRUST_200600_302600_NS4plusIlEEEEZZNS1_33reduce_by_key_impl_wrapped_configILNS1_25lookback_scan_determinismE0ES3_SB_PS6_NS8_17constant_iteratorIiNS8_11use_defaultESG_EENS8_10device_ptrIS6_EENSI_IlEEPmSA_NS8_8equal_toIS6_EEEE10hipError_tPvRmT2_T3_mT4_T5_T6_T7_T8_P12ihipStream_tbENKUlT_T0_E_clISt17integral_constantIbLb0EES15_EEDaS10_S11_EUlS10_E_NS1_11comp_targetILNS1_3genE4ELNS1_11target_archE910ELNS1_3gpuE8ELNS1_3repE0EEENS1_30default_config_static_selectorELNS0_4arch9wavefront6targetE1EEEvT1_,"axG",@progbits,_ZN7rocprim17ROCPRIM_400000_NS6detail17trampoline_kernelINS0_14default_configENS1_29reduce_by_key_config_selectorIN3c104HalfElN6thrust23THRUST_200600_302600_NS4plusIlEEEEZZNS1_33reduce_by_key_impl_wrapped_configILNS1_25lookback_scan_determinismE0ES3_SB_PS6_NS8_17constant_iteratorIiNS8_11use_defaultESG_EENS8_10device_ptrIS6_EENSI_IlEEPmSA_NS8_8equal_toIS6_EEEE10hipError_tPvRmT2_T3_mT4_T5_T6_T7_T8_P12ihipStream_tbENKUlT_T0_E_clISt17integral_constantIbLb0EES15_EEDaS10_S11_EUlS10_E_NS1_11comp_targetILNS1_3genE4ELNS1_11target_archE910ELNS1_3gpuE8ELNS1_3repE0EEENS1_30default_config_static_selectorELNS0_4arch9wavefront6targetE1EEEvT1_,comdat
.Lfunc_end2202:
	.size	_ZN7rocprim17ROCPRIM_400000_NS6detail17trampoline_kernelINS0_14default_configENS1_29reduce_by_key_config_selectorIN3c104HalfElN6thrust23THRUST_200600_302600_NS4plusIlEEEEZZNS1_33reduce_by_key_impl_wrapped_configILNS1_25lookback_scan_determinismE0ES3_SB_PS6_NS8_17constant_iteratorIiNS8_11use_defaultESG_EENS8_10device_ptrIS6_EENSI_IlEEPmSA_NS8_8equal_toIS6_EEEE10hipError_tPvRmT2_T3_mT4_T5_T6_T7_T8_P12ihipStream_tbENKUlT_T0_E_clISt17integral_constantIbLb0EES15_EEDaS10_S11_EUlS10_E_NS1_11comp_targetILNS1_3genE4ELNS1_11target_archE910ELNS1_3gpuE8ELNS1_3repE0EEENS1_30default_config_static_selectorELNS0_4arch9wavefront6targetE1EEEvT1_, .Lfunc_end2202-_ZN7rocprim17ROCPRIM_400000_NS6detail17trampoline_kernelINS0_14default_configENS1_29reduce_by_key_config_selectorIN3c104HalfElN6thrust23THRUST_200600_302600_NS4plusIlEEEEZZNS1_33reduce_by_key_impl_wrapped_configILNS1_25lookback_scan_determinismE0ES3_SB_PS6_NS8_17constant_iteratorIiNS8_11use_defaultESG_EENS8_10device_ptrIS6_EENSI_IlEEPmSA_NS8_8equal_toIS6_EEEE10hipError_tPvRmT2_T3_mT4_T5_T6_T7_T8_P12ihipStream_tbENKUlT_T0_E_clISt17integral_constantIbLb0EES15_EEDaS10_S11_EUlS10_E_NS1_11comp_targetILNS1_3genE4ELNS1_11target_archE910ELNS1_3gpuE8ELNS1_3repE0EEENS1_30default_config_static_selectorELNS0_4arch9wavefront6targetE1EEEvT1_
                                        ; -- End function
	.section	.AMDGPU.csdata,"",@progbits
; Kernel info:
; codeLenInByte = 17072
; NumSgprs: 68
; NumVgprs: 127
; NumAgprs: 0
; TotalNumVgprs: 127
; ScratchSize: 0
; MemoryBound: 0
; FloatMode: 240
; IeeeMode: 1
; LDSByteSize: 30720 bytes/workgroup (compile time only)
; SGPRBlocks: 8
; VGPRBlocks: 15
; NumSGPRsForWavesPerEU: 68
; NumVGPRsForWavesPerEU: 127
; AccumOffset: 128
; Occupancy: 2
; WaveLimiterHint : 1
; COMPUTE_PGM_RSRC2:SCRATCH_EN: 0
; COMPUTE_PGM_RSRC2:USER_SGPR: 6
; COMPUTE_PGM_RSRC2:TRAP_HANDLER: 0
; COMPUTE_PGM_RSRC2:TGID_X_EN: 1
; COMPUTE_PGM_RSRC2:TGID_Y_EN: 0
; COMPUTE_PGM_RSRC2:TGID_Z_EN: 0
; COMPUTE_PGM_RSRC2:TIDIG_COMP_CNT: 0
; COMPUTE_PGM_RSRC3_GFX90A:ACCUM_OFFSET: 31
; COMPUTE_PGM_RSRC3_GFX90A:TG_SPLIT: 0
	.section	.text._ZN7rocprim17ROCPRIM_400000_NS6detail17trampoline_kernelINS0_14default_configENS1_29reduce_by_key_config_selectorIN3c104HalfElN6thrust23THRUST_200600_302600_NS4plusIlEEEEZZNS1_33reduce_by_key_impl_wrapped_configILNS1_25lookback_scan_determinismE0ES3_SB_PS6_NS8_17constant_iteratorIiNS8_11use_defaultESG_EENS8_10device_ptrIS6_EENSI_IlEEPmSA_NS8_8equal_toIS6_EEEE10hipError_tPvRmT2_T3_mT4_T5_T6_T7_T8_P12ihipStream_tbENKUlT_T0_E_clISt17integral_constantIbLb0EES15_EEDaS10_S11_EUlS10_E_NS1_11comp_targetILNS1_3genE3ELNS1_11target_archE908ELNS1_3gpuE7ELNS1_3repE0EEENS1_30default_config_static_selectorELNS0_4arch9wavefront6targetE1EEEvT1_,"axG",@progbits,_ZN7rocprim17ROCPRIM_400000_NS6detail17trampoline_kernelINS0_14default_configENS1_29reduce_by_key_config_selectorIN3c104HalfElN6thrust23THRUST_200600_302600_NS4plusIlEEEEZZNS1_33reduce_by_key_impl_wrapped_configILNS1_25lookback_scan_determinismE0ES3_SB_PS6_NS8_17constant_iteratorIiNS8_11use_defaultESG_EENS8_10device_ptrIS6_EENSI_IlEEPmSA_NS8_8equal_toIS6_EEEE10hipError_tPvRmT2_T3_mT4_T5_T6_T7_T8_P12ihipStream_tbENKUlT_T0_E_clISt17integral_constantIbLb0EES15_EEDaS10_S11_EUlS10_E_NS1_11comp_targetILNS1_3genE3ELNS1_11target_archE908ELNS1_3gpuE7ELNS1_3repE0EEENS1_30default_config_static_selectorELNS0_4arch9wavefront6targetE1EEEvT1_,comdat
	.protected	_ZN7rocprim17ROCPRIM_400000_NS6detail17trampoline_kernelINS0_14default_configENS1_29reduce_by_key_config_selectorIN3c104HalfElN6thrust23THRUST_200600_302600_NS4plusIlEEEEZZNS1_33reduce_by_key_impl_wrapped_configILNS1_25lookback_scan_determinismE0ES3_SB_PS6_NS8_17constant_iteratorIiNS8_11use_defaultESG_EENS8_10device_ptrIS6_EENSI_IlEEPmSA_NS8_8equal_toIS6_EEEE10hipError_tPvRmT2_T3_mT4_T5_T6_T7_T8_P12ihipStream_tbENKUlT_T0_E_clISt17integral_constantIbLb0EES15_EEDaS10_S11_EUlS10_E_NS1_11comp_targetILNS1_3genE3ELNS1_11target_archE908ELNS1_3gpuE7ELNS1_3repE0EEENS1_30default_config_static_selectorELNS0_4arch9wavefront6targetE1EEEvT1_ ; -- Begin function _ZN7rocprim17ROCPRIM_400000_NS6detail17trampoline_kernelINS0_14default_configENS1_29reduce_by_key_config_selectorIN3c104HalfElN6thrust23THRUST_200600_302600_NS4plusIlEEEEZZNS1_33reduce_by_key_impl_wrapped_configILNS1_25lookback_scan_determinismE0ES3_SB_PS6_NS8_17constant_iteratorIiNS8_11use_defaultESG_EENS8_10device_ptrIS6_EENSI_IlEEPmSA_NS8_8equal_toIS6_EEEE10hipError_tPvRmT2_T3_mT4_T5_T6_T7_T8_P12ihipStream_tbENKUlT_T0_E_clISt17integral_constantIbLb0EES15_EEDaS10_S11_EUlS10_E_NS1_11comp_targetILNS1_3genE3ELNS1_11target_archE908ELNS1_3gpuE7ELNS1_3repE0EEENS1_30default_config_static_selectorELNS0_4arch9wavefront6targetE1EEEvT1_
	.globl	_ZN7rocprim17ROCPRIM_400000_NS6detail17trampoline_kernelINS0_14default_configENS1_29reduce_by_key_config_selectorIN3c104HalfElN6thrust23THRUST_200600_302600_NS4plusIlEEEEZZNS1_33reduce_by_key_impl_wrapped_configILNS1_25lookback_scan_determinismE0ES3_SB_PS6_NS8_17constant_iteratorIiNS8_11use_defaultESG_EENS8_10device_ptrIS6_EENSI_IlEEPmSA_NS8_8equal_toIS6_EEEE10hipError_tPvRmT2_T3_mT4_T5_T6_T7_T8_P12ihipStream_tbENKUlT_T0_E_clISt17integral_constantIbLb0EES15_EEDaS10_S11_EUlS10_E_NS1_11comp_targetILNS1_3genE3ELNS1_11target_archE908ELNS1_3gpuE7ELNS1_3repE0EEENS1_30default_config_static_selectorELNS0_4arch9wavefront6targetE1EEEvT1_
	.p2align	8
	.type	_ZN7rocprim17ROCPRIM_400000_NS6detail17trampoline_kernelINS0_14default_configENS1_29reduce_by_key_config_selectorIN3c104HalfElN6thrust23THRUST_200600_302600_NS4plusIlEEEEZZNS1_33reduce_by_key_impl_wrapped_configILNS1_25lookback_scan_determinismE0ES3_SB_PS6_NS8_17constant_iteratorIiNS8_11use_defaultESG_EENS8_10device_ptrIS6_EENSI_IlEEPmSA_NS8_8equal_toIS6_EEEE10hipError_tPvRmT2_T3_mT4_T5_T6_T7_T8_P12ihipStream_tbENKUlT_T0_E_clISt17integral_constantIbLb0EES15_EEDaS10_S11_EUlS10_E_NS1_11comp_targetILNS1_3genE3ELNS1_11target_archE908ELNS1_3gpuE7ELNS1_3repE0EEENS1_30default_config_static_selectorELNS0_4arch9wavefront6targetE1EEEvT1_,@function
_ZN7rocprim17ROCPRIM_400000_NS6detail17trampoline_kernelINS0_14default_configENS1_29reduce_by_key_config_selectorIN3c104HalfElN6thrust23THRUST_200600_302600_NS4plusIlEEEEZZNS1_33reduce_by_key_impl_wrapped_configILNS1_25lookback_scan_determinismE0ES3_SB_PS6_NS8_17constant_iteratorIiNS8_11use_defaultESG_EENS8_10device_ptrIS6_EENSI_IlEEPmSA_NS8_8equal_toIS6_EEEE10hipError_tPvRmT2_T3_mT4_T5_T6_T7_T8_P12ihipStream_tbENKUlT_T0_E_clISt17integral_constantIbLb0EES15_EEDaS10_S11_EUlS10_E_NS1_11comp_targetILNS1_3genE3ELNS1_11target_archE908ELNS1_3gpuE7ELNS1_3repE0EEENS1_30default_config_static_selectorELNS0_4arch9wavefront6targetE1EEEvT1_: ; @_ZN7rocprim17ROCPRIM_400000_NS6detail17trampoline_kernelINS0_14default_configENS1_29reduce_by_key_config_selectorIN3c104HalfElN6thrust23THRUST_200600_302600_NS4plusIlEEEEZZNS1_33reduce_by_key_impl_wrapped_configILNS1_25lookback_scan_determinismE0ES3_SB_PS6_NS8_17constant_iteratorIiNS8_11use_defaultESG_EENS8_10device_ptrIS6_EENSI_IlEEPmSA_NS8_8equal_toIS6_EEEE10hipError_tPvRmT2_T3_mT4_T5_T6_T7_T8_P12ihipStream_tbENKUlT_T0_E_clISt17integral_constantIbLb0EES15_EEDaS10_S11_EUlS10_E_NS1_11comp_targetILNS1_3genE3ELNS1_11target_archE908ELNS1_3gpuE7ELNS1_3repE0EEENS1_30default_config_static_selectorELNS0_4arch9wavefront6targetE1EEEvT1_
; %bb.0:
	.section	.rodata,"a",@progbits
	.p2align	6, 0x0
	.amdhsa_kernel _ZN7rocprim17ROCPRIM_400000_NS6detail17trampoline_kernelINS0_14default_configENS1_29reduce_by_key_config_selectorIN3c104HalfElN6thrust23THRUST_200600_302600_NS4plusIlEEEEZZNS1_33reduce_by_key_impl_wrapped_configILNS1_25lookback_scan_determinismE0ES3_SB_PS6_NS8_17constant_iteratorIiNS8_11use_defaultESG_EENS8_10device_ptrIS6_EENSI_IlEEPmSA_NS8_8equal_toIS6_EEEE10hipError_tPvRmT2_T3_mT4_T5_T6_T7_T8_P12ihipStream_tbENKUlT_T0_E_clISt17integral_constantIbLb0EES15_EEDaS10_S11_EUlS10_E_NS1_11comp_targetILNS1_3genE3ELNS1_11target_archE908ELNS1_3gpuE7ELNS1_3repE0EEENS1_30default_config_static_selectorELNS0_4arch9wavefront6targetE1EEEvT1_
		.amdhsa_group_segment_fixed_size 0
		.amdhsa_private_segment_fixed_size 0
		.amdhsa_kernarg_size 144
		.amdhsa_user_sgpr_count 6
		.amdhsa_user_sgpr_private_segment_buffer 1
		.amdhsa_user_sgpr_dispatch_ptr 0
		.amdhsa_user_sgpr_queue_ptr 0
		.amdhsa_user_sgpr_kernarg_segment_ptr 1
		.amdhsa_user_sgpr_dispatch_id 0
		.amdhsa_user_sgpr_flat_scratch_init 0
		.amdhsa_user_sgpr_kernarg_preload_length 0
		.amdhsa_user_sgpr_kernarg_preload_offset 0
		.amdhsa_user_sgpr_private_segment_size 0
		.amdhsa_uses_dynamic_stack 0
		.amdhsa_system_sgpr_private_segment_wavefront_offset 0
		.amdhsa_system_sgpr_workgroup_id_x 1
		.amdhsa_system_sgpr_workgroup_id_y 0
		.amdhsa_system_sgpr_workgroup_id_z 0
		.amdhsa_system_sgpr_workgroup_info 0
		.amdhsa_system_vgpr_workitem_id 0
		.amdhsa_next_free_vgpr 1
		.amdhsa_next_free_sgpr 0
		.amdhsa_accum_offset 4
		.amdhsa_reserve_vcc 0
		.amdhsa_reserve_flat_scratch 0
		.amdhsa_float_round_mode_32 0
		.amdhsa_float_round_mode_16_64 0
		.amdhsa_float_denorm_mode_32 3
		.amdhsa_float_denorm_mode_16_64 3
		.amdhsa_dx10_clamp 1
		.amdhsa_ieee_mode 1
		.amdhsa_fp16_overflow 0
		.amdhsa_tg_split 0
		.amdhsa_exception_fp_ieee_invalid_op 0
		.amdhsa_exception_fp_denorm_src 0
		.amdhsa_exception_fp_ieee_div_zero 0
		.amdhsa_exception_fp_ieee_overflow 0
		.amdhsa_exception_fp_ieee_underflow 0
		.amdhsa_exception_fp_ieee_inexact 0
		.amdhsa_exception_int_div_zero 0
	.end_amdhsa_kernel
	.section	.text._ZN7rocprim17ROCPRIM_400000_NS6detail17trampoline_kernelINS0_14default_configENS1_29reduce_by_key_config_selectorIN3c104HalfElN6thrust23THRUST_200600_302600_NS4plusIlEEEEZZNS1_33reduce_by_key_impl_wrapped_configILNS1_25lookback_scan_determinismE0ES3_SB_PS6_NS8_17constant_iteratorIiNS8_11use_defaultESG_EENS8_10device_ptrIS6_EENSI_IlEEPmSA_NS8_8equal_toIS6_EEEE10hipError_tPvRmT2_T3_mT4_T5_T6_T7_T8_P12ihipStream_tbENKUlT_T0_E_clISt17integral_constantIbLb0EES15_EEDaS10_S11_EUlS10_E_NS1_11comp_targetILNS1_3genE3ELNS1_11target_archE908ELNS1_3gpuE7ELNS1_3repE0EEENS1_30default_config_static_selectorELNS0_4arch9wavefront6targetE1EEEvT1_,"axG",@progbits,_ZN7rocprim17ROCPRIM_400000_NS6detail17trampoline_kernelINS0_14default_configENS1_29reduce_by_key_config_selectorIN3c104HalfElN6thrust23THRUST_200600_302600_NS4plusIlEEEEZZNS1_33reduce_by_key_impl_wrapped_configILNS1_25lookback_scan_determinismE0ES3_SB_PS6_NS8_17constant_iteratorIiNS8_11use_defaultESG_EENS8_10device_ptrIS6_EENSI_IlEEPmSA_NS8_8equal_toIS6_EEEE10hipError_tPvRmT2_T3_mT4_T5_T6_T7_T8_P12ihipStream_tbENKUlT_T0_E_clISt17integral_constantIbLb0EES15_EEDaS10_S11_EUlS10_E_NS1_11comp_targetILNS1_3genE3ELNS1_11target_archE908ELNS1_3gpuE7ELNS1_3repE0EEENS1_30default_config_static_selectorELNS0_4arch9wavefront6targetE1EEEvT1_,comdat
.Lfunc_end2203:
	.size	_ZN7rocprim17ROCPRIM_400000_NS6detail17trampoline_kernelINS0_14default_configENS1_29reduce_by_key_config_selectorIN3c104HalfElN6thrust23THRUST_200600_302600_NS4plusIlEEEEZZNS1_33reduce_by_key_impl_wrapped_configILNS1_25lookback_scan_determinismE0ES3_SB_PS6_NS8_17constant_iteratorIiNS8_11use_defaultESG_EENS8_10device_ptrIS6_EENSI_IlEEPmSA_NS8_8equal_toIS6_EEEE10hipError_tPvRmT2_T3_mT4_T5_T6_T7_T8_P12ihipStream_tbENKUlT_T0_E_clISt17integral_constantIbLb0EES15_EEDaS10_S11_EUlS10_E_NS1_11comp_targetILNS1_3genE3ELNS1_11target_archE908ELNS1_3gpuE7ELNS1_3repE0EEENS1_30default_config_static_selectorELNS0_4arch9wavefront6targetE1EEEvT1_, .Lfunc_end2203-_ZN7rocprim17ROCPRIM_400000_NS6detail17trampoline_kernelINS0_14default_configENS1_29reduce_by_key_config_selectorIN3c104HalfElN6thrust23THRUST_200600_302600_NS4plusIlEEEEZZNS1_33reduce_by_key_impl_wrapped_configILNS1_25lookback_scan_determinismE0ES3_SB_PS6_NS8_17constant_iteratorIiNS8_11use_defaultESG_EENS8_10device_ptrIS6_EENSI_IlEEPmSA_NS8_8equal_toIS6_EEEE10hipError_tPvRmT2_T3_mT4_T5_T6_T7_T8_P12ihipStream_tbENKUlT_T0_E_clISt17integral_constantIbLb0EES15_EEDaS10_S11_EUlS10_E_NS1_11comp_targetILNS1_3genE3ELNS1_11target_archE908ELNS1_3gpuE7ELNS1_3repE0EEENS1_30default_config_static_selectorELNS0_4arch9wavefront6targetE1EEEvT1_
                                        ; -- End function
	.section	.AMDGPU.csdata,"",@progbits
; Kernel info:
; codeLenInByte = 0
; NumSgprs: 4
; NumVgprs: 0
; NumAgprs: 0
; TotalNumVgprs: 0
; ScratchSize: 0
; MemoryBound: 0
; FloatMode: 240
; IeeeMode: 1
; LDSByteSize: 0 bytes/workgroup (compile time only)
; SGPRBlocks: 0
; VGPRBlocks: 0
; NumSGPRsForWavesPerEU: 4
; NumVGPRsForWavesPerEU: 1
; AccumOffset: 4
; Occupancy: 8
; WaveLimiterHint : 0
; COMPUTE_PGM_RSRC2:SCRATCH_EN: 0
; COMPUTE_PGM_RSRC2:USER_SGPR: 6
; COMPUTE_PGM_RSRC2:TRAP_HANDLER: 0
; COMPUTE_PGM_RSRC2:TGID_X_EN: 1
; COMPUTE_PGM_RSRC2:TGID_Y_EN: 0
; COMPUTE_PGM_RSRC2:TGID_Z_EN: 0
; COMPUTE_PGM_RSRC2:TIDIG_COMP_CNT: 0
; COMPUTE_PGM_RSRC3_GFX90A:ACCUM_OFFSET: 0
; COMPUTE_PGM_RSRC3_GFX90A:TG_SPLIT: 0
	.section	.text._ZN7rocprim17ROCPRIM_400000_NS6detail17trampoline_kernelINS0_14default_configENS1_29reduce_by_key_config_selectorIN3c104HalfElN6thrust23THRUST_200600_302600_NS4plusIlEEEEZZNS1_33reduce_by_key_impl_wrapped_configILNS1_25lookback_scan_determinismE0ES3_SB_PS6_NS8_17constant_iteratorIiNS8_11use_defaultESG_EENS8_10device_ptrIS6_EENSI_IlEEPmSA_NS8_8equal_toIS6_EEEE10hipError_tPvRmT2_T3_mT4_T5_T6_T7_T8_P12ihipStream_tbENKUlT_T0_E_clISt17integral_constantIbLb0EES15_EEDaS10_S11_EUlS10_E_NS1_11comp_targetILNS1_3genE2ELNS1_11target_archE906ELNS1_3gpuE6ELNS1_3repE0EEENS1_30default_config_static_selectorELNS0_4arch9wavefront6targetE1EEEvT1_,"axG",@progbits,_ZN7rocprim17ROCPRIM_400000_NS6detail17trampoline_kernelINS0_14default_configENS1_29reduce_by_key_config_selectorIN3c104HalfElN6thrust23THRUST_200600_302600_NS4plusIlEEEEZZNS1_33reduce_by_key_impl_wrapped_configILNS1_25lookback_scan_determinismE0ES3_SB_PS6_NS8_17constant_iteratorIiNS8_11use_defaultESG_EENS8_10device_ptrIS6_EENSI_IlEEPmSA_NS8_8equal_toIS6_EEEE10hipError_tPvRmT2_T3_mT4_T5_T6_T7_T8_P12ihipStream_tbENKUlT_T0_E_clISt17integral_constantIbLb0EES15_EEDaS10_S11_EUlS10_E_NS1_11comp_targetILNS1_3genE2ELNS1_11target_archE906ELNS1_3gpuE6ELNS1_3repE0EEENS1_30default_config_static_selectorELNS0_4arch9wavefront6targetE1EEEvT1_,comdat
	.protected	_ZN7rocprim17ROCPRIM_400000_NS6detail17trampoline_kernelINS0_14default_configENS1_29reduce_by_key_config_selectorIN3c104HalfElN6thrust23THRUST_200600_302600_NS4plusIlEEEEZZNS1_33reduce_by_key_impl_wrapped_configILNS1_25lookback_scan_determinismE0ES3_SB_PS6_NS8_17constant_iteratorIiNS8_11use_defaultESG_EENS8_10device_ptrIS6_EENSI_IlEEPmSA_NS8_8equal_toIS6_EEEE10hipError_tPvRmT2_T3_mT4_T5_T6_T7_T8_P12ihipStream_tbENKUlT_T0_E_clISt17integral_constantIbLb0EES15_EEDaS10_S11_EUlS10_E_NS1_11comp_targetILNS1_3genE2ELNS1_11target_archE906ELNS1_3gpuE6ELNS1_3repE0EEENS1_30default_config_static_selectorELNS0_4arch9wavefront6targetE1EEEvT1_ ; -- Begin function _ZN7rocprim17ROCPRIM_400000_NS6detail17trampoline_kernelINS0_14default_configENS1_29reduce_by_key_config_selectorIN3c104HalfElN6thrust23THRUST_200600_302600_NS4plusIlEEEEZZNS1_33reduce_by_key_impl_wrapped_configILNS1_25lookback_scan_determinismE0ES3_SB_PS6_NS8_17constant_iteratorIiNS8_11use_defaultESG_EENS8_10device_ptrIS6_EENSI_IlEEPmSA_NS8_8equal_toIS6_EEEE10hipError_tPvRmT2_T3_mT4_T5_T6_T7_T8_P12ihipStream_tbENKUlT_T0_E_clISt17integral_constantIbLb0EES15_EEDaS10_S11_EUlS10_E_NS1_11comp_targetILNS1_3genE2ELNS1_11target_archE906ELNS1_3gpuE6ELNS1_3repE0EEENS1_30default_config_static_selectorELNS0_4arch9wavefront6targetE1EEEvT1_
	.globl	_ZN7rocprim17ROCPRIM_400000_NS6detail17trampoline_kernelINS0_14default_configENS1_29reduce_by_key_config_selectorIN3c104HalfElN6thrust23THRUST_200600_302600_NS4plusIlEEEEZZNS1_33reduce_by_key_impl_wrapped_configILNS1_25lookback_scan_determinismE0ES3_SB_PS6_NS8_17constant_iteratorIiNS8_11use_defaultESG_EENS8_10device_ptrIS6_EENSI_IlEEPmSA_NS8_8equal_toIS6_EEEE10hipError_tPvRmT2_T3_mT4_T5_T6_T7_T8_P12ihipStream_tbENKUlT_T0_E_clISt17integral_constantIbLb0EES15_EEDaS10_S11_EUlS10_E_NS1_11comp_targetILNS1_3genE2ELNS1_11target_archE906ELNS1_3gpuE6ELNS1_3repE0EEENS1_30default_config_static_selectorELNS0_4arch9wavefront6targetE1EEEvT1_
	.p2align	8
	.type	_ZN7rocprim17ROCPRIM_400000_NS6detail17trampoline_kernelINS0_14default_configENS1_29reduce_by_key_config_selectorIN3c104HalfElN6thrust23THRUST_200600_302600_NS4plusIlEEEEZZNS1_33reduce_by_key_impl_wrapped_configILNS1_25lookback_scan_determinismE0ES3_SB_PS6_NS8_17constant_iteratorIiNS8_11use_defaultESG_EENS8_10device_ptrIS6_EENSI_IlEEPmSA_NS8_8equal_toIS6_EEEE10hipError_tPvRmT2_T3_mT4_T5_T6_T7_T8_P12ihipStream_tbENKUlT_T0_E_clISt17integral_constantIbLb0EES15_EEDaS10_S11_EUlS10_E_NS1_11comp_targetILNS1_3genE2ELNS1_11target_archE906ELNS1_3gpuE6ELNS1_3repE0EEENS1_30default_config_static_selectorELNS0_4arch9wavefront6targetE1EEEvT1_,@function
_ZN7rocprim17ROCPRIM_400000_NS6detail17trampoline_kernelINS0_14default_configENS1_29reduce_by_key_config_selectorIN3c104HalfElN6thrust23THRUST_200600_302600_NS4plusIlEEEEZZNS1_33reduce_by_key_impl_wrapped_configILNS1_25lookback_scan_determinismE0ES3_SB_PS6_NS8_17constant_iteratorIiNS8_11use_defaultESG_EENS8_10device_ptrIS6_EENSI_IlEEPmSA_NS8_8equal_toIS6_EEEE10hipError_tPvRmT2_T3_mT4_T5_T6_T7_T8_P12ihipStream_tbENKUlT_T0_E_clISt17integral_constantIbLb0EES15_EEDaS10_S11_EUlS10_E_NS1_11comp_targetILNS1_3genE2ELNS1_11target_archE906ELNS1_3gpuE6ELNS1_3repE0EEENS1_30default_config_static_selectorELNS0_4arch9wavefront6targetE1EEEvT1_: ; @_ZN7rocprim17ROCPRIM_400000_NS6detail17trampoline_kernelINS0_14default_configENS1_29reduce_by_key_config_selectorIN3c104HalfElN6thrust23THRUST_200600_302600_NS4plusIlEEEEZZNS1_33reduce_by_key_impl_wrapped_configILNS1_25lookback_scan_determinismE0ES3_SB_PS6_NS8_17constant_iteratorIiNS8_11use_defaultESG_EENS8_10device_ptrIS6_EENSI_IlEEPmSA_NS8_8equal_toIS6_EEEE10hipError_tPvRmT2_T3_mT4_T5_T6_T7_T8_P12ihipStream_tbENKUlT_T0_E_clISt17integral_constantIbLb0EES15_EEDaS10_S11_EUlS10_E_NS1_11comp_targetILNS1_3genE2ELNS1_11target_archE906ELNS1_3gpuE6ELNS1_3repE0EEENS1_30default_config_static_selectorELNS0_4arch9wavefront6targetE1EEEvT1_
; %bb.0:
	.section	.rodata,"a",@progbits
	.p2align	6, 0x0
	.amdhsa_kernel _ZN7rocprim17ROCPRIM_400000_NS6detail17trampoline_kernelINS0_14default_configENS1_29reduce_by_key_config_selectorIN3c104HalfElN6thrust23THRUST_200600_302600_NS4plusIlEEEEZZNS1_33reduce_by_key_impl_wrapped_configILNS1_25lookback_scan_determinismE0ES3_SB_PS6_NS8_17constant_iteratorIiNS8_11use_defaultESG_EENS8_10device_ptrIS6_EENSI_IlEEPmSA_NS8_8equal_toIS6_EEEE10hipError_tPvRmT2_T3_mT4_T5_T6_T7_T8_P12ihipStream_tbENKUlT_T0_E_clISt17integral_constantIbLb0EES15_EEDaS10_S11_EUlS10_E_NS1_11comp_targetILNS1_3genE2ELNS1_11target_archE906ELNS1_3gpuE6ELNS1_3repE0EEENS1_30default_config_static_selectorELNS0_4arch9wavefront6targetE1EEEvT1_
		.amdhsa_group_segment_fixed_size 0
		.amdhsa_private_segment_fixed_size 0
		.amdhsa_kernarg_size 144
		.amdhsa_user_sgpr_count 6
		.amdhsa_user_sgpr_private_segment_buffer 1
		.amdhsa_user_sgpr_dispatch_ptr 0
		.amdhsa_user_sgpr_queue_ptr 0
		.amdhsa_user_sgpr_kernarg_segment_ptr 1
		.amdhsa_user_sgpr_dispatch_id 0
		.amdhsa_user_sgpr_flat_scratch_init 0
		.amdhsa_user_sgpr_kernarg_preload_length 0
		.amdhsa_user_sgpr_kernarg_preload_offset 0
		.amdhsa_user_sgpr_private_segment_size 0
		.amdhsa_uses_dynamic_stack 0
		.amdhsa_system_sgpr_private_segment_wavefront_offset 0
		.amdhsa_system_sgpr_workgroup_id_x 1
		.amdhsa_system_sgpr_workgroup_id_y 0
		.amdhsa_system_sgpr_workgroup_id_z 0
		.amdhsa_system_sgpr_workgroup_info 0
		.amdhsa_system_vgpr_workitem_id 0
		.amdhsa_next_free_vgpr 1
		.amdhsa_next_free_sgpr 0
		.amdhsa_accum_offset 4
		.amdhsa_reserve_vcc 0
		.amdhsa_reserve_flat_scratch 0
		.amdhsa_float_round_mode_32 0
		.amdhsa_float_round_mode_16_64 0
		.amdhsa_float_denorm_mode_32 3
		.amdhsa_float_denorm_mode_16_64 3
		.amdhsa_dx10_clamp 1
		.amdhsa_ieee_mode 1
		.amdhsa_fp16_overflow 0
		.amdhsa_tg_split 0
		.amdhsa_exception_fp_ieee_invalid_op 0
		.amdhsa_exception_fp_denorm_src 0
		.amdhsa_exception_fp_ieee_div_zero 0
		.amdhsa_exception_fp_ieee_overflow 0
		.amdhsa_exception_fp_ieee_underflow 0
		.amdhsa_exception_fp_ieee_inexact 0
		.amdhsa_exception_int_div_zero 0
	.end_amdhsa_kernel
	.section	.text._ZN7rocprim17ROCPRIM_400000_NS6detail17trampoline_kernelINS0_14default_configENS1_29reduce_by_key_config_selectorIN3c104HalfElN6thrust23THRUST_200600_302600_NS4plusIlEEEEZZNS1_33reduce_by_key_impl_wrapped_configILNS1_25lookback_scan_determinismE0ES3_SB_PS6_NS8_17constant_iteratorIiNS8_11use_defaultESG_EENS8_10device_ptrIS6_EENSI_IlEEPmSA_NS8_8equal_toIS6_EEEE10hipError_tPvRmT2_T3_mT4_T5_T6_T7_T8_P12ihipStream_tbENKUlT_T0_E_clISt17integral_constantIbLb0EES15_EEDaS10_S11_EUlS10_E_NS1_11comp_targetILNS1_3genE2ELNS1_11target_archE906ELNS1_3gpuE6ELNS1_3repE0EEENS1_30default_config_static_selectorELNS0_4arch9wavefront6targetE1EEEvT1_,"axG",@progbits,_ZN7rocprim17ROCPRIM_400000_NS6detail17trampoline_kernelINS0_14default_configENS1_29reduce_by_key_config_selectorIN3c104HalfElN6thrust23THRUST_200600_302600_NS4plusIlEEEEZZNS1_33reduce_by_key_impl_wrapped_configILNS1_25lookback_scan_determinismE0ES3_SB_PS6_NS8_17constant_iteratorIiNS8_11use_defaultESG_EENS8_10device_ptrIS6_EENSI_IlEEPmSA_NS8_8equal_toIS6_EEEE10hipError_tPvRmT2_T3_mT4_T5_T6_T7_T8_P12ihipStream_tbENKUlT_T0_E_clISt17integral_constantIbLb0EES15_EEDaS10_S11_EUlS10_E_NS1_11comp_targetILNS1_3genE2ELNS1_11target_archE906ELNS1_3gpuE6ELNS1_3repE0EEENS1_30default_config_static_selectorELNS0_4arch9wavefront6targetE1EEEvT1_,comdat
.Lfunc_end2204:
	.size	_ZN7rocprim17ROCPRIM_400000_NS6detail17trampoline_kernelINS0_14default_configENS1_29reduce_by_key_config_selectorIN3c104HalfElN6thrust23THRUST_200600_302600_NS4plusIlEEEEZZNS1_33reduce_by_key_impl_wrapped_configILNS1_25lookback_scan_determinismE0ES3_SB_PS6_NS8_17constant_iteratorIiNS8_11use_defaultESG_EENS8_10device_ptrIS6_EENSI_IlEEPmSA_NS8_8equal_toIS6_EEEE10hipError_tPvRmT2_T3_mT4_T5_T6_T7_T8_P12ihipStream_tbENKUlT_T0_E_clISt17integral_constantIbLb0EES15_EEDaS10_S11_EUlS10_E_NS1_11comp_targetILNS1_3genE2ELNS1_11target_archE906ELNS1_3gpuE6ELNS1_3repE0EEENS1_30default_config_static_selectorELNS0_4arch9wavefront6targetE1EEEvT1_, .Lfunc_end2204-_ZN7rocprim17ROCPRIM_400000_NS6detail17trampoline_kernelINS0_14default_configENS1_29reduce_by_key_config_selectorIN3c104HalfElN6thrust23THRUST_200600_302600_NS4plusIlEEEEZZNS1_33reduce_by_key_impl_wrapped_configILNS1_25lookback_scan_determinismE0ES3_SB_PS6_NS8_17constant_iteratorIiNS8_11use_defaultESG_EENS8_10device_ptrIS6_EENSI_IlEEPmSA_NS8_8equal_toIS6_EEEE10hipError_tPvRmT2_T3_mT4_T5_T6_T7_T8_P12ihipStream_tbENKUlT_T0_E_clISt17integral_constantIbLb0EES15_EEDaS10_S11_EUlS10_E_NS1_11comp_targetILNS1_3genE2ELNS1_11target_archE906ELNS1_3gpuE6ELNS1_3repE0EEENS1_30default_config_static_selectorELNS0_4arch9wavefront6targetE1EEEvT1_
                                        ; -- End function
	.section	.AMDGPU.csdata,"",@progbits
; Kernel info:
; codeLenInByte = 0
; NumSgprs: 4
; NumVgprs: 0
; NumAgprs: 0
; TotalNumVgprs: 0
; ScratchSize: 0
; MemoryBound: 0
; FloatMode: 240
; IeeeMode: 1
; LDSByteSize: 0 bytes/workgroup (compile time only)
; SGPRBlocks: 0
; VGPRBlocks: 0
; NumSGPRsForWavesPerEU: 4
; NumVGPRsForWavesPerEU: 1
; AccumOffset: 4
; Occupancy: 8
; WaveLimiterHint : 0
; COMPUTE_PGM_RSRC2:SCRATCH_EN: 0
; COMPUTE_PGM_RSRC2:USER_SGPR: 6
; COMPUTE_PGM_RSRC2:TRAP_HANDLER: 0
; COMPUTE_PGM_RSRC2:TGID_X_EN: 1
; COMPUTE_PGM_RSRC2:TGID_Y_EN: 0
; COMPUTE_PGM_RSRC2:TGID_Z_EN: 0
; COMPUTE_PGM_RSRC2:TIDIG_COMP_CNT: 0
; COMPUTE_PGM_RSRC3_GFX90A:ACCUM_OFFSET: 0
; COMPUTE_PGM_RSRC3_GFX90A:TG_SPLIT: 0
	.section	.text._ZN7rocprim17ROCPRIM_400000_NS6detail17trampoline_kernelINS0_14default_configENS1_29reduce_by_key_config_selectorIN3c104HalfElN6thrust23THRUST_200600_302600_NS4plusIlEEEEZZNS1_33reduce_by_key_impl_wrapped_configILNS1_25lookback_scan_determinismE0ES3_SB_PS6_NS8_17constant_iteratorIiNS8_11use_defaultESG_EENS8_10device_ptrIS6_EENSI_IlEEPmSA_NS8_8equal_toIS6_EEEE10hipError_tPvRmT2_T3_mT4_T5_T6_T7_T8_P12ihipStream_tbENKUlT_T0_E_clISt17integral_constantIbLb0EES15_EEDaS10_S11_EUlS10_E_NS1_11comp_targetILNS1_3genE10ELNS1_11target_archE1201ELNS1_3gpuE5ELNS1_3repE0EEENS1_30default_config_static_selectorELNS0_4arch9wavefront6targetE1EEEvT1_,"axG",@progbits,_ZN7rocprim17ROCPRIM_400000_NS6detail17trampoline_kernelINS0_14default_configENS1_29reduce_by_key_config_selectorIN3c104HalfElN6thrust23THRUST_200600_302600_NS4plusIlEEEEZZNS1_33reduce_by_key_impl_wrapped_configILNS1_25lookback_scan_determinismE0ES3_SB_PS6_NS8_17constant_iteratorIiNS8_11use_defaultESG_EENS8_10device_ptrIS6_EENSI_IlEEPmSA_NS8_8equal_toIS6_EEEE10hipError_tPvRmT2_T3_mT4_T5_T6_T7_T8_P12ihipStream_tbENKUlT_T0_E_clISt17integral_constantIbLb0EES15_EEDaS10_S11_EUlS10_E_NS1_11comp_targetILNS1_3genE10ELNS1_11target_archE1201ELNS1_3gpuE5ELNS1_3repE0EEENS1_30default_config_static_selectorELNS0_4arch9wavefront6targetE1EEEvT1_,comdat
	.protected	_ZN7rocprim17ROCPRIM_400000_NS6detail17trampoline_kernelINS0_14default_configENS1_29reduce_by_key_config_selectorIN3c104HalfElN6thrust23THRUST_200600_302600_NS4plusIlEEEEZZNS1_33reduce_by_key_impl_wrapped_configILNS1_25lookback_scan_determinismE0ES3_SB_PS6_NS8_17constant_iteratorIiNS8_11use_defaultESG_EENS8_10device_ptrIS6_EENSI_IlEEPmSA_NS8_8equal_toIS6_EEEE10hipError_tPvRmT2_T3_mT4_T5_T6_T7_T8_P12ihipStream_tbENKUlT_T0_E_clISt17integral_constantIbLb0EES15_EEDaS10_S11_EUlS10_E_NS1_11comp_targetILNS1_3genE10ELNS1_11target_archE1201ELNS1_3gpuE5ELNS1_3repE0EEENS1_30default_config_static_selectorELNS0_4arch9wavefront6targetE1EEEvT1_ ; -- Begin function _ZN7rocprim17ROCPRIM_400000_NS6detail17trampoline_kernelINS0_14default_configENS1_29reduce_by_key_config_selectorIN3c104HalfElN6thrust23THRUST_200600_302600_NS4plusIlEEEEZZNS1_33reduce_by_key_impl_wrapped_configILNS1_25lookback_scan_determinismE0ES3_SB_PS6_NS8_17constant_iteratorIiNS8_11use_defaultESG_EENS8_10device_ptrIS6_EENSI_IlEEPmSA_NS8_8equal_toIS6_EEEE10hipError_tPvRmT2_T3_mT4_T5_T6_T7_T8_P12ihipStream_tbENKUlT_T0_E_clISt17integral_constantIbLb0EES15_EEDaS10_S11_EUlS10_E_NS1_11comp_targetILNS1_3genE10ELNS1_11target_archE1201ELNS1_3gpuE5ELNS1_3repE0EEENS1_30default_config_static_selectorELNS0_4arch9wavefront6targetE1EEEvT1_
	.globl	_ZN7rocprim17ROCPRIM_400000_NS6detail17trampoline_kernelINS0_14default_configENS1_29reduce_by_key_config_selectorIN3c104HalfElN6thrust23THRUST_200600_302600_NS4plusIlEEEEZZNS1_33reduce_by_key_impl_wrapped_configILNS1_25lookback_scan_determinismE0ES3_SB_PS6_NS8_17constant_iteratorIiNS8_11use_defaultESG_EENS8_10device_ptrIS6_EENSI_IlEEPmSA_NS8_8equal_toIS6_EEEE10hipError_tPvRmT2_T3_mT4_T5_T6_T7_T8_P12ihipStream_tbENKUlT_T0_E_clISt17integral_constantIbLb0EES15_EEDaS10_S11_EUlS10_E_NS1_11comp_targetILNS1_3genE10ELNS1_11target_archE1201ELNS1_3gpuE5ELNS1_3repE0EEENS1_30default_config_static_selectorELNS0_4arch9wavefront6targetE1EEEvT1_
	.p2align	8
	.type	_ZN7rocprim17ROCPRIM_400000_NS6detail17trampoline_kernelINS0_14default_configENS1_29reduce_by_key_config_selectorIN3c104HalfElN6thrust23THRUST_200600_302600_NS4plusIlEEEEZZNS1_33reduce_by_key_impl_wrapped_configILNS1_25lookback_scan_determinismE0ES3_SB_PS6_NS8_17constant_iteratorIiNS8_11use_defaultESG_EENS8_10device_ptrIS6_EENSI_IlEEPmSA_NS8_8equal_toIS6_EEEE10hipError_tPvRmT2_T3_mT4_T5_T6_T7_T8_P12ihipStream_tbENKUlT_T0_E_clISt17integral_constantIbLb0EES15_EEDaS10_S11_EUlS10_E_NS1_11comp_targetILNS1_3genE10ELNS1_11target_archE1201ELNS1_3gpuE5ELNS1_3repE0EEENS1_30default_config_static_selectorELNS0_4arch9wavefront6targetE1EEEvT1_,@function
_ZN7rocprim17ROCPRIM_400000_NS6detail17trampoline_kernelINS0_14default_configENS1_29reduce_by_key_config_selectorIN3c104HalfElN6thrust23THRUST_200600_302600_NS4plusIlEEEEZZNS1_33reduce_by_key_impl_wrapped_configILNS1_25lookback_scan_determinismE0ES3_SB_PS6_NS8_17constant_iteratorIiNS8_11use_defaultESG_EENS8_10device_ptrIS6_EENSI_IlEEPmSA_NS8_8equal_toIS6_EEEE10hipError_tPvRmT2_T3_mT4_T5_T6_T7_T8_P12ihipStream_tbENKUlT_T0_E_clISt17integral_constantIbLb0EES15_EEDaS10_S11_EUlS10_E_NS1_11comp_targetILNS1_3genE10ELNS1_11target_archE1201ELNS1_3gpuE5ELNS1_3repE0EEENS1_30default_config_static_selectorELNS0_4arch9wavefront6targetE1EEEvT1_: ; @_ZN7rocprim17ROCPRIM_400000_NS6detail17trampoline_kernelINS0_14default_configENS1_29reduce_by_key_config_selectorIN3c104HalfElN6thrust23THRUST_200600_302600_NS4plusIlEEEEZZNS1_33reduce_by_key_impl_wrapped_configILNS1_25lookback_scan_determinismE0ES3_SB_PS6_NS8_17constant_iteratorIiNS8_11use_defaultESG_EENS8_10device_ptrIS6_EENSI_IlEEPmSA_NS8_8equal_toIS6_EEEE10hipError_tPvRmT2_T3_mT4_T5_T6_T7_T8_P12ihipStream_tbENKUlT_T0_E_clISt17integral_constantIbLb0EES15_EEDaS10_S11_EUlS10_E_NS1_11comp_targetILNS1_3genE10ELNS1_11target_archE1201ELNS1_3gpuE5ELNS1_3repE0EEENS1_30default_config_static_selectorELNS0_4arch9wavefront6targetE1EEEvT1_
; %bb.0:
	.section	.rodata,"a",@progbits
	.p2align	6, 0x0
	.amdhsa_kernel _ZN7rocprim17ROCPRIM_400000_NS6detail17trampoline_kernelINS0_14default_configENS1_29reduce_by_key_config_selectorIN3c104HalfElN6thrust23THRUST_200600_302600_NS4plusIlEEEEZZNS1_33reduce_by_key_impl_wrapped_configILNS1_25lookback_scan_determinismE0ES3_SB_PS6_NS8_17constant_iteratorIiNS8_11use_defaultESG_EENS8_10device_ptrIS6_EENSI_IlEEPmSA_NS8_8equal_toIS6_EEEE10hipError_tPvRmT2_T3_mT4_T5_T6_T7_T8_P12ihipStream_tbENKUlT_T0_E_clISt17integral_constantIbLb0EES15_EEDaS10_S11_EUlS10_E_NS1_11comp_targetILNS1_3genE10ELNS1_11target_archE1201ELNS1_3gpuE5ELNS1_3repE0EEENS1_30default_config_static_selectorELNS0_4arch9wavefront6targetE1EEEvT1_
		.amdhsa_group_segment_fixed_size 0
		.amdhsa_private_segment_fixed_size 0
		.amdhsa_kernarg_size 144
		.amdhsa_user_sgpr_count 6
		.amdhsa_user_sgpr_private_segment_buffer 1
		.amdhsa_user_sgpr_dispatch_ptr 0
		.amdhsa_user_sgpr_queue_ptr 0
		.amdhsa_user_sgpr_kernarg_segment_ptr 1
		.amdhsa_user_sgpr_dispatch_id 0
		.amdhsa_user_sgpr_flat_scratch_init 0
		.amdhsa_user_sgpr_kernarg_preload_length 0
		.amdhsa_user_sgpr_kernarg_preload_offset 0
		.amdhsa_user_sgpr_private_segment_size 0
		.amdhsa_uses_dynamic_stack 0
		.amdhsa_system_sgpr_private_segment_wavefront_offset 0
		.amdhsa_system_sgpr_workgroup_id_x 1
		.amdhsa_system_sgpr_workgroup_id_y 0
		.amdhsa_system_sgpr_workgroup_id_z 0
		.amdhsa_system_sgpr_workgroup_info 0
		.amdhsa_system_vgpr_workitem_id 0
		.amdhsa_next_free_vgpr 1
		.amdhsa_next_free_sgpr 0
		.amdhsa_accum_offset 4
		.amdhsa_reserve_vcc 0
		.amdhsa_reserve_flat_scratch 0
		.amdhsa_float_round_mode_32 0
		.amdhsa_float_round_mode_16_64 0
		.amdhsa_float_denorm_mode_32 3
		.amdhsa_float_denorm_mode_16_64 3
		.amdhsa_dx10_clamp 1
		.amdhsa_ieee_mode 1
		.amdhsa_fp16_overflow 0
		.amdhsa_tg_split 0
		.amdhsa_exception_fp_ieee_invalid_op 0
		.amdhsa_exception_fp_denorm_src 0
		.amdhsa_exception_fp_ieee_div_zero 0
		.amdhsa_exception_fp_ieee_overflow 0
		.amdhsa_exception_fp_ieee_underflow 0
		.amdhsa_exception_fp_ieee_inexact 0
		.amdhsa_exception_int_div_zero 0
	.end_amdhsa_kernel
	.section	.text._ZN7rocprim17ROCPRIM_400000_NS6detail17trampoline_kernelINS0_14default_configENS1_29reduce_by_key_config_selectorIN3c104HalfElN6thrust23THRUST_200600_302600_NS4plusIlEEEEZZNS1_33reduce_by_key_impl_wrapped_configILNS1_25lookback_scan_determinismE0ES3_SB_PS6_NS8_17constant_iteratorIiNS8_11use_defaultESG_EENS8_10device_ptrIS6_EENSI_IlEEPmSA_NS8_8equal_toIS6_EEEE10hipError_tPvRmT2_T3_mT4_T5_T6_T7_T8_P12ihipStream_tbENKUlT_T0_E_clISt17integral_constantIbLb0EES15_EEDaS10_S11_EUlS10_E_NS1_11comp_targetILNS1_3genE10ELNS1_11target_archE1201ELNS1_3gpuE5ELNS1_3repE0EEENS1_30default_config_static_selectorELNS0_4arch9wavefront6targetE1EEEvT1_,"axG",@progbits,_ZN7rocprim17ROCPRIM_400000_NS6detail17trampoline_kernelINS0_14default_configENS1_29reduce_by_key_config_selectorIN3c104HalfElN6thrust23THRUST_200600_302600_NS4plusIlEEEEZZNS1_33reduce_by_key_impl_wrapped_configILNS1_25lookback_scan_determinismE0ES3_SB_PS6_NS8_17constant_iteratorIiNS8_11use_defaultESG_EENS8_10device_ptrIS6_EENSI_IlEEPmSA_NS8_8equal_toIS6_EEEE10hipError_tPvRmT2_T3_mT4_T5_T6_T7_T8_P12ihipStream_tbENKUlT_T0_E_clISt17integral_constantIbLb0EES15_EEDaS10_S11_EUlS10_E_NS1_11comp_targetILNS1_3genE10ELNS1_11target_archE1201ELNS1_3gpuE5ELNS1_3repE0EEENS1_30default_config_static_selectorELNS0_4arch9wavefront6targetE1EEEvT1_,comdat
.Lfunc_end2205:
	.size	_ZN7rocprim17ROCPRIM_400000_NS6detail17trampoline_kernelINS0_14default_configENS1_29reduce_by_key_config_selectorIN3c104HalfElN6thrust23THRUST_200600_302600_NS4plusIlEEEEZZNS1_33reduce_by_key_impl_wrapped_configILNS1_25lookback_scan_determinismE0ES3_SB_PS6_NS8_17constant_iteratorIiNS8_11use_defaultESG_EENS8_10device_ptrIS6_EENSI_IlEEPmSA_NS8_8equal_toIS6_EEEE10hipError_tPvRmT2_T3_mT4_T5_T6_T7_T8_P12ihipStream_tbENKUlT_T0_E_clISt17integral_constantIbLb0EES15_EEDaS10_S11_EUlS10_E_NS1_11comp_targetILNS1_3genE10ELNS1_11target_archE1201ELNS1_3gpuE5ELNS1_3repE0EEENS1_30default_config_static_selectorELNS0_4arch9wavefront6targetE1EEEvT1_, .Lfunc_end2205-_ZN7rocprim17ROCPRIM_400000_NS6detail17trampoline_kernelINS0_14default_configENS1_29reduce_by_key_config_selectorIN3c104HalfElN6thrust23THRUST_200600_302600_NS4plusIlEEEEZZNS1_33reduce_by_key_impl_wrapped_configILNS1_25lookback_scan_determinismE0ES3_SB_PS6_NS8_17constant_iteratorIiNS8_11use_defaultESG_EENS8_10device_ptrIS6_EENSI_IlEEPmSA_NS8_8equal_toIS6_EEEE10hipError_tPvRmT2_T3_mT4_T5_T6_T7_T8_P12ihipStream_tbENKUlT_T0_E_clISt17integral_constantIbLb0EES15_EEDaS10_S11_EUlS10_E_NS1_11comp_targetILNS1_3genE10ELNS1_11target_archE1201ELNS1_3gpuE5ELNS1_3repE0EEENS1_30default_config_static_selectorELNS0_4arch9wavefront6targetE1EEEvT1_
                                        ; -- End function
	.section	.AMDGPU.csdata,"",@progbits
; Kernel info:
; codeLenInByte = 0
; NumSgprs: 4
; NumVgprs: 0
; NumAgprs: 0
; TotalNumVgprs: 0
; ScratchSize: 0
; MemoryBound: 0
; FloatMode: 240
; IeeeMode: 1
; LDSByteSize: 0 bytes/workgroup (compile time only)
; SGPRBlocks: 0
; VGPRBlocks: 0
; NumSGPRsForWavesPerEU: 4
; NumVGPRsForWavesPerEU: 1
; AccumOffset: 4
; Occupancy: 8
; WaveLimiterHint : 0
; COMPUTE_PGM_RSRC2:SCRATCH_EN: 0
; COMPUTE_PGM_RSRC2:USER_SGPR: 6
; COMPUTE_PGM_RSRC2:TRAP_HANDLER: 0
; COMPUTE_PGM_RSRC2:TGID_X_EN: 1
; COMPUTE_PGM_RSRC2:TGID_Y_EN: 0
; COMPUTE_PGM_RSRC2:TGID_Z_EN: 0
; COMPUTE_PGM_RSRC2:TIDIG_COMP_CNT: 0
; COMPUTE_PGM_RSRC3_GFX90A:ACCUM_OFFSET: 0
; COMPUTE_PGM_RSRC3_GFX90A:TG_SPLIT: 0
	.section	.text._ZN7rocprim17ROCPRIM_400000_NS6detail17trampoline_kernelINS0_14default_configENS1_29reduce_by_key_config_selectorIN3c104HalfElN6thrust23THRUST_200600_302600_NS4plusIlEEEEZZNS1_33reduce_by_key_impl_wrapped_configILNS1_25lookback_scan_determinismE0ES3_SB_PS6_NS8_17constant_iteratorIiNS8_11use_defaultESG_EENS8_10device_ptrIS6_EENSI_IlEEPmSA_NS8_8equal_toIS6_EEEE10hipError_tPvRmT2_T3_mT4_T5_T6_T7_T8_P12ihipStream_tbENKUlT_T0_E_clISt17integral_constantIbLb0EES15_EEDaS10_S11_EUlS10_E_NS1_11comp_targetILNS1_3genE10ELNS1_11target_archE1200ELNS1_3gpuE4ELNS1_3repE0EEENS1_30default_config_static_selectorELNS0_4arch9wavefront6targetE1EEEvT1_,"axG",@progbits,_ZN7rocprim17ROCPRIM_400000_NS6detail17trampoline_kernelINS0_14default_configENS1_29reduce_by_key_config_selectorIN3c104HalfElN6thrust23THRUST_200600_302600_NS4plusIlEEEEZZNS1_33reduce_by_key_impl_wrapped_configILNS1_25lookback_scan_determinismE0ES3_SB_PS6_NS8_17constant_iteratorIiNS8_11use_defaultESG_EENS8_10device_ptrIS6_EENSI_IlEEPmSA_NS8_8equal_toIS6_EEEE10hipError_tPvRmT2_T3_mT4_T5_T6_T7_T8_P12ihipStream_tbENKUlT_T0_E_clISt17integral_constantIbLb0EES15_EEDaS10_S11_EUlS10_E_NS1_11comp_targetILNS1_3genE10ELNS1_11target_archE1200ELNS1_3gpuE4ELNS1_3repE0EEENS1_30default_config_static_selectorELNS0_4arch9wavefront6targetE1EEEvT1_,comdat
	.protected	_ZN7rocprim17ROCPRIM_400000_NS6detail17trampoline_kernelINS0_14default_configENS1_29reduce_by_key_config_selectorIN3c104HalfElN6thrust23THRUST_200600_302600_NS4plusIlEEEEZZNS1_33reduce_by_key_impl_wrapped_configILNS1_25lookback_scan_determinismE0ES3_SB_PS6_NS8_17constant_iteratorIiNS8_11use_defaultESG_EENS8_10device_ptrIS6_EENSI_IlEEPmSA_NS8_8equal_toIS6_EEEE10hipError_tPvRmT2_T3_mT4_T5_T6_T7_T8_P12ihipStream_tbENKUlT_T0_E_clISt17integral_constantIbLb0EES15_EEDaS10_S11_EUlS10_E_NS1_11comp_targetILNS1_3genE10ELNS1_11target_archE1200ELNS1_3gpuE4ELNS1_3repE0EEENS1_30default_config_static_selectorELNS0_4arch9wavefront6targetE1EEEvT1_ ; -- Begin function _ZN7rocprim17ROCPRIM_400000_NS6detail17trampoline_kernelINS0_14default_configENS1_29reduce_by_key_config_selectorIN3c104HalfElN6thrust23THRUST_200600_302600_NS4plusIlEEEEZZNS1_33reduce_by_key_impl_wrapped_configILNS1_25lookback_scan_determinismE0ES3_SB_PS6_NS8_17constant_iteratorIiNS8_11use_defaultESG_EENS8_10device_ptrIS6_EENSI_IlEEPmSA_NS8_8equal_toIS6_EEEE10hipError_tPvRmT2_T3_mT4_T5_T6_T7_T8_P12ihipStream_tbENKUlT_T0_E_clISt17integral_constantIbLb0EES15_EEDaS10_S11_EUlS10_E_NS1_11comp_targetILNS1_3genE10ELNS1_11target_archE1200ELNS1_3gpuE4ELNS1_3repE0EEENS1_30default_config_static_selectorELNS0_4arch9wavefront6targetE1EEEvT1_
	.globl	_ZN7rocprim17ROCPRIM_400000_NS6detail17trampoline_kernelINS0_14default_configENS1_29reduce_by_key_config_selectorIN3c104HalfElN6thrust23THRUST_200600_302600_NS4plusIlEEEEZZNS1_33reduce_by_key_impl_wrapped_configILNS1_25lookback_scan_determinismE0ES3_SB_PS6_NS8_17constant_iteratorIiNS8_11use_defaultESG_EENS8_10device_ptrIS6_EENSI_IlEEPmSA_NS8_8equal_toIS6_EEEE10hipError_tPvRmT2_T3_mT4_T5_T6_T7_T8_P12ihipStream_tbENKUlT_T0_E_clISt17integral_constantIbLb0EES15_EEDaS10_S11_EUlS10_E_NS1_11comp_targetILNS1_3genE10ELNS1_11target_archE1200ELNS1_3gpuE4ELNS1_3repE0EEENS1_30default_config_static_selectorELNS0_4arch9wavefront6targetE1EEEvT1_
	.p2align	8
	.type	_ZN7rocprim17ROCPRIM_400000_NS6detail17trampoline_kernelINS0_14default_configENS1_29reduce_by_key_config_selectorIN3c104HalfElN6thrust23THRUST_200600_302600_NS4plusIlEEEEZZNS1_33reduce_by_key_impl_wrapped_configILNS1_25lookback_scan_determinismE0ES3_SB_PS6_NS8_17constant_iteratorIiNS8_11use_defaultESG_EENS8_10device_ptrIS6_EENSI_IlEEPmSA_NS8_8equal_toIS6_EEEE10hipError_tPvRmT2_T3_mT4_T5_T6_T7_T8_P12ihipStream_tbENKUlT_T0_E_clISt17integral_constantIbLb0EES15_EEDaS10_S11_EUlS10_E_NS1_11comp_targetILNS1_3genE10ELNS1_11target_archE1200ELNS1_3gpuE4ELNS1_3repE0EEENS1_30default_config_static_selectorELNS0_4arch9wavefront6targetE1EEEvT1_,@function
_ZN7rocprim17ROCPRIM_400000_NS6detail17trampoline_kernelINS0_14default_configENS1_29reduce_by_key_config_selectorIN3c104HalfElN6thrust23THRUST_200600_302600_NS4plusIlEEEEZZNS1_33reduce_by_key_impl_wrapped_configILNS1_25lookback_scan_determinismE0ES3_SB_PS6_NS8_17constant_iteratorIiNS8_11use_defaultESG_EENS8_10device_ptrIS6_EENSI_IlEEPmSA_NS8_8equal_toIS6_EEEE10hipError_tPvRmT2_T3_mT4_T5_T6_T7_T8_P12ihipStream_tbENKUlT_T0_E_clISt17integral_constantIbLb0EES15_EEDaS10_S11_EUlS10_E_NS1_11comp_targetILNS1_3genE10ELNS1_11target_archE1200ELNS1_3gpuE4ELNS1_3repE0EEENS1_30default_config_static_selectorELNS0_4arch9wavefront6targetE1EEEvT1_: ; @_ZN7rocprim17ROCPRIM_400000_NS6detail17trampoline_kernelINS0_14default_configENS1_29reduce_by_key_config_selectorIN3c104HalfElN6thrust23THRUST_200600_302600_NS4plusIlEEEEZZNS1_33reduce_by_key_impl_wrapped_configILNS1_25lookback_scan_determinismE0ES3_SB_PS6_NS8_17constant_iteratorIiNS8_11use_defaultESG_EENS8_10device_ptrIS6_EENSI_IlEEPmSA_NS8_8equal_toIS6_EEEE10hipError_tPvRmT2_T3_mT4_T5_T6_T7_T8_P12ihipStream_tbENKUlT_T0_E_clISt17integral_constantIbLb0EES15_EEDaS10_S11_EUlS10_E_NS1_11comp_targetILNS1_3genE10ELNS1_11target_archE1200ELNS1_3gpuE4ELNS1_3repE0EEENS1_30default_config_static_selectorELNS0_4arch9wavefront6targetE1EEEvT1_
; %bb.0:
	.section	.rodata,"a",@progbits
	.p2align	6, 0x0
	.amdhsa_kernel _ZN7rocprim17ROCPRIM_400000_NS6detail17trampoline_kernelINS0_14default_configENS1_29reduce_by_key_config_selectorIN3c104HalfElN6thrust23THRUST_200600_302600_NS4plusIlEEEEZZNS1_33reduce_by_key_impl_wrapped_configILNS1_25lookback_scan_determinismE0ES3_SB_PS6_NS8_17constant_iteratorIiNS8_11use_defaultESG_EENS8_10device_ptrIS6_EENSI_IlEEPmSA_NS8_8equal_toIS6_EEEE10hipError_tPvRmT2_T3_mT4_T5_T6_T7_T8_P12ihipStream_tbENKUlT_T0_E_clISt17integral_constantIbLb0EES15_EEDaS10_S11_EUlS10_E_NS1_11comp_targetILNS1_3genE10ELNS1_11target_archE1200ELNS1_3gpuE4ELNS1_3repE0EEENS1_30default_config_static_selectorELNS0_4arch9wavefront6targetE1EEEvT1_
		.amdhsa_group_segment_fixed_size 0
		.amdhsa_private_segment_fixed_size 0
		.amdhsa_kernarg_size 144
		.amdhsa_user_sgpr_count 6
		.amdhsa_user_sgpr_private_segment_buffer 1
		.amdhsa_user_sgpr_dispatch_ptr 0
		.amdhsa_user_sgpr_queue_ptr 0
		.amdhsa_user_sgpr_kernarg_segment_ptr 1
		.amdhsa_user_sgpr_dispatch_id 0
		.amdhsa_user_sgpr_flat_scratch_init 0
		.amdhsa_user_sgpr_kernarg_preload_length 0
		.amdhsa_user_sgpr_kernarg_preload_offset 0
		.amdhsa_user_sgpr_private_segment_size 0
		.amdhsa_uses_dynamic_stack 0
		.amdhsa_system_sgpr_private_segment_wavefront_offset 0
		.amdhsa_system_sgpr_workgroup_id_x 1
		.amdhsa_system_sgpr_workgroup_id_y 0
		.amdhsa_system_sgpr_workgroup_id_z 0
		.amdhsa_system_sgpr_workgroup_info 0
		.amdhsa_system_vgpr_workitem_id 0
		.amdhsa_next_free_vgpr 1
		.amdhsa_next_free_sgpr 0
		.amdhsa_accum_offset 4
		.amdhsa_reserve_vcc 0
		.amdhsa_reserve_flat_scratch 0
		.amdhsa_float_round_mode_32 0
		.amdhsa_float_round_mode_16_64 0
		.amdhsa_float_denorm_mode_32 3
		.amdhsa_float_denorm_mode_16_64 3
		.amdhsa_dx10_clamp 1
		.amdhsa_ieee_mode 1
		.amdhsa_fp16_overflow 0
		.amdhsa_tg_split 0
		.amdhsa_exception_fp_ieee_invalid_op 0
		.amdhsa_exception_fp_denorm_src 0
		.amdhsa_exception_fp_ieee_div_zero 0
		.amdhsa_exception_fp_ieee_overflow 0
		.amdhsa_exception_fp_ieee_underflow 0
		.amdhsa_exception_fp_ieee_inexact 0
		.amdhsa_exception_int_div_zero 0
	.end_amdhsa_kernel
	.section	.text._ZN7rocprim17ROCPRIM_400000_NS6detail17trampoline_kernelINS0_14default_configENS1_29reduce_by_key_config_selectorIN3c104HalfElN6thrust23THRUST_200600_302600_NS4plusIlEEEEZZNS1_33reduce_by_key_impl_wrapped_configILNS1_25lookback_scan_determinismE0ES3_SB_PS6_NS8_17constant_iteratorIiNS8_11use_defaultESG_EENS8_10device_ptrIS6_EENSI_IlEEPmSA_NS8_8equal_toIS6_EEEE10hipError_tPvRmT2_T3_mT4_T5_T6_T7_T8_P12ihipStream_tbENKUlT_T0_E_clISt17integral_constantIbLb0EES15_EEDaS10_S11_EUlS10_E_NS1_11comp_targetILNS1_3genE10ELNS1_11target_archE1200ELNS1_3gpuE4ELNS1_3repE0EEENS1_30default_config_static_selectorELNS0_4arch9wavefront6targetE1EEEvT1_,"axG",@progbits,_ZN7rocprim17ROCPRIM_400000_NS6detail17trampoline_kernelINS0_14default_configENS1_29reduce_by_key_config_selectorIN3c104HalfElN6thrust23THRUST_200600_302600_NS4plusIlEEEEZZNS1_33reduce_by_key_impl_wrapped_configILNS1_25lookback_scan_determinismE0ES3_SB_PS6_NS8_17constant_iteratorIiNS8_11use_defaultESG_EENS8_10device_ptrIS6_EENSI_IlEEPmSA_NS8_8equal_toIS6_EEEE10hipError_tPvRmT2_T3_mT4_T5_T6_T7_T8_P12ihipStream_tbENKUlT_T0_E_clISt17integral_constantIbLb0EES15_EEDaS10_S11_EUlS10_E_NS1_11comp_targetILNS1_3genE10ELNS1_11target_archE1200ELNS1_3gpuE4ELNS1_3repE0EEENS1_30default_config_static_selectorELNS0_4arch9wavefront6targetE1EEEvT1_,comdat
.Lfunc_end2206:
	.size	_ZN7rocprim17ROCPRIM_400000_NS6detail17trampoline_kernelINS0_14default_configENS1_29reduce_by_key_config_selectorIN3c104HalfElN6thrust23THRUST_200600_302600_NS4plusIlEEEEZZNS1_33reduce_by_key_impl_wrapped_configILNS1_25lookback_scan_determinismE0ES3_SB_PS6_NS8_17constant_iteratorIiNS8_11use_defaultESG_EENS8_10device_ptrIS6_EENSI_IlEEPmSA_NS8_8equal_toIS6_EEEE10hipError_tPvRmT2_T3_mT4_T5_T6_T7_T8_P12ihipStream_tbENKUlT_T0_E_clISt17integral_constantIbLb0EES15_EEDaS10_S11_EUlS10_E_NS1_11comp_targetILNS1_3genE10ELNS1_11target_archE1200ELNS1_3gpuE4ELNS1_3repE0EEENS1_30default_config_static_selectorELNS0_4arch9wavefront6targetE1EEEvT1_, .Lfunc_end2206-_ZN7rocprim17ROCPRIM_400000_NS6detail17trampoline_kernelINS0_14default_configENS1_29reduce_by_key_config_selectorIN3c104HalfElN6thrust23THRUST_200600_302600_NS4plusIlEEEEZZNS1_33reduce_by_key_impl_wrapped_configILNS1_25lookback_scan_determinismE0ES3_SB_PS6_NS8_17constant_iteratorIiNS8_11use_defaultESG_EENS8_10device_ptrIS6_EENSI_IlEEPmSA_NS8_8equal_toIS6_EEEE10hipError_tPvRmT2_T3_mT4_T5_T6_T7_T8_P12ihipStream_tbENKUlT_T0_E_clISt17integral_constantIbLb0EES15_EEDaS10_S11_EUlS10_E_NS1_11comp_targetILNS1_3genE10ELNS1_11target_archE1200ELNS1_3gpuE4ELNS1_3repE0EEENS1_30default_config_static_selectorELNS0_4arch9wavefront6targetE1EEEvT1_
                                        ; -- End function
	.section	.AMDGPU.csdata,"",@progbits
; Kernel info:
; codeLenInByte = 0
; NumSgprs: 4
; NumVgprs: 0
; NumAgprs: 0
; TotalNumVgprs: 0
; ScratchSize: 0
; MemoryBound: 0
; FloatMode: 240
; IeeeMode: 1
; LDSByteSize: 0 bytes/workgroup (compile time only)
; SGPRBlocks: 0
; VGPRBlocks: 0
; NumSGPRsForWavesPerEU: 4
; NumVGPRsForWavesPerEU: 1
; AccumOffset: 4
; Occupancy: 8
; WaveLimiterHint : 0
; COMPUTE_PGM_RSRC2:SCRATCH_EN: 0
; COMPUTE_PGM_RSRC2:USER_SGPR: 6
; COMPUTE_PGM_RSRC2:TRAP_HANDLER: 0
; COMPUTE_PGM_RSRC2:TGID_X_EN: 1
; COMPUTE_PGM_RSRC2:TGID_Y_EN: 0
; COMPUTE_PGM_RSRC2:TGID_Z_EN: 0
; COMPUTE_PGM_RSRC2:TIDIG_COMP_CNT: 0
; COMPUTE_PGM_RSRC3_GFX90A:ACCUM_OFFSET: 0
; COMPUTE_PGM_RSRC3_GFX90A:TG_SPLIT: 0
	.section	.text._ZN7rocprim17ROCPRIM_400000_NS6detail17trampoline_kernelINS0_14default_configENS1_29reduce_by_key_config_selectorIN3c104HalfElN6thrust23THRUST_200600_302600_NS4plusIlEEEEZZNS1_33reduce_by_key_impl_wrapped_configILNS1_25lookback_scan_determinismE0ES3_SB_PS6_NS8_17constant_iteratorIiNS8_11use_defaultESG_EENS8_10device_ptrIS6_EENSI_IlEEPmSA_NS8_8equal_toIS6_EEEE10hipError_tPvRmT2_T3_mT4_T5_T6_T7_T8_P12ihipStream_tbENKUlT_T0_E_clISt17integral_constantIbLb0EES15_EEDaS10_S11_EUlS10_E_NS1_11comp_targetILNS1_3genE9ELNS1_11target_archE1100ELNS1_3gpuE3ELNS1_3repE0EEENS1_30default_config_static_selectorELNS0_4arch9wavefront6targetE1EEEvT1_,"axG",@progbits,_ZN7rocprim17ROCPRIM_400000_NS6detail17trampoline_kernelINS0_14default_configENS1_29reduce_by_key_config_selectorIN3c104HalfElN6thrust23THRUST_200600_302600_NS4plusIlEEEEZZNS1_33reduce_by_key_impl_wrapped_configILNS1_25lookback_scan_determinismE0ES3_SB_PS6_NS8_17constant_iteratorIiNS8_11use_defaultESG_EENS8_10device_ptrIS6_EENSI_IlEEPmSA_NS8_8equal_toIS6_EEEE10hipError_tPvRmT2_T3_mT4_T5_T6_T7_T8_P12ihipStream_tbENKUlT_T0_E_clISt17integral_constantIbLb0EES15_EEDaS10_S11_EUlS10_E_NS1_11comp_targetILNS1_3genE9ELNS1_11target_archE1100ELNS1_3gpuE3ELNS1_3repE0EEENS1_30default_config_static_selectorELNS0_4arch9wavefront6targetE1EEEvT1_,comdat
	.protected	_ZN7rocprim17ROCPRIM_400000_NS6detail17trampoline_kernelINS0_14default_configENS1_29reduce_by_key_config_selectorIN3c104HalfElN6thrust23THRUST_200600_302600_NS4plusIlEEEEZZNS1_33reduce_by_key_impl_wrapped_configILNS1_25lookback_scan_determinismE0ES3_SB_PS6_NS8_17constant_iteratorIiNS8_11use_defaultESG_EENS8_10device_ptrIS6_EENSI_IlEEPmSA_NS8_8equal_toIS6_EEEE10hipError_tPvRmT2_T3_mT4_T5_T6_T7_T8_P12ihipStream_tbENKUlT_T0_E_clISt17integral_constantIbLb0EES15_EEDaS10_S11_EUlS10_E_NS1_11comp_targetILNS1_3genE9ELNS1_11target_archE1100ELNS1_3gpuE3ELNS1_3repE0EEENS1_30default_config_static_selectorELNS0_4arch9wavefront6targetE1EEEvT1_ ; -- Begin function _ZN7rocprim17ROCPRIM_400000_NS6detail17trampoline_kernelINS0_14default_configENS1_29reduce_by_key_config_selectorIN3c104HalfElN6thrust23THRUST_200600_302600_NS4plusIlEEEEZZNS1_33reduce_by_key_impl_wrapped_configILNS1_25lookback_scan_determinismE0ES3_SB_PS6_NS8_17constant_iteratorIiNS8_11use_defaultESG_EENS8_10device_ptrIS6_EENSI_IlEEPmSA_NS8_8equal_toIS6_EEEE10hipError_tPvRmT2_T3_mT4_T5_T6_T7_T8_P12ihipStream_tbENKUlT_T0_E_clISt17integral_constantIbLb0EES15_EEDaS10_S11_EUlS10_E_NS1_11comp_targetILNS1_3genE9ELNS1_11target_archE1100ELNS1_3gpuE3ELNS1_3repE0EEENS1_30default_config_static_selectorELNS0_4arch9wavefront6targetE1EEEvT1_
	.globl	_ZN7rocprim17ROCPRIM_400000_NS6detail17trampoline_kernelINS0_14default_configENS1_29reduce_by_key_config_selectorIN3c104HalfElN6thrust23THRUST_200600_302600_NS4plusIlEEEEZZNS1_33reduce_by_key_impl_wrapped_configILNS1_25lookback_scan_determinismE0ES3_SB_PS6_NS8_17constant_iteratorIiNS8_11use_defaultESG_EENS8_10device_ptrIS6_EENSI_IlEEPmSA_NS8_8equal_toIS6_EEEE10hipError_tPvRmT2_T3_mT4_T5_T6_T7_T8_P12ihipStream_tbENKUlT_T0_E_clISt17integral_constantIbLb0EES15_EEDaS10_S11_EUlS10_E_NS1_11comp_targetILNS1_3genE9ELNS1_11target_archE1100ELNS1_3gpuE3ELNS1_3repE0EEENS1_30default_config_static_selectorELNS0_4arch9wavefront6targetE1EEEvT1_
	.p2align	8
	.type	_ZN7rocprim17ROCPRIM_400000_NS6detail17trampoline_kernelINS0_14default_configENS1_29reduce_by_key_config_selectorIN3c104HalfElN6thrust23THRUST_200600_302600_NS4plusIlEEEEZZNS1_33reduce_by_key_impl_wrapped_configILNS1_25lookback_scan_determinismE0ES3_SB_PS6_NS8_17constant_iteratorIiNS8_11use_defaultESG_EENS8_10device_ptrIS6_EENSI_IlEEPmSA_NS8_8equal_toIS6_EEEE10hipError_tPvRmT2_T3_mT4_T5_T6_T7_T8_P12ihipStream_tbENKUlT_T0_E_clISt17integral_constantIbLb0EES15_EEDaS10_S11_EUlS10_E_NS1_11comp_targetILNS1_3genE9ELNS1_11target_archE1100ELNS1_3gpuE3ELNS1_3repE0EEENS1_30default_config_static_selectorELNS0_4arch9wavefront6targetE1EEEvT1_,@function
_ZN7rocprim17ROCPRIM_400000_NS6detail17trampoline_kernelINS0_14default_configENS1_29reduce_by_key_config_selectorIN3c104HalfElN6thrust23THRUST_200600_302600_NS4plusIlEEEEZZNS1_33reduce_by_key_impl_wrapped_configILNS1_25lookback_scan_determinismE0ES3_SB_PS6_NS8_17constant_iteratorIiNS8_11use_defaultESG_EENS8_10device_ptrIS6_EENSI_IlEEPmSA_NS8_8equal_toIS6_EEEE10hipError_tPvRmT2_T3_mT4_T5_T6_T7_T8_P12ihipStream_tbENKUlT_T0_E_clISt17integral_constantIbLb0EES15_EEDaS10_S11_EUlS10_E_NS1_11comp_targetILNS1_3genE9ELNS1_11target_archE1100ELNS1_3gpuE3ELNS1_3repE0EEENS1_30default_config_static_selectorELNS0_4arch9wavefront6targetE1EEEvT1_: ; @_ZN7rocprim17ROCPRIM_400000_NS6detail17trampoline_kernelINS0_14default_configENS1_29reduce_by_key_config_selectorIN3c104HalfElN6thrust23THRUST_200600_302600_NS4plusIlEEEEZZNS1_33reduce_by_key_impl_wrapped_configILNS1_25lookback_scan_determinismE0ES3_SB_PS6_NS8_17constant_iteratorIiNS8_11use_defaultESG_EENS8_10device_ptrIS6_EENSI_IlEEPmSA_NS8_8equal_toIS6_EEEE10hipError_tPvRmT2_T3_mT4_T5_T6_T7_T8_P12ihipStream_tbENKUlT_T0_E_clISt17integral_constantIbLb0EES15_EEDaS10_S11_EUlS10_E_NS1_11comp_targetILNS1_3genE9ELNS1_11target_archE1100ELNS1_3gpuE3ELNS1_3repE0EEENS1_30default_config_static_selectorELNS0_4arch9wavefront6targetE1EEEvT1_
; %bb.0:
	.section	.rodata,"a",@progbits
	.p2align	6, 0x0
	.amdhsa_kernel _ZN7rocprim17ROCPRIM_400000_NS6detail17trampoline_kernelINS0_14default_configENS1_29reduce_by_key_config_selectorIN3c104HalfElN6thrust23THRUST_200600_302600_NS4plusIlEEEEZZNS1_33reduce_by_key_impl_wrapped_configILNS1_25lookback_scan_determinismE0ES3_SB_PS6_NS8_17constant_iteratorIiNS8_11use_defaultESG_EENS8_10device_ptrIS6_EENSI_IlEEPmSA_NS8_8equal_toIS6_EEEE10hipError_tPvRmT2_T3_mT4_T5_T6_T7_T8_P12ihipStream_tbENKUlT_T0_E_clISt17integral_constantIbLb0EES15_EEDaS10_S11_EUlS10_E_NS1_11comp_targetILNS1_3genE9ELNS1_11target_archE1100ELNS1_3gpuE3ELNS1_3repE0EEENS1_30default_config_static_selectorELNS0_4arch9wavefront6targetE1EEEvT1_
		.amdhsa_group_segment_fixed_size 0
		.amdhsa_private_segment_fixed_size 0
		.amdhsa_kernarg_size 144
		.amdhsa_user_sgpr_count 6
		.amdhsa_user_sgpr_private_segment_buffer 1
		.amdhsa_user_sgpr_dispatch_ptr 0
		.amdhsa_user_sgpr_queue_ptr 0
		.amdhsa_user_sgpr_kernarg_segment_ptr 1
		.amdhsa_user_sgpr_dispatch_id 0
		.amdhsa_user_sgpr_flat_scratch_init 0
		.amdhsa_user_sgpr_kernarg_preload_length 0
		.amdhsa_user_sgpr_kernarg_preload_offset 0
		.amdhsa_user_sgpr_private_segment_size 0
		.amdhsa_uses_dynamic_stack 0
		.amdhsa_system_sgpr_private_segment_wavefront_offset 0
		.amdhsa_system_sgpr_workgroup_id_x 1
		.amdhsa_system_sgpr_workgroup_id_y 0
		.amdhsa_system_sgpr_workgroup_id_z 0
		.amdhsa_system_sgpr_workgroup_info 0
		.amdhsa_system_vgpr_workitem_id 0
		.amdhsa_next_free_vgpr 1
		.amdhsa_next_free_sgpr 0
		.amdhsa_accum_offset 4
		.amdhsa_reserve_vcc 0
		.amdhsa_reserve_flat_scratch 0
		.amdhsa_float_round_mode_32 0
		.amdhsa_float_round_mode_16_64 0
		.amdhsa_float_denorm_mode_32 3
		.amdhsa_float_denorm_mode_16_64 3
		.amdhsa_dx10_clamp 1
		.amdhsa_ieee_mode 1
		.amdhsa_fp16_overflow 0
		.amdhsa_tg_split 0
		.amdhsa_exception_fp_ieee_invalid_op 0
		.amdhsa_exception_fp_denorm_src 0
		.amdhsa_exception_fp_ieee_div_zero 0
		.amdhsa_exception_fp_ieee_overflow 0
		.amdhsa_exception_fp_ieee_underflow 0
		.amdhsa_exception_fp_ieee_inexact 0
		.amdhsa_exception_int_div_zero 0
	.end_amdhsa_kernel
	.section	.text._ZN7rocprim17ROCPRIM_400000_NS6detail17trampoline_kernelINS0_14default_configENS1_29reduce_by_key_config_selectorIN3c104HalfElN6thrust23THRUST_200600_302600_NS4plusIlEEEEZZNS1_33reduce_by_key_impl_wrapped_configILNS1_25lookback_scan_determinismE0ES3_SB_PS6_NS8_17constant_iteratorIiNS8_11use_defaultESG_EENS8_10device_ptrIS6_EENSI_IlEEPmSA_NS8_8equal_toIS6_EEEE10hipError_tPvRmT2_T3_mT4_T5_T6_T7_T8_P12ihipStream_tbENKUlT_T0_E_clISt17integral_constantIbLb0EES15_EEDaS10_S11_EUlS10_E_NS1_11comp_targetILNS1_3genE9ELNS1_11target_archE1100ELNS1_3gpuE3ELNS1_3repE0EEENS1_30default_config_static_selectorELNS0_4arch9wavefront6targetE1EEEvT1_,"axG",@progbits,_ZN7rocprim17ROCPRIM_400000_NS6detail17trampoline_kernelINS0_14default_configENS1_29reduce_by_key_config_selectorIN3c104HalfElN6thrust23THRUST_200600_302600_NS4plusIlEEEEZZNS1_33reduce_by_key_impl_wrapped_configILNS1_25lookback_scan_determinismE0ES3_SB_PS6_NS8_17constant_iteratorIiNS8_11use_defaultESG_EENS8_10device_ptrIS6_EENSI_IlEEPmSA_NS8_8equal_toIS6_EEEE10hipError_tPvRmT2_T3_mT4_T5_T6_T7_T8_P12ihipStream_tbENKUlT_T0_E_clISt17integral_constantIbLb0EES15_EEDaS10_S11_EUlS10_E_NS1_11comp_targetILNS1_3genE9ELNS1_11target_archE1100ELNS1_3gpuE3ELNS1_3repE0EEENS1_30default_config_static_selectorELNS0_4arch9wavefront6targetE1EEEvT1_,comdat
.Lfunc_end2207:
	.size	_ZN7rocprim17ROCPRIM_400000_NS6detail17trampoline_kernelINS0_14default_configENS1_29reduce_by_key_config_selectorIN3c104HalfElN6thrust23THRUST_200600_302600_NS4plusIlEEEEZZNS1_33reduce_by_key_impl_wrapped_configILNS1_25lookback_scan_determinismE0ES3_SB_PS6_NS8_17constant_iteratorIiNS8_11use_defaultESG_EENS8_10device_ptrIS6_EENSI_IlEEPmSA_NS8_8equal_toIS6_EEEE10hipError_tPvRmT2_T3_mT4_T5_T6_T7_T8_P12ihipStream_tbENKUlT_T0_E_clISt17integral_constantIbLb0EES15_EEDaS10_S11_EUlS10_E_NS1_11comp_targetILNS1_3genE9ELNS1_11target_archE1100ELNS1_3gpuE3ELNS1_3repE0EEENS1_30default_config_static_selectorELNS0_4arch9wavefront6targetE1EEEvT1_, .Lfunc_end2207-_ZN7rocprim17ROCPRIM_400000_NS6detail17trampoline_kernelINS0_14default_configENS1_29reduce_by_key_config_selectorIN3c104HalfElN6thrust23THRUST_200600_302600_NS4plusIlEEEEZZNS1_33reduce_by_key_impl_wrapped_configILNS1_25lookback_scan_determinismE0ES3_SB_PS6_NS8_17constant_iteratorIiNS8_11use_defaultESG_EENS8_10device_ptrIS6_EENSI_IlEEPmSA_NS8_8equal_toIS6_EEEE10hipError_tPvRmT2_T3_mT4_T5_T6_T7_T8_P12ihipStream_tbENKUlT_T0_E_clISt17integral_constantIbLb0EES15_EEDaS10_S11_EUlS10_E_NS1_11comp_targetILNS1_3genE9ELNS1_11target_archE1100ELNS1_3gpuE3ELNS1_3repE0EEENS1_30default_config_static_selectorELNS0_4arch9wavefront6targetE1EEEvT1_
                                        ; -- End function
	.section	.AMDGPU.csdata,"",@progbits
; Kernel info:
; codeLenInByte = 0
; NumSgprs: 4
; NumVgprs: 0
; NumAgprs: 0
; TotalNumVgprs: 0
; ScratchSize: 0
; MemoryBound: 0
; FloatMode: 240
; IeeeMode: 1
; LDSByteSize: 0 bytes/workgroup (compile time only)
; SGPRBlocks: 0
; VGPRBlocks: 0
; NumSGPRsForWavesPerEU: 4
; NumVGPRsForWavesPerEU: 1
; AccumOffset: 4
; Occupancy: 8
; WaveLimiterHint : 0
; COMPUTE_PGM_RSRC2:SCRATCH_EN: 0
; COMPUTE_PGM_RSRC2:USER_SGPR: 6
; COMPUTE_PGM_RSRC2:TRAP_HANDLER: 0
; COMPUTE_PGM_RSRC2:TGID_X_EN: 1
; COMPUTE_PGM_RSRC2:TGID_Y_EN: 0
; COMPUTE_PGM_RSRC2:TGID_Z_EN: 0
; COMPUTE_PGM_RSRC2:TIDIG_COMP_CNT: 0
; COMPUTE_PGM_RSRC3_GFX90A:ACCUM_OFFSET: 0
; COMPUTE_PGM_RSRC3_GFX90A:TG_SPLIT: 0
	.section	.text._ZN7rocprim17ROCPRIM_400000_NS6detail17trampoline_kernelINS0_14default_configENS1_29reduce_by_key_config_selectorIN3c104HalfElN6thrust23THRUST_200600_302600_NS4plusIlEEEEZZNS1_33reduce_by_key_impl_wrapped_configILNS1_25lookback_scan_determinismE0ES3_SB_PS6_NS8_17constant_iteratorIiNS8_11use_defaultESG_EENS8_10device_ptrIS6_EENSI_IlEEPmSA_NS8_8equal_toIS6_EEEE10hipError_tPvRmT2_T3_mT4_T5_T6_T7_T8_P12ihipStream_tbENKUlT_T0_E_clISt17integral_constantIbLb0EES15_EEDaS10_S11_EUlS10_E_NS1_11comp_targetILNS1_3genE8ELNS1_11target_archE1030ELNS1_3gpuE2ELNS1_3repE0EEENS1_30default_config_static_selectorELNS0_4arch9wavefront6targetE1EEEvT1_,"axG",@progbits,_ZN7rocprim17ROCPRIM_400000_NS6detail17trampoline_kernelINS0_14default_configENS1_29reduce_by_key_config_selectorIN3c104HalfElN6thrust23THRUST_200600_302600_NS4plusIlEEEEZZNS1_33reduce_by_key_impl_wrapped_configILNS1_25lookback_scan_determinismE0ES3_SB_PS6_NS8_17constant_iteratorIiNS8_11use_defaultESG_EENS8_10device_ptrIS6_EENSI_IlEEPmSA_NS8_8equal_toIS6_EEEE10hipError_tPvRmT2_T3_mT4_T5_T6_T7_T8_P12ihipStream_tbENKUlT_T0_E_clISt17integral_constantIbLb0EES15_EEDaS10_S11_EUlS10_E_NS1_11comp_targetILNS1_3genE8ELNS1_11target_archE1030ELNS1_3gpuE2ELNS1_3repE0EEENS1_30default_config_static_selectorELNS0_4arch9wavefront6targetE1EEEvT1_,comdat
	.protected	_ZN7rocprim17ROCPRIM_400000_NS6detail17trampoline_kernelINS0_14default_configENS1_29reduce_by_key_config_selectorIN3c104HalfElN6thrust23THRUST_200600_302600_NS4plusIlEEEEZZNS1_33reduce_by_key_impl_wrapped_configILNS1_25lookback_scan_determinismE0ES3_SB_PS6_NS8_17constant_iteratorIiNS8_11use_defaultESG_EENS8_10device_ptrIS6_EENSI_IlEEPmSA_NS8_8equal_toIS6_EEEE10hipError_tPvRmT2_T3_mT4_T5_T6_T7_T8_P12ihipStream_tbENKUlT_T0_E_clISt17integral_constantIbLb0EES15_EEDaS10_S11_EUlS10_E_NS1_11comp_targetILNS1_3genE8ELNS1_11target_archE1030ELNS1_3gpuE2ELNS1_3repE0EEENS1_30default_config_static_selectorELNS0_4arch9wavefront6targetE1EEEvT1_ ; -- Begin function _ZN7rocprim17ROCPRIM_400000_NS6detail17trampoline_kernelINS0_14default_configENS1_29reduce_by_key_config_selectorIN3c104HalfElN6thrust23THRUST_200600_302600_NS4plusIlEEEEZZNS1_33reduce_by_key_impl_wrapped_configILNS1_25lookback_scan_determinismE0ES3_SB_PS6_NS8_17constant_iteratorIiNS8_11use_defaultESG_EENS8_10device_ptrIS6_EENSI_IlEEPmSA_NS8_8equal_toIS6_EEEE10hipError_tPvRmT2_T3_mT4_T5_T6_T7_T8_P12ihipStream_tbENKUlT_T0_E_clISt17integral_constantIbLb0EES15_EEDaS10_S11_EUlS10_E_NS1_11comp_targetILNS1_3genE8ELNS1_11target_archE1030ELNS1_3gpuE2ELNS1_3repE0EEENS1_30default_config_static_selectorELNS0_4arch9wavefront6targetE1EEEvT1_
	.globl	_ZN7rocprim17ROCPRIM_400000_NS6detail17trampoline_kernelINS0_14default_configENS1_29reduce_by_key_config_selectorIN3c104HalfElN6thrust23THRUST_200600_302600_NS4plusIlEEEEZZNS1_33reduce_by_key_impl_wrapped_configILNS1_25lookback_scan_determinismE0ES3_SB_PS6_NS8_17constant_iteratorIiNS8_11use_defaultESG_EENS8_10device_ptrIS6_EENSI_IlEEPmSA_NS8_8equal_toIS6_EEEE10hipError_tPvRmT2_T3_mT4_T5_T6_T7_T8_P12ihipStream_tbENKUlT_T0_E_clISt17integral_constantIbLb0EES15_EEDaS10_S11_EUlS10_E_NS1_11comp_targetILNS1_3genE8ELNS1_11target_archE1030ELNS1_3gpuE2ELNS1_3repE0EEENS1_30default_config_static_selectorELNS0_4arch9wavefront6targetE1EEEvT1_
	.p2align	8
	.type	_ZN7rocprim17ROCPRIM_400000_NS6detail17trampoline_kernelINS0_14default_configENS1_29reduce_by_key_config_selectorIN3c104HalfElN6thrust23THRUST_200600_302600_NS4plusIlEEEEZZNS1_33reduce_by_key_impl_wrapped_configILNS1_25lookback_scan_determinismE0ES3_SB_PS6_NS8_17constant_iteratorIiNS8_11use_defaultESG_EENS8_10device_ptrIS6_EENSI_IlEEPmSA_NS8_8equal_toIS6_EEEE10hipError_tPvRmT2_T3_mT4_T5_T6_T7_T8_P12ihipStream_tbENKUlT_T0_E_clISt17integral_constantIbLb0EES15_EEDaS10_S11_EUlS10_E_NS1_11comp_targetILNS1_3genE8ELNS1_11target_archE1030ELNS1_3gpuE2ELNS1_3repE0EEENS1_30default_config_static_selectorELNS0_4arch9wavefront6targetE1EEEvT1_,@function
_ZN7rocprim17ROCPRIM_400000_NS6detail17trampoline_kernelINS0_14default_configENS1_29reduce_by_key_config_selectorIN3c104HalfElN6thrust23THRUST_200600_302600_NS4plusIlEEEEZZNS1_33reduce_by_key_impl_wrapped_configILNS1_25lookback_scan_determinismE0ES3_SB_PS6_NS8_17constant_iteratorIiNS8_11use_defaultESG_EENS8_10device_ptrIS6_EENSI_IlEEPmSA_NS8_8equal_toIS6_EEEE10hipError_tPvRmT2_T3_mT4_T5_T6_T7_T8_P12ihipStream_tbENKUlT_T0_E_clISt17integral_constantIbLb0EES15_EEDaS10_S11_EUlS10_E_NS1_11comp_targetILNS1_3genE8ELNS1_11target_archE1030ELNS1_3gpuE2ELNS1_3repE0EEENS1_30default_config_static_selectorELNS0_4arch9wavefront6targetE1EEEvT1_: ; @_ZN7rocprim17ROCPRIM_400000_NS6detail17trampoline_kernelINS0_14default_configENS1_29reduce_by_key_config_selectorIN3c104HalfElN6thrust23THRUST_200600_302600_NS4plusIlEEEEZZNS1_33reduce_by_key_impl_wrapped_configILNS1_25lookback_scan_determinismE0ES3_SB_PS6_NS8_17constant_iteratorIiNS8_11use_defaultESG_EENS8_10device_ptrIS6_EENSI_IlEEPmSA_NS8_8equal_toIS6_EEEE10hipError_tPvRmT2_T3_mT4_T5_T6_T7_T8_P12ihipStream_tbENKUlT_T0_E_clISt17integral_constantIbLb0EES15_EEDaS10_S11_EUlS10_E_NS1_11comp_targetILNS1_3genE8ELNS1_11target_archE1030ELNS1_3gpuE2ELNS1_3repE0EEENS1_30default_config_static_selectorELNS0_4arch9wavefront6targetE1EEEvT1_
; %bb.0:
	.section	.rodata,"a",@progbits
	.p2align	6, 0x0
	.amdhsa_kernel _ZN7rocprim17ROCPRIM_400000_NS6detail17trampoline_kernelINS0_14default_configENS1_29reduce_by_key_config_selectorIN3c104HalfElN6thrust23THRUST_200600_302600_NS4plusIlEEEEZZNS1_33reduce_by_key_impl_wrapped_configILNS1_25lookback_scan_determinismE0ES3_SB_PS6_NS8_17constant_iteratorIiNS8_11use_defaultESG_EENS8_10device_ptrIS6_EENSI_IlEEPmSA_NS8_8equal_toIS6_EEEE10hipError_tPvRmT2_T3_mT4_T5_T6_T7_T8_P12ihipStream_tbENKUlT_T0_E_clISt17integral_constantIbLb0EES15_EEDaS10_S11_EUlS10_E_NS1_11comp_targetILNS1_3genE8ELNS1_11target_archE1030ELNS1_3gpuE2ELNS1_3repE0EEENS1_30default_config_static_selectorELNS0_4arch9wavefront6targetE1EEEvT1_
		.amdhsa_group_segment_fixed_size 0
		.amdhsa_private_segment_fixed_size 0
		.amdhsa_kernarg_size 144
		.amdhsa_user_sgpr_count 6
		.amdhsa_user_sgpr_private_segment_buffer 1
		.amdhsa_user_sgpr_dispatch_ptr 0
		.amdhsa_user_sgpr_queue_ptr 0
		.amdhsa_user_sgpr_kernarg_segment_ptr 1
		.amdhsa_user_sgpr_dispatch_id 0
		.amdhsa_user_sgpr_flat_scratch_init 0
		.amdhsa_user_sgpr_kernarg_preload_length 0
		.amdhsa_user_sgpr_kernarg_preload_offset 0
		.amdhsa_user_sgpr_private_segment_size 0
		.amdhsa_uses_dynamic_stack 0
		.amdhsa_system_sgpr_private_segment_wavefront_offset 0
		.amdhsa_system_sgpr_workgroup_id_x 1
		.amdhsa_system_sgpr_workgroup_id_y 0
		.amdhsa_system_sgpr_workgroup_id_z 0
		.amdhsa_system_sgpr_workgroup_info 0
		.amdhsa_system_vgpr_workitem_id 0
		.amdhsa_next_free_vgpr 1
		.amdhsa_next_free_sgpr 0
		.amdhsa_accum_offset 4
		.amdhsa_reserve_vcc 0
		.amdhsa_reserve_flat_scratch 0
		.amdhsa_float_round_mode_32 0
		.amdhsa_float_round_mode_16_64 0
		.amdhsa_float_denorm_mode_32 3
		.amdhsa_float_denorm_mode_16_64 3
		.amdhsa_dx10_clamp 1
		.amdhsa_ieee_mode 1
		.amdhsa_fp16_overflow 0
		.amdhsa_tg_split 0
		.amdhsa_exception_fp_ieee_invalid_op 0
		.amdhsa_exception_fp_denorm_src 0
		.amdhsa_exception_fp_ieee_div_zero 0
		.amdhsa_exception_fp_ieee_overflow 0
		.amdhsa_exception_fp_ieee_underflow 0
		.amdhsa_exception_fp_ieee_inexact 0
		.amdhsa_exception_int_div_zero 0
	.end_amdhsa_kernel
	.section	.text._ZN7rocprim17ROCPRIM_400000_NS6detail17trampoline_kernelINS0_14default_configENS1_29reduce_by_key_config_selectorIN3c104HalfElN6thrust23THRUST_200600_302600_NS4plusIlEEEEZZNS1_33reduce_by_key_impl_wrapped_configILNS1_25lookback_scan_determinismE0ES3_SB_PS6_NS8_17constant_iteratorIiNS8_11use_defaultESG_EENS8_10device_ptrIS6_EENSI_IlEEPmSA_NS8_8equal_toIS6_EEEE10hipError_tPvRmT2_T3_mT4_T5_T6_T7_T8_P12ihipStream_tbENKUlT_T0_E_clISt17integral_constantIbLb0EES15_EEDaS10_S11_EUlS10_E_NS1_11comp_targetILNS1_3genE8ELNS1_11target_archE1030ELNS1_3gpuE2ELNS1_3repE0EEENS1_30default_config_static_selectorELNS0_4arch9wavefront6targetE1EEEvT1_,"axG",@progbits,_ZN7rocprim17ROCPRIM_400000_NS6detail17trampoline_kernelINS0_14default_configENS1_29reduce_by_key_config_selectorIN3c104HalfElN6thrust23THRUST_200600_302600_NS4plusIlEEEEZZNS1_33reduce_by_key_impl_wrapped_configILNS1_25lookback_scan_determinismE0ES3_SB_PS6_NS8_17constant_iteratorIiNS8_11use_defaultESG_EENS8_10device_ptrIS6_EENSI_IlEEPmSA_NS8_8equal_toIS6_EEEE10hipError_tPvRmT2_T3_mT4_T5_T6_T7_T8_P12ihipStream_tbENKUlT_T0_E_clISt17integral_constantIbLb0EES15_EEDaS10_S11_EUlS10_E_NS1_11comp_targetILNS1_3genE8ELNS1_11target_archE1030ELNS1_3gpuE2ELNS1_3repE0EEENS1_30default_config_static_selectorELNS0_4arch9wavefront6targetE1EEEvT1_,comdat
.Lfunc_end2208:
	.size	_ZN7rocprim17ROCPRIM_400000_NS6detail17trampoline_kernelINS0_14default_configENS1_29reduce_by_key_config_selectorIN3c104HalfElN6thrust23THRUST_200600_302600_NS4plusIlEEEEZZNS1_33reduce_by_key_impl_wrapped_configILNS1_25lookback_scan_determinismE0ES3_SB_PS6_NS8_17constant_iteratorIiNS8_11use_defaultESG_EENS8_10device_ptrIS6_EENSI_IlEEPmSA_NS8_8equal_toIS6_EEEE10hipError_tPvRmT2_T3_mT4_T5_T6_T7_T8_P12ihipStream_tbENKUlT_T0_E_clISt17integral_constantIbLb0EES15_EEDaS10_S11_EUlS10_E_NS1_11comp_targetILNS1_3genE8ELNS1_11target_archE1030ELNS1_3gpuE2ELNS1_3repE0EEENS1_30default_config_static_selectorELNS0_4arch9wavefront6targetE1EEEvT1_, .Lfunc_end2208-_ZN7rocprim17ROCPRIM_400000_NS6detail17trampoline_kernelINS0_14default_configENS1_29reduce_by_key_config_selectorIN3c104HalfElN6thrust23THRUST_200600_302600_NS4plusIlEEEEZZNS1_33reduce_by_key_impl_wrapped_configILNS1_25lookback_scan_determinismE0ES3_SB_PS6_NS8_17constant_iteratorIiNS8_11use_defaultESG_EENS8_10device_ptrIS6_EENSI_IlEEPmSA_NS8_8equal_toIS6_EEEE10hipError_tPvRmT2_T3_mT4_T5_T6_T7_T8_P12ihipStream_tbENKUlT_T0_E_clISt17integral_constantIbLb0EES15_EEDaS10_S11_EUlS10_E_NS1_11comp_targetILNS1_3genE8ELNS1_11target_archE1030ELNS1_3gpuE2ELNS1_3repE0EEENS1_30default_config_static_selectorELNS0_4arch9wavefront6targetE1EEEvT1_
                                        ; -- End function
	.section	.AMDGPU.csdata,"",@progbits
; Kernel info:
; codeLenInByte = 0
; NumSgprs: 4
; NumVgprs: 0
; NumAgprs: 0
; TotalNumVgprs: 0
; ScratchSize: 0
; MemoryBound: 0
; FloatMode: 240
; IeeeMode: 1
; LDSByteSize: 0 bytes/workgroup (compile time only)
; SGPRBlocks: 0
; VGPRBlocks: 0
; NumSGPRsForWavesPerEU: 4
; NumVGPRsForWavesPerEU: 1
; AccumOffset: 4
; Occupancy: 8
; WaveLimiterHint : 0
; COMPUTE_PGM_RSRC2:SCRATCH_EN: 0
; COMPUTE_PGM_RSRC2:USER_SGPR: 6
; COMPUTE_PGM_RSRC2:TRAP_HANDLER: 0
; COMPUTE_PGM_RSRC2:TGID_X_EN: 1
; COMPUTE_PGM_RSRC2:TGID_Y_EN: 0
; COMPUTE_PGM_RSRC2:TGID_Z_EN: 0
; COMPUTE_PGM_RSRC2:TIDIG_COMP_CNT: 0
; COMPUTE_PGM_RSRC3_GFX90A:ACCUM_OFFSET: 0
; COMPUTE_PGM_RSRC3_GFX90A:TG_SPLIT: 0
	.section	.text._ZN7rocprim17ROCPRIM_400000_NS6detail17trampoline_kernelINS0_14default_configENS1_29reduce_by_key_config_selectorIN3c104HalfElN6thrust23THRUST_200600_302600_NS4plusIlEEEEZZNS1_33reduce_by_key_impl_wrapped_configILNS1_25lookback_scan_determinismE0ES3_SB_PS6_NS8_17constant_iteratorIiNS8_11use_defaultESG_EENS8_10device_ptrIS6_EENSI_IlEEPmSA_NS8_8equal_toIS6_EEEE10hipError_tPvRmT2_T3_mT4_T5_T6_T7_T8_P12ihipStream_tbENKUlT_T0_E_clISt17integral_constantIbLb1EES15_EEDaS10_S11_EUlS10_E_NS1_11comp_targetILNS1_3genE0ELNS1_11target_archE4294967295ELNS1_3gpuE0ELNS1_3repE0EEENS1_30default_config_static_selectorELNS0_4arch9wavefront6targetE1EEEvT1_,"axG",@progbits,_ZN7rocprim17ROCPRIM_400000_NS6detail17trampoline_kernelINS0_14default_configENS1_29reduce_by_key_config_selectorIN3c104HalfElN6thrust23THRUST_200600_302600_NS4plusIlEEEEZZNS1_33reduce_by_key_impl_wrapped_configILNS1_25lookback_scan_determinismE0ES3_SB_PS6_NS8_17constant_iteratorIiNS8_11use_defaultESG_EENS8_10device_ptrIS6_EENSI_IlEEPmSA_NS8_8equal_toIS6_EEEE10hipError_tPvRmT2_T3_mT4_T5_T6_T7_T8_P12ihipStream_tbENKUlT_T0_E_clISt17integral_constantIbLb1EES15_EEDaS10_S11_EUlS10_E_NS1_11comp_targetILNS1_3genE0ELNS1_11target_archE4294967295ELNS1_3gpuE0ELNS1_3repE0EEENS1_30default_config_static_selectorELNS0_4arch9wavefront6targetE1EEEvT1_,comdat
	.protected	_ZN7rocprim17ROCPRIM_400000_NS6detail17trampoline_kernelINS0_14default_configENS1_29reduce_by_key_config_selectorIN3c104HalfElN6thrust23THRUST_200600_302600_NS4plusIlEEEEZZNS1_33reduce_by_key_impl_wrapped_configILNS1_25lookback_scan_determinismE0ES3_SB_PS6_NS8_17constant_iteratorIiNS8_11use_defaultESG_EENS8_10device_ptrIS6_EENSI_IlEEPmSA_NS8_8equal_toIS6_EEEE10hipError_tPvRmT2_T3_mT4_T5_T6_T7_T8_P12ihipStream_tbENKUlT_T0_E_clISt17integral_constantIbLb1EES15_EEDaS10_S11_EUlS10_E_NS1_11comp_targetILNS1_3genE0ELNS1_11target_archE4294967295ELNS1_3gpuE0ELNS1_3repE0EEENS1_30default_config_static_selectorELNS0_4arch9wavefront6targetE1EEEvT1_ ; -- Begin function _ZN7rocprim17ROCPRIM_400000_NS6detail17trampoline_kernelINS0_14default_configENS1_29reduce_by_key_config_selectorIN3c104HalfElN6thrust23THRUST_200600_302600_NS4plusIlEEEEZZNS1_33reduce_by_key_impl_wrapped_configILNS1_25lookback_scan_determinismE0ES3_SB_PS6_NS8_17constant_iteratorIiNS8_11use_defaultESG_EENS8_10device_ptrIS6_EENSI_IlEEPmSA_NS8_8equal_toIS6_EEEE10hipError_tPvRmT2_T3_mT4_T5_T6_T7_T8_P12ihipStream_tbENKUlT_T0_E_clISt17integral_constantIbLb1EES15_EEDaS10_S11_EUlS10_E_NS1_11comp_targetILNS1_3genE0ELNS1_11target_archE4294967295ELNS1_3gpuE0ELNS1_3repE0EEENS1_30default_config_static_selectorELNS0_4arch9wavefront6targetE1EEEvT1_
	.globl	_ZN7rocprim17ROCPRIM_400000_NS6detail17trampoline_kernelINS0_14default_configENS1_29reduce_by_key_config_selectorIN3c104HalfElN6thrust23THRUST_200600_302600_NS4plusIlEEEEZZNS1_33reduce_by_key_impl_wrapped_configILNS1_25lookback_scan_determinismE0ES3_SB_PS6_NS8_17constant_iteratorIiNS8_11use_defaultESG_EENS8_10device_ptrIS6_EENSI_IlEEPmSA_NS8_8equal_toIS6_EEEE10hipError_tPvRmT2_T3_mT4_T5_T6_T7_T8_P12ihipStream_tbENKUlT_T0_E_clISt17integral_constantIbLb1EES15_EEDaS10_S11_EUlS10_E_NS1_11comp_targetILNS1_3genE0ELNS1_11target_archE4294967295ELNS1_3gpuE0ELNS1_3repE0EEENS1_30default_config_static_selectorELNS0_4arch9wavefront6targetE1EEEvT1_
	.p2align	8
	.type	_ZN7rocprim17ROCPRIM_400000_NS6detail17trampoline_kernelINS0_14default_configENS1_29reduce_by_key_config_selectorIN3c104HalfElN6thrust23THRUST_200600_302600_NS4plusIlEEEEZZNS1_33reduce_by_key_impl_wrapped_configILNS1_25lookback_scan_determinismE0ES3_SB_PS6_NS8_17constant_iteratorIiNS8_11use_defaultESG_EENS8_10device_ptrIS6_EENSI_IlEEPmSA_NS8_8equal_toIS6_EEEE10hipError_tPvRmT2_T3_mT4_T5_T6_T7_T8_P12ihipStream_tbENKUlT_T0_E_clISt17integral_constantIbLb1EES15_EEDaS10_S11_EUlS10_E_NS1_11comp_targetILNS1_3genE0ELNS1_11target_archE4294967295ELNS1_3gpuE0ELNS1_3repE0EEENS1_30default_config_static_selectorELNS0_4arch9wavefront6targetE1EEEvT1_,@function
_ZN7rocprim17ROCPRIM_400000_NS6detail17trampoline_kernelINS0_14default_configENS1_29reduce_by_key_config_selectorIN3c104HalfElN6thrust23THRUST_200600_302600_NS4plusIlEEEEZZNS1_33reduce_by_key_impl_wrapped_configILNS1_25lookback_scan_determinismE0ES3_SB_PS6_NS8_17constant_iteratorIiNS8_11use_defaultESG_EENS8_10device_ptrIS6_EENSI_IlEEPmSA_NS8_8equal_toIS6_EEEE10hipError_tPvRmT2_T3_mT4_T5_T6_T7_T8_P12ihipStream_tbENKUlT_T0_E_clISt17integral_constantIbLb1EES15_EEDaS10_S11_EUlS10_E_NS1_11comp_targetILNS1_3genE0ELNS1_11target_archE4294967295ELNS1_3gpuE0ELNS1_3repE0EEENS1_30default_config_static_selectorELNS0_4arch9wavefront6targetE1EEEvT1_: ; @_ZN7rocprim17ROCPRIM_400000_NS6detail17trampoline_kernelINS0_14default_configENS1_29reduce_by_key_config_selectorIN3c104HalfElN6thrust23THRUST_200600_302600_NS4plusIlEEEEZZNS1_33reduce_by_key_impl_wrapped_configILNS1_25lookback_scan_determinismE0ES3_SB_PS6_NS8_17constant_iteratorIiNS8_11use_defaultESG_EENS8_10device_ptrIS6_EENSI_IlEEPmSA_NS8_8equal_toIS6_EEEE10hipError_tPvRmT2_T3_mT4_T5_T6_T7_T8_P12ihipStream_tbENKUlT_T0_E_clISt17integral_constantIbLb1EES15_EEDaS10_S11_EUlS10_E_NS1_11comp_targetILNS1_3genE0ELNS1_11target_archE4294967295ELNS1_3gpuE0ELNS1_3repE0EEENS1_30default_config_static_selectorELNS0_4arch9wavefront6targetE1EEEvT1_
; %bb.0:
	.section	.rodata,"a",@progbits
	.p2align	6, 0x0
	.amdhsa_kernel _ZN7rocprim17ROCPRIM_400000_NS6detail17trampoline_kernelINS0_14default_configENS1_29reduce_by_key_config_selectorIN3c104HalfElN6thrust23THRUST_200600_302600_NS4plusIlEEEEZZNS1_33reduce_by_key_impl_wrapped_configILNS1_25lookback_scan_determinismE0ES3_SB_PS6_NS8_17constant_iteratorIiNS8_11use_defaultESG_EENS8_10device_ptrIS6_EENSI_IlEEPmSA_NS8_8equal_toIS6_EEEE10hipError_tPvRmT2_T3_mT4_T5_T6_T7_T8_P12ihipStream_tbENKUlT_T0_E_clISt17integral_constantIbLb1EES15_EEDaS10_S11_EUlS10_E_NS1_11comp_targetILNS1_3genE0ELNS1_11target_archE4294967295ELNS1_3gpuE0ELNS1_3repE0EEENS1_30default_config_static_selectorELNS0_4arch9wavefront6targetE1EEEvT1_
		.amdhsa_group_segment_fixed_size 0
		.amdhsa_private_segment_fixed_size 0
		.amdhsa_kernarg_size 144
		.amdhsa_user_sgpr_count 6
		.amdhsa_user_sgpr_private_segment_buffer 1
		.amdhsa_user_sgpr_dispatch_ptr 0
		.amdhsa_user_sgpr_queue_ptr 0
		.amdhsa_user_sgpr_kernarg_segment_ptr 1
		.amdhsa_user_sgpr_dispatch_id 0
		.amdhsa_user_sgpr_flat_scratch_init 0
		.amdhsa_user_sgpr_kernarg_preload_length 0
		.amdhsa_user_sgpr_kernarg_preload_offset 0
		.amdhsa_user_sgpr_private_segment_size 0
		.amdhsa_uses_dynamic_stack 0
		.amdhsa_system_sgpr_private_segment_wavefront_offset 0
		.amdhsa_system_sgpr_workgroup_id_x 1
		.amdhsa_system_sgpr_workgroup_id_y 0
		.amdhsa_system_sgpr_workgroup_id_z 0
		.amdhsa_system_sgpr_workgroup_info 0
		.amdhsa_system_vgpr_workitem_id 0
		.amdhsa_next_free_vgpr 1
		.amdhsa_next_free_sgpr 0
		.amdhsa_accum_offset 4
		.amdhsa_reserve_vcc 0
		.amdhsa_reserve_flat_scratch 0
		.amdhsa_float_round_mode_32 0
		.amdhsa_float_round_mode_16_64 0
		.amdhsa_float_denorm_mode_32 3
		.amdhsa_float_denorm_mode_16_64 3
		.amdhsa_dx10_clamp 1
		.amdhsa_ieee_mode 1
		.amdhsa_fp16_overflow 0
		.amdhsa_tg_split 0
		.amdhsa_exception_fp_ieee_invalid_op 0
		.amdhsa_exception_fp_denorm_src 0
		.amdhsa_exception_fp_ieee_div_zero 0
		.amdhsa_exception_fp_ieee_overflow 0
		.amdhsa_exception_fp_ieee_underflow 0
		.amdhsa_exception_fp_ieee_inexact 0
		.amdhsa_exception_int_div_zero 0
	.end_amdhsa_kernel
	.section	.text._ZN7rocprim17ROCPRIM_400000_NS6detail17trampoline_kernelINS0_14default_configENS1_29reduce_by_key_config_selectorIN3c104HalfElN6thrust23THRUST_200600_302600_NS4plusIlEEEEZZNS1_33reduce_by_key_impl_wrapped_configILNS1_25lookback_scan_determinismE0ES3_SB_PS6_NS8_17constant_iteratorIiNS8_11use_defaultESG_EENS8_10device_ptrIS6_EENSI_IlEEPmSA_NS8_8equal_toIS6_EEEE10hipError_tPvRmT2_T3_mT4_T5_T6_T7_T8_P12ihipStream_tbENKUlT_T0_E_clISt17integral_constantIbLb1EES15_EEDaS10_S11_EUlS10_E_NS1_11comp_targetILNS1_3genE0ELNS1_11target_archE4294967295ELNS1_3gpuE0ELNS1_3repE0EEENS1_30default_config_static_selectorELNS0_4arch9wavefront6targetE1EEEvT1_,"axG",@progbits,_ZN7rocprim17ROCPRIM_400000_NS6detail17trampoline_kernelINS0_14default_configENS1_29reduce_by_key_config_selectorIN3c104HalfElN6thrust23THRUST_200600_302600_NS4plusIlEEEEZZNS1_33reduce_by_key_impl_wrapped_configILNS1_25lookback_scan_determinismE0ES3_SB_PS6_NS8_17constant_iteratorIiNS8_11use_defaultESG_EENS8_10device_ptrIS6_EENSI_IlEEPmSA_NS8_8equal_toIS6_EEEE10hipError_tPvRmT2_T3_mT4_T5_T6_T7_T8_P12ihipStream_tbENKUlT_T0_E_clISt17integral_constantIbLb1EES15_EEDaS10_S11_EUlS10_E_NS1_11comp_targetILNS1_3genE0ELNS1_11target_archE4294967295ELNS1_3gpuE0ELNS1_3repE0EEENS1_30default_config_static_selectorELNS0_4arch9wavefront6targetE1EEEvT1_,comdat
.Lfunc_end2209:
	.size	_ZN7rocprim17ROCPRIM_400000_NS6detail17trampoline_kernelINS0_14default_configENS1_29reduce_by_key_config_selectorIN3c104HalfElN6thrust23THRUST_200600_302600_NS4plusIlEEEEZZNS1_33reduce_by_key_impl_wrapped_configILNS1_25lookback_scan_determinismE0ES3_SB_PS6_NS8_17constant_iteratorIiNS8_11use_defaultESG_EENS8_10device_ptrIS6_EENSI_IlEEPmSA_NS8_8equal_toIS6_EEEE10hipError_tPvRmT2_T3_mT4_T5_T6_T7_T8_P12ihipStream_tbENKUlT_T0_E_clISt17integral_constantIbLb1EES15_EEDaS10_S11_EUlS10_E_NS1_11comp_targetILNS1_3genE0ELNS1_11target_archE4294967295ELNS1_3gpuE0ELNS1_3repE0EEENS1_30default_config_static_selectorELNS0_4arch9wavefront6targetE1EEEvT1_, .Lfunc_end2209-_ZN7rocprim17ROCPRIM_400000_NS6detail17trampoline_kernelINS0_14default_configENS1_29reduce_by_key_config_selectorIN3c104HalfElN6thrust23THRUST_200600_302600_NS4plusIlEEEEZZNS1_33reduce_by_key_impl_wrapped_configILNS1_25lookback_scan_determinismE0ES3_SB_PS6_NS8_17constant_iteratorIiNS8_11use_defaultESG_EENS8_10device_ptrIS6_EENSI_IlEEPmSA_NS8_8equal_toIS6_EEEE10hipError_tPvRmT2_T3_mT4_T5_T6_T7_T8_P12ihipStream_tbENKUlT_T0_E_clISt17integral_constantIbLb1EES15_EEDaS10_S11_EUlS10_E_NS1_11comp_targetILNS1_3genE0ELNS1_11target_archE4294967295ELNS1_3gpuE0ELNS1_3repE0EEENS1_30default_config_static_selectorELNS0_4arch9wavefront6targetE1EEEvT1_
                                        ; -- End function
	.section	.AMDGPU.csdata,"",@progbits
; Kernel info:
; codeLenInByte = 0
; NumSgprs: 4
; NumVgprs: 0
; NumAgprs: 0
; TotalNumVgprs: 0
; ScratchSize: 0
; MemoryBound: 0
; FloatMode: 240
; IeeeMode: 1
; LDSByteSize: 0 bytes/workgroup (compile time only)
; SGPRBlocks: 0
; VGPRBlocks: 0
; NumSGPRsForWavesPerEU: 4
; NumVGPRsForWavesPerEU: 1
; AccumOffset: 4
; Occupancy: 8
; WaveLimiterHint : 0
; COMPUTE_PGM_RSRC2:SCRATCH_EN: 0
; COMPUTE_PGM_RSRC2:USER_SGPR: 6
; COMPUTE_PGM_RSRC2:TRAP_HANDLER: 0
; COMPUTE_PGM_RSRC2:TGID_X_EN: 1
; COMPUTE_PGM_RSRC2:TGID_Y_EN: 0
; COMPUTE_PGM_RSRC2:TGID_Z_EN: 0
; COMPUTE_PGM_RSRC2:TIDIG_COMP_CNT: 0
; COMPUTE_PGM_RSRC3_GFX90A:ACCUM_OFFSET: 0
; COMPUTE_PGM_RSRC3_GFX90A:TG_SPLIT: 0
	.section	.text._ZN7rocprim17ROCPRIM_400000_NS6detail17trampoline_kernelINS0_14default_configENS1_29reduce_by_key_config_selectorIN3c104HalfElN6thrust23THRUST_200600_302600_NS4plusIlEEEEZZNS1_33reduce_by_key_impl_wrapped_configILNS1_25lookback_scan_determinismE0ES3_SB_PS6_NS8_17constant_iteratorIiNS8_11use_defaultESG_EENS8_10device_ptrIS6_EENSI_IlEEPmSA_NS8_8equal_toIS6_EEEE10hipError_tPvRmT2_T3_mT4_T5_T6_T7_T8_P12ihipStream_tbENKUlT_T0_E_clISt17integral_constantIbLb1EES15_EEDaS10_S11_EUlS10_E_NS1_11comp_targetILNS1_3genE5ELNS1_11target_archE942ELNS1_3gpuE9ELNS1_3repE0EEENS1_30default_config_static_selectorELNS0_4arch9wavefront6targetE1EEEvT1_,"axG",@progbits,_ZN7rocprim17ROCPRIM_400000_NS6detail17trampoline_kernelINS0_14default_configENS1_29reduce_by_key_config_selectorIN3c104HalfElN6thrust23THRUST_200600_302600_NS4plusIlEEEEZZNS1_33reduce_by_key_impl_wrapped_configILNS1_25lookback_scan_determinismE0ES3_SB_PS6_NS8_17constant_iteratorIiNS8_11use_defaultESG_EENS8_10device_ptrIS6_EENSI_IlEEPmSA_NS8_8equal_toIS6_EEEE10hipError_tPvRmT2_T3_mT4_T5_T6_T7_T8_P12ihipStream_tbENKUlT_T0_E_clISt17integral_constantIbLb1EES15_EEDaS10_S11_EUlS10_E_NS1_11comp_targetILNS1_3genE5ELNS1_11target_archE942ELNS1_3gpuE9ELNS1_3repE0EEENS1_30default_config_static_selectorELNS0_4arch9wavefront6targetE1EEEvT1_,comdat
	.protected	_ZN7rocprim17ROCPRIM_400000_NS6detail17trampoline_kernelINS0_14default_configENS1_29reduce_by_key_config_selectorIN3c104HalfElN6thrust23THRUST_200600_302600_NS4plusIlEEEEZZNS1_33reduce_by_key_impl_wrapped_configILNS1_25lookback_scan_determinismE0ES3_SB_PS6_NS8_17constant_iteratorIiNS8_11use_defaultESG_EENS8_10device_ptrIS6_EENSI_IlEEPmSA_NS8_8equal_toIS6_EEEE10hipError_tPvRmT2_T3_mT4_T5_T6_T7_T8_P12ihipStream_tbENKUlT_T0_E_clISt17integral_constantIbLb1EES15_EEDaS10_S11_EUlS10_E_NS1_11comp_targetILNS1_3genE5ELNS1_11target_archE942ELNS1_3gpuE9ELNS1_3repE0EEENS1_30default_config_static_selectorELNS0_4arch9wavefront6targetE1EEEvT1_ ; -- Begin function _ZN7rocprim17ROCPRIM_400000_NS6detail17trampoline_kernelINS0_14default_configENS1_29reduce_by_key_config_selectorIN3c104HalfElN6thrust23THRUST_200600_302600_NS4plusIlEEEEZZNS1_33reduce_by_key_impl_wrapped_configILNS1_25lookback_scan_determinismE0ES3_SB_PS6_NS8_17constant_iteratorIiNS8_11use_defaultESG_EENS8_10device_ptrIS6_EENSI_IlEEPmSA_NS8_8equal_toIS6_EEEE10hipError_tPvRmT2_T3_mT4_T5_T6_T7_T8_P12ihipStream_tbENKUlT_T0_E_clISt17integral_constantIbLb1EES15_EEDaS10_S11_EUlS10_E_NS1_11comp_targetILNS1_3genE5ELNS1_11target_archE942ELNS1_3gpuE9ELNS1_3repE0EEENS1_30default_config_static_selectorELNS0_4arch9wavefront6targetE1EEEvT1_
	.globl	_ZN7rocprim17ROCPRIM_400000_NS6detail17trampoline_kernelINS0_14default_configENS1_29reduce_by_key_config_selectorIN3c104HalfElN6thrust23THRUST_200600_302600_NS4plusIlEEEEZZNS1_33reduce_by_key_impl_wrapped_configILNS1_25lookback_scan_determinismE0ES3_SB_PS6_NS8_17constant_iteratorIiNS8_11use_defaultESG_EENS8_10device_ptrIS6_EENSI_IlEEPmSA_NS8_8equal_toIS6_EEEE10hipError_tPvRmT2_T3_mT4_T5_T6_T7_T8_P12ihipStream_tbENKUlT_T0_E_clISt17integral_constantIbLb1EES15_EEDaS10_S11_EUlS10_E_NS1_11comp_targetILNS1_3genE5ELNS1_11target_archE942ELNS1_3gpuE9ELNS1_3repE0EEENS1_30default_config_static_selectorELNS0_4arch9wavefront6targetE1EEEvT1_
	.p2align	8
	.type	_ZN7rocprim17ROCPRIM_400000_NS6detail17trampoline_kernelINS0_14default_configENS1_29reduce_by_key_config_selectorIN3c104HalfElN6thrust23THRUST_200600_302600_NS4plusIlEEEEZZNS1_33reduce_by_key_impl_wrapped_configILNS1_25lookback_scan_determinismE0ES3_SB_PS6_NS8_17constant_iteratorIiNS8_11use_defaultESG_EENS8_10device_ptrIS6_EENSI_IlEEPmSA_NS8_8equal_toIS6_EEEE10hipError_tPvRmT2_T3_mT4_T5_T6_T7_T8_P12ihipStream_tbENKUlT_T0_E_clISt17integral_constantIbLb1EES15_EEDaS10_S11_EUlS10_E_NS1_11comp_targetILNS1_3genE5ELNS1_11target_archE942ELNS1_3gpuE9ELNS1_3repE0EEENS1_30default_config_static_selectorELNS0_4arch9wavefront6targetE1EEEvT1_,@function
_ZN7rocprim17ROCPRIM_400000_NS6detail17trampoline_kernelINS0_14default_configENS1_29reduce_by_key_config_selectorIN3c104HalfElN6thrust23THRUST_200600_302600_NS4plusIlEEEEZZNS1_33reduce_by_key_impl_wrapped_configILNS1_25lookback_scan_determinismE0ES3_SB_PS6_NS8_17constant_iteratorIiNS8_11use_defaultESG_EENS8_10device_ptrIS6_EENSI_IlEEPmSA_NS8_8equal_toIS6_EEEE10hipError_tPvRmT2_T3_mT4_T5_T6_T7_T8_P12ihipStream_tbENKUlT_T0_E_clISt17integral_constantIbLb1EES15_EEDaS10_S11_EUlS10_E_NS1_11comp_targetILNS1_3genE5ELNS1_11target_archE942ELNS1_3gpuE9ELNS1_3repE0EEENS1_30default_config_static_selectorELNS0_4arch9wavefront6targetE1EEEvT1_: ; @_ZN7rocprim17ROCPRIM_400000_NS6detail17trampoline_kernelINS0_14default_configENS1_29reduce_by_key_config_selectorIN3c104HalfElN6thrust23THRUST_200600_302600_NS4plusIlEEEEZZNS1_33reduce_by_key_impl_wrapped_configILNS1_25lookback_scan_determinismE0ES3_SB_PS6_NS8_17constant_iteratorIiNS8_11use_defaultESG_EENS8_10device_ptrIS6_EENSI_IlEEPmSA_NS8_8equal_toIS6_EEEE10hipError_tPvRmT2_T3_mT4_T5_T6_T7_T8_P12ihipStream_tbENKUlT_T0_E_clISt17integral_constantIbLb1EES15_EEDaS10_S11_EUlS10_E_NS1_11comp_targetILNS1_3genE5ELNS1_11target_archE942ELNS1_3gpuE9ELNS1_3repE0EEENS1_30default_config_static_selectorELNS0_4arch9wavefront6targetE1EEEvT1_
; %bb.0:
	.section	.rodata,"a",@progbits
	.p2align	6, 0x0
	.amdhsa_kernel _ZN7rocprim17ROCPRIM_400000_NS6detail17trampoline_kernelINS0_14default_configENS1_29reduce_by_key_config_selectorIN3c104HalfElN6thrust23THRUST_200600_302600_NS4plusIlEEEEZZNS1_33reduce_by_key_impl_wrapped_configILNS1_25lookback_scan_determinismE0ES3_SB_PS6_NS8_17constant_iteratorIiNS8_11use_defaultESG_EENS8_10device_ptrIS6_EENSI_IlEEPmSA_NS8_8equal_toIS6_EEEE10hipError_tPvRmT2_T3_mT4_T5_T6_T7_T8_P12ihipStream_tbENKUlT_T0_E_clISt17integral_constantIbLb1EES15_EEDaS10_S11_EUlS10_E_NS1_11comp_targetILNS1_3genE5ELNS1_11target_archE942ELNS1_3gpuE9ELNS1_3repE0EEENS1_30default_config_static_selectorELNS0_4arch9wavefront6targetE1EEEvT1_
		.amdhsa_group_segment_fixed_size 0
		.amdhsa_private_segment_fixed_size 0
		.amdhsa_kernarg_size 144
		.amdhsa_user_sgpr_count 6
		.amdhsa_user_sgpr_private_segment_buffer 1
		.amdhsa_user_sgpr_dispatch_ptr 0
		.amdhsa_user_sgpr_queue_ptr 0
		.amdhsa_user_sgpr_kernarg_segment_ptr 1
		.amdhsa_user_sgpr_dispatch_id 0
		.amdhsa_user_sgpr_flat_scratch_init 0
		.amdhsa_user_sgpr_kernarg_preload_length 0
		.amdhsa_user_sgpr_kernarg_preload_offset 0
		.amdhsa_user_sgpr_private_segment_size 0
		.amdhsa_uses_dynamic_stack 0
		.amdhsa_system_sgpr_private_segment_wavefront_offset 0
		.amdhsa_system_sgpr_workgroup_id_x 1
		.amdhsa_system_sgpr_workgroup_id_y 0
		.amdhsa_system_sgpr_workgroup_id_z 0
		.amdhsa_system_sgpr_workgroup_info 0
		.amdhsa_system_vgpr_workitem_id 0
		.amdhsa_next_free_vgpr 1
		.amdhsa_next_free_sgpr 0
		.amdhsa_accum_offset 4
		.amdhsa_reserve_vcc 0
		.amdhsa_reserve_flat_scratch 0
		.amdhsa_float_round_mode_32 0
		.amdhsa_float_round_mode_16_64 0
		.amdhsa_float_denorm_mode_32 3
		.amdhsa_float_denorm_mode_16_64 3
		.amdhsa_dx10_clamp 1
		.amdhsa_ieee_mode 1
		.amdhsa_fp16_overflow 0
		.amdhsa_tg_split 0
		.amdhsa_exception_fp_ieee_invalid_op 0
		.amdhsa_exception_fp_denorm_src 0
		.amdhsa_exception_fp_ieee_div_zero 0
		.amdhsa_exception_fp_ieee_overflow 0
		.amdhsa_exception_fp_ieee_underflow 0
		.amdhsa_exception_fp_ieee_inexact 0
		.amdhsa_exception_int_div_zero 0
	.end_amdhsa_kernel
	.section	.text._ZN7rocprim17ROCPRIM_400000_NS6detail17trampoline_kernelINS0_14default_configENS1_29reduce_by_key_config_selectorIN3c104HalfElN6thrust23THRUST_200600_302600_NS4plusIlEEEEZZNS1_33reduce_by_key_impl_wrapped_configILNS1_25lookback_scan_determinismE0ES3_SB_PS6_NS8_17constant_iteratorIiNS8_11use_defaultESG_EENS8_10device_ptrIS6_EENSI_IlEEPmSA_NS8_8equal_toIS6_EEEE10hipError_tPvRmT2_T3_mT4_T5_T6_T7_T8_P12ihipStream_tbENKUlT_T0_E_clISt17integral_constantIbLb1EES15_EEDaS10_S11_EUlS10_E_NS1_11comp_targetILNS1_3genE5ELNS1_11target_archE942ELNS1_3gpuE9ELNS1_3repE0EEENS1_30default_config_static_selectorELNS0_4arch9wavefront6targetE1EEEvT1_,"axG",@progbits,_ZN7rocprim17ROCPRIM_400000_NS6detail17trampoline_kernelINS0_14default_configENS1_29reduce_by_key_config_selectorIN3c104HalfElN6thrust23THRUST_200600_302600_NS4plusIlEEEEZZNS1_33reduce_by_key_impl_wrapped_configILNS1_25lookback_scan_determinismE0ES3_SB_PS6_NS8_17constant_iteratorIiNS8_11use_defaultESG_EENS8_10device_ptrIS6_EENSI_IlEEPmSA_NS8_8equal_toIS6_EEEE10hipError_tPvRmT2_T3_mT4_T5_T6_T7_T8_P12ihipStream_tbENKUlT_T0_E_clISt17integral_constantIbLb1EES15_EEDaS10_S11_EUlS10_E_NS1_11comp_targetILNS1_3genE5ELNS1_11target_archE942ELNS1_3gpuE9ELNS1_3repE0EEENS1_30default_config_static_selectorELNS0_4arch9wavefront6targetE1EEEvT1_,comdat
.Lfunc_end2210:
	.size	_ZN7rocprim17ROCPRIM_400000_NS6detail17trampoline_kernelINS0_14default_configENS1_29reduce_by_key_config_selectorIN3c104HalfElN6thrust23THRUST_200600_302600_NS4plusIlEEEEZZNS1_33reduce_by_key_impl_wrapped_configILNS1_25lookback_scan_determinismE0ES3_SB_PS6_NS8_17constant_iteratorIiNS8_11use_defaultESG_EENS8_10device_ptrIS6_EENSI_IlEEPmSA_NS8_8equal_toIS6_EEEE10hipError_tPvRmT2_T3_mT4_T5_T6_T7_T8_P12ihipStream_tbENKUlT_T0_E_clISt17integral_constantIbLb1EES15_EEDaS10_S11_EUlS10_E_NS1_11comp_targetILNS1_3genE5ELNS1_11target_archE942ELNS1_3gpuE9ELNS1_3repE0EEENS1_30default_config_static_selectorELNS0_4arch9wavefront6targetE1EEEvT1_, .Lfunc_end2210-_ZN7rocprim17ROCPRIM_400000_NS6detail17trampoline_kernelINS0_14default_configENS1_29reduce_by_key_config_selectorIN3c104HalfElN6thrust23THRUST_200600_302600_NS4plusIlEEEEZZNS1_33reduce_by_key_impl_wrapped_configILNS1_25lookback_scan_determinismE0ES3_SB_PS6_NS8_17constant_iteratorIiNS8_11use_defaultESG_EENS8_10device_ptrIS6_EENSI_IlEEPmSA_NS8_8equal_toIS6_EEEE10hipError_tPvRmT2_T3_mT4_T5_T6_T7_T8_P12ihipStream_tbENKUlT_T0_E_clISt17integral_constantIbLb1EES15_EEDaS10_S11_EUlS10_E_NS1_11comp_targetILNS1_3genE5ELNS1_11target_archE942ELNS1_3gpuE9ELNS1_3repE0EEENS1_30default_config_static_selectorELNS0_4arch9wavefront6targetE1EEEvT1_
                                        ; -- End function
	.section	.AMDGPU.csdata,"",@progbits
; Kernel info:
; codeLenInByte = 0
; NumSgprs: 4
; NumVgprs: 0
; NumAgprs: 0
; TotalNumVgprs: 0
; ScratchSize: 0
; MemoryBound: 0
; FloatMode: 240
; IeeeMode: 1
; LDSByteSize: 0 bytes/workgroup (compile time only)
; SGPRBlocks: 0
; VGPRBlocks: 0
; NumSGPRsForWavesPerEU: 4
; NumVGPRsForWavesPerEU: 1
; AccumOffset: 4
; Occupancy: 8
; WaveLimiterHint : 0
; COMPUTE_PGM_RSRC2:SCRATCH_EN: 0
; COMPUTE_PGM_RSRC2:USER_SGPR: 6
; COMPUTE_PGM_RSRC2:TRAP_HANDLER: 0
; COMPUTE_PGM_RSRC2:TGID_X_EN: 1
; COMPUTE_PGM_RSRC2:TGID_Y_EN: 0
; COMPUTE_PGM_RSRC2:TGID_Z_EN: 0
; COMPUTE_PGM_RSRC2:TIDIG_COMP_CNT: 0
; COMPUTE_PGM_RSRC3_GFX90A:ACCUM_OFFSET: 0
; COMPUTE_PGM_RSRC3_GFX90A:TG_SPLIT: 0
	.section	.text._ZN7rocprim17ROCPRIM_400000_NS6detail17trampoline_kernelINS0_14default_configENS1_29reduce_by_key_config_selectorIN3c104HalfElN6thrust23THRUST_200600_302600_NS4plusIlEEEEZZNS1_33reduce_by_key_impl_wrapped_configILNS1_25lookback_scan_determinismE0ES3_SB_PS6_NS8_17constant_iteratorIiNS8_11use_defaultESG_EENS8_10device_ptrIS6_EENSI_IlEEPmSA_NS8_8equal_toIS6_EEEE10hipError_tPvRmT2_T3_mT4_T5_T6_T7_T8_P12ihipStream_tbENKUlT_T0_E_clISt17integral_constantIbLb1EES15_EEDaS10_S11_EUlS10_E_NS1_11comp_targetILNS1_3genE4ELNS1_11target_archE910ELNS1_3gpuE8ELNS1_3repE0EEENS1_30default_config_static_selectorELNS0_4arch9wavefront6targetE1EEEvT1_,"axG",@progbits,_ZN7rocprim17ROCPRIM_400000_NS6detail17trampoline_kernelINS0_14default_configENS1_29reduce_by_key_config_selectorIN3c104HalfElN6thrust23THRUST_200600_302600_NS4plusIlEEEEZZNS1_33reduce_by_key_impl_wrapped_configILNS1_25lookback_scan_determinismE0ES3_SB_PS6_NS8_17constant_iteratorIiNS8_11use_defaultESG_EENS8_10device_ptrIS6_EENSI_IlEEPmSA_NS8_8equal_toIS6_EEEE10hipError_tPvRmT2_T3_mT4_T5_T6_T7_T8_P12ihipStream_tbENKUlT_T0_E_clISt17integral_constantIbLb1EES15_EEDaS10_S11_EUlS10_E_NS1_11comp_targetILNS1_3genE4ELNS1_11target_archE910ELNS1_3gpuE8ELNS1_3repE0EEENS1_30default_config_static_selectorELNS0_4arch9wavefront6targetE1EEEvT1_,comdat
	.protected	_ZN7rocprim17ROCPRIM_400000_NS6detail17trampoline_kernelINS0_14default_configENS1_29reduce_by_key_config_selectorIN3c104HalfElN6thrust23THRUST_200600_302600_NS4plusIlEEEEZZNS1_33reduce_by_key_impl_wrapped_configILNS1_25lookback_scan_determinismE0ES3_SB_PS6_NS8_17constant_iteratorIiNS8_11use_defaultESG_EENS8_10device_ptrIS6_EENSI_IlEEPmSA_NS8_8equal_toIS6_EEEE10hipError_tPvRmT2_T3_mT4_T5_T6_T7_T8_P12ihipStream_tbENKUlT_T0_E_clISt17integral_constantIbLb1EES15_EEDaS10_S11_EUlS10_E_NS1_11comp_targetILNS1_3genE4ELNS1_11target_archE910ELNS1_3gpuE8ELNS1_3repE0EEENS1_30default_config_static_selectorELNS0_4arch9wavefront6targetE1EEEvT1_ ; -- Begin function _ZN7rocprim17ROCPRIM_400000_NS6detail17trampoline_kernelINS0_14default_configENS1_29reduce_by_key_config_selectorIN3c104HalfElN6thrust23THRUST_200600_302600_NS4plusIlEEEEZZNS1_33reduce_by_key_impl_wrapped_configILNS1_25lookback_scan_determinismE0ES3_SB_PS6_NS8_17constant_iteratorIiNS8_11use_defaultESG_EENS8_10device_ptrIS6_EENSI_IlEEPmSA_NS8_8equal_toIS6_EEEE10hipError_tPvRmT2_T3_mT4_T5_T6_T7_T8_P12ihipStream_tbENKUlT_T0_E_clISt17integral_constantIbLb1EES15_EEDaS10_S11_EUlS10_E_NS1_11comp_targetILNS1_3genE4ELNS1_11target_archE910ELNS1_3gpuE8ELNS1_3repE0EEENS1_30default_config_static_selectorELNS0_4arch9wavefront6targetE1EEEvT1_
	.globl	_ZN7rocprim17ROCPRIM_400000_NS6detail17trampoline_kernelINS0_14default_configENS1_29reduce_by_key_config_selectorIN3c104HalfElN6thrust23THRUST_200600_302600_NS4plusIlEEEEZZNS1_33reduce_by_key_impl_wrapped_configILNS1_25lookback_scan_determinismE0ES3_SB_PS6_NS8_17constant_iteratorIiNS8_11use_defaultESG_EENS8_10device_ptrIS6_EENSI_IlEEPmSA_NS8_8equal_toIS6_EEEE10hipError_tPvRmT2_T3_mT4_T5_T6_T7_T8_P12ihipStream_tbENKUlT_T0_E_clISt17integral_constantIbLb1EES15_EEDaS10_S11_EUlS10_E_NS1_11comp_targetILNS1_3genE4ELNS1_11target_archE910ELNS1_3gpuE8ELNS1_3repE0EEENS1_30default_config_static_selectorELNS0_4arch9wavefront6targetE1EEEvT1_
	.p2align	8
	.type	_ZN7rocprim17ROCPRIM_400000_NS6detail17trampoline_kernelINS0_14default_configENS1_29reduce_by_key_config_selectorIN3c104HalfElN6thrust23THRUST_200600_302600_NS4plusIlEEEEZZNS1_33reduce_by_key_impl_wrapped_configILNS1_25lookback_scan_determinismE0ES3_SB_PS6_NS8_17constant_iteratorIiNS8_11use_defaultESG_EENS8_10device_ptrIS6_EENSI_IlEEPmSA_NS8_8equal_toIS6_EEEE10hipError_tPvRmT2_T3_mT4_T5_T6_T7_T8_P12ihipStream_tbENKUlT_T0_E_clISt17integral_constantIbLb1EES15_EEDaS10_S11_EUlS10_E_NS1_11comp_targetILNS1_3genE4ELNS1_11target_archE910ELNS1_3gpuE8ELNS1_3repE0EEENS1_30default_config_static_selectorELNS0_4arch9wavefront6targetE1EEEvT1_,@function
_ZN7rocprim17ROCPRIM_400000_NS6detail17trampoline_kernelINS0_14default_configENS1_29reduce_by_key_config_selectorIN3c104HalfElN6thrust23THRUST_200600_302600_NS4plusIlEEEEZZNS1_33reduce_by_key_impl_wrapped_configILNS1_25lookback_scan_determinismE0ES3_SB_PS6_NS8_17constant_iteratorIiNS8_11use_defaultESG_EENS8_10device_ptrIS6_EENSI_IlEEPmSA_NS8_8equal_toIS6_EEEE10hipError_tPvRmT2_T3_mT4_T5_T6_T7_T8_P12ihipStream_tbENKUlT_T0_E_clISt17integral_constantIbLb1EES15_EEDaS10_S11_EUlS10_E_NS1_11comp_targetILNS1_3genE4ELNS1_11target_archE910ELNS1_3gpuE8ELNS1_3repE0EEENS1_30default_config_static_selectorELNS0_4arch9wavefront6targetE1EEEvT1_: ; @_ZN7rocprim17ROCPRIM_400000_NS6detail17trampoline_kernelINS0_14default_configENS1_29reduce_by_key_config_selectorIN3c104HalfElN6thrust23THRUST_200600_302600_NS4plusIlEEEEZZNS1_33reduce_by_key_impl_wrapped_configILNS1_25lookback_scan_determinismE0ES3_SB_PS6_NS8_17constant_iteratorIiNS8_11use_defaultESG_EENS8_10device_ptrIS6_EENSI_IlEEPmSA_NS8_8equal_toIS6_EEEE10hipError_tPvRmT2_T3_mT4_T5_T6_T7_T8_P12ihipStream_tbENKUlT_T0_E_clISt17integral_constantIbLb1EES15_EEDaS10_S11_EUlS10_E_NS1_11comp_targetILNS1_3genE4ELNS1_11target_archE910ELNS1_3gpuE8ELNS1_3repE0EEENS1_30default_config_static_selectorELNS0_4arch9wavefront6targetE1EEEvT1_
; %bb.0:
	s_load_dwordx4 s[52:55], s[4:5], 0x20
	s_load_dwordx2 s[56:57], s[4:5], 0x30
	s_load_dwordx2 s[30:31], s[4:5], 0x80
	v_cmp_ne_u32_e64 s[2:3], 0, v0
	v_cmp_eq_u32_e64 s[0:1], 0, v0
	s_and_saveexec_b64 s[6:7], s[0:1]
	s_cbranch_execz .LBB2211_4
; %bb.1:
	s_mov_b64 s[10:11], exec
	v_mbcnt_lo_u32_b32 v1, s10, 0
	v_mbcnt_hi_u32_b32 v1, s11, v1
	v_cmp_eq_u32_e32 vcc, 0, v1
                                        ; implicit-def: $vgpr2
	s_and_saveexec_b64 s[8:9], vcc
	s_cbranch_execz .LBB2211_3
; %bb.2:
	s_load_dwordx2 s[12:13], s[4:5], 0x88
	s_bcnt1_i32_b64 s10, s[10:11]
	v_mov_b32_e32 v2, 0
	v_mov_b32_e32 v3, s10
	s_waitcnt lgkmcnt(0)
	global_atomic_add v2, v2, v3, s[12:13] glc
.LBB2211_3:
	s_or_b64 exec, exec, s[8:9]
	s_waitcnt vmcnt(0)
	v_readfirstlane_b32 s8, v2
	v_add_u32_e32 v1, s8, v1
	v_mov_b32_e32 v2, 0
	ds_write_b32 v2, v1
.LBB2211_4:
	s_or_b64 exec, exec, s[6:7]
	s_load_dwordx4 s[8:11], s[4:5], 0x0
	s_load_dword s12, s[4:5], 0x18
	s_load_dwordx16 s[36:51], s[4:5], 0x40
	v_mov_b32_e32 v3, 0
	s_waitcnt lgkmcnt(0)
	s_barrier
	ds_read_b32 v1, v3
	s_mul_i32 s4, s44, s43
	s_mul_hi_u32 s5, s44, s42
	s_add_i32 s4, s5, s4
	s_mul_i32 s5, s45, s42
	s_add_i32 s7, s4, s5
	s_lshl_b64 s[4:5], s[10:11], 1
	s_add_u32 s4, s8, s4
	s_mul_i32 s6, s44, s42
	s_addc_u32 s5, s9, s5
	s_waitcnt lgkmcnt(0)
	v_readfirstlane_b32 s62, v1
	s_add_u32 s6, s6, s62
	s_movk_i32 s8, 0xf00
	s_addc_u32 s7, s7, 0
	v_mul_lo_u32 v2, v1, s8
	s_add_u32 s10, s46, -1
	v_lshlrev_b64 v[2:3], 1, v[2:3]
	s_addc_u32 s11, s47, -1
	v_mov_b32_e32 v1, s5
	v_add_co_u32_e32 v40, vcc, s4, v2
	s_cmp_eq_u64 s[6:7], s[10:11]
	v_addc_co_u32_e32 v41, vcc, v1, v3, vcc
	s_cselect_b64 s[44:45], -1, 0
	s_cmp_lg_u64 s[6:7], s[10:11]
	s_mov_b64 s[8:9], -1
	s_cselect_b64 s[4:5], -1, 0
	s_mul_i32 s33, s10, 0xfffff100
	s_and_b64 vcc, exec, s[44:45]
	s_barrier
	s_cbranch_vccnz .LBB2211_6
; %bb.5:
	v_lshlrev_b32_e32 v1, 1, v0
	v_add_co_u32_e32 v2, vcc, v40, v1
	v_addc_co_u32_e32 v3, vcc, 0, v41, vcc
	v_add_co_u32_e32 v2, vcc, 0x1000, v2
	v_readfirstlane_b32 s8, v40
	v_readfirstlane_b32 s9, v41
	v_addc_co_u32_e32 v3, vcc, 0, v3, vcc
	s_nop 3
	global_load_ushort v4, v1, s[8:9]
	global_load_ushort v5, v1, s[8:9] offset:512
	global_load_ushort v13, v1, s[8:9] offset:1024
	;; [unrolled: 1-line block ×7, first 2 shown]
	global_load_ushort v21, v[2:3], off
	global_load_ushort v22, v[2:3], off offset:512
	global_load_ushort v23, v[2:3], off offset:1024
	;; [unrolled: 1-line block ×6, first 2 shown]
	v_mad_u32_u24 v29, v0, 28, v1
	s_ashr_i32 s13, s12, 31
	s_movk_i32 s8, 0xffea
	v_mul_u32_u24_e32 v7, 15, v0
	v_mad_u32_u24 v8, v0, 15, 1
	v_mad_u32_u24 v12, v0, 15, 3
	;; [unrolled: 1-line block ×7, first 2 shown]
	v_pk_mov_b32 v[14:15], s[12:13], s[12:13] op_sel:[0,1]
	v_mad_i32_i24 v30, v0, s8, v29
	s_waitcnt vmcnt(14)
	ds_write_b16 v1, v4
	s_waitcnt vmcnt(13)
	ds_write_b16 v1, v5 offset:512
	s_waitcnt vmcnt(12)
	ds_write_b16 v1, v13 offset:1024
	;; [unrolled: 2-line block ×14, first 2 shown]
	s_waitcnt lgkmcnt(0)
	s_barrier
	ds_read_u16 v1, v29
	ds_read_b128 v[2:5], v29 offset:2
	ds_read_b96 v[22:24], v29 offset:18
	s_waitcnt lgkmcnt(0)
	s_barrier
	ds_write2st64_b64 v30, v[14:15], v[14:15] offset1:4
	ds_write2st64_b64 v30, v[14:15], v[14:15] offset0:8 offset1:12
	ds_write2st64_b64 v30, v[14:15], v[14:15] offset0:16 offset1:20
	;; [unrolled: 1-line block ×6, first 2 shown]
	ds_write_b64 v30, v[14:15] offset:28672
	s_waitcnt lgkmcnt(0)
	s_barrier
	s_add_i32 s33, s33, s48
	s_cbranch_execz .LBB2211_7
	s_branch .LBB2211_38
.LBB2211_6:
                                        ; implicit-def: $vgpr2
                                        ; implicit-def: $vgpr22
                                        ; implicit-def: $vgpr25
                                        ; implicit-def: $vgpr9
                                        ; implicit-def: $vgpr6
                                        ; implicit-def: $vgpr10
                                        ; implicit-def: $vgpr11
                                        ; implicit-def: $vgpr12
                                        ; implicit-def: $vgpr8
                                        ; implicit-def: $vgpr7
                                        ; implicit-def: $vgpr1
	s_andn2_b64 vcc, exec, s[8:9]
	s_add_i32 s33, s33, s48
	s_cbranch_vccnz .LBB2211_38
.LBB2211_7:
	v_cmp_gt_u32_e32 vcc, s33, v0
                                        ; implicit-def: $vgpr1
	s_and_saveexec_b64 s[8:9], vcc
	s_cbranch_execz .LBB2211_9
; %bb.8:
	v_lshlrev_b32_e32 v1, 1, v0
	v_readfirstlane_b32 s10, v40
	v_readfirstlane_b32 s11, v41
	s_nop 4
	global_load_ushort v1, v1, s[10:11]
.LBB2211_9:
	s_or_b64 exec, exec, s[8:9]
	v_or_b32_e32 v2, 0x100, v0
	v_cmp_gt_u32_e32 vcc, s33, v2
                                        ; implicit-def: $vgpr2
	s_and_saveexec_b64 s[8:9], vcc
	s_cbranch_execz .LBB2211_11
; %bb.10:
	v_lshlrev_b32_e32 v2, 1, v0
	v_readfirstlane_b32 s10, v40
	v_readfirstlane_b32 s11, v41
	s_nop 4
	global_load_ushort v2, v2, s[10:11] offset:512
.LBB2211_11:
	s_or_b64 exec, exec, s[8:9]
	v_or_b32_e32 v3, 0x200, v0
	v_cmp_gt_u32_e32 vcc, s33, v3
                                        ; implicit-def: $vgpr3
	s_and_saveexec_b64 s[8:9], vcc
	s_cbranch_execz .LBB2211_13
; %bb.12:
	v_lshlrev_b32_e32 v3, 1, v0
	v_readfirstlane_b32 s10, v40
	v_readfirstlane_b32 s11, v41
	s_nop 4
	global_load_ushort v3, v3, s[10:11] offset:1024
.LBB2211_13:
	s_or_b64 exec, exec, s[8:9]
	v_or_b32_e32 v4, 0x300, v0
	v_cmp_gt_u32_e32 vcc, s33, v4
                                        ; implicit-def: $vgpr4
	s_and_saveexec_b64 s[8:9], vcc
	s_cbranch_execz .LBB2211_15
; %bb.14:
	v_lshlrev_b32_e32 v4, 1, v0
	v_readfirstlane_b32 s10, v40
	v_readfirstlane_b32 s11, v41
	s_nop 4
	global_load_ushort v4, v4, s[10:11] offset:1536
.LBB2211_15:
	s_or_b64 exec, exec, s[8:9]
	v_or_b32_e32 v5, 0x400, v0
	v_cmp_gt_u32_e32 vcc, s33, v5
                                        ; implicit-def: $vgpr5
	s_and_saveexec_b64 s[8:9], vcc
	s_cbranch_execz .LBB2211_17
; %bb.16:
	v_lshlrev_b32_e32 v5, 1, v0
	v_readfirstlane_b32 s10, v40
	v_readfirstlane_b32 s11, v41
	s_nop 4
	global_load_ushort v5, v5, s[10:11] offset:2048
.LBB2211_17:
	s_or_b64 exec, exec, s[8:9]
	v_or_b32_e32 v6, 0x500, v0
	v_cmp_gt_u32_e32 vcc, s33, v6
                                        ; implicit-def: $vgpr6
	s_and_saveexec_b64 s[8:9], vcc
	s_cbranch_execz .LBB2211_19
; %bb.18:
	v_lshlrev_b32_e32 v6, 1, v0
	v_readfirstlane_b32 s10, v40
	v_readfirstlane_b32 s11, v41
	s_nop 4
	global_load_ushort v6, v6, s[10:11] offset:2560
.LBB2211_19:
	s_or_b64 exec, exec, s[8:9]
	v_or_b32_e32 v7, 0x600, v0
	v_cmp_gt_u32_e32 vcc, s33, v7
                                        ; implicit-def: $vgpr7
	s_and_saveexec_b64 s[8:9], vcc
	s_cbranch_execz .LBB2211_21
; %bb.20:
	v_lshlrev_b32_e32 v7, 1, v0
	v_readfirstlane_b32 s10, v40
	v_readfirstlane_b32 s11, v41
	s_nop 4
	global_load_ushort v7, v7, s[10:11] offset:3072
.LBB2211_21:
	s_or_b64 exec, exec, s[8:9]
	v_or_b32_e32 v8, 0x700, v0
	v_cmp_gt_u32_e32 vcc, s33, v8
                                        ; implicit-def: $vgpr8
	s_and_saveexec_b64 s[8:9], vcc
	s_cbranch_execz .LBB2211_23
; %bb.22:
	v_lshlrev_b32_e32 v8, 1, v0
	v_readfirstlane_b32 s10, v40
	v_readfirstlane_b32 s11, v41
	s_nop 4
	global_load_ushort v8, v8, s[10:11] offset:3584
.LBB2211_23:
	s_or_b64 exec, exec, s[8:9]
	v_or_b32_e32 v10, 0x800, v0
	v_cmp_gt_u32_e32 vcc, s33, v10
                                        ; implicit-def: $vgpr9
	s_and_saveexec_b64 s[8:9], vcc
	s_cbranch_execz .LBB2211_25
; %bb.24:
	v_lshlrev_b32_e32 v9, 1, v10
	v_readfirstlane_b32 s10, v40
	v_readfirstlane_b32 s11, v41
	s_nop 4
	global_load_ushort v9, v9, s[10:11]
.LBB2211_25:
	s_or_b64 exec, exec, s[8:9]
	v_or_b32_e32 v11, 0x900, v0
	v_cmp_gt_u32_e32 vcc, s33, v11
                                        ; implicit-def: $vgpr10
	s_and_saveexec_b64 s[8:9], vcc
	s_cbranch_execz .LBB2211_27
; %bb.26:
	v_lshlrev_b32_e32 v10, 1, v11
	v_readfirstlane_b32 s10, v40
	v_readfirstlane_b32 s11, v41
	s_nop 4
	global_load_ushort v10, v10, s[10:11]
.LBB2211_27:
	s_or_b64 exec, exec, s[8:9]
	v_or_b32_e32 v12, 0xa00, v0
	v_cmp_gt_u32_e32 vcc, s33, v12
                                        ; implicit-def: $vgpr11
	s_and_saveexec_b64 s[8:9], vcc
	s_cbranch_execz .LBB2211_29
; %bb.28:
	v_lshlrev_b32_e32 v11, 1, v12
	v_readfirstlane_b32 s10, v40
	v_readfirstlane_b32 s11, v41
	s_nop 4
	global_load_ushort v11, v11, s[10:11]
.LBB2211_29:
	s_or_b64 exec, exec, s[8:9]
	v_or_b32_e32 v13, 0xb00, v0
	v_cmp_gt_u32_e32 vcc, s33, v13
                                        ; implicit-def: $vgpr12
	s_and_saveexec_b64 s[8:9], vcc
	s_cbranch_execz .LBB2211_31
; %bb.30:
	v_lshlrev_b32_e32 v12, 1, v13
	v_readfirstlane_b32 s10, v40
	v_readfirstlane_b32 s11, v41
	s_nop 4
	global_load_ushort v12, v12, s[10:11]
.LBB2211_31:
	s_or_b64 exec, exec, s[8:9]
	v_or_b32_e32 v14, 0xc00, v0
	v_cmp_gt_u32_e32 vcc, s33, v14
                                        ; implicit-def: $vgpr13
	s_and_saveexec_b64 s[8:9], vcc
	s_cbranch_execz .LBB2211_33
; %bb.32:
	v_lshlrev_b32_e32 v13, 1, v14
	v_readfirstlane_b32 s10, v40
	v_readfirstlane_b32 s11, v41
	s_nop 4
	global_load_ushort v13, v13, s[10:11]
.LBB2211_33:
	s_or_b64 exec, exec, s[8:9]
	v_or_b32_e32 v15, 0xd00, v0
	v_cmp_gt_u32_e32 vcc, s33, v15
                                        ; implicit-def: $vgpr14
	s_and_saveexec_b64 s[8:9], vcc
	s_cbranch_execz .LBB2211_35
; %bb.34:
	v_lshlrev_b32_e32 v14, 1, v15
	v_readfirstlane_b32 s10, v40
	v_readfirstlane_b32 s11, v41
	s_nop 4
	global_load_ushort v14, v14, s[10:11]
.LBB2211_35:
	s_or_b64 exec, exec, s[8:9]
	v_or_b32_e32 v16, 0xe00, v0
	v_cmp_gt_u32_e32 vcc, s33, v16
                                        ; implicit-def: $vgpr15
	s_and_saveexec_b64 s[8:9], vcc
	s_cbranch_execz .LBB2211_37
; %bb.36:
	v_lshlrev_b32_e32 v15, 1, v16
	v_readfirstlane_b32 s10, v40
	v_readfirstlane_b32 s11, v41
	s_nop 4
	global_load_ushort v15, v15, s[10:11]
.LBB2211_37:
	s_or_b64 exec, exec, s[8:9]
	v_lshlrev_b32_e32 v16, 1, v0
	s_waitcnt vmcnt(0)
	ds_write_b16 v16, v1
	ds_write_b16 v16, v2 offset:512
	ds_write_b16 v16, v3 offset:1024
	;; [unrolled: 1-line block ×14, first 2 shown]
	v_mad_u32_u24 v13, v0, 28, v16
	s_waitcnt lgkmcnt(0)
	s_barrier
	ds_read_u16 v1, v13
	ds_read_b128 v[2:5], v13 offset:2
	ds_read_b96 v[22:24], v13 offset:18
	s_ashr_i32 s13, s12, 31
	s_movk_i32 s8, 0xffea
	v_mul_u32_u24_e32 v7, 15, v0
	v_mad_u32_u24 v8, v0, 15, 1
	v_mad_u32_u24 v12, v0, 15, 3
	;; [unrolled: 1-line block ×7, first 2 shown]
	v_mad_i32_i24 v13, v0, s8, v13
	v_pk_mov_b32 v[14:15], s[12:13], s[12:13] op_sel:[0,1]
	s_waitcnt lgkmcnt(0)
	s_barrier
	ds_write2st64_b64 v13, v[14:15], v[14:15] offset1:4
	ds_write2st64_b64 v13, v[14:15], v[14:15] offset0:8 offset1:12
	ds_write2st64_b64 v13, v[14:15], v[14:15] offset0:16 offset1:20
	;; [unrolled: 1-line block ×6, first 2 shown]
	ds_write_b64 v13, v[14:15] offset:28672
	s_waitcnt lgkmcnt(0)
	s_barrier
.LBB2211_38:
	v_lshlrev_b32_e32 v7, 3, v7
	v_lshlrev_b32_e32 v8, 3, v8
	;; [unrolled: 1-line block ×5, first 2 shown]
	ds_read2_b64 v[18:21], v7 offset1:2
	ds_read2_b64 v[14:17], v7 offset0:4 offset1:6
	ds_read_b64 v[38:39], v8
	ds_read_b64 v[36:37], v12
	;; [unrolled: 1-line block ×4, first 2 shown]
	ds_read2_b64 v[10:13], v7 offset0:8 offset1:10
	v_lshlrev_b32_e32 v26, 3, v6
	v_lshlrev_b32_e32 v27, 3, v9
	ds_read2_b64 v[6:9], v7 offset0:12 offset1:14
	v_lshlrev_b32_e32 v25, 3, v25
	ds_read_b64 v[32:33], v26
	ds_read_b64 v[28:29], v27
	;; [unrolled: 1-line block ×3, first 2 shown]
	s_cmp_eq_u64 s[6:7], 0
	s_cselect_b64 s[46:47], -1, 0
	s_cmp_lg_u64 s[6:7], 0
	s_mov_b64 s[8:9], 0
	s_cselect_b64 s[10:11], -1, 0
	s_and_b64 vcc, exec, s[4:5]
	s_waitcnt lgkmcnt(0)
	s_barrier
	s_cbranch_vccz .LBB2211_44
; %bb.39:
	s_and_b64 vcc, exec, s[10:11]
	s_cbranch_vccz .LBB2211_45
; %bb.40:
	global_load_ushort v42, v[40:41], off offset:-2
	v_lshrrev_b32_e32 v43, 16, v24
	v_lshlrev_b32_e32 v25, 1, v0
	v_cmp_neq_f16_e32 vcc, v24, v43
	v_cmp_neq_f16_sdwa s[8:9], v23, v24 src0_sel:WORD_1 src1_sel:DWORD
	v_cmp_neq_f16_sdwa s[12:13], v23, v23 src0_sel:DWORD src1_sel:WORD_1
	v_cmp_neq_f16_sdwa s[14:15], v22, v23 src0_sel:WORD_1 src1_sel:DWORD
	v_cmp_neq_f16_sdwa s[16:17], v22, v22 src0_sel:DWORD src1_sel:WORD_1
	;; [unrolled: 2-line block ×6, first 2 shown]
	v_cmp_neq_f16_e64 s[4:5], v1, v2
	ds_write_b16 v25, v43
	s_waitcnt lgkmcnt(0)
	s_barrier
	s_and_saveexec_b64 s[60:61], s[2:3]
	s_cbranch_execz .LBB2211_42
; %bb.41:
	v_add_u32_e32 v25, -2, v25
	s_waitcnt vmcnt(0)
	ds_read_u16 v42, v25
.LBB2211_42:
	s_or_b64 exec, exec, s[60:61]
	v_cndmask_b32_e64 v25, 0, 1, vcc
	v_cndmask_b32_e64 v76, 0, 1, s[8:9]
	v_cndmask_b32_e64 v77, 0, 1, s[12:13]
	;; [unrolled: 1-line block ×13, first 2 shown]
	s_waitcnt vmcnt(0) lgkmcnt(0)
	v_cmp_neq_f16_e64 s[4:5], v1, v42
	s_mov_b64 s[8:9], -1
.LBB2211_43:
                                        ; implicit-def: $sgpr14
	s_branch .LBB2211_57
.LBB2211_44:
                                        ; implicit-def: $sgpr4_sgpr5
                                        ; implicit-def: $vgpr25
                                        ; implicit-def: $vgpr76
                                        ; implicit-def: $vgpr77
                                        ; implicit-def: $vgpr78
                                        ; implicit-def: $vgpr79
                                        ; implicit-def: $vgpr80
                                        ; implicit-def: $vgpr81
                                        ; implicit-def: $vgpr82
                                        ; implicit-def: $vgpr83
                                        ; implicit-def: $vgpr84
                                        ; implicit-def: $vgpr85
                                        ; implicit-def: $vgpr86
                                        ; implicit-def: $vgpr87
                                        ; implicit-def: $vgpr88
                                        ; implicit-def: $sgpr14
	s_cbranch_execnz .LBB2211_49
	s_branch .LBB2211_57
.LBB2211_45:
                                        ; implicit-def: $sgpr4_sgpr5
                                        ; implicit-def: $vgpr25
                                        ; implicit-def: $vgpr76
                                        ; implicit-def: $vgpr77
                                        ; implicit-def: $vgpr78
                                        ; implicit-def: $vgpr79
                                        ; implicit-def: $vgpr80
                                        ; implicit-def: $vgpr81
                                        ; implicit-def: $vgpr82
                                        ; implicit-def: $vgpr83
                                        ; implicit-def: $vgpr84
                                        ; implicit-def: $vgpr85
                                        ; implicit-def: $vgpr86
                                        ; implicit-def: $vgpr87
                                        ; implicit-def: $vgpr88
	s_cbranch_execz .LBB2211_43
; %bb.46:
	v_cmp_neq_f16_sdwa s[4:5], v23, v24 src0_sel:WORD_1 src1_sel:DWORD
	v_cndmask_b32_e64 v76, 0, 1, s[4:5]
	v_cmp_neq_f16_sdwa s[4:5], v23, v23 src0_sel:DWORD src1_sel:WORD_1
	v_cndmask_b32_e64 v77, 0, 1, s[4:5]
	v_cmp_neq_f16_sdwa s[4:5], v22, v23 src0_sel:WORD_1 src1_sel:DWORD
	v_cndmask_b32_e64 v78, 0, 1, s[4:5]
	v_cmp_neq_f16_sdwa s[4:5], v22, v22 src0_sel:DWORD src1_sel:WORD_1
	v_cndmask_b32_e64 v79, 0, 1, s[4:5]
	;; [unrolled: 4-line block ×4, first 2 shown]
	v_cmp_neq_f16_sdwa s[4:5], v3, v4 src0_sel:WORD_1 src1_sel:DWORD
	v_lshrrev_b32_e32 v25, 16, v24
	v_cndmask_b32_e64 v84, 0, 1, s[4:5]
	v_cmp_neq_f16_sdwa s[4:5], v3, v3 src0_sel:DWORD src1_sel:WORD_1
	v_lshlrev_b32_e32 v42, 1, v0
	v_cmp_neq_f16_e32 vcc, v24, v25
	v_cndmask_b32_e64 v85, 0, 1, s[4:5]
	v_cmp_neq_f16_sdwa s[4:5], v2, v3 src0_sel:WORD_1 src1_sel:DWORD
	ds_write_b16 v42, v25
	v_cndmask_b32_e64 v25, 0, 1, vcc
	v_cndmask_b32_e64 v86, 0, 1, s[4:5]
	v_cmp_neq_f16_sdwa s[4:5], v2, v2 src0_sel:DWORD src1_sel:WORD_1
	v_cmp_neq_f16_e32 vcc, v1, v2
	s_mov_b32 s14, 1
	v_cndmask_b32_e64 v87, 0, 1, s[4:5]
	v_cndmask_b32_e64 v88, 0, 1, vcc
	s_waitcnt lgkmcnt(0)
	s_barrier
	s_waitcnt lgkmcnt(0)
                                        ; implicit-def: $sgpr4_sgpr5
	s_and_saveexec_b64 s[12:13], s[2:3]
	s_xor_b64 s[12:13], exec, s[12:13]
	s_cbranch_execz .LBB2211_48
; %bb.47:
	v_add_u32_e32 v42, -2, v42
	ds_read_u16 v42, v42
	s_or_b64 s[8:9], s[8:9], exec
	s_waitcnt lgkmcnt(0)
	v_cmp_neq_f16_e32 vcc, v42, v1
	s_and_b64 s[4:5], vcc, exec
.LBB2211_48:
	s_or_b64 exec, exec, s[12:13]
	s_branch .LBB2211_57
.LBB2211_49:
	s_mul_hi_u32 s5, s6, 0xfffff100
	s_mul_i32 s4, s7, 0xfffff100
	s_sub_i32 s5, s5, s6
	s_add_i32 s5, s5, s4
	s_mul_i32 s4, s6, 0xfffff100
	s_add_u32 s6, s4, s48
	s_addc_u32 s7, s5, s49
	s_and_b64 vcc, exec, s[10:11]
	s_cbranch_vccz .LBB2211_54
; %bb.50:
	global_load_ushort v44, v[40:41], off offset:-2
	v_lshrrev_b32_e32 v41, 16, v24
	v_mad_u32_u24 v42, v0, 15, 14
	v_mov_b32_e32 v43, 0
	v_cmp_gt_u64_e32 vcc, s[6:7], v[42:43]
	v_cmp_neq_f16_e64 s[4:5], v24, v41
	v_mad_u32_u24 v42, v0, 15, 13
	s_and_b64 s[8:9], vcc, s[4:5]
	v_cmp_gt_u64_e32 vcc, s[6:7], v[42:43]
	v_cmp_neq_f16_sdwa s[4:5], v23, v24 src0_sel:WORD_1 src1_sel:DWORD
	v_mad_u32_u24 v42, v0, 15, 12
	s_and_b64 s[10:11], vcc, s[4:5]
	v_cmp_gt_u64_e32 vcc, s[6:7], v[42:43]
	v_cmp_neq_f16_sdwa s[4:5], v23, v23 src0_sel:DWORD src1_sel:WORD_1
	v_mad_u32_u24 v42, v0, 15, 11
	s_and_b64 s[12:13], vcc, s[4:5]
	v_cmp_gt_u64_e32 vcc, s[6:7], v[42:43]
	v_cmp_neq_f16_sdwa s[4:5], v22, v23 src0_sel:WORD_1 src1_sel:DWORD
	v_mad_u32_u24 v42, v0, 15, 10
	s_and_b64 s[14:15], vcc, s[4:5]
	v_cmp_gt_u64_e32 vcc, s[6:7], v[42:43]
	v_cmp_neq_f16_sdwa s[4:5], v22, v22 src0_sel:DWORD src1_sel:WORD_1
	;; [unrolled: 8-line block ×6, first 2 shown]
	v_mad_u32_u24 v42, v0, 15, 1
	s_and_b64 s[48:49], vcc, s[4:5]
	v_cmp_gt_u64_e32 vcc, s[6:7], v[42:43]
	v_cmp_neq_f16_e64 s[4:5], v1, v2
	v_lshlrev_b32_e32 v25, 1, v0
	v_mul_u32_u24_e32 v40, 15, v0
	s_and_b64 s[4:5], vcc, s[4:5]
	ds_write_b16 v25, v41
	s_waitcnt lgkmcnt(0)
	s_barrier
	s_and_saveexec_b64 s[58:59], s[2:3]
	s_cbranch_execz .LBB2211_52
; %bb.51:
	v_add_u32_e32 v25, -2, v25
	s_waitcnt vmcnt(0)
	ds_read_u16 v44, v25
.LBB2211_52:
	s_or_b64 exec, exec, s[58:59]
	v_mov_b32_e32 v41, v43
	v_cndmask_b32_e64 v88, 0, 1, s[4:5]
	v_cmp_gt_u64_e32 vcc, s[6:7], v[40:41]
	s_waitcnt vmcnt(0) lgkmcnt(0)
	v_cmp_neq_f16_e64 s[4:5], v1, v44
	v_cndmask_b32_e64 v25, 0, 1, s[8:9]
	v_cndmask_b32_e64 v76, 0, 1, s[10:11]
	;; [unrolled: 1-line block ×13, first 2 shown]
	s_and_b64 s[4:5], vcc, s[4:5]
	s_mov_b64 s[8:9], -1
.LBB2211_53:
                                        ; implicit-def: $sgpr14
	v_mov_b32_e32 v89, s14
	s_and_saveexec_b64 s[2:3], s[8:9]
	s_cbranch_execnz .LBB2211_58
	s_branch .LBB2211_59
.LBB2211_54:
                                        ; implicit-def: $sgpr4_sgpr5
                                        ; implicit-def: $vgpr25
                                        ; implicit-def: $vgpr76
                                        ; implicit-def: $vgpr77
                                        ; implicit-def: $vgpr78
                                        ; implicit-def: $vgpr79
                                        ; implicit-def: $vgpr80
                                        ; implicit-def: $vgpr81
                                        ; implicit-def: $vgpr82
                                        ; implicit-def: $vgpr83
                                        ; implicit-def: $vgpr84
                                        ; implicit-def: $vgpr85
                                        ; implicit-def: $vgpr86
                                        ; implicit-def: $vgpr87
                                        ; implicit-def: $vgpr88
	s_cbranch_execz .LBB2211_53
; %bb.55:
	v_lshrrev_b32_e32 v25, 16, v24
	v_mad_u32_u24 v40, v0, 15, 14
	v_mov_b32_e32 v41, 0
	v_cmp_gt_u64_e32 vcc, s[6:7], v[40:41]
	v_cmp_neq_f16_e64 s[4:5], v24, v25
	v_lshlrev_b32_e32 v42, 1, v0
	s_and_b64 s[4:5], vcc, s[4:5]
	v_mad_u32_u24 v40, v0, 15, 13
	ds_write_b16 v42, v25
	v_cndmask_b32_e64 v25, 0, 1, s[4:5]
	v_cmp_gt_u64_e32 vcc, s[6:7], v[40:41]
	v_cmp_neq_f16_sdwa s[4:5], v23, v24 src0_sel:WORD_1 src1_sel:DWORD
	s_and_b64 s[4:5], vcc, s[4:5]
	v_mad_u32_u24 v40, v0, 15, 12
	v_cndmask_b32_e64 v76, 0, 1, s[4:5]
	v_cmp_gt_u64_e32 vcc, s[6:7], v[40:41]
	v_cmp_neq_f16_sdwa s[4:5], v23, v23 src0_sel:DWORD src1_sel:WORD_1
	s_and_b64 s[4:5], vcc, s[4:5]
	v_mad_u32_u24 v40, v0, 15, 11
	v_cndmask_b32_e64 v77, 0, 1, s[4:5]
	v_cmp_gt_u64_e32 vcc, s[6:7], v[40:41]
	v_cmp_neq_f16_sdwa s[4:5], v22, v23 src0_sel:WORD_1 src1_sel:DWORD
	s_and_b64 s[4:5], vcc, s[4:5]
	v_mad_u32_u24 v40, v0, 15, 10
	v_cndmask_b32_e64 v78, 0, 1, s[4:5]
	v_cmp_gt_u64_e32 vcc, s[6:7], v[40:41]
	v_cmp_neq_f16_sdwa s[4:5], v22, v22 src0_sel:DWORD src1_sel:WORD_1
	s_and_b64 s[4:5], vcc, s[4:5]
	v_mad_u32_u24 v40, v0, 15, 9
	;; [unrolled: 10-line block ×6, first 2 shown]
	v_cndmask_b32_e64 v87, 0, 1, s[4:5]
	v_cmp_gt_u64_e32 vcc, s[6:7], v[40:41]
	v_cmp_neq_f16_e64 s[4:5], v1, v2
	s_and_b64 s[4:5], vcc, s[4:5]
	s_mov_b32 s14, 1
	v_cndmask_b32_e64 v88, 0, 1, s[4:5]
	s_waitcnt lgkmcnt(0)
	s_barrier
	s_waitcnt lgkmcnt(0)
                                        ; implicit-def: $sgpr4_sgpr5
	s_and_saveexec_b64 s[10:11], s[2:3]
	s_cbranch_execz .LBB2211_210
; %bb.56:
	v_add_u32_e32 v40, -2, v42
	ds_read_u16 v42, v40
	v_mul_u32_u24_e32 v40, 15, v0
	v_cmp_gt_u64_e32 vcc, s[6:7], v[40:41]
	s_or_b64 s[8:9], s[8:9], exec
	s_waitcnt lgkmcnt(0)
	v_cmp_neq_f16_e64 s[2:3], v42, v1
	s_and_b64 s[2:3], vcc, s[2:3]
	s_and_b64 s[4:5], s[2:3], exec
	s_or_b64 exec, exec, s[10:11]
.LBB2211_57:
	v_mov_b32_e32 v89, s14
	s_and_saveexec_b64 s[2:3], s[8:9]
.LBB2211_58:
	v_cndmask_b32_e64 v89, 0, 1, s[4:5]
.LBB2211_59:
	s_or_b64 exec, exec, s[2:3]
	s_cmp_eq_u64 s[42:43], 0
	v_add3_u32 v40, v88, v89, v87
	s_cselect_b64 s[34:35], -1, 0
	s_cmp_lg_u32 s62, 0
	v_cmp_eq_u32_e64 s[26:27], 0, v88
	v_cmp_eq_u32_e64 s[24:25], 0, v87
	;; [unrolled: 1-line block ×3, first 2 shown]
	v_add3_u32 v92, v40, v86, v85
	v_cmp_eq_u32_e64 s[20:21], 0, v85
	v_cmp_eq_u32_e64 s[18:19], 0, v84
	;; [unrolled: 1-line block ×10, first 2 shown]
	v_cmp_eq_u32_e32 vcc, 0, v25
	v_mbcnt_lo_u32_b32 v91, -1, 0
	s_cbranch_scc0 .LBB2211_130
; %bb.60:
	v_cndmask_b32_e64 v41, 0, v18, s[26:27]
	v_cndmask_b32_e64 v40, 0, v19, s[26:27]
	v_add_co_u32_e64 v41, s[28:29], v41, v38
	v_addc_co_u32_e64 v40, s[28:29], v40, v39, s[28:29]
	v_cndmask_b32_e64 v41, 0, v41, s[24:25]
	v_cndmask_b32_e64 v40, 0, v40, s[24:25]
	v_add_co_u32_e64 v41, s[28:29], v41, v20
	v_addc_co_u32_e64 v40, s[28:29], v40, v21, s[28:29]
	;; [unrolled: 4-line block ×11, first 2 shown]
	v_cndmask_b32_e64 v41, 0, v41, s[4:5]
	v_add3_u32 v42, v92, v84, v83
	v_cndmask_b32_e64 v40, 0, v40, s[4:5]
	v_add_co_u32_e64 v41, s[28:29], v41, v6
	v_add3_u32 v42, v42, v82, v81
	v_addc_co_u32_e64 v40, s[28:29], v40, v7, s[28:29]
	v_cndmask_b32_e64 v41, 0, v41, s[2:3]
	v_add3_u32 v42, v42, v80, v79
	v_cndmask_b32_e64 v40, 0, v40, s[2:3]
	v_add_co_u32_e64 v41, s[28:29], v41, v26
	v_add3_u32 v42, v42, v78, v77
	v_addc_co_u32_e64 v40, s[28:29], v40, v27, s[28:29]
	v_cndmask_b32_e32 v41, 0, v41, vcc
	v_add3_u32 v44, v42, v76, v25
	v_cndmask_b32_e32 v40, 0, v40, vcc
	v_add_co_u32_e32 v42, vcc, v41, v8
	v_mbcnt_hi_u32_b32 v45, -1, v91
	v_addc_co_u32_e32 v43, vcc, v40, v9, vcc
	v_and_b32_e32 v40, 15, v45
	v_mov_b32_dpp v46, v44 row_shr:1 row_mask:0xf bank_mask:0xf
	v_mov_b32_dpp v41, v42 row_shr:1 row_mask:0xf bank_mask:0xf
	;; [unrolled: 1-line block ×3, first 2 shown]
	v_cmp_ne_u32_e32 vcc, 0, v40
	s_and_saveexec_b64 s[28:29], vcc
; %bb.61:
	v_cmp_eq_u32_e32 vcc, 0, v44
	v_cndmask_b32_e32 v41, 0, v41, vcc
	v_add_u32_e32 v46, v46, v44
	v_cndmask_b32_e32 v44, 0, v47, vcc
	v_add_co_u32_e32 v42, vcc, v41, v42
	v_addc_co_u32_e32 v43, vcc, v44, v43, vcc
	v_mov_b32_e32 v44, v46
; %bb.62:
	s_or_b64 exec, exec, s[28:29]
	s_nop 0
	v_mov_b32_dpp v46, v44 row_shr:2 row_mask:0xf bank_mask:0xf
	v_mov_b32_dpp v41, v42 row_shr:2 row_mask:0xf bank_mask:0xf
	v_mov_b32_dpp v47, v43 row_shr:2 row_mask:0xf bank_mask:0xf
	v_cmp_lt_u32_e32 vcc, 1, v40
	s_and_saveexec_b64 s[28:29], vcc
; %bb.63:
	v_cmp_eq_u32_e32 vcc, 0, v44
	v_cndmask_b32_e32 v41, 0, v41, vcc
	v_add_u32_e32 v46, v46, v44
	v_cndmask_b32_e32 v44, 0, v47, vcc
	v_add_co_u32_e32 v42, vcc, v41, v42
	v_addc_co_u32_e32 v43, vcc, v44, v43, vcc
	v_mov_b32_e32 v44, v46
; %bb.64:
	s_or_b64 exec, exec, s[28:29]
	s_nop 0
	v_mov_b32_dpp v46, v44 row_shr:4 row_mask:0xf bank_mask:0xf
	v_mov_b32_dpp v41, v42 row_shr:4 row_mask:0xf bank_mask:0xf
	v_mov_b32_dpp v47, v43 row_shr:4 row_mask:0xf bank_mask:0xf
	v_cmp_lt_u32_e32 vcc, 3, v40
	;; [unrolled: 16-line block ×3, first 2 shown]
	s_and_saveexec_b64 s[28:29], vcc
; %bb.67:
	v_cmp_eq_u32_e32 vcc, 0, v44
	v_cndmask_b32_e32 v41, 0, v41, vcc
	v_add_u32_e32 v40, v46, v44
	v_cndmask_b32_e32 v44, 0, v47, vcc
	v_add_co_u32_e32 v42, vcc, v41, v42
	v_addc_co_u32_e32 v43, vcc, v44, v43, vcc
	v_mov_b32_e32 v44, v40
; %bb.68:
	s_or_b64 exec, exec, s[28:29]
	v_and_b32_e32 v47, 16, v45
	v_mov_b32_dpp v41, v44 row_bcast:15 row_mask:0xf bank_mask:0xf
	v_mov_b32_dpp v40, v42 row_bcast:15 row_mask:0xf bank_mask:0xf
	;; [unrolled: 1-line block ×3, first 2 shown]
	v_cmp_ne_u32_e32 vcc, 0, v47
	s_and_saveexec_b64 s[28:29], vcc
; %bb.69:
	v_cmp_eq_u32_e32 vcc, 0, v44
	v_cndmask_b32_e32 v40, 0, v40, vcc
	v_add_u32_e32 v41, v41, v44
	v_cndmask_b32_e32 v44, 0, v46, vcc
	v_add_co_u32_e32 v42, vcc, v40, v42
	v_addc_co_u32_e32 v43, vcc, v44, v43, vcc
	v_mov_b32_e32 v44, v41
; %bb.70:
	s_or_b64 exec, exec, s[28:29]
	s_nop 0
	v_mov_b32_dpp v41, v44 row_bcast:31 row_mask:0xf bank_mask:0xf
	v_mov_b32_dpp v40, v42 row_bcast:31 row_mask:0xf bank_mask:0xf
	;; [unrolled: 1-line block ×3, first 2 shown]
	v_cmp_lt_u32_e32 vcc, 31, v45
	s_and_saveexec_b64 s[28:29], vcc
; %bb.71:
	v_cmp_eq_u32_e32 vcc, 0, v44
	v_cndmask_b32_e32 v40, 0, v40, vcc
	v_add_u32_e32 v41, v41, v44
	v_cndmask_b32_e32 v44, 0, v46, vcc
	v_add_co_u32_e32 v42, vcc, v40, v42
	v_addc_co_u32_e32 v43, vcc, v44, v43, vcc
	v_mov_b32_e32 v44, v41
; %bb.72:
	s_or_b64 exec, exec, s[28:29]
	v_lshrrev_b32_e32 v40, 6, v0
	v_or_b32_e32 v41, 63, v0
	v_cmp_eq_u32_e32 vcc, v41, v0
	v_lshlrev_b32_e32 v46, 4, v40
	s_and_saveexec_b64 s[28:29], vcc
	s_cbranch_execz .LBB2211_74
; %bb.73:
	ds_write_b32 v46, v44 offset:1056
	ds_write_b64 v46, v[42:43] offset:1064
.LBB2211_74:
	s_or_b64 exec, exec, s[28:29]
	v_cmp_gt_u32_e32 vcc, 4, v0
	s_waitcnt lgkmcnt(0)
	s_barrier
	s_and_saveexec_b64 s[28:29], vcc
	s_cbranch_execz .LBB2211_80
; %bb.75:
	v_lshlrev_b32_e32 v47, 4, v0
	ds_read_b32 v48, v47 offset:1056
	ds_read_b64 v[40:41], v47 offset:1064
	v_and_b32_e32 v49, 3, v45
	v_cmp_ne_u32_e32 vcc, 0, v49
	s_waitcnt lgkmcnt(1)
	v_mov_b32_dpp v51, v48 row_shr:1 row_mask:0xf bank_mask:0xf
	s_waitcnt lgkmcnt(0)
	v_mov_b32_dpp v50, v40 row_shr:1 row_mask:0xf bank_mask:0xf
	v_mov_b32_dpp v52, v41 row_shr:1 row_mask:0xf bank_mask:0xf
	s_and_saveexec_b64 s[42:43], vcc
; %bb.76:
	v_cmp_eq_u32_e32 vcc, 0, v48
	v_cndmask_b32_e32 v50, 0, v50, vcc
	v_add_u32_e32 v51, v51, v48
	v_cndmask_b32_e32 v48, 0, v52, vcc
	v_add_co_u32_e32 v40, vcc, v50, v40
	v_addc_co_u32_e32 v41, vcc, v48, v41, vcc
	v_mov_b32_e32 v48, v51
; %bb.77:
	s_or_b64 exec, exec, s[42:43]
	s_nop 0
	v_mov_b32_dpp v51, v48 row_shr:2 row_mask:0xf bank_mask:0xf
	v_mov_b32_dpp v50, v40 row_shr:2 row_mask:0xf bank_mask:0xf
	;; [unrolled: 1-line block ×3, first 2 shown]
	v_cmp_lt_u32_e32 vcc, 1, v49
	s_and_saveexec_b64 s[42:43], vcc
; %bb.78:
	v_cmp_eq_u32_e32 vcc, 0, v48
	v_cndmask_b32_e32 v50, 0, v50, vcc
	v_add_u32_e32 v49, v51, v48
	v_cndmask_b32_e32 v48, 0, v52, vcc
	v_add_co_u32_e32 v40, vcc, v50, v40
	v_addc_co_u32_e32 v41, vcc, v48, v41, vcc
	v_mov_b32_e32 v48, v49
; %bb.79:
	s_or_b64 exec, exec, s[42:43]
	ds_write_b32 v47, v48 offset:1056
	ds_write_b64 v47, v[40:41] offset:1064
.LBB2211_80:
	s_or_b64 exec, exec, s[28:29]
	v_cmp_gt_u32_e32 vcc, 64, v0
	v_cmp_lt_u32_e64 s[28:29], 63, v0
	v_pk_mov_b32 v[40:41], 0, 0
	v_mov_b32_e32 v52, 0
	s_waitcnt lgkmcnt(0)
	s_barrier
	s_and_saveexec_b64 s[42:43], s[28:29]
	s_cbranch_execz .LBB2211_82
; %bb.81:
	ds_read_b32 v52, v46 offset:1040
	ds_read_b64 v[40:41], v46 offset:1048
	v_cmp_eq_u32_e64 s[28:29], 0, v44
	s_waitcnt lgkmcnt(1)
	v_add_u32_e32 v46, v52, v44
	s_waitcnt lgkmcnt(0)
	v_cndmask_b32_e64 v47, 0, v40, s[28:29]
	v_cndmask_b32_e64 v44, 0, v41, s[28:29]
	v_add_co_u32_e64 v42, s[28:29], v47, v42
	v_addc_co_u32_e64 v43, s[28:29], v44, v43, s[28:29]
	v_mov_b32_e32 v44, v46
.LBB2211_82:
	s_or_b64 exec, exec, s[42:43]
	v_add_u32_e32 v46, -1, v45
	v_and_b32_e32 v47, 64, v45
	v_cmp_lt_i32_e64 s[28:29], v46, v47
	v_cndmask_b32_e64 v46, v46, v45, s[28:29]
	v_lshlrev_b32_e32 v46, 2, v46
	ds_bpermute_b32 v53, v46, v44
	ds_bpermute_b32 v54, v46, v42
	ds_bpermute_b32 v55, v46, v43
	v_cmp_eq_u32_e64 s[28:29], 0, v45
	s_and_saveexec_b64 s[42:43], vcc
	s_cbranch_execz .LBB2211_129
; %bb.83:
	v_mov_b32_e32 v47, 0
	ds_read_b32 v56, v47 offset:1104
	ds_read_b64 v[42:43], v47 offset:1112
	s_and_saveexec_b64 s[48:49], s[28:29]
	s_cbranch_execz .LBB2211_85
; %bb.84:
	s_add_i32 s58, s62, 64
	s_mov_b32 s59, 0
	s_lshl_b64 s[60:61], s[58:59], 4
	s_add_u32 s60, s36, s60
	s_addc_u32 s61, s37, s61
	v_mov_b32_e32 v44, s58
	v_mov_b32_e32 v46, 1
	s_waitcnt lgkmcnt(1)
	global_store_dword v47, v56, s[60:61]
	s_waitcnt lgkmcnt(0)
	global_store_dwordx2 v47, v[42:43], s[60:61] offset:8
	s_waitcnt vmcnt(0)
	buffer_wbinvl1_vol
	global_store_byte v44, v46, s[40:41]
.LBB2211_85:
	s_or_b64 exec, exec, s[48:49]
	v_xad_u32 v44, v45, -1, s62
	v_add_u32_e32 v46, 64, v44
	global_load_ubyte v57, v46, s[40:41] glc
	s_waitcnt vmcnt(0)
	v_cmp_eq_u16_e32 vcc, 0, v57
	s_and_saveexec_b64 s[48:49], vcc
	s_cbranch_execz .LBB2211_91
; %bb.86:
	v_mov_b32_e32 v49, s41
	v_add_co_u32_e32 v48, vcc, s40, v46
	v_addc_co_u32_e32 v49, vcc, 0, v49, vcc
	s_mov_b32 s60, 1
	s_mov_b64 s[58:59], 0
.LBB2211_87:                            ; =>This Loop Header: Depth=1
                                        ;     Child Loop BB2211_88 Depth 2
	s_max_u32 s61, s60, 1
.LBB2211_88:                            ;   Parent Loop BB2211_87 Depth=1
                                        ; =>  This Inner Loop Header: Depth=2
	s_add_i32 s61, s61, -1
	s_cmp_eq_u32 s61, 0
	s_sleep 1
	s_cbranch_scc0 .LBB2211_88
; %bb.89:                               ;   in Loop: Header=BB2211_87 Depth=1
	global_load_ubyte v57, v[48:49], off glc
	s_cmp_lt_u32 s60, 32
	s_cselect_b64 s[64:65], -1, 0
	s_cmp_lg_u64 s[64:65], 0
	s_addc_u32 s60, s60, 0
	s_waitcnt vmcnt(0)
	v_cmp_ne_u16_e32 vcc, 0, v57
	s_or_b64 s[58:59], vcc, s[58:59]
	s_andn2_b64 exec, exec, s[58:59]
	s_cbranch_execnz .LBB2211_87
; %bb.90:
	s_or_b64 exec, exec, s[58:59]
.LBB2211_91:
	s_or_b64 exec, exec, s[48:49]
	v_mov_b32_e32 v48, s39
	v_mov_b32_e32 v49, s37
	v_cmp_eq_u16_e32 vcc, 1, v57
	v_cndmask_b32_e32 v48, v48, v49, vcc
	v_mov_b32_e32 v49, s38
	v_mov_b32_e32 v50, s36
	v_cndmask_b32_e32 v49, v49, v50, vcc
	v_lshlrev_b64 v[46:47], 4, v[46:47]
	v_add_co_u32_e32 v46, vcc, v49, v46
	v_addc_co_u32_e32 v47, vcc, v48, v47, vcc
	s_waitcnt lgkmcnt(0)
	buffer_wbinvl1_vol
	global_load_dword v72, v[46:47], off
	global_load_dwordx2 v[50:51], v[46:47], off offset:8
	v_cmp_eq_u16_e32 vcc, 2, v57
	v_lshlrev_b64 v[46:47], v45, -1
	v_and_b32_e32 v58, 63, v45
	v_and_b32_e32 v48, vcc_hi, v47
	v_and_b32_e32 v62, vcc_lo, v46
	v_cmp_ne_u32_e32 vcc, 63, v58
	v_addc_co_u32_e32 v49, vcc, 0, v45, vcc
	v_lshlrev_b32_e32 v59, 2, v49
	v_or_b32_e32 v48, 0x80000000, v48
	v_ffbl_b32_e32 v48, v48
	v_add_u32_e32 v48, 32, v48
	v_ffbl_b32_e32 v62, v62
	v_min_u32_e32 v48, v62, v48
	v_cmp_lt_u32_e32 vcc, v58, v48
	s_waitcnt vmcnt(1)
	ds_bpermute_b32 v60, v59, v72
	s_waitcnt vmcnt(0)
	ds_bpermute_b32 v49, v59, v50
	ds_bpermute_b32 v61, v59, v51
	s_and_saveexec_b64 s[48:49], vcc
	s_cbranch_execz .LBB2211_93
; %bb.92:
	v_cmp_eq_u32_e32 vcc, 0, v72
	s_waitcnt lgkmcnt(1)
	v_cndmask_b32_e32 v49, 0, v49, vcc
	v_add_u32_e32 v60, v60, v72
	s_waitcnt lgkmcnt(0)
	v_cndmask_b32_e32 v61, 0, v61, vcc
	v_add_co_u32_e32 v50, vcc, v49, v50
	v_addc_co_u32_e32 v51, vcc, v61, v51, vcc
	v_mov_b32_e32 v72, v60
.LBB2211_93:
	s_or_b64 exec, exec, s[48:49]
	v_cmp_gt_u32_e32 vcc, 62, v58
	s_waitcnt lgkmcnt(1)
	v_cndmask_b32_e64 v49, 0, 1, vcc
	v_lshlrev_b32_e32 v49, 1, v49
	v_add_lshl_u32 v60, v49, v45, 2
	ds_bpermute_b32 v62, v60, v72
	ds_bpermute_b32 v49, v60, v50
	ds_bpermute_b32 v63, v60, v51
	s_waitcnt lgkmcnt(3)
	v_add_u32_e32 v61, 2, v58
	v_cmp_le_u32_e32 vcc, v61, v48
	s_and_saveexec_b64 s[48:49], vcc
	s_cbranch_execz .LBB2211_95
; %bb.94:
	v_cmp_eq_u32_e32 vcc, 0, v72
	s_waitcnt lgkmcnt(1)
	v_cndmask_b32_e32 v49, 0, v49, vcc
	v_add_u32_e32 v62, v62, v72
	s_waitcnt lgkmcnt(0)
	v_cndmask_b32_e32 v63, 0, v63, vcc
	v_add_co_u32_e32 v50, vcc, v49, v50
	v_addc_co_u32_e32 v51, vcc, v63, v51, vcc
	v_mov_b32_e32 v72, v62
.LBB2211_95:
	s_or_b64 exec, exec, s[48:49]
	v_cmp_gt_u32_e32 vcc, 60, v58
	s_waitcnt lgkmcnt(1)
	v_cndmask_b32_e64 v49, 0, 1, vcc
	v_lshlrev_b32_e32 v49, 2, v49
	v_add_lshl_u32 v62, v49, v45, 2
	ds_bpermute_b32 v64, v62, v72
	ds_bpermute_b32 v49, v62, v50
	ds_bpermute_b32 v65, v62, v51
	s_waitcnt lgkmcnt(3)
	v_add_u32_e32 v63, 4, v58
	v_cmp_le_u32_e32 vcc, v63, v48
	;; [unrolled: 25-line block ×4, first 2 shown]
	s_and_saveexec_b64 s[48:49], vcc
	s_cbranch_execz .LBB2211_101
; %bb.100:
	v_cmp_eq_u32_e32 vcc, 0, v72
	s_waitcnt lgkmcnt(1)
	v_cndmask_b32_e32 v49, 0, v49, vcc
	v_add_u32_e32 v68, v68, v72
	s_waitcnt lgkmcnt(0)
	v_cndmask_b32_e32 v69, 0, v69, vcc
	v_add_co_u32_e32 v50, vcc, v49, v50
	v_addc_co_u32_e32 v51, vcc, v69, v51, vcc
	v_mov_b32_e32 v72, v68
.LBB2211_101:
	s_or_b64 exec, exec, s[48:49]
	v_cmp_gt_u32_e32 vcc, 32, v58
	s_waitcnt lgkmcnt(1)
	v_cndmask_b32_e64 v49, 0, 1, vcc
	v_lshlrev_b32_e32 v49, 5, v49
	v_add_lshl_u32 v68, v49, v45, 2
	ds_bpermute_b32 v49, v68, v72
	ds_bpermute_b32 v45, v68, v50
	s_waitcnt lgkmcnt(2)
	ds_bpermute_b32 v69, v68, v51
	v_add_u32_e32 v70, 32, v58
	v_cmp_le_u32_e32 vcc, v70, v48
	s_and_saveexec_b64 s[48:49], vcc
	s_cbranch_execz .LBB2211_103
; %bb.102:
	v_cmp_eq_u32_e32 vcc, 0, v72
	s_waitcnt lgkmcnt(1)
	v_cndmask_b32_e32 v45, 0, v45, vcc
	v_add_u32_e32 v48, v49, v72
	s_waitcnt lgkmcnt(0)
	v_cndmask_b32_e32 v49, 0, v69, vcc
	v_add_co_u32_e32 v50, vcc, v45, v50
	v_addc_co_u32_e32 v51, vcc, v49, v51, vcc
	v_mov_b32_e32 v72, v48
.LBB2211_103:
	s_or_b64 exec, exec, s[48:49]
	s_waitcnt lgkmcnt(1)
	v_mov_b32_e32 v45, 0
	v_mov_b32_e32 v71, 2
	s_branch .LBB2211_105
.LBB2211_104:                           ;   in Loop: Header=BB2211_105 Depth=1
	s_or_b64 exec, exec, s[48:49]
	v_cmp_eq_u32_e32 vcc, 0, v69
	v_cndmask_b32_e32 v50, 0, v50, vcc
	v_cndmask_b32_e32 v51, 0, v51, vcc
	v_add_co_u32_e32 v50, vcc, v50, v48
	v_subrev_u32_e32 v44, 64, v44
	v_add_u32_e32 v72, v73, v69
	v_addc_co_u32_e32 v51, vcc, v51, v49, vcc
.LBB2211_105:                           ; =>This Loop Header: Depth=1
                                        ;     Child Loop BB2211_108 Depth 2
                                        ;       Child Loop BB2211_109 Depth 3
	v_cmp_ne_u16_sdwa s[48:49], v57, v71 src0_sel:BYTE_0 src1_sel:DWORD
	v_pk_mov_b32 v[48:49], v[50:51], v[50:51] op_sel:[0,1]
	v_cndmask_b32_e64 v50, 0, 1, s[48:49]
	;;#ASMSTART
	;;#ASMEND
	v_cmp_ne_u32_e32 vcc, 0, v50
	s_cmp_lg_u64 vcc, exec
	s_waitcnt lgkmcnt(0)
	v_mov_b32_e32 v69, v72
	s_cbranch_scc1 .LBB2211_124
; %bb.106:                              ;   in Loop: Header=BB2211_105 Depth=1
	global_load_ubyte v57, v44, s[40:41] glc
	s_waitcnt vmcnt(0)
	v_cmp_eq_u16_e32 vcc, 0, v57
	s_and_saveexec_b64 s[48:49], vcc
	s_cbranch_execz .LBB2211_112
; %bb.107:                              ;   in Loop: Header=BB2211_105 Depth=1
	v_mov_b32_e32 v51, s41
	v_add_co_u32_e32 v50, vcc, s40, v44
	v_addc_co_u32_e32 v51, vcc, 0, v51, vcc
	s_mov_b32 s60, 1
	s_mov_b64 s[58:59], 0
.LBB2211_108:                           ;   Parent Loop BB2211_105 Depth=1
                                        ; =>  This Loop Header: Depth=2
                                        ;       Child Loop BB2211_109 Depth 3
	s_max_u32 s61, s60, 1
.LBB2211_109:                           ;   Parent Loop BB2211_105 Depth=1
                                        ;     Parent Loop BB2211_108 Depth=2
                                        ; =>    This Inner Loop Header: Depth=3
	s_add_i32 s61, s61, -1
	s_cmp_eq_u32 s61, 0
	s_sleep 1
	s_cbranch_scc0 .LBB2211_109
; %bb.110:                              ;   in Loop: Header=BB2211_108 Depth=2
	global_load_ubyte v57, v[50:51], off glc
	s_cmp_lt_u32 s60, 32
	s_cselect_b64 s[64:65], -1, 0
	s_cmp_lg_u64 s[64:65], 0
	s_addc_u32 s60, s60, 0
	s_waitcnt vmcnt(0)
	v_cmp_ne_u16_e32 vcc, 0, v57
	s_or_b64 s[58:59], vcc, s[58:59]
	s_andn2_b64 exec, exec, s[58:59]
	s_cbranch_execnz .LBB2211_108
; %bb.111:                              ;   in Loop: Header=BB2211_105 Depth=1
	s_or_b64 exec, exec, s[58:59]
.LBB2211_112:                           ;   in Loop: Header=BB2211_105 Depth=1
	s_or_b64 exec, exec, s[48:49]
	v_mov_b32_e32 v50, s39
	v_mov_b32_e32 v51, s37
	v_cmp_eq_u16_e32 vcc, 1, v57
	v_cndmask_b32_e32 v72, v50, v51, vcc
	v_mov_b32_e32 v50, s38
	v_mov_b32_e32 v51, s36
	v_cndmask_b32_e32 v73, v50, v51, vcc
	v_lshlrev_b64 v[50:51], 4, v[44:45]
	v_add_co_u32_e32 v50, vcc, v73, v50
	v_addc_co_u32_e32 v51, vcc, v72, v51, vcc
	buffer_wbinvl1_vol
	global_load_dword v73, v[50:51], off
	s_nop 0
	global_load_dwordx2 v[50:51], v[50:51], off offset:8
	v_cmp_eq_u16_e32 vcc, 2, v57
	v_and_b32_e32 v72, vcc_hi, v47
	v_or_b32_e32 v72, 0x80000000, v72
	v_and_b32_e32 v93, vcc_lo, v46
	v_ffbl_b32_e32 v72, v72
	v_add_u32_e32 v72, 32, v72
	v_ffbl_b32_e32 v93, v93
	v_min_u32_e32 v72, v93, v72
	v_cmp_lt_u32_e32 vcc, v58, v72
	s_waitcnt vmcnt(1)
	ds_bpermute_b32 v75, v59, v73
	s_waitcnt vmcnt(0)
	ds_bpermute_b32 v74, v59, v50
	ds_bpermute_b32 v90, v59, v51
	s_and_saveexec_b64 s[48:49], vcc
	s_cbranch_execz .LBB2211_114
; %bb.113:                              ;   in Loop: Header=BB2211_105 Depth=1
	v_cmp_eq_u32_e32 vcc, 0, v73
	s_waitcnt lgkmcnt(1)
	v_cndmask_b32_e32 v74, 0, v74, vcc
	v_add_u32_e32 v75, v75, v73
	s_waitcnt lgkmcnt(0)
	v_cndmask_b32_e32 v73, 0, v90, vcc
	v_add_co_u32_e32 v50, vcc, v74, v50
	v_addc_co_u32_e32 v51, vcc, v73, v51, vcc
	v_mov_b32_e32 v73, v75
.LBB2211_114:                           ;   in Loop: Header=BB2211_105 Depth=1
	s_or_b64 exec, exec, s[48:49]
	s_waitcnt lgkmcnt(2)
	ds_bpermute_b32 v75, v60, v73
	s_waitcnt lgkmcnt(2)
	ds_bpermute_b32 v74, v60, v50
	s_waitcnt lgkmcnt(2)
	ds_bpermute_b32 v90, v60, v51
	v_cmp_le_u32_e32 vcc, v61, v72
	s_and_saveexec_b64 s[48:49], vcc
	s_cbranch_execz .LBB2211_116
; %bb.115:                              ;   in Loop: Header=BB2211_105 Depth=1
	v_cmp_eq_u32_e32 vcc, 0, v73
	s_waitcnt lgkmcnt(1)
	v_cndmask_b32_e32 v74, 0, v74, vcc
	v_add_u32_e32 v75, v75, v73
	s_waitcnt lgkmcnt(0)
	v_cndmask_b32_e32 v73, 0, v90, vcc
	v_add_co_u32_e32 v50, vcc, v74, v50
	v_addc_co_u32_e32 v51, vcc, v73, v51, vcc
	v_mov_b32_e32 v73, v75
.LBB2211_116:                           ;   in Loop: Header=BB2211_105 Depth=1
	s_or_b64 exec, exec, s[48:49]
	s_waitcnt lgkmcnt(2)
	ds_bpermute_b32 v75, v62, v73
	s_waitcnt lgkmcnt(2)
	ds_bpermute_b32 v74, v62, v50
	s_waitcnt lgkmcnt(2)
	ds_bpermute_b32 v90, v62, v51
	v_cmp_le_u32_e32 vcc, v63, v72
	;; [unrolled: 21-line block ×5, first 2 shown]
	s_and_saveexec_b64 s[48:49], vcc
	s_cbranch_execz .LBB2211_104
; %bb.123:                              ;   in Loop: Header=BB2211_105 Depth=1
	v_cmp_eq_u32_e32 vcc, 0, v73
	s_waitcnt lgkmcnt(1)
	v_cndmask_b32_e32 v74, 0, v74, vcc
	v_add_u32_e32 v72, v75, v73
	s_waitcnt lgkmcnt(0)
	v_cndmask_b32_e32 v73, 0, v90, vcc
	v_add_co_u32_e32 v50, vcc, v74, v50
	v_addc_co_u32_e32 v51, vcc, v73, v51, vcc
	v_mov_b32_e32 v73, v72
	s_branch .LBB2211_104
.LBB2211_124:                           ;   in Loop: Header=BB2211_105 Depth=1
                                        ; implicit-def: $vgpr50_vgpr51
                                        ; implicit-def: $vgpr72
                                        ; implicit-def: $vgpr57
	s_cbranch_execz .LBB2211_105
; %bb.125:
	s_and_saveexec_b64 s[36:37], s[28:29]
	s_cbranch_execz .LBB2211_127
; %bb.126:
	s_mov_b32 s49, 0
	v_cmp_eq_u32_e32 vcc, 0, v56
	s_add_i32 s48, s62, 64
	v_cndmask_b32_e32 v44, 0, v48, vcc
	s_lshl_b64 s[58:59], s[48:49], 4
	v_cndmask_b32_e32 v45, 0, v49, vcc
	v_add_co_u32_e32 v44, vcc, v44, v42
	s_add_u32 s58, s38, s58
	v_add_u32_e32 v46, v69, v56
	v_addc_co_u32_e32 v45, vcc, v45, v43, vcc
	s_addc_u32 s59, s39, s59
	v_mov_b32_e32 v47, 0
	global_store_dword v47, v46, s[58:59]
	global_store_dwordx2 v47, v[44:45], s[58:59] offset:8
	v_mov_b32_e32 v44, s48
	v_mov_b32_e32 v45, 2
	s_waitcnt vmcnt(0) lgkmcnt(0)
	buffer_wbinvl1_vol
	global_store_byte v44, v45, s[40:41]
	ds_write_b32 v47, v56 offset:1024
	ds_write_b64 v47, v[42:43] offset:1032
	ds_write_b32 v47, v69 offset:1040
	ds_write_b64 v47, v[48:49] offset:1048
.LBB2211_127:
	s_or_b64 exec, exec, s[36:37]
	s_and_b64 exec, exec, s[0:1]
	s_cbranch_execz .LBB2211_129
; %bb.128:
	v_mov_b32_e32 v42, 0
	ds_write_b32 v42, v69 offset:1104
	ds_write_b64 v42, v[48:49] offset:1112
.LBB2211_129:
	s_or_b64 exec, exec, s[42:43]
	v_mov_b32_e32 v45, 0
	s_waitcnt lgkmcnt(0)
	s_barrier
	ds_read_b32 v44, v45 offset:1104
	ds_read_b64 v[42:43], v45 offset:1112
	v_cndmask_b32_e64 v46, v53, v52, s[28:29]
	v_cmp_eq_u32_e32 vcc, 0, v46
	v_cndmask_b32_e64 v40, v54, v40, s[28:29]
	v_cndmask_b32_e64 v41, v55, v41, s[28:29]
	s_waitcnt lgkmcnt(0)
	v_cndmask_b32_e32 v48, 0, v42, vcc
	v_cndmask_b32_e32 v47, 0, v43, vcc
	v_add_co_u32_e32 v40, vcc, v48, v40
	v_addc_co_u32_e32 v41, vcc, v47, v41, vcc
	v_cndmask_b32_e64 v70, v40, v42, s[0:1]
	v_cmp_eq_u32_e32 vcc, 0, v89
	v_cndmask_b32_e64 v46, v46, 0, s[0:1]
	v_cndmask_b32_e64 v71, v41, v43, s[0:1]
	v_cndmask_b32_e32 v41, 0, v70, vcc
	v_add_u32_e32 v90, v44, v46
	v_cndmask_b32_e32 v40, 0, v71, vcc
	v_add_co_u32_e32 v46, vcc, v41, v18
	v_addc_co_u32_e32 v47, vcc, v40, v19, vcc
	v_cndmask_b32_e64 v41, 0, v46, s[26:27]
	v_cndmask_b32_e64 v40, 0, v47, s[26:27]
	v_add_co_u32_e32 v48, vcc, v41, v38
	v_addc_co_u32_e32 v49, vcc, v40, v39, vcc
	v_cndmask_b32_e64 v41, 0, v48, s[24:25]
	v_cndmask_b32_e64 v40, 0, v49, s[24:25]
	;; [unrolled: 4-line block ×11, first 2 shown]
	v_add_co_u32_e32 v68, vcc, v41, v28
	v_addc_co_u32_e32 v69, vcc, v40, v29, vcc
	s_barrier
	ds_read_b32 v40, v45 offset:1024
	ds_read_b64 v[42:43], v45 offset:1032
	ds_read_b32 v44, v45 offset:1040
	ds_read_b64 v[94:95], v45 offset:1048
	v_cndmask_b32_e64 v72, 0, v68, s[4:5]
	v_cndmask_b32_e64 v41, 0, v69, s[4:5]
	v_add_co_u32_e32 v72, vcc, v72, v6
	v_addc_co_u32_e32 v73, vcc, v41, v7, vcc
	s_waitcnt lgkmcnt(3)
	v_cmp_eq_u32_e32 vcc, 0, v40
	s_waitcnt lgkmcnt(0)
	v_cndmask_b32_e32 v45, 0, v94, vcc
	v_cndmask_b32_e32 v41, 0, v95, vcc
	v_add_co_u32_e32 v42, vcc, v45, v42
	v_cndmask_b32_e64 v75, 0, v73, s[2:3]
	v_cndmask_b32_e64 v74, 0, v72, s[2:3]
	v_addc_co_u32_e32 v43, vcc, v41, v43, vcc
	s_branch .LBB2211_158
.LBB2211_130:
                                        ; implicit-def: $vgpr40
                                        ; implicit-def: $vgpr42_vgpr43
                                        ; implicit-def: $vgpr44
                                        ; implicit-def: $vgpr70_vgpr71
                                        ; implicit-def: $vgpr46_vgpr47
                                        ; implicit-def: $vgpr48_vgpr49
                                        ; implicit-def: $vgpr50_vgpr51
                                        ; implicit-def: $vgpr52_vgpr53
                                        ; implicit-def: $vgpr54_vgpr55
                                        ; implicit-def: $vgpr56_vgpr57
                                        ; implicit-def: $vgpr58_vgpr59
                                        ; implicit-def: $vgpr60_vgpr61
                                        ; implicit-def: $vgpr62_vgpr63
                                        ; implicit-def: $vgpr64_vgpr65
                                        ; implicit-def: $vgpr66_vgpr67
                                        ; implicit-def: $vgpr68_vgpr69
                                        ; implicit-def: $vgpr72_vgpr73
                                        ; implicit-def: $vgpr74_vgpr75
                                        ; implicit-def: $vgpr90
	s_cbranch_execz .LBB2211_158
; %bb.131:
	s_and_b64 s[2:3], s[34:35], exec
	s_cselect_b32 s3, 0, s31
	s_cselect_b32 s2, 0, s30
	s_cmp_eq_u64 s[2:3], 0
	v_pk_mov_b32 v[44:45], v[18:19], v[18:19] op_sel:[0,1]
	s_cbranch_scc1 .LBB2211_133
; %bb.132:
	v_mov_b32_e32 v40, 0
	global_load_dwordx2 v[44:45], v40, s[2:3]
.LBB2211_133:
	v_cmp_eq_u32_e64 s[24:25], 0, v88
	v_cndmask_b32_e64 v41, 0, v18, s[24:25]
	v_cndmask_b32_e64 v40, 0, v19, s[24:25]
	v_add_co_u32_e32 v41, vcc, v41, v38
	v_cmp_eq_u32_e64 s[22:23], 0, v87
	v_addc_co_u32_e32 v40, vcc, v40, v39, vcc
	v_cndmask_b32_e64 v41, 0, v41, s[22:23]
	v_cndmask_b32_e64 v40, 0, v40, s[22:23]
	v_add_co_u32_e32 v41, vcc, v41, v20
	v_cmp_eq_u32_e64 s[20:21], 0, v86
	v_addc_co_u32_e32 v40, vcc, v40, v21, vcc
	;; [unrolled: 5-line block ×11, first 2 shown]
	v_cndmask_b32_e64 v41, 0, v41, s[4:5]
	v_cndmask_b32_e64 v40, 0, v40, s[4:5]
	v_add_co_u32_e32 v41, vcc, v41, v6
	v_addc_co_u32_e32 v40, vcc, v40, v7, vcc
	v_cmp_eq_u32_e32 vcc, 0, v76
	v_cndmask_b32_e32 v41, 0, v41, vcc
	v_add3_u32 v42, v92, v84, v83
	v_cndmask_b32_e32 v40, 0, v40, vcc
	v_add_co_u32_e64 v41, s[26:27], v41, v26
	v_add3_u32 v42, v42, v82, v81
	v_addc_co_u32_e64 v40, s[26:27], v40, v27, s[26:27]
	v_add3_u32 v42, v42, v80, v79
	v_cmp_eq_u32_e64 s[26:27], 0, v25
	v_add3_u32 v42, v42, v78, v77
	v_cndmask_b32_e64 v41, 0, v41, s[26:27]
	v_add3_u32 v43, v42, v76, v25
	v_cndmask_b32_e64 v40, 0, v40, s[26:27]
	v_add_co_u32_e64 v8, s[26:27], v41, v8
	v_mbcnt_hi_u32_b32 v42, -1, v91
	v_addc_co_u32_e64 v9, s[26:27], v40, v9, s[26:27]
	v_and_b32_e32 v40, 15, v42
	v_mov_b32_dpp v46, v43 row_shr:1 row_mask:0xf bank_mask:0xf
	v_mov_b32_dpp v41, v8 row_shr:1 row_mask:0xf bank_mask:0xf
	;; [unrolled: 1-line block ×3, first 2 shown]
	v_cmp_ne_u32_e64 s[26:27], 0, v40
	s_and_saveexec_b64 s[28:29], s[26:27]
; %bb.134:
	v_cmp_eq_u32_e64 s[26:27], 0, v43
	v_cndmask_b32_e64 v41, 0, v41, s[26:27]
	v_add_u32_e32 v46, v46, v43
	v_cndmask_b32_e64 v43, 0, v47, s[26:27]
	v_add_co_u32_e64 v8, s[26:27], v41, v8
	v_addc_co_u32_e64 v9, s[26:27], v43, v9, s[26:27]
	v_mov_b32_e32 v43, v46
; %bb.135:
	s_or_b64 exec, exec, s[28:29]
	s_nop 0
	v_mov_b32_dpp v46, v43 row_shr:2 row_mask:0xf bank_mask:0xf
	v_mov_b32_dpp v41, v8 row_shr:2 row_mask:0xf bank_mask:0xf
	v_mov_b32_dpp v47, v9 row_shr:2 row_mask:0xf bank_mask:0xf
	v_cmp_lt_u32_e64 s[26:27], 1, v40
	s_and_saveexec_b64 s[28:29], s[26:27]
; %bb.136:
	v_cmp_eq_u32_e64 s[26:27], 0, v43
	v_cndmask_b32_e64 v41, 0, v41, s[26:27]
	v_add_u32_e32 v46, v46, v43
	v_cndmask_b32_e64 v43, 0, v47, s[26:27]
	v_add_co_u32_e64 v8, s[26:27], v41, v8
	v_addc_co_u32_e64 v9, s[26:27], v43, v9, s[26:27]
	v_mov_b32_e32 v43, v46
; %bb.137:
	s_or_b64 exec, exec, s[28:29]
	s_nop 0
	v_mov_b32_dpp v46, v43 row_shr:4 row_mask:0xf bank_mask:0xf
	v_mov_b32_dpp v41, v8 row_shr:4 row_mask:0xf bank_mask:0xf
	v_mov_b32_dpp v47, v9 row_shr:4 row_mask:0xf bank_mask:0xf
	v_cmp_lt_u32_e64 s[26:27], 3, v40
	;; [unrolled: 16-line block ×3, first 2 shown]
	s_and_saveexec_b64 s[28:29], s[26:27]
; %bb.140:
	v_cmp_eq_u32_e64 s[26:27], 0, v43
	v_cndmask_b32_e64 v41, 0, v41, s[26:27]
	v_add_u32_e32 v40, v46, v43
	v_cndmask_b32_e64 v43, 0, v47, s[26:27]
	v_add_co_u32_e64 v8, s[26:27], v41, v8
	v_addc_co_u32_e64 v9, s[26:27], v43, v9, s[26:27]
	v_mov_b32_e32 v43, v40
; %bb.141:
	s_or_b64 exec, exec, s[28:29]
	v_and_b32_e32 v47, 16, v42
	v_mov_b32_dpp v41, v43 row_bcast:15 row_mask:0xf bank_mask:0xf
	v_mov_b32_dpp v40, v8 row_bcast:15 row_mask:0xf bank_mask:0xf
	;; [unrolled: 1-line block ×3, first 2 shown]
	v_cmp_ne_u32_e64 s[26:27], 0, v47
	s_and_saveexec_b64 s[28:29], s[26:27]
; %bb.142:
	v_cmp_eq_u32_e64 s[26:27], 0, v43
	v_cndmask_b32_e64 v40, 0, v40, s[26:27]
	v_add_u32_e32 v41, v41, v43
	v_cndmask_b32_e64 v43, 0, v46, s[26:27]
	v_add_co_u32_e64 v8, s[26:27], v40, v8
	v_addc_co_u32_e64 v9, s[26:27], v43, v9, s[26:27]
	v_mov_b32_e32 v43, v41
; %bb.143:
	s_or_b64 exec, exec, s[28:29]
	s_nop 0
	v_mov_b32_dpp v41, v43 row_bcast:31 row_mask:0xf bank_mask:0xf
	v_mov_b32_dpp v40, v8 row_bcast:31 row_mask:0xf bank_mask:0xf
	;; [unrolled: 1-line block ×3, first 2 shown]
	v_cmp_lt_u32_e64 s[26:27], 31, v42
	s_and_saveexec_b64 s[28:29], s[26:27]
; %bb.144:
	v_cmp_eq_u32_e64 s[26:27], 0, v43
	v_cndmask_b32_e64 v40, 0, v40, s[26:27]
	v_add_u32_e32 v41, v41, v43
	v_cndmask_b32_e64 v43, 0, v46, s[26:27]
	v_add_co_u32_e64 v8, s[26:27], v40, v8
	v_addc_co_u32_e64 v9, s[26:27], v43, v9, s[26:27]
	v_mov_b32_e32 v43, v41
; %bb.145:
	s_or_b64 exec, exec, s[28:29]
	v_or_b32_e32 v40, 63, v0
	v_lshrrev_b32_e32 v46, 6, v0
	v_cmp_eq_u32_e64 s[26:27], v40, v0
	s_and_saveexec_b64 s[28:29], s[26:27]
	s_cbranch_execz .LBB2211_147
; %bb.146:
	v_lshlrev_b32_e32 v40, 4, v46
	ds_write_b32 v40, v43 offset:1056
	ds_write_b64 v40, v[8:9] offset:1064
.LBB2211_147:
	s_or_b64 exec, exec, s[28:29]
	v_cmp_gt_u32_e64 s[26:27], 4, v0
	s_waitcnt lgkmcnt(0)
	s_barrier
	s_and_saveexec_b64 s[28:29], s[26:27]
	s_cbranch_execz .LBB2211_153
; %bb.148:
	v_lshlrev_b32_e32 v47, 4, v0
	ds_read_b32 v48, v47 offset:1056
	ds_read_b64 v[40:41], v47 offset:1064
	v_and_b32_e32 v49, 3, v42
	v_cmp_ne_u32_e64 s[26:27], 0, v49
	s_waitcnt lgkmcnt(1)
	v_mov_b32_dpp v51, v48 row_shr:1 row_mask:0xf bank_mask:0xf
	s_waitcnt lgkmcnt(0)
	v_mov_b32_dpp v50, v40 row_shr:1 row_mask:0xf bank_mask:0xf
	v_mov_b32_dpp v52, v41 row_shr:1 row_mask:0xf bank_mask:0xf
	s_and_saveexec_b64 s[30:31], s[26:27]
; %bb.149:
	v_cmp_eq_u32_e64 s[26:27], 0, v48
	v_cndmask_b32_e64 v50, 0, v50, s[26:27]
	v_add_u32_e32 v51, v51, v48
	v_cndmask_b32_e64 v48, 0, v52, s[26:27]
	v_add_co_u32_e64 v40, s[26:27], v50, v40
	v_addc_co_u32_e64 v41, s[26:27], v48, v41, s[26:27]
	v_mov_b32_e32 v48, v51
; %bb.150:
	s_or_b64 exec, exec, s[30:31]
	s_nop 0
	v_mov_b32_dpp v51, v48 row_shr:2 row_mask:0xf bank_mask:0xf
	v_mov_b32_dpp v50, v40 row_shr:2 row_mask:0xf bank_mask:0xf
	v_mov_b32_dpp v52, v41 row_shr:2 row_mask:0xf bank_mask:0xf
	v_cmp_lt_u32_e64 s[26:27], 1, v49
	s_and_saveexec_b64 s[30:31], s[26:27]
; %bb.151:
	v_cmp_eq_u32_e64 s[26:27], 0, v48
	v_cndmask_b32_e64 v50, 0, v50, s[26:27]
	v_add_u32_e32 v49, v51, v48
	v_cndmask_b32_e64 v48, 0, v52, s[26:27]
	v_add_co_u32_e64 v40, s[26:27], v50, v40
	v_addc_co_u32_e64 v41, s[26:27], v48, v41, s[26:27]
	v_mov_b32_e32 v48, v49
; %bb.152:
	s_or_b64 exec, exec, s[30:31]
	ds_write_b32 v47, v48 offset:1056
	ds_write_b64 v47, v[40:41] offset:1064
.LBB2211_153:
	s_or_b64 exec, exec, s[28:29]
	v_cmp_lt_u32_e64 s[26:27], 63, v0
	v_mov_b32_e32 v91, 0
	v_mov_b32_e32 v47, 0
	s_waitcnt vmcnt(0)
	v_pk_mov_b32 v[40:41], v[44:45], v[44:45] op_sel:[0,1]
	s_waitcnt lgkmcnt(0)
	s_barrier
	s_and_saveexec_b64 s[28:29], s[26:27]
	s_cbranch_execz .LBB2211_155
; %bb.154:
	v_lshlrev_b32_e32 v40, 4, v46
	ds_read_b32 v47, v40 offset:1040
	ds_read_b64 v[40:41], v40 offset:1048
	s_waitcnt lgkmcnt(1)
	v_cmp_eq_u32_e64 s[26:27], 0, v47
	v_cndmask_b32_e64 v48, 0, v44, s[26:27]
	v_cndmask_b32_e64 v46, 0, v45, s[26:27]
	s_waitcnt lgkmcnt(0)
	v_add_co_u32_e64 v40, s[26:27], v48, v40
	v_addc_co_u32_e64 v41, s[26:27], v46, v41, s[26:27]
.LBB2211_155:
	s_or_b64 exec, exec, s[28:29]
	v_cmp_eq_u32_e64 s[26:27], 0, v43
	v_cndmask_b32_e64 v48, 0, v40, s[26:27]
	v_add_u32_e32 v46, v47, v43
	v_cndmask_b32_e64 v43, 0, v41, s[26:27]
	v_add_co_u32_e64 v8, s[26:27], v48, v8
	v_addc_co_u32_e64 v9, s[26:27], v43, v9, s[26:27]
	v_add_u32_e32 v43, -1, v42
	v_and_b32_e32 v48, 64, v42
	v_cmp_lt_i32_e64 s[26:27], v43, v48
	v_cndmask_b32_e64 v43, v43, v42, s[26:27]
	v_lshlrev_b32_e32 v43, 2, v43
	ds_bpermute_b32 v8, v43, v8
	ds_bpermute_b32 v46, v43, v46
	;; [unrolled: 1-line block ×3, first 2 shown]
	v_cmp_eq_u32_e64 s[26:27], 0, v42
	s_waitcnt lgkmcnt(2)
	v_cndmask_b32_e64 v70, v8, v40, s[26:27]
	s_waitcnt lgkmcnt(1)
	v_cndmask_b32_e64 v90, v46, v47, s[26:27]
	;; [unrolled: 2-line block ×3, first 2 shown]
	v_cndmask_b32_e64 v8, v70, v44, s[0:1]
	v_cmp_eq_u32_e64 s[26:27], 0, v89
	v_cndmask_b32_e64 v9, v71, v45, s[0:1]
	v_cndmask_b32_e64 v8, 0, v8, s[26:27]
	;; [unrolled: 1-line block ×3, first 2 shown]
	v_add_co_u32_e64 v46, s[26:27], v8, v18
	v_addc_co_u32_e64 v47, s[26:27], v9, v19, s[26:27]
	v_cndmask_b32_e64 v9, 0, v46, s[24:25]
	v_cndmask_b32_e64 v8, 0, v47, s[24:25]
	v_add_co_u32_e64 v48, s[24:25], v9, v38
	v_addc_co_u32_e64 v49, s[24:25], v8, v39, s[24:25]
	v_cndmask_b32_e64 v9, 0, v48, s[22:23]
	v_cndmask_b32_e64 v8, 0, v49, s[22:23]
	;; [unrolled: 4-line block ×11, first 2 shown]
	v_add_co_u32_e64 v68, s[2:3], v9, v28
	v_addc_co_u32_e64 v69, s[2:3], v8, v29, s[2:3]
	v_cndmask_b32_e64 v9, 0, v68, s[4:5]
	ds_read_b32 v40, v91 offset:1104
	v_cndmask_b32_e64 v8, 0, v69, s[4:5]
	v_add_co_u32_e64 v72, s[2:3], v9, v6
	v_addc_co_u32_e64 v73, s[2:3], v8, v7, s[2:3]
	ds_read_b64 v[6:7], v91 offset:1112
	v_cndmask_b32_e32 v75, 0, v73, vcc
	v_cndmask_b32_e32 v74, 0, v72, vcc
	s_waitcnt lgkmcnt(1)
	v_cmp_eq_u32_e32 vcc, 0, v40
	v_cndmask_b32_e32 v9, 0, v44, vcc
	v_cndmask_b32_e32 v8, 0, v45, vcc
	s_waitcnt lgkmcnt(0)
	v_add_co_u32_e32 v42, vcc, v9, v6
	v_addc_co_u32_e32 v43, vcc, v8, v7, vcc
	s_and_saveexec_b64 s[2:3], s[0:1]
	s_cbranch_execz .LBB2211_157
; %bb.156:
	v_mov_b32_e32 v90, 0
	v_mov_b32_e32 v6, 2
	v_pk_mov_b32 v[70:71], v[44:45], v[44:45] op_sel:[0,1]
	global_store_dword v90, v40, s[38:39] offset:1024
	global_store_dwordx2 v90, v[42:43], s[38:39] offset:1032
	s_waitcnt vmcnt(0)
	buffer_wbinvl1_vol
	global_store_byte v90, v6, s[40:41] offset:64
.LBB2211_157:
	s_or_b64 exec, exec, s[2:3]
	v_mov_b32_e32 v44, 0
.LBB2211_158:
	s_and_b64 s[2:3], s[34:35], exec
	s_cselect_b32 s3, 0, s51
	s_cselect_b32 s2, 0, s50
	s_cmp_eq_u64 s[2:3], 0
	v_pk_mov_b32 v[8:9], 0, 0
	s_barrier
	s_cbranch_scc1 .LBB2211_160
; %bb.159:
	v_mov_b32_e32 v6, 0
	global_load_dwordx2 v[8:9], v6, s[2:3]
.LBB2211_160:
	s_waitcnt vmcnt(0)
	v_lshlrev_b64 v[6:7], 1, v[8:9]
	v_mov_b32_e32 v10, s53
	v_add_co_u32_e32 v11, vcc, s52, v6
	v_mov_b32_e32 v45, 0
	v_addc_co_u32_e32 v10, vcc, v10, v7, vcc
	v_lshlrev_b64 v[6:7], 1, v[44:45]
	v_add_co_u32_e32 v32, vcc, v11, v6
	v_addc_co_u32_e32 v33, vcc, v10, v7, vcc
	v_cmp_eq_u32_e32 vcc, 0, v89
	v_cndmask_b32_e64 v6, 1, 2, vcc
	v_cmp_eq_u32_e32 vcc, 0, v88
	v_cndmask_b32_e64 v7, 1, 2, vcc
	v_cmp_eq_u32_e32 vcc, 0, v87
	v_and_b32_e32 v6, v7, v6
	v_cndmask_b32_e64 v7, 1, 2, vcc
	v_cmp_eq_u32_e32 vcc, 0, v86
	v_add_u32_e32 v31, v90, v89
	v_and_b32_e32 v6, v6, v7
	v_cndmask_b32_e64 v7, 1, 2, vcc
	v_cmp_eq_u32_e32 vcc, 0, v85
	v_add_u32_e32 v30, v31, v88
	v_and_b32_e32 v6, v6, v7
	v_cndmask_b32_e64 v7, 1, 2, vcc
	v_cmp_eq_u32_e32 vcc, 0, v84
	v_add_u32_e32 v29, v30, v87
	v_and_b32_e32 v6, v6, v7
	v_cndmask_b32_e64 v7, 1, 2, vcc
	v_cmp_eq_u32_e32 vcc, 0, v83
	v_add_u32_e32 v28, v29, v86
	v_and_b32_e32 v6, v6, v7
	v_cndmask_b32_e64 v7, 1, 2, vcc
	v_cmp_eq_u32_e32 vcc, 0, v82
	v_add_u32_e32 v21, v28, v85
	v_and_b32_e32 v6, v6, v7
	v_cndmask_b32_e64 v7, 1, 2, vcc
	v_cmp_eq_u32_e32 vcc, 0, v81
	v_add_u32_e32 v20, v21, v84
	v_and_b32_e32 v6, v6, v7
	v_cndmask_b32_e64 v7, 1, 2, vcc
	v_cmp_eq_u32_e32 vcc, 0, v80
	v_add_u32_e32 v19, v20, v83
	v_and_b32_e32 v6, v6, v7
	v_cndmask_b32_e64 v7, 1, 2, vcc
	v_cmp_eq_u32_e32 vcc, 0, v79
	v_add_u32_e32 v18, v19, v82
	v_and_b32_e32 v6, v6, v7
	v_cndmask_b32_e64 v7, 1, 2, vcc
	v_cmp_eq_u32_e32 vcc, 0, v78
	v_add_u32_e32 v17, v18, v81
	v_and_b32_e32 v6, v6, v7
	v_cndmask_b32_e64 v7, 1, 2, vcc
	v_cmp_eq_u32_e32 vcc, 0, v77
	v_add_u32_e32 v16, v17, v80
	v_and_b32_e32 v6, v6, v7
	v_cndmask_b32_e64 v7, 1, 2, vcc
	v_cmp_eq_u32_e32 vcc, 0, v76
	v_add_u32_e32 v15, v16, v79
	v_and_b32_e32 v6, v6, v7
	v_cndmask_b32_e64 v7, 1, 2, vcc
	v_cmp_eq_u32_e32 vcc, 0, v25
	v_add_u32_e32 v14, v15, v78
	v_and_b32_e32 v6, v6, v7
	v_cndmask_b32_e64 v7, 1, 2, vcc
	s_movk_i32 s34, 0x100
	v_add_u32_e32 v13, v14, v77
	v_and_b32_e32 v6, v6, v7
	v_cmp_gt_u32_e32 vcc, s34, v40
	v_add_u32_e32 v12, v13, v76
	v_cmp_ne_u32_e64 s[30:31], 0, v89
	v_cmp_ne_u32_e64 s[28:29], 0, v88
	;; [unrolled: 1-line block ×15, first 2 shown]
	s_mov_b64 s[36:37], -1
	v_cmp_gt_i16_e64 s[34:35], 2, v6
	s_cbranch_vccz .LBB2211_167
; %bb.161:
	s_and_saveexec_b64 s[36:37], s[34:35]
	s_cbranch_execz .LBB2211_166
; %bb.162:
	v_cmp_ne_u16_e32 vcc, 1, v6
	s_mov_b64 s[38:39], 0
	s_and_saveexec_b64 s[34:35], vcc
	s_xor_b64 s[34:35], exec, s[34:35]
	s_cbranch_execnz .LBB2211_211
; %bb.163:
	s_andn2_saveexec_b64 s[34:35], s[34:35]
	s_cbranch_execnz .LBB2211_227
.LBB2211_164:
	s_or_b64 exec, exec, s[34:35]
	s_and_b64 exec, exec, s[38:39]
	s_cbranch_execz .LBB2211_166
.LBB2211_165:
	v_sub_u32_e32 v10, v12, v44
	v_mov_b32_e32 v11, 0
	v_lshlrev_b64 v[10:11], 1, v[10:11]
	v_add_co_u32_e32 v10, vcc, v32, v10
	v_addc_co_u32_e32 v11, vcc, v33, v11, vcc
	global_store_short_d16_hi v[10:11], v24, off
.LBB2211_166:
	s_or_b64 exec, exec, s[36:37]
	s_mov_b64 s[36:37], 0
.LBB2211_167:
	s_and_b64 vcc, exec, s[36:37]
	s_cbranch_vccz .LBB2211_189
; %bb.168:
	v_cmp_gt_i16_e32 vcc, 2, v6
	s_and_saveexec_b64 s[34:35], vcc
	s_cbranch_execz .LBB2211_173
; %bb.169:
	v_cmp_ne_u16_e32 vcc, 1, v6
	s_mov_b64 s[38:39], 0
	s_and_saveexec_b64 s[36:37], vcc
	s_xor_b64 s[36:37], exec, s[36:37]
	s_cbranch_execnz .LBB2211_228
; %bb.170:
	s_andn2_saveexec_b64 s[2:3], s[36:37]
	s_cbranch_execnz .LBB2211_244
.LBB2211_171:
	s_or_b64 exec, exec, s[2:3]
	s_and_b64 exec, exec, s[38:39]
	s_cbranch_execz .LBB2211_173
.LBB2211_172:
	v_sub_u32_e32 v1, v12, v44
	v_lshlrev_b32_e32 v1, 1, v1
	ds_write_b16_d16_hi v1, v24
.LBB2211_173:
	s_or_b64 exec, exec, s[34:35]
	v_cmp_lt_u32_e32 vcc, v0, v40
	s_waitcnt lgkmcnt(0)
	s_barrier
	s_and_saveexec_b64 s[4:5], vcc
	s_cbranch_execz .LBB2211_188
; %bb.174:
	v_xad_u32 v1, v0, -1, v40
	s_movk_i32 s2, 0x1700
	v_cmp_gt_u32_e64 s[6:7], s2, v1
	s_movk_i32 s2, 0x16ff
	v_cmp_lt_u32_e32 vcc, s2, v1
	v_mov_b32_e32 v2, v0
	s_and_saveexec_b64 s[8:9], vcc
	s_cbranch_execz .LBB2211_185
; %bb.175:
	v_sub_u32_e32 v2, v0, v40
	v_or_b32_e32 v2, 0xff, v2
	v_cmp_ge_u32_e32 vcc, v2, v0
	s_mov_b64 s[2:3], -1
	v_mov_b32_e32 v2, v0
	s_and_saveexec_b64 s[10:11], vcc
	s_cbranch_execz .LBB2211_184
; %bb.176:
	v_lshrrev_b32_e32 v22, 8, v1
	v_add_u32_e32 v4, -3, v22
	v_or_b32_e32 v3, 0x300, v0
	v_or_b32_e32 v2, 0x200, v0
	v_lshrrev_b32_e32 v5, 2, v4
	v_or_b32_e32 v1, 0x100, v0
	v_add_u32_e32 v24, 1, v5
	v_cmp_lt_u32_e32 vcc, 11, v4
	v_pk_mov_b32 v[6:7], v[2:3], v[2:3] op_sel:[0,1]
	v_mov_b32_e32 v36, 0
	v_lshlrev_b32_e32 v23, 1, v0
	v_pk_mov_b32 v[4:5], v[0:1], v[0:1] op_sel:[0,1]
	s_and_saveexec_b64 s[12:13], vcc
	s_cbranch_execz .LBB2211_180
; %bb.177:
	v_pk_mov_b32 v[6:7], v[2:3], v[2:3] op_sel:[0,1]
	v_and_b32_e32 v34, 0x7ffffffc, v24
	s_mov_b32 s16, 0
	s_mov_b64 s[14:15], 0
	v_mov_b32_e32 v11, 0
	v_mov_b32_e32 v35, v23
	v_pk_mov_b32 v[4:5], v[0:1], v[0:1] op_sel:[0,1]
.LBB2211_178:                           ; =>This Inner Loop Header: Depth=1
	v_mov_b32_e32 v10, v4
	v_lshlrev_b64 v[104:105], 1, v[10:11]
	v_add_u32_e32 v38, 0x400, v5
	v_mov_b32_e32 v39, v11
	v_add_co_u32_e64 v104, s[2:3], v32, v104
	v_lshlrev_b64 v[38:39], 1, v[38:39]
	v_addc_co_u32_e64 v105, s[2:3], v33, v105, s[2:3]
	v_add_u32_e32 v36, 0x400, v6
	v_mov_b32_e32 v37, v11
	v_add_co_u32_e64 v38, s[2:3], v32, v38
	v_lshlrev_b64 v[106:107], 1, v[36:37]
	v_addc_co_u32_e64 v39, s[2:3], v33, v39, s[2:3]
	v_add_u32_e32 v2, 0x400, v7
	v_mov_b32_e32 v3, v11
	v_add_co_u32_e64 v106, s[2:3], v32, v106
	v_add_u32_e32 v34, -4, v34
	v_mov_b32_e32 v10, v5
	v_lshlrev_b64 v[2:3], 1, v[2:3]
	v_addc_co_u32_e64 v107, s[2:3], v33, v107, s[2:3]
	v_add_u32_e32 v96, 0x800, v5
	v_mov_b32_e32 v97, v11
	s_add_i32 s16, s16, 16
	v_cmp_eq_u32_e32 vcc, 0, v34
	v_lshlrev_b64 v[108:109], 1, v[10:11]
	v_add_co_u32_e64 v2, s[2:3], v32, v2
	v_lshlrev_b64 v[96:97], 1, v[96:97]
	v_mov_b32_e32 v10, v6
	v_addc_co_u32_e64 v3, s[2:3], v33, v3, s[2:3]
	s_or_b64 s[14:15], vcc, s[14:15]
	v_add_co_u32_e32 v108, vcc, v32, v108
	v_add_u32_e32 v94, 0x800, v6
	v_mov_b32_e32 v95, v11
	v_add_co_u32_e64 v96, s[2:3], v32, v96
	v_addc_co_u32_e32 v109, vcc, v33, v109, vcc
	v_lshlrev_b64 v[110:111], 1, v[10:11]
	v_lshlrev_b64 v[94:95], 1, v[94:95]
	v_addc_co_u32_e64 v97, s[2:3], v33, v97, s[2:3]
	v_mov_b32_e32 v10, v7
	v_add_co_u32_e32 v110, vcc, v32, v110
	ds_read_u16 v1, v35
	ds_read_u16 v41, v35 offset:512
	ds_read_u16 v91, v35 offset:1024
	;; [unrolled: 1-line block ×7, first 2 shown]
	v_add_u32_e32 v92, 0x800, v7
	v_mov_b32_e32 v93, v11
	v_add_co_u32_e64 v94, s[2:3], v32, v94
	v_addc_co_u32_e32 v111, vcc, v33, v111, vcc
	v_lshlrev_b64 v[112:113], 1, v[10:11]
	v_lshlrev_b64 v[92:93], 1, v[92:93]
	v_addc_co_u32_e64 v95, s[2:3], v33, v95, s[2:3]
	v_add_u32_e32 v10, 0x400, v4
	v_add_co_u32_e32 v112, vcc, v32, v112
	v_add_u32_e32 v102, 0xc00, v5
	v_mov_b32_e32 v103, v11
	ds_read_u16 v119, v35 offset:4096
	ds_read_u16 v120, v35 offset:4608
	;; [unrolled: 1-line block ×8, first 2 shown]
	v_add_co_u32_e64 v92, s[2:3], v32, v92
	v_addc_co_u32_e32 v113, vcc, v33, v113, vcc
	s_waitcnt lgkmcnt(14)
	global_store_short v[104:105], v1, off
	global_store_short v[108:109], v41, off
	s_waitcnt lgkmcnt(13)
	global_store_short v[110:111], v91, off
	v_lshlrev_b64 v[104:105], 1, v[10:11]
	v_lshlrev_b64 v[102:103], 1, v[102:103]
	v_addc_co_u32_e64 v93, s[2:3], v33, v93, s[2:3]
	v_add_u32_e32 v10, 0x800, v4
	v_add_co_u32_e32 v104, vcc, v32, v104
	v_add_u32_e32 v100, 0xc00, v6
	v_mov_b32_e32 v101, v11
	v_add_co_u32_e64 v102, s[2:3], v32, v102
	v_addc_co_u32_e32 v105, vcc, v33, v105, vcc
	v_lshlrev_b64 v[108:109], 1, v[10:11]
	v_lshlrev_b64 v[100:101], 1, v[100:101]
	v_addc_co_u32_e64 v103, s[2:3], v33, v103, s[2:3]
	s_waitcnt lgkmcnt(12)
	global_store_short v[112:113], v114, off
	v_add_u32_e32 v10, 0xc00, v4
	s_waitcnt lgkmcnt(11)
	global_store_short v[104:105], v115, off
	s_waitcnt lgkmcnt(10)
	global_store_short v[38:39], v116, off
	;; [unrolled: 2-line block ×4, first 2 shown]
	v_add_co_u32_e32 v2, vcc, v32, v108
	v_add_u32_e32 v98, 0xc00, v7
	v_mov_b32_e32 v99, v11
	v_add_co_u32_e64 v100, s[2:3], v32, v100
	v_addc_co_u32_e32 v3, vcc, v33, v109, vcc
	v_lshlrev_b64 v[38:39], 1, v[10:11]
	v_lshlrev_b64 v[98:99], 1, v[98:99]
	v_addc_co_u32_e64 v101, s[2:3], v33, v101, s[2:3]
	s_waitcnt lgkmcnt(7)
	global_store_short v[2:3], v119, off
	s_waitcnt lgkmcnt(6)
	global_store_short v[96:97], v120, off
	;; [unrolled: 2-line block ×4, first 2 shown]
	v_add_co_u32_e32 v2, vcc, v32, v38
	v_add_u32_e32 v35, 0x2000, v35
	v_add_u32_e32 v5, 0x1000, v5
	v_mov_b32_e32 v36, s16
	v_add_co_u32_e64 v98, s[2:3], v32, v98
	v_add_u32_e32 v6, 0x1000, v6
	v_add_u32_e32 v7, 0x1000, v7
	;; [unrolled: 1-line block ×3, first 2 shown]
	v_addc_co_u32_e32 v3, vcc, v33, v39, vcc
	v_addc_co_u32_e64 v99, s[2:3], v33, v99, s[2:3]
	s_waitcnt lgkmcnt(3)
	global_store_short v[2:3], v123, off
	s_waitcnt lgkmcnt(2)
	global_store_short v[102:103], v124, off
	;; [unrolled: 2-line block ×4, first 2 shown]
	s_andn2_b64 exec, exec, s[14:15]
	s_cbranch_execnz .LBB2211_178
; %bb.179:
	s_or_b64 exec, exec, s[14:15]
.LBB2211_180:
	s_or_b64 exec, exec, s[12:13]
	v_and_b32_e32 v1, 3, v24
	v_cmp_ne_u32_e32 vcc, 0, v1
	s_and_saveexec_b64 s[12:13], vcc
	s_cbranch_execz .LBB2211_183
; %bb.181:
	v_lshl_or_b32 v10, v36, 9, v23
	s_mov_b64 s[14:15], 0
	v_mov_b32_e32 v3, 0
.LBB2211_182:                           ; =>This Inner Loop Header: Depth=1
	v_mov_b32_e32 v2, v4
	v_add_u32_e32 v1, -1, v1
	v_lshlrev_b64 v[34:35], 1, v[2:3]
	v_mov_b32_e32 v2, v5
	v_cmp_eq_u32_e32 vcc, 0, v1
	v_lshlrev_b64 v[36:37], 1, v[2:3]
	ds_read_u16 v11, v10
	ds_read_u16 v23, v10 offset:512
	ds_read_u16 v24, v10 offset:1024
	;; [unrolled: 1-line block ×3, first 2 shown]
	v_mov_b32_e32 v2, v6
	s_or_b64 s[14:15], vcc, s[14:15]
	v_add_co_u32_e32 v36, vcc, v32, v36
	v_addc_co_u32_e32 v37, vcc, v33, v37, vcc
	v_lshlrev_b64 v[38:39], 1, v[2:3]
	v_mov_b32_e32 v2, v7
	v_add_co_u32_e32 v38, vcc, v32, v38
	v_add_co_u32_e64 v34, s[2:3], v32, v34
	v_addc_co_u32_e32 v39, vcc, v33, v39, vcc
	v_lshlrev_b64 v[92:93], 1, v[2:3]
	v_add_u32_e32 v4, 0x400, v4
	v_add_u32_e32 v10, 0x800, v10
	;; [unrolled: 1-line block ×3, first 2 shown]
	v_addc_co_u32_e64 v35, s[2:3], v33, v35, s[2:3]
	v_add_u32_e32 v6, 0x400, v6
	v_add_u32_e32 v7, 0x400, v7
	v_add_co_u32_e32 v92, vcc, v32, v92
	v_addc_co_u32_e32 v93, vcc, v33, v93, vcc
	s_waitcnt lgkmcnt(3)
	global_store_short v[34:35], v11, off
	s_waitcnt lgkmcnt(2)
	global_store_short v[36:37], v23, off
	;; [unrolled: 2-line block ×4, first 2 shown]
	s_andn2_b64 exec, exec, s[14:15]
	s_cbranch_execnz .LBB2211_182
.LBB2211_183:
	s_or_b64 exec, exec, s[12:13]
	v_add_u32_e32 v1, 1, v22
	v_and_b32_e32 v3, 0x1fffffc, v1
	v_cmp_ne_u32_e32 vcc, v1, v3
	v_lshl_or_b32 v2, v3, 8, v0
	s_orn2_b64 s[2:3], vcc, exec
.LBB2211_184:
	s_or_b64 exec, exec, s[10:11]
	s_andn2_b64 s[6:7], s[6:7], exec
	s_and_b64 s[2:3], s[2:3], exec
	s_or_b64 s[6:7], s[6:7], s[2:3]
.LBB2211_185:
	s_or_b64 exec, exec, s[8:9]
	s_and_b64 exec, exec, s[6:7]
	s_cbranch_execz .LBB2211_188
; %bb.186:
	v_lshlrev_b32_e32 v1, 1, v2
	s_mov_b64 s[2:3], 0
	v_mov_b32_e32 v3, 0
.LBB2211_187:                           ; =>This Inner Loop Header: Depth=1
	v_lshlrev_b64 v[4:5], 1, v[2:3]
	ds_read_u16 v6, v1
	v_add_co_u32_e32 v4, vcc, v32, v4
	v_add_u32_e32 v2, 0x100, v2
	v_addc_co_u32_e32 v5, vcc, v33, v5, vcc
	v_cmp_ge_u32_e32 vcc, v2, v40
	v_add_u32_e32 v1, 0x200, v1
	s_or_b64 s[2:3], vcc, s[2:3]
	s_waitcnt lgkmcnt(0)
	global_store_short v[4:5], v6, off
	s_andn2_b64 exec, exec, s[2:3]
	s_cbranch_execnz .LBB2211_187
.LBB2211_188:
	s_or_b64 exec, exec, s[4:5]
.LBB2211_189:
	s_cmpk_lg_i32 s33, 0xf00
	s_cselect_b64 s[2:3], -1, 0
	v_cndmask_b32_e64 v10, 0, 1, s[46:47]
	s_and_b64 s[2:3], s[2:3], s[44:45]
	v_sub_u32_e32 v1, v40, v10
	v_cndmask_b32_e64 v4, 0, 1, s[2:3]
	s_and_b64 s[0:1], s[0:1], s[46:47]
	v_add_co_u32_e32 v2, vcc, v74, v26
	v_add_u32_e32 v1, v1, v4
	v_cndmask_b32_e64 v4, v89, 0, s[0:1]
	s_mul_hi_u32 s0, s33, 0x88888889
	v_addc_co_u32_e32 v3, vcc, v75, v27, vcc
	s_lshr_b32 s0, s0, 3
	v_mad_i32_i24 v5, v0, -15, s33
	v_cmp_eq_u32_e32 vcc, s0, v0
	v_cmp_ne_u32_e64 s[0:1], 0, v5
	v_cndmask_b32_e64 v6, 1, v4, s[0:1]
	v_cmp_ne_u32_e64 s[0:1], 1, v5
	v_cndmask_b32_e64 v7, 1, v88, s[0:1]
	;; [unrolled: 2-line block ×15, first 2 shown]
	s_and_b64 vcc, vcc, s[44:45]
	v_cndmask_b32_e32 v25, v25, v5, vcc
	v_cndmask_b32_e32 v39, v4, v6, vcc
	v_lshlrev_b64 v[4:5], 3, v[8:9]
	v_cndmask_b32_e32 v37, v76, v37, vcc
	v_cndmask_b32_e32 v36, v77, v36, vcc
	;; [unrolled: 1-line block ×13, first 2 shown]
	v_mov_b32_e32 v6, s55
	v_add_co_u32_e32 v7, vcc, s54, v4
	v_addc_co_u32_e32 v6, vcc, v6, v5, vcc
	v_lshlrev_b64 v[4:5], 3, v[44:45]
	v_add_co_u32_e32 v4, vcc, v7, v4
	v_addc_co_u32_e32 v5, vcc, v6, v5, vcc
	v_lshlrev_b32_e32 v6, 3, v10
	v_add_co_u32_e32 v6, vcc, v6, v4
	v_addc_co_u32_e32 v7, vcc, 0, v5, vcc
	v_add_co_u32_e32 v6, vcc, -8, v6
	v_addc_co_u32_e32 v7, vcc, -1, v7, vcc
	v_cmp_eq_u32_e32 vcc, 0, v39
	v_cmp_ne_u32_e64 s[28:29], 0, v39
	v_cndmask_b32_e64 v39, 1, 2, vcc
	v_cmp_eq_u32_e32 vcc, 0, v38
	v_cmp_ne_u32_e64 s[26:27], 0, v38
	v_cndmask_b32_e64 v38, 1, 2, vcc
	v_cmp_eq_u32_e32 vcc, 0, v11
	v_and_b32_e32 v38, v38, v39
	v_cmp_ne_u32_e64 s[24:25], 0, v11
	v_cndmask_b32_e64 v11, 1, 2, vcc
	v_cmp_eq_u32_e32 vcc, 0, v22
	v_and_b32_e32 v11, v38, v11
	;; [unrolled: 4-line block ×3, first 2 shown]
	v_cndmask_b32_e64 v22, 1, 2, vcc
	v_cmp_eq_u32_e32 vcc, 0, v24
	v_and_b32_e32 v11, v11, v22
	v_cndmask_b32_e64 v22, 1, 2, vcc
	v_cmp_eq_u32_e32 vcc, 0, v26
	v_and_b32_e32 v11, v11, v22
	;; [unrolled: 3-line block ×10, first 2 shown]
	v_cndmask_b32_e64 v22, 1, 2, vcc
	s_movk_i32 s30, 0x100
	v_and_b32_e32 v11, v11, v22
	v_cmp_gt_u32_e32 vcc, s30, v1
	v_add_u32_e32 v10, v44, v10
	v_cmp_ne_u32_e64 s[20:21], 0, v23
	v_cmp_ne_u32_e64 s[18:19], 0, v24
	;; [unrolled: 1-line block ×11, first 2 shown]
	s_mov_b64 s[34:35], -1
	v_cmp_gt_i16_e64 s[30:31], 2, v11
	s_barrier
	s_cbranch_vccz .LBB2211_196
; %bb.190:
	s_and_saveexec_b64 s[34:35], s[30:31]
	s_cbranch_execz .LBB2211_195
; %bb.191:
	v_cmp_ne_u16_e32 vcc, 1, v11
	s_mov_b64 s[36:37], 0
	s_and_saveexec_b64 s[30:31], vcc
	s_xor_b64 s[30:31], exec, s[30:31]
	s_cbranch_execnz .LBB2211_245
; %bb.192:
	s_andn2_saveexec_b64 s[30:31], s[30:31]
	s_cbranch_execnz .LBB2211_261
.LBB2211_193:
	s_or_b64 exec, exec, s[30:31]
	s_and_b64 exec, exec, s[36:37]
	s_cbranch_execz .LBB2211_195
.LBB2211_194:
	v_sub_u32_e32 v22, v12, v10
	v_mov_b32_e32 v23, 0
	v_lshlrev_b64 v[22:23], 3, v[22:23]
	v_add_co_u32_e32 v22, vcc, v6, v22
	v_addc_co_u32_e32 v23, vcc, v7, v23, vcc
	global_store_dwordx2 v[22:23], v[2:3], off
.LBB2211_195:
	s_or_b64 exec, exec, s[34:35]
	s_mov_b64 s[34:35], 0
.LBB2211_196:
	s_and_b64 vcc, exec, s[34:35]
	s_cbranch_vccz .LBB2211_206
; %bb.197:
	v_cmp_gt_i16_e32 vcc, 2, v11
	s_and_saveexec_b64 s[30:31], vcc
	s_cbranch_execz .LBB2211_202
; %bb.198:
	v_cmp_ne_u16_e32 vcc, 1, v11
	s_mov_b64 s[36:37], 0
	s_and_saveexec_b64 s[34:35], vcc
	s_xor_b64 s[34:35], exec, s[34:35]
	s_cbranch_execnz .LBB2211_262
; %bb.199:
	s_andn2_saveexec_b64 s[0:1], s[34:35]
	s_cbranch_execnz .LBB2211_278
.LBB2211_200:
	s_or_b64 exec, exec, s[0:1]
	s_and_b64 exec, exec, s[36:37]
	s_cbranch_execz .LBB2211_202
.LBB2211_201:
	v_sub_u32_e32 v10, v12, v10
	v_lshlrev_b32_e32 v10, 3, v10
	ds_write_b64 v10, v[2:3]
.LBB2211_202:
	s_or_b64 exec, exec, s[30:31]
	v_cmp_lt_u32_e32 vcc, v0, v1
	s_waitcnt lgkmcnt(0)
	s_barrier
	s_and_saveexec_b64 s[0:1], vcc
	s_cbranch_execz .LBB2211_205
; %bb.203:
	v_lshlrev_b32_e32 v10, 3, v0
	s_mov_b64 s[2:3], 0
	v_mov_b32_e32 v3, 0
	v_mov_b32_e32 v2, v0
.LBB2211_204:                           ; =>This Inner Loop Header: Depth=1
	v_lshlrev_b64 v[12:13], 3, v[2:3]
	ds_read_b64 v[14:15], v10
	v_add_co_u32_e32 v12, vcc, v6, v12
	v_add_u32_e32 v2, 0x100, v2
	v_addc_co_u32_e32 v13, vcc, v7, v13, vcc
	v_cmp_ge_u32_e32 vcc, v2, v1
	v_add_u32_e32 v10, 0x800, v10
	s_or_b64 s[2:3], vcc, s[2:3]
	s_waitcnt lgkmcnt(0)
	global_store_dwordx2 v[12:13], v[14:15], off
	s_andn2_b64 exec, exec, s[2:3]
	s_cbranch_execnz .LBB2211_204
.LBB2211_205:
	s_or_b64 exec, exec, s[0:1]
.LBB2211_206:
	s_movk_i32 s0, 0xff
	v_cmp_eq_u32_e32 vcc, s0, v0
	s_and_b64 s[0:1], vcc, s[44:45]
	s_and_saveexec_b64 s[2:3], s[0:1]
	s_cbranch_execz .LBB2211_209
; %bb.207:
	v_add_co_u32_e32 v0, vcc, v40, v44
	v_addc_co_u32_e64 v1, s[0:1], 0, 0, vcc
	v_add_co_u32_e32 v0, vcc, v0, v8
	v_mov_b32_e32 v41, 0
	v_addc_co_u32_e32 v1, vcc, v1, v9, vcc
	s_cmpk_lg_i32 s33, 0xf00
	global_store_dwordx2 v41, v[0:1], s[56:57]
	s_cbranch_scc1 .LBB2211_209
; %bb.208:
	v_lshlrev_b64 v[0:1], 3, v[40:41]
	v_add_co_u32_e32 v0, vcc, v4, v0
	v_addc_co_u32_e32 v1, vcc, v5, v1, vcc
	global_store_dwordx2 v[0:1], v[42:43], off offset:-8
.LBB2211_209:
	s_endpgm
.LBB2211_210:
	s_or_b64 exec, exec, s[10:11]
	v_mov_b32_e32 v89, s14
	s_and_saveexec_b64 s[2:3], s[8:9]
	s_cbranch_execnz .LBB2211_58
	s_branch .LBB2211_59
.LBB2211_211:
	s_and_saveexec_b64 s[38:39], s[30:31]
	s_cbranch_execnz .LBB2211_279
; %bb.212:
	s_or_b64 exec, exec, s[38:39]
	s_and_saveexec_b64 s[38:39], s[28:29]
	s_cbranch_execnz .LBB2211_280
.LBB2211_213:
	s_or_b64 exec, exec, s[38:39]
	s_and_saveexec_b64 s[38:39], s[26:27]
	s_cbranch_execnz .LBB2211_281
.LBB2211_214:
	s_or_b64 exec, exec, s[38:39]
	s_and_saveexec_b64 s[38:39], s[24:25]
	s_cbranch_execnz .LBB2211_282
.LBB2211_215:
	s_or_b64 exec, exec, s[38:39]
	s_and_saveexec_b64 s[38:39], s[22:23]
	s_cbranch_execnz .LBB2211_283
.LBB2211_216:
	s_or_b64 exec, exec, s[38:39]
	s_and_saveexec_b64 s[38:39], s[20:21]
	s_cbranch_execnz .LBB2211_284
.LBB2211_217:
	s_or_b64 exec, exec, s[38:39]
	s_and_saveexec_b64 s[38:39], s[18:19]
	s_cbranch_execnz .LBB2211_285
.LBB2211_218:
	s_or_b64 exec, exec, s[38:39]
	s_and_saveexec_b64 s[38:39], s[16:17]
	s_cbranch_execnz .LBB2211_286
.LBB2211_219:
	s_or_b64 exec, exec, s[38:39]
	s_and_saveexec_b64 s[38:39], s[14:15]
	s_cbranch_execnz .LBB2211_287
.LBB2211_220:
	s_or_b64 exec, exec, s[38:39]
	s_and_saveexec_b64 s[38:39], s[12:13]
	s_cbranch_execnz .LBB2211_288
.LBB2211_221:
	s_or_b64 exec, exec, s[38:39]
	s_and_saveexec_b64 s[38:39], s[10:11]
	s_cbranch_execnz .LBB2211_289
.LBB2211_222:
	s_or_b64 exec, exec, s[38:39]
	s_and_saveexec_b64 s[38:39], s[8:9]
	s_cbranch_execnz .LBB2211_290
.LBB2211_223:
	s_or_b64 exec, exec, s[38:39]
	s_and_saveexec_b64 s[38:39], s[6:7]
	s_cbranch_execnz .LBB2211_291
.LBB2211_224:
	s_or_b64 exec, exec, s[38:39]
	s_and_saveexec_b64 s[38:39], s[4:5]
	s_cbranch_execz .LBB2211_226
.LBB2211_225:
	v_sub_u32_e32 v10, v13, v44
	v_mov_b32_e32 v11, 0
	v_lshlrev_b64 v[10:11], 1, v[10:11]
	v_add_co_u32_e32 v10, vcc, v32, v10
	v_addc_co_u32_e32 v11, vcc, v33, v11, vcc
	global_store_short v[10:11], v24, off
.LBB2211_226:
	s_or_b64 exec, exec, s[38:39]
	s_and_b64 s[38:39], s[2:3], exec
	s_andn2_saveexec_b64 s[34:35], s[34:35]
	s_cbranch_execz .LBB2211_164
.LBB2211_227:
	v_sub_u32_e32 v10, v90, v44
	v_mov_b32_e32 v11, 0
	v_lshlrev_b64 v[34:35], 1, v[10:11]
	v_add_co_u32_e32 v34, vcc, v32, v34
	v_addc_co_u32_e32 v35, vcc, v33, v35, vcc
	v_sub_u32_e32 v10, v31, v44
	global_store_short v[34:35], v1, off
	v_lshlrev_b64 v[34:35], 1, v[10:11]
	v_add_co_u32_e32 v34, vcc, v32, v34
	v_addc_co_u32_e32 v35, vcc, v33, v35, vcc
	v_sub_u32_e32 v10, v30, v44
	global_store_short v[34:35], v2, off
	v_lshlrev_b64 v[34:35], 1, v[10:11]
	v_add_co_u32_e32 v34, vcc, v32, v34
	v_addc_co_u32_e32 v35, vcc, v33, v35, vcc
	v_sub_u32_e32 v10, v29, v44
	global_store_short_d16_hi v[34:35], v2, off
	v_lshlrev_b64 v[34:35], 1, v[10:11]
	v_add_co_u32_e32 v34, vcc, v32, v34
	v_addc_co_u32_e32 v35, vcc, v33, v35, vcc
	v_sub_u32_e32 v10, v28, v44
	global_store_short v[34:35], v3, off
	v_lshlrev_b64 v[34:35], 1, v[10:11]
	v_add_co_u32_e32 v34, vcc, v32, v34
	v_addc_co_u32_e32 v35, vcc, v33, v35, vcc
	v_sub_u32_e32 v10, v21, v44
	global_store_short_d16_hi v[34:35], v3, off
	;; [unrolled: 10-line block ×5, first 2 shown]
	v_lshlrev_b64 v[34:35], 1, v[10:11]
	v_add_co_u32_e32 v34, vcc, v32, v34
	v_addc_co_u32_e32 v35, vcc, v33, v35, vcc
	v_sub_u32_e32 v10, v14, v44
	global_store_short v[34:35], v23, off
	v_lshlrev_b64 v[34:35], 1, v[10:11]
	v_add_co_u32_e32 v34, vcc, v32, v34
	v_sub_u32_e32 v10, v13, v44
	v_addc_co_u32_e32 v35, vcc, v33, v35, vcc
	v_lshlrev_b64 v[10:11], 1, v[10:11]
	v_add_co_u32_e32 v10, vcc, v32, v10
	v_addc_co_u32_e32 v11, vcc, v33, v11, vcc
	s_or_b64 s[38:39], s[38:39], exec
	global_store_short_d16_hi v[34:35], v23, off
	global_store_short v[10:11], v24, off
	s_or_b64 exec, exec, s[34:35]
	s_and_b64 exec, exec, s[38:39]
	s_cbranch_execnz .LBB2211_165
	s_branch .LBB2211_166
.LBB2211_228:
	s_and_saveexec_b64 s[38:39], s[30:31]
	s_cbranch_execnz .LBB2211_292
; %bb.229:
	s_or_b64 exec, exec, s[38:39]
	s_and_saveexec_b64 s[30:31], s[28:29]
	s_cbranch_execnz .LBB2211_293
.LBB2211_230:
	s_or_b64 exec, exec, s[30:31]
	s_and_saveexec_b64 s[28:29], s[26:27]
	s_cbranch_execnz .LBB2211_294
.LBB2211_231:
	s_or_b64 exec, exec, s[28:29]
	s_and_saveexec_b64 s[26:27], s[24:25]
	s_cbranch_execnz .LBB2211_295
.LBB2211_232:
	s_or_b64 exec, exec, s[26:27]
	s_and_saveexec_b64 s[24:25], s[22:23]
	s_cbranch_execnz .LBB2211_296
.LBB2211_233:
	s_or_b64 exec, exec, s[24:25]
	s_and_saveexec_b64 s[22:23], s[20:21]
	s_cbranch_execnz .LBB2211_297
.LBB2211_234:
	s_or_b64 exec, exec, s[22:23]
	s_and_saveexec_b64 s[20:21], s[18:19]
	s_cbranch_execnz .LBB2211_298
.LBB2211_235:
	s_or_b64 exec, exec, s[20:21]
	s_and_saveexec_b64 s[18:19], s[16:17]
	s_cbranch_execnz .LBB2211_299
.LBB2211_236:
	s_or_b64 exec, exec, s[18:19]
	s_and_saveexec_b64 s[16:17], s[14:15]
	s_cbranch_execnz .LBB2211_300
.LBB2211_237:
	s_or_b64 exec, exec, s[16:17]
	s_and_saveexec_b64 s[14:15], s[12:13]
	s_cbranch_execnz .LBB2211_301
.LBB2211_238:
	s_or_b64 exec, exec, s[14:15]
	s_and_saveexec_b64 s[12:13], s[10:11]
	s_cbranch_execnz .LBB2211_302
.LBB2211_239:
	s_or_b64 exec, exec, s[12:13]
	s_and_saveexec_b64 s[10:11], s[8:9]
	s_cbranch_execnz .LBB2211_303
.LBB2211_240:
	s_or_b64 exec, exec, s[10:11]
	s_and_saveexec_b64 s[8:9], s[6:7]
	s_cbranch_execnz .LBB2211_304
.LBB2211_241:
	s_or_b64 exec, exec, s[8:9]
	s_and_saveexec_b64 s[6:7], s[4:5]
	s_cbranch_execz .LBB2211_243
.LBB2211_242:
	v_sub_u32_e32 v1, v13, v44
	v_lshlrev_b32_e32 v1, 1, v1
	ds_write_b16 v1, v24
.LBB2211_243:
	s_or_b64 exec, exec, s[6:7]
	s_and_b64 s[38:39], s[2:3], exec
                                        ; implicit-def: $vgpr1
                                        ; implicit-def: $vgpr2
	s_andn2_saveexec_b64 s[2:3], s[36:37]
	s_cbranch_execz .LBB2211_171
.LBB2211_244:
	v_sub_u32_e32 v6, v90, v44
	v_lshlrev_b32_e32 v6, 1, v6
	ds_write_b16 v6, v1
	v_sub_u32_e32 v1, v31, v44
	v_lshlrev_b32_e32 v1, 1, v1
	ds_write_b16 v1, v2
	v_sub_u32_e32 v1, v30, v44
	v_lshlrev_b32_e32 v1, 1, v1
	ds_write_b16_d16_hi v1, v2
	v_sub_u32_e32 v1, v29, v44
	v_lshlrev_b32_e32 v1, 1, v1
	ds_write_b16 v1, v3
	v_sub_u32_e32 v1, v28, v44
	v_lshlrev_b32_e32 v1, 1, v1
	ds_write_b16_d16_hi v1, v3
	;; [unrolled: 6-line block ×6, first 2 shown]
	v_sub_u32_e32 v1, v13, v44
	v_lshlrev_b32_e32 v1, 1, v1
	s_or_b64 s[38:39], s[38:39], exec
	ds_write_b16 v1, v24
	s_or_b64 exec, exec, s[2:3]
	s_and_b64 exec, exec, s[38:39]
	s_cbranch_execnz .LBB2211_172
	s_branch .LBB2211_173
.LBB2211_245:
	s_and_saveexec_b64 s[36:37], s[28:29]
	s_cbranch_execnz .LBB2211_305
; %bb.246:
	s_or_b64 exec, exec, s[36:37]
	s_and_saveexec_b64 s[36:37], s[26:27]
	s_cbranch_execnz .LBB2211_306
.LBB2211_247:
	s_or_b64 exec, exec, s[36:37]
	s_and_saveexec_b64 s[36:37], s[24:25]
	s_cbranch_execnz .LBB2211_307
.LBB2211_248:
	s_or_b64 exec, exec, s[36:37]
	s_and_saveexec_b64 s[36:37], s[22:23]
	s_cbranch_execnz .LBB2211_308
.LBB2211_249:
	s_or_b64 exec, exec, s[36:37]
	s_and_saveexec_b64 s[36:37], s[20:21]
	s_cbranch_execnz .LBB2211_309
.LBB2211_250:
	s_or_b64 exec, exec, s[36:37]
	s_and_saveexec_b64 s[36:37], s[18:19]
	s_cbranch_execnz .LBB2211_310
.LBB2211_251:
	s_or_b64 exec, exec, s[36:37]
	s_and_saveexec_b64 s[36:37], s[16:17]
	s_cbranch_execnz .LBB2211_311
.LBB2211_252:
	s_or_b64 exec, exec, s[36:37]
	s_and_saveexec_b64 s[36:37], s[14:15]
	s_cbranch_execnz .LBB2211_312
.LBB2211_253:
	s_or_b64 exec, exec, s[36:37]
	s_and_saveexec_b64 s[36:37], s[12:13]
	s_cbranch_execnz .LBB2211_313
.LBB2211_254:
	s_or_b64 exec, exec, s[36:37]
	s_and_saveexec_b64 s[36:37], s[10:11]
	s_cbranch_execnz .LBB2211_314
.LBB2211_255:
	s_or_b64 exec, exec, s[36:37]
	s_and_saveexec_b64 s[36:37], s[8:9]
	s_cbranch_execnz .LBB2211_315
.LBB2211_256:
	s_or_b64 exec, exec, s[36:37]
	s_and_saveexec_b64 s[36:37], s[6:7]
	s_cbranch_execnz .LBB2211_316
.LBB2211_257:
	s_or_b64 exec, exec, s[36:37]
	s_and_saveexec_b64 s[36:37], s[4:5]
	s_cbranch_execnz .LBB2211_317
.LBB2211_258:
	s_or_b64 exec, exec, s[36:37]
	s_and_saveexec_b64 s[36:37], s[2:3]
	s_cbranch_execz .LBB2211_260
.LBB2211_259:
	v_sub_u32_e32 v22, v13, v10
	v_mov_b32_e32 v23, 0
	v_lshlrev_b64 v[22:23], 3, v[22:23]
	v_add_co_u32_e32 v22, vcc, v6, v22
	v_addc_co_u32_e32 v23, vcc, v7, v23, vcc
	global_store_dwordx2 v[22:23], v[72:73], off
.LBB2211_260:
	s_or_b64 exec, exec, s[36:37]
	s_and_b64 s[36:37], s[0:1], exec
	s_andn2_saveexec_b64 s[30:31], s[30:31]
	s_cbranch_execz .LBB2211_193
.LBB2211_261:
	v_sub_u32_e32 v22, v90, v10
	v_mov_b32_e32 v23, 0
	v_lshlrev_b64 v[24:25], 3, v[22:23]
	v_add_co_u32_e32 v24, vcc, v6, v24
	v_addc_co_u32_e32 v25, vcc, v7, v25, vcc
	v_sub_u32_e32 v22, v31, v10
	global_store_dwordx2 v[24:25], v[70:71], off
	v_lshlrev_b64 v[24:25], 3, v[22:23]
	v_add_co_u32_e32 v24, vcc, v6, v24
	v_addc_co_u32_e32 v25, vcc, v7, v25, vcc
	v_sub_u32_e32 v22, v30, v10
	global_store_dwordx2 v[24:25], v[46:47], off
	;; [unrolled: 5-line block ×12, first 2 shown]
	v_lshlrev_b64 v[24:25], 3, v[22:23]
	v_add_co_u32_e32 v24, vcc, v6, v24
	v_sub_u32_e32 v22, v13, v10
	v_addc_co_u32_e32 v25, vcc, v7, v25, vcc
	v_lshlrev_b64 v[22:23], 3, v[22:23]
	v_add_co_u32_e32 v22, vcc, v6, v22
	v_addc_co_u32_e32 v23, vcc, v7, v23, vcc
	s_or_b64 s[36:37], s[36:37], exec
	global_store_dwordx2 v[24:25], v[68:69], off
	global_store_dwordx2 v[22:23], v[72:73], off
	s_or_b64 exec, exec, s[30:31]
	s_and_b64 exec, exec, s[36:37]
	s_cbranch_execnz .LBB2211_194
	s_branch .LBB2211_195
.LBB2211_262:
	s_and_saveexec_b64 s[36:37], s[28:29]
	s_cbranch_execnz .LBB2211_318
; %bb.263:
	s_or_b64 exec, exec, s[36:37]
	s_and_saveexec_b64 s[28:29], s[26:27]
	s_cbranch_execnz .LBB2211_319
.LBB2211_264:
	s_or_b64 exec, exec, s[28:29]
	s_and_saveexec_b64 s[26:27], s[24:25]
	s_cbranch_execnz .LBB2211_320
.LBB2211_265:
	s_or_b64 exec, exec, s[26:27]
	s_and_saveexec_b64 s[24:25], s[22:23]
	s_cbranch_execnz .LBB2211_321
.LBB2211_266:
	s_or_b64 exec, exec, s[24:25]
	s_and_saveexec_b64 s[22:23], s[20:21]
	s_cbranch_execnz .LBB2211_322
.LBB2211_267:
	s_or_b64 exec, exec, s[22:23]
	s_and_saveexec_b64 s[20:21], s[18:19]
	s_cbranch_execnz .LBB2211_323
.LBB2211_268:
	s_or_b64 exec, exec, s[20:21]
	s_and_saveexec_b64 s[18:19], s[16:17]
	s_cbranch_execnz .LBB2211_324
.LBB2211_269:
	s_or_b64 exec, exec, s[18:19]
	s_and_saveexec_b64 s[16:17], s[14:15]
	s_cbranch_execnz .LBB2211_325
.LBB2211_270:
	s_or_b64 exec, exec, s[16:17]
	s_and_saveexec_b64 s[14:15], s[12:13]
	s_cbranch_execnz .LBB2211_326
.LBB2211_271:
	s_or_b64 exec, exec, s[14:15]
	s_and_saveexec_b64 s[12:13], s[10:11]
	s_cbranch_execnz .LBB2211_327
.LBB2211_272:
	s_or_b64 exec, exec, s[12:13]
	s_and_saveexec_b64 s[10:11], s[8:9]
	s_cbranch_execnz .LBB2211_328
.LBB2211_273:
	s_or_b64 exec, exec, s[10:11]
	s_and_saveexec_b64 s[8:9], s[6:7]
	s_cbranch_execnz .LBB2211_329
.LBB2211_274:
	s_or_b64 exec, exec, s[8:9]
	s_and_saveexec_b64 s[6:7], s[4:5]
	s_cbranch_execnz .LBB2211_330
.LBB2211_275:
	s_or_b64 exec, exec, s[6:7]
	s_and_saveexec_b64 s[4:5], s[2:3]
	s_cbranch_execz .LBB2211_277
.LBB2211_276:
	v_sub_u32_e32 v11, v13, v10
	v_lshlrev_b32_e32 v11, 3, v11
	ds_write_b64 v11, v[72:73]
.LBB2211_277:
	s_or_b64 exec, exec, s[4:5]
	s_and_b64 s[36:37], s[0:1], exec
                                        ; implicit-def: $vgpr70_vgpr71
                                        ; implicit-def: $vgpr46_vgpr47
                                        ; implicit-def: $vgpr48_vgpr49
                                        ; implicit-def: $vgpr50_vgpr51
                                        ; implicit-def: $vgpr52_vgpr53
                                        ; implicit-def: $vgpr54_vgpr55
                                        ; implicit-def: $vgpr56_vgpr57
                                        ; implicit-def: $vgpr58_vgpr59
                                        ; implicit-def: $vgpr60_vgpr61
                                        ; implicit-def: $vgpr62_vgpr63
                                        ; implicit-def: $vgpr64_vgpr65
                                        ; implicit-def: $vgpr66_vgpr67
                                        ; implicit-def: $vgpr68_vgpr69
                                        ; implicit-def: $vgpr72_vgpr73
                                        ; implicit-def: $vgpr90
                                        ; implicit-def: $vgpr31
                                        ; implicit-def: $vgpr30
                                        ; implicit-def: $vgpr29
                                        ; implicit-def: $vgpr28
                                        ; implicit-def: $vgpr21
                                        ; implicit-def: $vgpr20
                                        ; implicit-def: $vgpr19
                                        ; implicit-def: $vgpr18
                                        ; implicit-def: $vgpr17
                                        ; implicit-def: $vgpr16
                                        ; implicit-def: $vgpr15
                                        ; implicit-def: $vgpr14
                                        ; implicit-def: $vgpr13
	s_andn2_saveexec_b64 s[0:1], s[34:35]
	s_cbranch_execz .LBB2211_200
.LBB2211_278:
	v_sub_u32_e32 v11, v90, v10
	v_lshlrev_b32_e32 v11, 3, v11
	ds_write_b64 v11, v[70:71]
	v_sub_u32_e32 v11, v31, v10
	v_lshlrev_b32_e32 v11, 3, v11
	ds_write_b64 v11, v[46:47]
	;; [unrolled: 3-line block ×13, first 2 shown]
	v_sub_u32_e32 v11, v13, v10
	v_lshlrev_b32_e32 v11, 3, v11
	s_or_b64 s[36:37], s[36:37], exec
	ds_write_b64 v11, v[72:73]
	s_or_b64 exec, exec, s[0:1]
	s_and_b64 exec, exec, s[36:37]
	s_cbranch_execnz .LBB2211_201
	s_branch .LBB2211_202
.LBB2211_279:
	v_sub_u32_e32 v10, v90, v44
	v_mov_b32_e32 v11, 0
	v_lshlrev_b64 v[10:11], 1, v[10:11]
	v_add_co_u32_e32 v10, vcc, v32, v10
	v_addc_co_u32_e32 v11, vcc, v33, v11, vcc
	global_store_short v[10:11], v1, off
	s_or_b64 exec, exec, s[38:39]
	s_and_saveexec_b64 s[38:39], s[28:29]
	s_cbranch_execz .LBB2211_213
.LBB2211_280:
	v_sub_u32_e32 v10, v31, v44
	v_mov_b32_e32 v11, 0
	v_lshlrev_b64 v[10:11], 1, v[10:11]
	v_add_co_u32_e32 v10, vcc, v32, v10
	v_addc_co_u32_e32 v11, vcc, v33, v11, vcc
	global_store_short v[10:11], v2, off
	s_or_b64 exec, exec, s[38:39]
	s_and_saveexec_b64 s[38:39], s[26:27]
	s_cbranch_execz .LBB2211_214
.LBB2211_281:
	v_sub_u32_e32 v10, v30, v44
	v_mov_b32_e32 v11, 0
	v_lshlrev_b64 v[10:11], 1, v[10:11]
	v_add_co_u32_e32 v10, vcc, v32, v10
	v_addc_co_u32_e32 v11, vcc, v33, v11, vcc
	global_store_short_d16_hi v[10:11], v2, off
	s_or_b64 exec, exec, s[38:39]
	s_and_saveexec_b64 s[38:39], s[24:25]
	s_cbranch_execz .LBB2211_215
.LBB2211_282:
	v_sub_u32_e32 v10, v29, v44
	v_mov_b32_e32 v11, 0
	v_lshlrev_b64 v[10:11], 1, v[10:11]
	v_add_co_u32_e32 v10, vcc, v32, v10
	v_addc_co_u32_e32 v11, vcc, v33, v11, vcc
	global_store_short v[10:11], v3, off
	s_or_b64 exec, exec, s[38:39]
	s_and_saveexec_b64 s[38:39], s[22:23]
	s_cbranch_execz .LBB2211_216
.LBB2211_283:
	v_sub_u32_e32 v10, v28, v44
	v_mov_b32_e32 v11, 0
	v_lshlrev_b64 v[10:11], 1, v[10:11]
	v_add_co_u32_e32 v10, vcc, v32, v10
	v_addc_co_u32_e32 v11, vcc, v33, v11, vcc
	global_store_short_d16_hi v[10:11], v3, off
	s_or_b64 exec, exec, s[38:39]
	s_and_saveexec_b64 s[38:39], s[20:21]
	s_cbranch_execz .LBB2211_217
.LBB2211_284:
	v_sub_u32_e32 v10, v21, v44
	v_mov_b32_e32 v11, 0
	v_lshlrev_b64 v[10:11], 1, v[10:11]
	v_add_co_u32_e32 v10, vcc, v32, v10
	v_addc_co_u32_e32 v11, vcc, v33, v11, vcc
	global_store_short v[10:11], v4, off
	s_or_b64 exec, exec, s[38:39]
	s_and_saveexec_b64 s[38:39], s[18:19]
	s_cbranch_execz .LBB2211_218
.LBB2211_285:
	v_sub_u32_e32 v10, v20, v44
	v_mov_b32_e32 v11, 0
	v_lshlrev_b64 v[10:11], 1, v[10:11]
	v_add_co_u32_e32 v10, vcc, v32, v10
	v_addc_co_u32_e32 v11, vcc, v33, v11, vcc
	global_store_short_d16_hi v[10:11], v4, off
	s_or_b64 exec, exec, s[38:39]
	s_and_saveexec_b64 s[38:39], s[16:17]
	s_cbranch_execz .LBB2211_219
.LBB2211_286:
	v_sub_u32_e32 v10, v19, v44
	v_mov_b32_e32 v11, 0
	v_lshlrev_b64 v[10:11], 1, v[10:11]
	v_add_co_u32_e32 v10, vcc, v32, v10
	v_addc_co_u32_e32 v11, vcc, v33, v11, vcc
	global_store_short v[10:11], v5, off
	s_or_b64 exec, exec, s[38:39]
	s_and_saveexec_b64 s[38:39], s[14:15]
	s_cbranch_execz .LBB2211_220
.LBB2211_287:
	v_sub_u32_e32 v10, v18, v44
	v_mov_b32_e32 v11, 0
	v_lshlrev_b64 v[10:11], 1, v[10:11]
	v_add_co_u32_e32 v10, vcc, v32, v10
	v_addc_co_u32_e32 v11, vcc, v33, v11, vcc
	global_store_short_d16_hi v[10:11], v5, off
	s_or_b64 exec, exec, s[38:39]
	s_and_saveexec_b64 s[38:39], s[12:13]
	s_cbranch_execz .LBB2211_221
.LBB2211_288:
	v_sub_u32_e32 v10, v17, v44
	v_mov_b32_e32 v11, 0
	v_lshlrev_b64 v[10:11], 1, v[10:11]
	v_add_co_u32_e32 v10, vcc, v32, v10
	v_addc_co_u32_e32 v11, vcc, v33, v11, vcc
	global_store_short v[10:11], v22, off
	s_or_b64 exec, exec, s[38:39]
	s_and_saveexec_b64 s[38:39], s[10:11]
	s_cbranch_execz .LBB2211_222
.LBB2211_289:
	v_sub_u32_e32 v10, v16, v44
	v_mov_b32_e32 v11, 0
	v_lshlrev_b64 v[10:11], 1, v[10:11]
	v_add_co_u32_e32 v10, vcc, v32, v10
	v_addc_co_u32_e32 v11, vcc, v33, v11, vcc
	global_store_short_d16_hi v[10:11], v22, off
	s_or_b64 exec, exec, s[38:39]
	s_and_saveexec_b64 s[38:39], s[8:9]
	s_cbranch_execz .LBB2211_223
.LBB2211_290:
	v_sub_u32_e32 v10, v15, v44
	v_mov_b32_e32 v11, 0
	v_lshlrev_b64 v[10:11], 1, v[10:11]
	v_add_co_u32_e32 v10, vcc, v32, v10
	v_addc_co_u32_e32 v11, vcc, v33, v11, vcc
	global_store_short v[10:11], v23, off
	s_or_b64 exec, exec, s[38:39]
	s_and_saveexec_b64 s[38:39], s[6:7]
	s_cbranch_execz .LBB2211_224
.LBB2211_291:
	v_sub_u32_e32 v10, v14, v44
	v_mov_b32_e32 v11, 0
	v_lshlrev_b64 v[10:11], 1, v[10:11]
	v_add_co_u32_e32 v10, vcc, v32, v10
	v_addc_co_u32_e32 v11, vcc, v33, v11, vcc
	global_store_short_d16_hi v[10:11], v23, off
	s_or_b64 exec, exec, s[38:39]
	s_and_saveexec_b64 s[38:39], s[4:5]
	s_cbranch_execnz .LBB2211_225
	s_branch .LBB2211_226
.LBB2211_292:
	v_sub_u32_e32 v6, v90, v44
	v_lshlrev_b32_e32 v6, 1, v6
	ds_write_b16 v6, v1
	s_or_b64 exec, exec, s[38:39]
	s_and_saveexec_b64 s[30:31], s[28:29]
	s_cbranch_execz .LBB2211_230
.LBB2211_293:
	v_sub_u32_e32 v1, v31, v44
	v_lshlrev_b32_e32 v1, 1, v1
	ds_write_b16 v1, v2
	s_or_b64 exec, exec, s[30:31]
	s_and_saveexec_b64 s[28:29], s[26:27]
	s_cbranch_execz .LBB2211_231
.LBB2211_294:
	v_sub_u32_e32 v1, v30, v44
	v_lshlrev_b32_e32 v1, 1, v1
	ds_write_b16_d16_hi v1, v2
	s_or_b64 exec, exec, s[28:29]
	s_and_saveexec_b64 s[26:27], s[24:25]
	s_cbranch_execz .LBB2211_232
.LBB2211_295:
	v_sub_u32_e32 v1, v29, v44
	v_lshlrev_b32_e32 v1, 1, v1
	ds_write_b16 v1, v3
	s_or_b64 exec, exec, s[26:27]
	s_and_saveexec_b64 s[24:25], s[22:23]
	s_cbranch_execz .LBB2211_233
.LBB2211_296:
	v_sub_u32_e32 v1, v28, v44
	v_lshlrev_b32_e32 v1, 1, v1
	ds_write_b16_d16_hi v1, v3
	s_or_b64 exec, exec, s[24:25]
	s_and_saveexec_b64 s[22:23], s[20:21]
	s_cbranch_execz .LBB2211_234
.LBB2211_297:
	v_sub_u32_e32 v1, v21, v44
	v_lshlrev_b32_e32 v1, 1, v1
	ds_write_b16 v1, v4
	s_or_b64 exec, exec, s[22:23]
	s_and_saveexec_b64 s[20:21], s[18:19]
	s_cbranch_execz .LBB2211_235
.LBB2211_298:
	v_sub_u32_e32 v1, v20, v44
	v_lshlrev_b32_e32 v1, 1, v1
	ds_write_b16_d16_hi v1, v4
	s_or_b64 exec, exec, s[20:21]
	s_and_saveexec_b64 s[18:19], s[16:17]
	s_cbranch_execz .LBB2211_236
.LBB2211_299:
	v_sub_u32_e32 v1, v19, v44
	v_lshlrev_b32_e32 v1, 1, v1
	ds_write_b16 v1, v5
	s_or_b64 exec, exec, s[18:19]
	s_and_saveexec_b64 s[16:17], s[14:15]
	s_cbranch_execz .LBB2211_237
.LBB2211_300:
	v_sub_u32_e32 v1, v18, v44
	v_lshlrev_b32_e32 v1, 1, v1
	ds_write_b16_d16_hi v1, v5
	s_or_b64 exec, exec, s[16:17]
	s_and_saveexec_b64 s[14:15], s[12:13]
	s_cbranch_execz .LBB2211_238
.LBB2211_301:
	v_sub_u32_e32 v1, v17, v44
	v_lshlrev_b32_e32 v1, 1, v1
	ds_write_b16 v1, v22
	s_or_b64 exec, exec, s[14:15]
	s_and_saveexec_b64 s[12:13], s[10:11]
	s_cbranch_execz .LBB2211_239
.LBB2211_302:
	v_sub_u32_e32 v1, v16, v44
	v_lshlrev_b32_e32 v1, 1, v1
	ds_write_b16_d16_hi v1, v22
	s_or_b64 exec, exec, s[12:13]
	s_and_saveexec_b64 s[10:11], s[8:9]
	s_cbranch_execz .LBB2211_240
.LBB2211_303:
	v_sub_u32_e32 v1, v15, v44
	v_lshlrev_b32_e32 v1, 1, v1
	ds_write_b16 v1, v23
	s_or_b64 exec, exec, s[10:11]
	s_and_saveexec_b64 s[8:9], s[6:7]
	s_cbranch_execz .LBB2211_241
.LBB2211_304:
	v_sub_u32_e32 v1, v14, v44
	v_lshlrev_b32_e32 v1, 1, v1
	ds_write_b16_d16_hi v1, v23
	s_or_b64 exec, exec, s[8:9]
	s_and_saveexec_b64 s[6:7], s[4:5]
	s_cbranch_execnz .LBB2211_242
	s_branch .LBB2211_243
.LBB2211_305:
	v_sub_u32_e32 v22, v90, v10
	v_mov_b32_e32 v23, 0
	v_lshlrev_b64 v[22:23], 3, v[22:23]
	v_add_co_u32_e32 v22, vcc, v6, v22
	v_addc_co_u32_e32 v23, vcc, v7, v23, vcc
	global_store_dwordx2 v[22:23], v[70:71], off
	s_or_b64 exec, exec, s[36:37]
	s_and_saveexec_b64 s[36:37], s[26:27]
	s_cbranch_execz .LBB2211_247
.LBB2211_306:
	v_sub_u32_e32 v22, v31, v10
	v_mov_b32_e32 v23, 0
	v_lshlrev_b64 v[22:23], 3, v[22:23]
	v_add_co_u32_e32 v22, vcc, v6, v22
	v_addc_co_u32_e32 v23, vcc, v7, v23, vcc
	global_store_dwordx2 v[22:23], v[46:47], off
	s_or_b64 exec, exec, s[36:37]
	s_and_saveexec_b64 s[36:37], s[24:25]
	s_cbranch_execz .LBB2211_248
.LBB2211_307:
	v_sub_u32_e32 v22, v30, v10
	v_mov_b32_e32 v23, 0
	v_lshlrev_b64 v[22:23], 3, v[22:23]
	v_add_co_u32_e32 v22, vcc, v6, v22
	v_addc_co_u32_e32 v23, vcc, v7, v23, vcc
	global_store_dwordx2 v[22:23], v[48:49], off
	s_or_b64 exec, exec, s[36:37]
	s_and_saveexec_b64 s[36:37], s[22:23]
	s_cbranch_execz .LBB2211_249
.LBB2211_308:
	v_sub_u32_e32 v22, v29, v10
	v_mov_b32_e32 v23, 0
	v_lshlrev_b64 v[22:23], 3, v[22:23]
	v_add_co_u32_e32 v22, vcc, v6, v22
	v_addc_co_u32_e32 v23, vcc, v7, v23, vcc
	global_store_dwordx2 v[22:23], v[50:51], off
	s_or_b64 exec, exec, s[36:37]
	s_and_saveexec_b64 s[36:37], s[20:21]
	s_cbranch_execz .LBB2211_250
.LBB2211_309:
	v_sub_u32_e32 v22, v28, v10
	v_mov_b32_e32 v23, 0
	v_lshlrev_b64 v[22:23], 3, v[22:23]
	v_add_co_u32_e32 v22, vcc, v6, v22
	v_addc_co_u32_e32 v23, vcc, v7, v23, vcc
	global_store_dwordx2 v[22:23], v[52:53], off
	s_or_b64 exec, exec, s[36:37]
	s_and_saveexec_b64 s[36:37], s[18:19]
	s_cbranch_execz .LBB2211_251
.LBB2211_310:
	v_sub_u32_e32 v22, v21, v10
	v_mov_b32_e32 v23, 0
	v_lshlrev_b64 v[22:23], 3, v[22:23]
	v_add_co_u32_e32 v22, vcc, v6, v22
	v_addc_co_u32_e32 v23, vcc, v7, v23, vcc
	global_store_dwordx2 v[22:23], v[54:55], off
	s_or_b64 exec, exec, s[36:37]
	s_and_saveexec_b64 s[36:37], s[16:17]
	s_cbranch_execz .LBB2211_252
.LBB2211_311:
	v_sub_u32_e32 v22, v20, v10
	v_mov_b32_e32 v23, 0
	v_lshlrev_b64 v[22:23], 3, v[22:23]
	v_add_co_u32_e32 v22, vcc, v6, v22
	v_addc_co_u32_e32 v23, vcc, v7, v23, vcc
	global_store_dwordx2 v[22:23], v[56:57], off
	s_or_b64 exec, exec, s[36:37]
	s_and_saveexec_b64 s[36:37], s[14:15]
	s_cbranch_execz .LBB2211_253
.LBB2211_312:
	v_sub_u32_e32 v22, v19, v10
	v_mov_b32_e32 v23, 0
	v_lshlrev_b64 v[22:23], 3, v[22:23]
	v_add_co_u32_e32 v22, vcc, v6, v22
	v_addc_co_u32_e32 v23, vcc, v7, v23, vcc
	global_store_dwordx2 v[22:23], v[58:59], off
	s_or_b64 exec, exec, s[36:37]
	s_and_saveexec_b64 s[36:37], s[12:13]
	s_cbranch_execz .LBB2211_254
.LBB2211_313:
	v_sub_u32_e32 v22, v18, v10
	v_mov_b32_e32 v23, 0
	v_lshlrev_b64 v[22:23], 3, v[22:23]
	v_add_co_u32_e32 v22, vcc, v6, v22
	v_addc_co_u32_e32 v23, vcc, v7, v23, vcc
	global_store_dwordx2 v[22:23], v[60:61], off
	s_or_b64 exec, exec, s[36:37]
	s_and_saveexec_b64 s[36:37], s[10:11]
	s_cbranch_execz .LBB2211_255
.LBB2211_314:
	v_sub_u32_e32 v22, v17, v10
	v_mov_b32_e32 v23, 0
	v_lshlrev_b64 v[22:23], 3, v[22:23]
	v_add_co_u32_e32 v22, vcc, v6, v22
	v_addc_co_u32_e32 v23, vcc, v7, v23, vcc
	global_store_dwordx2 v[22:23], v[62:63], off
	s_or_b64 exec, exec, s[36:37]
	s_and_saveexec_b64 s[36:37], s[8:9]
	s_cbranch_execz .LBB2211_256
.LBB2211_315:
	v_sub_u32_e32 v22, v16, v10
	v_mov_b32_e32 v23, 0
	v_lshlrev_b64 v[22:23], 3, v[22:23]
	v_add_co_u32_e32 v22, vcc, v6, v22
	v_addc_co_u32_e32 v23, vcc, v7, v23, vcc
	global_store_dwordx2 v[22:23], v[64:65], off
	s_or_b64 exec, exec, s[36:37]
	s_and_saveexec_b64 s[36:37], s[6:7]
	s_cbranch_execz .LBB2211_257
.LBB2211_316:
	v_sub_u32_e32 v22, v15, v10
	v_mov_b32_e32 v23, 0
	v_lshlrev_b64 v[22:23], 3, v[22:23]
	v_add_co_u32_e32 v22, vcc, v6, v22
	v_addc_co_u32_e32 v23, vcc, v7, v23, vcc
	global_store_dwordx2 v[22:23], v[66:67], off
	s_or_b64 exec, exec, s[36:37]
	s_and_saveexec_b64 s[36:37], s[4:5]
	s_cbranch_execz .LBB2211_258
.LBB2211_317:
	v_sub_u32_e32 v22, v14, v10
	v_mov_b32_e32 v23, 0
	v_lshlrev_b64 v[22:23], 3, v[22:23]
	v_add_co_u32_e32 v22, vcc, v6, v22
	v_addc_co_u32_e32 v23, vcc, v7, v23, vcc
	global_store_dwordx2 v[22:23], v[68:69], off
	s_or_b64 exec, exec, s[36:37]
	s_and_saveexec_b64 s[36:37], s[2:3]
	s_cbranch_execnz .LBB2211_259
	s_branch .LBB2211_260
.LBB2211_318:
	v_sub_u32_e32 v11, v90, v10
	v_lshlrev_b32_e32 v11, 3, v11
	ds_write_b64 v11, v[70:71]
	s_or_b64 exec, exec, s[36:37]
	s_and_saveexec_b64 s[28:29], s[26:27]
	s_cbranch_execz .LBB2211_264
.LBB2211_319:
	v_sub_u32_e32 v11, v31, v10
	v_lshlrev_b32_e32 v11, 3, v11
	ds_write_b64 v11, v[46:47]
	s_or_b64 exec, exec, s[28:29]
	s_and_saveexec_b64 s[26:27], s[24:25]
	s_cbranch_execz .LBB2211_265
.LBB2211_320:
	v_sub_u32_e32 v11, v30, v10
	v_lshlrev_b32_e32 v11, 3, v11
	ds_write_b64 v11, v[48:49]
	s_or_b64 exec, exec, s[26:27]
	s_and_saveexec_b64 s[24:25], s[22:23]
	s_cbranch_execz .LBB2211_266
.LBB2211_321:
	v_sub_u32_e32 v11, v29, v10
	v_lshlrev_b32_e32 v11, 3, v11
	ds_write_b64 v11, v[50:51]
	s_or_b64 exec, exec, s[24:25]
	s_and_saveexec_b64 s[22:23], s[20:21]
	s_cbranch_execz .LBB2211_267
.LBB2211_322:
	v_sub_u32_e32 v11, v28, v10
	v_lshlrev_b32_e32 v11, 3, v11
	ds_write_b64 v11, v[52:53]
	s_or_b64 exec, exec, s[22:23]
	s_and_saveexec_b64 s[20:21], s[18:19]
	s_cbranch_execz .LBB2211_268
.LBB2211_323:
	v_sub_u32_e32 v11, v21, v10
	v_lshlrev_b32_e32 v11, 3, v11
	ds_write_b64 v11, v[54:55]
	s_or_b64 exec, exec, s[20:21]
	s_and_saveexec_b64 s[18:19], s[16:17]
	s_cbranch_execz .LBB2211_269
.LBB2211_324:
	v_sub_u32_e32 v11, v20, v10
	v_lshlrev_b32_e32 v11, 3, v11
	ds_write_b64 v11, v[56:57]
	s_or_b64 exec, exec, s[18:19]
	s_and_saveexec_b64 s[16:17], s[14:15]
	s_cbranch_execz .LBB2211_270
.LBB2211_325:
	v_sub_u32_e32 v11, v19, v10
	v_lshlrev_b32_e32 v11, 3, v11
	ds_write_b64 v11, v[58:59]
	s_or_b64 exec, exec, s[16:17]
	s_and_saveexec_b64 s[14:15], s[12:13]
	s_cbranch_execz .LBB2211_271
.LBB2211_326:
	v_sub_u32_e32 v11, v18, v10
	v_lshlrev_b32_e32 v11, 3, v11
	ds_write_b64 v11, v[60:61]
	s_or_b64 exec, exec, s[14:15]
	s_and_saveexec_b64 s[12:13], s[10:11]
	s_cbranch_execz .LBB2211_272
.LBB2211_327:
	v_sub_u32_e32 v11, v17, v10
	v_lshlrev_b32_e32 v11, 3, v11
	ds_write_b64 v11, v[62:63]
	s_or_b64 exec, exec, s[12:13]
	s_and_saveexec_b64 s[10:11], s[8:9]
	s_cbranch_execz .LBB2211_273
.LBB2211_328:
	v_sub_u32_e32 v11, v16, v10
	v_lshlrev_b32_e32 v11, 3, v11
	ds_write_b64 v11, v[64:65]
	s_or_b64 exec, exec, s[10:11]
	s_and_saveexec_b64 s[8:9], s[6:7]
	s_cbranch_execz .LBB2211_274
.LBB2211_329:
	v_sub_u32_e32 v11, v15, v10
	v_lshlrev_b32_e32 v11, 3, v11
	ds_write_b64 v11, v[66:67]
	s_or_b64 exec, exec, s[8:9]
	s_and_saveexec_b64 s[6:7], s[4:5]
	s_cbranch_execz .LBB2211_275
.LBB2211_330:
	v_sub_u32_e32 v11, v14, v10
	v_lshlrev_b32_e32 v11, 3, v11
	ds_write_b64 v11, v[68:69]
	s_or_b64 exec, exec, s[6:7]
	s_and_saveexec_b64 s[4:5], s[2:3]
	s_cbranch_execnz .LBB2211_276
	s_branch .LBB2211_277
	.section	.rodata,"a",@progbits
	.p2align	6, 0x0
	.amdhsa_kernel _ZN7rocprim17ROCPRIM_400000_NS6detail17trampoline_kernelINS0_14default_configENS1_29reduce_by_key_config_selectorIN3c104HalfElN6thrust23THRUST_200600_302600_NS4plusIlEEEEZZNS1_33reduce_by_key_impl_wrapped_configILNS1_25lookback_scan_determinismE0ES3_SB_PS6_NS8_17constant_iteratorIiNS8_11use_defaultESG_EENS8_10device_ptrIS6_EENSI_IlEEPmSA_NS8_8equal_toIS6_EEEE10hipError_tPvRmT2_T3_mT4_T5_T6_T7_T8_P12ihipStream_tbENKUlT_T0_E_clISt17integral_constantIbLb1EES15_EEDaS10_S11_EUlS10_E_NS1_11comp_targetILNS1_3genE4ELNS1_11target_archE910ELNS1_3gpuE8ELNS1_3repE0EEENS1_30default_config_static_selectorELNS0_4arch9wavefront6targetE1EEEvT1_
		.amdhsa_group_segment_fixed_size 30720
		.amdhsa_private_segment_fixed_size 0
		.amdhsa_kernarg_size 144
		.amdhsa_user_sgpr_count 6
		.amdhsa_user_sgpr_private_segment_buffer 1
		.amdhsa_user_sgpr_dispatch_ptr 0
		.amdhsa_user_sgpr_queue_ptr 0
		.amdhsa_user_sgpr_kernarg_segment_ptr 1
		.amdhsa_user_sgpr_dispatch_id 0
		.amdhsa_user_sgpr_flat_scratch_init 0
		.amdhsa_user_sgpr_kernarg_preload_length 0
		.amdhsa_user_sgpr_kernarg_preload_offset 0
		.amdhsa_user_sgpr_private_segment_size 0
		.amdhsa_uses_dynamic_stack 0
		.amdhsa_system_sgpr_private_segment_wavefront_offset 0
		.amdhsa_system_sgpr_workgroup_id_x 1
		.amdhsa_system_sgpr_workgroup_id_y 0
		.amdhsa_system_sgpr_workgroup_id_z 0
		.amdhsa_system_sgpr_workgroup_info 0
		.amdhsa_system_vgpr_workitem_id 0
		.amdhsa_next_free_vgpr 127
		.amdhsa_next_free_sgpr 66
		.amdhsa_accum_offset 128
		.amdhsa_reserve_vcc 1
		.amdhsa_reserve_flat_scratch 0
		.amdhsa_float_round_mode_32 0
		.amdhsa_float_round_mode_16_64 0
		.amdhsa_float_denorm_mode_32 3
		.amdhsa_float_denorm_mode_16_64 3
		.amdhsa_dx10_clamp 1
		.amdhsa_ieee_mode 1
		.amdhsa_fp16_overflow 0
		.amdhsa_tg_split 0
		.amdhsa_exception_fp_ieee_invalid_op 0
		.amdhsa_exception_fp_denorm_src 0
		.amdhsa_exception_fp_ieee_div_zero 0
		.amdhsa_exception_fp_ieee_overflow 0
		.amdhsa_exception_fp_ieee_underflow 0
		.amdhsa_exception_fp_ieee_inexact 0
		.amdhsa_exception_int_div_zero 0
	.end_amdhsa_kernel
	.section	.text._ZN7rocprim17ROCPRIM_400000_NS6detail17trampoline_kernelINS0_14default_configENS1_29reduce_by_key_config_selectorIN3c104HalfElN6thrust23THRUST_200600_302600_NS4plusIlEEEEZZNS1_33reduce_by_key_impl_wrapped_configILNS1_25lookback_scan_determinismE0ES3_SB_PS6_NS8_17constant_iteratorIiNS8_11use_defaultESG_EENS8_10device_ptrIS6_EENSI_IlEEPmSA_NS8_8equal_toIS6_EEEE10hipError_tPvRmT2_T3_mT4_T5_T6_T7_T8_P12ihipStream_tbENKUlT_T0_E_clISt17integral_constantIbLb1EES15_EEDaS10_S11_EUlS10_E_NS1_11comp_targetILNS1_3genE4ELNS1_11target_archE910ELNS1_3gpuE8ELNS1_3repE0EEENS1_30default_config_static_selectorELNS0_4arch9wavefront6targetE1EEEvT1_,"axG",@progbits,_ZN7rocprim17ROCPRIM_400000_NS6detail17trampoline_kernelINS0_14default_configENS1_29reduce_by_key_config_selectorIN3c104HalfElN6thrust23THRUST_200600_302600_NS4plusIlEEEEZZNS1_33reduce_by_key_impl_wrapped_configILNS1_25lookback_scan_determinismE0ES3_SB_PS6_NS8_17constant_iteratorIiNS8_11use_defaultESG_EENS8_10device_ptrIS6_EENSI_IlEEPmSA_NS8_8equal_toIS6_EEEE10hipError_tPvRmT2_T3_mT4_T5_T6_T7_T8_P12ihipStream_tbENKUlT_T0_E_clISt17integral_constantIbLb1EES15_EEDaS10_S11_EUlS10_E_NS1_11comp_targetILNS1_3genE4ELNS1_11target_archE910ELNS1_3gpuE8ELNS1_3repE0EEENS1_30default_config_static_selectorELNS0_4arch9wavefront6targetE1EEEvT1_,comdat
.Lfunc_end2211:
	.size	_ZN7rocprim17ROCPRIM_400000_NS6detail17trampoline_kernelINS0_14default_configENS1_29reduce_by_key_config_selectorIN3c104HalfElN6thrust23THRUST_200600_302600_NS4plusIlEEEEZZNS1_33reduce_by_key_impl_wrapped_configILNS1_25lookback_scan_determinismE0ES3_SB_PS6_NS8_17constant_iteratorIiNS8_11use_defaultESG_EENS8_10device_ptrIS6_EENSI_IlEEPmSA_NS8_8equal_toIS6_EEEE10hipError_tPvRmT2_T3_mT4_T5_T6_T7_T8_P12ihipStream_tbENKUlT_T0_E_clISt17integral_constantIbLb1EES15_EEDaS10_S11_EUlS10_E_NS1_11comp_targetILNS1_3genE4ELNS1_11target_archE910ELNS1_3gpuE8ELNS1_3repE0EEENS1_30default_config_static_selectorELNS0_4arch9wavefront6targetE1EEEvT1_, .Lfunc_end2211-_ZN7rocprim17ROCPRIM_400000_NS6detail17trampoline_kernelINS0_14default_configENS1_29reduce_by_key_config_selectorIN3c104HalfElN6thrust23THRUST_200600_302600_NS4plusIlEEEEZZNS1_33reduce_by_key_impl_wrapped_configILNS1_25lookback_scan_determinismE0ES3_SB_PS6_NS8_17constant_iteratorIiNS8_11use_defaultESG_EENS8_10device_ptrIS6_EENSI_IlEEPmSA_NS8_8equal_toIS6_EEEE10hipError_tPvRmT2_T3_mT4_T5_T6_T7_T8_P12ihipStream_tbENKUlT_T0_E_clISt17integral_constantIbLb1EES15_EEDaS10_S11_EUlS10_E_NS1_11comp_targetILNS1_3genE4ELNS1_11target_archE910ELNS1_3gpuE8ELNS1_3repE0EEENS1_30default_config_static_selectorELNS0_4arch9wavefront6targetE1EEEvT1_
                                        ; -- End function
	.section	.AMDGPU.csdata,"",@progbits
; Kernel info:
; codeLenInByte = 17488
; NumSgprs: 70
; NumVgprs: 127
; NumAgprs: 0
; TotalNumVgprs: 127
; ScratchSize: 0
; MemoryBound: 0
; FloatMode: 240
; IeeeMode: 1
; LDSByteSize: 30720 bytes/workgroup (compile time only)
; SGPRBlocks: 8
; VGPRBlocks: 15
; NumSGPRsForWavesPerEU: 70
; NumVGPRsForWavesPerEU: 127
; AccumOffset: 128
; Occupancy: 2
; WaveLimiterHint : 1
; COMPUTE_PGM_RSRC2:SCRATCH_EN: 0
; COMPUTE_PGM_RSRC2:USER_SGPR: 6
; COMPUTE_PGM_RSRC2:TRAP_HANDLER: 0
; COMPUTE_PGM_RSRC2:TGID_X_EN: 1
; COMPUTE_PGM_RSRC2:TGID_Y_EN: 0
; COMPUTE_PGM_RSRC2:TGID_Z_EN: 0
; COMPUTE_PGM_RSRC2:TIDIG_COMP_CNT: 0
; COMPUTE_PGM_RSRC3_GFX90A:ACCUM_OFFSET: 31
; COMPUTE_PGM_RSRC3_GFX90A:TG_SPLIT: 0
	.section	.text._ZN7rocprim17ROCPRIM_400000_NS6detail17trampoline_kernelINS0_14default_configENS1_29reduce_by_key_config_selectorIN3c104HalfElN6thrust23THRUST_200600_302600_NS4plusIlEEEEZZNS1_33reduce_by_key_impl_wrapped_configILNS1_25lookback_scan_determinismE0ES3_SB_PS6_NS8_17constant_iteratorIiNS8_11use_defaultESG_EENS8_10device_ptrIS6_EENSI_IlEEPmSA_NS8_8equal_toIS6_EEEE10hipError_tPvRmT2_T3_mT4_T5_T6_T7_T8_P12ihipStream_tbENKUlT_T0_E_clISt17integral_constantIbLb1EES15_EEDaS10_S11_EUlS10_E_NS1_11comp_targetILNS1_3genE3ELNS1_11target_archE908ELNS1_3gpuE7ELNS1_3repE0EEENS1_30default_config_static_selectorELNS0_4arch9wavefront6targetE1EEEvT1_,"axG",@progbits,_ZN7rocprim17ROCPRIM_400000_NS6detail17trampoline_kernelINS0_14default_configENS1_29reduce_by_key_config_selectorIN3c104HalfElN6thrust23THRUST_200600_302600_NS4plusIlEEEEZZNS1_33reduce_by_key_impl_wrapped_configILNS1_25lookback_scan_determinismE0ES3_SB_PS6_NS8_17constant_iteratorIiNS8_11use_defaultESG_EENS8_10device_ptrIS6_EENSI_IlEEPmSA_NS8_8equal_toIS6_EEEE10hipError_tPvRmT2_T3_mT4_T5_T6_T7_T8_P12ihipStream_tbENKUlT_T0_E_clISt17integral_constantIbLb1EES15_EEDaS10_S11_EUlS10_E_NS1_11comp_targetILNS1_3genE3ELNS1_11target_archE908ELNS1_3gpuE7ELNS1_3repE0EEENS1_30default_config_static_selectorELNS0_4arch9wavefront6targetE1EEEvT1_,comdat
	.protected	_ZN7rocprim17ROCPRIM_400000_NS6detail17trampoline_kernelINS0_14default_configENS1_29reduce_by_key_config_selectorIN3c104HalfElN6thrust23THRUST_200600_302600_NS4plusIlEEEEZZNS1_33reduce_by_key_impl_wrapped_configILNS1_25lookback_scan_determinismE0ES3_SB_PS6_NS8_17constant_iteratorIiNS8_11use_defaultESG_EENS8_10device_ptrIS6_EENSI_IlEEPmSA_NS8_8equal_toIS6_EEEE10hipError_tPvRmT2_T3_mT4_T5_T6_T7_T8_P12ihipStream_tbENKUlT_T0_E_clISt17integral_constantIbLb1EES15_EEDaS10_S11_EUlS10_E_NS1_11comp_targetILNS1_3genE3ELNS1_11target_archE908ELNS1_3gpuE7ELNS1_3repE0EEENS1_30default_config_static_selectorELNS0_4arch9wavefront6targetE1EEEvT1_ ; -- Begin function _ZN7rocprim17ROCPRIM_400000_NS6detail17trampoline_kernelINS0_14default_configENS1_29reduce_by_key_config_selectorIN3c104HalfElN6thrust23THRUST_200600_302600_NS4plusIlEEEEZZNS1_33reduce_by_key_impl_wrapped_configILNS1_25lookback_scan_determinismE0ES3_SB_PS6_NS8_17constant_iteratorIiNS8_11use_defaultESG_EENS8_10device_ptrIS6_EENSI_IlEEPmSA_NS8_8equal_toIS6_EEEE10hipError_tPvRmT2_T3_mT4_T5_T6_T7_T8_P12ihipStream_tbENKUlT_T0_E_clISt17integral_constantIbLb1EES15_EEDaS10_S11_EUlS10_E_NS1_11comp_targetILNS1_3genE3ELNS1_11target_archE908ELNS1_3gpuE7ELNS1_3repE0EEENS1_30default_config_static_selectorELNS0_4arch9wavefront6targetE1EEEvT1_
	.globl	_ZN7rocprim17ROCPRIM_400000_NS6detail17trampoline_kernelINS0_14default_configENS1_29reduce_by_key_config_selectorIN3c104HalfElN6thrust23THRUST_200600_302600_NS4plusIlEEEEZZNS1_33reduce_by_key_impl_wrapped_configILNS1_25lookback_scan_determinismE0ES3_SB_PS6_NS8_17constant_iteratorIiNS8_11use_defaultESG_EENS8_10device_ptrIS6_EENSI_IlEEPmSA_NS8_8equal_toIS6_EEEE10hipError_tPvRmT2_T3_mT4_T5_T6_T7_T8_P12ihipStream_tbENKUlT_T0_E_clISt17integral_constantIbLb1EES15_EEDaS10_S11_EUlS10_E_NS1_11comp_targetILNS1_3genE3ELNS1_11target_archE908ELNS1_3gpuE7ELNS1_3repE0EEENS1_30default_config_static_selectorELNS0_4arch9wavefront6targetE1EEEvT1_
	.p2align	8
	.type	_ZN7rocprim17ROCPRIM_400000_NS6detail17trampoline_kernelINS0_14default_configENS1_29reduce_by_key_config_selectorIN3c104HalfElN6thrust23THRUST_200600_302600_NS4plusIlEEEEZZNS1_33reduce_by_key_impl_wrapped_configILNS1_25lookback_scan_determinismE0ES3_SB_PS6_NS8_17constant_iteratorIiNS8_11use_defaultESG_EENS8_10device_ptrIS6_EENSI_IlEEPmSA_NS8_8equal_toIS6_EEEE10hipError_tPvRmT2_T3_mT4_T5_T6_T7_T8_P12ihipStream_tbENKUlT_T0_E_clISt17integral_constantIbLb1EES15_EEDaS10_S11_EUlS10_E_NS1_11comp_targetILNS1_3genE3ELNS1_11target_archE908ELNS1_3gpuE7ELNS1_3repE0EEENS1_30default_config_static_selectorELNS0_4arch9wavefront6targetE1EEEvT1_,@function
_ZN7rocprim17ROCPRIM_400000_NS6detail17trampoline_kernelINS0_14default_configENS1_29reduce_by_key_config_selectorIN3c104HalfElN6thrust23THRUST_200600_302600_NS4plusIlEEEEZZNS1_33reduce_by_key_impl_wrapped_configILNS1_25lookback_scan_determinismE0ES3_SB_PS6_NS8_17constant_iteratorIiNS8_11use_defaultESG_EENS8_10device_ptrIS6_EENSI_IlEEPmSA_NS8_8equal_toIS6_EEEE10hipError_tPvRmT2_T3_mT4_T5_T6_T7_T8_P12ihipStream_tbENKUlT_T0_E_clISt17integral_constantIbLb1EES15_EEDaS10_S11_EUlS10_E_NS1_11comp_targetILNS1_3genE3ELNS1_11target_archE908ELNS1_3gpuE7ELNS1_3repE0EEENS1_30default_config_static_selectorELNS0_4arch9wavefront6targetE1EEEvT1_: ; @_ZN7rocprim17ROCPRIM_400000_NS6detail17trampoline_kernelINS0_14default_configENS1_29reduce_by_key_config_selectorIN3c104HalfElN6thrust23THRUST_200600_302600_NS4plusIlEEEEZZNS1_33reduce_by_key_impl_wrapped_configILNS1_25lookback_scan_determinismE0ES3_SB_PS6_NS8_17constant_iteratorIiNS8_11use_defaultESG_EENS8_10device_ptrIS6_EENSI_IlEEPmSA_NS8_8equal_toIS6_EEEE10hipError_tPvRmT2_T3_mT4_T5_T6_T7_T8_P12ihipStream_tbENKUlT_T0_E_clISt17integral_constantIbLb1EES15_EEDaS10_S11_EUlS10_E_NS1_11comp_targetILNS1_3genE3ELNS1_11target_archE908ELNS1_3gpuE7ELNS1_3repE0EEENS1_30default_config_static_selectorELNS0_4arch9wavefront6targetE1EEEvT1_
; %bb.0:
	.section	.rodata,"a",@progbits
	.p2align	6, 0x0
	.amdhsa_kernel _ZN7rocprim17ROCPRIM_400000_NS6detail17trampoline_kernelINS0_14default_configENS1_29reduce_by_key_config_selectorIN3c104HalfElN6thrust23THRUST_200600_302600_NS4plusIlEEEEZZNS1_33reduce_by_key_impl_wrapped_configILNS1_25lookback_scan_determinismE0ES3_SB_PS6_NS8_17constant_iteratorIiNS8_11use_defaultESG_EENS8_10device_ptrIS6_EENSI_IlEEPmSA_NS8_8equal_toIS6_EEEE10hipError_tPvRmT2_T3_mT4_T5_T6_T7_T8_P12ihipStream_tbENKUlT_T0_E_clISt17integral_constantIbLb1EES15_EEDaS10_S11_EUlS10_E_NS1_11comp_targetILNS1_3genE3ELNS1_11target_archE908ELNS1_3gpuE7ELNS1_3repE0EEENS1_30default_config_static_selectorELNS0_4arch9wavefront6targetE1EEEvT1_
		.amdhsa_group_segment_fixed_size 0
		.amdhsa_private_segment_fixed_size 0
		.amdhsa_kernarg_size 144
		.amdhsa_user_sgpr_count 6
		.amdhsa_user_sgpr_private_segment_buffer 1
		.amdhsa_user_sgpr_dispatch_ptr 0
		.amdhsa_user_sgpr_queue_ptr 0
		.amdhsa_user_sgpr_kernarg_segment_ptr 1
		.amdhsa_user_sgpr_dispatch_id 0
		.amdhsa_user_sgpr_flat_scratch_init 0
		.amdhsa_user_sgpr_kernarg_preload_length 0
		.amdhsa_user_sgpr_kernarg_preload_offset 0
		.amdhsa_user_sgpr_private_segment_size 0
		.amdhsa_uses_dynamic_stack 0
		.amdhsa_system_sgpr_private_segment_wavefront_offset 0
		.amdhsa_system_sgpr_workgroup_id_x 1
		.amdhsa_system_sgpr_workgroup_id_y 0
		.amdhsa_system_sgpr_workgroup_id_z 0
		.amdhsa_system_sgpr_workgroup_info 0
		.amdhsa_system_vgpr_workitem_id 0
		.amdhsa_next_free_vgpr 1
		.amdhsa_next_free_sgpr 0
		.amdhsa_accum_offset 4
		.amdhsa_reserve_vcc 0
		.amdhsa_reserve_flat_scratch 0
		.amdhsa_float_round_mode_32 0
		.amdhsa_float_round_mode_16_64 0
		.amdhsa_float_denorm_mode_32 3
		.amdhsa_float_denorm_mode_16_64 3
		.amdhsa_dx10_clamp 1
		.amdhsa_ieee_mode 1
		.amdhsa_fp16_overflow 0
		.amdhsa_tg_split 0
		.amdhsa_exception_fp_ieee_invalid_op 0
		.amdhsa_exception_fp_denorm_src 0
		.amdhsa_exception_fp_ieee_div_zero 0
		.amdhsa_exception_fp_ieee_overflow 0
		.amdhsa_exception_fp_ieee_underflow 0
		.amdhsa_exception_fp_ieee_inexact 0
		.amdhsa_exception_int_div_zero 0
	.end_amdhsa_kernel
	.section	.text._ZN7rocprim17ROCPRIM_400000_NS6detail17trampoline_kernelINS0_14default_configENS1_29reduce_by_key_config_selectorIN3c104HalfElN6thrust23THRUST_200600_302600_NS4plusIlEEEEZZNS1_33reduce_by_key_impl_wrapped_configILNS1_25lookback_scan_determinismE0ES3_SB_PS6_NS8_17constant_iteratorIiNS8_11use_defaultESG_EENS8_10device_ptrIS6_EENSI_IlEEPmSA_NS8_8equal_toIS6_EEEE10hipError_tPvRmT2_T3_mT4_T5_T6_T7_T8_P12ihipStream_tbENKUlT_T0_E_clISt17integral_constantIbLb1EES15_EEDaS10_S11_EUlS10_E_NS1_11comp_targetILNS1_3genE3ELNS1_11target_archE908ELNS1_3gpuE7ELNS1_3repE0EEENS1_30default_config_static_selectorELNS0_4arch9wavefront6targetE1EEEvT1_,"axG",@progbits,_ZN7rocprim17ROCPRIM_400000_NS6detail17trampoline_kernelINS0_14default_configENS1_29reduce_by_key_config_selectorIN3c104HalfElN6thrust23THRUST_200600_302600_NS4plusIlEEEEZZNS1_33reduce_by_key_impl_wrapped_configILNS1_25lookback_scan_determinismE0ES3_SB_PS6_NS8_17constant_iteratorIiNS8_11use_defaultESG_EENS8_10device_ptrIS6_EENSI_IlEEPmSA_NS8_8equal_toIS6_EEEE10hipError_tPvRmT2_T3_mT4_T5_T6_T7_T8_P12ihipStream_tbENKUlT_T0_E_clISt17integral_constantIbLb1EES15_EEDaS10_S11_EUlS10_E_NS1_11comp_targetILNS1_3genE3ELNS1_11target_archE908ELNS1_3gpuE7ELNS1_3repE0EEENS1_30default_config_static_selectorELNS0_4arch9wavefront6targetE1EEEvT1_,comdat
.Lfunc_end2212:
	.size	_ZN7rocprim17ROCPRIM_400000_NS6detail17trampoline_kernelINS0_14default_configENS1_29reduce_by_key_config_selectorIN3c104HalfElN6thrust23THRUST_200600_302600_NS4plusIlEEEEZZNS1_33reduce_by_key_impl_wrapped_configILNS1_25lookback_scan_determinismE0ES3_SB_PS6_NS8_17constant_iteratorIiNS8_11use_defaultESG_EENS8_10device_ptrIS6_EENSI_IlEEPmSA_NS8_8equal_toIS6_EEEE10hipError_tPvRmT2_T3_mT4_T5_T6_T7_T8_P12ihipStream_tbENKUlT_T0_E_clISt17integral_constantIbLb1EES15_EEDaS10_S11_EUlS10_E_NS1_11comp_targetILNS1_3genE3ELNS1_11target_archE908ELNS1_3gpuE7ELNS1_3repE0EEENS1_30default_config_static_selectorELNS0_4arch9wavefront6targetE1EEEvT1_, .Lfunc_end2212-_ZN7rocprim17ROCPRIM_400000_NS6detail17trampoline_kernelINS0_14default_configENS1_29reduce_by_key_config_selectorIN3c104HalfElN6thrust23THRUST_200600_302600_NS4plusIlEEEEZZNS1_33reduce_by_key_impl_wrapped_configILNS1_25lookback_scan_determinismE0ES3_SB_PS6_NS8_17constant_iteratorIiNS8_11use_defaultESG_EENS8_10device_ptrIS6_EENSI_IlEEPmSA_NS8_8equal_toIS6_EEEE10hipError_tPvRmT2_T3_mT4_T5_T6_T7_T8_P12ihipStream_tbENKUlT_T0_E_clISt17integral_constantIbLb1EES15_EEDaS10_S11_EUlS10_E_NS1_11comp_targetILNS1_3genE3ELNS1_11target_archE908ELNS1_3gpuE7ELNS1_3repE0EEENS1_30default_config_static_selectorELNS0_4arch9wavefront6targetE1EEEvT1_
                                        ; -- End function
	.section	.AMDGPU.csdata,"",@progbits
; Kernel info:
; codeLenInByte = 0
; NumSgprs: 4
; NumVgprs: 0
; NumAgprs: 0
; TotalNumVgprs: 0
; ScratchSize: 0
; MemoryBound: 0
; FloatMode: 240
; IeeeMode: 1
; LDSByteSize: 0 bytes/workgroup (compile time only)
; SGPRBlocks: 0
; VGPRBlocks: 0
; NumSGPRsForWavesPerEU: 4
; NumVGPRsForWavesPerEU: 1
; AccumOffset: 4
; Occupancy: 8
; WaveLimiterHint : 0
; COMPUTE_PGM_RSRC2:SCRATCH_EN: 0
; COMPUTE_PGM_RSRC2:USER_SGPR: 6
; COMPUTE_PGM_RSRC2:TRAP_HANDLER: 0
; COMPUTE_PGM_RSRC2:TGID_X_EN: 1
; COMPUTE_PGM_RSRC2:TGID_Y_EN: 0
; COMPUTE_PGM_RSRC2:TGID_Z_EN: 0
; COMPUTE_PGM_RSRC2:TIDIG_COMP_CNT: 0
; COMPUTE_PGM_RSRC3_GFX90A:ACCUM_OFFSET: 0
; COMPUTE_PGM_RSRC3_GFX90A:TG_SPLIT: 0
	.section	.text._ZN7rocprim17ROCPRIM_400000_NS6detail17trampoline_kernelINS0_14default_configENS1_29reduce_by_key_config_selectorIN3c104HalfElN6thrust23THRUST_200600_302600_NS4plusIlEEEEZZNS1_33reduce_by_key_impl_wrapped_configILNS1_25lookback_scan_determinismE0ES3_SB_PS6_NS8_17constant_iteratorIiNS8_11use_defaultESG_EENS8_10device_ptrIS6_EENSI_IlEEPmSA_NS8_8equal_toIS6_EEEE10hipError_tPvRmT2_T3_mT4_T5_T6_T7_T8_P12ihipStream_tbENKUlT_T0_E_clISt17integral_constantIbLb1EES15_EEDaS10_S11_EUlS10_E_NS1_11comp_targetILNS1_3genE2ELNS1_11target_archE906ELNS1_3gpuE6ELNS1_3repE0EEENS1_30default_config_static_selectorELNS0_4arch9wavefront6targetE1EEEvT1_,"axG",@progbits,_ZN7rocprim17ROCPRIM_400000_NS6detail17trampoline_kernelINS0_14default_configENS1_29reduce_by_key_config_selectorIN3c104HalfElN6thrust23THRUST_200600_302600_NS4plusIlEEEEZZNS1_33reduce_by_key_impl_wrapped_configILNS1_25lookback_scan_determinismE0ES3_SB_PS6_NS8_17constant_iteratorIiNS8_11use_defaultESG_EENS8_10device_ptrIS6_EENSI_IlEEPmSA_NS8_8equal_toIS6_EEEE10hipError_tPvRmT2_T3_mT4_T5_T6_T7_T8_P12ihipStream_tbENKUlT_T0_E_clISt17integral_constantIbLb1EES15_EEDaS10_S11_EUlS10_E_NS1_11comp_targetILNS1_3genE2ELNS1_11target_archE906ELNS1_3gpuE6ELNS1_3repE0EEENS1_30default_config_static_selectorELNS0_4arch9wavefront6targetE1EEEvT1_,comdat
	.protected	_ZN7rocprim17ROCPRIM_400000_NS6detail17trampoline_kernelINS0_14default_configENS1_29reduce_by_key_config_selectorIN3c104HalfElN6thrust23THRUST_200600_302600_NS4plusIlEEEEZZNS1_33reduce_by_key_impl_wrapped_configILNS1_25lookback_scan_determinismE0ES3_SB_PS6_NS8_17constant_iteratorIiNS8_11use_defaultESG_EENS8_10device_ptrIS6_EENSI_IlEEPmSA_NS8_8equal_toIS6_EEEE10hipError_tPvRmT2_T3_mT4_T5_T6_T7_T8_P12ihipStream_tbENKUlT_T0_E_clISt17integral_constantIbLb1EES15_EEDaS10_S11_EUlS10_E_NS1_11comp_targetILNS1_3genE2ELNS1_11target_archE906ELNS1_3gpuE6ELNS1_3repE0EEENS1_30default_config_static_selectorELNS0_4arch9wavefront6targetE1EEEvT1_ ; -- Begin function _ZN7rocprim17ROCPRIM_400000_NS6detail17trampoline_kernelINS0_14default_configENS1_29reduce_by_key_config_selectorIN3c104HalfElN6thrust23THRUST_200600_302600_NS4plusIlEEEEZZNS1_33reduce_by_key_impl_wrapped_configILNS1_25lookback_scan_determinismE0ES3_SB_PS6_NS8_17constant_iteratorIiNS8_11use_defaultESG_EENS8_10device_ptrIS6_EENSI_IlEEPmSA_NS8_8equal_toIS6_EEEE10hipError_tPvRmT2_T3_mT4_T5_T6_T7_T8_P12ihipStream_tbENKUlT_T0_E_clISt17integral_constantIbLb1EES15_EEDaS10_S11_EUlS10_E_NS1_11comp_targetILNS1_3genE2ELNS1_11target_archE906ELNS1_3gpuE6ELNS1_3repE0EEENS1_30default_config_static_selectorELNS0_4arch9wavefront6targetE1EEEvT1_
	.globl	_ZN7rocprim17ROCPRIM_400000_NS6detail17trampoline_kernelINS0_14default_configENS1_29reduce_by_key_config_selectorIN3c104HalfElN6thrust23THRUST_200600_302600_NS4plusIlEEEEZZNS1_33reduce_by_key_impl_wrapped_configILNS1_25lookback_scan_determinismE0ES3_SB_PS6_NS8_17constant_iteratorIiNS8_11use_defaultESG_EENS8_10device_ptrIS6_EENSI_IlEEPmSA_NS8_8equal_toIS6_EEEE10hipError_tPvRmT2_T3_mT4_T5_T6_T7_T8_P12ihipStream_tbENKUlT_T0_E_clISt17integral_constantIbLb1EES15_EEDaS10_S11_EUlS10_E_NS1_11comp_targetILNS1_3genE2ELNS1_11target_archE906ELNS1_3gpuE6ELNS1_3repE0EEENS1_30default_config_static_selectorELNS0_4arch9wavefront6targetE1EEEvT1_
	.p2align	8
	.type	_ZN7rocprim17ROCPRIM_400000_NS6detail17trampoline_kernelINS0_14default_configENS1_29reduce_by_key_config_selectorIN3c104HalfElN6thrust23THRUST_200600_302600_NS4plusIlEEEEZZNS1_33reduce_by_key_impl_wrapped_configILNS1_25lookback_scan_determinismE0ES3_SB_PS6_NS8_17constant_iteratorIiNS8_11use_defaultESG_EENS8_10device_ptrIS6_EENSI_IlEEPmSA_NS8_8equal_toIS6_EEEE10hipError_tPvRmT2_T3_mT4_T5_T6_T7_T8_P12ihipStream_tbENKUlT_T0_E_clISt17integral_constantIbLb1EES15_EEDaS10_S11_EUlS10_E_NS1_11comp_targetILNS1_3genE2ELNS1_11target_archE906ELNS1_3gpuE6ELNS1_3repE0EEENS1_30default_config_static_selectorELNS0_4arch9wavefront6targetE1EEEvT1_,@function
_ZN7rocprim17ROCPRIM_400000_NS6detail17trampoline_kernelINS0_14default_configENS1_29reduce_by_key_config_selectorIN3c104HalfElN6thrust23THRUST_200600_302600_NS4plusIlEEEEZZNS1_33reduce_by_key_impl_wrapped_configILNS1_25lookback_scan_determinismE0ES3_SB_PS6_NS8_17constant_iteratorIiNS8_11use_defaultESG_EENS8_10device_ptrIS6_EENSI_IlEEPmSA_NS8_8equal_toIS6_EEEE10hipError_tPvRmT2_T3_mT4_T5_T6_T7_T8_P12ihipStream_tbENKUlT_T0_E_clISt17integral_constantIbLb1EES15_EEDaS10_S11_EUlS10_E_NS1_11comp_targetILNS1_3genE2ELNS1_11target_archE906ELNS1_3gpuE6ELNS1_3repE0EEENS1_30default_config_static_selectorELNS0_4arch9wavefront6targetE1EEEvT1_: ; @_ZN7rocprim17ROCPRIM_400000_NS6detail17trampoline_kernelINS0_14default_configENS1_29reduce_by_key_config_selectorIN3c104HalfElN6thrust23THRUST_200600_302600_NS4plusIlEEEEZZNS1_33reduce_by_key_impl_wrapped_configILNS1_25lookback_scan_determinismE0ES3_SB_PS6_NS8_17constant_iteratorIiNS8_11use_defaultESG_EENS8_10device_ptrIS6_EENSI_IlEEPmSA_NS8_8equal_toIS6_EEEE10hipError_tPvRmT2_T3_mT4_T5_T6_T7_T8_P12ihipStream_tbENKUlT_T0_E_clISt17integral_constantIbLb1EES15_EEDaS10_S11_EUlS10_E_NS1_11comp_targetILNS1_3genE2ELNS1_11target_archE906ELNS1_3gpuE6ELNS1_3repE0EEENS1_30default_config_static_selectorELNS0_4arch9wavefront6targetE1EEEvT1_
; %bb.0:
	.section	.rodata,"a",@progbits
	.p2align	6, 0x0
	.amdhsa_kernel _ZN7rocprim17ROCPRIM_400000_NS6detail17trampoline_kernelINS0_14default_configENS1_29reduce_by_key_config_selectorIN3c104HalfElN6thrust23THRUST_200600_302600_NS4plusIlEEEEZZNS1_33reduce_by_key_impl_wrapped_configILNS1_25lookback_scan_determinismE0ES3_SB_PS6_NS8_17constant_iteratorIiNS8_11use_defaultESG_EENS8_10device_ptrIS6_EENSI_IlEEPmSA_NS8_8equal_toIS6_EEEE10hipError_tPvRmT2_T3_mT4_T5_T6_T7_T8_P12ihipStream_tbENKUlT_T0_E_clISt17integral_constantIbLb1EES15_EEDaS10_S11_EUlS10_E_NS1_11comp_targetILNS1_3genE2ELNS1_11target_archE906ELNS1_3gpuE6ELNS1_3repE0EEENS1_30default_config_static_selectorELNS0_4arch9wavefront6targetE1EEEvT1_
		.amdhsa_group_segment_fixed_size 0
		.amdhsa_private_segment_fixed_size 0
		.amdhsa_kernarg_size 144
		.amdhsa_user_sgpr_count 6
		.amdhsa_user_sgpr_private_segment_buffer 1
		.amdhsa_user_sgpr_dispatch_ptr 0
		.amdhsa_user_sgpr_queue_ptr 0
		.amdhsa_user_sgpr_kernarg_segment_ptr 1
		.amdhsa_user_sgpr_dispatch_id 0
		.amdhsa_user_sgpr_flat_scratch_init 0
		.amdhsa_user_sgpr_kernarg_preload_length 0
		.amdhsa_user_sgpr_kernarg_preload_offset 0
		.amdhsa_user_sgpr_private_segment_size 0
		.amdhsa_uses_dynamic_stack 0
		.amdhsa_system_sgpr_private_segment_wavefront_offset 0
		.amdhsa_system_sgpr_workgroup_id_x 1
		.amdhsa_system_sgpr_workgroup_id_y 0
		.amdhsa_system_sgpr_workgroup_id_z 0
		.amdhsa_system_sgpr_workgroup_info 0
		.amdhsa_system_vgpr_workitem_id 0
		.amdhsa_next_free_vgpr 1
		.amdhsa_next_free_sgpr 0
		.amdhsa_accum_offset 4
		.amdhsa_reserve_vcc 0
		.amdhsa_reserve_flat_scratch 0
		.amdhsa_float_round_mode_32 0
		.amdhsa_float_round_mode_16_64 0
		.amdhsa_float_denorm_mode_32 3
		.amdhsa_float_denorm_mode_16_64 3
		.amdhsa_dx10_clamp 1
		.amdhsa_ieee_mode 1
		.amdhsa_fp16_overflow 0
		.amdhsa_tg_split 0
		.amdhsa_exception_fp_ieee_invalid_op 0
		.amdhsa_exception_fp_denorm_src 0
		.amdhsa_exception_fp_ieee_div_zero 0
		.amdhsa_exception_fp_ieee_overflow 0
		.amdhsa_exception_fp_ieee_underflow 0
		.amdhsa_exception_fp_ieee_inexact 0
		.amdhsa_exception_int_div_zero 0
	.end_amdhsa_kernel
	.section	.text._ZN7rocprim17ROCPRIM_400000_NS6detail17trampoline_kernelINS0_14default_configENS1_29reduce_by_key_config_selectorIN3c104HalfElN6thrust23THRUST_200600_302600_NS4plusIlEEEEZZNS1_33reduce_by_key_impl_wrapped_configILNS1_25lookback_scan_determinismE0ES3_SB_PS6_NS8_17constant_iteratorIiNS8_11use_defaultESG_EENS8_10device_ptrIS6_EENSI_IlEEPmSA_NS8_8equal_toIS6_EEEE10hipError_tPvRmT2_T3_mT4_T5_T6_T7_T8_P12ihipStream_tbENKUlT_T0_E_clISt17integral_constantIbLb1EES15_EEDaS10_S11_EUlS10_E_NS1_11comp_targetILNS1_3genE2ELNS1_11target_archE906ELNS1_3gpuE6ELNS1_3repE0EEENS1_30default_config_static_selectorELNS0_4arch9wavefront6targetE1EEEvT1_,"axG",@progbits,_ZN7rocprim17ROCPRIM_400000_NS6detail17trampoline_kernelINS0_14default_configENS1_29reduce_by_key_config_selectorIN3c104HalfElN6thrust23THRUST_200600_302600_NS4plusIlEEEEZZNS1_33reduce_by_key_impl_wrapped_configILNS1_25lookback_scan_determinismE0ES3_SB_PS6_NS8_17constant_iteratorIiNS8_11use_defaultESG_EENS8_10device_ptrIS6_EENSI_IlEEPmSA_NS8_8equal_toIS6_EEEE10hipError_tPvRmT2_T3_mT4_T5_T6_T7_T8_P12ihipStream_tbENKUlT_T0_E_clISt17integral_constantIbLb1EES15_EEDaS10_S11_EUlS10_E_NS1_11comp_targetILNS1_3genE2ELNS1_11target_archE906ELNS1_3gpuE6ELNS1_3repE0EEENS1_30default_config_static_selectorELNS0_4arch9wavefront6targetE1EEEvT1_,comdat
.Lfunc_end2213:
	.size	_ZN7rocprim17ROCPRIM_400000_NS6detail17trampoline_kernelINS0_14default_configENS1_29reduce_by_key_config_selectorIN3c104HalfElN6thrust23THRUST_200600_302600_NS4plusIlEEEEZZNS1_33reduce_by_key_impl_wrapped_configILNS1_25lookback_scan_determinismE0ES3_SB_PS6_NS8_17constant_iteratorIiNS8_11use_defaultESG_EENS8_10device_ptrIS6_EENSI_IlEEPmSA_NS8_8equal_toIS6_EEEE10hipError_tPvRmT2_T3_mT4_T5_T6_T7_T8_P12ihipStream_tbENKUlT_T0_E_clISt17integral_constantIbLb1EES15_EEDaS10_S11_EUlS10_E_NS1_11comp_targetILNS1_3genE2ELNS1_11target_archE906ELNS1_3gpuE6ELNS1_3repE0EEENS1_30default_config_static_selectorELNS0_4arch9wavefront6targetE1EEEvT1_, .Lfunc_end2213-_ZN7rocprim17ROCPRIM_400000_NS6detail17trampoline_kernelINS0_14default_configENS1_29reduce_by_key_config_selectorIN3c104HalfElN6thrust23THRUST_200600_302600_NS4plusIlEEEEZZNS1_33reduce_by_key_impl_wrapped_configILNS1_25lookback_scan_determinismE0ES3_SB_PS6_NS8_17constant_iteratorIiNS8_11use_defaultESG_EENS8_10device_ptrIS6_EENSI_IlEEPmSA_NS8_8equal_toIS6_EEEE10hipError_tPvRmT2_T3_mT4_T5_T6_T7_T8_P12ihipStream_tbENKUlT_T0_E_clISt17integral_constantIbLb1EES15_EEDaS10_S11_EUlS10_E_NS1_11comp_targetILNS1_3genE2ELNS1_11target_archE906ELNS1_3gpuE6ELNS1_3repE0EEENS1_30default_config_static_selectorELNS0_4arch9wavefront6targetE1EEEvT1_
                                        ; -- End function
	.section	.AMDGPU.csdata,"",@progbits
; Kernel info:
; codeLenInByte = 0
; NumSgprs: 4
; NumVgprs: 0
; NumAgprs: 0
; TotalNumVgprs: 0
; ScratchSize: 0
; MemoryBound: 0
; FloatMode: 240
; IeeeMode: 1
; LDSByteSize: 0 bytes/workgroup (compile time only)
; SGPRBlocks: 0
; VGPRBlocks: 0
; NumSGPRsForWavesPerEU: 4
; NumVGPRsForWavesPerEU: 1
; AccumOffset: 4
; Occupancy: 8
; WaveLimiterHint : 0
; COMPUTE_PGM_RSRC2:SCRATCH_EN: 0
; COMPUTE_PGM_RSRC2:USER_SGPR: 6
; COMPUTE_PGM_RSRC2:TRAP_HANDLER: 0
; COMPUTE_PGM_RSRC2:TGID_X_EN: 1
; COMPUTE_PGM_RSRC2:TGID_Y_EN: 0
; COMPUTE_PGM_RSRC2:TGID_Z_EN: 0
; COMPUTE_PGM_RSRC2:TIDIG_COMP_CNT: 0
; COMPUTE_PGM_RSRC3_GFX90A:ACCUM_OFFSET: 0
; COMPUTE_PGM_RSRC3_GFX90A:TG_SPLIT: 0
	.section	.text._ZN7rocprim17ROCPRIM_400000_NS6detail17trampoline_kernelINS0_14default_configENS1_29reduce_by_key_config_selectorIN3c104HalfElN6thrust23THRUST_200600_302600_NS4plusIlEEEEZZNS1_33reduce_by_key_impl_wrapped_configILNS1_25lookback_scan_determinismE0ES3_SB_PS6_NS8_17constant_iteratorIiNS8_11use_defaultESG_EENS8_10device_ptrIS6_EENSI_IlEEPmSA_NS8_8equal_toIS6_EEEE10hipError_tPvRmT2_T3_mT4_T5_T6_T7_T8_P12ihipStream_tbENKUlT_T0_E_clISt17integral_constantIbLb1EES15_EEDaS10_S11_EUlS10_E_NS1_11comp_targetILNS1_3genE10ELNS1_11target_archE1201ELNS1_3gpuE5ELNS1_3repE0EEENS1_30default_config_static_selectorELNS0_4arch9wavefront6targetE1EEEvT1_,"axG",@progbits,_ZN7rocprim17ROCPRIM_400000_NS6detail17trampoline_kernelINS0_14default_configENS1_29reduce_by_key_config_selectorIN3c104HalfElN6thrust23THRUST_200600_302600_NS4plusIlEEEEZZNS1_33reduce_by_key_impl_wrapped_configILNS1_25lookback_scan_determinismE0ES3_SB_PS6_NS8_17constant_iteratorIiNS8_11use_defaultESG_EENS8_10device_ptrIS6_EENSI_IlEEPmSA_NS8_8equal_toIS6_EEEE10hipError_tPvRmT2_T3_mT4_T5_T6_T7_T8_P12ihipStream_tbENKUlT_T0_E_clISt17integral_constantIbLb1EES15_EEDaS10_S11_EUlS10_E_NS1_11comp_targetILNS1_3genE10ELNS1_11target_archE1201ELNS1_3gpuE5ELNS1_3repE0EEENS1_30default_config_static_selectorELNS0_4arch9wavefront6targetE1EEEvT1_,comdat
	.protected	_ZN7rocprim17ROCPRIM_400000_NS6detail17trampoline_kernelINS0_14default_configENS1_29reduce_by_key_config_selectorIN3c104HalfElN6thrust23THRUST_200600_302600_NS4plusIlEEEEZZNS1_33reduce_by_key_impl_wrapped_configILNS1_25lookback_scan_determinismE0ES3_SB_PS6_NS8_17constant_iteratorIiNS8_11use_defaultESG_EENS8_10device_ptrIS6_EENSI_IlEEPmSA_NS8_8equal_toIS6_EEEE10hipError_tPvRmT2_T3_mT4_T5_T6_T7_T8_P12ihipStream_tbENKUlT_T0_E_clISt17integral_constantIbLb1EES15_EEDaS10_S11_EUlS10_E_NS1_11comp_targetILNS1_3genE10ELNS1_11target_archE1201ELNS1_3gpuE5ELNS1_3repE0EEENS1_30default_config_static_selectorELNS0_4arch9wavefront6targetE1EEEvT1_ ; -- Begin function _ZN7rocprim17ROCPRIM_400000_NS6detail17trampoline_kernelINS0_14default_configENS1_29reduce_by_key_config_selectorIN3c104HalfElN6thrust23THRUST_200600_302600_NS4plusIlEEEEZZNS1_33reduce_by_key_impl_wrapped_configILNS1_25lookback_scan_determinismE0ES3_SB_PS6_NS8_17constant_iteratorIiNS8_11use_defaultESG_EENS8_10device_ptrIS6_EENSI_IlEEPmSA_NS8_8equal_toIS6_EEEE10hipError_tPvRmT2_T3_mT4_T5_T6_T7_T8_P12ihipStream_tbENKUlT_T0_E_clISt17integral_constantIbLb1EES15_EEDaS10_S11_EUlS10_E_NS1_11comp_targetILNS1_3genE10ELNS1_11target_archE1201ELNS1_3gpuE5ELNS1_3repE0EEENS1_30default_config_static_selectorELNS0_4arch9wavefront6targetE1EEEvT1_
	.globl	_ZN7rocprim17ROCPRIM_400000_NS6detail17trampoline_kernelINS0_14default_configENS1_29reduce_by_key_config_selectorIN3c104HalfElN6thrust23THRUST_200600_302600_NS4plusIlEEEEZZNS1_33reduce_by_key_impl_wrapped_configILNS1_25lookback_scan_determinismE0ES3_SB_PS6_NS8_17constant_iteratorIiNS8_11use_defaultESG_EENS8_10device_ptrIS6_EENSI_IlEEPmSA_NS8_8equal_toIS6_EEEE10hipError_tPvRmT2_T3_mT4_T5_T6_T7_T8_P12ihipStream_tbENKUlT_T0_E_clISt17integral_constantIbLb1EES15_EEDaS10_S11_EUlS10_E_NS1_11comp_targetILNS1_3genE10ELNS1_11target_archE1201ELNS1_3gpuE5ELNS1_3repE0EEENS1_30default_config_static_selectorELNS0_4arch9wavefront6targetE1EEEvT1_
	.p2align	8
	.type	_ZN7rocprim17ROCPRIM_400000_NS6detail17trampoline_kernelINS0_14default_configENS1_29reduce_by_key_config_selectorIN3c104HalfElN6thrust23THRUST_200600_302600_NS4plusIlEEEEZZNS1_33reduce_by_key_impl_wrapped_configILNS1_25lookback_scan_determinismE0ES3_SB_PS6_NS8_17constant_iteratorIiNS8_11use_defaultESG_EENS8_10device_ptrIS6_EENSI_IlEEPmSA_NS8_8equal_toIS6_EEEE10hipError_tPvRmT2_T3_mT4_T5_T6_T7_T8_P12ihipStream_tbENKUlT_T0_E_clISt17integral_constantIbLb1EES15_EEDaS10_S11_EUlS10_E_NS1_11comp_targetILNS1_3genE10ELNS1_11target_archE1201ELNS1_3gpuE5ELNS1_3repE0EEENS1_30default_config_static_selectorELNS0_4arch9wavefront6targetE1EEEvT1_,@function
_ZN7rocprim17ROCPRIM_400000_NS6detail17trampoline_kernelINS0_14default_configENS1_29reduce_by_key_config_selectorIN3c104HalfElN6thrust23THRUST_200600_302600_NS4plusIlEEEEZZNS1_33reduce_by_key_impl_wrapped_configILNS1_25lookback_scan_determinismE0ES3_SB_PS6_NS8_17constant_iteratorIiNS8_11use_defaultESG_EENS8_10device_ptrIS6_EENSI_IlEEPmSA_NS8_8equal_toIS6_EEEE10hipError_tPvRmT2_T3_mT4_T5_T6_T7_T8_P12ihipStream_tbENKUlT_T0_E_clISt17integral_constantIbLb1EES15_EEDaS10_S11_EUlS10_E_NS1_11comp_targetILNS1_3genE10ELNS1_11target_archE1201ELNS1_3gpuE5ELNS1_3repE0EEENS1_30default_config_static_selectorELNS0_4arch9wavefront6targetE1EEEvT1_: ; @_ZN7rocprim17ROCPRIM_400000_NS6detail17trampoline_kernelINS0_14default_configENS1_29reduce_by_key_config_selectorIN3c104HalfElN6thrust23THRUST_200600_302600_NS4plusIlEEEEZZNS1_33reduce_by_key_impl_wrapped_configILNS1_25lookback_scan_determinismE0ES3_SB_PS6_NS8_17constant_iteratorIiNS8_11use_defaultESG_EENS8_10device_ptrIS6_EENSI_IlEEPmSA_NS8_8equal_toIS6_EEEE10hipError_tPvRmT2_T3_mT4_T5_T6_T7_T8_P12ihipStream_tbENKUlT_T0_E_clISt17integral_constantIbLb1EES15_EEDaS10_S11_EUlS10_E_NS1_11comp_targetILNS1_3genE10ELNS1_11target_archE1201ELNS1_3gpuE5ELNS1_3repE0EEENS1_30default_config_static_selectorELNS0_4arch9wavefront6targetE1EEEvT1_
; %bb.0:
	.section	.rodata,"a",@progbits
	.p2align	6, 0x0
	.amdhsa_kernel _ZN7rocprim17ROCPRIM_400000_NS6detail17trampoline_kernelINS0_14default_configENS1_29reduce_by_key_config_selectorIN3c104HalfElN6thrust23THRUST_200600_302600_NS4plusIlEEEEZZNS1_33reduce_by_key_impl_wrapped_configILNS1_25lookback_scan_determinismE0ES3_SB_PS6_NS8_17constant_iteratorIiNS8_11use_defaultESG_EENS8_10device_ptrIS6_EENSI_IlEEPmSA_NS8_8equal_toIS6_EEEE10hipError_tPvRmT2_T3_mT4_T5_T6_T7_T8_P12ihipStream_tbENKUlT_T0_E_clISt17integral_constantIbLb1EES15_EEDaS10_S11_EUlS10_E_NS1_11comp_targetILNS1_3genE10ELNS1_11target_archE1201ELNS1_3gpuE5ELNS1_3repE0EEENS1_30default_config_static_selectorELNS0_4arch9wavefront6targetE1EEEvT1_
		.amdhsa_group_segment_fixed_size 0
		.amdhsa_private_segment_fixed_size 0
		.amdhsa_kernarg_size 144
		.amdhsa_user_sgpr_count 6
		.amdhsa_user_sgpr_private_segment_buffer 1
		.amdhsa_user_sgpr_dispatch_ptr 0
		.amdhsa_user_sgpr_queue_ptr 0
		.amdhsa_user_sgpr_kernarg_segment_ptr 1
		.amdhsa_user_sgpr_dispatch_id 0
		.amdhsa_user_sgpr_flat_scratch_init 0
		.amdhsa_user_sgpr_kernarg_preload_length 0
		.amdhsa_user_sgpr_kernarg_preload_offset 0
		.amdhsa_user_sgpr_private_segment_size 0
		.amdhsa_uses_dynamic_stack 0
		.amdhsa_system_sgpr_private_segment_wavefront_offset 0
		.amdhsa_system_sgpr_workgroup_id_x 1
		.amdhsa_system_sgpr_workgroup_id_y 0
		.amdhsa_system_sgpr_workgroup_id_z 0
		.amdhsa_system_sgpr_workgroup_info 0
		.amdhsa_system_vgpr_workitem_id 0
		.amdhsa_next_free_vgpr 1
		.amdhsa_next_free_sgpr 0
		.amdhsa_accum_offset 4
		.amdhsa_reserve_vcc 0
		.amdhsa_reserve_flat_scratch 0
		.amdhsa_float_round_mode_32 0
		.amdhsa_float_round_mode_16_64 0
		.amdhsa_float_denorm_mode_32 3
		.amdhsa_float_denorm_mode_16_64 3
		.amdhsa_dx10_clamp 1
		.amdhsa_ieee_mode 1
		.amdhsa_fp16_overflow 0
		.amdhsa_tg_split 0
		.amdhsa_exception_fp_ieee_invalid_op 0
		.amdhsa_exception_fp_denorm_src 0
		.amdhsa_exception_fp_ieee_div_zero 0
		.amdhsa_exception_fp_ieee_overflow 0
		.amdhsa_exception_fp_ieee_underflow 0
		.amdhsa_exception_fp_ieee_inexact 0
		.amdhsa_exception_int_div_zero 0
	.end_amdhsa_kernel
	.section	.text._ZN7rocprim17ROCPRIM_400000_NS6detail17trampoline_kernelINS0_14default_configENS1_29reduce_by_key_config_selectorIN3c104HalfElN6thrust23THRUST_200600_302600_NS4plusIlEEEEZZNS1_33reduce_by_key_impl_wrapped_configILNS1_25lookback_scan_determinismE0ES3_SB_PS6_NS8_17constant_iteratorIiNS8_11use_defaultESG_EENS8_10device_ptrIS6_EENSI_IlEEPmSA_NS8_8equal_toIS6_EEEE10hipError_tPvRmT2_T3_mT4_T5_T6_T7_T8_P12ihipStream_tbENKUlT_T0_E_clISt17integral_constantIbLb1EES15_EEDaS10_S11_EUlS10_E_NS1_11comp_targetILNS1_3genE10ELNS1_11target_archE1201ELNS1_3gpuE5ELNS1_3repE0EEENS1_30default_config_static_selectorELNS0_4arch9wavefront6targetE1EEEvT1_,"axG",@progbits,_ZN7rocprim17ROCPRIM_400000_NS6detail17trampoline_kernelINS0_14default_configENS1_29reduce_by_key_config_selectorIN3c104HalfElN6thrust23THRUST_200600_302600_NS4plusIlEEEEZZNS1_33reduce_by_key_impl_wrapped_configILNS1_25lookback_scan_determinismE0ES3_SB_PS6_NS8_17constant_iteratorIiNS8_11use_defaultESG_EENS8_10device_ptrIS6_EENSI_IlEEPmSA_NS8_8equal_toIS6_EEEE10hipError_tPvRmT2_T3_mT4_T5_T6_T7_T8_P12ihipStream_tbENKUlT_T0_E_clISt17integral_constantIbLb1EES15_EEDaS10_S11_EUlS10_E_NS1_11comp_targetILNS1_3genE10ELNS1_11target_archE1201ELNS1_3gpuE5ELNS1_3repE0EEENS1_30default_config_static_selectorELNS0_4arch9wavefront6targetE1EEEvT1_,comdat
.Lfunc_end2214:
	.size	_ZN7rocprim17ROCPRIM_400000_NS6detail17trampoline_kernelINS0_14default_configENS1_29reduce_by_key_config_selectorIN3c104HalfElN6thrust23THRUST_200600_302600_NS4plusIlEEEEZZNS1_33reduce_by_key_impl_wrapped_configILNS1_25lookback_scan_determinismE0ES3_SB_PS6_NS8_17constant_iteratorIiNS8_11use_defaultESG_EENS8_10device_ptrIS6_EENSI_IlEEPmSA_NS8_8equal_toIS6_EEEE10hipError_tPvRmT2_T3_mT4_T5_T6_T7_T8_P12ihipStream_tbENKUlT_T0_E_clISt17integral_constantIbLb1EES15_EEDaS10_S11_EUlS10_E_NS1_11comp_targetILNS1_3genE10ELNS1_11target_archE1201ELNS1_3gpuE5ELNS1_3repE0EEENS1_30default_config_static_selectorELNS0_4arch9wavefront6targetE1EEEvT1_, .Lfunc_end2214-_ZN7rocprim17ROCPRIM_400000_NS6detail17trampoline_kernelINS0_14default_configENS1_29reduce_by_key_config_selectorIN3c104HalfElN6thrust23THRUST_200600_302600_NS4plusIlEEEEZZNS1_33reduce_by_key_impl_wrapped_configILNS1_25lookback_scan_determinismE0ES3_SB_PS6_NS8_17constant_iteratorIiNS8_11use_defaultESG_EENS8_10device_ptrIS6_EENSI_IlEEPmSA_NS8_8equal_toIS6_EEEE10hipError_tPvRmT2_T3_mT4_T5_T6_T7_T8_P12ihipStream_tbENKUlT_T0_E_clISt17integral_constantIbLb1EES15_EEDaS10_S11_EUlS10_E_NS1_11comp_targetILNS1_3genE10ELNS1_11target_archE1201ELNS1_3gpuE5ELNS1_3repE0EEENS1_30default_config_static_selectorELNS0_4arch9wavefront6targetE1EEEvT1_
                                        ; -- End function
	.section	.AMDGPU.csdata,"",@progbits
; Kernel info:
; codeLenInByte = 0
; NumSgprs: 4
; NumVgprs: 0
; NumAgprs: 0
; TotalNumVgprs: 0
; ScratchSize: 0
; MemoryBound: 0
; FloatMode: 240
; IeeeMode: 1
; LDSByteSize: 0 bytes/workgroup (compile time only)
; SGPRBlocks: 0
; VGPRBlocks: 0
; NumSGPRsForWavesPerEU: 4
; NumVGPRsForWavesPerEU: 1
; AccumOffset: 4
; Occupancy: 8
; WaveLimiterHint : 0
; COMPUTE_PGM_RSRC2:SCRATCH_EN: 0
; COMPUTE_PGM_RSRC2:USER_SGPR: 6
; COMPUTE_PGM_RSRC2:TRAP_HANDLER: 0
; COMPUTE_PGM_RSRC2:TGID_X_EN: 1
; COMPUTE_PGM_RSRC2:TGID_Y_EN: 0
; COMPUTE_PGM_RSRC2:TGID_Z_EN: 0
; COMPUTE_PGM_RSRC2:TIDIG_COMP_CNT: 0
; COMPUTE_PGM_RSRC3_GFX90A:ACCUM_OFFSET: 0
; COMPUTE_PGM_RSRC3_GFX90A:TG_SPLIT: 0
	.section	.text._ZN7rocprim17ROCPRIM_400000_NS6detail17trampoline_kernelINS0_14default_configENS1_29reduce_by_key_config_selectorIN3c104HalfElN6thrust23THRUST_200600_302600_NS4plusIlEEEEZZNS1_33reduce_by_key_impl_wrapped_configILNS1_25lookback_scan_determinismE0ES3_SB_PS6_NS8_17constant_iteratorIiNS8_11use_defaultESG_EENS8_10device_ptrIS6_EENSI_IlEEPmSA_NS8_8equal_toIS6_EEEE10hipError_tPvRmT2_T3_mT4_T5_T6_T7_T8_P12ihipStream_tbENKUlT_T0_E_clISt17integral_constantIbLb1EES15_EEDaS10_S11_EUlS10_E_NS1_11comp_targetILNS1_3genE10ELNS1_11target_archE1200ELNS1_3gpuE4ELNS1_3repE0EEENS1_30default_config_static_selectorELNS0_4arch9wavefront6targetE1EEEvT1_,"axG",@progbits,_ZN7rocprim17ROCPRIM_400000_NS6detail17trampoline_kernelINS0_14default_configENS1_29reduce_by_key_config_selectorIN3c104HalfElN6thrust23THRUST_200600_302600_NS4plusIlEEEEZZNS1_33reduce_by_key_impl_wrapped_configILNS1_25lookback_scan_determinismE0ES3_SB_PS6_NS8_17constant_iteratorIiNS8_11use_defaultESG_EENS8_10device_ptrIS6_EENSI_IlEEPmSA_NS8_8equal_toIS6_EEEE10hipError_tPvRmT2_T3_mT4_T5_T6_T7_T8_P12ihipStream_tbENKUlT_T0_E_clISt17integral_constantIbLb1EES15_EEDaS10_S11_EUlS10_E_NS1_11comp_targetILNS1_3genE10ELNS1_11target_archE1200ELNS1_3gpuE4ELNS1_3repE0EEENS1_30default_config_static_selectorELNS0_4arch9wavefront6targetE1EEEvT1_,comdat
	.protected	_ZN7rocprim17ROCPRIM_400000_NS6detail17trampoline_kernelINS0_14default_configENS1_29reduce_by_key_config_selectorIN3c104HalfElN6thrust23THRUST_200600_302600_NS4plusIlEEEEZZNS1_33reduce_by_key_impl_wrapped_configILNS1_25lookback_scan_determinismE0ES3_SB_PS6_NS8_17constant_iteratorIiNS8_11use_defaultESG_EENS8_10device_ptrIS6_EENSI_IlEEPmSA_NS8_8equal_toIS6_EEEE10hipError_tPvRmT2_T3_mT4_T5_T6_T7_T8_P12ihipStream_tbENKUlT_T0_E_clISt17integral_constantIbLb1EES15_EEDaS10_S11_EUlS10_E_NS1_11comp_targetILNS1_3genE10ELNS1_11target_archE1200ELNS1_3gpuE4ELNS1_3repE0EEENS1_30default_config_static_selectorELNS0_4arch9wavefront6targetE1EEEvT1_ ; -- Begin function _ZN7rocprim17ROCPRIM_400000_NS6detail17trampoline_kernelINS0_14default_configENS1_29reduce_by_key_config_selectorIN3c104HalfElN6thrust23THRUST_200600_302600_NS4plusIlEEEEZZNS1_33reduce_by_key_impl_wrapped_configILNS1_25lookback_scan_determinismE0ES3_SB_PS6_NS8_17constant_iteratorIiNS8_11use_defaultESG_EENS8_10device_ptrIS6_EENSI_IlEEPmSA_NS8_8equal_toIS6_EEEE10hipError_tPvRmT2_T3_mT4_T5_T6_T7_T8_P12ihipStream_tbENKUlT_T0_E_clISt17integral_constantIbLb1EES15_EEDaS10_S11_EUlS10_E_NS1_11comp_targetILNS1_3genE10ELNS1_11target_archE1200ELNS1_3gpuE4ELNS1_3repE0EEENS1_30default_config_static_selectorELNS0_4arch9wavefront6targetE1EEEvT1_
	.globl	_ZN7rocprim17ROCPRIM_400000_NS6detail17trampoline_kernelINS0_14default_configENS1_29reduce_by_key_config_selectorIN3c104HalfElN6thrust23THRUST_200600_302600_NS4plusIlEEEEZZNS1_33reduce_by_key_impl_wrapped_configILNS1_25lookback_scan_determinismE0ES3_SB_PS6_NS8_17constant_iteratorIiNS8_11use_defaultESG_EENS8_10device_ptrIS6_EENSI_IlEEPmSA_NS8_8equal_toIS6_EEEE10hipError_tPvRmT2_T3_mT4_T5_T6_T7_T8_P12ihipStream_tbENKUlT_T0_E_clISt17integral_constantIbLb1EES15_EEDaS10_S11_EUlS10_E_NS1_11comp_targetILNS1_3genE10ELNS1_11target_archE1200ELNS1_3gpuE4ELNS1_3repE0EEENS1_30default_config_static_selectorELNS0_4arch9wavefront6targetE1EEEvT1_
	.p2align	8
	.type	_ZN7rocprim17ROCPRIM_400000_NS6detail17trampoline_kernelINS0_14default_configENS1_29reduce_by_key_config_selectorIN3c104HalfElN6thrust23THRUST_200600_302600_NS4plusIlEEEEZZNS1_33reduce_by_key_impl_wrapped_configILNS1_25lookback_scan_determinismE0ES3_SB_PS6_NS8_17constant_iteratorIiNS8_11use_defaultESG_EENS8_10device_ptrIS6_EENSI_IlEEPmSA_NS8_8equal_toIS6_EEEE10hipError_tPvRmT2_T3_mT4_T5_T6_T7_T8_P12ihipStream_tbENKUlT_T0_E_clISt17integral_constantIbLb1EES15_EEDaS10_S11_EUlS10_E_NS1_11comp_targetILNS1_3genE10ELNS1_11target_archE1200ELNS1_3gpuE4ELNS1_3repE0EEENS1_30default_config_static_selectorELNS0_4arch9wavefront6targetE1EEEvT1_,@function
_ZN7rocprim17ROCPRIM_400000_NS6detail17trampoline_kernelINS0_14default_configENS1_29reduce_by_key_config_selectorIN3c104HalfElN6thrust23THRUST_200600_302600_NS4plusIlEEEEZZNS1_33reduce_by_key_impl_wrapped_configILNS1_25lookback_scan_determinismE0ES3_SB_PS6_NS8_17constant_iteratorIiNS8_11use_defaultESG_EENS8_10device_ptrIS6_EENSI_IlEEPmSA_NS8_8equal_toIS6_EEEE10hipError_tPvRmT2_T3_mT4_T5_T6_T7_T8_P12ihipStream_tbENKUlT_T0_E_clISt17integral_constantIbLb1EES15_EEDaS10_S11_EUlS10_E_NS1_11comp_targetILNS1_3genE10ELNS1_11target_archE1200ELNS1_3gpuE4ELNS1_3repE0EEENS1_30default_config_static_selectorELNS0_4arch9wavefront6targetE1EEEvT1_: ; @_ZN7rocprim17ROCPRIM_400000_NS6detail17trampoline_kernelINS0_14default_configENS1_29reduce_by_key_config_selectorIN3c104HalfElN6thrust23THRUST_200600_302600_NS4plusIlEEEEZZNS1_33reduce_by_key_impl_wrapped_configILNS1_25lookback_scan_determinismE0ES3_SB_PS6_NS8_17constant_iteratorIiNS8_11use_defaultESG_EENS8_10device_ptrIS6_EENSI_IlEEPmSA_NS8_8equal_toIS6_EEEE10hipError_tPvRmT2_T3_mT4_T5_T6_T7_T8_P12ihipStream_tbENKUlT_T0_E_clISt17integral_constantIbLb1EES15_EEDaS10_S11_EUlS10_E_NS1_11comp_targetILNS1_3genE10ELNS1_11target_archE1200ELNS1_3gpuE4ELNS1_3repE0EEENS1_30default_config_static_selectorELNS0_4arch9wavefront6targetE1EEEvT1_
; %bb.0:
	.section	.rodata,"a",@progbits
	.p2align	6, 0x0
	.amdhsa_kernel _ZN7rocprim17ROCPRIM_400000_NS6detail17trampoline_kernelINS0_14default_configENS1_29reduce_by_key_config_selectorIN3c104HalfElN6thrust23THRUST_200600_302600_NS4plusIlEEEEZZNS1_33reduce_by_key_impl_wrapped_configILNS1_25lookback_scan_determinismE0ES3_SB_PS6_NS8_17constant_iteratorIiNS8_11use_defaultESG_EENS8_10device_ptrIS6_EENSI_IlEEPmSA_NS8_8equal_toIS6_EEEE10hipError_tPvRmT2_T3_mT4_T5_T6_T7_T8_P12ihipStream_tbENKUlT_T0_E_clISt17integral_constantIbLb1EES15_EEDaS10_S11_EUlS10_E_NS1_11comp_targetILNS1_3genE10ELNS1_11target_archE1200ELNS1_3gpuE4ELNS1_3repE0EEENS1_30default_config_static_selectorELNS0_4arch9wavefront6targetE1EEEvT1_
		.amdhsa_group_segment_fixed_size 0
		.amdhsa_private_segment_fixed_size 0
		.amdhsa_kernarg_size 144
		.amdhsa_user_sgpr_count 6
		.amdhsa_user_sgpr_private_segment_buffer 1
		.amdhsa_user_sgpr_dispatch_ptr 0
		.amdhsa_user_sgpr_queue_ptr 0
		.amdhsa_user_sgpr_kernarg_segment_ptr 1
		.amdhsa_user_sgpr_dispatch_id 0
		.amdhsa_user_sgpr_flat_scratch_init 0
		.amdhsa_user_sgpr_kernarg_preload_length 0
		.amdhsa_user_sgpr_kernarg_preload_offset 0
		.amdhsa_user_sgpr_private_segment_size 0
		.amdhsa_uses_dynamic_stack 0
		.amdhsa_system_sgpr_private_segment_wavefront_offset 0
		.amdhsa_system_sgpr_workgroup_id_x 1
		.amdhsa_system_sgpr_workgroup_id_y 0
		.amdhsa_system_sgpr_workgroup_id_z 0
		.amdhsa_system_sgpr_workgroup_info 0
		.amdhsa_system_vgpr_workitem_id 0
		.amdhsa_next_free_vgpr 1
		.amdhsa_next_free_sgpr 0
		.amdhsa_accum_offset 4
		.amdhsa_reserve_vcc 0
		.amdhsa_reserve_flat_scratch 0
		.amdhsa_float_round_mode_32 0
		.amdhsa_float_round_mode_16_64 0
		.amdhsa_float_denorm_mode_32 3
		.amdhsa_float_denorm_mode_16_64 3
		.amdhsa_dx10_clamp 1
		.amdhsa_ieee_mode 1
		.amdhsa_fp16_overflow 0
		.amdhsa_tg_split 0
		.amdhsa_exception_fp_ieee_invalid_op 0
		.amdhsa_exception_fp_denorm_src 0
		.amdhsa_exception_fp_ieee_div_zero 0
		.amdhsa_exception_fp_ieee_overflow 0
		.amdhsa_exception_fp_ieee_underflow 0
		.amdhsa_exception_fp_ieee_inexact 0
		.amdhsa_exception_int_div_zero 0
	.end_amdhsa_kernel
	.section	.text._ZN7rocprim17ROCPRIM_400000_NS6detail17trampoline_kernelINS0_14default_configENS1_29reduce_by_key_config_selectorIN3c104HalfElN6thrust23THRUST_200600_302600_NS4plusIlEEEEZZNS1_33reduce_by_key_impl_wrapped_configILNS1_25lookback_scan_determinismE0ES3_SB_PS6_NS8_17constant_iteratorIiNS8_11use_defaultESG_EENS8_10device_ptrIS6_EENSI_IlEEPmSA_NS8_8equal_toIS6_EEEE10hipError_tPvRmT2_T3_mT4_T5_T6_T7_T8_P12ihipStream_tbENKUlT_T0_E_clISt17integral_constantIbLb1EES15_EEDaS10_S11_EUlS10_E_NS1_11comp_targetILNS1_3genE10ELNS1_11target_archE1200ELNS1_3gpuE4ELNS1_3repE0EEENS1_30default_config_static_selectorELNS0_4arch9wavefront6targetE1EEEvT1_,"axG",@progbits,_ZN7rocprim17ROCPRIM_400000_NS6detail17trampoline_kernelINS0_14default_configENS1_29reduce_by_key_config_selectorIN3c104HalfElN6thrust23THRUST_200600_302600_NS4plusIlEEEEZZNS1_33reduce_by_key_impl_wrapped_configILNS1_25lookback_scan_determinismE0ES3_SB_PS6_NS8_17constant_iteratorIiNS8_11use_defaultESG_EENS8_10device_ptrIS6_EENSI_IlEEPmSA_NS8_8equal_toIS6_EEEE10hipError_tPvRmT2_T3_mT4_T5_T6_T7_T8_P12ihipStream_tbENKUlT_T0_E_clISt17integral_constantIbLb1EES15_EEDaS10_S11_EUlS10_E_NS1_11comp_targetILNS1_3genE10ELNS1_11target_archE1200ELNS1_3gpuE4ELNS1_3repE0EEENS1_30default_config_static_selectorELNS0_4arch9wavefront6targetE1EEEvT1_,comdat
.Lfunc_end2215:
	.size	_ZN7rocprim17ROCPRIM_400000_NS6detail17trampoline_kernelINS0_14default_configENS1_29reduce_by_key_config_selectorIN3c104HalfElN6thrust23THRUST_200600_302600_NS4plusIlEEEEZZNS1_33reduce_by_key_impl_wrapped_configILNS1_25lookback_scan_determinismE0ES3_SB_PS6_NS8_17constant_iteratorIiNS8_11use_defaultESG_EENS8_10device_ptrIS6_EENSI_IlEEPmSA_NS8_8equal_toIS6_EEEE10hipError_tPvRmT2_T3_mT4_T5_T6_T7_T8_P12ihipStream_tbENKUlT_T0_E_clISt17integral_constantIbLb1EES15_EEDaS10_S11_EUlS10_E_NS1_11comp_targetILNS1_3genE10ELNS1_11target_archE1200ELNS1_3gpuE4ELNS1_3repE0EEENS1_30default_config_static_selectorELNS0_4arch9wavefront6targetE1EEEvT1_, .Lfunc_end2215-_ZN7rocprim17ROCPRIM_400000_NS6detail17trampoline_kernelINS0_14default_configENS1_29reduce_by_key_config_selectorIN3c104HalfElN6thrust23THRUST_200600_302600_NS4plusIlEEEEZZNS1_33reduce_by_key_impl_wrapped_configILNS1_25lookback_scan_determinismE0ES3_SB_PS6_NS8_17constant_iteratorIiNS8_11use_defaultESG_EENS8_10device_ptrIS6_EENSI_IlEEPmSA_NS8_8equal_toIS6_EEEE10hipError_tPvRmT2_T3_mT4_T5_T6_T7_T8_P12ihipStream_tbENKUlT_T0_E_clISt17integral_constantIbLb1EES15_EEDaS10_S11_EUlS10_E_NS1_11comp_targetILNS1_3genE10ELNS1_11target_archE1200ELNS1_3gpuE4ELNS1_3repE0EEENS1_30default_config_static_selectorELNS0_4arch9wavefront6targetE1EEEvT1_
                                        ; -- End function
	.section	.AMDGPU.csdata,"",@progbits
; Kernel info:
; codeLenInByte = 0
; NumSgprs: 4
; NumVgprs: 0
; NumAgprs: 0
; TotalNumVgprs: 0
; ScratchSize: 0
; MemoryBound: 0
; FloatMode: 240
; IeeeMode: 1
; LDSByteSize: 0 bytes/workgroup (compile time only)
; SGPRBlocks: 0
; VGPRBlocks: 0
; NumSGPRsForWavesPerEU: 4
; NumVGPRsForWavesPerEU: 1
; AccumOffset: 4
; Occupancy: 8
; WaveLimiterHint : 0
; COMPUTE_PGM_RSRC2:SCRATCH_EN: 0
; COMPUTE_PGM_RSRC2:USER_SGPR: 6
; COMPUTE_PGM_RSRC2:TRAP_HANDLER: 0
; COMPUTE_PGM_RSRC2:TGID_X_EN: 1
; COMPUTE_PGM_RSRC2:TGID_Y_EN: 0
; COMPUTE_PGM_RSRC2:TGID_Z_EN: 0
; COMPUTE_PGM_RSRC2:TIDIG_COMP_CNT: 0
; COMPUTE_PGM_RSRC3_GFX90A:ACCUM_OFFSET: 0
; COMPUTE_PGM_RSRC3_GFX90A:TG_SPLIT: 0
	.section	.text._ZN7rocprim17ROCPRIM_400000_NS6detail17trampoline_kernelINS0_14default_configENS1_29reduce_by_key_config_selectorIN3c104HalfElN6thrust23THRUST_200600_302600_NS4plusIlEEEEZZNS1_33reduce_by_key_impl_wrapped_configILNS1_25lookback_scan_determinismE0ES3_SB_PS6_NS8_17constant_iteratorIiNS8_11use_defaultESG_EENS8_10device_ptrIS6_EENSI_IlEEPmSA_NS8_8equal_toIS6_EEEE10hipError_tPvRmT2_T3_mT4_T5_T6_T7_T8_P12ihipStream_tbENKUlT_T0_E_clISt17integral_constantIbLb1EES15_EEDaS10_S11_EUlS10_E_NS1_11comp_targetILNS1_3genE9ELNS1_11target_archE1100ELNS1_3gpuE3ELNS1_3repE0EEENS1_30default_config_static_selectorELNS0_4arch9wavefront6targetE1EEEvT1_,"axG",@progbits,_ZN7rocprim17ROCPRIM_400000_NS6detail17trampoline_kernelINS0_14default_configENS1_29reduce_by_key_config_selectorIN3c104HalfElN6thrust23THRUST_200600_302600_NS4plusIlEEEEZZNS1_33reduce_by_key_impl_wrapped_configILNS1_25lookback_scan_determinismE0ES3_SB_PS6_NS8_17constant_iteratorIiNS8_11use_defaultESG_EENS8_10device_ptrIS6_EENSI_IlEEPmSA_NS8_8equal_toIS6_EEEE10hipError_tPvRmT2_T3_mT4_T5_T6_T7_T8_P12ihipStream_tbENKUlT_T0_E_clISt17integral_constantIbLb1EES15_EEDaS10_S11_EUlS10_E_NS1_11comp_targetILNS1_3genE9ELNS1_11target_archE1100ELNS1_3gpuE3ELNS1_3repE0EEENS1_30default_config_static_selectorELNS0_4arch9wavefront6targetE1EEEvT1_,comdat
	.protected	_ZN7rocprim17ROCPRIM_400000_NS6detail17trampoline_kernelINS0_14default_configENS1_29reduce_by_key_config_selectorIN3c104HalfElN6thrust23THRUST_200600_302600_NS4plusIlEEEEZZNS1_33reduce_by_key_impl_wrapped_configILNS1_25lookback_scan_determinismE0ES3_SB_PS6_NS8_17constant_iteratorIiNS8_11use_defaultESG_EENS8_10device_ptrIS6_EENSI_IlEEPmSA_NS8_8equal_toIS6_EEEE10hipError_tPvRmT2_T3_mT4_T5_T6_T7_T8_P12ihipStream_tbENKUlT_T0_E_clISt17integral_constantIbLb1EES15_EEDaS10_S11_EUlS10_E_NS1_11comp_targetILNS1_3genE9ELNS1_11target_archE1100ELNS1_3gpuE3ELNS1_3repE0EEENS1_30default_config_static_selectorELNS0_4arch9wavefront6targetE1EEEvT1_ ; -- Begin function _ZN7rocprim17ROCPRIM_400000_NS6detail17trampoline_kernelINS0_14default_configENS1_29reduce_by_key_config_selectorIN3c104HalfElN6thrust23THRUST_200600_302600_NS4plusIlEEEEZZNS1_33reduce_by_key_impl_wrapped_configILNS1_25lookback_scan_determinismE0ES3_SB_PS6_NS8_17constant_iteratorIiNS8_11use_defaultESG_EENS8_10device_ptrIS6_EENSI_IlEEPmSA_NS8_8equal_toIS6_EEEE10hipError_tPvRmT2_T3_mT4_T5_T6_T7_T8_P12ihipStream_tbENKUlT_T0_E_clISt17integral_constantIbLb1EES15_EEDaS10_S11_EUlS10_E_NS1_11comp_targetILNS1_3genE9ELNS1_11target_archE1100ELNS1_3gpuE3ELNS1_3repE0EEENS1_30default_config_static_selectorELNS0_4arch9wavefront6targetE1EEEvT1_
	.globl	_ZN7rocprim17ROCPRIM_400000_NS6detail17trampoline_kernelINS0_14default_configENS1_29reduce_by_key_config_selectorIN3c104HalfElN6thrust23THRUST_200600_302600_NS4plusIlEEEEZZNS1_33reduce_by_key_impl_wrapped_configILNS1_25lookback_scan_determinismE0ES3_SB_PS6_NS8_17constant_iteratorIiNS8_11use_defaultESG_EENS8_10device_ptrIS6_EENSI_IlEEPmSA_NS8_8equal_toIS6_EEEE10hipError_tPvRmT2_T3_mT4_T5_T6_T7_T8_P12ihipStream_tbENKUlT_T0_E_clISt17integral_constantIbLb1EES15_EEDaS10_S11_EUlS10_E_NS1_11comp_targetILNS1_3genE9ELNS1_11target_archE1100ELNS1_3gpuE3ELNS1_3repE0EEENS1_30default_config_static_selectorELNS0_4arch9wavefront6targetE1EEEvT1_
	.p2align	8
	.type	_ZN7rocprim17ROCPRIM_400000_NS6detail17trampoline_kernelINS0_14default_configENS1_29reduce_by_key_config_selectorIN3c104HalfElN6thrust23THRUST_200600_302600_NS4plusIlEEEEZZNS1_33reduce_by_key_impl_wrapped_configILNS1_25lookback_scan_determinismE0ES3_SB_PS6_NS8_17constant_iteratorIiNS8_11use_defaultESG_EENS8_10device_ptrIS6_EENSI_IlEEPmSA_NS8_8equal_toIS6_EEEE10hipError_tPvRmT2_T3_mT4_T5_T6_T7_T8_P12ihipStream_tbENKUlT_T0_E_clISt17integral_constantIbLb1EES15_EEDaS10_S11_EUlS10_E_NS1_11comp_targetILNS1_3genE9ELNS1_11target_archE1100ELNS1_3gpuE3ELNS1_3repE0EEENS1_30default_config_static_selectorELNS0_4arch9wavefront6targetE1EEEvT1_,@function
_ZN7rocprim17ROCPRIM_400000_NS6detail17trampoline_kernelINS0_14default_configENS1_29reduce_by_key_config_selectorIN3c104HalfElN6thrust23THRUST_200600_302600_NS4plusIlEEEEZZNS1_33reduce_by_key_impl_wrapped_configILNS1_25lookback_scan_determinismE0ES3_SB_PS6_NS8_17constant_iteratorIiNS8_11use_defaultESG_EENS8_10device_ptrIS6_EENSI_IlEEPmSA_NS8_8equal_toIS6_EEEE10hipError_tPvRmT2_T3_mT4_T5_T6_T7_T8_P12ihipStream_tbENKUlT_T0_E_clISt17integral_constantIbLb1EES15_EEDaS10_S11_EUlS10_E_NS1_11comp_targetILNS1_3genE9ELNS1_11target_archE1100ELNS1_3gpuE3ELNS1_3repE0EEENS1_30default_config_static_selectorELNS0_4arch9wavefront6targetE1EEEvT1_: ; @_ZN7rocprim17ROCPRIM_400000_NS6detail17trampoline_kernelINS0_14default_configENS1_29reduce_by_key_config_selectorIN3c104HalfElN6thrust23THRUST_200600_302600_NS4plusIlEEEEZZNS1_33reduce_by_key_impl_wrapped_configILNS1_25lookback_scan_determinismE0ES3_SB_PS6_NS8_17constant_iteratorIiNS8_11use_defaultESG_EENS8_10device_ptrIS6_EENSI_IlEEPmSA_NS8_8equal_toIS6_EEEE10hipError_tPvRmT2_T3_mT4_T5_T6_T7_T8_P12ihipStream_tbENKUlT_T0_E_clISt17integral_constantIbLb1EES15_EEDaS10_S11_EUlS10_E_NS1_11comp_targetILNS1_3genE9ELNS1_11target_archE1100ELNS1_3gpuE3ELNS1_3repE0EEENS1_30default_config_static_selectorELNS0_4arch9wavefront6targetE1EEEvT1_
; %bb.0:
	.section	.rodata,"a",@progbits
	.p2align	6, 0x0
	.amdhsa_kernel _ZN7rocprim17ROCPRIM_400000_NS6detail17trampoline_kernelINS0_14default_configENS1_29reduce_by_key_config_selectorIN3c104HalfElN6thrust23THRUST_200600_302600_NS4plusIlEEEEZZNS1_33reduce_by_key_impl_wrapped_configILNS1_25lookback_scan_determinismE0ES3_SB_PS6_NS8_17constant_iteratorIiNS8_11use_defaultESG_EENS8_10device_ptrIS6_EENSI_IlEEPmSA_NS8_8equal_toIS6_EEEE10hipError_tPvRmT2_T3_mT4_T5_T6_T7_T8_P12ihipStream_tbENKUlT_T0_E_clISt17integral_constantIbLb1EES15_EEDaS10_S11_EUlS10_E_NS1_11comp_targetILNS1_3genE9ELNS1_11target_archE1100ELNS1_3gpuE3ELNS1_3repE0EEENS1_30default_config_static_selectorELNS0_4arch9wavefront6targetE1EEEvT1_
		.amdhsa_group_segment_fixed_size 0
		.amdhsa_private_segment_fixed_size 0
		.amdhsa_kernarg_size 144
		.amdhsa_user_sgpr_count 6
		.amdhsa_user_sgpr_private_segment_buffer 1
		.amdhsa_user_sgpr_dispatch_ptr 0
		.amdhsa_user_sgpr_queue_ptr 0
		.amdhsa_user_sgpr_kernarg_segment_ptr 1
		.amdhsa_user_sgpr_dispatch_id 0
		.amdhsa_user_sgpr_flat_scratch_init 0
		.amdhsa_user_sgpr_kernarg_preload_length 0
		.amdhsa_user_sgpr_kernarg_preload_offset 0
		.amdhsa_user_sgpr_private_segment_size 0
		.amdhsa_uses_dynamic_stack 0
		.amdhsa_system_sgpr_private_segment_wavefront_offset 0
		.amdhsa_system_sgpr_workgroup_id_x 1
		.amdhsa_system_sgpr_workgroup_id_y 0
		.amdhsa_system_sgpr_workgroup_id_z 0
		.amdhsa_system_sgpr_workgroup_info 0
		.amdhsa_system_vgpr_workitem_id 0
		.amdhsa_next_free_vgpr 1
		.amdhsa_next_free_sgpr 0
		.amdhsa_accum_offset 4
		.amdhsa_reserve_vcc 0
		.amdhsa_reserve_flat_scratch 0
		.amdhsa_float_round_mode_32 0
		.amdhsa_float_round_mode_16_64 0
		.amdhsa_float_denorm_mode_32 3
		.amdhsa_float_denorm_mode_16_64 3
		.amdhsa_dx10_clamp 1
		.amdhsa_ieee_mode 1
		.amdhsa_fp16_overflow 0
		.amdhsa_tg_split 0
		.amdhsa_exception_fp_ieee_invalid_op 0
		.amdhsa_exception_fp_denorm_src 0
		.amdhsa_exception_fp_ieee_div_zero 0
		.amdhsa_exception_fp_ieee_overflow 0
		.amdhsa_exception_fp_ieee_underflow 0
		.amdhsa_exception_fp_ieee_inexact 0
		.amdhsa_exception_int_div_zero 0
	.end_amdhsa_kernel
	.section	.text._ZN7rocprim17ROCPRIM_400000_NS6detail17trampoline_kernelINS0_14default_configENS1_29reduce_by_key_config_selectorIN3c104HalfElN6thrust23THRUST_200600_302600_NS4plusIlEEEEZZNS1_33reduce_by_key_impl_wrapped_configILNS1_25lookback_scan_determinismE0ES3_SB_PS6_NS8_17constant_iteratorIiNS8_11use_defaultESG_EENS8_10device_ptrIS6_EENSI_IlEEPmSA_NS8_8equal_toIS6_EEEE10hipError_tPvRmT2_T3_mT4_T5_T6_T7_T8_P12ihipStream_tbENKUlT_T0_E_clISt17integral_constantIbLb1EES15_EEDaS10_S11_EUlS10_E_NS1_11comp_targetILNS1_3genE9ELNS1_11target_archE1100ELNS1_3gpuE3ELNS1_3repE0EEENS1_30default_config_static_selectorELNS0_4arch9wavefront6targetE1EEEvT1_,"axG",@progbits,_ZN7rocprim17ROCPRIM_400000_NS6detail17trampoline_kernelINS0_14default_configENS1_29reduce_by_key_config_selectorIN3c104HalfElN6thrust23THRUST_200600_302600_NS4plusIlEEEEZZNS1_33reduce_by_key_impl_wrapped_configILNS1_25lookback_scan_determinismE0ES3_SB_PS6_NS8_17constant_iteratorIiNS8_11use_defaultESG_EENS8_10device_ptrIS6_EENSI_IlEEPmSA_NS8_8equal_toIS6_EEEE10hipError_tPvRmT2_T3_mT4_T5_T6_T7_T8_P12ihipStream_tbENKUlT_T0_E_clISt17integral_constantIbLb1EES15_EEDaS10_S11_EUlS10_E_NS1_11comp_targetILNS1_3genE9ELNS1_11target_archE1100ELNS1_3gpuE3ELNS1_3repE0EEENS1_30default_config_static_selectorELNS0_4arch9wavefront6targetE1EEEvT1_,comdat
.Lfunc_end2216:
	.size	_ZN7rocprim17ROCPRIM_400000_NS6detail17trampoline_kernelINS0_14default_configENS1_29reduce_by_key_config_selectorIN3c104HalfElN6thrust23THRUST_200600_302600_NS4plusIlEEEEZZNS1_33reduce_by_key_impl_wrapped_configILNS1_25lookback_scan_determinismE0ES3_SB_PS6_NS8_17constant_iteratorIiNS8_11use_defaultESG_EENS8_10device_ptrIS6_EENSI_IlEEPmSA_NS8_8equal_toIS6_EEEE10hipError_tPvRmT2_T3_mT4_T5_T6_T7_T8_P12ihipStream_tbENKUlT_T0_E_clISt17integral_constantIbLb1EES15_EEDaS10_S11_EUlS10_E_NS1_11comp_targetILNS1_3genE9ELNS1_11target_archE1100ELNS1_3gpuE3ELNS1_3repE0EEENS1_30default_config_static_selectorELNS0_4arch9wavefront6targetE1EEEvT1_, .Lfunc_end2216-_ZN7rocprim17ROCPRIM_400000_NS6detail17trampoline_kernelINS0_14default_configENS1_29reduce_by_key_config_selectorIN3c104HalfElN6thrust23THRUST_200600_302600_NS4plusIlEEEEZZNS1_33reduce_by_key_impl_wrapped_configILNS1_25lookback_scan_determinismE0ES3_SB_PS6_NS8_17constant_iteratorIiNS8_11use_defaultESG_EENS8_10device_ptrIS6_EENSI_IlEEPmSA_NS8_8equal_toIS6_EEEE10hipError_tPvRmT2_T3_mT4_T5_T6_T7_T8_P12ihipStream_tbENKUlT_T0_E_clISt17integral_constantIbLb1EES15_EEDaS10_S11_EUlS10_E_NS1_11comp_targetILNS1_3genE9ELNS1_11target_archE1100ELNS1_3gpuE3ELNS1_3repE0EEENS1_30default_config_static_selectorELNS0_4arch9wavefront6targetE1EEEvT1_
                                        ; -- End function
	.section	.AMDGPU.csdata,"",@progbits
; Kernel info:
; codeLenInByte = 0
; NumSgprs: 4
; NumVgprs: 0
; NumAgprs: 0
; TotalNumVgprs: 0
; ScratchSize: 0
; MemoryBound: 0
; FloatMode: 240
; IeeeMode: 1
; LDSByteSize: 0 bytes/workgroup (compile time only)
; SGPRBlocks: 0
; VGPRBlocks: 0
; NumSGPRsForWavesPerEU: 4
; NumVGPRsForWavesPerEU: 1
; AccumOffset: 4
; Occupancy: 8
; WaveLimiterHint : 0
; COMPUTE_PGM_RSRC2:SCRATCH_EN: 0
; COMPUTE_PGM_RSRC2:USER_SGPR: 6
; COMPUTE_PGM_RSRC2:TRAP_HANDLER: 0
; COMPUTE_PGM_RSRC2:TGID_X_EN: 1
; COMPUTE_PGM_RSRC2:TGID_Y_EN: 0
; COMPUTE_PGM_RSRC2:TGID_Z_EN: 0
; COMPUTE_PGM_RSRC2:TIDIG_COMP_CNT: 0
; COMPUTE_PGM_RSRC3_GFX90A:ACCUM_OFFSET: 0
; COMPUTE_PGM_RSRC3_GFX90A:TG_SPLIT: 0
	.section	.text._ZN7rocprim17ROCPRIM_400000_NS6detail17trampoline_kernelINS0_14default_configENS1_29reduce_by_key_config_selectorIN3c104HalfElN6thrust23THRUST_200600_302600_NS4plusIlEEEEZZNS1_33reduce_by_key_impl_wrapped_configILNS1_25lookback_scan_determinismE0ES3_SB_PS6_NS8_17constant_iteratorIiNS8_11use_defaultESG_EENS8_10device_ptrIS6_EENSI_IlEEPmSA_NS8_8equal_toIS6_EEEE10hipError_tPvRmT2_T3_mT4_T5_T6_T7_T8_P12ihipStream_tbENKUlT_T0_E_clISt17integral_constantIbLb1EES15_EEDaS10_S11_EUlS10_E_NS1_11comp_targetILNS1_3genE8ELNS1_11target_archE1030ELNS1_3gpuE2ELNS1_3repE0EEENS1_30default_config_static_selectorELNS0_4arch9wavefront6targetE1EEEvT1_,"axG",@progbits,_ZN7rocprim17ROCPRIM_400000_NS6detail17trampoline_kernelINS0_14default_configENS1_29reduce_by_key_config_selectorIN3c104HalfElN6thrust23THRUST_200600_302600_NS4plusIlEEEEZZNS1_33reduce_by_key_impl_wrapped_configILNS1_25lookback_scan_determinismE0ES3_SB_PS6_NS8_17constant_iteratorIiNS8_11use_defaultESG_EENS8_10device_ptrIS6_EENSI_IlEEPmSA_NS8_8equal_toIS6_EEEE10hipError_tPvRmT2_T3_mT4_T5_T6_T7_T8_P12ihipStream_tbENKUlT_T0_E_clISt17integral_constantIbLb1EES15_EEDaS10_S11_EUlS10_E_NS1_11comp_targetILNS1_3genE8ELNS1_11target_archE1030ELNS1_3gpuE2ELNS1_3repE0EEENS1_30default_config_static_selectorELNS0_4arch9wavefront6targetE1EEEvT1_,comdat
	.protected	_ZN7rocprim17ROCPRIM_400000_NS6detail17trampoline_kernelINS0_14default_configENS1_29reduce_by_key_config_selectorIN3c104HalfElN6thrust23THRUST_200600_302600_NS4plusIlEEEEZZNS1_33reduce_by_key_impl_wrapped_configILNS1_25lookback_scan_determinismE0ES3_SB_PS6_NS8_17constant_iteratorIiNS8_11use_defaultESG_EENS8_10device_ptrIS6_EENSI_IlEEPmSA_NS8_8equal_toIS6_EEEE10hipError_tPvRmT2_T3_mT4_T5_T6_T7_T8_P12ihipStream_tbENKUlT_T0_E_clISt17integral_constantIbLb1EES15_EEDaS10_S11_EUlS10_E_NS1_11comp_targetILNS1_3genE8ELNS1_11target_archE1030ELNS1_3gpuE2ELNS1_3repE0EEENS1_30default_config_static_selectorELNS0_4arch9wavefront6targetE1EEEvT1_ ; -- Begin function _ZN7rocprim17ROCPRIM_400000_NS6detail17trampoline_kernelINS0_14default_configENS1_29reduce_by_key_config_selectorIN3c104HalfElN6thrust23THRUST_200600_302600_NS4plusIlEEEEZZNS1_33reduce_by_key_impl_wrapped_configILNS1_25lookback_scan_determinismE0ES3_SB_PS6_NS8_17constant_iteratorIiNS8_11use_defaultESG_EENS8_10device_ptrIS6_EENSI_IlEEPmSA_NS8_8equal_toIS6_EEEE10hipError_tPvRmT2_T3_mT4_T5_T6_T7_T8_P12ihipStream_tbENKUlT_T0_E_clISt17integral_constantIbLb1EES15_EEDaS10_S11_EUlS10_E_NS1_11comp_targetILNS1_3genE8ELNS1_11target_archE1030ELNS1_3gpuE2ELNS1_3repE0EEENS1_30default_config_static_selectorELNS0_4arch9wavefront6targetE1EEEvT1_
	.globl	_ZN7rocprim17ROCPRIM_400000_NS6detail17trampoline_kernelINS0_14default_configENS1_29reduce_by_key_config_selectorIN3c104HalfElN6thrust23THRUST_200600_302600_NS4plusIlEEEEZZNS1_33reduce_by_key_impl_wrapped_configILNS1_25lookback_scan_determinismE0ES3_SB_PS6_NS8_17constant_iteratorIiNS8_11use_defaultESG_EENS8_10device_ptrIS6_EENSI_IlEEPmSA_NS8_8equal_toIS6_EEEE10hipError_tPvRmT2_T3_mT4_T5_T6_T7_T8_P12ihipStream_tbENKUlT_T0_E_clISt17integral_constantIbLb1EES15_EEDaS10_S11_EUlS10_E_NS1_11comp_targetILNS1_3genE8ELNS1_11target_archE1030ELNS1_3gpuE2ELNS1_3repE0EEENS1_30default_config_static_selectorELNS0_4arch9wavefront6targetE1EEEvT1_
	.p2align	8
	.type	_ZN7rocprim17ROCPRIM_400000_NS6detail17trampoline_kernelINS0_14default_configENS1_29reduce_by_key_config_selectorIN3c104HalfElN6thrust23THRUST_200600_302600_NS4plusIlEEEEZZNS1_33reduce_by_key_impl_wrapped_configILNS1_25lookback_scan_determinismE0ES3_SB_PS6_NS8_17constant_iteratorIiNS8_11use_defaultESG_EENS8_10device_ptrIS6_EENSI_IlEEPmSA_NS8_8equal_toIS6_EEEE10hipError_tPvRmT2_T3_mT4_T5_T6_T7_T8_P12ihipStream_tbENKUlT_T0_E_clISt17integral_constantIbLb1EES15_EEDaS10_S11_EUlS10_E_NS1_11comp_targetILNS1_3genE8ELNS1_11target_archE1030ELNS1_3gpuE2ELNS1_3repE0EEENS1_30default_config_static_selectorELNS0_4arch9wavefront6targetE1EEEvT1_,@function
_ZN7rocprim17ROCPRIM_400000_NS6detail17trampoline_kernelINS0_14default_configENS1_29reduce_by_key_config_selectorIN3c104HalfElN6thrust23THRUST_200600_302600_NS4plusIlEEEEZZNS1_33reduce_by_key_impl_wrapped_configILNS1_25lookback_scan_determinismE0ES3_SB_PS6_NS8_17constant_iteratorIiNS8_11use_defaultESG_EENS8_10device_ptrIS6_EENSI_IlEEPmSA_NS8_8equal_toIS6_EEEE10hipError_tPvRmT2_T3_mT4_T5_T6_T7_T8_P12ihipStream_tbENKUlT_T0_E_clISt17integral_constantIbLb1EES15_EEDaS10_S11_EUlS10_E_NS1_11comp_targetILNS1_3genE8ELNS1_11target_archE1030ELNS1_3gpuE2ELNS1_3repE0EEENS1_30default_config_static_selectorELNS0_4arch9wavefront6targetE1EEEvT1_: ; @_ZN7rocprim17ROCPRIM_400000_NS6detail17trampoline_kernelINS0_14default_configENS1_29reduce_by_key_config_selectorIN3c104HalfElN6thrust23THRUST_200600_302600_NS4plusIlEEEEZZNS1_33reduce_by_key_impl_wrapped_configILNS1_25lookback_scan_determinismE0ES3_SB_PS6_NS8_17constant_iteratorIiNS8_11use_defaultESG_EENS8_10device_ptrIS6_EENSI_IlEEPmSA_NS8_8equal_toIS6_EEEE10hipError_tPvRmT2_T3_mT4_T5_T6_T7_T8_P12ihipStream_tbENKUlT_T0_E_clISt17integral_constantIbLb1EES15_EEDaS10_S11_EUlS10_E_NS1_11comp_targetILNS1_3genE8ELNS1_11target_archE1030ELNS1_3gpuE2ELNS1_3repE0EEENS1_30default_config_static_selectorELNS0_4arch9wavefront6targetE1EEEvT1_
; %bb.0:
	.section	.rodata,"a",@progbits
	.p2align	6, 0x0
	.amdhsa_kernel _ZN7rocprim17ROCPRIM_400000_NS6detail17trampoline_kernelINS0_14default_configENS1_29reduce_by_key_config_selectorIN3c104HalfElN6thrust23THRUST_200600_302600_NS4plusIlEEEEZZNS1_33reduce_by_key_impl_wrapped_configILNS1_25lookback_scan_determinismE0ES3_SB_PS6_NS8_17constant_iteratorIiNS8_11use_defaultESG_EENS8_10device_ptrIS6_EENSI_IlEEPmSA_NS8_8equal_toIS6_EEEE10hipError_tPvRmT2_T3_mT4_T5_T6_T7_T8_P12ihipStream_tbENKUlT_T0_E_clISt17integral_constantIbLb1EES15_EEDaS10_S11_EUlS10_E_NS1_11comp_targetILNS1_3genE8ELNS1_11target_archE1030ELNS1_3gpuE2ELNS1_3repE0EEENS1_30default_config_static_selectorELNS0_4arch9wavefront6targetE1EEEvT1_
		.amdhsa_group_segment_fixed_size 0
		.amdhsa_private_segment_fixed_size 0
		.amdhsa_kernarg_size 144
		.amdhsa_user_sgpr_count 6
		.amdhsa_user_sgpr_private_segment_buffer 1
		.amdhsa_user_sgpr_dispatch_ptr 0
		.amdhsa_user_sgpr_queue_ptr 0
		.amdhsa_user_sgpr_kernarg_segment_ptr 1
		.amdhsa_user_sgpr_dispatch_id 0
		.amdhsa_user_sgpr_flat_scratch_init 0
		.amdhsa_user_sgpr_kernarg_preload_length 0
		.amdhsa_user_sgpr_kernarg_preload_offset 0
		.amdhsa_user_sgpr_private_segment_size 0
		.amdhsa_uses_dynamic_stack 0
		.amdhsa_system_sgpr_private_segment_wavefront_offset 0
		.amdhsa_system_sgpr_workgroup_id_x 1
		.amdhsa_system_sgpr_workgroup_id_y 0
		.amdhsa_system_sgpr_workgroup_id_z 0
		.amdhsa_system_sgpr_workgroup_info 0
		.amdhsa_system_vgpr_workitem_id 0
		.amdhsa_next_free_vgpr 1
		.amdhsa_next_free_sgpr 0
		.amdhsa_accum_offset 4
		.amdhsa_reserve_vcc 0
		.amdhsa_reserve_flat_scratch 0
		.amdhsa_float_round_mode_32 0
		.amdhsa_float_round_mode_16_64 0
		.amdhsa_float_denorm_mode_32 3
		.amdhsa_float_denorm_mode_16_64 3
		.amdhsa_dx10_clamp 1
		.amdhsa_ieee_mode 1
		.amdhsa_fp16_overflow 0
		.amdhsa_tg_split 0
		.amdhsa_exception_fp_ieee_invalid_op 0
		.amdhsa_exception_fp_denorm_src 0
		.amdhsa_exception_fp_ieee_div_zero 0
		.amdhsa_exception_fp_ieee_overflow 0
		.amdhsa_exception_fp_ieee_underflow 0
		.amdhsa_exception_fp_ieee_inexact 0
		.amdhsa_exception_int_div_zero 0
	.end_amdhsa_kernel
	.section	.text._ZN7rocprim17ROCPRIM_400000_NS6detail17trampoline_kernelINS0_14default_configENS1_29reduce_by_key_config_selectorIN3c104HalfElN6thrust23THRUST_200600_302600_NS4plusIlEEEEZZNS1_33reduce_by_key_impl_wrapped_configILNS1_25lookback_scan_determinismE0ES3_SB_PS6_NS8_17constant_iteratorIiNS8_11use_defaultESG_EENS8_10device_ptrIS6_EENSI_IlEEPmSA_NS8_8equal_toIS6_EEEE10hipError_tPvRmT2_T3_mT4_T5_T6_T7_T8_P12ihipStream_tbENKUlT_T0_E_clISt17integral_constantIbLb1EES15_EEDaS10_S11_EUlS10_E_NS1_11comp_targetILNS1_3genE8ELNS1_11target_archE1030ELNS1_3gpuE2ELNS1_3repE0EEENS1_30default_config_static_selectorELNS0_4arch9wavefront6targetE1EEEvT1_,"axG",@progbits,_ZN7rocprim17ROCPRIM_400000_NS6detail17trampoline_kernelINS0_14default_configENS1_29reduce_by_key_config_selectorIN3c104HalfElN6thrust23THRUST_200600_302600_NS4plusIlEEEEZZNS1_33reduce_by_key_impl_wrapped_configILNS1_25lookback_scan_determinismE0ES3_SB_PS6_NS8_17constant_iteratorIiNS8_11use_defaultESG_EENS8_10device_ptrIS6_EENSI_IlEEPmSA_NS8_8equal_toIS6_EEEE10hipError_tPvRmT2_T3_mT4_T5_T6_T7_T8_P12ihipStream_tbENKUlT_T0_E_clISt17integral_constantIbLb1EES15_EEDaS10_S11_EUlS10_E_NS1_11comp_targetILNS1_3genE8ELNS1_11target_archE1030ELNS1_3gpuE2ELNS1_3repE0EEENS1_30default_config_static_selectorELNS0_4arch9wavefront6targetE1EEEvT1_,comdat
.Lfunc_end2217:
	.size	_ZN7rocprim17ROCPRIM_400000_NS6detail17trampoline_kernelINS0_14default_configENS1_29reduce_by_key_config_selectorIN3c104HalfElN6thrust23THRUST_200600_302600_NS4plusIlEEEEZZNS1_33reduce_by_key_impl_wrapped_configILNS1_25lookback_scan_determinismE0ES3_SB_PS6_NS8_17constant_iteratorIiNS8_11use_defaultESG_EENS8_10device_ptrIS6_EENSI_IlEEPmSA_NS8_8equal_toIS6_EEEE10hipError_tPvRmT2_T3_mT4_T5_T6_T7_T8_P12ihipStream_tbENKUlT_T0_E_clISt17integral_constantIbLb1EES15_EEDaS10_S11_EUlS10_E_NS1_11comp_targetILNS1_3genE8ELNS1_11target_archE1030ELNS1_3gpuE2ELNS1_3repE0EEENS1_30default_config_static_selectorELNS0_4arch9wavefront6targetE1EEEvT1_, .Lfunc_end2217-_ZN7rocprim17ROCPRIM_400000_NS6detail17trampoline_kernelINS0_14default_configENS1_29reduce_by_key_config_selectorIN3c104HalfElN6thrust23THRUST_200600_302600_NS4plusIlEEEEZZNS1_33reduce_by_key_impl_wrapped_configILNS1_25lookback_scan_determinismE0ES3_SB_PS6_NS8_17constant_iteratorIiNS8_11use_defaultESG_EENS8_10device_ptrIS6_EENSI_IlEEPmSA_NS8_8equal_toIS6_EEEE10hipError_tPvRmT2_T3_mT4_T5_T6_T7_T8_P12ihipStream_tbENKUlT_T0_E_clISt17integral_constantIbLb1EES15_EEDaS10_S11_EUlS10_E_NS1_11comp_targetILNS1_3genE8ELNS1_11target_archE1030ELNS1_3gpuE2ELNS1_3repE0EEENS1_30default_config_static_selectorELNS0_4arch9wavefront6targetE1EEEvT1_
                                        ; -- End function
	.section	.AMDGPU.csdata,"",@progbits
; Kernel info:
; codeLenInByte = 0
; NumSgprs: 4
; NumVgprs: 0
; NumAgprs: 0
; TotalNumVgprs: 0
; ScratchSize: 0
; MemoryBound: 0
; FloatMode: 240
; IeeeMode: 1
; LDSByteSize: 0 bytes/workgroup (compile time only)
; SGPRBlocks: 0
; VGPRBlocks: 0
; NumSGPRsForWavesPerEU: 4
; NumVGPRsForWavesPerEU: 1
; AccumOffset: 4
; Occupancy: 8
; WaveLimiterHint : 0
; COMPUTE_PGM_RSRC2:SCRATCH_EN: 0
; COMPUTE_PGM_RSRC2:USER_SGPR: 6
; COMPUTE_PGM_RSRC2:TRAP_HANDLER: 0
; COMPUTE_PGM_RSRC2:TGID_X_EN: 1
; COMPUTE_PGM_RSRC2:TGID_Y_EN: 0
; COMPUTE_PGM_RSRC2:TGID_Z_EN: 0
; COMPUTE_PGM_RSRC2:TIDIG_COMP_CNT: 0
; COMPUTE_PGM_RSRC3_GFX90A:ACCUM_OFFSET: 0
; COMPUTE_PGM_RSRC3_GFX90A:TG_SPLIT: 0
	.section	.text._ZN7rocprim17ROCPRIM_400000_NS6detail17trampoline_kernelINS0_14default_configENS1_29reduce_by_key_config_selectorIN3c104HalfElN6thrust23THRUST_200600_302600_NS4plusIlEEEEZZNS1_33reduce_by_key_impl_wrapped_configILNS1_25lookback_scan_determinismE0ES3_SB_PS6_NS8_17constant_iteratorIiNS8_11use_defaultESG_EENS8_10device_ptrIS6_EENSI_IlEEPmSA_NS8_8equal_toIS6_EEEE10hipError_tPvRmT2_T3_mT4_T5_T6_T7_T8_P12ihipStream_tbENKUlT_T0_E_clISt17integral_constantIbLb1EES14_IbLb0EEEEDaS10_S11_EUlS10_E_NS1_11comp_targetILNS1_3genE0ELNS1_11target_archE4294967295ELNS1_3gpuE0ELNS1_3repE0EEENS1_30default_config_static_selectorELNS0_4arch9wavefront6targetE1EEEvT1_,"axG",@progbits,_ZN7rocprim17ROCPRIM_400000_NS6detail17trampoline_kernelINS0_14default_configENS1_29reduce_by_key_config_selectorIN3c104HalfElN6thrust23THRUST_200600_302600_NS4plusIlEEEEZZNS1_33reduce_by_key_impl_wrapped_configILNS1_25lookback_scan_determinismE0ES3_SB_PS6_NS8_17constant_iteratorIiNS8_11use_defaultESG_EENS8_10device_ptrIS6_EENSI_IlEEPmSA_NS8_8equal_toIS6_EEEE10hipError_tPvRmT2_T3_mT4_T5_T6_T7_T8_P12ihipStream_tbENKUlT_T0_E_clISt17integral_constantIbLb1EES14_IbLb0EEEEDaS10_S11_EUlS10_E_NS1_11comp_targetILNS1_3genE0ELNS1_11target_archE4294967295ELNS1_3gpuE0ELNS1_3repE0EEENS1_30default_config_static_selectorELNS0_4arch9wavefront6targetE1EEEvT1_,comdat
	.protected	_ZN7rocprim17ROCPRIM_400000_NS6detail17trampoline_kernelINS0_14default_configENS1_29reduce_by_key_config_selectorIN3c104HalfElN6thrust23THRUST_200600_302600_NS4plusIlEEEEZZNS1_33reduce_by_key_impl_wrapped_configILNS1_25lookback_scan_determinismE0ES3_SB_PS6_NS8_17constant_iteratorIiNS8_11use_defaultESG_EENS8_10device_ptrIS6_EENSI_IlEEPmSA_NS8_8equal_toIS6_EEEE10hipError_tPvRmT2_T3_mT4_T5_T6_T7_T8_P12ihipStream_tbENKUlT_T0_E_clISt17integral_constantIbLb1EES14_IbLb0EEEEDaS10_S11_EUlS10_E_NS1_11comp_targetILNS1_3genE0ELNS1_11target_archE4294967295ELNS1_3gpuE0ELNS1_3repE0EEENS1_30default_config_static_selectorELNS0_4arch9wavefront6targetE1EEEvT1_ ; -- Begin function _ZN7rocprim17ROCPRIM_400000_NS6detail17trampoline_kernelINS0_14default_configENS1_29reduce_by_key_config_selectorIN3c104HalfElN6thrust23THRUST_200600_302600_NS4plusIlEEEEZZNS1_33reduce_by_key_impl_wrapped_configILNS1_25lookback_scan_determinismE0ES3_SB_PS6_NS8_17constant_iteratorIiNS8_11use_defaultESG_EENS8_10device_ptrIS6_EENSI_IlEEPmSA_NS8_8equal_toIS6_EEEE10hipError_tPvRmT2_T3_mT4_T5_T6_T7_T8_P12ihipStream_tbENKUlT_T0_E_clISt17integral_constantIbLb1EES14_IbLb0EEEEDaS10_S11_EUlS10_E_NS1_11comp_targetILNS1_3genE0ELNS1_11target_archE4294967295ELNS1_3gpuE0ELNS1_3repE0EEENS1_30default_config_static_selectorELNS0_4arch9wavefront6targetE1EEEvT1_
	.globl	_ZN7rocprim17ROCPRIM_400000_NS6detail17trampoline_kernelINS0_14default_configENS1_29reduce_by_key_config_selectorIN3c104HalfElN6thrust23THRUST_200600_302600_NS4plusIlEEEEZZNS1_33reduce_by_key_impl_wrapped_configILNS1_25lookback_scan_determinismE0ES3_SB_PS6_NS8_17constant_iteratorIiNS8_11use_defaultESG_EENS8_10device_ptrIS6_EENSI_IlEEPmSA_NS8_8equal_toIS6_EEEE10hipError_tPvRmT2_T3_mT4_T5_T6_T7_T8_P12ihipStream_tbENKUlT_T0_E_clISt17integral_constantIbLb1EES14_IbLb0EEEEDaS10_S11_EUlS10_E_NS1_11comp_targetILNS1_3genE0ELNS1_11target_archE4294967295ELNS1_3gpuE0ELNS1_3repE0EEENS1_30default_config_static_selectorELNS0_4arch9wavefront6targetE1EEEvT1_
	.p2align	8
	.type	_ZN7rocprim17ROCPRIM_400000_NS6detail17trampoline_kernelINS0_14default_configENS1_29reduce_by_key_config_selectorIN3c104HalfElN6thrust23THRUST_200600_302600_NS4plusIlEEEEZZNS1_33reduce_by_key_impl_wrapped_configILNS1_25lookback_scan_determinismE0ES3_SB_PS6_NS8_17constant_iteratorIiNS8_11use_defaultESG_EENS8_10device_ptrIS6_EENSI_IlEEPmSA_NS8_8equal_toIS6_EEEE10hipError_tPvRmT2_T3_mT4_T5_T6_T7_T8_P12ihipStream_tbENKUlT_T0_E_clISt17integral_constantIbLb1EES14_IbLb0EEEEDaS10_S11_EUlS10_E_NS1_11comp_targetILNS1_3genE0ELNS1_11target_archE4294967295ELNS1_3gpuE0ELNS1_3repE0EEENS1_30default_config_static_selectorELNS0_4arch9wavefront6targetE1EEEvT1_,@function
_ZN7rocprim17ROCPRIM_400000_NS6detail17trampoline_kernelINS0_14default_configENS1_29reduce_by_key_config_selectorIN3c104HalfElN6thrust23THRUST_200600_302600_NS4plusIlEEEEZZNS1_33reduce_by_key_impl_wrapped_configILNS1_25lookback_scan_determinismE0ES3_SB_PS6_NS8_17constant_iteratorIiNS8_11use_defaultESG_EENS8_10device_ptrIS6_EENSI_IlEEPmSA_NS8_8equal_toIS6_EEEE10hipError_tPvRmT2_T3_mT4_T5_T6_T7_T8_P12ihipStream_tbENKUlT_T0_E_clISt17integral_constantIbLb1EES14_IbLb0EEEEDaS10_S11_EUlS10_E_NS1_11comp_targetILNS1_3genE0ELNS1_11target_archE4294967295ELNS1_3gpuE0ELNS1_3repE0EEENS1_30default_config_static_selectorELNS0_4arch9wavefront6targetE1EEEvT1_: ; @_ZN7rocprim17ROCPRIM_400000_NS6detail17trampoline_kernelINS0_14default_configENS1_29reduce_by_key_config_selectorIN3c104HalfElN6thrust23THRUST_200600_302600_NS4plusIlEEEEZZNS1_33reduce_by_key_impl_wrapped_configILNS1_25lookback_scan_determinismE0ES3_SB_PS6_NS8_17constant_iteratorIiNS8_11use_defaultESG_EENS8_10device_ptrIS6_EENSI_IlEEPmSA_NS8_8equal_toIS6_EEEE10hipError_tPvRmT2_T3_mT4_T5_T6_T7_T8_P12ihipStream_tbENKUlT_T0_E_clISt17integral_constantIbLb1EES14_IbLb0EEEEDaS10_S11_EUlS10_E_NS1_11comp_targetILNS1_3genE0ELNS1_11target_archE4294967295ELNS1_3gpuE0ELNS1_3repE0EEENS1_30default_config_static_selectorELNS0_4arch9wavefront6targetE1EEEvT1_
; %bb.0:
	.section	.rodata,"a",@progbits
	.p2align	6, 0x0
	.amdhsa_kernel _ZN7rocprim17ROCPRIM_400000_NS6detail17trampoline_kernelINS0_14default_configENS1_29reduce_by_key_config_selectorIN3c104HalfElN6thrust23THRUST_200600_302600_NS4plusIlEEEEZZNS1_33reduce_by_key_impl_wrapped_configILNS1_25lookback_scan_determinismE0ES3_SB_PS6_NS8_17constant_iteratorIiNS8_11use_defaultESG_EENS8_10device_ptrIS6_EENSI_IlEEPmSA_NS8_8equal_toIS6_EEEE10hipError_tPvRmT2_T3_mT4_T5_T6_T7_T8_P12ihipStream_tbENKUlT_T0_E_clISt17integral_constantIbLb1EES14_IbLb0EEEEDaS10_S11_EUlS10_E_NS1_11comp_targetILNS1_3genE0ELNS1_11target_archE4294967295ELNS1_3gpuE0ELNS1_3repE0EEENS1_30default_config_static_selectorELNS0_4arch9wavefront6targetE1EEEvT1_
		.amdhsa_group_segment_fixed_size 0
		.amdhsa_private_segment_fixed_size 0
		.amdhsa_kernarg_size 144
		.amdhsa_user_sgpr_count 6
		.amdhsa_user_sgpr_private_segment_buffer 1
		.amdhsa_user_sgpr_dispatch_ptr 0
		.amdhsa_user_sgpr_queue_ptr 0
		.amdhsa_user_sgpr_kernarg_segment_ptr 1
		.amdhsa_user_sgpr_dispatch_id 0
		.amdhsa_user_sgpr_flat_scratch_init 0
		.amdhsa_user_sgpr_kernarg_preload_length 0
		.amdhsa_user_sgpr_kernarg_preload_offset 0
		.amdhsa_user_sgpr_private_segment_size 0
		.amdhsa_uses_dynamic_stack 0
		.amdhsa_system_sgpr_private_segment_wavefront_offset 0
		.amdhsa_system_sgpr_workgroup_id_x 1
		.amdhsa_system_sgpr_workgroup_id_y 0
		.amdhsa_system_sgpr_workgroup_id_z 0
		.amdhsa_system_sgpr_workgroup_info 0
		.amdhsa_system_vgpr_workitem_id 0
		.amdhsa_next_free_vgpr 1
		.amdhsa_next_free_sgpr 0
		.amdhsa_accum_offset 4
		.amdhsa_reserve_vcc 0
		.amdhsa_reserve_flat_scratch 0
		.amdhsa_float_round_mode_32 0
		.amdhsa_float_round_mode_16_64 0
		.amdhsa_float_denorm_mode_32 3
		.amdhsa_float_denorm_mode_16_64 3
		.amdhsa_dx10_clamp 1
		.amdhsa_ieee_mode 1
		.amdhsa_fp16_overflow 0
		.amdhsa_tg_split 0
		.amdhsa_exception_fp_ieee_invalid_op 0
		.amdhsa_exception_fp_denorm_src 0
		.amdhsa_exception_fp_ieee_div_zero 0
		.amdhsa_exception_fp_ieee_overflow 0
		.amdhsa_exception_fp_ieee_underflow 0
		.amdhsa_exception_fp_ieee_inexact 0
		.amdhsa_exception_int_div_zero 0
	.end_amdhsa_kernel
	.section	.text._ZN7rocprim17ROCPRIM_400000_NS6detail17trampoline_kernelINS0_14default_configENS1_29reduce_by_key_config_selectorIN3c104HalfElN6thrust23THRUST_200600_302600_NS4plusIlEEEEZZNS1_33reduce_by_key_impl_wrapped_configILNS1_25lookback_scan_determinismE0ES3_SB_PS6_NS8_17constant_iteratorIiNS8_11use_defaultESG_EENS8_10device_ptrIS6_EENSI_IlEEPmSA_NS8_8equal_toIS6_EEEE10hipError_tPvRmT2_T3_mT4_T5_T6_T7_T8_P12ihipStream_tbENKUlT_T0_E_clISt17integral_constantIbLb1EES14_IbLb0EEEEDaS10_S11_EUlS10_E_NS1_11comp_targetILNS1_3genE0ELNS1_11target_archE4294967295ELNS1_3gpuE0ELNS1_3repE0EEENS1_30default_config_static_selectorELNS0_4arch9wavefront6targetE1EEEvT1_,"axG",@progbits,_ZN7rocprim17ROCPRIM_400000_NS6detail17trampoline_kernelINS0_14default_configENS1_29reduce_by_key_config_selectorIN3c104HalfElN6thrust23THRUST_200600_302600_NS4plusIlEEEEZZNS1_33reduce_by_key_impl_wrapped_configILNS1_25lookback_scan_determinismE0ES3_SB_PS6_NS8_17constant_iteratorIiNS8_11use_defaultESG_EENS8_10device_ptrIS6_EENSI_IlEEPmSA_NS8_8equal_toIS6_EEEE10hipError_tPvRmT2_T3_mT4_T5_T6_T7_T8_P12ihipStream_tbENKUlT_T0_E_clISt17integral_constantIbLb1EES14_IbLb0EEEEDaS10_S11_EUlS10_E_NS1_11comp_targetILNS1_3genE0ELNS1_11target_archE4294967295ELNS1_3gpuE0ELNS1_3repE0EEENS1_30default_config_static_selectorELNS0_4arch9wavefront6targetE1EEEvT1_,comdat
.Lfunc_end2218:
	.size	_ZN7rocprim17ROCPRIM_400000_NS6detail17trampoline_kernelINS0_14default_configENS1_29reduce_by_key_config_selectorIN3c104HalfElN6thrust23THRUST_200600_302600_NS4plusIlEEEEZZNS1_33reduce_by_key_impl_wrapped_configILNS1_25lookback_scan_determinismE0ES3_SB_PS6_NS8_17constant_iteratorIiNS8_11use_defaultESG_EENS8_10device_ptrIS6_EENSI_IlEEPmSA_NS8_8equal_toIS6_EEEE10hipError_tPvRmT2_T3_mT4_T5_T6_T7_T8_P12ihipStream_tbENKUlT_T0_E_clISt17integral_constantIbLb1EES14_IbLb0EEEEDaS10_S11_EUlS10_E_NS1_11comp_targetILNS1_3genE0ELNS1_11target_archE4294967295ELNS1_3gpuE0ELNS1_3repE0EEENS1_30default_config_static_selectorELNS0_4arch9wavefront6targetE1EEEvT1_, .Lfunc_end2218-_ZN7rocprim17ROCPRIM_400000_NS6detail17trampoline_kernelINS0_14default_configENS1_29reduce_by_key_config_selectorIN3c104HalfElN6thrust23THRUST_200600_302600_NS4plusIlEEEEZZNS1_33reduce_by_key_impl_wrapped_configILNS1_25lookback_scan_determinismE0ES3_SB_PS6_NS8_17constant_iteratorIiNS8_11use_defaultESG_EENS8_10device_ptrIS6_EENSI_IlEEPmSA_NS8_8equal_toIS6_EEEE10hipError_tPvRmT2_T3_mT4_T5_T6_T7_T8_P12ihipStream_tbENKUlT_T0_E_clISt17integral_constantIbLb1EES14_IbLb0EEEEDaS10_S11_EUlS10_E_NS1_11comp_targetILNS1_3genE0ELNS1_11target_archE4294967295ELNS1_3gpuE0ELNS1_3repE0EEENS1_30default_config_static_selectorELNS0_4arch9wavefront6targetE1EEEvT1_
                                        ; -- End function
	.section	.AMDGPU.csdata,"",@progbits
; Kernel info:
; codeLenInByte = 0
; NumSgprs: 4
; NumVgprs: 0
; NumAgprs: 0
; TotalNumVgprs: 0
; ScratchSize: 0
; MemoryBound: 0
; FloatMode: 240
; IeeeMode: 1
; LDSByteSize: 0 bytes/workgroup (compile time only)
; SGPRBlocks: 0
; VGPRBlocks: 0
; NumSGPRsForWavesPerEU: 4
; NumVGPRsForWavesPerEU: 1
; AccumOffset: 4
; Occupancy: 8
; WaveLimiterHint : 0
; COMPUTE_PGM_RSRC2:SCRATCH_EN: 0
; COMPUTE_PGM_RSRC2:USER_SGPR: 6
; COMPUTE_PGM_RSRC2:TRAP_HANDLER: 0
; COMPUTE_PGM_RSRC2:TGID_X_EN: 1
; COMPUTE_PGM_RSRC2:TGID_Y_EN: 0
; COMPUTE_PGM_RSRC2:TGID_Z_EN: 0
; COMPUTE_PGM_RSRC2:TIDIG_COMP_CNT: 0
; COMPUTE_PGM_RSRC3_GFX90A:ACCUM_OFFSET: 0
; COMPUTE_PGM_RSRC3_GFX90A:TG_SPLIT: 0
	.section	.text._ZN7rocprim17ROCPRIM_400000_NS6detail17trampoline_kernelINS0_14default_configENS1_29reduce_by_key_config_selectorIN3c104HalfElN6thrust23THRUST_200600_302600_NS4plusIlEEEEZZNS1_33reduce_by_key_impl_wrapped_configILNS1_25lookback_scan_determinismE0ES3_SB_PS6_NS8_17constant_iteratorIiNS8_11use_defaultESG_EENS8_10device_ptrIS6_EENSI_IlEEPmSA_NS8_8equal_toIS6_EEEE10hipError_tPvRmT2_T3_mT4_T5_T6_T7_T8_P12ihipStream_tbENKUlT_T0_E_clISt17integral_constantIbLb1EES14_IbLb0EEEEDaS10_S11_EUlS10_E_NS1_11comp_targetILNS1_3genE5ELNS1_11target_archE942ELNS1_3gpuE9ELNS1_3repE0EEENS1_30default_config_static_selectorELNS0_4arch9wavefront6targetE1EEEvT1_,"axG",@progbits,_ZN7rocprim17ROCPRIM_400000_NS6detail17trampoline_kernelINS0_14default_configENS1_29reduce_by_key_config_selectorIN3c104HalfElN6thrust23THRUST_200600_302600_NS4plusIlEEEEZZNS1_33reduce_by_key_impl_wrapped_configILNS1_25lookback_scan_determinismE0ES3_SB_PS6_NS8_17constant_iteratorIiNS8_11use_defaultESG_EENS8_10device_ptrIS6_EENSI_IlEEPmSA_NS8_8equal_toIS6_EEEE10hipError_tPvRmT2_T3_mT4_T5_T6_T7_T8_P12ihipStream_tbENKUlT_T0_E_clISt17integral_constantIbLb1EES14_IbLb0EEEEDaS10_S11_EUlS10_E_NS1_11comp_targetILNS1_3genE5ELNS1_11target_archE942ELNS1_3gpuE9ELNS1_3repE0EEENS1_30default_config_static_selectorELNS0_4arch9wavefront6targetE1EEEvT1_,comdat
	.protected	_ZN7rocprim17ROCPRIM_400000_NS6detail17trampoline_kernelINS0_14default_configENS1_29reduce_by_key_config_selectorIN3c104HalfElN6thrust23THRUST_200600_302600_NS4plusIlEEEEZZNS1_33reduce_by_key_impl_wrapped_configILNS1_25lookback_scan_determinismE0ES3_SB_PS6_NS8_17constant_iteratorIiNS8_11use_defaultESG_EENS8_10device_ptrIS6_EENSI_IlEEPmSA_NS8_8equal_toIS6_EEEE10hipError_tPvRmT2_T3_mT4_T5_T6_T7_T8_P12ihipStream_tbENKUlT_T0_E_clISt17integral_constantIbLb1EES14_IbLb0EEEEDaS10_S11_EUlS10_E_NS1_11comp_targetILNS1_3genE5ELNS1_11target_archE942ELNS1_3gpuE9ELNS1_3repE0EEENS1_30default_config_static_selectorELNS0_4arch9wavefront6targetE1EEEvT1_ ; -- Begin function _ZN7rocprim17ROCPRIM_400000_NS6detail17trampoline_kernelINS0_14default_configENS1_29reduce_by_key_config_selectorIN3c104HalfElN6thrust23THRUST_200600_302600_NS4plusIlEEEEZZNS1_33reduce_by_key_impl_wrapped_configILNS1_25lookback_scan_determinismE0ES3_SB_PS6_NS8_17constant_iteratorIiNS8_11use_defaultESG_EENS8_10device_ptrIS6_EENSI_IlEEPmSA_NS8_8equal_toIS6_EEEE10hipError_tPvRmT2_T3_mT4_T5_T6_T7_T8_P12ihipStream_tbENKUlT_T0_E_clISt17integral_constantIbLb1EES14_IbLb0EEEEDaS10_S11_EUlS10_E_NS1_11comp_targetILNS1_3genE5ELNS1_11target_archE942ELNS1_3gpuE9ELNS1_3repE0EEENS1_30default_config_static_selectorELNS0_4arch9wavefront6targetE1EEEvT1_
	.globl	_ZN7rocprim17ROCPRIM_400000_NS6detail17trampoline_kernelINS0_14default_configENS1_29reduce_by_key_config_selectorIN3c104HalfElN6thrust23THRUST_200600_302600_NS4plusIlEEEEZZNS1_33reduce_by_key_impl_wrapped_configILNS1_25lookback_scan_determinismE0ES3_SB_PS6_NS8_17constant_iteratorIiNS8_11use_defaultESG_EENS8_10device_ptrIS6_EENSI_IlEEPmSA_NS8_8equal_toIS6_EEEE10hipError_tPvRmT2_T3_mT4_T5_T6_T7_T8_P12ihipStream_tbENKUlT_T0_E_clISt17integral_constantIbLb1EES14_IbLb0EEEEDaS10_S11_EUlS10_E_NS1_11comp_targetILNS1_3genE5ELNS1_11target_archE942ELNS1_3gpuE9ELNS1_3repE0EEENS1_30default_config_static_selectorELNS0_4arch9wavefront6targetE1EEEvT1_
	.p2align	8
	.type	_ZN7rocprim17ROCPRIM_400000_NS6detail17trampoline_kernelINS0_14default_configENS1_29reduce_by_key_config_selectorIN3c104HalfElN6thrust23THRUST_200600_302600_NS4plusIlEEEEZZNS1_33reduce_by_key_impl_wrapped_configILNS1_25lookback_scan_determinismE0ES3_SB_PS6_NS8_17constant_iteratorIiNS8_11use_defaultESG_EENS8_10device_ptrIS6_EENSI_IlEEPmSA_NS8_8equal_toIS6_EEEE10hipError_tPvRmT2_T3_mT4_T5_T6_T7_T8_P12ihipStream_tbENKUlT_T0_E_clISt17integral_constantIbLb1EES14_IbLb0EEEEDaS10_S11_EUlS10_E_NS1_11comp_targetILNS1_3genE5ELNS1_11target_archE942ELNS1_3gpuE9ELNS1_3repE0EEENS1_30default_config_static_selectorELNS0_4arch9wavefront6targetE1EEEvT1_,@function
_ZN7rocprim17ROCPRIM_400000_NS6detail17trampoline_kernelINS0_14default_configENS1_29reduce_by_key_config_selectorIN3c104HalfElN6thrust23THRUST_200600_302600_NS4plusIlEEEEZZNS1_33reduce_by_key_impl_wrapped_configILNS1_25lookback_scan_determinismE0ES3_SB_PS6_NS8_17constant_iteratorIiNS8_11use_defaultESG_EENS8_10device_ptrIS6_EENSI_IlEEPmSA_NS8_8equal_toIS6_EEEE10hipError_tPvRmT2_T3_mT4_T5_T6_T7_T8_P12ihipStream_tbENKUlT_T0_E_clISt17integral_constantIbLb1EES14_IbLb0EEEEDaS10_S11_EUlS10_E_NS1_11comp_targetILNS1_3genE5ELNS1_11target_archE942ELNS1_3gpuE9ELNS1_3repE0EEENS1_30default_config_static_selectorELNS0_4arch9wavefront6targetE1EEEvT1_: ; @_ZN7rocprim17ROCPRIM_400000_NS6detail17trampoline_kernelINS0_14default_configENS1_29reduce_by_key_config_selectorIN3c104HalfElN6thrust23THRUST_200600_302600_NS4plusIlEEEEZZNS1_33reduce_by_key_impl_wrapped_configILNS1_25lookback_scan_determinismE0ES3_SB_PS6_NS8_17constant_iteratorIiNS8_11use_defaultESG_EENS8_10device_ptrIS6_EENSI_IlEEPmSA_NS8_8equal_toIS6_EEEE10hipError_tPvRmT2_T3_mT4_T5_T6_T7_T8_P12ihipStream_tbENKUlT_T0_E_clISt17integral_constantIbLb1EES14_IbLb0EEEEDaS10_S11_EUlS10_E_NS1_11comp_targetILNS1_3genE5ELNS1_11target_archE942ELNS1_3gpuE9ELNS1_3repE0EEENS1_30default_config_static_selectorELNS0_4arch9wavefront6targetE1EEEvT1_
; %bb.0:
	.section	.rodata,"a",@progbits
	.p2align	6, 0x0
	.amdhsa_kernel _ZN7rocprim17ROCPRIM_400000_NS6detail17trampoline_kernelINS0_14default_configENS1_29reduce_by_key_config_selectorIN3c104HalfElN6thrust23THRUST_200600_302600_NS4plusIlEEEEZZNS1_33reduce_by_key_impl_wrapped_configILNS1_25lookback_scan_determinismE0ES3_SB_PS6_NS8_17constant_iteratorIiNS8_11use_defaultESG_EENS8_10device_ptrIS6_EENSI_IlEEPmSA_NS8_8equal_toIS6_EEEE10hipError_tPvRmT2_T3_mT4_T5_T6_T7_T8_P12ihipStream_tbENKUlT_T0_E_clISt17integral_constantIbLb1EES14_IbLb0EEEEDaS10_S11_EUlS10_E_NS1_11comp_targetILNS1_3genE5ELNS1_11target_archE942ELNS1_3gpuE9ELNS1_3repE0EEENS1_30default_config_static_selectorELNS0_4arch9wavefront6targetE1EEEvT1_
		.amdhsa_group_segment_fixed_size 0
		.amdhsa_private_segment_fixed_size 0
		.amdhsa_kernarg_size 144
		.amdhsa_user_sgpr_count 6
		.amdhsa_user_sgpr_private_segment_buffer 1
		.amdhsa_user_sgpr_dispatch_ptr 0
		.amdhsa_user_sgpr_queue_ptr 0
		.amdhsa_user_sgpr_kernarg_segment_ptr 1
		.amdhsa_user_sgpr_dispatch_id 0
		.amdhsa_user_sgpr_flat_scratch_init 0
		.amdhsa_user_sgpr_kernarg_preload_length 0
		.amdhsa_user_sgpr_kernarg_preload_offset 0
		.amdhsa_user_sgpr_private_segment_size 0
		.amdhsa_uses_dynamic_stack 0
		.amdhsa_system_sgpr_private_segment_wavefront_offset 0
		.amdhsa_system_sgpr_workgroup_id_x 1
		.amdhsa_system_sgpr_workgroup_id_y 0
		.amdhsa_system_sgpr_workgroup_id_z 0
		.amdhsa_system_sgpr_workgroup_info 0
		.amdhsa_system_vgpr_workitem_id 0
		.amdhsa_next_free_vgpr 1
		.amdhsa_next_free_sgpr 0
		.amdhsa_accum_offset 4
		.amdhsa_reserve_vcc 0
		.amdhsa_reserve_flat_scratch 0
		.amdhsa_float_round_mode_32 0
		.amdhsa_float_round_mode_16_64 0
		.amdhsa_float_denorm_mode_32 3
		.amdhsa_float_denorm_mode_16_64 3
		.amdhsa_dx10_clamp 1
		.amdhsa_ieee_mode 1
		.amdhsa_fp16_overflow 0
		.amdhsa_tg_split 0
		.amdhsa_exception_fp_ieee_invalid_op 0
		.amdhsa_exception_fp_denorm_src 0
		.amdhsa_exception_fp_ieee_div_zero 0
		.amdhsa_exception_fp_ieee_overflow 0
		.amdhsa_exception_fp_ieee_underflow 0
		.amdhsa_exception_fp_ieee_inexact 0
		.amdhsa_exception_int_div_zero 0
	.end_amdhsa_kernel
	.section	.text._ZN7rocprim17ROCPRIM_400000_NS6detail17trampoline_kernelINS0_14default_configENS1_29reduce_by_key_config_selectorIN3c104HalfElN6thrust23THRUST_200600_302600_NS4plusIlEEEEZZNS1_33reduce_by_key_impl_wrapped_configILNS1_25lookback_scan_determinismE0ES3_SB_PS6_NS8_17constant_iteratorIiNS8_11use_defaultESG_EENS8_10device_ptrIS6_EENSI_IlEEPmSA_NS8_8equal_toIS6_EEEE10hipError_tPvRmT2_T3_mT4_T5_T6_T7_T8_P12ihipStream_tbENKUlT_T0_E_clISt17integral_constantIbLb1EES14_IbLb0EEEEDaS10_S11_EUlS10_E_NS1_11comp_targetILNS1_3genE5ELNS1_11target_archE942ELNS1_3gpuE9ELNS1_3repE0EEENS1_30default_config_static_selectorELNS0_4arch9wavefront6targetE1EEEvT1_,"axG",@progbits,_ZN7rocprim17ROCPRIM_400000_NS6detail17trampoline_kernelINS0_14default_configENS1_29reduce_by_key_config_selectorIN3c104HalfElN6thrust23THRUST_200600_302600_NS4plusIlEEEEZZNS1_33reduce_by_key_impl_wrapped_configILNS1_25lookback_scan_determinismE0ES3_SB_PS6_NS8_17constant_iteratorIiNS8_11use_defaultESG_EENS8_10device_ptrIS6_EENSI_IlEEPmSA_NS8_8equal_toIS6_EEEE10hipError_tPvRmT2_T3_mT4_T5_T6_T7_T8_P12ihipStream_tbENKUlT_T0_E_clISt17integral_constantIbLb1EES14_IbLb0EEEEDaS10_S11_EUlS10_E_NS1_11comp_targetILNS1_3genE5ELNS1_11target_archE942ELNS1_3gpuE9ELNS1_3repE0EEENS1_30default_config_static_selectorELNS0_4arch9wavefront6targetE1EEEvT1_,comdat
.Lfunc_end2219:
	.size	_ZN7rocprim17ROCPRIM_400000_NS6detail17trampoline_kernelINS0_14default_configENS1_29reduce_by_key_config_selectorIN3c104HalfElN6thrust23THRUST_200600_302600_NS4plusIlEEEEZZNS1_33reduce_by_key_impl_wrapped_configILNS1_25lookback_scan_determinismE0ES3_SB_PS6_NS8_17constant_iteratorIiNS8_11use_defaultESG_EENS8_10device_ptrIS6_EENSI_IlEEPmSA_NS8_8equal_toIS6_EEEE10hipError_tPvRmT2_T3_mT4_T5_T6_T7_T8_P12ihipStream_tbENKUlT_T0_E_clISt17integral_constantIbLb1EES14_IbLb0EEEEDaS10_S11_EUlS10_E_NS1_11comp_targetILNS1_3genE5ELNS1_11target_archE942ELNS1_3gpuE9ELNS1_3repE0EEENS1_30default_config_static_selectorELNS0_4arch9wavefront6targetE1EEEvT1_, .Lfunc_end2219-_ZN7rocprim17ROCPRIM_400000_NS6detail17trampoline_kernelINS0_14default_configENS1_29reduce_by_key_config_selectorIN3c104HalfElN6thrust23THRUST_200600_302600_NS4plusIlEEEEZZNS1_33reduce_by_key_impl_wrapped_configILNS1_25lookback_scan_determinismE0ES3_SB_PS6_NS8_17constant_iteratorIiNS8_11use_defaultESG_EENS8_10device_ptrIS6_EENSI_IlEEPmSA_NS8_8equal_toIS6_EEEE10hipError_tPvRmT2_T3_mT4_T5_T6_T7_T8_P12ihipStream_tbENKUlT_T0_E_clISt17integral_constantIbLb1EES14_IbLb0EEEEDaS10_S11_EUlS10_E_NS1_11comp_targetILNS1_3genE5ELNS1_11target_archE942ELNS1_3gpuE9ELNS1_3repE0EEENS1_30default_config_static_selectorELNS0_4arch9wavefront6targetE1EEEvT1_
                                        ; -- End function
	.section	.AMDGPU.csdata,"",@progbits
; Kernel info:
; codeLenInByte = 0
; NumSgprs: 4
; NumVgprs: 0
; NumAgprs: 0
; TotalNumVgprs: 0
; ScratchSize: 0
; MemoryBound: 0
; FloatMode: 240
; IeeeMode: 1
; LDSByteSize: 0 bytes/workgroup (compile time only)
; SGPRBlocks: 0
; VGPRBlocks: 0
; NumSGPRsForWavesPerEU: 4
; NumVGPRsForWavesPerEU: 1
; AccumOffset: 4
; Occupancy: 8
; WaveLimiterHint : 0
; COMPUTE_PGM_RSRC2:SCRATCH_EN: 0
; COMPUTE_PGM_RSRC2:USER_SGPR: 6
; COMPUTE_PGM_RSRC2:TRAP_HANDLER: 0
; COMPUTE_PGM_RSRC2:TGID_X_EN: 1
; COMPUTE_PGM_RSRC2:TGID_Y_EN: 0
; COMPUTE_PGM_RSRC2:TGID_Z_EN: 0
; COMPUTE_PGM_RSRC2:TIDIG_COMP_CNT: 0
; COMPUTE_PGM_RSRC3_GFX90A:ACCUM_OFFSET: 0
; COMPUTE_PGM_RSRC3_GFX90A:TG_SPLIT: 0
	.section	.text._ZN7rocprim17ROCPRIM_400000_NS6detail17trampoline_kernelINS0_14default_configENS1_29reduce_by_key_config_selectorIN3c104HalfElN6thrust23THRUST_200600_302600_NS4plusIlEEEEZZNS1_33reduce_by_key_impl_wrapped_configILNS1_25lookback_scan_determinismE0ES3_SB_PS6_NS8_17constant_iteratorIiNS8_11use_defaultESG_EENS8_10device_ptrIS6_EENSI_IlEEPmSA_NS8_8equal_toIS6_EEEE10hipError_tPvRmT2_T3_mT4_T5_T6_T7_T8_P12ihipStream_tbENKUlT_T0_E_clISt17integral_constantIbLb1EES14_IbLb0EEEEDaS10_S11_EUlS10_E_NS1_11comp_targetILNS1_3genE4ELNS1_11target_archE910ELNS1_3gpuE8ELNS1_3repE0EEENS1_30default_config_static_selectorELNS0_4arch9wavefront6targetE1EEEvT1_,"axG",@progbits,_ZN7rocprim17ROCPRIM_400000_NS6detail17trampoline_kernelINS0_14default_configENS1_29reduce_by_key_config_selectorIN3c104HalfElN6thrust23THRUST_200600_302600_NS4plusIlEEEEZZNS1_33reduce_by_key_impl_wrapped_configILNS1_25lookback_scan_determinismE0ES3_SB_PS6_NS8_17constant_iteratorIiNS8_11use_defaultESG_EENS8_10device_ptrIS6_EENSI_IlEEPmSA_NS8_8equal_toIS6_EEEE10hipError_tPvRmT2_T3_mT4_T5_T6_T7_T8_P12ihipStream_tbENKUlT_T0_E_clISt17integral_constantIbLb1EES14_IbLb0EEEEDaS10_S11_EUlS10_E_NS1_11comp_targetILNS1_3genE4ELNS1_11target_archE910ELNS1_3gpuE8ELNS1_3repE0EEENS1_30default_config_static_selectorELNS0_4arch9wavefront6targetE1EEEvT1_,comdat
	.protected	_ZN7rocprim17ROCPRIM_400000_NS6detail17trampoline_kernelINS0_14default_configENS1_29reduce_by_key_config_selectorIN3c104HalfElN6thrust23THRUST_200600_302600_NS4plusIlEEEEZZNS1_33reduce_by_key_impl_wrapped_configILNS1_25lookback_scan_determinismE0ES3_SB_PS6_NS8_17constant_iteratorIiNS8_11use_defaultESG_EENS8_10device_ptrIS6_EENSI_IlEEPmSA_NS8_8equal_toIS6_EEEE10hipError_tPvRmT2_T3_mT4_T5_T6_T7_T8_P12ihipStream_tbENKUlT_T0_E_clISt17integral_constantIbLb1EES14_IbLb0EEEEDaS10_S11_EUlS10_E_NS1_11comp_targetILNS1_3genE4ELNS1_11target_archE910ELNS1_3gpuE8ELNS1_3repE0EEENS1_30default_config_static_selectorELNS0_4arch9wavefront6targetE1EEEvT1_ ; -- Begin function _ZN7rocprim17ROCPRIM_400000_NS6detail17trampoline_kernelINS0_14default_configENS1_29reduce_by_key_config_selectorIN3c104HalfElN6thrust23THRUST_200600_302600_NS4plusIlEEEEZZNS1_33reduce_by_key_impl_wrapped_configILNS1_25lookback_scan_determinismE0ES3_SB_PS6_NS8_17constant_iteratorIiNS8_11use_defaultESG_EENS8_10device_ptrIS6_EENSI_IlEEPmSA_NS8_8equal_toIS6_EEEE10hipError_tPvRmT2_T3_mT4_T5_T6_T7_T8_P12ihipStream_tbENKUlT_T0_E_clISt17integral_constantIbLb1EES14_IbLb0EEEEDaS10_S11_EUlS10_E_NS1_11comp_targetILNS1_3genE4ELNS1_11target_archE910ELNS1_3gpuE8ELNS1_3repE0EEENS1_30default_config_static_selectorELNS0_4arch9wavefront6targetE1EEEvT1_
	.globl	_ZN7rocprim17ROCPRIM_400000_NS6detail17trampoline_kernelINS0_14default_configENS1_29reduce_by_key_config_selectorIN3c104HalfElN6thrust23THRUST_200600_302600_NS4plusIlEEEEZZNS1_33reduce_by_key_impl_wrapped_configILNS1_25lookback_scan_determinismE0ES3_SB_PS6_NS8_17constant_iteratorIiNS8_11use_defaultESG_EENS8_10device_ptrIS6_EENSI_IlEEPmSA_NS8_8equal_toIS6_EEEE10hipError_tPvRmT2_T3_mT4_T5_T6_T7_T8_P12ihipStream_tbENKUlT_T0_E_clISt17integral_constantIbLb1EES14_IbLb0EEEEDaS10_S11_EUlS10_E_NS1_11comp_targetILNS1_3genE4ELNS1_11target_archE910ELNS1_3gpuE8ELNS1_3repE0EEENS1_30default_config_static_selectorELNS0_4arch9wavefront6targetE1EEEvT1_
	.p2align	8
	.type	_ZN7rocprim17ROCPRIM_400000_NS6detail17trampoline_kernelINS0_14default_configENS1_29reduce_by_key_config_selectorIN3c104HalfElN6thrust23THRUST_200600_302600_NS4plusIlEEEEZZNS1_33reduce_by_key_impl_wrapped_configILNS1_25lookback_scan_determinismE0ES3_SB_PS6_NS8_17constant_iteratorIiNS8_11use_defaultESG_EENS8_10device_ptrIS6_EENSI_IlEEPmSA_NS8_8equal_toIS6_EEEE10hipError_tPvRmT2_T3_mT4_T5_T6_T7_T8_P12ihipStream_tbENKUlT_T0_E_clISt17integral_constantIbLb1EES14_IbLb0EEEEDaS10_S11_EUlS10_E_NS1_11comp_targetILNS1_3genE4ELNS1_11target_archE910ELNS1_3gpuE8ELNS1_3repE0EEENS1_30default_config_static_selectorELNS0_4arch9wavefront6targetE1EEEvT1_,@function
_ZN7rocprim17ROCPRIM_400000_NS6detail17trampoline_kernelINS0_14default_configENS1_29reduce_by_key_config_selectorIN3c104HalfElN6thrust23THRUST_200600_302600_NS4plusIlEEEEZZNS1_33reduce_by_key_impl_wrapped_configILNS1_25lookback_scan_determinismE0ES3_SB_PS6_NS8_17constant_iteratorIiNS8_11use_defaultESG_EENS8_10device_ptrIS6_EENSI_IlEEPmSA_NS8_8equal_toIS6_EEEE10hipError_tPvRmT2_T3_mT4_T5_T6_T7_T8_P12ihipStream_tbENKUlT_T0_E_clISt17integral_constantIbLb1EES14_IbLb0EEEEDaS10_S11_EUlS10_E_NS1_11comp_targetILNS1_3genE4ELNS1_11target_archE910ELNS1_3gpuE8ELNS1_3repE0EEENS1_30default_config_static_selectorELNS0_4arch9wavefront6targetE1EEEvT1_: ; @_ZN7rocprim17ROCPRIM_400000_NS6detail17trampoline_kernelINS0_14default_configENS1_29reduce_by_key_config_selectorIN3c104HalfElN6thrust23THRUST_200600_302600_NS4plusIlEEEEZZNS1_33reduce_by_key_impl_wrapped_configILNS1_25lookback_scan_determinismE0ES3_SB_PS6_NS8_17constant_iteratorIiNS8_11use_defaultESG_EENS8_10device_ptrIS6_EENSI_IlEEPmSA_NS8_8equal_toIS6_EEEE10hipError_tPvRmT2_T3_mT4_T5_T6_T7_T8_P12ihipStream_tbENKUlT_T0_E_clISt17integral_constantIbLb1EES14_IbLb0EEEEDaS10_S11_EUlS10_E_NS1_11comp_targetILNS1_3genE4ELNS1_11target_archE910ELNS1_3gpuE8ELNS1_3repE0EEENS1_30default_config_static_selectorELNS0_4arch9wavefront6targetE1EEEvT1_
; %bb.0:
	s_load_dwordx16 s[36:51], s[4:5], 0x40
	s_load_dwordx4 s[8:11], s[4:5], 0x0
	s_load_dword s2, s[4:5], 0x18
	s_load_dwordx4 s[52:55], s[4:5], 0x20
	s_load_dwordx2 s[34:35], s[4:5], 0x30
	s_waitcnt lgkmcnt(0)
	s_mul_i32 s0, s44, s43
	s_mul_hi_u32 s1, s44, s42
	s_add_i32 s0, s1, s0
	s_mul_i32 s1, s45, s42
	s_add_i32 s3, s0, s1
	s_lshl_b64 s[0:1], s[10:11], 1
	s_add_u32 s8, s8, s0
	s_addc_u32 s9, s9, s1
	s_mul_i32 s0, s6, 0xf00
	s_mov_b32 s1, 0
	s_lshl_b64 s[0:1], s[0:1], 1
	s_add_u32 s8, s8, s0
	s_mul_i32 s7, s44, s42
	s_addc_u32 s9, s9, s1
	s_add_u32 s10, s7, s6
	s_addc_u32 s11, s3, 0
	s_add_u32 s14, s46, -1
	s_addc_u32 s15, s47, -1
	s_cmp_eq_u64 s[10:11], s[14:15]
	s_cselect_b64 s[44:45], -1, 0
	s_cmp_lg_u64 s[10:11], s[14:15]
	s_mov_b64 s[12:13], -1
	s_cselect_b64 s[0:1], -1, 0
	s_mul_i32 s33, s14, 0xfffff100
	s_and_b64 vcc, exec, s[44:45]
	s_cbranch_vccnz .LBB2220_2
; %bb.1:
	v_lshlrev_b32_e32 v1, 1, v0
	v_mov_b32_e32 v2, s9
	v_add_co_u32_e32 v3, vcc, s8, v1
	v_addc_co_u32_e32 v4, vcc, 0, v2, vcc
	v_add_co_u32_e32 v2, vcc, 0x1000, v3
	v_addc_co_u32_e32 v3, vcc, 0, v4, vcc
	global_load_ushort v5, v1, s[8:9]
	global_load_ushort v13, v1, s[8:9] offset:512
	global_load_ushort v16, v1, s[8:9] offset:1024
	;; [unrolled: 1-line block ×7, first 2 shown]
	global_load_ushort v4, v[2:3], off
	global_load_ushort v22, v[2:3], off offset:512
	global_load_ushort v23, v[2:3], off offset:1024
	;; [unrolled: 1-line block ×6, first 2 shown]
	v_mad_u32_u24 v29, v0, 28, v1
	s_ashr_i32 s3, s2, 31
	s_movk_i32 s7, 0xffea
	v_mul_u32_u24_e32 v7, 15, v0
	v_mad_u32_u24 v8, v0, 15, 1
	v_mad_u32_u24 v12, v0, 15, 3
	v_mad_u32_u24 v11, v0, 15, 5
	v_mad_u32_u24 v10, v0, 15, 7
	v_mad_u32_u24 v6, v0, 15, 9
	v_mad_u32_u24 v9, v0, 15, 11
	v_mad_u32_u24 v25, v0, 15, 13
	v_pk_mov_b32 v[14:15], s[2:3], s[2:3] op_sel:[0,1]
	v_mad_i32_i24 v30, v0, s7, v29
	s_waitcnt vmcnt(14)
	ds_write_b16 v1, v5
	s_waitcnt vmcnt(13)
	ds_write_b16 v1, v13 offset:512
	s_waitcnt vmcnt(12)
	ds_write_b16 v1, v16 offset:1024
	;; [unrolled: 2-line block ×14, first 2 shown]
	s_waitcnt lgkmcnt(0)
	s_barrier
	ds_read_u16 v1, v29
	ds_read_b128 v[2:5], v29 offset:2
	ds_read_b96 v[22:24], v29 offset:18
	s_waitcnt lgkmcnt(0)
	s_barrier
	ds_write2st64_b64 v30, v[14:15], v[14:15] offset1:4
	ds_write2st64_b64 v30, v[14:15], v[14:15] offset0:8 offset1:12
	ds_write2st64_b64 v30, v[14:15], v[14:15] offset0:16 offset1:20
	;; [unrolled: 1-line block ×6, first 2 shown]
	ds_write_b64 v30, v[14:15] offset:28672
	s_waitcnt lgkmcnt(0)
	s_barrier
	s_load_dwordx2 s[30:31], s[4:5], 0x80
	s_add_i32 s33, s33, s48
	s_cbranch_execz .LBB2220_3
	s_branch .LBB2220_34
.LBB2220_2:
                                        ; implicit-def: $vgpr2
                                        ; implicit-def: $vgpr22
                                        ; implicit-def: $vgpr25
                                        ; implicit-def: $vgpr9
                                        ; implicit-def: $vgpr6
                                        ; implicit-def: $vgpr10
                                        ; implicit-def: $vgpr11
                                        ; implicit-def: $vgpr12
                                        ; implicit-def: $vgpr8
                                        ; implicit-def: $vgpr7
                                        ; implicit-def: $vgpr1
	s_load_dwordx2 s[30:31], s[4:5], 0x80
	s_andn2_b64 vcc, exec, s[12:13]
	s_add_i32 s33, s33, s48
	s_cbranch_vccnz .LBB2220_34
.LBB2220_3:
	v_cmp_gt_u32_e32 vcc, s33, v0
                                        ; implicit-def: $vgpr1
	s_and_saveexec_b64 s[4:5], vcc
	s_cbranch_execz .LBB2220_5
; %bb.4:
	v_lshlrev_b32_e32 v1, 1, v0
	global_load_ushort v1, v1, s[8:9]
.LBB2220_5:
	s_or_b64 exec, exec, s[4:5]
	v_or_b32_e32 v2, 0x100, v0
	v_cmp_gt_u32_e32 vcc, s33, v2
                                        ; implicit-def: $vgpr2
	s_and_saveexec_b64 s[4:5], vcc
	s_cbranch_execz .LBB2220_7
; %bb.6:
	v_lshlrev_b32_e32 v2, 1, v0
	global_load_ushort v2, v2, s[8:9] offset:512
.LBB2220_7:
	s_or_b64 exec, exec, s[4:5]
	v_or_b32_e32 v3, 0x200, v0
	v_cmp_gt_u32_e32 vcc, s33, v3
                                        ; implicit-def: $vgpr3
	s_and_saveexec_b64 s[4:5], vcc
	s_cbranch_execz .LBB2220_9
; %bb.8:
	v_lshlrev_b32_e32 v3, 1, v0
	global_load_ushort v3, v3, s[8:9] offset:1024
.LBB2220_9:
	s_or_b64 exec, exec, s[4:5]
	v_or_b32_e32 v4, 0x300, v0
	v_cmp_gt_u32_e32 vcc, s33, v4
                                        ; implicit-def: $vgpr4
	s_and_saveexec_b64 s[4:5], vcc
	s_cbranch_execz .LBB2220_11
; %bb.10:
	v_lshlrev_b32_e32 v4, 1, v0
	global_load_ushort v4, v4, s[8:9] offset:1536
.LBB2220_11:
	s_or_b64 exec, exec, s[4:5]
	v_or_b32_e32 v5, 0x400, v0
	v_cmp_gt_u32_e32 vcc, s33, v5
                                        ; implicit-def: $vgpr5
	s_and_saveexec_b64 s[4:5], vcc
	s_cbranch_execz .LBB2220_13
; %bb.12:
	v_lshlrev_b32_e32 v5, 1, v0
	global_load_ushort v5, v5, s[8:9] offset:2048
.LBB2220_13:
	s_or_b64 exec, exec, s[4:5]
	v_or_b32_e32 v6, 0x500, v0
	v_cmp_gt_u32_e32 vcc, s33, v6
                                        ; implicit-def: $vgpr6
	s_and_saveexec_b64 s[4:5], vcc
	s_cbranch_execz .LBB2220_15
; %bb.14:
	v_lshlrev_b32_e32 v6, 1, v0
	global_load_ushort v6, v6, s[8:9] offset:2560
.LBB2220_15:
	s_or_b64 exec, exec, s[4:5]
	v_or_b32_e32 v7, 0x600, v0
	v_cmp_gt_u32_e32 vcc, s33, v7
                                        ; implicit-def: $vgpr7
	s_and_saveexec_b64 s[4:5], vcc
	s_cbranch_execz .LBB2220_17
; %bb.16:
	v_lshlrev_b32_e32 v7, 1, v0
	global_load_ushort v7, v7, s[8:9] offset:3072
.LBB2220_17:
	s_or_b64 exec, exec, s[4:5]
	v_or_b32_e32 v8, 0x700, v0
	v_cmp_gt_u32_e32 vcc, s33, v8
                                        ; implicit-def: $vgpr8
	s_and_saveexec_b64 s[4:5], vcc
	s_cbranch_execz .LBB2220_19
; %bb.18:
	v_lshlrev_b32_e32 v8, 1, v0
	global_load_ushort v8, v8, s[8:9] offset:3584
.LBB2220_19:
	s_or_b64 exec, exec, s[4:5]
	v_or_b32_e32 v10, 0x800, v0
	v_cmp_gt_u32_e32 vcc, s33, v10
                                        ; implicit-def: $vgpr9
	s_and_saveexec_b64 s[4:5], vcc
	s_cbranch_execz .LBB2220_21
; %bb.20:
	v_lshlrev_b32_e32 v9, 1, v10
	global_load_ushort v9, v9, s[8:9]
.LBB2220_21:
	s_or_b64 exec, exec, s[4:5]
	v_or_b32_e32 v11, 0x900, v0
	v_cmp_gt_u32_e32 vcc, s33, v11
                                        ; implicit-def: $vgpr10
	s_and_saveexec_b64 s[4:5], vcc
	s_cbranch_execz .LBB2220_23
; %bb.22:
	v_lshlrev_b32_e32 v10, 1, v11
	global_load_ushort v10, v10, s[8:9]
.LBB2220_23:
	s_or_b64 exec, exec, s[4:5]
	v_or_b32_e32 v12, 0xa00, v0
	v_cmp_gt_u32_e32 vcc, s33, v12
                                        ; implicit-def: $vgpr11
	s_and_saveexec_b64 s[4:5], vcc
	s_cbranch_execz .LBB2220_25
; %bb.24:
	v_lshlrev_b32_e32 v11, 1, v12
	global_load_ushort v11, v11, s[8:9]
.LBB2220_25:
	s_or_b64 exec, exec, s[4:5]
	v_or_b32_e32 v13, 0xb00, v0
	v_cmp_gt_u32_e32 vcc, s33, v13
                                        ; implicit-def: $vgpr12
	s_and_saveexec_b64 s[4:5], vcc
	s_cbranch_execz .LBB2220_27
; %bb.26:
	v_lshlrev_b32_e32 v12, 1, v13
	global_load_ushort v12, v12, s[8:9]
.LBB2220_27:
	s_or_b64 exec, exec, s[4:5]
	v_or_b32_e32 v14, 0xc00, v0
	v_cmp_gt_u32_e32 vcc, s33, v14
                                        ; implicit-def: $vgpr13
	s_and_saveexec_b64 s[4:5], vcc
	s_cbranch_execz .LBB2220_29
; %bb.28:
	v_lshlrev_b32_e32 v13, 1, v14
	global_load_ushort v13, v13, s[8:9]
.LBB2220_29:
	s_or_b64 exec, exec, s[4:5]
	v_or_b32_e32 v15, 0xd00, v0
	v_cmp_gt_u32_e32 vcc, s33, v15
                                        ; implicit-def: $vgpr14
	s_and_saveexec_b64 s[4:5], vcc
	s_cbranch_execz .LBB2220_31
; %bb.30:
	v_lshlrev_b32_e32 v14, 1, v15
	global_load_ushort v14, v14, s[8:9]
.LBB2220_31:
	s_or_b64 exec, exec, s[4:5]
	v_or_b32_e32 v16, 0xe00, v0
	v_cmp_gt_u32_e32 vcc, s33, v16
                                        ; implicit-def: $vgpr15
	s_and_saveexec_b64 s[4:5], vcc
	s_cbranch_execz .LBB2220_33
; %bb.32:
	v_lshlrev_b32_e32 v15, 1, v16
	global_load_ushort v15, v15, s[8:9]
.LBB2220_33:
	s_or_b64 exec, exec, s[4:5]
	v_lshlrev_b32_e32 v16, 1, v0
	s_waitcnt vmcnt(0)
	ds_write_b16 v16, v1
	ds_write_b16 v16, v2 offset:512
	ds_write_b16 v16, v3 offset:1024
	;; [unrolled: 1-line block ×14, first 2 shown]
	v_mad_u32_u24 v13, v0, 28, v16
	s_waitcnt lgkmcnt(0)
	s_barrier
	ds_read_u16 v1, v13
	ds_read_b128 v[2:5], v13 offset:2
	ds_read_b96 v[22:24], v13 offset:18
	s_ashr_i32 s3, s2, 31
	s_movk_i32 s4, 0xffea
	v_mul_u32_u24_e32 v7, 15, v0
	v_mad_u32_u24 v8, v0, 15, 1
	v_mad_u32_u24 v12, v0, 15, 3
	;; [unrolled: 1-line block ×7, first 2 shown]
	v_mad_i32_i24 v13, v0, s4, v13
	v_pk_mov_b32 v[14:15], s[2:3], s[2:3] op_sel:[0,1]
	s_waitcnt lgkmcnt(0)
	s_barrier
	ds_write2st64_b64 v13, v[14:15], v[14:15] offset1:4
	ds_write2st64_b64 v13, v[14:15], v[14:15] offset0:8 offset1:12
	ds_write2st64_b64 v13, v[14:15], v[14:15] offset0:16 offset1:20
	;; [unrolled: 1-line block ×6, first 2 shown]
	ds_write_b64 v13, v[14:15] offset:28672
	s_waitcnt lgkmcnt(0)
	s_barrier
.LBB2220_34:
	v_lshlrev_b32_e32 v7, 3, v7
	v_lshlrev_b32_e32 v8, 3, v8
	;; [unrolled: 1-line block ×5, first 2 shown]
	s_waitcnt lgkmcnt(0)
	ds_read2_b64 v[18:21], v7 offset1:2
	ds_read2_b64 v[14:17], v7 offset0:4 offset1:6
	ds_read_b64 v[38:39], v8
	ds_read_b64 v[36:37], v12
	;; [unrolled: 1-line block ×4, first 2 shown]
	ds_read2_b64 v[10:13], v7 offset0:8 offset1:10
	v_lshlrev_b32_e32 v26, 3, v6
	v_lshlrev_b32_e32 v27, 3, v9
	ds_read2_b64 v[6:9], v7 offset0:12 offset1:14
	v_lshlrev_b32_e32 v25, 3, v25
	ds_read_b64 v[32:33], v26
	ds_read_b64 v[28:29], v27
	;; [unrolled: 1-line block ×3, first 2 shown]
	s_cmp_eq_u64 s[10:11], 0
	s_cselect_b64 s[46:47], -1, 0
	s_cmp_lg_u64 s[10:11], 0
	s_mov_b64 s[2:3], 0
	s_cselect_b64 s[4:5], -1, 0
	s_and_b64 vcc, exec, s[0:1]
	s_waitcnt lgkmcnt(0)
	s_barrier
	s_cbranch_vccz .LBB2220_40
; %bb.35:
	s_and_b64 vcc, exec, s[4:5]
	s_cbranch_vccz .LBB2220_41
; %bb.36:
	v_mov_b32_e32 v25, 0
	global_load_ushort v40, v25, s[8:9] offset:-2
	v_lshrrev_b32_e32 v41, 16, v24
	v_lshlrev_b32_e32 v25, 1, v0
	v_cmp_neq_f16_e32 vcc, v24, v41
	v_cmp_neq_f16_sdwa s[12:13], v23, v24 src0_sel:WORD_1 src1_sel:DWORD
	v_cmp_neq_f16_sdwa s[14:15], v23, v23 src0_sel:DWORD src1_sel:WORD_1
	v_cmp_neq_f16_sdwa s[16:17], v22, v23 src0_sel:WORD_1 src1_sel:DWORD
	v_cmp_neq_f16_sdwa s[18:19], v22, v22 src0_sel:DWORD src1_sel:WORD_1
	;; [unrolled: 2-line block ×6, first 2 shown]
	v_cmp_neq_f16_e64 s[0:1], v1, v2
	v_cmp_ne_u32_e64 s[2:3], 0, v0
	ds_write_b16 v25, v41
	s_waitcnt lgkmcnt(0)
	s_barrier
	s_and_saveexec_b64 s[62:63], s[2:3]
	s_cbranch_execz .LBB2220_38
; %bb.37:
	v_add_u32_e32 v25, -2, v25
	s_waitcnt vmcnt(0)
	ds_read_u16 v40, v25
.LBB2220_38:
	s_or_b64 exec, exec, s[62:63]
	v_cndmask_b32_e64 v25, 0, 1, vcc
	v_cndmask_b32_e64 v76, 0, 1, s[12:13]
	v_cndmask_b32_e64 v77, 0, 1, s[14:15]
	v_cndmask_b32_e64 v78, 0, 1, s[16:17]
	v_cndmask_b32_e64 v79, 0, 1, s[18:19]
	v_cndmask_b32_e64 v80, 0, 1, s[20:21]
	v_cndmask_b32_e64 v81, 0, 1, s[22:23]
	v_cndmask_b32_e64 v82, 0, 1, s[24:25]
	v_cndmask_b32_e64 v83, 0, 1, s[26:27]
	v_cndmask_b32_e64 v84, 0, 1, s[28:29]
	v_cndmask_b32_e64 v85, 0, 1, s[56:57]
	v_cndmask_b32_e64 v86, 0, 1, s[58:59]
	v_cndmask_b32_e64 v87, 0, 1, s[60:61]
	v_cndmask_b32_e64 v88, 0, 1, s[0:1]
	s_waitcnt vmcnt(0) lgkmcnt(0)
	v_cmp_neq_f16_e64 s[0:1], v1, v40
	s_mov_b64 s[2:3], -1
.LBB2220_39:
                                        ; implicit-def: $sgpr7
	s_branch .LBB2220_53
.LBB2220_40:
                                        ; implicit-def: $sgpr0_sgpr1
                                        ; implicit-def: $vgpr25
                                        ; implicit-def: $vgpr76
                                        ; implicit-def: $vgpr77
                                        ; implicit-def: $vgpr78
                                        ; implicit-def: $vgpr79
                                        ; implicit-def: $vgpr80
                                        ; implicit-def: $vgpr81
                                        ; implicit-def: $vgpr82
                                        ; implicit-def: $vgpr83
                                        ; implicit-def: $vgpr84
                                        ; implicit-def: $vgpr85
                                        ; implicit-def: $vgpr86
                                        ; implicit-def: $vgpr87
                                        ; implicit-def: $vgpr88
                                        ; implicit-def: $sgpr7
	s_cbranch_execnz .LBB2220_45
	s_branch .LBB2220_53
.LBB2220_41:
                                        ; implicit-def: $sgpr0_sgpr1
                                        ; implicit-def: $vgpr25
                                        ; implicit-def: $vgpr76
                                        ; implicit-def: $vgpr77
                                        ; implicit-def: $vgpr78
                                        ; implicit-def: $vgpr79
                                        ; implicit-def: $vgpr80
                                        ; implicit-def: $vgpr81
                                        ; implicit-def: $vgpr82
                                        ; implicit-def: $vgpr83
                                        ; implicit-def: $vgpr84
                                        ; implicit-def: $vgpr85
                                        ; implicit-def: $vgpr86
                                        ; implicit-def: $vgpr87
                                        ; implicit-def: $vgpr88
	s_cbranch_execz .LBB2220_39
; %bb.42:
	v_cmp_neq_f16_sdwa s[0:1], v23, v24 src0_sel:WORD_1 src1_sel:DWORD
	v_cndmask_b32_e64 v76, 0, 1, s[0:1]
	v_cmp_neq_f16_sdwa s[0:1], v23, v23 src0_sel:DWORD src1_sel:WORD_1
	v_cndmask_b32_e64 v77, 0, 1, s[0:1]
	v_cmp_neq_f16_sdwa s[0:1], v22, v23 src0_sel:WORD_1 src1_sel:DWORD
	v_cndmask_b32_e64 v78, 0, 1, s[0:1]
	v_cmp_neq_f16_sdwa s[0:1], v22, v22 src0_sel:DWORD src1_sel:WORD_1
	v_cndmask_b32_e64 v79, 0, 1, s[0:1]
	;; [unrolled: 4-line block ×4, first 2 shown]
	v_cmp_neq_f16_sdwa s[0:1], v3, v4 src0_sel:WORD_1 src1_sel:DWORD
	v_lshrrev_b32_e32 v25, 16, v24
	v_cndmask_b32_e64 v84, 0, 1, s[0:1]
	v_cmp_neq_f16_sdwa s[0:1], v3, v3 src0_sel:DWORD src1_sel:WORD_1
	v_lshlrev_b32_e32 v40, 1, v0
	v_cmp_neq_f16_e32 vcc, v24, v25
	v_cndmask_b32_e64 v85, 0, 1, s[0:1]
	v_cmp_neq_f16_sdwa s[0:1], v2, v3 src0_sel:WORD_1 src1_sel:DWORD
	ds_write_b16 v40, v25
	v_cndmask_b32_e64 v25, 0, 1, vcc
	v_cndmask_b32_e64 v86, 0, 1, s[0:1]
	v_cmp_neq_f16_sdwa s[0:1], v2, v2 src0_sel:DWORD src1_sel:WORD_1
	v_cmp_neq_f16_e32 vcc, v1, v2
	s_mov_b32 s7, 1
	v_cndmask_b32_e64 v87, 0, 1, s[0:1]
	v_cndmask_b32_e64 v88, 0, 1, vcc
	v_cmp_ne_u32_e32 vcc, 0, v0
	s_waitcnt lgkmcnt(0)
	s_barrier
	s_waitcnt lgkmcnt(0)
                                        ; implicit-def: $sgpr0_sgpr1
	s_and_saveexec_b64 s[12:13], vcc
	s_xor_b64 s[12:13], exec, s[12:13]
	s_cbranch_execz .LBB2220_44
; %bb.43:
	v_add_u32_e32 v40, -2, v40
	ds_read_u16 v40, v40
	s_or_b64 s[2:3], s[2:3], exec
	s_waitcnt lgkmcnt(0)
	v_cmp_neq_f16_e32 vcc, v40, v1
	s_and_b64 s[0:1], vcc, exec
.LBB2220_44:
	s_or_b64 exec, exec, s[12:13]
	s_branch .LBB2220_53
.LBB2220_45:
	s_mul_hi_u32 s1, s10, 0xfffff100
	s_mul_i32 s0, s11, 0xfffff100
	s_sub_i32 s1, s1, s10
	s_add_i32 s1, s1, s0
	s_mul_i32 s0, s10, 0xfffff100
	s_add_u32 s10, s0, s48
	s_addc_u32 s11, s1, s49
	s_and_b64 vcc, exec, s[4:5]
	s_cbranch_vccz .LBB2220_50
; %bb.46:
	v_mov_b32_e32 v41, 0
	global_load_ushort v44, v41, s[8:9] offset:-2
	v_lshrrev_b32_e32 v43, 16, v24
	v_mad_u32_u24 v40, v0, 15, 14
	v_cmp_gt_u64_e32 vcc, s[10:11], v[40:41]
	v_cmp_neq_f16_e64 s[0:1], v24, v43
	v_mad_u32_u24 v40, v0, 15, 13
	s_and_b64 s[2:3], vcc, s[0:1]
	v_cmp_gt_u64_e32 vcc, s[10:11], v[40:41]
	v_cmp_neq_f16_sdwa s[0:1], v23, v24 src0_sel:WORD_1 src1_sel:DWORD
	v_mad_u32_u24 v40, v0, 15, 12
	s_and_b64 s[4:5], vcc, s[0:1]
	v_cmp_gt_u64_e32 vcc, s[10:11], v[40:41]
	v_cmp_neq_f16_sdwa s[0:1], v23, v23 src0_sel:DWORD src1_sel:WORD_1
	v_mad_u32_u24 v40, v0, 15, 11
	s_and_b64 s[8:9], vcc, s[0:1]
	v_cmp_gt_u64_e32 vcc, s[10:11], v[40:41]
	v_cmp_neq_f16_sdwa s[0:1], v22, v23 src0_sel:WORD_1 src1_sel:DWORD
	v_mad_u32_u24 v40, v0, 15, 10
	s_and_b64 s[12:13], vcc, s[0:1]
	v_cmp_gt_u64_e32 vcc, s[10:11], v[40:41]
	v_cmp_neq_f16_sdwa s[0:1], v22, v22 src0_sel:DWORD src1_sel:WORD_1
	;; [unrolled: 8-line block ×6, first 2 shown]
	v_mad_u32_u24 v40, v0, 15, 1
	s_and_b64 s[48:49], vcc, s[0:1]
	v_cmp_gt_u64_e32 vcc, s[10:11], v[40:41]
	v_cmp_neq_f16_e64 s[0:1], v1, v2
	v_lshlrev_b32_e32 v25, 1, v0
	v_mul_u32_u24_e32 v42, 15, v0
	s_and_b64 s[0:1], vcc, s[0:1]
	v_cmp_ne_u32_e32 vcc, 0, v0
	ds_write_b16 v25, v43
	s_waitcnt lgkmcnt(0)
	s_barrier
	s_and_saveexec_b64 s[56:57], vcc
	s_cbranch_execz .LBB2220_48
; %bb.47:
	v_add_u32_e32 v25, -2, v25
	s_waitcnt vmcnt(0)
	ds_read_u16 v44, v25
.LBB2220_48:
	s_or_b64 exec, exec, s[56:57]
	v_mov_b32_e32 v43, v41
	v_cndmask_b32_e64 v88, 0, 1, s[0:1]
	v_cmp_gt_u64_e32 vcc, s[10:11], v[42:43]
	s_waitcnt vmcnt(0) lgkmcnt(0)
	v_cmp_neq_f16_e64 s[0:1], v1, v44
	v_cndmask_b32_e64 v25, 0, 1, s[2:3]
	v_cndmask_b32_e64 v76, 0, 1, s[4:5]
	;; [unrolled: 1-line block ×13, first 2 shown]
	s_and_b64 s[0:1], vcc, s[0:1]
	s_mov_b64 s[2:3], -1
.LBB2220_49:
                                        ; implicit-def: $sgpr7
	v_mov_b32_e32 v89, s7
	s_and_saveexec_b64 s[4:5], s[2:3]
	s_cbranch_execnz .LBB2220_54
	s_branch .LBB2220_55
.LBB2220_50:
                                        ; implicit-def: $sgpr0_sgpr1
                                        ; implicit-def: $vgpr25
                                        ; implicit-def: $vgpr76
                                        ; implicit-def: $vgpr77
                                        ; implicit-def: $vgpr78
                                        ; implicit-def: $vgpr79
                                        ; implicit-def: $vgpr80
                                        ; implicit-def: $vgpr81
                                        ; implicit-def: $vgpr82
                                        ; implicit-def: $vgpr83
                                        ; implicit-def: $vgpr84
                                        ; implicit-def: $vgpr85
                                        ; implicit-def: $vgpr86
                                        ; implicit-def: $vgpr87
                                        ; implicit-def: $vgpr88
	s_cbranch_execz .LBB2220_49
; %bb.51:
	v_lshrrev_b32_e32 v25, 16, v24
	v_mad_u32_u24 v40, v0, 15, 14
	v_mov_b32_e32 v41, 0
	v_cmp_gt_u64_e32 vcc, s[10:11], v[40:41]
	v_cmp_neq_f16_e64 s[0:1], v24, v25
	v_lshlrev_b32_e32 v42, 1, v0
	s_and_b64 s[0:1], vcc, s[0:1]
	v_mad_u32_u24 v40, v0, 15, 13
	ds_write_b16 v42, v25
	v_cndmask_b32_e64 v25, 0, 1, s[0:1]
	v_cmp_gt_u64_e32 vcc, s[10:11], v[40:41]
	v_cmp_neq_f16_sdwa s[0:1], v23, v24 src0_sel:WORD_1 src1_sel:DWORD
	s_and_b64 s[0:1], vcc, s[0:1]
	v_mad_u32_u24 v40, v0, 15, 12
	v_cndmask_b32_e64 v76, 0, 1, s[0:1]
	v_cmp_gt_u64_e32 vcc, s[10:11], v[40:41]
	v_cmp_neq_f16_sdwa s[0:1], v23, v23 src0_sel:DWORD src1_sel:WORD_1
	s_and_b64 s[0:1], vcc, s[0:1]
	v_mad_u32_u24 v40, v0, 15, 11
	v_cndmask_b32_e64 v77, 0, 1, s[0:1]
	v_cmp_gt_u64_e32 vcc, s[10:11], v[40:41]
	v_cmp_neq_f16_sdwa s[0:1], v22, v23 src0_sel:WORD_1 src1_sel:DWORD
	s_and_b64 s[0:1], vcc, s[0:1]
	v_mad_u32_u24 v40, v0, 15, 10
	v_cndmask_b32_e64 v78, 0, 1, s[0:1]
	v_cmp_gt_u64_e32 vcc, s[10:11], v[40:41]
	v_cmp_neq_f16_sdwa s[0:1], v22, v22 src0_sel:DWORD src1_sel:WORD_1
	s_and_b64 s[0:1], vcc, s[0:1]
	v_mad_u32_u24 v40, v0, 15, 9
	;; [unrolled: 10-line block ×6, first 2 shown]
	v_cndmask_b32_e64 v87, 0, 1, s[0:1]
	v_cmp_gt_u64_e32 vcc, s[10:11], v[40:41]
	v_cmp_neq_f16_e64 s[0:1], v1, v2
	s_and_b64 s[0:1], vcc, s[0:1]
	s_mov_b32 s7, 1
	v_cndmask_b32_e64 v88, 0, 1, s[0:1]
	v_cmp_ne_u32_e32 vcc, 0, v0
	s_waitcnt lgkmcnt(0)
	s_barrier
	s_waitcnt lgkmcnt(0)
                                        ; implicit-def: $sgpr0_sgpr1
	s_and_saveexec_b64 s[4:5], vcc
	s_cbranch_execz .LBB2220_206
; %bb.52:
	v_add_u32_e32 v40, -2, v42
	ds_read_u16 v42, v40
	v_mul_u32_u24_e32 v40, 15, v0
	v_cmp_gt_u64_e32 vcc, s[10:11], v[40:41]
	s_or_b64 s[2:3], s[2:3], exec
	s_waitcnt lgkmcnt(0)
	v_cmp_neq_f16_e64 s[0:1], v42, v1
	s_and_b64 s[0:1], vcc, s[0:1]
	s_and_b64 s[0:1], s[0:1], exec
	s_or_b64 exec, exec, s[4:5]
.LBB2220_53:
	v_mov_b32_e32 v89, s7
	s_and_saveexec_b64 s[4:5], s[2:3]
.LBB2220_54:
	v_cndmask_b32_e64 v89, 0, 1, s[0:1]
.LBB2220_55:
	s_or_b64 exec, exec, s[4:5]
	s_cmp_eq_u64 s[42:43], 0
	v_add3_u32 v40, v88, v89, v87
	s_cselect_b64 s[42:43], -1, 0
	s_cmp_lg_u32 s6, 0
	v_cmp_eq_u32_e64 s[24:25], 0, v88
	v_cmp_eq_u32_e64 s[22:23], 0, v87
	;; [unrolled: 1-line block ×3, first 2 shown]
	v_add3_u32 v92, v40, v86, v85
	v_cmp_eq_u32_e64 s[18:19], 0, v85
	v_cmp_eq_u32_e64 s[16:17], 0, v84
	;; [unrolled: 1-line block ×10, first 2 shown]
	v_cmp_eq_u32_e32 vcc, 0, v25
	v_mbcnt_lo_u32_b32 v91, -1, 0
	s_cbranch_scc0 .LBB2220_126
; %bb.56:
	v_cndmask_b32_e64 v41, 0, v18, s[24:25]
	v_cndmask_b32_e64 v40, 0, v19, s[24:25]
	v_add_co_u32_e64 v41, s[26:27], v41, v38
	v_addc_co_u32_e64 v40, s[26:27], v40, v39, s[26:27]
	v_cndmask_b32_e64 v41, 0, v41, s[22:23]
	v_cndmask_b32_e64 v40, 0, v40, s[22:23]
	v_add_co_u32_e64 v41, s[26:27], v41, v20
	v_addc_co_u32_e64 v40, s[26:27], v40, v21, s[26:27]
	;; [unrolled: 4-line block ×11, first 2 shown]
	v_cndmask_b32_e64 v41, 0, v41, s[2:3]
	v_add3_u32 v42, v92, v84, v83
	v_cndmask_b32_e64 v40, 0, v40, s[2:3]
	v_add_co_u32_e64 v41, s[26:27], v41, v6
	v_add3_u32 v42, v42, v82, v81
	v_addc_co_u32_e64 v40, s[26:27], v40, v7, s[26:27]
	v_cndmask_b32_e64 v41, 0, v41, s[0:1]
	v_add3_u32 v42, v42, v80, v79
	v_cndmask_b32_e64 v40, 0, v40, s[0:1]
	v_add_co_u32_e64 v41, s[26:27], v41, v26
	v_add3_u32 v42, v42, v78, v77
	v_addc_co_u32_e64 v40, s[26:27], v40, v27, s[26:27]
	v_cndmask_b32_e32 v41, 0, v41, vcc
	v_add3_u32 v44, v42, v76, v25
	v_cndmask_b32_e32 v40, 0, v40, vcc
	v_add_co_u32_e32 v42, vcc, v41, v8
	v_mbcnt_hi_u32_b32 v45, -1, v91
	v_addc_co_u32_e32 v43, vcc, v40, v9, vcc
	v_and_b32_e32 v40, 15, v45
	v_mov_b32_dpp v46, v44 row_shr:1 row_mask:0xf bank_mask:0xf
	v_mov_b32_dpp v41, v42 row_shr:1 row_mask:0xf bank_mask:0xf
	v_mov_b32_dpp v47, v43 row_shr:1 row_mask:0xf bank_mask:0xf
	v_cmp_ne_u32_e32 vcc, 0, v40
	s_and_saveexec_b64 s[26:27], vcc
; %bb.57:
	v_cmp_eq_u32_e32 vcc, 0, v44
	v_cndmask_b32_e32 v41, 0, v41, vcc
	v_add_u32_e32 v46, v46, v44
	v_cndmask_b32_e32 v44, 0, v47, vcc
	v_add_co_u32_e32 v42, vcc, v41, v42
	v_addc_co_u32_e32 v43, vcc, v44, v43, vcc
	v_mov_b32_e32 v44, v46
; %bb.58:
	s_or_b64 exec, exec, s[26:27]
	s_nop 0
	v_mov_b32_dpp v46, v44 row_shr:2 row_mask:0xf bank_mask:0xf
	v_mov_b32_dpp v41, v42 row_shr:2 row_mask:0xf bank_mask:0xf
	v_mov_b32_dpp v47, v43 row_shr:2 row_mask:0xf bank_mask:0xf
	v_cmp_lt_u32_e32 vcc, 1, v40
	s_and_saveexec_b64 s[26:27], vcc
; %bb.59:
	v_cmp_eq_u32_e32 vcc, 0, v44
	v_cndmask_b32_e32 v41, 0, v41, vcc
	v_add_u32_e32 v46, v46, v44
	v_cndmask_b32_e32 v44, 0, v47, vcc
	v_add_co_u32_e32 v42, vcc, v41, v42
	v_addc_co_u32_e32 v43, vcc, v44, v43, vcc
	v_mov_b32_e32 v44, v46
; %bb.60:
	s_or_b64 exec, exec, s[26:27]
	s_nop 0
	v_mov_b32_dpp v46, v44 row_shr:4 row_mask:0xf bank_mask:0xf
	v_mov_b32_dpp v41, v42 row_shr:4 row_mask:0xf bank_mask:0xf
	v_mov_b32_dpp v47, v43 row_shr:4 row_mask:0xf bank_mask:0xf
	v_cmp_lt_u32_e32 vcc, 3, v40
	;; [unrolled: 16-line block ×3, first 2 shown]
	s_and_saveexec_b64 s[26:27], vcc
; %bb.63:
	v_cmp_eq_u32_e32 vcc, 0, v44
	v_cndmask_b32_e32 v41, 0, v41, vcc
	v_add_u32_e32 v40, v46, v44
	v_cndmask_b32_e32 v44, 0, v47, vcc
	v_add_co_u32_e32 v42, vcc, v41, v42
	v_addc_co_u32_e32 v43, vcc, v44, v43, vcc
	v_mov_b32_e32 v44, v40
; %bb.64:
	s_or_b64 exec, exec, s[26:27]
	v_and_b32_e32 v47, 16, v45
	v_mov_b32_dpp v41, v44 row_bcast:15 row_mask:0xf bank_mask:0xf
	v_mov_b32_dpp v40, v42 row_bcast:15 row_mask:0xf bank_mask:0xf
	;; [unrolled: 1-line block ×3, first 2 shown]
	v_cmp_ne_u32_e32 vcc, 0, v47
	s_and_saveexec_b64 s[26:27], vcc
; %bb.65:
	v_cmp_eq_u32_e32 vcc, 0, v44
	v_cndmask_b32_e32 v40, 0, v40, vcc
	v_add_u32_e32 v41, v41, v44
	v_cndmask_b32_e32 v44, 0, v46, vcc
	v_add_co_u32_e32 v42, vcc, v40, v42
	v_addc_co_u32_e32 v43, vcc, v44, v43, vcc
	v_mov_b32_e32 v44, v41
; %bb.66:
	s_or_b64 exec, exec, s[26:27]
	s_nop 0
	v_mov_b32_dpp v41, v44 row_bcast:31 row_mask:0xf bank_mask:0xf
	v_mov_b32_dpp v40, v42 row_bcast:31 row_mask:0xf bank_mask:0xf
	;; [unrolled: 1-line block ×3, first 2 shown]
	v_cmp_lt_u32_e32 vcc, 31, v45
	s_and_saveexec_b64 s[26:27], vcc
; %bb.67:
	v_cmp_eq_u32_e32 vcc, 0, v44
	v_cndmask_b32_e32 v40, 0, v40, vcc
	v_add_u32_e32 v41, v41, v44
	v_cndmask_b32_e32 v44, 0, v46, vcc
	v_add_co_u32_e32 v42, vcc, v40, v42
	v_addc_co_u32_e32 v43, vcc, v44, v43, vcc
	v_mov_b32_e32 v44, v41
; %bb.68:
	s_or_b64 exec, exec, s[26:27]
	v_lshrrev_b32_e32 v40, 6, v0
	v_or_b32_e32 v41, 63, v0
	v_cmp_eq_u32_e32 vcc, v41, v0
	v_lshlrev_b32_e32 v46, 4, v40
	s_and_saveexec_b64 s[26:27], vcc
	s_cbranch_execz .LBB2220_70
; %bb.69:
	ds_write_b32 v46, v44 offset:1056
	ds_write_b64 v46, v[42:43] offset:1064
.LBB2220_70:
	s_or_b64 exec, exec, s[26:27]
	v_cmp_gt_u32_e32 vcc, 4, v0
	s_waitcnt lgkmcnt(0)
	s_barrier
	s_and_saveexec_b64 s[26:27], vcc
	s_cbranch_execz .LBB2220_76
; %bb.71:
	v_lshlrev_b32_e32 v47, 4, v0
	ds_read_b32 v48, v47 offset:1056
	ds_read_b64 v[40:41], v47 offset:1064
	v_and_b32_e32 v49, 3, v45
	v_cmp_ne_u32_e32 vcc, 0, v49
	s_waitcnt lgkmcnt(1)
	v_mov_b32_dpp v51, v48 row_shr:1 row_mask:0xf bank_mask:0xf
	s_waitcnt lgkmcnt(0)
	v_mov_b32_dpp v50, v40 row_shr:1 row_mask:0xf bank_mask:0xf
	v_mov_b32_dpp v52, v41 row_shr:1 row_mask:0xf bank_mask:0xf
	s_and_saveexec_b64 s[48:49], vcc
; %bb.72:
	v_cmp_eq_u32_e32 vcc, 0, v48
	v_cndmask_b32_e32 v50, 0, v50, vcc
	v_add_u32_e32 v51, v51, v48
	v_cndmask_b32_e32 v48, 0, v52, vcc
	v_add_co_u32_e32 v40, vcc, v50, v40
	v_addc_co_u32_e32 v41, vcc, v48, v41, vcc
	v_mov_b32_e32 v48, v51
; %bb.73:
	s_or_b64 exec, exec, s[48:49]
	s_nop 0
	v_mov_b32_dpp v51, v48 row_shr:2 row_mask:0xf bank_mask:0xf
	v_mov_b32_dpp v50, v40 row_shr:2 row_mask:0xf bank_mask:0xf
	;; [unrolled: 1-line block ×3, first 2 shown]
	v_cmp_lt_u32_e32 vcc, 1, v49
	s_and_saveexec_b64 s[48:49], vcc
; %bb.74:
	v_cmp_eq_u32_e32 vcc, 0, v48
	v_cndmask_b32_e32 v50, 0, v50, vcc
	v_add_u32_e32 v49, v51, v48
	v_cndmask_b32_e32 v48, 0, v52, vcc
	v_add_co_u32_e32 v40, vcc, v50, v40
	v_addc_co_u32_e32 v41, vcc, v48, v41, vcc
	v_mov_b32_e32 v48, v49
; %bb.75:
	s_or_b64 exec, exec, s[48:49]
	ds_write_b32 v47, v48 offset:1056
	ds_write_b64 v47, v[40:41] offset:1064
.LBB2220_76:
	s_or_b64 exec, exec, s[26:27]
	v_cmp_gt_u32_e32 vcc, 64, v0
	v_cmp_lt_u32_e64 s[26:27], 63, v0
	v_pk_mov_b32 v[40:41], 0, 0
	v_mov_b32_e32 v52, 0
	s_waitcnt lgkmcnt(0)
	s_barrier
	s_and_saveexec_b64 s[48:49], s[26:27]
	s_cbranch_execz .LBB2220_78
; %bb.77:
	ds_read_b32 v52, v46 offset:1040
	ds_read_b64 v[40:41], v46 offset:1048
	v_cmp_eq_u32_e64 s[26:27], 0, v44
	s_waitcnt lgkmcnt(1)
	v_add_u32_e32 v46, v52, v44
	s_waitcnt lgkmcnt(0)
	v_cndmask_b32_e64 v47, 0, v40, s[26:27]
	v_cndmask_b32_e64 v44, 0, v41, s[26:27]
	v_add_co_u32_e64 v42, s[26:27], v47, v42
	v_addc_co_u32_e64 v43, s[26:27], v44, v43, s[26:27]
	v_mov_b32_e32 v44, v46
.LBB2220_78:
	s_or_b64 exec, exec, s[48:49]
	v_add_u32_e32 v46, -1, v45
	v_and_b32_e32 v47, 64, v45
	v_cmp_lt_i32_e64 s[26:27], v46, v47
	v_cndmask_b32_e64 v46, v46, v45, s[26:27]
	v_lshlrev_b32_e32 v46, 2, v46
	ds_bpermute_b32 v53, v46, v44
	ds_bpermute_b32 v54, v46, v42
	;; [unrolled: 1-line block ×3, first 2 shown]
	v_cmp_eq_u32_e64 s[26:27], 0, v45
	s_and_saveexec_b64 s[48:49], vcc
	s_cbranch_execz .LBB2220_125
; %bb.79:
	v_mov_b32_e32 v47, 0
	ds_read_b32 v56, v47 offset:1104
	ds_read_b64 v[42:43], v47 offset:1112
	s_and_saveexec_b64 s[56:57], s[26:27]
	s_cbranch_execz .LBB2220_81
; %bb.80:
	s_add_i32 s58, s6, 64
	s_mov_b32 s59, 0
	s_lshl_b64 s[60:61], s[58:59], 4
	s_add_u32 s60, s36, s60
	s_addc_u32 s61, s37, s61
	v_mov_b32_e32 v44, s58
	v_mov_b32_e32 v46, 1
	s_waitcnt lgkmcnt(1)
	global_store_dword v47, v56, s[60:61]
	s_waitcnt lgkmcnt(0)
	global_store_dwordx2 v47, v[42:43], s[60:61] offset:8
	s_waitcnt vmcnt(0)
	buffer_wbinvl1_vol
	global_store_byte v44, v46, s[40:41]
.LBB2220_81:
	s_or_b64 exec, exec, s[56:57]
	v_xad_u32 v44, v45, -1, s6
	v_add_u32_e32 v46, 64, v44
	global_load_ubyte v57, v46, s[40:41] glc
	s_waitcnt vmcnt(0)
	v_cmp_eq_u16_e32 vcc, 0, v57
	s_and_saveexec_b64 s[56:57], vcc
	s_cbranch_execz .LBB2220_87
; %bb.82:
	v_mov_b32_e32 v49, s41
	v_add_co_u32_e32 v48, vcc, s40, v46
	v_addc_co_u32_e32 v49, vcc, 0, v49, vcc
	s_mov_b32 s7, 1
	s_mov_b64 s[58:59], 0
.LBB2220_83:                            ; =>This Loop Header: Depth=1
                                        ;     Child Loop BB2220_84 Depth 2
	s_max_u32 s60, s7, 1
.LBB2220_84:                            ;   Parent Loop BB2220_83 Depth=1
                                        ; =>  This Inner Loop Header: Depth=2
	s_add_i32 s60, s60, -1
	s_cmp_eq_u32 s60, 0
	s_sleep 1
	s_cbranch_scc0 .LBB2220_84
; %bb.85:                               ;   in Loop: Header=BB2220_83 Depth=1
	global_load_ubyte v57, v[48:49], off glc
	s_cmp_lt_u32 s7, 32
	s_cselect_b64 s[60:61], -1, 0
	s_cmp_lg_u64 s[60:61], 0
	s_addc_u32 s7, s7, 0
	s_waitcnt vmcnt(0)
	v_cmp_ne_u16_e32 vcc, 0, v57
	s_or_b64 s[58:59], vcc, s[58:59]
	s_andn2_b64 exec, exec, s[58:59]
	s_cbranch_execnz .LBB2220_83
; %bb.86:
	s_or_b64 exec, exec, s[58:59]
.LBB2220_87:
	s_or_b64 exec, exec, s[56:57]
	v_mov_b32_e32 v48, s39
	v_mov_b32_e32 v49, s37
	v_cmp_eq_u16_e32 vcc, 1, v57
	v_cndmask_b32_e32 v48, v48, v49, vcc
	v_mov_b32_e32 v49, s38
	v_mov_b32_e32 v50, s36
	v_cndmask_b32_e32 v49, v49, v50, vcc
	v_lshlrev_b64 v[46:47], 4, v[46:47]
	v_add_co_u32_e32 v46, vcc, v49, v46
	v_addc_co_u32_e32 v47, vcc, v48, v47, vcc
	s_waitcnt lgkmcnt(0)
	buffer_wbinvl1_vol
	global_load_dword v72, v[46:47], off
	global_load_dwordx2 v[50:51], v[46:47], off offset:8
	v_cmp_eq_u16_e32 vcc, 2, v57
	v_lshlrev_b64 v[46:47], v45, -1
	v_and_b32_e32 v58, 63, v45
	v_and_b32_e32 v48, vcc_hi, v47
	v_and_b32_e32 v62, vcc_lo, v46
	v_cmp_ne_u32_e32 vcc, 63, v58
	v_addc_co_u32_e32 v49, vcc, 0, v45, vcc
	v_lshlrev_b32_e32 v59, 2, v49
	v_or_b32_e32 v48, 0x80000000, v48
	v_ffbl_b32_e32 v48, v48
	v_add_u32_e32 v48, 32, v48
	v_ffbl_b32_e32 v62, v62
	v_min_u32_e32 v48, v62, v48
	v_cmp_lt_u32_e32 vcc, v58, v48
	s_waitcnt vmcnt(1)
	ds_bpermute_b32 v60, v59, v72
	s_waitcnt vmcnt(0)
	ds_bpermute_b32 v49, v59, v50
	ds_bpermute_b32 v61, v59, v51
	s_and_saveexec_b64 s[56:57], vcc
	s_cbranch_execz .LBB2220_89
; %bb.88:
	v_cmp_eq_u32_e32 vcc, 0, v72
	s_waitcnt lgkmcnt(1)
	v_cndmask_b32_e32 v49, 0, v49, vcc
	v_add_u32_e32 v60, v60, v72
	s_waitcnt lgkmcnt(0)
	v_cndmask_b32_e32 v61, 0, v61, vcc
	v_add_co_u32_e32 v50, vcc, v49, v50
	v_addc_co_u32_e32 v51, vcc, v61, v51, vcc
	v_mov_b32_e32 v72, v60
.LBB2220_89:
	s_or_b64 exec, exec, s[56:57]
	v_cmp_gt_u32_e32 vcc, 62, v58
	s_waitcnt lgkmcnt(1)
	v_cndmask_b32_e64 v49, 0, 1, vcc
	v_lshlrev_b32_e32 v49, 1, v49
	v_add_lshl_u32 v60, v49, v45, 2
	ds_bpermute_b32 v62, v60, v72
	ds_bpermute_b32 v49, v60, v50
	ds_bpermute_b32 v63, v60, v51
	s_waitcnt lgkmcnt(3)
	v_add_u32_e32 v61, 2, v58
	v_cmp_le_u32_e32 vcc, v61, v48
	s_and_saveexec_b64 s[56:57], vcc
	s_cbranch_execz .LBB2220_91
; %bb.90:
	v_cmp_eq_u32_e32 vcc, 0, v72
	s_waitcnt lgkmcnt(1)
	v_cndmask_b32_e32 v49, 0, v49, vcc
	v_add_u32_e32 v62, v62, v72
	s_waitcnt lgkmcnt(0)
	v_cndmask_b32_e32 v63, 0, v63, vcc
	v_add_co_u32_e32 v50, vcc, v49, v50
	v_addc_co_u32_e32 v51, vcc, v63, v51, vcc
	v_mov_b32_e32 v72, v62
.LBB2220_91:
	s_or_b64 exec, exec, s[56:57]
	v_cmp_gt_u32_e32 vcc, 60, v58
	s_waitcnt lgkmcnt(1)
	v_cndmask_b32_e64 v49, 0, 1, vcc
	v_lshlrev_b32_e32 v49, 2, v49
	v_add_lshl_u32 v62, v49, v45, 2
	ds_bpermute_b32 v64, v62, v72
	ds_bpermute_b32 v49, v62, v50
	ds_bpermute_b32 v65, v62, v51
	s_waitcnt lgkmcnt(3)
	v_add_u32_e32 v63, 4, v58
	v_cmp_le_u32_e32 vcc, v63, v48
	s_and_saveexec_b64 s[56:57], vcc
	s_cbranch_execz .LBB2220_93
; %bb.92:
	v_cmp_eq_u32_e32 vcc, 0, v72
	s_waitcnt lgkmcnt(1)
	v_cndmask_b32_e32 v49, 0, v49, vcc
	v_add_u32_e32 v64, v64, v72
	s_waitcnt lgkmcnt(0)
	v_cndmask_b32_e32 v65, 0, v65, vcc
	v_add_co_u32_e32 v50, vcc, v49, v50
	v_addc_co_u32_e32 v51, vcc, v65, v51, vcc
	v_mov_b32_e32 v72, v64
.LBB2220_93:
	s_or_b64 exec, exec, s[56:57]
	v_cmp_gt_u32_e32 vcc, 56, v58
	s_waitcnt lgkmcnt(1)
	v_cndmask_b32_e64 v49, 0, 1, vcc
	v_lshlrev_b32_e32 v49, 3, v49
	v_add_lshl_u32 v64, v49, v45, 2
	ds_bpermute_b32 v66, v64, v72
	ds_bpermute_b32 v49, v64, v50
	ds_bpermute_b32 v67, v64, v51
	s_waitcnt lgkmcnt(3)
	v_add_u32_e32 v65, 8, v58
	v_cmp_le_u32_e32 vcc, v65, v48
	s_and_saveexec_b64 s[56:57], vcc
	s_cbranch_execz .LBB2220_95
; %bb.94:
	v_cmp_eq_u32_e32 vcc, 0, v72
	s_waitcnt lgkmcnt(1)
	v_cndmask_b32_e32 v49, 0, v49, vcc
	v_add_u32_e32 v66, v66, v72
	s_waitcnt lgkmcnt(0)
	v_cndmask_b32_e32 v67, 0, v67, vcc
	v_add_co_u32_e32 v50, vcc, v49, v50
	v_addc_co_u32_e32 v51, vcc, v67, v51, vcc
	v_mov_b32_e32 v72, v66
.LBB2220_95:
	s_or_b64 exec, exec, s[56:57]
	v_cmp_gt_u32_e32 vcc, 48, v58
	s_waitcnt lgkmcnt(1)
	v_cndmask_b32_e64 v49, 0, 1, vcc
	v_lshlrev_b32_e32 v49, 4, v49
	v_add_lshl_u32 v66, v49, v45, 2
	ds_bpermute_b32 v68, v66, v72
	ds_bpermute_b32 v49, v66, v50
	ds_bpermute_b32 v69, v66, v51
	s_waitcnt lgkmcnt(3)
	v_add_u32_e32 v67, 16, v58
	v_cmp_le_u32_e32 vcc, v67, v48
	s_and_saveexec_b64 s[56:57], vcc
	s_cbranch_execz .LBB2220_97
; %bb.96:
	v_cmp_eq_u32_e32 vcc, 0, v72
	s_waitcnt lgkmcnt(1)
	v_cndmask_b32_e32 v49, 0, v49, vcc
	v_add_u32_e32 v68, v68, v72
	s_waitcnt lgkmcnt(0)
	v_cndmask_b32_e32 v69, 0, v69, vcc
	v_add_co_u32_e32 v50, vcc, v49, v50
	v_addc_co_u32_e32 v51, vcc, v69, v51, vcc
	v_mov_b32_e32 v72, v68
.LBB2220_97:
	s_or_b64 exec, exec, s[56:57]
	v_cmp_gt_u32_e32 vcc, 32, v58
	s_waitcnt lgkmcnt(1)
	v_cndmask_b32_e64 v49, 0, 1, vcc
	v_lshlrev_b32_e32 v49, 5, v49
	v_add_lshl_u32 v68, v49, v45, 2
	ds_bpermute_b32 v49, v68, v72
	ds_bpermute_b32 v45, v68, v50
	s_waitcnt lgkmcnt(2)
	ds_bpermute_b32 v69, v68, v51
	v_add_u32_e32 v70, 32, v58
	v_cmp_le_u32_e32 vcc, v70, v48
	s_and_saveexec_b64 s[56:57], vcc
	s_cbranch_execz .LBB2220_99
; %bb.98:
	v_cmp_eq_u32_e32 vcc, 0, v72
	s_waitcnt lgkmcnt(1)
	v_cndmask_b32_e32 v45, 0, v45, vcc
	v_add_u32_e32 v48, v49, v72
	s_waitcnt lgkmcnt(0)
	v_cndmask_b32_e32 v49, 0, v69, vcc
	v_add_co_u32_e32 v50, vcc, v45, v50
	v_addc_co_u32_e32 v51, vcc, v49, v51, vcc
	v_mov_b32_e32 v72, v48
.LBB2220_99:
	s_or_b64 exec, exec, s[56:57]
	s_waitcnt lgkmcnt(1)
	v_mov_b32_e32 v45, 0
	v_mov_b32_e32 v71, 2
	s_branch .LBB2220_101
.LBB2220_100:                           ;   in Loop: Header=BB2220_101 Depth=1
	s_or_b64 exec, exec, s[56:57]
	v_cmp_eq_u32_e32 vcc, 0, v69
	v_cndmask_b32_e32 v50, 0, v50, vcc
	v_cndmask_b32_e32 v51, 0, v51, vcc
	v_add_co_u32_e32 v50, vcc, v50, v48
	v_subrev_u32_e32 v44, 64, v44
	v_add_u32_e32 v72, v73, v69
	v_addc_co_u32_e32 v51, vcc, v51, v49, vcc
.LBB2220_101:                           ; =>This Loop Header: Depth=1
                                        ;     Child Loop BB2220_104 Depth 2
                                        ;       Child Loop BB2220_105 Depth 3
	v_cmp_ne_u16_sdwa s[56:57], v57, v71 src0_sel:BYTE_0 src1_sel:DWORD
	v_pk_mov_b32 v[48:49], v[50:51], v[50:51] op_sel:[0,1]
	v_cndmask_b32_e64 v50, 0, 1, s[56:57]
	;;#ASMSTART
	;;#ASMEND
	v_cmp_ne_u32_e32 vcc, 0, v50
	s_cmp_lg_u64 vcc, exec
	s_waitcnt lgkmcnt(0)
	v_mov_b32_e32 v69, v72
	s_cbranch_scc1 .LBB2220_120
; %bb.102:                              ;   in Loop: Header=BB2220_101 Depth=1
	global_load_ubyte v57, v44, s[40:41] glc
	s_waitcnt vmcnt(0)
	v_cmp_eq_u16_e32 vcc, 0, v57
	s_and_saveexec_b64 s[56:57], vcc
	s_cbranch_execz .LBB2220_108
; %bb.103:                              ;   in Loop: Header=BB2220_101 Depth=1
	v_mov_b32_e32 v51, s41
	v_add_co_u32_e32 v50, vcc, s40, v44
	v_addc_co_u32_e32 v51, vcc, 0, v51, vcc
	s_mov_b32 s7, 1
	s_mov_b64 s[58:59], 0
.LBB2220_104:                           ;   Parent Loop BB2220_101 Depth=1
                                        ; =>  This Loop Header: Depth=2
                                        ;       Child Loop BB2220_105 Depth 3
	s_max_u32 s60, s7, 1
.LBB2220_105:                           ;   Parent Loop BB2220_101 Depth=1
                                        ;     Parent Loop BB2220_104 Depth=2
                                        ; =>    This Inner Loop Header: Depth=3
	s_add_i32 s60, s60, -1
	s_cmp_eq_u32 s60, 0
	s_sleep 1
	s_cbranch_scc0 .LBB2220_105
; %bb.106:                              ;   in Loop: Header=BB2220_104 Depth=2
	global_load_ubyte v57, v[50:51], off glc
	s_cmp_lt_u32 s7, 32
	s_cselect_b64 s[60:61], -1, 0
	s_cmp_lg_u64 s[60:61], 0
	s_addc_u32 s7, s7, 0
	s_waitcnt vmcnt(0)
	v_cmp_ne_u16_e32 vcc, 0, v57
	s_or_b64 s[58:59], vcc, s[58:59]
	s_andn2_b64 exec, exec, s[58:59]
	s_cbranch_execnz .LBB2220_104
; %bb.107:                              ;   in Loop: Header=BB2220_101 Depth=1
	s_or_b64 exec, exec, s[58:59]
.LBB2220_108:                           ;   in Loop: Header=BB2220_101 Depth=1
	s_or_b64 exec, exec, s[56:57]
	v_mov_b32_e32 v50, s39
	v_mov_b32_e32 v51, s37
	v_cmp_eq_u16_e32 vcc, 1, v57
	v_cndmask_b32_e32 v72, v50, v51, vcc
	v_mov_b32_e32 v50, s38
	v_mov_b32_e32 v51, s36
	v_cndmask_b32_e32 v73, v50, v51, vcc
	v_lshlrev_b64 v[50:51], 4, v[44:45]
	v_add_co_u32_e32 v50, vcc, v73, v50
	v_addc_co_u32_e32 v51, vcc, v72, v51, vcc
	buffer_wbinvl1_vol
	global_load_dword v73, v[50:51], off
	s_nop 0
	global_load_dwordx2 v[50:51], v[50:51], off offset:8
	v_cmp_eq_u16_e32 vcc, 2, v57
	v_and_b32_e32 v72, vcc_hi, v47
	v_or_b32_e32 v72, 0x80000000, v72
	v_and_b32_e32 v93, vcc_lo, v46
	v_ffbl_b32_e32 v72, v72
	v_add_u32_e32 v72, 32, v72
	v_ffbl_b32_e32 v93, v93
	v_min_u32_e32 v72, v93, v72
	v_cmp_lt_u32_e32 vcc, v58, v72
	s_waitcnt vmcnt(1)
	ds_bpermute_b32 v75, v59, v73
	s_waitcnt vmcnt(0)
	ds_bpermute_b32 v74, v59, v50
	ds_bpermute_b32 v90, v59, v51
	s_and_saveexec_b64 s[56:57], vcc
	s_cbranch_execz .LBB2220_110
; %bb.109:                              ;   in Loop: Header=BB2220_101 Depth=1
	v_cmp_eq_u32_e32 vcc, 0, v73
	s_waitcnt lgkmcnt(1)
	v_cndmask_b32_e32 v74, 0, v74, vcc
	v_add_u32_e32 v75, v75, v73
	s_waitcnt lgkmcnt(0)
	v_cndmask_b32_e32 v73, 0, v90, vcc
	v_add_co_u32_e32 v50, vcc, v74, v50
	v_addc_co_u32_e32 v51, vcc, v73, v51, vcc
	v_mov_b32_e32 v73, v75
.LBB2220_110:                           ;   in Loop: Header=BB2220_101 Depth=1
	s_or_b64 exec, exec, s[56:57]
	s_waitcnt lgkmcnt(2)
	ds_bpermute_b32 v75, v60, v73
	s_waitcnt lgkmcnt(2)
	ds_bpermute_b32 v74, v60, v50
	s_waitcnt lgkmcnt(2)
	ds_bpermute_b32 v90, v60, v51
	v_cmp_le_u32_e32 vcc, v61, v72
	s_and_saveexec_b64 s[56:57], vcc
	s_cbranch_execz .LBB2220_112
; %bb.111:                              ;   in Loop: Header=BB2220_101 Depth=1
	v_cmp_eq_u32_e32 vcc, 0, v73
	s_waitcnt lgkmcnt(1)
	v_cndmask_b32_e32 v74, 0, v74, vcc
	v_add_u32_e32 v75, v75, v73
	s_waitcnt lgkmcnt(0)
	v_cndmask_b32_e32 v73, 0, v90, vcc
	v_add_co_u32_e32 v50, vcc, v74, v50
	v_addc_co_u32_e32 v51, vcc, v73, v51, vcc
	v_mov_b32_e32 v73, v75
.LBB2220_112:                           ;   in Loop: Header=BB2220_101 Depth=1
	s_or_b64 exec, exec, s[56:57]
	s_waitcnt lgkmcnt(2)
	ds_bpermute_b32 v75, v62, v73
	s_waitcnt lgkmcnt(2)
	ds_bpermute_b32 v74, v62, v50
	s_waitcnt lgkmcnt(2)
	ds_bpermute_b32 v90, v62, v51
	v_cmp_le_u32_e32 vcc, v63, v72
	s_and_saveexec_b64 s[56:57], vcc
	s_cbranch_execz .LBB2220_114
; %bb.113:                              ;   in Loop: Header=BB2220_101 Depth=1
	v_cmp_eq_u32_e32 vcc, 0, v73
	s_waitcnt lgkmcnt(1)
	v_cndmask_b32_e32 v74, 0, v74, vcc
	v_add_u32_e32 v75, v75, v73
	s_waitcnt lgkmcnt(0)
	v_cndmask_b32_e32 v73, 0, v90, vcc
	v_add_co_u32_e32 v50, vcc, v74, v50
	v_addc_co_u32_e32 v51, vcc, v73, v51, vcc
	v_mov_b32_e32 v73, v75
.LBB2220_114:                           ;   in Loop: Header=BB2220_101 Depth=1
	s_or_b64 exec, exec, s[56:57]
	s_waitcnt lgkmcnt(2)
	ds_bpermute_b32 v75, v64, v73
	s_waitcnt lgkmcnt(2)
	ds_bpermute_b32 v74, v64, v50
	s_waitcnt lgkmcnt(2)
	ds_bpermute_b32 v90, v64, v51
	v_cmp_le_u32_e32 vcc, v65, v72
	s_and_saveexec_b64 s[56:57], vcc
	s_cbranch_execz .LBB2220_116
; %bb.115:                              ;   in Loop: Header=BB2220_101 Depth=1
	v_cmp_eq_u32_e32 vcc, 0, v73
	s_waitcnt lgkmcnt(1)
	v_cndmask_b32_e32 v74, 0, v74, vcc
	v_add_u32_e32 v75, v75, v73
	s_waitcnt lgkmcnt(0)
	v_cndmask_b32_e32 v73, 0, v90, vcc
	v_add_co_u32_e32 v50, vcc, v74, v50
	v_addc_co_u32_e32 v51, vcc, v73, v51, vcc
	v_mov_b32_e32 v73, v75
.LBB2220_116:                           ;   in Loop: Header=BB2220_101 Depth=1
	s_or_b64 exec, exec, s[56:57]
	s_waitcnt lgkmcnt(2)
	ds_bpermute_b32 v75, v66, v73
	s_waitcnt lgkmcnt(2)
	ds_bpermute_b32 v74, v66, v50
	s_waitcnt lgkmcnt(2)
	ds_bpermute_b32 v90, v66, v51
	v_cmp_le_u32_e32 vcc, v67, v72
	s_and_saveexec_b64 s[56:57], vcc
	s_cbranch_execz .LBB2220_118
; %bb.117:                              ;   in Loop: Header=BB2220_101 Depth=1
	v_cmp_eq_u32_e32 vcc, 0, v73
	s_waitcnt lgkmcnt(1)
	v_cndmask_b32_e32 v74, 0, v74, vcc
	v_add_u32_e32 v75, v75, v73
	s_waitcnt lgkmcnt(0)
	v_cndmask_b32_e32 v73, 0, v90, vcc
	v_add_co_u32_e32 v50, vcc, v74, v50
	v_addc_co_u32_e32 v51, vcc, v73, v51, vcc
	v_mov_b32_e32 v73, v75
.LBB2220_118:                           ;   in Loop: Header=BB2220_101 Depth=1
	s_or_b64 exec, exec, s[56:57]
	s_waitcnt lgkmcnt(2)
	ds_bpermute_b32 v75, v68, v73
	s_waitcnt lgkmcnt(2)
	ds_bpermute_b32 v74, v68, v50
	s_waitcnt lgkmcnt(2)
	ds_bpermute_b32 v90, v68, v51
	v_cmp_le_u32_e32 vcc, v70, v72
	s_and_saveexec_b64 s[56:57], vcc
	s_cbranch_execz .LBB2220_100
; %bb.119:                              ;   in Loop: Header=BB2220_101 Depth=1
	v_cmp_eq_u32_e32 vcc, 0, v73
	s_waitcnt lgkmcnt(1)
	v_cndmask_b32_e32 v74, 0, v74, vcc
	v_add_u32_e32 v72, v75, v73
	s_waitcnt lgkmcnt(0)
	v_cndmask_b32_e32 v73, 0, v90, vcc
	v_add_co_u32_e32 v50, vcc, v74, v50
	v_addc_co_u32_e32 v51, vcc, v73, v51, vcc
	v_mov_b32_e32 v73, v72
	s_branch .LBB2220_100
.LBB2220_120:                           ;   in Loop: Header=BB2220_101 Depth=1
                                        ; implicit-def: $vgpr50_vgpr51
                                        ; implicit-def: $vgpr72
                                        ; implicit-def: $vgpr57
	s_cbranch_execz .LBB2220_101
; %bb.121:
	s_and_saveexec_b64 s[36:37], s[26:27]
	s_cbranch_execz .LBB2220_123
; %bb.122:
	s_mov_b32 s7, 0
	v_cmp_eq_u32_e32 vcc, 0, v56
	s_add_i32 s6, s6, 64
	v_cndmask_b32_e32 v44, 0, v48, vcc
	s_lshl_b64 s[56:57], s[6:7], 4
	v_cndmask_b32_e32 v45, 0, v49, vcc
	v_add_co_u32_e32 v44, vcc, v44, v42
	s_add_u32 s56, s38, s56
	v_add_u32_e32 v46, v69, v56
	v_addc_co_u32_e32 v45, vcc, v45, v43, vcc
	s_addc_u32 s57, s39, s57
	v_mov_b32_e32 v47, 0
	global_store_dword v47, v46, s[56:57]
	global_store_dwordx2 v47, v[44:45], s[56:57] offset:8
	v_mov_b32_e32 v44, s6
	v_mov_b32_e32 v45, 2
	s_waitcnt vmcnt(0) lgkmcnt(0)
	buffer_wbinvl1_vol
	global_store_byte v44, v45, s[40:41]
	ds_write_b32 v47, v56 offset:1024
	ds_write_b64 v47, v[42:43] offset:1032
	ds_write_b32 v47, v69 offset:1040
	ds_write_b64 v47, v[48:49] offset:1048
.LBB2220_123:
	s_or_b64 exec, exec, s[36:37]
	v_cmp_eq_u32_e32 vcc, 0, v0
	s_and_b64 exec, exec, vcc
	s_cbranch_execz .LBB2220_125
; %bb.124:
	v_mov_b32_e32 v42, 0
	ds_write_b32 v42, v69 offset:1104
	ds_write_b64 v42, v[48:49] offset:1112
.LBB2220_125:
	s_or_b64 exec, exec, s[48:49]
	v_mov_b32_e32 v45, 0
	s_waitcnt lgkmcnt(0)
	s_barrier
	ds_read_b32 v44, v45 offset:1104
	ds_read_b64 v[42:43], v45 offset:1112
	v_cndmask_b32_e64 v46, v53, v52, s[26:27]
	v_cmp_eq_u32_e32 vcc, 0, v46
	v_cndmask_b32_e64 v40, v54, v40, s[26:27]
	v_cndmask_b32_e64 v41, v55, v41, s[26:27]
	s_waitcnt lgkmcnt(0)
	v_cndmask_b32_e32 v48, 0, v42, vcc
	v_cndmask_b32_e32 v47, 0, v43, vcc
	v_add_co_u32_e32 v40, vcc, v48, v40
	v_addc_co_u32_e32 v41, vcc, v47, v41, vcc
	v_cmp_eq_u32_e32 vcc, 0, v0
	v_cndmask_b32_e64 v46, v46, 0, vcc
	v_cndmask_b32_e32 v71, v41, v43, vcc
	v_cndmask_b32_e32 v70, v40, v42, vcc
	v_cmp_eq_u32_e32 vcc, 0, v89
	v_cndmask_b32_e32 v41, 0, v70, vcc
	v_add_u32_e32 v90, v44, v46
	v_cndmask_b32_e32 v40, 0, v71, vcc
	v_add_co_u32_e32 v46, vcc, v41, v18
	v_addc_co_u32_e32 v47, vcc, v40, v19, vcc
	v_cndmask_b32_e64 v41, 0, v46, s[24:25]
	v_cndmask_b32_e64 v40, 0, v47, s[24:25]
	v_add_co_u32_e32 v48, vcc, v41, v38
	v_addc_co_u32_e32 v49, vcc, v40, v39, vcc
	v_cndmask_b32_e64 v41, 0, v48, s[22:23]
	v_cndmask_b32_e64 v40, 0, v49, s[22:23]
	;; [unrolled: 4-line block ×11, first 2 shown]
	v_add_co_u32_e32 v68, vcc, v41, v28
	v_addc_co_u32_e32 v69, vcc, v40, v29, vcc
	s_barrier
	ds_read_b32 v40, v45 offset:1024
	ds_read_b64 v[42:43], v45 offset:1032
	ds_read_b32 v44, v45 offset:1040
	ds_read_b64 v[94:95], v45 offset:1048
	v_cndmask_b32_e64 v72, 0, v68, s[2:3]
	v_cndmask_b32_e64 v41, 0, v69, s[2:3]
	v_add_co_u32_e32 v72, vcc, v72, v6
	v_addc_co_u32_e32 v73, vcc, v41, v7, vcc
	s_waitcnt lgkmcnt(3)
	v_cmp_eq_u32_e32 vcc, 0, v40
	s_waitcnt lgkmcnt(0)
	v_cndmask_b32_e32 v45, 0, v94, vcc
	v_cndmask_b32_e32 v41, 0, v95, vcc
	v_add_co_u32_e32 v42, vcc, v45, v42
	v_cndmask_b32_e64 v75, 0, v73, s[0:1]
	v_cndmask_b32_e64 v74, 0, v72, s[0:1]
	v_addc_co_u32_e32 v43, vcc, v41, v43, vcc
	s_branch .LBB2220_154
.LBB2220_126:
                                        ; implicit-def: $vgpr40
                                        ; implicit-def: $vgpr42_vgpr43
                                        ; implicit-def: $vgpr44
                                        ; implicit-def: $vgpr70_vgpr71
                                        ; implicit-def: $vgpr46_vgpr47
                                        ; implicit-def: $vgpr48_vgpr49
                                        ; implicit-def: $vgpr50_vgpr51
                                        ; implicit-def: $vgpr52_vgpr53
                                        ; implicit-def: $vgpr54_vgpr55
                                        ; implicit-def: $vgpr56_vgpr57
                                        ; implicit-def: $vgpr58_vgpr59
                                        ; implicit-def: $vgpr60_vgpr61
                                        ; implicit-def: $vgpr62_vgpr63
                                        ; implicit-def: $vgpr64_vgpr65
                                        ; implicit-def: $vgpr66_vgpr67
                                        ; implicit-def: $vgpr68_vgpr69
                                        ; implicit-def: $vgpr72_vgpr73
                                        ; implicit-def: $vgpr74_vgpr75
                                        ; implicit-def: $vgpr90
	s_cbranch_execz .LBB2220_154
; %bb.127:
	s_and_b64 s[0:1], s[42:43], exec
	s_cselect_b32 s1, 0, s31
	s_cselect_b32 s0, 0, s30
	s_cmp_eq_u64 s[0:1], 0
	v_pk_mov_b32 v[44:45], v[18:19], v[18:19] op_sel:[0,1]
	s_cbranch_scc1 .LBB2220_129
; %bb.128:
	v_mov_b32_e32 v40, 0
	global_load_dwordx2 v[44:45], v40, s[0:1]
.LBB2220_129:
	v_cmp_eq_u32_e64 s[22:23], 0, v88
	v_cndmask_b32_e64 v41, 0, v18, s[22:23]
	v_cndmask_b32_e64 v40, 0, v19, s[22:23]
	v_add_co_u32_e32 v41, vcc, v41, v38
	v_cmp_eq_u32_e64 s[20:21], 0, v87
	v_addc_co_u32_e32 v40, vcc, v40, v39, vcc
	v_cndmask_b32_e64 v41, 0, v41, s[20:21]
	v_cndmask_b32_e64 v40, 0, v40, s[20:21]
	v_add_co_u32_e32 v41, vcc, v41, v20
	v_cmp_eq_u32_e64 s[18:19], 0, v86
	v_addc_co_u32_e32 v40, vcc, v40, v21, vcc
	;; [unrolled: 5-line block ×11, first 2 shown]
	v_cndmask_b32_e64 v41, 0, v41, s[2:3]
	v_cndmask_b32_e64 v40, 0, v40, s[2:3]
	v_add_co_u32_e32 v41, vcc, v41, v6
	v_addc_co_u32_e32 v40, vcc, v40, v7, vcc
	v_cmp_eq_u32_e32 vcc, 0, v76
	v_cndmask_b32_e32 v41, 0, v41, vcc
	v_add3_u32 v42, v92, v84, v83
	v_cndmask_b32_e32 v40, 0, v40, vcc
	v_add_co_u32_e64 v41, s[24:25], v41, v26
	v_add3_u32 v42, v42, v82, v81
	v_addc_co_u32_e64 v40, s[24:25], v40, v27, s[24:25]
	v_add3_u32 v42, v42, v80, v79
	v_cmp_eq_u32_e64 s[24:25], 0, v25
	v_add3_u32 v42, v42, v78, v77
	v_cndmask_b32_e64 v41, 0, v41, s[24:25]
	v_add3_u32 v43, v42, v76, v25
	v_cndmask_b32_e64 v40, 0, v40, s[24:25]
	v_add_co_u32_e64 v8, s[24:25], v41, v8
	v_mbcnt_hi_u32_b32 v42, -1, v91
	v_addc_co_u32_e64 v9, s[24:25], v40, v9, s[24:25]
	v_and_b32_e32 v40, 15, v42
	v_mov_b32_dpp v46, v43 row_shr:1 row_mask:0xf bank_mask:0xf
	v_mov_b32_dpp v41, v8 row_shr:1 row_mask:0xf bank_mask:0xf
	;; [unrolled: 1-line block ×3, first 2 shown]
	v_cmp_ne_u32_e64 s[24:25], 0, v40
	s_and_saveexec_b64 s[26:27], s[24:25]
; %bb.130:
	v_cmp_eq_u32_e64 s[24:25], 0, v43
	v_cndmask_b32_e64 v41, 0, v41, s[24:25]
	v_add_u32_e32 v46, v46, v43
	v_cndmask_b32_e64 v43, 0, v47, s[24:25]
	v_add_co_u32_e64 v8, s[24:25], v41, v8
	v_addc_co_u32_e64 v9, s[24:25], v43, v9, s[24:25]
	v_mov_b32_e32 v43, v46
; %bb.131:
	s_or_b64 exec, exec, s[26:27]
	s_nop 0
	v_mov_b32_dpp v46, v43 row_shr:2 row_mask:0xf bank_mask:0xf
	v_mov_b32_dpp v41, v8 row_shr:2 row_mask:0xf bank_mask:0xf
	v_mov_b32_dpp v47, v9 row_shr:2 row_mask:0xf bank_mask:0xf
	v_cmp_lt_u32_e64 s[24:25], 1, v40
	s_and_saveexec_b64 s[26:27], s[24:25]
; %bb.132:
	v_cmp_eq_u32_e64 s[24:25], 0, v43
	v_cndmask_b32_e64 v41, 0, v41, s[24:25]
	v_add_u32_e32 v46, v46, v43
	v_cndmask_b32_e64 v43, 0, v47, s[24:25]
	v_add_co_u32_e64 v8, s[24:25], v41, v8
	v_addc_co_u32_e64 v9, s[24:25], v43, v9, s[24:25]
	v_mov_b32_e32 v43, v46
; %bb.133:
	s_or_b64 exec, exec, s[26:27]
	s_nop 0
	v_mov_b32_dpp v46, v43 row_shr:4 row_mask:0xf bank_mask:0xf
	v_mov_b32_dpp v41, v8 row_shr:4 row_mask:0xf bank_mask:0xf
	v_mov_b32_dpp v47, v9 row_shr:4 row_mask:0xf bank_mask:0xf
	v_cmp_lt_u32_e64 s[24:25], 3, v40
	;; [unrolled: 16-line block ×3, first 2 shown]
	s_and_saveexec_b64 s[26:27], s[24:25]
; %bb.136:
	v_cmp_eq_u32_e64 s[24:25], 0, v43
	v_cndmask_b32_e64 v41, 0, v41, s[24:25]
	v_add_u32_e32 v40, v46, v43
	v_cndmask_b32_e64 v43, 0, v47, s[24:25]
	v_add_co_u32_e64 v8, s[24:25], v41, v8
	v_addc_co_u32_e64 v9, s[24:25], v43, v9, s[24:25]
	v_mov_b32_e32 v43, v40
; %bb.137:
	s_or_b64 exec, exec, s[26:27]
	v_and_b32_e32 v47, 16, v42
	v_mov_b32_dpp v41, v43 row_bcast:15 row_mask:0xf bank_mask:0xf
	v_mov_b32_dpp v40, v8 row_bcast:15 row_mask:0xf bank_mask:0xf
	;; [unrolled: 1-line block ×3, first 2 shown]
	v_cmp_ne_u32_e64 s[24:25], 0, v47
	s_and_saveexec_b64 s[26:27], s[24:25]
; %bb.138:
	v_cmp_eq_u32_e64 s[24:25], 0, v43
	v_cndmask_b32_e64 v40, 0, v40, s[24:25]
	v_add_u32_e32 v41, v41, v43
	v_cndmask_b32_e64 v43, 0, v46, s[24:25]
	v_add_co_u32_e64 v8, s[24:25], v40, v8
	v_addc_co_u32_e64 v9, s[24:25], v43, v9, s[24:25]
	v_mov_b32_e32 v43, v41
; %bb.139:
	s_or_b64 exec, exec, s[26:27]
	s_nop 0
	v_mov_b32_dpp v41, v43 row_bcast:31 row_mask:0xf bank_mask:0xf
	v_mov_b32_dpp v40, v8 row_bcast:31 row_mask:0xf bank_mask:0xf
	;; [unrolled: 1-line block ×3, first 2 shown]
	v_cmp_lt_u32_e64 s[24:25], 31, v42
	s_and_saveexec_b64 s[26:27], s[24:25]
; %bb.140:
	v_cmp_eq_u32_e64 s[24:25], 0, v43
	v_cndmask_b32_e64 v40, 0, v40, s[24:25]
	v_add_u32_e32 v41, v41, v43
	v_cndmask_b32_e64 v43, 0, v46, s[24:25]
	v_add_co_u32_e64 v8, s[24:25], v40, v8
	v_addc_co_u32_e64 v9, s[24:25], v43, v9, s[24:25]
	v_mov_b32_e32 v43, v41
; %bb.141:
	s_or_b64 exec, exec, s[26:27]
	v_or_b32_e32 v40, 63, v0
	v_lshrrev_b32_e32 v46, 6, v0
	v_cmp_eq_u32_e64 s[24:25], v40, v0
	s_and_saveexec_b64 s[26:27], s[24:25]
	s_cbranch_execz .LBB2220_143
; %bb.142:
	v_lshlrev_b32_e32 v40, 4, v46
	ds_write_b32 v40, v43 offset:1056
	ds_write_b64 v40, v[8:9] offset:1064
.LBB2220_143:
	s_or_b64 exec, exec, s[26:27]
	v_cmp_gt_u32_e64 s[24:25], 4, v0
	s_waitcnt lgkmcnt(0)
	s_barrier
	s_and_saveexec_b64 s[26:27], s[24:25]
	s_cbranch_execz .LBB2220_149
; %bb.144:
	v_lshlrev_b32_e32 v47, 4, v0
	ds_read_b32 v48, v47 offset:1056
	ds_read_b64 v[40:41], v47 offset:1064
	v_and_b32_e32 v49, 3, v42
	v_cmp_ne_u32_e64 s[24:25], 0, v49
	s_waitcnt lgkmcnt(1)
	v_mov_b32_dpp v51, v48 row_shr:1 row_mask:0xf bank_mask:0xf
	s_waitcnt lgkmcnt(0)
	v_mov_b32_dpp v50, v40 row_shr:1 row_mask:0xf bank_mask:0xf
	v_mov_b32_dpp v52, v41 row_shr:1 row_mask:0xf bank_mask:0xf
	s_and_saveexec_b64 s[28:29], s[24:25]
; %bb.145:
	v_cmp_eq_u32_e64 s[24:25], 0, v48
	v_cndmask_b32_e64 v50, 0, v50, s[24:25]
	v_add_u32_e32 v51, v51, v48
	v_cndmask_b32_e64 v48, 0, v52, s[24:25]
	v_add_co_u32_e64 v40, s[24:25], v50, v40
	v_addc_co_u32_e64 v41, s[24:25], v48, v41, s[24:25]
	v_mov_b32_e32 v48, v51
; %bb.146:
	s_or_b64 exec, exec, s[28:29]
	s_nop 0
	v_mov_b32_dpp v51, v48 row_shr:2 row_mask:0xf bank_mask:0xf
	v_mov_b32_dpp v50, v40 row_shr:2 row_mask:0xf bank_mask:0xf
	;; [unrolled: 1-line block ×3, first 2 shown]
	v_cmp_lt_u32_e64 s[24:25], 1, v49
	s_and_saveexec_b64 s[28:29], s[24:25]
; %bb.147:
	v_cmp_eq_u32_e64 s[24:25], 0, v48
	v_cndmask_b32_e64 v50, 0, v50, s[24:25]
	v_add_u32_e32 v49, v51, v48
	v_cndmask_b32_e64 v48, 0, v52, s[24:25]
	v_add_co_u32_e64 v40, s[24:25], v50, v40
	v_addc_co_u32_e64 v41, s[24:25], v48, v41, s[24:25]
	v_mov_b32_e32 v48, v49
; %bb.148:
	s_or_b64 exec, exec, s[28:29]
	ds_write_b32 v47, v48 offset:1056
	ds_write_b64 v47, v[40:41] offset:1064
.LBB2220_149:
	s_or_b64 exec, exec, s[26:27]
	v_cmp_lt_u32_e64 s[24:25], 63, v0
	v_mov_b32_e32 v91, 0
	v_mov_b32_e32 v47, 0
	s_waitcnt vmcnt(0)
	v_pk_mov_b32 v[40:41], v[44:45], v[44:45] op_sel:[0,1]
	s_waitcnt lgkmcnt(0)
	s_barrier
	s_and_saveexec_b64 s[26:27], s[24:25]
	s_cbranch_execz .LBB2220_151
; %bb.150:
	v_lshlrev_b32_e32 v40, 4, v46
	ds_read_b32 v47, v40 offset:1040
	ds_read_b64 v[40:41], v40 offset:1048
	s_waitcnt lgkmcnt(1)
	v_cmp_eq_u32_e64 s[24:25], 0, v47
	v_cndmask_b32_e64 v48, 0, v44, s[24:25]
	v_cndmask_b32_e64 v46, 0, v45, s[24:25]
	s_waitcnt lgkmcnt(0)
	v_add_co_u32_e64 v40, s[24:25], v48, v40
	v_addc_co_u32_e64 v41, s[24:25], v46, v41, s[24:25]
.LBB2220_151:
	s_or_b64 exec, exec, s[26:27]
	v_cmp_eq_u32_e64 s[24:25], 0, v43
	v_cndmask_b32_e64 v48, 0, v40, s[24:25]
	v_add_u32_e32 v46, v47, v43
	v_cndmask_b32_e64 v43, 0, v41, s[24:25]
	v_add_co_u32_e64 v8, s[24:25], v48, v8
	v_addc_co_u32_e64 v9, s[24:25], v43, v9, s[24:25]
	v_add_u32_e32 v43, -1, v42
	v_and_b32_e32 v48, 64, v42
	v_cmp_lt_i32_e64 s[24:25], v43, v48
	v_cndmask_b32_e64 v43, v43, v42, s[24:25]
	v_lshlrev_b32_e32 v43, 2, v43
	ds_bpermute_b32 v46, v43, v46
	ds_bpermute_b32 v9, v43, v9
	;; [unrolled: 1-line block ×3, first 2 shown]
	v_cmp_eq_u32_e64 s[24:25], 0, v42
	v_cmp_eq_u32_e64 s[26:27], 0, v89
	s_waitcnt lgkmcnt(2)
	v_cndmask_b32_e64 v90, v46, v47, s[24:25]
	s_waitcnt lgkmcnt(1)
	v_cndmask_b32_e64 v71, v9, v41, s[24:25]
	;; [unrolled: 2-line block ×3, first 2 shown]
	v_cmp_eq_u32_e64 s[24:25], 0, v0
	v_cndmask_b32_e64 v8, v70, v44, s[24:25]
	v_cndmask_b32_e64 v9, v71, v45, s[24:25]
	;; [unrolled: 1-line block ×4, first 2 shown]
	v_add_co_u32_e64 v46, s[26:27], v8, v18
	v_addc_co_u32_e64 v47, s[26:27], v9, v19, s[26:27]
	v_cndmask_b32_e64 v9, 0, v46, s[22:23]
	v_cndmask_b32_e64 v8, 0, v47, s[22:23]
	v_add_co_u32_e64 v48, s[22:23], v9, v38
	v_addc_co_u32_e64 v49, s[22:23], v8, v39, s[22:23]
	v_cndmask_b32_e64 v9, 0, v48, s[20:21]
	v_cndmask_b32_e64 v8, 0, v49, s[20:21]
	;; [unrolled: 4-line block ×11, first 2 shown]
	v_add_co_u32_e64 v68, s[0:1], v9, v28
	v_addc_co_u32_e64 v69, s[0:1], v8, v29, s[0:1]
	v_cndmask_b32_e64 v9, 0, v68, s[2:3]
	ds_read_b32 v40, v91 offset:1104
	v_cndmask_b32_e64 v8, 0, v69, s[2:3]
	v_add_co_u32_e64 v72, s[0:1], v9, v6
	v_addc_co_u32_e64 v73, s[0:1], v8, v7, s[0:1]
	ds_read_b64 v[6:7], v91 offset:1112
	v_cndmask_b32_e32 v75, 0, v73, vcc
	v_cndmask_b32_e32 v74, 0, v72, vcc
	s_waitcnt lgkmcnt(1)
	v_cmp_eq_u32_e32 vcc, 0, v40
	v_cndmask_b32_e32 v9, 0, v44, vcc
	v_cndmask_b32_e32 v8, 0, v45, vcc
	s_waitcnt lgkmcnt(0)
	v_add_co_u32_e32 v42, vcc, v9, v6
	v_addc_co_u32_e32 v43, vcc, v8, v7, vcc
	s_and_saveexec_b64 s[0:1], s[24:25]
	s_cbranch_execz .LBB2220_153
; %bb.152:
	v_mov_b32_e32 v90, 0
	v_mov_b32_e32 v6, 2
	v_pk_mov_b32 v[70:71], v[44:45], v[44:45] op_sel:[0,1]
	global_store_dword v90, v40, s[38:39] offset:1024
	global_store_dwordx2 v90, v[42:43], s[38:39] offset:1032
	s_waitcnt vmcnt(0)
	buffer_wbinvl1_vol
	global_store_byte v90, v6, s[40:41] offset:64
.LBB2220_153:
	s_or_b64 exec, exec, s[0:1]
	v_mov_b32_e32 v44, 0
.LBB2220_154:
	s_and_b64 s[0:1], s[42:43], exec
	s_cselect_b32 s1, 0, s51
	s_cselect_b32 s0, 0, s50
	s_cmp_eq_u64 s[0:1], 0
	v_pk_mov_b32 v[8:9], 0, 0
	s_barrier
	s_cbranch_scc1 .LBB2220_156
; %bb.155:
	v_mov_b32_e32 v6, 0
	global_load_dwordx2 v[8:9], v6, s[0:1]
.LBB2220_156:
	s_waitcnt vmcnt(0)
	v_lshlrev_b64 v[6:7], 1, v[8:9]
	v_mov_b32_e32 v10, s53
	v_add_co_u32_e32 v11, vcc, s52, v6
	v_mov_b32_e32 v45, 0
	v_addc_co_u32_e32 v10, vcc, v10, v7, vcc
	v_lshlrev_b64 v[6:7], 1, v[44:45]
	v_add_co_u32_e32 v32, vcc, v11, v6
	v_addc_co_u32_e32 v33, vcc, v10, v7, vcc
	v_cmp_eq_u32_e32 vcc, 0, v89
	v_cndmask_b32_e64 v6, 1, 2, vcc
	v_cmp_eq_u32_e32 vcc, 0, v88
	v_cndmask_b32_e64 v7, 1, 2, vcc
	v_cmp_eq_u32_e32 vcc, 0, v87
	v_and_b32_e32 v6, v7, v6
	v_cndmask_b32_e64 v7, 1, 2, vcc
	v_cmp_eq_u32_e32 vcc, 0, v86
	v_add_u32_e32 v31, v90, v89
	v_and_b32_e32 v6, v6, v7
	v_cndmask_b32_e64 v7, 1, 2, vcc
	v_cmp_eq_u32_e32 vcc, 0, v85
	v_add_u32_e32 v30, v31, v88
	;; [unrolled: 4-line block ×12, first 2 shown]
	v_and_b32_e32 v6, v6, v7
	v_cndmask_b32_e64 v7, 1, 2, vcc
	s_movk_i32 s30, 0x100
	v_add_u32_e32 v13, v14, v77
	v_and_b32_e32 v6, v6, v7
	v_cmp_gt_u32_e32 vcc, s30, v40
	v_add_u32_e32 v12, v13, v76
	v_cmp_ne_u32_e64 s[28:29], 0, v89
	v_cmp_ne_u32_e64 s[26:27], 0, v88
	v_cmp_ne_u32_e64 s[24:25], 0, v87
	v_cmp_ne_u32_e64 s[22:23], 0, v86
	v_cmp_ne_u32_e64 s[20:21], 0, v85
	v_cmp_ne_u32_e64 s[18:19], 0, v84
	v_cmp_ne_u32_e64 s[16:17], 0, v83
	v_cmp_ne_u32_e64 s[14:15], 0, v82
	v_cmp_ne_u32_e64 s[12:13], 0, v81
	v_cmp_ne_u32_e64 s[10:11], 0, v80
	v_cmp_ne_u32_e64 s[8:9], 0, v79
	v_cmp_ne_u32_e64 s[6:7], 0, v78
	v_cmp_ne_u32_e64 s[4:5], 0, v77
	v_cmp_ne_u32_e64 s[2:3], 0, v76
	v_cmp_ne_u32_e64 s[0:1], 0, v25
	s_mov_b64 s[36:37], -1
	v_cmp_gt_i16_e64 s[30:31], 2, v6
	s_cbranch_vccz .LBB2220_163
; %bb.157:
	s_and_saveexec_b64 s[36:37], s[30:31]
	s_cbranch_execz .LBB2220_162
; %bb.158:
	v_cmp_ne_u16_e32 vcc, 1, v6
	s_mov_b64 s[38:39], 0
	s_and_saveexec_b64 s[30:31], vcc
	s_xor_b64 s[30:31], exec, s[30:31]
	s_cbranch_execnz .LBB2220_207
; %bb.159:
	s_andn2_saveexec_b64 s[30:31], s[30:31]
	s_cbranch_execnz .LBB2220_223
.LBB2220_160:
	s_or_b64 exec, exec, s[30:31]
	s_and_b64 exec, exec, s[38:39]
	s_cbranch_execz .LBB2220_162
.LBB2220_161:
	v_sub_u32_e32 v10, v12, v44
	v_mov_b32_e32 v11, 0
	v_lshlrev_b64 v[10:11], 1, v[10:11]
	v_add_co_u32_e32 v10, vcc, v32, v10
	v_addc_co_u32_e32 v11, vcc, v33, v11, vcc
	global_store_short_d16_hi v[10:11], v24, off
.LBB2220_162:
	s_or_b64 exec, exec, s[36:37]
	s_mov_b64 s[36:37], 0
.LBB2220_163:
	s_and_b64 vcc, exec, s[36:37]
	s_cbranch_vccz .LBB2220_185
; %bb.164:
	v_cmp_gt_i16_e32 vcc, 2, v6
	s_and_saveexec_b64 s[30:31], vcc
	s_cbranch_execz .LBB2220_169
; %bb.165:
	v_cmp_ne_u16_e32 vcc, 1, v6
	s_mov_b64 s[38:39], 0
	s_and_saveexec_b64 s[36:37], vcc
	s_xor_b64 s[36:37], exec, s[36:37]
	s_cbranch_execnz .LBB2220_224
; %bb.166:
	s_andn2_saveexec_b64 s[0:1], s[36:37]
	s_cbranch_execnz .LBB2220_240
.LBB2220_167:
	s_or_b64 exec, exec, s[0:1]
	s_and_b64 exec, exec, s[38:39]
	s_cbranch_execz .LBB2220_169
.LBB2220_168:
	v_sub_u32_e32 v1, v12, v44
	v_lshlrev_b32_e32 v1, 1, v1
	ds_write_b16_d16_hi v1, v24
.LBB2220_169:
	s_or_b64 exec, exec, s[30:31]
	v_cmp_lt_u32_e32 vcc, v0, v40
	s_waitcnt lgkmcnt(0)
	s_barrier
	s_and_saveexec_b64 s[2:3], vcc
	s_cbranch_execz .LBB2220_184
; %bb.170:
	v_xad_u32 v1, v0, -1, v40
	s_movk_i32 s0, 0x1700
	v_cmp_gt_u32_e64 s[4:5], s0, v1
	s_movk_i32 s0, 0x16ff
	v_cmp_lt_u32_e32 vcc, s0, v1
	v_mov_b32_e32 v2, v0
	s_and_saveexec_b64 s[6:7], vcc
	s_cbranch_execz .LBB2220_181
; %bb.171:
	v_sub_u32_e32 v2, v0, v40
	v_or_b32_e32 v2, 0xff, v2
	v_cmp_ge_u32_e32 vcc, v2, v0
	s_mov_b64 s[0:1], -1
	v_mov_b32_e32 v2, v0
	s_and_saveexec_b64 s[8:9], vcc
	s_cbranch_execz .LBB2220_180
; %bb.172:
	v_lshrrev_b32_e32 v22, 8, v1
	v_add_u32_e32 v4, -3, v22
	v_or_b32_e32 v3, 0x300, v0
	v_or_b32_e32 v2, 0x200, v0
	v_lshrrev_b32_e32 v5, 2, v4
	v_or_b32_e32 v1, 0x100, v0
	v_add_u32_e32 v24, 1, v5
	v_cmp_lt_u32_e32 vcc, 11, v4
	v_pk_mov_b32 v[6:7], v[2:3], v[2:3] op_sel:[0,1]
	v_mov_b32_e32 v36, 0
	v_lshlrev_b32_e32 v23, 1, v0
	v_pk_mov_b32 v[4:5], v[0:1], v[0:1] op_sel:[0,1]
	s_and_saveexec_b64 s[10:11], vcc
	s_cbranch_execz .LBB2220_176
; %bb.173:
	v_pk_mov_b32 v[6:7], v[2:3], v[2:3] op_sel:[0,1]
	v_and_b32_e32 v34, 0x7ffffffc, v24
	s_mov_b32 s14, 0
	s_mov_b64 s[12:13], 0
	v_mov_b32_e32 v11, 0
	v_mov_b32_e32 v35, v23
	v_pk_mov_b32 v[4:5], v[0:1], v[0:1] op_sel:[0,1]
.LBB2220_174:                           ; =>This Inner Loop Header: Depth=1
	v_mov_b32_e32 v10, v4
	v_lshlrev_b64 v[104:105], 1, v[10:11]
	v_add_u32_e32 v38, 0x400, v5
	v_mov_b32_e32 v39, v11
	v_add_co_u32_e64 v104, s[0:1], v32, v104
	v_lshlrev_b64 v[38:39], 1, v[38:39]
	v_addc_co_u32_e64 v105, s[0:1], v33, v105, s[0:1]
	v_add_u32_e32 v36, 0x400, v6
	v_mov_b32_e32 v37, v11
	v_add_co_u32_e64 v38, s[0:1], v32, v38
	v_lshlrev_b64 v[106:107], 1, v[36:37]
	v_addc_co_u32_e64 v39, s[0:1], v33, v39, s[0:1]
	v_add_u32_e32 v2, 0x400, v7
	v_mov_b32_e32 v3, v11
	v_add_co_u32_e64 v106, s[0:1], v32, v106
	v_add_u32_e32 v34, -4, v34
	v_mov_b32_e32 v10, v5
	v_lshlrev_b64 v[2:3], 1, v[2:3]
	v_addc_co_u32_e64 v107, s[0:1], v33, v107, s[0:1]
	v_add_u32_e32 v96, 0x800, v5
	v_mov_b32_e32 v97, v11
	s_add_i32 s14, s14, 16
	v_cmp_eq_u32_e32 vcc, 0, v34
	v_lshlrev_b64 v[108:109], 1, v[10:11]
	v_add_co_u32_e64 v2, s[0:1], v32, v2
	v_lshlrev_b64 v[96:97], 1, v[96:97]
	v_mov_b32_e32 v10, v6
	v_addc_co_u32_e64 v3, s[0:1], v33, v3, s[0:1]
	s_or_b64 s[12:13], vcc, s[12:13]
	v_add_co_u32_e32 v108, vcc, v32, v108
	v_add_u32_e32 v94, 0x800, v6
	v_mov_b32_e32 v95, v11
	v_add_co_u32_e64 v96, s[0:1], v32, v96
	v_addc_co_u32_e32 v109, vcc, v33, v109, vcc
	v_lshlrev_b64 v[110:111], 1, v[10:11]
	v_lshlrev_b64 v[94:95], 1, v[94:95]
	v_addc_co_u32_e64 v97, s[0:1], v33, v97, s[0:1]
	v_mov_b32_e32 v10, v7
	v_add_co_u32_e32 v110, vcc, v32, v110
	ds_read_u16 v1, v35
	ds_read_u16 v41, v35 offset:512
	ds_read_u16 v91, v35 offset:1024
	ds_read_u16 v114, v35 offset:1536
	ds_read_u16 v115, v35 offset:2048
	ds_read_u16 v116, v35 offset:2560
	ds_read_u16 v117, v35 offset:3072
	ds_read_u16 v118, v35 offset:3584
	v_add_u32_e32 v92, 0x800, v7
	v_mov_b32_e32 v93, v11
	v_add_co_u32_e64 v94, s[0:1], v32, v94
	v_addc_co_u32_e32 v111, vcc, v33, v111, vcc
	v_lshlrev_b64 v[112:113], 1, v[10:11]
	v_lshlrev_b64 v[92:93], 1, v[92:93]
	v_addc_co_u32_e64 v95, s[0:1], v33, v95, s[0:1]
	v_add_u32_e32 v10, 0x400, v4
	v_add_co_u32_e32 v112, vcc, v32, v112
	v_add_u32_e32 v102, 0xc00, v5
	v_mov_b32_e32 v103, v11
	ds_read_u16 v119, v35 offset:4096
	ds_read_u16 v120, v35 offset:4608
	;; [unrolled: 1-line block ×8, first 2 shown]
	v_add_co_u32_e64 v92, s[0:1], v32, v92
	v_addc_co_u32_e32 v113, vcc, v33, v113, vcc
	s_waitcnt lgkmcnt(14)
	global_store_short v[104:105], v1, off
	global_store_short v[108:109], v41, off
	s_waitcnt lgkmcnt(13)
	global_store_short v[110:111], v91, off
	v_lshlrev_b64 v[104:105], 1, v[10:11]
	v_lshlrev_b64 v[102:103], 1, v[102:103]
	v_addc_co_u32_e64 v93, s[0:1], v33, v93, s[0:1]
	v_add_u32_e32 v10, 0x800, v4
	v_add_co_u32_e32 v104, vcc, v32, v104
	v_add_u32_e32 v100, 0xc00, v6
	v_mov_b32_e32 v101, v11
	v_add_co_u32_e64 v102, s[0:1], v32, v102
	v_addc_co_u32_e32 v105, vcc, v33, v105, vcc
	v_lshlrev_b64 v[108:109], 1, v[10:11]
	v_lshlrev_b64 v[100:101], 1, v[100:101]
	v_addc_co_u32_e64 v103, s[0:1], v33, v103, s[0:1]
	s_waitcnt lgkmcnt(12)
	global_store_short v[112:113], v114, off
	v_add_u32_e32 v10, 0xc00, v4
	s_waitcnt lgkmcnt(11)
	global_store_short v[104:105], v115, off
	s_waitcnt lgkmcnt(10)
	global_store_short v[38:39], v116, off
	s_waitcnt lgkmcnt(9)
	global_store_short v[106:107], v117, off
	s_waitcnt lgkmcnt(8)
	global_store_short v[2:3], v118, off
	v_add_co_u32_e32 v2, vcc, v32, v108
	v_add_u32_e32 v98, 0xc00, v7
	v_mov_b32_e32 v99, v11
	v_add_co_u32_e64 v100, s[0:1], v32, v100
	v_addc_co_u32_e32 v3, vcc, v33, v109, vcc
	v_lshlrev_b64 v[38:39], 1, v[10:11]
	v_lshlrev_b64 v[98:99], 1, v[98:99]
	v_addc_co_u32_e64 v101, s[0:1], v33, v101, s[0:1]
	s_waitcnt lgkmcnt(7)
	global_store_short v[2:3], v119, off
	s_waitcnt lgkmcnt(6)
	global_store_short v[96:97], v120, off
	;; [unrolled: 2-line block ×4, first 2 shown]
	v_add_co_u32_e32 v2, vcc, v32, v38
	v_add_u32_e32 v35, 0x2000, v35
	v_add_u32_e32 v5, 0x1000, v5
	v_mov_b32_e32 v36, s14
	v_add_co_u32_e64 v98, s[0:1], v32, v98
	v_add_u32_e32 v6, 0x1000, v6
	v_add_u32_e32 v7, 0x1000, v7
	;; [unrolled: 1-line block ×3, first 2 shown]
	v_addc_co_u32_e32 v3, vcc, v33, v39, vcc
	v_addc_co_u32_e64 v99, s[0:1], v33, v99, s[0:1]
	s_waitcnt lgkmcnt(3)
	global_store_short v[2:3], v123, off
	s_waitcnt lgkmcnt(2)
	global_store_short v[102:103], v124, off
	s_waitcnt lgkmcnt(1)
	global_store_short v[100:101], v125, off
	s_waitcnt lgkmcnt(0)
	global_store_short v[98:99], v126, off
	s_andn2_b64 exec, exec, s[12:13]
	s_cbranch_execnz .LBB2220_174
; %bb.175:
	s_or_b64 exec, exec, s[12:13]
.LBB2220_176:
	s_or_b64 exec, exec, s[10:11]
	v_and_b32_e32 v1, 3, v24
	v_cmp_ne_u32_e32 vcc, 0, v1
	s_and_saveexec_b64 s[10:11], vcc
	s_cbranch_execz .LBB2220_179
; %bb.177:
	v_lshl_or_b32 v10, v36, 9, v23
	s_mov_b64 s[12:13], 0
	v_mov_b32_e32 v3, 0
.LBB2220_178:                           ; =>This Inner Loop Header: Depth=1
	v_mov_b32_e32 v2, v4
	v_add_u32_e32 v1, -1, v1
	v_lshlrev_b64 v[34:35], 1, v[2:3]
	v_mov_b32_e32 v2, v5
	v_cmp_eq_u32_e32 vcc, 0, v1
	v_lshlrev_b64 v[36:37], 1, v[2:3]
	ds_read_u16 v11, v10
	ds_read_u16 v23, v10 offset:512
	ds_read_u16 v24, v10 offset:1024
	;; [unrolled: 1-line block ×3, first 2 shown]
	v_mov_b32_e32 v2, v6
	s_or_b64 s[12:13], vcc, s[12:13]
	v_add_co_u32_e32 v36, vcc, v32, v36
	v_addc_co_u32_e32 v37, vcc, v33, v37, vcc
	v_lshlrev_b64 v[38:39], 1, v[2:3]
	v_mov_b32_e32 v2, v7
	v_add_co_u32_e32 v38, vcc, v32, v38
	v_add_co_u32_e64 v34, s[0:1], v32, v34
	v_addc_co_u32_e32 v39, vcc, v33, v39, vcc
	v_lshlrev_b64 v[92:93], 1, v[2:3]
	v_add_u32_e32 v4, 0x400, v4
	v_add_u32_e32 v10, 0x800, v10
	;; [unrolled: 1-line block ×3, first 2 shown]
	v_addc_co_u32_e64 v35, s[0:1], v33, v35, s[0:1]
	v_add_u32_e32 v6, 0x400, v6
	v_add_u32_e32 v7, 0x400, v7
	v_add_co_u32_e32 v92, vcc, v32, v92
	v_addc_co_u32_e32 v93, vcc, v33, v93, vcc
	s_waitcnt lgkmcnt(3)
	global_store_short v[34:35], v11, off
	s_waitcnt lgkmcnt(2)
	global_store_short v[36:37], v23, off
	;; [unrolled: 2-line block ×4, first 2 shown]
	s_andn2_b64 exec, exec, s[12:13]
	s_cbranch_execnz .LBB2220_178
.LBB2220_179:
	s_or_b64 exec, exec, s[10:11]
	v_add_u32_e32 v1, 1, v22
	v_and_b32_e32 v3, 0x1fffffc, v1
	v_cmp_ne_u32_e32 vcc, v1, v3
	v_lshl_or_b32 v2, v3, 8, v0
	s_orn2_b64 s[0:1], vcc, exec
.LBB2220_180:
	s_or_b64 exec, exec, s[8:9]
	s_andn2_b64 s[4:5], s[4:5], exec
	s_and_b64 s[0:1], s[0:1], exec
	s_or_b64 s[4:5], s[4:5], s[0:1]
.LBB2220_181:
	s_or_b64 exec, exec, s[6:7]
	s_and_b64 exec, exec, s[4:5]
	s_cbranch_execz .LBB2220_184
; %bb.182:
	v_lshlrev_b32_e32 v1, 1, v2
	s_mov_b64 s[0:1], 0
	v_mov_b32_e32 v3, 0
.LBB2220_183:                           ; =>This Inner Loop Header: Depth=1
	v_lshlrev_b64 v[4:5], 1, v[2:3]
	ds_read_u16 v6, v1
	v_add_co_u32_e32 v4, vcc, v32, v4
	v_add_u32_e32 v2, 0x100, v2
	v_addc_co_u32_e32 v5, vcc, v33, v5, vcc
	v_cmp_ge_u32_e32 vcc, v2, v40
	v_add_u32_e32 v1, 0x200, v1
	s_or_b64 s[0:1], vcc, s[0:1]
	s_waitcnt lgkmcnt(0)
	global_store_short v[4:5], v6, off
	s_andn2_b64 exec, exec, s[0:1]
	s_cbranch_execnz .LBB2220_183
.LBB2220_184:
	s_or_b64 exec, exec, s[2:3]
.LBB2220_185:
	v_add_co_u32_e32 v2, vcc, v74, v26
	s_cmpk_lg_i32 s33, 0xf00
	v_addc_co_u32_e32 v3, vcc, v75, v27, vcc
	s_cselect_b64 s[0:1], -1, 0
	v_cndmask_b32_e64 v10, 0, 1, s[46:47]
	s_and_b64 s[0:1], s[44:45], s[0:1]
	v_cmp_eq_u32_e32 vcc, 0, v0
	v_sub_u32_e32 v1, v40, v10
	v_cndmask_b32_e64 v4, 0, 1, s[0:1]
	s_and_b64 s[0:1], vcc, s[46:47]
	v_add_u32_e32 v1, v1, v4
	v_cndmask_b32_e64 v4, v89, 0, s[0:1]
	s_mul_hi_u32 s0, s33, 0x88888889
	s_lshr_b32 s0, s0, 3
	v_mad_i32_i24 v5, v0, -15, s33
	v_cmp_eq_u32_e32 vcc, s0, v0
	v_cmp_ne_u32_e64 s[0:1], 0, v5
	v_cndmask_b32_e64 v6, 1, v4, s[0:1]
	v_cmp_ne_u32_e64 s[0:1], 1, v5
	v_cndmask_b32_e64 v7, 1, v88, s[0:1]
	;; [unrolled: 2-line block ×15, first 2 shown]
	s_and_b64 vcc, s[44:45], vcc
	v_cndmask_b32_e32 v25, v25, v5, vcc
	v_cndmask_b32_e32 v39, v4, v6, vcc
	v_lshlrev_b64 v[4:5], 3, v[8:9]
	v_cndmask_b32_e32 v37, v76, v37, vcc
	v_cndmask_b32_e32 v36, v77, v36, vcc
	;; [unrolled: 1-line block ×13, first 2 shown]
	v_mov_b32_e32 v6, s55
	v_add_co_u32_e32 v7, vcc, s54, v4
	v_addc_co_u32_e32 v6, vcc, v6, v5, vcc
	v_lshlrev_b64 v[4:5], 3, v[44:45]
	v_add_co_u32_e32 v4, vcc, v7, v4
	v_addc_co_u32_e32 v5, vcc, v6, v5, vcc
	v_lshlrev_b32_e32 v6, 3, v10
	v_add_co_u32_e32 v6, vcc, v6, v4
	v_addc_co_u32_e32 v7, vcc, 0, v5, vcc
	v_add_co_u32_e32 v6, vcc, -8, v6
	v_addc_co_u32_e32 v7, vcc, -1, v7, vcc
	v_cmp_eq_u32_e32 vcc, 0, v39
	v_cmp_ne_u32_e64 s[28:29], 0, v39
	v_cndmask_b32_e64 v39, 1, 2, vcc
	v_cmp_eq_u32_e32 vcc, 0, v38
	v_cmp_ne_u32_e64 s[26:27], 0, v38
	v_cndmask_b32_e64 v38, 1, 2, vcc
	v_cmp_eq_u32_e32 vcc, 0, v11
	v_and_b32_e32 v38, v38, v39
	v_cmp_ne_u32_e64 s[24:25], 0, v11
	v_cndmask_b32_e64 v11, 1, 2, vcc
	v_cmp_eq_u32_e32 vcc, 0, v22
	v_and_b32_e32 v11, v38, v11
	;; [unrolled: 4-line block ×3, first 2 shown]
	v_cndmask_b32_e64 v22, 1, 2, vcc
	v_cmp_eq_u32_e32 vcc, 0, v24
	v_and_b32_e32 v11, v11, v22
	v_cndmask_b32_e64 v22, 1, 2, vcc
	v_cmp_eq_u32_e32 vcc, 0, v26
	v_and_b32_e32 v11, v11, v22
	;; [unrolled: 3-line block ×10, first 2 shown]
	v_cndmask_b32_e64 v22, 1, 2, vcc
	s_movk_i32 s30, 0x100
	v_and_b32_e32 v11, v11, v22
	v_cmp_gt_u32_e32 vcc, s30, v1
	v_add_u32_e32 v10, v44, v10
	v_cmp_ne_u32_e64 s[20:21], 0, v23
	v_cmp_ne_u32_e64 s[18:19], 0, v24
	v_cmp_ne_u32_e64 s[16:17], 0, v26
	v_cmp_ne_u32_e64 s[14:15], 0, v27
	v_cmp_ne_u32_e64 s[12:13], 0, v32
	v_cmp_ne_u32_e64 s[10:11], 0, v33
	v_cmp_ne_u32_e64 s[8:9], 0, v34
	v_cmp_ne_u32_e64 s[6:7], 0, v35
	v_cmp_ne_u32_e64 s[4:5], 0, v36
	v_cmp_ne_u32_e64 s[2:3], 0, v37
	v_cmp_ne_u32_e64 s[0:1], 0, v25
	s_mov_b64 s[36:37], -1
	v_cmp_gt_i16_e64 s[30:31], 2, v11
	s_barrier
	s_cbranch_vccz .LBB2220_192
; %bb.186:
	s_and_saveexec_b64 s[36:37], s[30:31]
	s_cbranch_execz .LBB2220_191
; %bb.187:
	v_cmp_ne_u16_e32 vcc, 1, v11
	s_mov_b64 s[38:39], 0
	s_and_saveexec_b64 s[30:31], vcc
	s_xor_b64 s[30:31], exec, s[30:31]
	s_cbranch_execnz .LBB2220_241
; %bb.188:
	s_andn2_saveexec_b64 s[30:31], s[30:31]
	s_cbranch_execnz .LBB2220_257
.LBB2220_189:
	s_or_b64 exec, exec, s[30:31]
	s_and_b64 exec, exec, s[38:39]
	s_cbranch_execz .LBB2220_191
.LBB2220_190:
	v_sub_u32_e32 v22, v12, v10
	v_mov_b32_e32 v23, 0
	v_lshlrev_b64 v[22:23], 3, v[22:23]
	v_add_co_u32_e32 v22, vcc, v6, v22
	v_addc_co_u32_e32 v23, vcc, v7, v23, vcc
	global_store_dwordx2 v[22:23], v[2:3], off
.LBB2220_191:
	s_or_b64 exec, exec, s[36:37]
	s_mov_b64 s[36:37], 0
.LBB2220_192:
	s_and_b64 vcc, exec, s[36:37]
	s_cbranch_vccz .LBB2220_202
; %bb.193:
	v_cmp_gt_i16_e32 vcc, 2, v11
	s_and_saveexec_b64 s[30:31], vcc
	s_cbranch_execz .LBB2220_198
; %bb.194:
	v_cmp_ne_u16_e32 vcc, 1, v11
	s_mov_b64 s[38:39], 0
	s_and_saveexec_b64 s[36:37], vcc
	s_xor_b64 s[36:37], exec, s[36:37]
	s_cbranch_execnz .LBB2220_258
; %bb.195:
	s_andn2_saveexec_b64 s[0:1], s[36:37]
	s_cbranch_execnz .LBB2220_274
.LBB2220_196:
	s_or_b64 exec, exec, s[0:1]
	s_and_b64 exec, exec, s[38:39]
	s_cbranch_execz .LBB2220_198
.LBB2220_197:
	v_sub_u32_e32 v10, v12, v10
	v_lshlrev_b32_e32 v10, 3, v10
	ds_write_b64 v10, v[2:3]
.LBB2220_198:
	s_or_b64 exec, exec, s[30:31]
	v_cmp_lt_u32_e32 vcc, v0, v1
	s_waitcnt lgkmcnt(0)
	s_barrier
	s_and_saveexec_b64 s[0:1], vcc
	s_cbranch_execz .LBB2220_201
; %bb.199:
	v_lshlrev_b32_e32 v10, 3, v0
	s_mov_b64 s[2:3], 0
	v_mov_b32_e32 v3, 0
	v_mov_b32_e32 v2, v0
.LBB2220_200:                           ; =>This Inner Loop Header: Depth=1
	v_lshlrev_b64 v[12:13], 3, v[2:3]
	ds_read_b64 v[14:15], v10
	v_add_co_u32_e32 v12, vcc, v6, v12
	v_add_u32_e32 v2, 0x100, v2
	v_addc_co_u32_e32 v13, vcc, v7, v13, vcc
	v_cmp_ge_u32_e32 vcc, v2, v1
	v_add_u32_e32 v10, 0x800, v10
	s_or_b64 s[2:3], vcc, s[2:3]
	s_waitcnt lgkmcnt(0)
	global_store_dwordx2 v[12:13], v[14:15], off
	s_andn2_b64 exec, exec, s[2:3]
	s_cbranch_execnz .LBB2220_200
.LBB2220_201:
	s_or_b64 exec, exec, s[0:1]
.LBB2220_202:
	s_movk_i32 s0, 0xff
	v_cmp_eq_u32_e32 vcc, s0, v0
	s_and_b64 s[0:1], vcc, s[44:45]
	s_and_saveexec_b64 s[2:3], s[0:1]
	s_cbranch_execz .LBB2220_205
; %bb.203:
	v_add_co_u32_e32 v0, vcc, v40, v44
	v_addc_co_u32_e64 v1, s[0:1], 0, 0, vcc
	v_add_co_u32_e32 v0, vcc, v0, v8
	v_mov_b32_e32 v41, 0
	v_addc_co_u32_e32 v1, vcc, v1, v9, vcc
	s_cmpk_lg_i32 s33, 0xf00
	global_store_dwordx2 v41, v[0:1], s[34:35]
	s_cbranch_scc1 .LBB2220_205
; %bb.204:
	v_lshlrev_b64 v[0:1], 3, v[40:41]
	v_add_co_u32_e32 v0, vcc, v4, v0
	v_addc_co_u32_e32 v1, vcc, v5, v1, vcc
	global_store_dwordx2 v[0:1], v[42:43], off offset:-8
.LBB2220_205:
	s_endpgm
.LBB2220_206:
	s_or_b64 exec, exec, s[4:5]
	v_mov_b32_e32 v89, s7
	s_and_saveexec_b64 s[4:5], s[2:3]
	s_cbranch_execnz .LBB2220_54
	s_branch .LBB2220_55
.LBB2220_207:
	s_and_saveexec_b64 s[38:39], s[28:29]
	s_cbranch_execnz .LBB2220_275
; %bb.208:
	s_or_b64 exec, exec, s[38:39]
	s_and_saveexec_b64 s[38:39], s[26:27]
	s_cbranch_execnz .LBB2220_276
.LBB2220_209:
	s_or_b64 exec, exec, s[38:39]
	s_and_saveexec_b64 s[38:39], s[24:25]
	s_cbranch_execnz .LBB2220_277
.LBB2220_210:
	s_or_b64 exec, exec, s[38:39]
	s_and_saveexec_b64 s[38:39], s[22:23]
	s_cbranch_execnz .LBB2220_278
.LBB2220_211:
	s_or_b64 exec, exec, s[38:39]
	s_and_saveexec_b64 s[38:39], s[20:21]
	s_cbranch_execnz .LBB2220_279
.LBB2220_212:
	s_or_b64 exec, exec, s[38:39]
	s_and_saveexec_b64 s[38:39], s[18:19]
	s_cbranch_execnz .LBB2220_280
.LBB2220_213:
	s_or_b64 exec, exec, s[38:39]
	s_and_saveexec_b64 s[38:39], s[16:17]
	s_cbranch_execnz .LBB2220_281
.LBB2220_214:
	s_or_b64 exec, exec, s[38:39]
	s_and_saveexec_b64 s[38:39], s[14:15]
	s_cbranch_execnz .LBB2220_282
.LBB2220_215:
	s_or_b64 exec, exec, s[38:39]
	s_and_saveexec_b64 s[38:39], s[12:13]
	s_cbranch_execnz .LBB2220_283
.LBB2220_216:
	s_or_b64 exec, exec, s[38:39]
	s_and_saveexec_b64 s[38:39], s[10:11]
	s_cbranch_execnz .LBB2220_284
.LBB2220_217:
	s_or_b64 exec, exec, s[38:39]
	s_and_saveexec_b64 s[38:39], s[8:9]
	s_cbranch_execnz .LBB2220_285
.LBB2220_218:
	s_or_b64 exec, exec, s[38:39]
	s_and_saveexec_b64 s[38:39], s[6:7]
	s_cbranch_execnz .LBB2220_286
.LBB2220_219:
	s_or_b64 exec, exec, s[38:39]
	s_and_saveexec_b64 s[38:39], s[4:5]
	s_cbranch_execnz .LBB2220_287
.LBB2220_220:
	s_or_b64 exec, exec, s[38:39]
	s_and_saveexec_b64 s[38:39], s[2:3]
	s_cbranch_execz .LBB2220_222
.LBB2220_221:
	v_sub_u32_e32 v10, v13, v44
	v_mov_b32_e32 v11, 0
	v_lshlrev_b64 v[10:11], 1, v[10:11]
	v_add_co_u32_e32 v10, vcc, v32, v10
	v_addc_co_u32_e32 v11, vcc, v33, v11, vcc
	global_store_short v[10:11], v24, off
.LBB2220_222:
	s_or_b64 exec, exec, s[38:39]
	s_and_b64 s[38:39], s[0:1], exec
	s_andn2_saveexec_b64 s[30:31], s[30:31]
	s_cbranch_execz .LBB2220_160
.LBB2220_223:
	v_sub_u32_e32 v10, v90, v44
	v_mov_b32_e32 v11, 0
	v_lshlrev_b64 v[34:35], 1, v[10:11]
	v_add_co_u32_e32 v34, vcc, v32, v34
	v_addc_co_u32_e32 v35, vcc, v33, v35, vcc
	v_sub_u32_e32 v10, v31, v44
	global_store_short v[34:35], v1, off
	v_lshlrev_b64 v[34:35], 1, v[10:11]
	v_add_co_u32_e32 v34, vcc, v32, v34
	v_addc_co_u32_e32 v35, vcc, v33, v35, vcc
	v_sub_u32_e32 v10, v30, v44
	global_store_short v[34:35], v2, off
	v_lshlrev_b64 v[34:35], 1, v[10:11]
	v_add_co_u32_e32 v34, vcc, v32, v34
	v_addc_co_u32_e32 v35, vcc, v33, v35, vcc
	v_sub_u32_e32 v10, v29, v44
	global_store_short_d16_hi v[34:35], v2, off
	v_lshlrev_b64 v[34:35], 1, v[10:11]
	v_add_co_u32_e32 v34, vcc, v32, v34
	v_addc_co_u32_e32 v35, vcc, v33, v35, vcc
	v_sub_u32_e32 v10, v28, v44
	global_store_short v[34:35], v3, off
	v_lshlrev_b64 v[34:35], 1, v[10:11]
	v_add_co_u32_e32 v34, vcc, v32, v34
	v_addc_co_u32_e32 v35, vcc, v33, v35, vcc
	v_sub_u32_e32 v10, v21, v44
	global_store_short_d16_hi v[34:35], v3, off
	;; [unrolled: 10-line block ×5, first 2 shown]
	v_lshlrev_b64 v[34:35], 1, v[10:11]
	v_add_co_u32_e32 v34, vcc, v32, v34
	v_addc_co_u32_e32 v35, vcc, v33, v35, vcc
	v_sub_u32_e32 v10, v14, v44
	global_store_short v[34:35], v23, off
	v_lshlrev_b64 v[34:35], 1, v[10:11]
	v_add_co_u32_e32 v34, vcc, v32, v34
	v_sub_u32_e32 v10, v13, v44
	v_addc_co_u32_e32 v35, vcc, v33, v35, vcc
	v_lshlrev_b64 v[10:11], 1, v[10:11]
	v_add_co_u32_e32 v10, vcc, v32, v10
	v_addc_co_u32_e32 v11, vcc, v33, v11, vcc
	s_or_b64 s[38:39], s[38:39], exec
	global_store_short_d16_hi v[34:35], v23, off
	global_store_short v[10:11], v24, off
	s_or_b64 exec, exec, s[30:31]
	s_and_b64 exec, exec, s[38:39]
	s_cbranch_execnz .LBB2220_161
	s_branch .LBB2220_162
.LBB2220_224:
	s_and_saveexec_b64 s[38:39], s[28:29]
	s_cbranch_execnz .LBB2220_288
; %bb.225:
	s_or_b64 exec, exec, s[38:39]
	s_and_saveexec_b64 s[28:29], s[26:27]
	s_cbranch_execnz .LBB2220_289
.LBB2220_226:
	s_or_b64 exec, exec, s[28:29]
	s_and_saveexec_b64 s[26:27], s[24:25]
	s_cbranch_execnz .LBB2220_290
.LBB2220_227:
	s_or_b64 exec, exec, s[26:27]
	s_and_saveexec_b64 s[24:25], s[22:23]
	s_cbranch_execnz .LBB2220_291
.LBB2220_228:
	s_or_b64 exec, exec, s[24:25]
	s_and_saveexec_b64 s[22:23], s[20:21]
	s_cbranch_execnz .LBB2220_292
.LBB2220_229:
	s_or_b64 exec, exec, s[22:23]
	s_and_saveexec_b64 s[20:21], s[18:19]
	s_cbranch_execnz .LBB2220_293
.LBB2220_230:
	s_or_b64 exec, exec, s[20:21]
	s_and_saveexec_b64 s[18:19], s[16:17]
	s_cbranch_execnz .LBB2220_294
.LBB2220_231:
	s_or_b64 exec, exec, s[18:19]
	s_and_saveexec_b64 s[16:17], s[14:15]
	s_cbranch_execnz .LBB2220_295
.LBB2220_232:
	s_or_b64 exec, exec, s[16:17]
	s_and_saveexec_b64 s[14:15], s[12:13]
	s_cbranch_execnz .LBB2220_296
.LBB2220_233:
	s_or_b64 exec, exec, s[14:15]
	s_and_saveexec_b64 s[12:13], s[10:11]
	s_cbranch_execnz .LBB2220_297
.LBB2220_234:
	s_or_b64 exec, exec, s[12:13]
	s_and_saveexec_b64 s[10:11], s[8:9]
	s_cbranch_execnz .LBB2220_298
.LBB2220_235:
	s_or_b64 exec, exec, s[10:11]
	s_and_saveexec_b64 s[8:9], s[6:7]
	s_cbranch_execnz .LBB2220_299
.LBB2220_236:
	s_or_b64 exec, exec, s[8:9]
	s_and_saveexec_b64 s[6:7], s[4:5]
	s_cbranch_execnz .LBB2220_300
.LBB2220_237:
	s_or_b64 exec, exec, s[6:7]
	s_and_saveexec_b64 s[4:5], s[2:3]
	s_cbranch_execz .LBB2220_239
.LBB2220_238:
	v_sub_u32_e32 v1, v13, v44
	v_lshlrev_b32_e32 v1, 1, v1
	ds_write_b16 v1, v24
.LBB2220_239:
	s_or_b64 exec, exec, s[4:5]
	s_and_b64 s[38:39], s[0:1], exec
                                        ; implicit-def: $vgpr1
                                        ; implicit-def: $vgpr2
	s_andn2_saveexec_b64 s[0:1], s[36:37]
	s_cbranch_execz .LBB2220_167
.LBB2220_240:
	v_sub_u32_e32 v6, v90, v44
	v_lshlrev_b32_e32 v6, 1, v6
	ds_write_b16 v6, v1
	v_sub_u32_e32 v1, v31, v44
	v_lshlrev_b32_e32 v1, 1, v1
	ds_write_b16 v1, v2
	v_sub_u32_e32 v1, v30, v44
	v_lshlrev_b32_e32 v1, 1, v1
	ds_write_b16_d16_hi v1, v2
	v_sub_u32_e32 v1, v29, v44
	v_lshlrev_b32_e32 v1, 1, v1
	ds_write_b16 v1, v3
	v_sub_u32_e32 v1, v28, v44
	v_lshlrev_b32_e32 v1, 1, v1
	ds_write_b16_d16_hi v1, v3
	;; [unrolled: 6-line block ×6, first 2 shown]
	v_sub_u32_e32 v1, v13, v44
	v_lshlrev_b32_e32 v1, 1, v1
	s_or_b64 s[38:39], s[38:39], exec
	ds_write_b16 v1, v24
	s_or_b64 exec, exec, s[0:1]
	s_and_b64 exec, exec, s[38:39]
	s_cbranch_execnz .LBB2220_168
	s_branch .LBB2220_169
.LBB2220_241:
	s_and_saveexec_b64 s[38:39], s[28:29]
	s_cbranch_execnz .LBB2220_301
; %bb.242:
	s_or_b64 exec, exec, s[38:39]
	s_and_saveexec_b64 s[38:39], s[26:27]
	s_cbranch_execnz .LBB2220_302
.LBB2220_243:
	s_or_b64 exec, exec, s[38:39]
	s_and_saveexec_b64 s[38:39], s[24:25]
	s_cbranch_execnz .LBB2220_303
.LBB2220_244:
	s_or_b64 exec, exec, s[38:39]
	s_and_saveexec_b64 s[38:39], s[22:23]
	s_cbranch_execnz .LBB2220_304
.LBB2220_245:
	s_or_b64 exec, exec, s[38:39]
	s_and_saveexec_b64 s[38:39], s[20:21]
	s_cbranch_execnz .LBB2220_305
.LBB2220_246:
	s_or_b64 exec, exec, s[38:39]
	s_and_saveexec_b64 s[38:39], s[18:19]
	s_cbranch_execnz .LBB2220_306
.LBB2220_247:
	s_or_b64 exec, exec, s[38:39]
	s_and_saveexec_b64 s[38:39], s[16:17]
	s_cbranch_execnz .LBB2220_307
.LBB2220_248:
	s_or_b64 exec, exec, s[38:39]
	s_and_saveexec_b64 s[38:39], s[14:15]
	s_cbranch_execnz .LBB2220_308
.LBB2220_249:
	s_or_b64 exec, exec, s[38:39]
	s_and_saveexec_b64 s[38:39], s[12:13]
	s_cbranch_execnz .LBB2220_309
.LBB2220_250:
	s_or_b64 exec, exec, s[38:39]
	s_and_saveexec_b64 s[38:39], s[10:11]
	s_cbranch_execnz .LBB2220_310
.LBB2220_251:
	s_or_b64 exec, exec, s[38:39]
	s_and_saveexec_b64 s[38:39], s[8:9]
	s_cbranch_execnz .LBB2220_311
.LBB2220_252:
	s_or_b64 exec, exec, s[38:39]
	s_and_saveexec_b64 s[38:39], s[6:7]
	s_cbranch_execnz .LBB2220_312
.LBB2220_253:
	s_or_b64 exec, exec, s[38:39]
	s_and_saveexec_b64 s[38:39], s[4:5]
	s_cbranch_execnz .LBB2220_313
.LBB2220_254:
	s_or_b64 exec, exec, s[38:39]
	s_and_saveexec_b64 s[38:39], s[2:3]
	s_cbranch_execz .LBB2220_256
.LBB2220_255:
	v_sub_u32_e32 v22, v13, v10
	v_mov_b32_e32 v23, 0
	v_lshlrev_b64 v[22:23], 3, v[22:23]
	v_add_co_u32_e32 v22, vcc, v6, v22
	v_addc_co_u32_e32 v23, vcc, v7, v23, vcc
	global_store_dwordx2 v[22:23], v[72:73], off
.LBB2220_256:
	s_or_b64 exec, exec, s[38:39]
	s_and_b64 s[38:39], s[0:1], exec
	s_andn2_saveexec_b64 s[30:31], s[30:31]
	s_cbranch_execz .LBB2220_189
.LBB2220_257:
	v_sub_u32_e32 v22, v90, v10
	v_mov_b32_e32 v23, 0
	v_lshlrev_b64 v[24:25], 3, v[22:23]
	v_add_co_u32_e32 v24, vcc, v6, v24
	v_addc_co_u32_e32 v25, vcc, v7, v25, vcc
	v_sub_u32_e32 v22, v31, v10
	global_store_dwordx2 v[24:25], v[70:71], off
	v_lshlrev_b64 v[24:25], 3, v[22:23]
	v_add_co_u32_e32 v24, vcc, v6, v24
	v_addc_co_u32_e32 v25, vcc, v7, v25, vcc
	v_sub_u32_e32 v22, v30, v10
	global_store_dwordx2 v[24:25], v[46:47], off
	;; [unrolled: 5-line block ×12, first 2 shown]
	v_lshlrev_b64 v[24:25], 3, v[22:23]
	v_add_co_u32_e32 v24, vcc, v6, v24
	v_sub_u32_e32 v22, v13, v10
	v_addc_co_u32_e32 v25, vcc, v7, v25, vcc
	v_lshlrev_b64 v[22:23], 3, v[22:23]
	v_add_co_u32_e32 v22, vcc, v6, v22
	v_addc_co_u32_e32 v23, vcc, v7, v23, vcc
	s_or_b64 s[38:39], s[38:39], exec
	global_store_dwordx2 v[24:25], v[68:69], off
	global_store_dwordx2 v[22:23], v[72:73], off
	s_or_b64 exec, exec, s[30:31]
	s_and_b64 exec, exec, s[38:39]
	s_cbranch_execnz .LBB2220_190
	s_branch .LBB2220_191
.LBB2220_258:
	s_and_saveexec_b64 s[38:39], s[28:29]
	s_cbranch_execnz .LBB2220_314
; %bb.259:
	s_or_b64 exec, exec, s[38:39]
	s_and_saveexec_b64 s[28:29], s[26:27]
	s_cbranch_execnz .LBB2220_315
.LBB2220_260:
	s_or_b64 exec, exec, s[28:29]
	s_and_saveexec_b64 s[26:27], s[24:25]
	s_cbranch_execnz .LBB2220_316
.LBB2220_261:
	s_or_b64 exec, exec, s[26:27]
	s_and_saveexec_b64 s[24:25], s[22:23]
	s_cbranch_execnz .LBB2220_317
.LBB2220_262:
	s_or_b64 exec, exec, s[24:25]
	s_and_saveexec_b64 s[22:23], s[20:21]
	s_cbranch_execnz .LBB2220_318
.LBB2220_263:
	s_or_b64 exec, exec, s[22:23]
	s_and_saveexec_b64 s[20:21], s[18:19]
	s_cbranch_execnz .LBB2220_319
.LBB2220_264:
	s_or_b64 exec, exec, s[20:21]
	s_and_saveexec_b64 s[18:19], s[16:17]
	s_cbranch_execnz .LBB2220_320
.LBB2220_265:
	s_or_b64 exec, exec, s[18:19]
	s_and_saveexec_b64 s[16:17], s[14:15]
	s_cbranch_execnz .LBB2220_321
.LBB2220_266:
	s_or_b64 exec, exec, s[16:17]
	s_and_saveexec_b64 s[14:15], s[12:13]
	s_cbranch_execnz .LBB2220_322
.LBB2220_267:
	s_or_b64 exec, exec, s[14:15]
	s_and_saveexec_b64 s[12:13], s[10:11]
	s_cbranch_execnz .LBB2220_323
.LBB2220_268:
	s_or_b64 exec, exec, s[12:13]
	s_and_saveexec_b64 s[10:11], s[8:9]
	s_cbranch_execnz .LBB2220_324
.LBB2220_269:
	s_or_b64 exec, exec, s[10:11]
	s_and_saveexec_b64 s[8:9], s[6:7]
	s_cbranch_execnz .LBB2220_325
.LBB2220_270:
	s_or_b64 exec, exec, s[8:9]
	s_and_saveexec_b64 s[6:7], s[4:5]
	s_cbranch_execnz .LBB2220_326
.LBB2220_271:
	s_or_b64 exec, exec, s[6:7]
	s_and_saveexec_b64 s[4:5], s[2:3]
	s_cbranch_execz .LBB2220_273
.LBB2220_272:
	v_sub_u32_e32 v11, v13, v10
	v_lshlrev_b32_e32 v11, 3, v11
	ds_write_b64 v11, v[72:73]
.LBB2220_273:
	s_or_b64 exec, exec, s[4:5]
	s_and_b64 s[38:39], s[0:1], exec
                                        ; implicit-def: $vgpr70_vgpr71
                                        ; implicit-def: $vgpr46_vgpr47
                                        ; implicit-def: $vgpr48_vgpr49
                                        ; implicit-def: $vgpr50_vgpr51
                                        ; implicit-def: $vgpr52_vgpr53
                                        ; implicit-def: $vgpr54_vgpr55
                                        ; implicit-def: $vgpr56_vgpr57
                                        ; implicit-def: $vgpr58_vgpr59
                                        ; implicit-def: $vgpr60_vgpr61
                                        ; implicit-def: $vgpr62_vgpr63
                                        ; implicit-def: $vgpr64_vgpr65
                                        ; implicit-def: $vgpr66_vgpr67
                                        ; implicit-def: $vgpr68_vgpr69
                                        ; implicit-def: $vgpr72_vgpr73
                                        ; implicit-def: $vgpr90
                                        ; implicit-def: $vgpr31
                                        ; implicit-def: $vgpr30
                                        ; implicit-def: $vgpr29
                                        ; implicit-def: $vgpr28
                                        ; implicit-def: $vgpr21
                                        ; implicit-def: $vgpr20
                                        ; implicit-def: $vgpr19
                                        ; implicit-def: $vgpr18
                                        ; implicit-def: $vgpr17
                                        ; implicit-def: $vgpr16
                                        ; implicit-def: $vgpr15
                                        ; implicit-def: $vgpr14
                                        ; implicit-def: $vgpr13
	s_andn2_saveexec_b64 s[0:1], s[36:37]
	s_cbranch_execz .LBB2220_196
.LBB2220_274:
	v_sub_u32_e32 v11, v90, v10
	v_lshlrev_b32_e32 v11, 3, v11
	ds_write_b64 v11, v[70:71]
	v_sub_u32_e32 v11, v31, v10
	v_lshlrev_b32_e32 v11, 3, v11
	ds_write_b64 v11, v[46:47]
	;; [unrolled: 3-line block ×13, first 2 shown]
	v_sub_u32_e32 v11, v13, v10
	v_lshlrev_b32_e32 v11, 3, v11
	s_or_b64 s[38:39], s[38:39], exec
	ds_write_b64 v11, v[72:73]
	s_or_b64 exec, exec, s[0:1]
	s_and_b64 exec, exec, s[38:39]
	s_cbranch_execnz .LBB2220_197
	s_branch .LBB2220_198
.LBB2220_275:
	v_sub_u32_e32 v10, v90, v44
	v_mov_b32_e32 v11, 0
	v_lshlrev_b64 v[10:11], 1, v[10:11]
	v_add_co_u32_e32 v10, vcc, v32, v10
	v_addc_co_u32_e32 v11, vcc, v33, v11, vcc
	global_store_short v[10:11], v1, off
	s_or_b64 exec, exec, s[38:39]
	s_and_saveexec_b64 s[38:39], s[26:27]
	s_cbranch_execz .LBB2220_209
.LBB2220_276:
	v_sub_u32_e32 v10, v31, v44
	v_mov_b32_e32 v11, 0
	v_lshlrev_b64 v[10:11], 1, v[10:11]
	v_add_co_u32_e32 v10, vcc, v32, v10
	v_addc_co_u32_e32 v11, vcc, v33, v11, vcc
	global_store_short v[10:11], v2, off
	s_or_b64 exec, exec, s[38:39]
	s_and_saveexec_b64 s[38:39], s[24:25]
	s_cbranch_execz .LBB2220_210
.LBB2220_277:
	v_sub_u32_e32 v10, v30, v44
	v_mov_b32_e32 v11, 0
	v_lshlrev_b64 v[10:11], 1, v[10:11]
	v_add_co_u32_e32 v10, vcc, v32, v10
	v_addc_co_u32_e32 v11, vcc, v33, v11, vcc
	global_store_short_d16_hi v[10:11], v2, off
	s_or_b64 exec, exec, s[38:39]
	s_and_saveexec_b64 s[38:39], s[22:23]
	s_cbranch_execz .LBB2220_211
.LBB2220_278:
	v_sub_u32_e32 v10, v29, v44
	v_mov_b32_e32 v11, 0
	v_lshlrev_b64 v[10:11], 1, v[10:11]
	v_add_co_u32_e32 v10, vcc, v32, v10
	v_addc_co_u32_e32 v11, vcc, v33, v11, vcc
	global_store_short v[10:11], v3, off
	s_or_b64 exec, exec, s[38:39]
	s_and_saveexec_b64 s[38:39], s[20:21]
	s_cbranch_execz .LBB2220_212
.LBB2220_279:
	v_sub_u32_e32 v10, v28, v44
	v_mov_b32_e32 v11, 0
	v_lshlrev_b64 v[10:11], 1, v[10:11]
	v_add_co_u32_e32 v10, vcc, v32, v10
	v_addc_co_u32_e32 v11, vcc, v33, v11, vcc
	global_store_short_d16_hi v[10:11], v3, off
	s_or_b64 exec, exec, s[38:39]
	s_and_saveexec_b64 s[38:39], s[18:19]
	s_cbranch_execz .LBB2220_213
.LBB2220_280:
	v_sub_u32_e32 v10, v21, v44
	v_mov_b32_e32 v11, 0
	v_lshlrev_b64 v[10:11], 1, v[10:11]
	v_add_co_u32_e32 v10, vcc, v32, v10
	v_addc_co_u32_e32 v11, vcc, v33, v11, vcc
	global_store_short v[10:11], v4, off
	s_or_b64 exec, exec, s[38:39]
	s_and_saveexec_b64 s[38:39], s[16:17]
	s_cbranch_execz .LBB2220_214
.LBB2220_281:
	v_sub_u32_e32 v10, v20, v44
	v_mov_b32_e32 v11, 0
	v_lshlrev_b64 v[10:11], 1, v[10:11]
	v_add_co_u32_e32 v10, vcc, v32, v10
	v_addc_co_u32_e32 v11, vcc, v33, v11, vcc
	global_store_short_d16_hi v[10:11], v4, off
	s_or_b64 exec, exec, s[38:39]
	s_and_saveexec_b64 s[38:39], s[14:15]
	s_cbranch_execz .LBB2220_215
.LBB2220_282:
	v_sub_u32_e32 v10, v19, v44
	v_mov_b32_e32 v11, 0
	v_lshlrev_b64 v[10:11], 1, v[10:11]
	v_add_co_u32_e32 v10, vcc, v32, v10
	v_addc_co_u32_e32 v11, vcc, v33, v11, vcc
	global_store_short v[10:11], v5, off
	s_or_b64 exec, exec, s[38:39]
	s_and_saveexec_b64 s[38:39], s[12:13]
	s_cbranch_execz .LBB2220_216
.LBB2220_283:
	v_sub_u32_e32 v10, v18, v44
	v_mov_b32_e32 v11, 0
	v_lshlrev_b64 v[10:11], 1, v[10:11]
	v_add_co_u32_e32 v10, vcc, v32, v10
	v_addc_co_u32_e32 v11, vcc, v33, v11, vcc
	global_store_short_d16_hi v[10:11], v5, off
	s_or_b64 exec, exec, s[38:39]
	s_and_saveexec_b64 s[38:39], s[10:11]
	s_cbranch_execz .LBB2220_217
.LBB2220_284:
	v_sub_u32_e32 v10, v17, v44
	v_mov_b32_e32 v11, 0
	v_lshlrev_b64 v[10:11], 1, v[10:11]
	v_add_co_u32_e32 v10, vcc, v32, v10
	v_addc_co_u32_e32 v11, vcc, v33, v11, vcc
	global_store_short v[10:11], v22, off
	s_or_b64 exec, exec, s[38:39]
	s_and_saveexec_b64 s[38:39], s[8:9]
	s_cbranch_execz .LBB2220_218
.LBB2220_285:
	v_sub_u32_e32 v10, v16, v44
	v_mov_b32_e32 v11, 0
	v_lshlrev_b64 v[10:11], 1, v[10:11]
	v_add_co_u32_e32 v10, vcc, v32, v10
	v_addc_co_u32_e32 v11, vcc, v33, v11, vcc
	global_store_short_d16_hi v[10:11], v22, off
	s_or_b64 exec, exec, s[38:39]
	s_and_saveexec_b64 s[38:39], s[6:7]
	s_cbranch_execz .LBB2220_219
.LBB2220_286:
	v_sub_u32_e32 v10, v15, v44
	v_mov_b32_e32 v11, 0
	v_lshlrev_b64 v[10:11], 1, v[10:11]
	v_add_co_u32_e32 v10, vcc, v32, v10
	v_addc_co_u32_e32 v11, vcc, v33, v11, vcc
	global_store_short v[10:11], v23, off
	s_or_b64 exec, exec, s[38:39]
	s_and_saveexec_b64 s[38:39], s[4:5]
	s_cbranch_execz .LBB2220_220
.LBB2220_287:
	v_sub_u32_e32 v10, v14, v44
	v_mov_b32_e32 v11, 0
	v_lshlrev_b64 v[10:11], 1, v[10:11]
	v_add_co_u32_e32 v10, vcc, v32, v10
	v_addc_co_u32_e32 v11, vcc, v33, v11, vcc
	global_store_short_d16_hi v[10:11], v23, off
	s_or_b64 exec, exec, s[38:39]
	s_and_saveexec_b64 s[38:39], s[2:3]
	s_cbranch_execnz .LBB2220_221
	s_branch .LBB2220_222
.LBB2220_288:
	v_sub_u32_e32 v6, v90, v44
	v_lshlrev_b32_e32 v6, 1, v6
	ds_write_b16 v6, v1
	s_or_b64 exec, exec, s[38:39]
	s_and_saveexec_b64 s[28:29], s[26:27]
	s_cbranch_execz .LBB2220_226
.LBB2220_289:
	v_sub_u32_e32 v1, v31, v44
	v_lshlrev_b32_e32 v1, 1, v1
	ds_write_b16 v1, v2
	s_or_b64 exec, exec, s[28:29]
	s_and_saveexec_b64 s[26:27], s[24:25]
	s_cbranch_execz .LBB2220_227
.LBB2220_290:
	v_sub_u32_e32 v1, v30, v44
	v_lshlrev_b32_e32 v1, 1, v1
	ds_write_b16_d16_hi v1, v2
	s_or_b64 exec, exec, s[26:27]
	s_and_saveexec_b64 s[24:25], s[22:23]
	s_cbranch_execz .LBB2220_228
.LBB2220_291:
	v_sub_u32_e32 v1, v29, v44
	v_lshlrev_b32_e32 v1, 1, v1
	ds_write_b16 v1, v3
	s_or_b64 exec, exec, s[24:25]
	s_and_saveexec_b64 s[22:23], s[20:21]
	s_cbranch_execz .LBB2220_229
.LBB2220_292:
	v_sub_u32_e32 v1, v28, v44
	v_lshlrev_b32_e32 v1, 1, v1
	ds_write_b16_d16_hi v1, v3
	s_or_b64 exec, exec, s[22:23]
	s_and_saveexec_b64 s[20:21], s[18:19]
	s_cbranch_execz .LBB2220_230
.LBB2220_293:
	v_sub_u32_e32 v1, v21, v44
	v_lshlrev_b32_e32 v1, 1, v1
	ds_write_b16 v1, v4
	s_or_b64 exec, exec, s[20:21]
	s_and_saveexec_b64 s[18:19], s[16:17]
	s_cbranch_execz .LBB2220_231
.LBB2220_294:
	v_sub_u32_e32 v1, v20, v44
	v_lshlrev_b32_e32 v1, 1, v1
	ds_write_b16_d16_hi v1, v4
	s_or_b64 exec, exec, s[18:19]
	s_and_saveexec_b64 s[16:17], s[14:15]
	s_cbranch_execz .LBB2220_232
.LBB2220_295:
	v_sub_u32_e32 v1, v19, v44
	v_lshlrev_b32_e32 v1, 1, v1
	ds_write_b16 v1, v5
	s_or_b64 exec, exec, s[16:17]
	s_and_saveexec_b64 s[14:15], s[12:13]
	s_cbranch_execz .LBB2220_233
.LBB2220_296:
	v_sub_u32_e32 v1, v18, v44
	v_lshlrev_b32_e32 v1, 1, v1
	ds_write_b16_d16_hi v1, v5
	s_or_b64 exec, exec, s[14:15]
	s_and_saveexec_b64 s[12:13], s[10:11]
	s_cbranch_execz .LBB2220_234
.LBB2220_297:
	v_sub_u32_e32 v1, v17, v44
	v_lshlrev_b32_e32 v1, 1, v1
	ds_write_b16 v1, v22
	s_or_b64 exec, exec, s[12:13]
	s_and_saveexec_b64 s[10:11], s[8:9]
	s_cbranch_execz .LBB2220_235
.LBB2220_298:
	v_sub_u32_e32 v1, v16, v44
	v_lshlrev_b32_e32 v1, 1, v1
	ds_write_b16_d16_hi v1, v22
	s_or_b64 exec, exec, s[10:11]
	s_and_saveexec_b64 s[8:9], s[6:7]
	s_cbranch_execz .LBB2220_236
.LBB2220_299:
	v_sub_u32_e32 v1, v15, v44
	v_lshlrev_b32_e32 v1, 1, v1
	ds_write_b16 v1, v23
	s_or_b64 exec, exec, s[8:9]
	s_and_saveexec_b64 s[6:7], s[4:5]
	s_cbranch_execz .LBB2220_237
.LBB2220_300:
	v_sub_u32_e32 v1, v14, v44
	v_lshlrev_b32_e32 v1, 1, v1
	ds_write_b16_d16_hi v1, v23
	s_or_b64 exec, exec, s[6:7]
	s_and_saveexec_b64 s[4:5], s[2:3]
	s_cbranch_execnz .LBB2220_238
	s_branch .LBB2220_239
.LBB2220_301:
	v_sub_u32_e32 v22, v90, v10
	v_mov_b32_e32 v23, 0
	v_lshlrev_b64 v[22:23], 3, v[22:23]
	v_add_co_u32_e32 v22, vcc, v6, v22
	v_addc_co_u32_e32 v23, vcc, v7, v23, vcc
	global_store_dwordx2 v[22:23], v[70:71], off
	s_or_b64 exec, exec, s[38:39]
	s_and_saveexec_b64 s[38:39], s[26:27]
	s_cbranch_execz .LBB2220_243
.LBB2220_302:
	v_sub_u32_e32 v22, v31, v10
	v_mov_b32_e32 v23, 0
	v_lshlrev_b64 v[22:23], 3, v[22:23]
	v_add_co_u32_e32 v22, vcc, v6, v22
	v_addc_co_u32_e32 v23, vcc, v7, v23, vcc
	global_store_dwordx2 v[22:23], v[46:47], off
	s_or_b64 exec, exec, s[38:39]
	s_and_saveexec_b64 s[38:39], s[24:25]
	s_cbranch_execz .LBB2220_244
.LBB2220_303:
	v_sub_u32_e32 v22, v30, v10
	v_mov_b32_e32 v23, 0
	v_lshlrev_b64 v[22:23], 3, v[22:23]
	v_add_co_u32_e32 v22, vcc, v6, v22
	v_addc_co_u32_e32 v23, vcc, v7, v23, vcc
	global_store_dwordx2 v[22:23], v[48:49], off
	s_or_b64 exec, exec, s[38:39]
	s_and_saveexec_b64 s[38:39], s[22:23]
	s_cbranch_execz .LBB2220_245
.LBB2220_304:
	v_sub_u32_e32 v22, v29, v10
	v_mov_b32_e32 v23, 0
	v_lshlrev_b64 v[22:23], 3, v[22:23]
	v_add_co_u32_e32 v22, vcc, v6, v22
	v_addc_co_u32_e32 v23, vcc, v7, v23, vcc
	global_store_dwordx2 v[22:23], v[50:51], off
	s_or_b64 exec, exec, s[38:39]
	s_and_saveexec_b64 s[38:39], s[20:21]
	s_cbranch_execz .LBB2220_246
.LBB2220_305:
	v_sub_u32_e32 v22, v28, v10
	v_mov_b32_e32 v23, 0
	v_lshlrev_b64 v[22:23], 3, v[22:23]
	v_add_co_u32_e32 v22, vcc, v6, v22
	v_addc_co_u32_e32 v23, vcc, v7, v23, vcc
	global_store_dwordx2 v[22:23], v[52:53], off
	s_or_b64 exec, exec, s[38:39]
	s_and_saveexec_b64 s[38:39], s[18:19]
	s_cbranch_execz .LBB2220_247
.LBB2220_306:
	v_sub_u32_e32 v22, v21, v10
	v_mov_b32_e32 v23, 0
	v_lshlrev_b64 v[22:23], 3, v[22:23]
	v_add_co_u32_e32 v22, vcc, v6, v22
	v_addc_co_u32_e32 v23, vcc, v7, v23, vcc
	global_store_dwordx2 v[22:23], v[54:55], off
	s_or_b64 exec, exec, s[38:39]
	s_and_saveexec_b64 s[38:39], s[16:17]
	s_cbranch_execz .LBB2220_248
.LBB2220_307:
	v_sub_u32_e32 v22, v20, v10
	v_mov_b32_e32 v23, 0
	v_lshlrev_b64 v[22:23], 3, v[22:23]
	v_add_co_u32_e32 v22, vcc, v6, v22
	v_addc_co_u32_e32 v23, vcc, v7, v23, vcc
	global_store_dwordx2 v[22:23], v[56:57], off
	s_or_b64 exec, exec, s[38:39]
	s_and_saveexec_b64 s[38:39], s[14:15]
	s_cbranch_execz .LBB2220_249
.LBB2220_308:
	v_sub_u32_e32 v22, v19, v10
	v_mov_b32_e32 v23, 0
	v_lshlrev_b64 v[22:23], 3, v[22:23]
	v_add_co_u32_e32 v22, vcc, v6, v22
	v_addc_co_u32_e32 v23, vcc, v7, v23, vcc
	global_store_dwordx2 v[22:23], v[58:59], off
	s_or_b64 exec, exec, s[38:39]
	s_and_saveexec_b64 s[38:39], s[12:13]
	s_cbranch_execz .LBB2220_250
.LBB2220_309:
	v_sub_u32_e32 v22, v18, v10
	v_mov_b32_e32 v23, 0
	v_lshlrev_b64 v[22:23], 3, v[22:23]
	v_add_co_u32_e32 v22, vcc, v6, v22
	v_addc_co_u32_e32 v23, vcc, v7, v23, vcc
	global_store_dwordx2 v[22:23], v[60:61], off
	s_or_b64 exec, exec, s[38:39]
	s_and_saveexec_b64 s[38:39], s[10:11]
	s_cbranch_execz .LBB2220_251
.LBB2220_310:
	v_sub_u32_e32 v22, v17, v10
	v_mov_b32_e32 v23, 0
	v_lshlrev_b64 v[22:23], 3, v[22:23]
	v_add_co_u32_e32 v22, vcc, v6, v22
	v_addc_co_u32_e32 v23, vcc, v7, v23, vcc
	global_store_dwordx2 v[22:23], v[62:63], off
	s_or_b64 exec, exec, s[38:39]
	s_and_saveexec_b64 s[38:39], s[8:9]
	s_cbranch_execz .LBB2220_252
.LBB2220_311:
	v_sub_u32_e32 v22, v16, v10
	v_mov_b32_e32 v23, 0
	v_lshlrev_b64 v[22:23], 3, v[22:23]
	v_add_co_u32_e32 v22, vcc, v6, v22
	v_addc_co_u32_e32 v23, vcc, v7, v23, vcc
	global_store_dwordx2 v[22:23], v[64:65], off
	s_or_b64 exec, exec, s[38:39]
	s_and_saveexec_b64 s[38:39], s[6:7]
	s_cbranch_execz .LBB2220_253
.LBB2220_312:
	v_sub_u32_e32 v22, v15, v10
	v_mov_b32_e32 v23, 0
	v_lshlrev_b64 v[22:23], 3, v[22:23]
	v_add_co_u32_e32 v22, vcc, v6, v22
	v_addc_co_u32_e32 v23, vcc, v7, v23, vcc
	global_store_dwordx2 v[22:23], v[66:67], off
	s_or_b64 exec, exec, s[38:39]
	s_and_saveexec_b64 s[38:39], s[4:5]
	s_cbranch_execz .LBB2220_254
.LBB2220_313:
	v_sub_u32_e32 v22, v14, v10
	v_mov_b32_e32 v23, 0
	v_lshlrev_b64 v[22:23], 3, v[22:23]
	v_add_co_u32_e32 v22, vcc, v6, v22
	v_addc_co_u32_e32 v23, vcc, v7, v23, vcc
	global_store_dwordx2 v[22:23], v[68:69], off
	s_or_b64 exec, exec, s[38:39]
	s_and_saveexec_b64 s[38:39], s[2:3]
	s_cbranch_execnz .LBB2220_255
	s_branch .LBB2220_256
.LBB2220_314:
	v_sub_u32_e32 v11, v90, v10
	v_lshlrev_b32_e32 v11, 3, v11
	ds_write_b64 v11, v[70:71]
	s_or_b64 exec, exec, s[38:39]
	s_and_saveexec_b64 s[28:29], s[26:27]
	s_cbranch_execz .LBB2220_260
.LBB2220_315:
	v_sub_u32_e32 v11, v31, v10
	v_lshlrev_b32_e32 v11, 3, v11
	ds_write_b64 v11, v[46:47]
	s_or_b64 exec, exec, s[28:29]
	s_and_saveexec_b64 s[26:27], s[24:25]
	s_cbranch_execz .LBB2220_261
.LBB2220_316:
	v_sub_u32_e32 v11, v30, v10
	v_lshlrev_b32_e32 v11, 3, v11
	ds_write_b64 v11, v[48:49]
	s_or_b64 exec, exec, s[26:27]
	s_and_saveexec_b64 s[24:25], s[22:23]
	s_cbranch_execz .LBB2220_262
.LBB2220_317:
	v_sub_u32_e32 v11, v29, v10
	v_lshlrev_b32_e32 v11, 3, v11
	ds_write_b64 v11, v[50:51]
	s_or_b64 exec, exec, s[24:25]
	s_and_saveexec_b64 s[22:23], s[20:21]
	s_cbranch_execz .LBB2220_263
.LBB2220_318:
	v_sub_u32_e32 v11, v28, v10
	v_lshlrev_b32_e32 v11, 3, v11
	ds_write_b64 v11, v[52:53]
	s_or_b64 exec, exec, s[22:23]
	s_and_saveexec_b64 s[20:21], s[18:19]
	s_cbranch_execz .LBB2220_264
.LBB2220_319:
	v_sub_u32_e32 v11, v21, v10
	v_lshlrev_b32_e32 v11, 3, v11
	ds_write_b64 v11, v[54:55]
	s_or_b64 exec, exec, s[20:21]
	s_and_saveexec_b64 s[18:19], s[16:17]
	s_cbranch_execz .LBB2220_265
.LBB2220_320:
	v_sub_u32_e32 v11, v20, v10
	v_lshlrev_b32_e32 v11, 3, v11
	ds_write_b64 v11, v[56:57]
	s_or_b64 exec, exec, s[18:19]
	s_and_saveexec_b64 s[16:17], s[14:15]
	s_cbranch_execz .LBB2220_266
.LBB2220_321:
	v_sub_u32_e32 v11, v19, v10
	v_lshlrev_b32_e32 v11, 3, v11
	ds_write_b64 v11, v[58:59]
	s_or_b64 exec, exec, s[16:17]
	s_and_saveexec_b64 s[14:15], s[12:13]
	s_cbranch_execz .LBB2220_267
.LBB2220_322:
	v_sub_u32_e32 v11, v18, v10
	v_lshlrev_b32_e32 v11, 3, v11
	ds_write_b64 v11, v[60:61]
	s_or_b64 exec, exec, s[14:15]
	s_and_saveexec_b64 s[12:13], s[10:11]
	s_cbranch_execz .LBB2220_268
.LBB2220_323:
	v_sub_u32_e32 v11, v17, v10
	v_lshlrev_b32_e32 v11, 3, v11
	ds_write_b64 v11, v[62:63]
	s_or_b64 exec, exec, s[12:13]
	s_and_saveexec_b64 s[10:11], s[8:9]
	s_cbranch_execz .LBB2220_269
.LBB2220_324:
	v_sub_u32_e32 v11, v16, v10
	v_lshlrev_b32_e32 v11, 3, v11
	ds_write_b64 v11, v[64:65]
	s_or_b64 exec, exec, s[10:11]
	s_and_saveexec_b64 s[8:9], s[6:7]
	s_cbranch_execz .LBB2220_270
.LBB2220_325:
	v_sub_u32_e32 v11, v15, v10
	v_lshlrev_b32_e32 v11, 3, v11
	ds_write_b64 v11, v[66:67]
	s_or_b64 exec, exec, s[8:9]
	s_and_saveexec_b64 s[6:7], s[4:5]
	s_cbranch_execz .LBB2220_271
.LBB2220_326:
	v_sub_u32_e32 v11, v14, v10
	v_lshlrev_b32_e32 v11, 3, v11
	ds_write_b64 v11, v[68:69]
	s_or_b64 exec, exec, s[6:7]
	s_and_saveexec_b64 s[4:5], s[2:3]
	s_cbranch_execnz .LBB2220_272
	s_branch .LBB2220_273
	.section	.rodata,"a",@progbits
	.p2align	6, 0x0
	.amdhsa_kernel _ZN7rocprim17ROCPRIM_400000_NS6detail17trampoline_kernelINS0_14default_configENS1_29reduce_by_key_config_selectorIN3c104HalfElN6thrust23THRUST_200600_302600_NS4plusIlEEEEZZNS1_33reduce_by_key_impl_wrapped_configILNS1_25lookback_scan_determinismE0ES3_SB_PS6_NS8_17constant_iteratorIiNS8_11use_defaultESG_EENS8_10device_ptrIS6_EENSI_IlEEPmSA_NS8_8equal_toIS6_EEEE10hipError_tPvRmT2_T3_mT4_T5_T6_T7_T8_P12ihipStream_tbENKUlT_T0_E_clISt17integral_constantIbLb1EES14_IbLb0EEEEDaS10_S11_EUlS10_E_NS1_11comp_targetILNS1_3genE4ELNS1_11target_archE910ELNS1_3gpuE8ELNS1_3repE0EEENS1_30default_config_static_selectorELNS0_4arch9wavefront6targetE1EEEvT1_
		.amdhsa_group_segment_fixed_size 30720
		.amdhsa_private_segment_fixed_size 0
		.amdhsa_kernarg_size 144
		.amdhsa_user_sgpr_count 6
		.amdhsa_user_sgpr_private_segment_buffer 1
		.amdhsa_user_sgpr_dispatch_ptr 0
		.amdhsa_user_sgpr_queue_ptr 0
		.amdhsa_user_sgpr_kernarg_segment_ptr 1
		.amdhsa_user_sgpr_dispatch_id 0
		.amdhsa_user_sgpr_flat_scratch_init 0
		.amdhsa_user_sgpr_kernarg_preload_length 0
		.amdhsa_user_sgpr_kernarg_preload_offset 0
		.amdhsa_user_sgpr_private_segment_size 0
		.amdhsa_uses_dynamic_stack 0
		.amdhsa_system_sgpr_private_segment_wavefront_offset 0
		.amdhsa_system_sgpr_workgroup_id_x 1
		.amdhsa_system_sgpr_workgroup_id_y 0
		.amdhsa_system_sgpr_workgroup_id_z 0
		.amdhsa_system_sgpr_workgroup_info 0
		.amdhsa_system_vgpr_workitem_id 0
		.amdhsa_next_free_vgpr 127
		.amdhsa_next_free_sgpr 64
		.amdhsa_accum_offset 128
		.amdhsa_reserve_vcc 1
		.amdhsa_reserve_flat_scratch 0
		.amdhsa_float_round_mode_32 0
		.amdhsa_float_round_mode_16_64 0
		.amdhsa_float_denorm_mode_32 3
		.amdhsa_float_denorm_mode_16_64 3
		.amdhsa_dx10_clamp 1
		.amdhsa_ieee_mode 1
		.amdhsa_fp16_overflow 0
		.amdhsa_tg_split 0
		.amdhsa_exception_fp_ieee_invalid_op 0
		.amdhsa_exception_fp_denorm_src 0
		.amdhsa_exception_fp_ieee_div_zero 0
		.amdhsa_exception_fp_ieee_overflow 0
		.amdhsa_exception_fp_ieee_underflow 0
		.amdhsa_exception_fp_ieee_inexact 0
		.amdhsa_exception_int_div_zero 0
	.end_amdhsa_kernel
	.section	.text._ZN7rocprim17ROCPRIM_400000_NS6detail17trampoline_kernelINS0_14default_configENS1_29reduce_by_key_config_selectorIN3c104HalfElN6thrust23THRUST_200600_302600_NS4plusIlEEEEZZNS1_33reduce_by_key_impl_wrapped_configILNS1_25lookback_scan_determinismE0ES3_SB_PS6_NS8_17constant_iteratorIiNS8_11use_defaultESG_EENS8_10device_ptrIS6_EENSI_IlEEPmSA_NS8_8equal_toIS6_EEEE10hipError_tPvRmT2_T3_mT4_T5_T6_T7_T8_P12ihipStream_tbENKUlT_T0_E_clISt17integral_constantIbLb1EES14_IbLb0EEEEDaS10_S11_EUlS10_E_NS1_11comp_targetILNS1_3genE4ELNS1_11target_archE910ELNS1_3gpuE8ELNS1_3repE0EEENS1_30default_config_static_selectorELNS0_4arch9wavefront6targetE1EEEvT1_,"axG",@progbits,_ZN7rocprim17ROCPRIM_400000_NS6detail17trampoline_kernelINS0_14default_configENS1_29reduce_by_key_config_selectorIN3c104HalfElN6thrust23THRUST_200600_302600_NS4plusIlEEEEZZNS1_33reduce_by_key_impl_wrapped_configILNS1_25lookback_scan_determinismE0ES3_SB_PS6_NS8_17constant_iteratorIiNS8_11use_defaultESG_EENS8_10device_ptrIS6_EENSI_IlEEPmSA_NS8_8equal_toIS6_EEEE10hipError_tPvRmT2_T3_mT4_T5_T6_T7_T8_P12ihipStream_tbENKUlT_T0_E_clISt17integral_constantIbLb1EES14_IbLb0EEEEDaS10_S11_EUlS10_E_NS1_11comp_targetILNS1_3genE4ELNS1_11target_archE910ELNS1_3gpuE8ELNS1_3repE0EEENS1_30default_config_static_selectorELNS0_4arch9wavefront6targetE1EEEvT1_,comdat
.Lfunc_end2220:
	.size	_ZN7rocprim17ROCPRIM_400000_NS6detail17trampoline_kernelINS0_14default_configENS1_29reduce_by_key_config_selectorIN3c104HalfElN6thrust23THRUST_200600_302600_NS4plusIlEEEEZZNS1_33reduce_by_key_impl_wrapped_configILNS1_25lookback_scan_determinismE0ES3_SB_PS6_NS8_17constant_iteratorIiNS8_11use_defaultESG_EENS8_10device_ptrIS6_EENSI_IlEEPmSA_NS8_8equal_toIS6_EEEE10hipError_tPvRmT2_T3_mT4_T5_T6_T7_T8_P12ihipStream_tbENKUlT_T0_E_clISt17integral_constantIbLb1EES14_IbLb0EEEEDaS10_S11_EUlS10_E_NS1_11comp_targetILNS1_3genE4ELNS1_11target_archE910ELNS1_3gpuE8ELNS1_3repE0EEENS1_30default_config_static_selectorELNS0_4arch9wavefront6targetE1EEEvT1_, .Lfunc_end2220-_ZN7rocprim17ROCPRIM_400000_NS6detail17trampoline_kernelINS0_14default_configENS1_29reduce_by_key_config_selectorIN3c104HalfElN6thrust23THRUST_200600_302600_NS4plusIlEEEEZZNS1_33reduce_by_key_impl_wrapped_configILNS1_25lookback_scan_determinismE0ES3_SB_PS6_NS8_17constant_iteratorIiNS8_11use_defaultESG_EENS8_10device_ptrIS6_EENSI_IlEEPmSA_NS8_8equal_toIS6_EEEE10hipError_tPvRmT2_T3_mT4_T5_T6_T7_T8_P12ihipStream_tbENKUlT_T0_E_clISt17integral_constantIbLb1EES14_IbLb0EEEEDaS10_S11_EUlS10_E_NS1_11comp_targetILNS1_3genE4ELNS1_11target_archE910ELNS1_3gpuE8ELNS1_3repE0EEENS1_30default_config_static_selectorELNS0_4arch9wavefront6targetE1EEEvT1_
                                        ; -- End function
	.section	.AMDGPU.csdata,"",@progbits
; Kernel info:
; codeLenInByte = 17192
; NumSgprs: 68
; NumVgprs: 127
; NumAgprs: 0
; TotalNumVgprs: 127
; ScratchSize: 0
; MemoryBound: 0
; FloatMode: 240
; IeeeMode: 1
; LDSByteSize: 30720 bytes/workgroup (compile time only)
; SGPRBlocks: 8
; VGPRBlocks: 15
; NumSGPRsForWavesPerEU: 68
; NumVGPRsForWavesPerEU: 127
; AccumOffset: 128
; Occupancy: 2
; WaveLimiterHint : 1
; COMPUTE_PGM_RSRC2:SCRATCH_EN: 0
; COMPUTE_PGM_RSRC2:USER_SGPR: 6
; COMPUTE_PGM_RSRC2:TRAP_HANDLER: 0
; COMPUTE_PGM_RSRC2:TGID_X_EN: 1
; COMPUTE_PGM_RSRC2:TGID_Y_EN: 0
; COMPUTE_PGM_RSRC2:TGID_Z_EN: 0
; COMPUTE_PGM_RSRC2:TIDIG_COMP_CNT: 0
; COMPUTE_PGM_RSRC3_GFX90A:ACCUM_OFFSET: 31
; COMPUTE_PGM_RSRC3_GFX90A:TG_SPLIT: 0
	.section	.text._ZN7rocprim17ROCPRIM_400000_NS6detail17trampoline_kernelINS0_14default_configENS1_29reduce_by_key_config_selectorIN3c104HalfElN6thrust23THRUST_200600_302600_NS4plusIlEEEEZZNS1_33reduce_by_key_impl_wrapped_configILNS1_25lookback_scan_determinismE0ES3_SB_PS6_NS8_17constant_iteratorIiNS8_11use_defaultESG_EENS8_10device_ptrIS6_EENSI_IlEEPmSA_NS8_8equal_toIS6_EEEE10hipError_tPvRmT2_T3_mT4_T5_T6_T7_T8_P12ihipStream_tbENKUlT_T0_E_clISt17integral_constantIbLb1EES14_IbLb0EEEEDaS10_S11_EUlS10_E_NS1_11comp_targetILNS1_3genE3ELNS1_11target_archE908ELNS1_3gpuE7ELNS1_3repE0EEENS1_30default_config_static_selectorELNS0_4arch9wavefront6targetE1EEEvT1_,"axG",@progbits,_ZN7rocprim17ROCPRIM_400000_NS6detail17trampoline_kernelINS0_14default_configENS1_29reduce_by_key_config_selectorIN3c104HalfElN6thrust23THRUST_200600_302600_NS4plusIlEEEEZZNS1_33reduce_by_key_impl_wrapped_configILNS1_25lookback_scan_determinismE0ES3_SB_PS6_NS8_17constant_iteratorIiNS8_11use_defaultESG_EENS8_10device_ptrIS6_EENSI_IlEEPmSA_NS8_8equal_toIS6_EEEE10hipError_tPvRmT2_T3_mT4_T5_T6_T7_T8_P12ihipStream_tbENKUlT_T0_E_clISt17integral_constantIbLb1EES14_IbLb0EEEEDaS10_S11_EUlS10_E_NS1_11comp_targetILNS1_3genE3ELNS1_11target_archE908ELNS1_3gpuE7ELNS1_3repE0EEENS1_30default_config_static_selectorELNS0_4arch9wavefront6targetE1EEEvT1_,comdat
	.protected	_ZN7rocprim17ROCPRIM_400000_NS6detail17trampoline_kernelINS0_14default_configENS1_29reduce_by_key_config_selectorIN3c104HalfElN6thrust23THRUST_200600_302600_NS4plusIlEEEEZZNS1_33reduce_by_key_impl_wrapped_configILNS1_25lookback_scan_determinismE0ES3_SB_PS6_NS8_17constant_iteratorIiNS8_11use_defaultESG_EENS8_10device_ptrIS6_EENSI_IlEEPmSA_NS8_8equal_toIS6_EEEE10hipError_tPvRmT2_T3_mT4_T5_T6_T7_T8_P12ihipStream_tbENKUlT_T0_E_clISt17integral_constantIbLb1EES14_IbLb0EEEEDaS10_S11_EUlS10_E_NS1_11comp_targetILNS1_3genE3ELNS1_11target_archE908ELNS1_3gpuE7ELNS1_3repE0EEENS1_30default_config_static_selectorELNS0_4arch9wavefront6targetE1EEEvT1_ ; -- Begin function _ZN7rocprim17ROCPRIM_400000_NS6detail17trampoline_kernelINS0_14default_configENS1_29reduce_by_key_config_selectorIN3c104HalfElN6thrust23THRUST_200600_302600_NS4plusIlEEEEZZNS1_33reduce_by_key_impl_wrapped_configILNS1_25lookback_scan_determinismE0ES3_SB_PS6_NS8_17constant_iteratorIiNS8_11use_defaultESG_EENS8_10device_ptrIS6_EENSI_IlEEPmSA_NS8_8equal_toIS6_EEEE10hipError_tPvRmT2_T3_mT4_T5_T6_T7_T8_P12ihipStream_tbENKUlT_T0_E_clISt17integral_constantIbLb1EES14_IbLb0EEEEDaS10_S11_EUlS10_E_NS1_11comp_targetILNS1_3genE3ELNS1_11target_archE908ELNS1_3gpuE7ELNS1_3repE0EEENS1_30default_config_static_selectorELNS0_4arch9wavefront6targetE1EEEvT1_
	.globl	_ZN7rocprim17ROCPRIM_400000_NS6detail17trampoline_kernelINS0_14default_configENS1_29reduce_by_key_config_selectorIN3c104HalfElN6thrust23THRUST_200600_302600_NS4plusIlEEEEZZNS1_33reduce_by_key_impl_wrapped_configILNS1_25lookback_scan_determinismE0ES3_SB_PS6_NS8_17constant_iteratorIiNS8_11use_defaultESG_EENS8_10device_ptrIS6_EENSI_IlEEPmSA_NS8_8equal_toIS6_EEEE10hipError_tPvRmT2_T3_mT4_T5_T6_T7_T8_P12ihipStream_tbENKUlT_T0_E_clISt17integral_constantIbLb1EES14_IbLb0EEEEDaS10_S11_EUlS10_E_NS1_11comp_targetILNS1_3genE3ELNS1_11target_archE908ELNS1_3gpuE7ELNS1_3repE0EEENS1_30default_config_static_selectorELNS0_4arch9wavefront6targetE1EEEvT1_
	.p2align	8
	.type	_ZN7rocprim17ROCPRIM_400000_NS6detail17trampoline_kernelINS0_14default_configENS1_29reduce_by_key_config_selectorIN3c104HalfElN6thrust23THRUST_200600_302600_NS4plusIlEEEEZZNS1_33reduce_by_key_impl_wrapped_configILNS1_25lookback_scan_determinismE0ES3_SB_PS6_NS8_17constant_iteratorIiNS8_11use_defaultESG_EENS8_10device_ptrIS6_EENSI_IlEEPmSA_NS8_8equal_toIS6_EEEE10hipError_tPvRmT2_T3_mT4_T5_T6_T7_T8_P12ihipStream_tbENKUlT_T0_E_clISt17integral_constantIbLb1EES14_IbLb0EEEEDaS10_S11_EUlS10_E_NS1_11comp_targetILNS1_3genE3ELNS1_11target_archE908ELNS1_3gpuE7ELNS1_3repE0EEENS1_30default_config_static_selectorELNS0_4arch9wavefront6targetE1EEEvT1_,@function
_ZN7rocprim17ROCPRIM_400000_NS6detail17trampoline_kernelINS0_14default_configENS1_29reduce_by_key_config_selectorIN3c104HalfElN6thrust23THRUST_200600_302600_NS4plusIlEEEEZZNS1_33reduce_by_key_impl_wrapped_configILNS1_25lookback_scan_determinismE0ES3_SB_PS6_NS8_17constant_iteratorIiNS8_11use_defaultESG_EENS8_10device_ptrIS6_EENSI_IlEEPmSA_NS8_8equal_toIS6_EEEE10hipError_tPvRmT2_T3_mT4_T5_T6_T7_T8_P12ihipStream_tbENKUlT_T0_E_clISt17integral_constantIbLb1EES14_IbLb0EEEEDaS10_S11_EUlS10_E_NS1_11comp_targetILNS1_3genE3ELNS1_11target_archE908ELNS1_3gpuE7ELNS1_3repE0EEENS1_30default_config_static_selectorELNS0_4arch9wavefront6targetE1EEEvT1_: ; @_ZN7rocprim17ROCPRIM_400000_NS6detail17trampoline_kernelINS0_14default_configENS1_29reduce_by_key_config_selectorIN3c104HalfElN6thrust23THRUST_200600_302600_NS4plusIlEEEEZZNS1_33reduce_by_key_impl_wrapped_configILNS1_25lookback_scan_determinismE0ES3_SB_PS6_NS8_17constant_iteratorIiNS8_11use_defaultESG_EENS8_10device_ptrIS6_EENSI_IlEEPmSA_NS8_8equal_toIS6_EEEE10hipError_tPvRmT2_T3_mT4_T5_T6_T7_T8_P12ihipStream_tbENKUlT_T0_E_clISt17integral_constantIbLb1EES14_IbLb0EEEEDaS10_S11_EUlS10_E_NS1_11comp_targetILNS1_3genE3ELNS1_11target_archE908ELNS1_3gpuE7ELNS1_3repE0EEENS1_30default_config_static_selectorELNS0_4arch9wavefront6targetE1EEEvT1_
; %bb.0:
	.section	.rodata,"a",@progbits
	.p2align	6, 0x0
	.amdhsa_kernel _ZN7rocprim17ROCPRIM_400000_NS6detail17trampoline_kernelINS0_14default_configENS1_29reduce_by_key_config_selectorIN3c104HalfElN6thrust23THRUST_200600_302600_NS4plusIlEEEEZZNS1_33reduce_by_key_impl_wrapped_configILNS1_25lookback_scan_determinismE0ES3_SB_PS6_NS8_17constant_iteratorIiNS8_11use_defaultESG_EENS8_10device_ptrIS6_EENSI_IlEEPmSA_NS8_8equal_toIS6_EEEE10hipError_tPvRmT2_T3_mT4_T5_T6_T7_T8_P12ihipStream_tbENKUlT_T0_E_clISt17integral_constantIbLb1EES14_IbLb0EEEEDaS10_S11_EUlS10_E_NS1_11comp_targetILNS1_3genE3ELNS1_11target_archE908ELNS1_3gpuE7ELNS1_3repE0EEENS1_30default_config_static_selectorELNS0_4arch9wavefront6targetE1EEEvT1_
		.amdhsa_group_segment_fixed_size 0
		.amdhsa_private_segment_fixed_size 0
		.amdhsa_kernarg_size 144
		.amdhsa_user_sgpr_count 6
		.amdhsa_user_sgpr_private_segment_buffer 1
		.amdhsa_user_sgpr_dispatch_ptr 0
		.amdhsa_user_sgpr_queue_ptr 0
		.amdhsa_user_sgpr_kernarg_segment_ptr 1
		.amdhsa_user_sgpr_dispatch_id 0
		.amdhsa_user_sgpr_flat_scratch_init 0
		.amdhsa_user_sgpr_kernarg_preload_length 0
		.amdhsa_user_sgpr_kernarg_preload_offset 0
		.amdhsa_user_sgpr_private_segment_size 0
		.amdhsa_uses_dynamic_stack 0
		.amdhsa_system_sgpr_private_segment_wavefront_offset 0
		.amdhsa_system_sgpr_workgroup_id_x 1
		.amdhsa_system_sgpr_workgroup_id_y 0
		.amdhsa_system_sgpr_workgroup_id_z 0
		.amdhsa_system_sgpr_workgroup_info 0
		.amdhsa_system_vgpr_workitem_id 0
		.amdhsa_next_free_vgpr 1
		.amdhsa_next_free_sgpr 0
		.amdhsa_accum_offset 4
		.amdhsa_reserve_vcc 0
		.amdhsa_reserve_flat_scratch 0
		.amdhsa_float_round_mode_32 0
		.amdhsa_float_round_mode_16_64 0
		.amdhsa_float_denorm_mode_32 3
		.amdhsa_float_denorm_mode_16_64 3
		.amdhsa_dx10_clamp 1
		.amdhsa_ieee_mode 1
		.amdhsa_fp16_overflow 0
		.amdhsa_tg_split 0
		.amdhsa_exception_fp_ieee_invalid_op 0
		.amdhsa_exception_fp_denorm_src 0
		.amdhsa_exception_fp_ieee_div_zero 0
		.amdhsa_exception_fp_ieee_overflow 0
		.amdhsa_exception_fp_ieee_underflow 0
		.amdhsa_exception_fp_ieee_inexact 0
		.amdhsa_exception_int_div_zero 0
	.end_amdhsa_kernel
	.section	.text._ZN7rocprim17ROCPRIM_400000_NS6detail17trampoline_kernelINS0_14default_configENS1_29reduce_by_key_config_selectorIN3c104HalfElN6thrust23THRUST_200600_302600_NS4plusIlEEEEZZNS1_33reduce_by_key_impl_wrapped_configILNS1_25lookback_scan_determinismE0ES3_SB_PS6_NS8_17constant_iteratorIiNS8_11use_defaultESG_EENS8_10device_ptrIS6_EENSI_IlEEPmSA_NS8_8equal_toIS6_EEEE10hipError_tPvRmT2_T3_mT4_T5_T6_T7_T8_P12ihipStream_tbENKUlT_T0_E_clISt17integral_constantIbLb1EES14_IbLb0EEEEDaS10_S11_EUlS10_E_NS1_11comp_targetILNS1_3genE3ELNS1_11target_archE908ELNS1_3gpuE7ELNS1_3repE0EEENS1_30default_config_static_selectorELNS0_4arch9wavefront6targetE1EEEvT1_,"axG",@progbits,_ZN7rocprim17ROCPRIM_400000_NS6detail17trampoline_kernelINS0_14default_configENS1_29reduce_by_key_config_selectorIN3c104HalfElN6thrust23THRUST_200600_302600_NS4plusIlEEEEZZNS1_33reduce_by_key_impl_wrapped_configILNS1_25lookback_scan_determinismE0ES3_SB_PS6_NS8_17constant_iteratorIiNS8_11use_defaultESG_EENS8_10device_ptrIS6_EENSI_IlEEPmSA_NS8_8equal_toIS6_EEEE10hipError_tPvRmT2_T3_mT4_T5_T6_T7_T8_P12ihipStream_tbENKUlT_T0_E_clISt17integral_constantIbLb1EES14_IbLb0EEEEDaS10_S11_EUlS10_E_NS1_11comp_targetILNS1_3genE3ELNS1_11target_archE908ELNS1_3gpuE7ELNS1_3repE0EEENS1_30default_config_static_selectorELNS0_4arch9wavefront6targetE1EEEvT1_,comdat
.Lfunc_end2221:
	.size	_ZN7rocprim17ROCPRIM_400000_NS6detail17trampoline_kernelINS0_14default_configENS1_29reduce_by_key_config_selectorIN3c104HalfElN6thrust23THRUST_200600_302600_NS4plusIlEEEEZZNS1_33reduce_by_key_impl_wrapped_configILNS1_25lookback_scan_determinismE0ES3_SB_PS6_NS8_17constant_iteratorIiNS8_11use_defaultESG_EENS8_10device_ptrIS6_EENSI_IlEEPmSA_NS8_8equal_toIS6_EEEE10hipError_tPvRmT2_T3_mT4_T5_T6_T7_T8_P12ihipStream_tbENKUlT_T0_E_clISt17integral_constantIbLb1EES14_IbLb0EEEEDaS10_S11_EUlS10_E_NS1_11comp_targetILNS1_3genE3ELNS1_11target_archE908ELNS1_3gpuE7ELNS1_3repE0EEENS1_30default_config_static_selectorELNS0_4arch9wavefront6targetE1EEEvT1_, .Lfunc_end2221-_ZN7rocprim17ROCPRIM_400000_NS6detail17trampoline_kernelINS0_14default_configENS1_29reduce_by_key_config_selectorIN3c104HalfElN6thrust23THRUST_200600_302600_NS4plusIlEEEEZZNS1_33reduce_by_key_impl_wrapped_configILNS1_25lookback_scan_determinismE0ES3_SB_PS6_NS8_17constant_iteratorIiNS8_11use_defaultESG_EENS8_10device_ptrIS6_EENSI_IlEEPmSA_NS8_8equal_toIS6_EEEE10hipError_tPvRmT2_T3_mT4_T5_T6_T7_T8_P12ihipStream_tbENKUlT_T0_E_clISt17integral_constantIbLb1EES14_IbLb0EEEEDaS10_S11_EUlS10_E_NS1_11comp_targetILNS1_3genE3ELNS1_11target_archE908ELNS1_3gpuE7ELNS1_3repE0EEENS1_30default_config_static_selectorELNS0_4arch9wavefront6targetE1EEEvT1_
                                        ; -- End function
	.section	.AMDGPU.csdata,"",@progbits
; Kernel info:
; codeLenInByte = 0
; NumSgprs: 4
; NumVgprs: 0
; NumAgprs: 0
; TotalNumVgprs: 0
; ScratchSize: 0
; MemoryBound: 0
; FloatMode: 240
; IeeeMode: 1
; LDSByteSize: 0 bytes/workgroup (compile time only)
; SGPRBlocks: 0
; VGPRBlocks: 0
; NumSGPRsForWavesPerEU: 4
; NumVGPRsForWavesPerEU: 1
; AccumOffset: 4
; Occupancy: 8
; WaveLimiterHint : 0
; COMPUTE_PGM_RSRC2:SCRATCH_EN: 0
; COMPUTE_PGM_RSRC2:USER_SGPR: 6
; COMPUTE_PGM_RSRC2:TRAP_HANDLER: 0
; COMPUTE_PGM_RSRC2:TGID_X_EN: 1
; COMPUTE_PGM_RSRC2:TGID_Y_EN: 0
; COMPUTE_PGM_RSRC2:TGID_Z_EN: 0
; COMPUTE_PGM_RSRC2:TIDIG_COMP_CNT: 0
; COMPUTE_PGM_RSRC3_GFX90A:ACCUM_OFFSET: 0
; COMPUTE_PGM_RSRC3_GFX90A:TG_SPLIT: 0
	.section	.text._ZN7rocprim17ROCPRIM_400000_NS6detail17trampoline_kernelINS0_14default_configENS1_29reduce_by_key_config_selectorIN3c104HalfElN6thrust23THRUST_200600_302600_NS4plusIlEEEEZZNS1_33reduce_by_key_impl_wrapped_configILNS1_25lookback_scan_determinismE0ES3_SB_PS6_NS8_17constant_iteratorIiNS8_11use_defaultESG_EENS8_10device_ptrIS6_EENSI_IlEEPmSA_NS8_8equal_toIS6_EEEE10hipError_tPvRmT2_T3_mT4_T5_T6_T7_T8_P12ihipStream_tbENKUlT_T0_E_clISt17integral_constantIbLb1EES14_IbLb0EEEEDaS10_S11_EUlS10_E_NS1_11comp_targetILNS1_3genE2ELNS1_11target_archE906ELNS1_3gpuE6ELNS1_3repE0EEENS1_30default_config_static_selectorELNS0_4arch9wavefront6targetE1EEEvT1_,"axG",@progbits,_ZN7rocprim17ROCPRIM_400000_NS6detail17trampoline_kernelINS0_14default_configENS1_29reduce_by_key_config_selectorIN3c104HalfElN6thrust23THRUST_200600_302600_NS4plusIlEEEEZZNS1_33reduce_by_key_impl_wrapped_configILNS1_25lookback_scan_determinismE0ES3_SB_PS6_NS8_17constant_iteratorIiNS8_11use_defaultESG_EENS8_10device_ptrIS6_EENSI_IlEEPmSA_NS8_8equal_toIS6_EEEE10hipError_tPvRmT2_T3_mT4_T5_T6_T7_T8_P12ihipStream_tbENKUlT_T0_E_clISt17integral_constantIbLb1EES14_IbLb0EEEEDaS10_S11_EUlS10_E_NS1_11comp_targetILNS1_3genE2ELNS1_11target_archE906ELNS1_3gpuE6ELNS1_3repE0EEENS1_30default_config_static_selectorELNS0_4arch9wavefront6targetE1EEEvT1_,comdat
	.protected	_ZN7rocprim17ROCPRIM_400000_NS6detail17trampoline_kernelINS0_14default_configENS1_29reduce_by_key_config_selectorIN3c104HalfElN6thrust23THRUST_200600_302600_NS4plusIlEEEEZZNS1_33reduce_by_key_impl_wrapped_configILNS1_25lookback_scan_determinismE0ES3_SB_PS6_NS8_17constant_iteratorIiNS8_11use_defaultESG_EENS8_10device_ptrIS6_EENSI_IlEEPmSA_NS8_8equal_toIS6_EEEE10hipError_tPvRmT2_T3_mT4_T5_T6_T7_T8_P12ihipStream_tbENKUlT_T0_E_clISt17integral_constantIbLb1EES14_IbLb0EEEEDaS10_S11_EUlS10_E_NS1_11comp_targetILNS1_3genE2ELNS1_11target_archE906ELNS1_3gpuE6ELNS1_3repE0EEENS1_30default_config_static_selectorELNS0_4arch9wavefront6targetE1EEEvT1_ ; -- Begin function _ZN7rocprim17ROCPRIM_400000_NS6detail17trampoline_kernelINS0_14default_configENS1_29reduce_by_key_config_selectorIN3c104HalfElN6thrust23THRUST_200600_302600_NS4plusIlEEEEZZNS1_33reduce_by_key_impl_wrapped_configILNS1_25lookback_scan_determinismE0ES3_SB_PS6_NS8_17constant_iteratorIiNS8_11use_defaultESG_EENS8_10device_ptrIS6_EENSI_IlEEPmSA_NS8_8equal_toIS6_EEEE10hipError_tPvRmT2_T3_mT4_T5_T6_T7_T8_P12ihipStream_tbENKUlT_T0_E_clISt17integral_constantIbLb1EES14_IbLb0EEEEDaS10_S11_EUlS10_E_NS1_11comp_targetILNS1_3genE2ELNS1_11target_archE906ELNS1_3gpuE6ELNS1_3repE0EEENS1_30default_config_static_selectorELNS0_4arch9wavefront6targetE1EEEvT1_
	.globl	_ZN7rocprim17ROCPRIM_400000_NS6detail17trampoline_kernelINS0_14default_configENS1_29reduce_by_key_config_selectorIN3c104HalfElN6thrust23THRUST_200600_302600_NS4plusIlEEEEZZNS1_33reduce_by_key_impl_wrapped_configILNS1_25lookback_scan_determinismE0ES3_SB_PS6_NS8_17constant_iteratorIiNS8_11use_defaultESG_EENS8_10device_ptrIS6_EENSI_IlEEPmSA_NS8_8equal_toIS6_EEEE10hipError_tPvRmT2_T3_mT4_T5_T6_T7_T8_P12ihipStream_tbENKUlT_T0_E_clISt17integral_constantIbLb1EES14_IbLb0EEEEDaS10_S11_EUlS10_E_NS1_11comp_targetILNS1_3genE2ELNS1_11target_archE906ELNS1_3gpuE6ELNS1_3repE0EEENS1_30default_config_static_selectorELNS0_4arch9wavefront6targetE1EEEvT1_
	.p2align	8
	.type	_ZN7rocprim17ROCPRIM_400000_NS6detail17trampoline_kernelINS0_14default_configENS1_29reduce_by_key_config_selectorIN3c104HalfElN6thrust23THRUST_200600_302600_NS4plusIlEEEEZZNS1_33reduce_by_key_impl_wrapped_configILNS1_25lookback_scan_determinismE0ES3_SB_PS6_NS8_17constant_iteratorIiNS8_11use_defaultESG_EENS8_10device_ptrIS6_EENSI_IlEEPmSA_NS8_8equal_toIS6_EEEE10hipError_tPvRmT2_T3_mT4_T5_T6_T7_T8_P12ihipStream_tbENKUlT_T0_E_clISt17integral_constantIbLb1EES14_IbLb0EEEEDaS10_S11_EUlS10_E_NS1_11comp_targetILNS1_3genE2ELNS1_11target_archE906ELNS1_3gpuE6ELNS1_3repE0EEENS1_30default_config_static_selectorELNS0_4arch9wavefront6targetE1EEEvT1_,@function
_ZN7rocprim17ROCPRIM_400000_NS6detail17trampoline_kernelINS0_14default_configENS1_29reduce_by_key_config_selectorIN3c104HalfElN6thrust23THRUST_200600_302600_NS4plusIlEEEEZZNS1_33reduce_by_key_impl_wrapped_configILNS1_25lookback_scan_determinismE0ES3_SB_PS6_NS8_17constant_iteratorIiNS8_11use_defaultESG_EENS8_10device_ptrIS6_EENSI_IlEEPmSA_NS8_8equal_toIS6_EEEE10hipError_tPvRmT2_T3_mT4_T5_T6_T7_T8_P12ihipStream_tbENKUlT_T0_E_clISt17integral_constantIbLb1EES14_IbLb0EEEEDaS10_S11_EUlS10_E_NS1_11comp_targetILNS1_3genE2ELNS1_11target_archE906ELNS1_3gpuE6ELNS1_3repE0EEENS1_30default_config_static_selectorELNS0_4arch9wavefront6targetE1EEEvT1_: ; @_ZN7rocprim17ROCPRIM_400000_NS6detail17trampoline_kernelINS0_14default_configENS1_29reduce_by_key_config_selectorIN3c104HalfElN6thrust23THRUST_200600_302600_NS4plusIlEEEEZZNS1_33reduce_by_key_impl_wrapped_configILNS1_25lookback_scan_determinismE0ES3_SB_PS6_NS8_17constant_iteratorIiNS8_11use_defaultESG_EENS8_10device_ptrIS6_EENSI_IlEEPmSA_NS8_8equal_toIS6_EEEE10hipError_tPvRmT2_T3_mT4_T5_T6_T7_T8_P12ihipStream_tbENKUlT_T0_E_clISt17integral_constantIbLb1EES14_IbLb0EEEEDaS10_S11_EUlS10_E_NS1_11comp_targetILNS1_3genE2ELNS1_11target_archE906ELNS1_3gpuE6ELNS1_3repE0EEENS1_30default_config_static_selectorELNS0_4arch9wavefront6targetE1EEEvT1_
; %bb.0:
	.section	.rodata,"a",@progbits
	.p2align	6, 0x0
	.amdhsa_kernel _ZN7rocprim17ROCPRIM_400000_NS6detail17trampoline_kernelINS0_14default_configENS1_29reduce_by_key_config_selectorIN3c104HalfElN6thrust23THRUST_200600_302600_NS4plusIlEEEEZZNS1_33reduce_by_key_impl_wrapped_configILNS1_25lookback_scan_determinismE0ES3_SB_PS6_NS8_17constant_iteratorIiNS8_11use_defaultESG_EENS8_10device_ptrIS6_EENSI_IlEEPmSA_NS8_8equal_toIS6_EEEE10hipError_tPvRmT2_T3_mT4_T5_T6_T7_T8_P12ihipStream_tbENKUlT_T0_E_clISt17integral_constantIbLb1EES14_IbLb0EEEEDaS10_S11_EUlS10_E_NS1_11comp_targetILNS1_3genE2ELNS1_11target_archE906ELNS1_3gpuE6ELNS1_3repE0EEENS1_30default_config_static_selectorELNS0_4arch9wavefront6targetE1EEEvT1_
		.amdhsa_group_segment_fixed_size 0
		.amdhsa_private_segment_fixed_size 0
		.amdhsa_kernarg_size 144
		.amdhsa_user_sgpr_count 6
		.amdhsa_user_sgpr_private_segment_buffer 1
		.amdhsa_user_sgpr_dispatch_ptr 0
		.amdhsa_user_sgpr_queue_ptr 0
		.amdhsa_user_sgpr_kernarg_segment_ptr 1
		.amdhsa_user_sgpr_dispatch_id 0
		.amdhsa_user_sgpr_flat_scratch_init 0
		.amdhsa_user_sgpr_kernarg_preload_length 0
		.amdhsa_user_sgpr_kernarg_preload_offset 0
		.amdhsa_user_sgpr_private_segment_size 0
		.amdhsa_uses_dynamic_stack 0
		.amdhsa_system_sgpr_private_segment_wavefront_offset 0
		.amdhsa_system_sgpr_workgroup_id_x 1
		.amdhsa_system_sgpr_workgroup_id_y 0
		.amdhsa_system_sgpr_workgroup_id_z 0
		.amdhsa_system_sgpr_workgroup_info 0
		.amdhsa_system_vgpr_workitem_id 0
		.amdhsa_next_free_vgpr 1
		.amdhsa_next_free_sgpr 0
		.amdhsa_accum_offset 4
		.amdhsa_reserve_vcc 0
		.amdhsa_reserve_flat_scratch 0
		.amdhsa_float_round_mode_32 0
		.amdhsa_float_round_mode_16_64 0
		.amdhsa_float_denorm_mode_32 3
		.amdhsa_float_denorm_mode_16_64 3
		.amdhsa_dx10_clamp 1
		.amdhsa_ieee_mode 1
		.amdhsa_fp16_overflow 0
		.amdhsa_tg_split 0
		.amdhsa_exception_fp_ieee_invalid_op 0
		.amdhsa_exception_fp_denorm_src 0
		.amdhsa_exception_fp_ieee_div_zero 0
		.amdhsa_exception_fp_ieee_overflow 0
		.amdhsa_exception_fp_ieee_underflow 0
		.amdhsa_exception_fp_ieee_inexact 0
		.amdhsa_exception_int_div_zero 0
	.end_amdhsa_kernel
	.section	.text._ZN7rocprim17ROCPRIM_400000_NS6detail17trampoline_kernelINS0_14default_configENS1_29reduce_by_key_config_selectorIN3c104HalfElN6thrust23THRUST_200600_302600_NS4plusIlEEEEZZNS1_33reduce_by_key_impl_wrapped_configILNS1_25lookback_scan_determinismE0ES3_SB_PS6_NS8_17constant_iteratorIiNS8_11use_defaultESG_EENS8_10device_ptrIS6_EENSI_IlEEPmSA_NS8_8equal_toIS6_EEEE10hipError_tPvRmT2_T3_mT4_T5_T6_T7_T8_P12ihipStream_tbENKUlT_T0_E_clISt17integral_constantIbLb1EES14_IbLb0EEEEDaS10_S11_EUlS10_E_NS1_11comp_targetILNS1_3genE2ELNS1_11target_archE906ELNS1_3gpuE6ELNS1_3repE0EEENS1_30default_config_static_selectorELNS0_4arch9wavefront6targetE1EEEvT1_,"axG",@progbits,_ZN7rocprim17ROCPRIM_400000_NS6detail17trampoline_kernelINS0_14default_configENS1_29reduce_by_key_config_selectorIN3c104HalfElN6thrust23THRUST_200600_302600_NS4plusIlEEEEZZNS1_33reduce_by_key_impl_wrapped_configILNS1_25lookback_scan_determinismE0ES3_SB_PS6_NS8_17constant_iteratorIiNS8_11use_defaultESG_EENS8_10device_ptrIS6_EENSI_IlEEPmSA_NS8_8equal_toIS6_EEEE10hipError_tPvRmT2_T3_mT4_T5_T6_T7_T8_P12ihipStream_tbENKUlT_T0_E_clISt17integral_constantIbLb1EES14_IbLb0EEEEDaS10_S11_EUlS10_E_NS1_11comp_targetILNS1_3genE2ELNS1_11target_archE906ELNS1_3gpuE6ELNS1_3repE0EEENS1_30default_config_static_selectorELNS0_4arch9wavefront6targetE1EEEvT1_,comdat
.Lfunc_end2222:
	.size	_ZN7rocprim17ROCPRIM_400000_NS6detail17trampoline_kernelINS0_14default_configENS1_29reduce_by_key_config_selectorIN3c104HalfElN6thrust23THRUST_200600_302600_NS4plusIlEEEEZZNS1_33reduce_by_key_impl_wrapped_configILNS1_25lookback_scan_determinismE0ES3_SB_PS6_NS8_17constant_iteratorIiNS8_11use_defaultESG_EENS8_10device_ptrIS6_EENSI_IlEEPmSA_NS8_8equal_toIS6_EEEE10hipError_tPvRmT2_T3_mT4_T5_T6_T7_T8_P12ihipStream_tbENKUlT_T0_E_clISt17integral_constantIbLb1EES14_IbLb0EEEEDaS10_S11_EUlS10_E_NS1_11comp_targetILNS1_3genE2ELNS1_11target_archE906ELNS1_3gpuE6ELNS1_3repE0EEENS1_30default_config_static_selectorELNS0_4arch9wavefront6targetE1EEEvT1_, .Lfunc_end2222-_ZN7rocprim17ROCPRIM_400000_NS6detail17trampoline_kernelINS0_14default_configENS1_29reduce_by_key_config_selectorIN3c104HalfElN6thrust23THRUST_200600_302600_NS4plusIlEEEEZZNS1_33reduce_by_key_impl_wrapped_configILNS1_25lookback_scan_determinismE0ES3_SB_PS6_NS8_17constant_iteratorIiNS8_11use_defaultESG_EENS8_10device_ptrIS6_EENSI_IlEEPmSA_NS8_8equal_toIS6_EEEE10hipError_tPvRmT2_T3_mT4_T5_T6_T7_T8_P12ihipStream_tbENKUlT_T0_E_clISt17integral_constantIbLb1EES14_IbLb0EEEEDaS10_S11_EUlS10_E_NS1_11comp_targetILNS1_3genE2ELNS1_11target_archE906ELNS1_3gpuE6ELNS1_3repE0EEENS1_30default_config_static_selectorELNS0_4arch9wavefront6targetE1EEEvT1_
                                        ; -- End function
	.section	.AMDGPU.csdata,"",@progbits
; Kernel info:
; codeLenInByte = 0
; NumSgprs: 4
; NumVgprs: 0
; NumAgprs: 0
; TotalNumVgprs: 0
; ScratchSize: 0
; MemoryBound: 0
; FloatMode: 240
; IeeeMode: 1
; LDSByteSize: 0 bytes/workgroup (compile time only)
; SGPRBlocks: 0
; VGPRBlocks: 0
; NumSGPRsForWavesPerEU: 4
; NumVGPRsForWavesPerEU: 1
; AccumOffset: 4
; Occupancy: 8
; WaveLimiterHint : 0
; COMPUTE_PGM_RSRC2:SCRATCH_EN: 0
; COMPUTE_PGM_RSRC2:USER_SGPR: 6
; COMPUTE_PGM_RSRC2:TRAP_HANDLER: 0
; COMPUTE_PGM_RSRC2:TGID_X_EN: 1
; COMPUTE_PGM_RSRC2:TGID_Y_EN: 0
; COMPUTE_PGM_RSRC2:TGID_Z_EN: 0
; COMPUTE_PGM_RSRC2:TIDIG_COMP_CNT: 0
; COMPUTE_PGM_RSRC3_GFX90A:ACCUM_OFFSET: 0
; COMPUTE_PGM_RSRC3_GFX90A:TG_SPLIT: 0
	.section	.text._ZN7rocprim17ROCPRIM_400000_NS6detail17trampoline_kernelINS0_14default_configENS1_29reduce_by_key_config_selectorIN3c104HalfElN6thrust23THRUST_200600_302600_NS4plusIlEEEEZZNS1_33reduce_by_key_impl_wrapped_configILNS1_25lookback_scan_determinismE0ES3_SB_PS6_NS8_17constant_iteratorIiNS8_11use_defaultESG_EENS8_10device_ptrIS6_EENSI_IlEEPmSA_NS8_8equal_toIS6_EEEE10hipError_tPvRmT2_T3_mT4_T5_T6_T7_T8_P12ihipStream_tbENKUlT_T0_E_clISt17integral_constantIbLb1EES14_IbLb0EEEEDaS10_S11_EUlS10_E_NS1_11comp_targetILNS1_3genE10ELNS1_11target_archE1201ELNS1_3gpuE5ELNS1_3repE0EEENS1_30default_config_static_selectorELNS0_4arch9wavefront6targetE1EEEvT1_,"axG",@progbits,_ZN7rocprim17ROCPRIM_400000_NS6detail17trampoline_kernelINS0_14default_configENS1_29reduce_by_key_config_selectorIN3c104HalfElN6thrust23THRUST_200600_302600_NS4plusIlEEEEZZNS1_33reduce_by_key_impl_wrapped_configILNS1_25lookback_scan_determinismE0ES3_SB_PS6_NS8_17constant_iteratorIiNS8_11use_defaultESG_EENS8_10device_ptrIS6_EENSI_IlEEPmSA_NS8_8equal_toIS6_EEEE10hipError_tPvRmT2_T3_mT4_T5_T6_T7_T8_P12ihipStream_tbENKUlT_T0_E_clISt17integral_constantIbLb1EES14_IbLb0EEEEDaS10_S11_EUlS10_E_NS1_11comp_targetILNS1_3genE10ELNS1_11target_archE1201ELNS1_3gpuE5ELNS1_3repE0EEENS1_30default_config_static_selectorELNS0_4arch9wavefront6targetE1EEEvT1_,comdat
	.protected	_ZN7rocprim17ROCPRIM_400000_NS6detail17trampoline_kernelINS0_14default_configENS1_29reduce_by_key_config_selectorIN3c104HalfElN6thrust23THRUST_200600_302600_NS4plusIlEEEEZZNS1_33reduce_by_key_impl_wrapped_configILNS1_25lookback_scan_determinismE0ES3_SB_PS6_NS8_17constant_iteratorIiNS8_11use_defaultESG_EENS8_10device_ptrIS6_EENSI_IlEEPmSA_NS8_8equal_toIS6_EEEE10hipError_tPvRmT2_T3_mT4_T5_T6_T7_T8_P12ihipStream_tbENKUlT_T0_E_clISt17integral_constantIbLb1EES14_IbLb0EEEEDaS10_S11_EUlS10_E_NS1_11comp_targetILNS1_3genE10ELNS1_11target_archE1201ELNS1_3gpuE5ELNS1_3repE0EEENS1_30default_config_static_selectorELNS0_4arch9wavefront6targetE1EEEvT1_ ; -- Begin function _ZN7rocprim17ROCPRIM_400000_NS6detail17trampoline_kernelINS0_14default_configENS1_29reduce_by_key_config_selectorIN3c104HalfElN6thrust23THRUST_200600_302600_NS4plusIlEEEEZZNS1_33reduce_by_key_impl_wrapped_configILNS1_25lookback_scan_determinismE0ES3_SB_PS6_NS8_17constant_iteratorIiNS8_11use_defaultESG_EENS8_10device_ptrIS6_EENSI_IlEEPmSA_NS8_8equal_toIS6_EEEE10hipError_tPvRmT2_T3_mT4_T5_T6_T7_T8_P12ihipStream_tbENKUlT_T0_E_clISt17integral_constantIbLb1EES14_IbLb0EEEEDaS10_S11_EUlS10_E_NS1_11comp_targetILNS1_3genE10ELNS1_11target_archE1201ELNS1_3gpuE5ELNS1_3repE0EEENS1_30default_config_static_selectorELNS0_4arch9wavefront6targetE1EEEvT1_
	.globl	_ZN7rocprim17ROCPRIM_400000_NS6detail17trampoline_kernelINS0_14default_configENS1_29reduce_by_key_config_selectorIN3c104HalfElN6thrust23THRUST_200600_302600_NS4plusIlEEEEZZNS1_33reduce_by_key_impl_wrapped_configILNS1_25lookback_scan_determinismE0ES3_SB_PS6_NS8_17constant_iteratorIiNS8_11use_defaultESG_EENS8_10device_ptrIS6_EENSI_IlEEPmSA_NS8_8equal_toIS6_EEEE10hipError_tPvRmT2_T3_mT4_T5_T6_T7_T8_P12ihipStream_tbENKUlT_T0_E_clISt17integral_constantIbLb1EES14_IbLb0EEEEDaS10_S11_EUlS10_E_NS1_11comp_targetILNS1_3genE10ELNS1_11target_archE1201ELNS1_3gpuE5ELNS1_3repE0EEENS1_30default_config_static_selectorELNS0_4arch9wavefront6targetE1EEEvT1_
	.p2align	8
	.type	_ZN7rocprim17ROCPRIM_400000_NS6detail17trampoline_kernelINS0_14default_configENS1_29reduce_by_key_config_selectorIN3c104HalfElN6thrust23THRUST_200600_302600_NS4plusIlEEEEZZNS1_33reduce_by_key_impl_wrapped_configILNS1_25lookback_scan_determinismE0ES3_SB_PS6_NS8_17constant_iteratorIiNS8_11use_defaultESG_EENS8_10device_ptrIS6_EENSI_IlEEPmSA_NS8_8equal_toIS6_EEEE10hipError_tPvRmT2_T3_mT4_T5_T6_T7_T8_P12ihipStream_tbENKUlT_T0_E_clISt17integral_constantIbLb1EES14_IbLb0EEEEDaS10_S11_EUlS10_E_NS1_11comp_targetILNS1_3genE10ELNS1_11target_archE1201ELNS1_3gpuE5ELNS1_3repE0EEENS1_30default_config_static_selectorELNS0_4arch9wavefront6targetE1EEEvT1_,@function
_ZN7rocprim17ROCPRIM_400000_NS6detail17trampoline_kernelINS0_14default_configENS1_29reduce_by_key_config_selectorIN3c104HalfElN6thrust23THRUST_200600_302600_NS4plusIlEEEEZZNS1_33reduce_by_key_impl_wrapped_configILNS1_25lookback_scan_determinismE0ES3_SB_PS6_NS8_17constant_iteratorIiNS8_11use_defaultESG_EENS8_10device_ptrIS6_EENSI_IlEEPmSA_NS8_8equal_toIS6_EEEE10hipError_tPvRmT2_T3_mT4_T5_T6_T7_T8_P12ihipStream_tbENKUlT_T0_E_clISt17integral_constantIbLb1EES14_IbLb0EEEEDaS10_S11_EUlS10_E_NS1_11comp_targetILNS1_3genE10ELNS1_11target_archE1201ELNS1_3gpuE5ELNS1_3repE0EEENS1_30default_config_static_selectorELNS0_4arch9wavefront6targetE1EEEvT1_: ; @_ZN7rocprim17ROCPRIM_400000_NS6detail17trampoline_kernelINS0_14default_configENS1_29reduce_by_key_config_selectorIN3c104HalfElN6thrust23THRUST_200600_302600_NS4plusIlEEEEZZNS1_33reduce_by_key_impl_wrapped_configILNS1_25lookback_scan_determinismE0ES3_SB_PS6_NS8_17constant_iteratorIiNS8_11use_defaultESG_EENS8_10device_ptrIS6_EENSI_IlEEPmSA_NS8_8equal_toIS6_EEEE10hipError_tPvRmT2_T3_mT4_T5_T6_T7_T8_P12ihipStream_tbENKUlT_T0_E_clISt17integral_constantIbLb1EES14_IbLb0EEEEDaS10_S11_EUlS10_E_NS1_11comp_targetILNS1_3genE10ELNS1_11target_archE1201ELNS1_3gpuE5ELNS1_3repE0EEENS1_30default_config_static_selectorELNS0_4arch9wavefront6targetE1EEEvT1_
; %bb.0:
	.section	.rodata,"a",@progbits
	.p2align	6, 0x0
	.amdhsa_kernel _ZN7rocprim17ROCPRIM_400000_NS6detail17trampoline_kernelINS0_14default_configENS1_29reduce_by_key_config_selectorIN3c104HalfElN6thrust23THRUST_200600_302600_NS4plusIlEEEEZZNS1_33reduce_by_key_impl_wrapped_configILNS1_25lookback_scan_determinismE0ES3_SB_PS6_NS8_17constant_iteratorIiNS8_11use_defaultESG_EENS8_10device_ptrIS6_EENSI_IlEEPmSA_NS8_8equal_toIS6_EEEE10hipError_tPvRmT2_T3_mT4_T5_T6_T7_T8_P12ihipStream_tbENKUlT_T0_E_clISt17integral_constantIbLb1EES14_IbLb0EEEEDaS10_S11_EUlS10_E_NS1_11comp_targetILNS1_3genE10ELNS1_11target_archE1201ELNS1_3gpuE5ELNS1_3repE0EEENS1_30default_config_static_selectorELNS0_4arch9wavefront6targetE1EEEvT1_
		.amdhsa_group_segment_fixed_size 0
		.amdhsa_private_segment_fixed_size 0
		.amdhsa_kernarg_size 144
		.amdhsa_user_sgpr_count 6
		.amdhsa_user_sgpr_private_segment_buffer 1
		.amdhsa_user_sgpr_dispatch_ptr 0
		.amdhsa_user_sgpr_queue_ptr 0
		.amdhsa_user_sgpr_kernarg_segment_ptr 1
		.amdhsa_user_sgpr_dispatch_id 0
		.amdhsa_user_sgpr_flat_scratch_init 0
		.amdhsa_user_sgpr_kernarg_preload_length 0
		.amdhsa_user_sgpr_kernarg_preload_offset 0
		.amdhsa_user_sgpr_private_segment_size 0
		.amdhsa_uses_dynamic_stack 0
		.amdhsa_system_sgpr_private_segment_wavefront_offset 0
		.amdhsa_system_sgpr_workgroup_id_x 1
		.amdhsa_system_sgpr_workgroup_id_y 0
		.amdhsa_system_sgpr_workgroup_id_z 0
		.amdhsa_system_sgpr_workgroup_info 0
		.amdhsa_system_vgpr_workitem_id 0
		.amdhsa_next_free_vgpr 1
		.amdhsa_next_free_sgpr 0
		.amdhsa_accum_offset 4
		.amdhsa_reserve_vcc 0
		.amdhsa_reserve_flat_scratch 0
		.amdhsa_float_round_mode_32 0
		.amdhsa_float_round_mode_16_64 0
		.amdhsa_float_denorm_mode_32 3
		.amdhsa_float_denorm_mode_16_64 3
		.amdhsa_dx10_clamp 1
		.amdhsa_ieee_mode 1
		.amdhsa_fp16_overflow 0
		.amdhsa_tg_split 0
		.amdhsa_exception_fp_ieee_invalid_op 0
		.amdhsa_exception_fp_denorm_src 0
		.amdhsa_exception_fp_ieee_div_zero 0
		.amdhsa_exception_fp_ieee_overflow 0
		.amdhsa_exception_fp_ieee_underflow 0
		.amdhsa_exception_fp_ieee_inexact 0
		.amdhsa_exception_int_div_zero 0
	.end_amdhsa_kernel
	.section	.text._ZN7rocprim17ROCPRIM_400000_NS6detail17trampoline_kernelINS0_14default_configENS1_29reduce_by_key_config_selectorIN3c104HalfElN6thrust23THRUST_200600_302600_NS4plusIlEEEEZZNS1_33reduce_by_key_impl_wrapped_configILNS1_25lookback_scan_determinismE0ES3_SB_PS6_NS8_17constant_iteratorIiNS8_11use_defaultESG_EENS8_10device_ptrIS6_EENSI_IlEEPmSA_NS8_8equal_toIS6_EEEE10hipError_tPvRmT2_T3_mT4_T5_T6_T7_T8_P12ihipStream_tbENKUlT_T0_E_clISt17integral_constantIbLb1EES14_IbLb0EEEEDaS10_S11_EUlS10_E_NS1_11comp_targetILNS1_3genE10ELNS1_11target_archE1201ELNS1_3gpuE5ELNS1_3repE0EEENS1_30default_config_static_selectorELNS0_4arch9wavefront6targetE1EEEvT1_,"axG",@progbits,_ZN7rocprim17ROCPRIM_400000_NS6detail17trampoline_kernelINS0_14default_configENS1_29reduce_by_key_config_selectorIN3c104HalfElN6thrust23THRUST_200600_302600_NS4plusIlEEEEZZNS1_33reduce_by_key_impl_wrapped_configILNS1_25lookback_scan_determinismE0ES3_SB_PS6_NS8_17constant_iteratorIiNS8_11use_defaultESG_EENS8_10device_ptrIS6_EENSI_IlEEPmSA_NS8_8equal_toIS6_EEEE10hipError_tPvRmT2_T3_mT4_T5_T6_T7_T8_P12ihipStream_tbENKUlT_T0_E_clISt17integral_constantIbLb1EES14_IbLb0EEEEDaS10_S11_EUlS10_E_NS1_11comp_targetILNS1_3genE10ELNS1_11target_archE1201ELNS1_3gpuE5ELNS1_3repE0EEENS1_30default_config_static_selectorELNS0_4arch9wavefront6targetE1EEEvT1_,comdat
.Lfunc_end2223:
	.size	_ZN7rocprim17ROCPRIM_400000_NS6detail17trampoline_kernelINS0_14default_configENS1_29reduce_by_key_config_selectorIN3c104HalfElN6thrust23THRUST_200600_302600_NS4plusIlEEEEZZNS1_33reduce_by_key_impl_wrapped_configILNS1_25lookback_scan_determinismE0ES3_SB_PS6_NS8_17constant_iteratorIiNS8_11use_defaultESG_EENS8_10device_ptrIS6_EENSI_IlEEPmSA_NS8_8equal_toIS6_EEEE10hipError_tPvRmT2_T3_mT4_T5_T6_T7_T8_P12ihipStream_tbENKUlT_T0_E_clISt17integral_constantIbLb1EES14_IbLb0EEEEDaS10_S11_EUlS10_E_NS1_11comp_targetILNS1_3genE10ELNS1_11target_archE1201ELNS1_3gpuE5ELNS1_3repE0EEENS1_30default_config_static_selectorELNS0_4arch9wavefront6targetE1EEEvT1_, .Lfunc_end2223-_ZN7rocprim17ROCPRIM_400000_NS6detail17trampoline_kernelINS0_14default_configENS1_29reduce_by_key_config_selectorIN3c104HalfElN6thrust23THRUST_200600_302600_NS4plusIlEEEEZZNS1_33reduce_by_key_impl_wrapped_configILNS1_25lookback_scan_determinismE0ES3_SB_PS6_NS8_17constant_iteratorIiNS8_11use_defaultESG_EENS8_10device_ptrIS6_EENSI_IlEEPmSA_NS8_8equal_toIS6_EEEE10hipError_tPvRmT2_T3_mT4_T5_T6_T7_T8_P12ihipStream_tbENKUlT_T0_E_clISt17integral_constantIbLb1EES14_IbLb0EEEEDaS10_S11_EUlS10_E_NS1_11comp_targetILNS1_3genE10ELNS1_11target_archE1201ELNS1_3gpuE5ELNS1_3repE0EEENS1_30default_config_static_selectorELNS0_4arch9wavefront6targetE1EEEvT1_
                                        ; -- End function
	.section	.AMDGPU.csdata,"",@progbits
; Kernel info:
; codeLenInByte = 0
; NumSgprs: 4
; NumVgprs: 0
; NumAgprs: 0
; TotalNumVgprs: 0
; ScratchSize: 0
; MemoryBound: 0
; FloatMode: 240
; IeeeMode: 1
; LDSByteSize: 0 bytes/workgroup (compile time only)
; SGPRBlocks: 0
; VGPRBlocks: 0
; NumSGPRsForWavesPerEU: 4
; NumVGPRsForWavesPerEU: 1
; AccumOffset: 4
; Occupancy: 8
; WaveLimiterHint : 0
; COMPUTE_PGM_RSRC2:SCRATCH_EN: 0
; COMPUTE_PGM_RSRC2:USER_SGPR: 6
; COMPUTE_PGM_RSRC2:TRAP_HANDLER: 0
; COMPUTE_PGM_RSRC2:TGID_X_EN: 1
; COMPUTE_PGM_RSRC2:TGID_Y_EN: 0
; COMPUTE_PGM_RSRC2:TGID_Z_EN: 0
; COMPUTE_PGM_RSRC2:TIDIG_COMP_CNT: 0
; COMPUTE_PGM_RSRC3_GFX90A:ACCUM_OFFSET: 0
; COMPUTE_PGM_RSRC3_GFX90A:TG_SPLIT: 0
	.section	.text._ZN7rocprim17ROCPRIM_400000_NS6detail17trampoline_kernelINS0_14default_configENS1_29reduce_by_key_config_selectorIN3c104HalfElN6thrust23THRUST_200600_302600_NS4plusIlEEEEZZNS1_33reduce_by_key_impl_wrapped_configILNS1_25lookback_scan_determinismE0ES3_SB_PS6_NS8_17constant_iteratorIiNS8_11use_defaultESG_EENS8_10device_ptrIS6_EENSI_IlEEPmSA_NS8_8equal_toIS6_EEEE10hipError_tPvRmT2_T3_mT4_T5_T6_T7_T8_P12ihipStream_tbENKUlT_T0_E_clISt17integral_constantIbLb1EES14_IbLb0EEEEDaS10_S11_EUlS10_E_NS1_11comp_targetILNS1_3genE10ELNS1_11target_archE1200ELNS1_3gpuE4ELNS1_3repE0EEENS1_30default_config_static_selectorELNS0_4arch9wavefront6targetE1EEEvT1_,"axG",@progbits,_ZN7rocprim17ROCPRIM_400000_NS6detail17trampoline_kernelINS0_14default_configENS1_29reduce_by_key_config_selectorIN3c104HalfElN6thrust23THRUST_200600_302600_NS4plusIlEEEEZZNS1_33reduce_by_key_impl_wrapped_configILNS1_25lookback_scan_determinismE0ES3_SB_PS6_NS8_17constant_iteratorIiNS8_11use_defaultESG_EENS8_10device_ptrIS6_EENSI_IlEEPmSA_NS8_8equal_toIS6_EEEE10hipError_tPvRmT2_T3_mT4_T5_T6_T7_T8_P12ihipStream_tbENKUlT_T0_E_clISt17integral_constantIbLb1EES14_IbLb0EEEEDaS10_S11_EUlS10_E_NS1_11comp_targetILNS1_3genE10ELNS1_11target_archE1200ELNS1_3gpuE4ELNS1_3repE0EEENS1_30default_config_static_selectorELNS0_4arch9wavefront6targetE1EEEvT1_,comdat
	.protected	_ZN7rocprim17ROCPRIM_400000_NS6detail17trampoline_kernelINS0_14default_configENS1_29reduce_by_key_config_selectorIN3c104HalfElN6thrust23THRUST_200600_302600_NS4plusIlEEEEZZNS1_33reduce_by_key_impl_wrapped_configILNS1_25lookback_scan_determinismE0ES3_SB_PS6_NS8_17constant_iteratorIiNS8_11use_defaultESG_EENS8_10device_ptrIS6_EENSI_IlEEPmSA_NS8_8equal_toIS6_EEEE10hipError_tPvRmT2_T3_mT4_T5_T6_T7_T8_P12ihipStream_tbENKUlT_T0_E_clISt17integral_constantIbLb1EES14_IbLb0EEEEDaS10_S11_EUlS10_E_NS1_11comp_targetILNS1_3genE10ELNS1_11target_archE1200ELNS1_3gpuE4ELNS1_3repE0EEENS1_30default_config_static_selectorELNS0_4arch9wavefront6targetE1EEEvT1_ ; -- Begin function _ZN7rocprim17ROCPRIM_400000_NS6detail17trampoline_kernelINS0_14default_configENS1_29reduce_by_key_config_selectorIN3c104HalfElN6thrust23THRUST_200600_302600_NS4plusIlEEEEZZNS1_33reduce_by_key_impl_wrapped_configILNS1_25lookback_scan_determinismE0ES3_SB_PS6_NS8_17constant_iteratorIiNS8_11use_defaultESG_EENS8_10device_ptrIS6_EENSI_IlEEPmSA_NS8_8equal_toIS6_EEEE10hipError_tPvRmT2_T3_mT4_T5_T6_T7_T8_P12ihipStream_tbENKUlT_T0_E_clISt17integral_constantIbLb1EES14_IbLb0EEEEDaS10_S11_EUlS10_E_NS1_11comp_targetILNS1_3genE10ELNS1_11target_archE1200ELNS1_3gpuE4ELNS1_3repE0EEENS1_30default_config_static_selectorELNS0_4arch9wavefront6targetE1EEEvT1_
	.globl	_ZN7rocprim17ROCPRIM_400000_NS6detail17trampoline_kernelINS0_14default_configENS1_29reduce_by_key_config_selectorIN3c104HalfElN6thrust23THRUST_200600_302600_NS4plusIlEEEEZZNS1_33reduce_by_key_impl_wrapped_configILNS1_25lookback_scan_determinismE0ES3_SB_PS6_NS8_17constant_iteratorIiNS8_11use_defaultESG_EENS8_10device_ptrIS6_EENSI_IlEEPmSA_NS8_8equal_toIS6_EEEE10hipError_tPvRmT2_T3_mT4_T5_T6_T7_T8_P12ihipStream_tbENKUlT_T0_E_clISt17integral_constantIbLb1EES14_IbLb0EEEEDaS10_S11_EUlS10_E_NS1_11comp_targetILNS1_3genE10ELNS1_11target_archE1200ELNS1_3gpuE4ELNS1_3repE0EEENS1_30default_config_static_selectorELNS0_4arch9wavefront6targetE1EEEvT1_
	.p2align	8
	.type	_ZN7rocprim17ROCPRIM_400000_NS6detail17trampoline_kernelINS0_14default_configENS1_29reduce_by_key_config_selectorIN3c104HalfElN6thrust23THRUST_200600_302600_NS4plusIlEEEEZZNS1_33reduce_by_key_impl_wrapped_configILNS1_25lookback_scan_determinismE0ES3_SB_PS6_NS8_17constant_iteratorIiNS8_11use_defaultESG_EENS8_10device_ptrIS6_EENSI_IlEEPmSA_NS8_8equal_toIS6_EEEE10hipError_tPvRmT2_T3_mT4_T5_T6_T7_T8_P12ihipStream_tbENKUlT_T0_E_clISt17integral_constantIbLb1EES14_IbLb0EEEEDaS10_S11_EUlS10_E_NS1_11comp_targetILNS1_3genE10ELNS1_11target_archE1200ELNS1_3gpuE4ELNS1_3repE0EEENS1_30default_config_static_selectorELNS0_4arch9wavefront6targetE1EEEvT1_,@function
_ZN7rocprim17ROCPRIM_400000_NS6detail17trampoline_kernelINS0_14default_configENS1_29reduce_by_key_config_selectorIN3c104HalfElN6thrust23THRUST_200600_302600_NS4plusIlEEEEZZNS1_33reduce_by_key_impl_wrapped_configILNS1_25lookback_scan_determinismE0ES3_SB_PS6_NS8_17constant_iteratorIiNS8_11use_defaultESG_EENS8_10device_ptrIS6_EENSI_IlEEPmSA_NS8_8equal_toIS6_EEEE10hipError_tPvRmT2_T3_mT4_T5_T6_T7_T8_P12ihipStream_tbENKUlT_T0_E_clISt17integral_constantIbLb1EES14_IbLb0EEEEDaS10_S11_EUlS10_E_NS1_11comp_targetILNS1_3genE10ELNS1_11target_archE1200ELNS1_3gpuE4ELNS1_3repE0EEENS1_30default_config_static_selectorELNS0_4arch9wavefront6targetE1EEEvT1_: ; @_ZN7rocprim17ROCPRIM_400000_NS6detail17trampoline_kernelINS0_14default_configENS1_29reduce_by_key_config_selectorIN3c104HalfElN6thrust23THRUST_200600_302600_NS4plusIlEEEEZZNS1_33reduce_by_key_impl_wrapped_configILNS1_25lookback_scan_determinismE0ES3_SB_PS6_NS8_17constant_iteratorIiNS8_11use_defaultESG_EENS8_10device_ptrIS6_EENSI_IlEEPmSA_NS8_8equal_toIS6_EEEE10hipError_tPvRmT2_T3_mT4_T5_T6_T7_T8_P12ihipStream_tbENKUlT_T0_E_clISt17integral_constantIbLb1EES14_IbLb0EEEEDaS10_S11_EUlS10_E_NS1_11comp_targetILNS1_3genE10ELNS1_11target_archE1200ELNS1_3gpuE4ELNS1_3repE0EEENS1_30default_config_static_selectorELNS0_4arch9wavefront6targetE1EEEvT1_
; %bb.0:
	.section	.rodata,"a",@progbits
	.p2align	6, 0x0
	.amdhsa_kernel _ZN7rocprim17ROCPRIM_400000_NS6detail17trampoline_kernelINS0_14default_configENS1_29reduce_by_key_config_selectorIN3c104HalfElN6thrust23THRUST_200600_302600_NS4plusIlEEEEZZNS1_33reduce_by_key_impl_wrapped_configILNS1_25lookback_scan_determinismE0ES3_SB_PS6_NS8_17constant_iteratorIiNS8_11use_defaultESG_EENS8_10device_ptrIS6_EENSI_IlEEPmSA_NS8_8equal_toIS6_EEEE10hipError_tPvRmT2_T3_mT4_T5_T6_T7_T8_P12ihipStream_tbENKUlT_T0_E_clISt17integral_constantIbLb1EES14_IbLb0EEEEDaS10_S11_EUlS10_E_NS1_11comp_targetILNS1_3genE10ELNS1_11target_archE1200ELNS1_3gpuE4ELNS1_3repE0EEENS1_30default_config_static_selectorELNS0_4arch9wavefront6targetE1EEEvT1_
		.amdhsa_group_segment_fixed_size 0
		.amdhsa_private_segment_fixed_size 0
		.amdhsa_kernarg_size 144
		.amdhsa_user_sgpr_count 6
		.amdhsa_user_sgpr_private_segment_buffer 1
		.amdhsa_user_sgpr_dispatch_ptr 0
		.amdhsa_user_sgpr_queue_ptr 0
		.amdhsa_user_sgpr_kernarg_segment_ptr 1
		.amdhsa_user_sgpr_dispatch_id 0
		.amdhsa_user_sgpr_flat_scratch_init 0
		.amdhsa_user_sgpr_kernarg_preload_length 0
		.amdhsa_user_sgpr_kernarg_preload_offset 0
		.amdhsa_user_sgpr_private_segment_size 0
		.amdhsa_uses_dynamic_stack 0
		.amdhsa_system_sgpr_private_segment_wavefront_offset 0
		.amdhsa_system_sgpr_workgroup_id_x 1
		.amdhsa_system_sgpr_workgroup_id_y 0
		.amdhsa_system_sgpr_workgroup_id_z 0
		.amdhsa_system_sgpr_workgroup_info 0
		.amdhsa_system_vgpr_workitem_id 0
		.amdhsa_next_free_vgpr 1
		.amdhsa_next_free_sgpr 0
		.amdhsa_accum_offset 4
		.amdhsa_reserve_vcc 0
		.amdhsa_reserve_flat_scratch 0
		.amdhsa_float_round_mode_32 0
		.amdhsa_float_round_mode_16_64 0
		.amdhsa_float_denorm_mode_32 3
		.amdhsa_float_denorm_mode_16_64 3
		.amdhsa_dx10_clamp 1
		.amdhsa_ieee_mode 1
		.amdhsa_fp16_overflow 0
		.amdhsa_tg_split 0
		.amdhsa_exception_fp_ieee_invalid_op 0
		.amdhsa_exception_fp_denorm_src 0
		.amdhsa_exception_fp_ieee_div_zero 0
		.amdhsa_exception_fp_ieee_overflow 0
		.amdhsa_exception_fp_ieee_underflow 0
		.amdhsa_exception_fp_ieee_inexact 0
		.amdhsa_exception_int_div_zero 0
	.end_amdhsa_kernel
	.section	.text._ZN7rocprim17ROCPRIM_400000_NS6detail17trampoline_kernelINS0_14default_configENS1_29reduce_by_key_config_selectorIN3c104HalfElN6thrust23THRUST_200600_302600_NS4plusIlEEEEZZNS1_33reduce_by_key_impl_wrapped_configILNS1_25lookback_scan_determinismE0ES3_SB_PS6_NS8_17constant_iteratorIiNS8_11use_defaultESG_EENS8_10device_ptrIS6_EENSI_IlEEPmSA_NS8_8equal_toIS6_EEEE10hipError_tPvRmT2_T3_mT4_T5_T6_T7_T8_P12ihipStream_tbENKUlT_T0_E_clISt17integral_constantIbLb1EES14_IbLb0EEEEDaS10_S11_EUlS10_E_NS1_11comp_targetILNS1_3genE10ELNS1_11target_archE1200ELNS1_3gpuE4ELNS1_3repE0EEENS1_30default_config_static_selectorELNS0_4arch9wavefront6targetE1EEEvT1_,"axG",@progbits,_ZN7rocprim17ROCPRIM_400000_NS6detail17trampoline_kernelINS0_14default_configENS1_29reduce_by_key_config_selectorIN3c104HalfElN6thrust23THRUST_200600_302600_NS4plusIlEEEEZZNS1_33reduce_by_key_impl_wrapped_configILNS1_25lookback_scan_determinismE0ES3_SB_PS6_NS8_17constant_iteratorIiNS8_11use_defaultESG_EENS8_10device_ptrIS6_EENSI_IlEEPmSA_NS8_8equal_toIS6_EEEE10hipError_tPvRmT2_T3_mT4_T5_T6_T7_T8_P12ihipStream_tbENKUlT_T0_E_clISt17integral_constantIbLb1EES14_IbLb0EEEEDaS10_S11_EUlS10_E_NS1_11comp_targetILNS1_3genE10ELNS1_11target_archE1200ELNS1_3gpuE4ELNS1_3repE0EEENS1_30default_config_static_selectorELNS0_4arch9wavefront6targetE1EEEvT1_,comdat
.Lfunc_end2224:
	.size	_ZN7rocprim17ROCPRIM_400000_NS6detail17trampoline_kernelINS0_14default_configENS1_29reduce_by_key_config_selectorIN3c104HalfElN6thrust23THRUST_200600_302600_NS4plusIlEEEEZZNS1_33reduce_by_key_impl_wrapped_configILNS1_25lookback_scan_determinismE0ES3_SB_PS6_NS8_17constant_iteratorIiNS8_11use_defaultESG_EENS8_10device_ptrIS6_EENSI_IlEEPmSA_NS8_8equal_toIS6_EEEE10hipError_tPvRmT2_T3_mT4_T5_T6_T7_T8_P12ihipStream_tbENKUlT_T0_E_clISt17integral_constantIbLb1EES14_IbLb0EEEEDaS10_S11_EUlS10_E_NS1_11comp_targetILNS1_3genE10ELNS1_11target_archE1200ELNS1_3gpuE4ELNS1_3repE0EEENS1_30default_config_static_selectorELNS0_4arch9wavefront6targetE1EEEvT1_, .Lfunc_end2224-_ZN7rocprim17ROCPRIM_400000_NS6detail17trampoline_kernelINS0_14default_configENS1_29reduce_by_key_config_selectorIN3c104HalfElN6thrust23THRUST_200600_302600_NS4plusIlEEEEZZNS1_33reduce_by_key_impl_wrapped_configILNS1_25lookback_scan_determinismE0ES3_SB_PS6_NS8_17constant_iteratorIiNS8_11use_defaultESG_EENS8_10device_ptrIS6_EENSI_IlEEPmSA_NS8_8equal_toIS6_EEEE10hipError_tPvRmT2_T3_mT4_T5_T6_T7_T8_P12ihipStream_tbENKUlT_T0_E_clISt17integral_constantIbLb1EES14_IbLb0EEEEDaS10_S11_EUlS10_E_NS1_11comp_targetILNS1_3genE10ELNS1_11target_archE1200ELNS1_3gpuE4ELNS1_3repE0EEENS1_30default_config_static_selectorELNS0_4arch9wavefront6targetE1EEEvT1_
                                        ; -- End function
	.section	.AMDGPU.csdata,"",@progbits
; Kernel info:
; codeLenInByte = 0
; NumSgprs: 4
; NumVgprs: 0
; NumAgprs: 0
; TotalNumVgprs: 0
; ScratchSize: 0
; MemoryBound: 0
; FloatMode: 240
; IeeeMode: 1
; LDSByteSize: 0 bytes/workgroup (compile time only)
; SGPRBlocks: 0
; VGPRBlocks: 0
; NumSGPRsForWavesPerEU: 4
; NumVGPRsForWavesPerEU: 1
; AccumOffset: 4
; Occupancy: 8
; WaveLimiterHint : 0
; COMPUTE_PGM_RSRC2:SCRATCH_EN: 0
; COMPUTE_PGM_RSRC2:USER_SGPR: 6
; COMPUTE_PGM_RSRC2:TRAP_HANDLER: 0
; COMPUTE_PGM_RSRC2:TGID_X_EN: 1
; COMPUTE_PGM_RSRC2:TGID_Y_EN: 0
; COMPUTE_PGM_RSRC2:TGID_Z_EN: 0
; COMPUTE_PGM_RSRC2:TIDIG_COMP_CNT: 0
; COMPUTE_PGM_RSRC3_GFX90A:ACCUM_OFFSET: 0
; COMPUTE_PGM_RSRC3_GFX90A:TG_SPLIT: 0
	.section	.text._ZN7rocprim17ROCPRIM_400000_NS6detail17trampoline_kernelINS0_14default_configENS1_29reduce_by_key_config_selectorIN3c104HalfElN6thrust23THRUST_200600_302600_NS4plusIlEEEEZZNS1_33reduce_by_key_impl_wrapped_configILNS1_25lookback_scan_determinismE0ES3_SB_PS6_NS8_17constant_iteratorIiNS8_11use_defaultESG_EENS8_10device_ptrIS6_EENSI_IlEEPmSA_NS8_8equal_toIS6_EEEE10hipError_tPvRmT2_T3_mT4_T5_T6_T7_T8_P12ihipStream_tbENKUlT_T0_E_clISt17integral_constantIbLb1EES14_IbLb0EEEEDaS10_S11_EUlS10_E_NS1_11comp_targetILNS1_3genE9ELNS1_11target_archE1100ELNS1_3gpuE3ELNS1_3repE0EEENS1_30default_config_static_selectorELNS0_4arch9wavefront6targetE1EEEvT1_,"axG",@progbits,_ZN7rocprim17ROCPRIM_400000_NS6detail17trampoline_kernelINS0_14default_configENS1_29reduce_by_key_config_selectorIN3c104HalfElN6thrust23THRUST_200600_302600_NS4plusIlEEEEZZNS1_33reduce_by_key_impl_wrapped_configILNS1_25lookback_scan_determinismE0ES3_SB_PS6_NS8_17constant_iteratorIiNS8_11use_defaultESG_EENS8_10device_ptrIS6_EENSI_IlEEPmSA_NS8_8equal_toIS6_EEEE10hipError_tPvRmT2_T3_mT4_T5_T6_T7_T8_P12ihipStream_tbENKUlT_T0_E_clISt17integral_constantIbLb1EES14_IbLb0EEEEDaS10_S11_EUlS10_E_NS1_11comp_targetILNS1_3genE9ELNS1_11target_archE1100ELNS1_3gpuE3ELNS1_3repE0EEENS1_30default_config_static_selectorELNS0_4arch9wavefront6targetE1EEEvT1_,comdat
	.protected	_ZN7rocprim17ROCPRIM_400000_NS6detail17trampoline_kernelINS0_14default_configENS1_29reduce_by_key_config_selectorIN3c104HalfElN6thrust23THRUST_200600_302600_NS4plusIlEEEEZZNS1_33reduce_by_key_impl_wrapped_configILNS1_25lookback_scan_determinismE0ES3_SB_PS6_NS8_17constant_iteratorIiNS8_11use_defaultESG_EENS8_10device_ptrIS6_EENSI_IlEEPmSA_NS8_8equal_toIS6_EEEE10hipError_tPvRmT2_T3_mT4_T5_T6_T7_T8_P12ihipStream_tbENKUlT_T0_E_clISt17integral_constantIbLb1EES14_IbLb0EEEEDaS10_S11_EUlS10_E_NS1_11comp_targetILNS1_3genE9ELNS1_11target_archE1100ELNS1_3gpuE3ELNS1_3repE0EEENS1_30default_config_static_selectorELNS0_4arch9wavefront6targetE1EEEvT1_ ; -- Begin function _ZN7rocprim17ROCPRIM_400000_NS6detail17trampoline_kernelINS0_14default_configENS1_29reduce_by_key_config_selectorIN3c104HalfElN6thrust23THRUST_200600_302600_NS4plusIlEEEEZZNS1_33reduce_by_key_impl_wrapped_configILNS1_25lookback_scan_determinismE0ES3_SB_PS6_NS8_17constant_iteratorIiNS8_11use_defaultESG_EENS8_10device_ptrIS6_EENSI_IlEEPmSA_NS8_8equal_toIS6_EEEE10hipError_tPvRmT2_T3_mT4_T5_T6_T7_T8_P12ihipStream_tbENKUlT_T0_E_clISt17integral_constantIbLb1EES14_IbLb0EEEEDaS10_S11_EUlS10_E_NS1_11comp_targetILNS1_3genE9ELNS1_11target_archE1100ELNS1_3gpuE3ELNS1_3repE0EEENS1_30default_config_static_selectorELNS0_4arch9wavefront6targetE1EEEvT1_
	.globl	_ZN7rocprim17ROCPRIM_400000_NS6detail17trampoline_kernelINS0_14default_configENS1_29reduce_by_key_config_selectorIN3c104HalfElN6thrust23THRUST_200600_302600_NS4plusIlEEEEZZNS1_33reduce_by_key_impl_wrapped_configILNS1_25lookback_scan_determinismE0ES3_SB_PS6_NS8_17constant_iteratorIiNS8_11use_defaultESG_EENS8_10device_ptrIS6_EENSI_IlEEPmSA_NS8_8equal_toIS6_EEEE10hipError_tPvRmT2_T3_mT4_T5_T6_T7_T8_P12ihipStream_tbENKUlT_T0_E_clISt17integral_constantIbLb1EES14_IbLb0EEEEDaS10_S11_EUlS10_E_NS1_11comp_targetILNS1_3genE9ELNS1_11target_archE1100ELNS1_3gpuE3ELNS1_3repE0EEENS1_30default_config_static_selectorELNS0_4arch9wavefront6targetE1EEEvT1_
	.p2align	8
	.type	_ZN7rocprim17ROCPRIM_400000_NS6detail17trampoline_kernelINS0_14default_configENS1_29reduce_by_key_config_selectorIN3c104HalfElN6thrust23THRUST_200600_302600_NS4plusIlEEEEZZNS1_33reduce_by_key_impl_wrapped_configILNS1_25lookback_scan_determinismE0ES3_SB_PS6_NS8_17constant_iteratorIiNS8_11use_defaultESG_EENS8_10device_ptrIS6_EENSI_IlEEPmSA_NS8_8equal_toIS6_EEEE10hipError_tPvRmT2_T3_mT4_T5_T6_T7_T8_P12ihipStream_tbENKUlT_T0_E_clISt17integral_constantIbLb1EES14_IbLb0EEEEDaS10_S11_EUlS10_E_NS1_11comp_targetILNS1_3genE9ELNS1_11target_archE1100ELNS1_3gpuE3ELNS1_3repE0EEENS1_30default_config_static_selectorELNS0_4arch9wavefront6targetE1EEEvT1_,@function
_ZN7rocprim17ROCPRIM_400000_NS6detail17trampoline_kernelINS0_14default_configENS1_29reduce_by_key_config_selectorIN3c104HalfElN6thrust23THRUST_200600_302600_NS4plusIlEEEEZZNS1_33reduce_by_key_impl_wrapped_configILNS1_25lookback_scan_determinismE0ES3_SB_PS6_NS8_17constant_iteratorIiNS8_11use_defaultESG_EENS8_10device_ptrIS6_EENSI_IlEEPmSA_NS8_8equal_toIS6_EEEE10hipError_tPvRmT2_T3_mT4_T5_T6_T7_T8_P12ihipStream_tbENKUlT_T0_E_clISt17integral_constantIbLb1EES14_IbLb0EEEEDaS10_S11_EUlS10_E_NS1_11comp_targetILNS1_3genE9ELNS1_11target_archE1100ELNS1_3gpuE3ELNS1_3repE0EEENS1_30default_config_static_selectorELNS0_4arch9wavefront6targetE1EEEvT1_: ; @_ZN7rocprim17ROCPRIM_400000_NS6detail17trampoline_kernelINS0_14default_configENS1_29reduce_by_key_config_selectorIN3c104HalfElN6thrust23THRUST_200600_302600_NS4plusIlEEEEZZNS1_33reduce_by_key_impl_wrapped_configILNS1_25lookback_scan_determinismE0ES3_SB_PS6_NS8_17constant_iteratorIiNS8_11use_defaultESG_EENS8_10device_ptrIS6_EENSI_IlEEPmSA_NS8_8equal_toIS6_EEEE10hipError_tPvRmT2_T3_mT4_T5_T6_T7_T8_P12ihipStream_tbENKUlT_T0_E_clISt17integral_constantIbLb1EES14_IbLb0EEEEDaS10_S11_EUlS10_E_NS1_11comp_targetILNS1_3genE9ELNS1_11target_archE1100ELNS1_3gpuE3ELNS1_3repE0EEENS1_30default_config_static_selectorELNS0_4arch9wavefront6targetE1EEEvT1_
; %bb.0:
	.section	.rodata,"a",@progbits
	.p2align	6, 0x0
	.amdhsa_kernel _ZN7rocprim17ROCPRIM_400000_NS6detail17trampoline_kernelINS0_14default_configENS1_29reduce_by_key_config_selectorIN3c104HalfElN6thrust23THRUST_200600_302600_NS4plusIlEEEEZZNS1_33reduce_by_key_impl_wrapped_configILNS1_25lookback_scan_determinismE0ES3_SB_PS6_NS8_17constant_iteratorIiNS8_11use_defaultESG_EENS8_10device_ptrIS6_EENSI_IlEEPmSA_NS8_8equal_toIS6_EEEE10hipError_tPvRmT2_T3_mT4_T5_T6_T7_T8_P12ihipStream_tbENKUlT_T0_E_clISt17integral_constantIbLb1EES14_IbLb0EEEEDaS10_S11_EUlS10_E_NS1_11comp_targetILNS1_3genE9ELNS1_11target_archE1100ELNS1_3gpuE3ELNS1_3repE0EEENS1_30default_config_static_selectorELNS0_4arch9wavefront6targetE1EEEvT1_
		.amdhsa_group_segment_fixed_size 0
		.amdhsa_private_segment_fixed_size 0
		.amdhsa_kernarg_size 144
		.amdhsa_user_sgpr_count 6
		.amdhsa_user_sgpr_private_segment_buffer 1
		.amdhsa_user_sgpr_dispatch_ptr 0
		.amdhsa_user_sgpr_queue_ptr 0
		.amdhsa_user_sgpr_kernarg_segment_ptr 1
		.amdhsa_user_sgpr_dispatch_id 0
		.amdhsa_user_sgpr_flat_scratch_init 0
		.amdhsa_user_sgpr_kernarg_preload_length 0
		.amdhsa_user_sgpr_kernarg_preload_offset 0
		.amdhsa_user_sgpr_private_segment_size 0
		.amdhsa_uses_dynamic_stack 0
		.amdhsa_system_sgpr_private_segment_wavefront_offset 0
		.amdhsa_system_sgpr_workgroup_id_x 1
		.amdhsa_system_sgpr_workgroup_id_y 0
		.amdhsa_system_sgpr_workgroup_id_z 0
		.amdhsa_system_sgpr_workgroup_info 0
		.amdhsa_system_vgpr_workitem_id 0
		.amdhsa_next_free_vgpr 1
		.amdhsa_next_free_sgpr 0
		.amdhsa_accum_offset 4
		.amdhsa_reserve_vcc 0
		.amdhsa_reserve_flat_scratch 0
		.amdhsa_float_round_mode_32 0
		.amdhsa_float_round_mode_16_64 0
		.amdhsa_float_denorm_mode_32 3
		.amdhsa_float_denorm_mode_16_64 3
		.amdhsa_dx10_clamp 1
		.amdhsa_ieee_mode 1
		.amdhsa_fp16_overflow 0
		.amdhsa_tg_split 0
		.amdhsa_exception_fp_ieee_invalid_op 0
		.amdhsa_exception_fp_denorm_src 0
		.amdhsa_exception_fp_ieee_div_zero 0
		.amdhsa_exception_fp_ieee_overflow 0
		.amdhsa_exception_fp_ieee_underflow 0
		.amdhsa_exception_fp_ieee_inexact 0
		.amdhsa_exception_int_div_zero 0
	.end_amdhsa_kernel
	.section	.text._ZN7rocprim17ROCPRIM_400000_NS6detail17trampoline_kernelINS0_14default_configENS1_29reduce_by_key_config_selectorIN3c104HalfElN6thrust23THRUST_200600_302600_NS4plusIlEEEEZZNS1_33reduce_by_key_impl_wrapped_configILNS1_25lookback_scan_determinismE0ES3_SB_PS6_NS8_17constant_iteratorIiNS8_11use_defaultESG_EENS8_10device_ptrIS6_EENSI_IlEEPmSA_NS8_8equal_toIS6_EEEE10hipError_tPvRmT2_T3_mT4_T5_T6_T7_T8_P12ihipStream_tbENKUlT_T0_E_clISt17integral_constantIbLb1EES14_IbLb0EEEEDaS10_S11_EUlS10_E_NS1_11comp_targetILNS1_3genE9ELNS1_11target_archE1100ELNS1_3gpuE3ELNS1_3repE0EEENS1_30default_config_static_selectorELNS0_4arch9wavefront6targetE1EEEvT1_,"axG",@progbits,_ZN7rocprim17ROCPRIM_400000_NS6detail17trampoline_kernelINS0_14default_configENS1_29reduce_by_key_config_selectorIN3c104HalfElN6thrust23THRUST_200600_302600_NS4plusIlEEEEZZNS1_33reduce_by_key_impl_wrapped_configILNS1_25lookback_scan_determinismE0ES3_SB_PS6_NS8_17constant_iteratorIiNS8_11use_defaultESG_EENS8_10device_ptrIS6_EENSI_IlEEPmSA_NS8_8equal_toIS6_EEEE10hipError_tPvRmT2_T3_mT4_T5_T6_T7_T8_P12ihipStream_tbENKUlT_T0_E_clISt17integral_constantIbLb1EES14_IbLb0EEEEDaS10_S11_EUlS10_E_NS1_11comp_targetILNS1_3genE9ELNS1_11target_archE1100ELNS1_3gpuE3ELNS1_3repE0EEENS1_30default_config_static_selectorELNS0_4arch9wavefront6targetE1EEEvT1_,comdat
.Lfunc_end2225:
	.size	_ZN7rocprim17ROCPRIM_400000_NS6detail17trampoline_kernelINS0_14default_configENS1_29reduce_by_key_config_selectorIN3c104HalfElN6thrust23THRUST_200600_302600_NS4plusIlEEEEZZNS1_33reduce_by_key_impl_wrapped_configILNS1_25lookback_scan_determinismE0ES3_SB_PS6_NS8_17constant_iteratorIiNS8_11use_defaultESG_EENS8_10device_ptrIS6_EENSI_IlEEPmSA_NS8_8equal_toIS6_EEEE10hipError_tPvRmT2_T3_mT4_T5_T6_T7_T8_P12ihipStream_tbENKUlT_T0_E_clISt17integral_constantIbLb1EES14_IbLb0EEEEDaS10_S11_EUlS10_E_NS1_11comp_targetILNS1_3genE9ELNS1_11target_archE1100ELNS1_3gpuE3ELNS1_3repE0EEENS1_30default_config_static_selectorELNS0_4arch9wavefront6targetE1EEEvT1_, .Lfunc_end2225-_ZN7rocprim17ROCPRIM_400000_NS6detail17trampoline_kernelINS0_14default_configENS1_29reduce_by_key_config_selectorIN3c104HalfElN6thrust23THRUST_200600_302600_NS4plusIlEEEEZZNS1_33reduce_by_key_impl_wrapped_configILNS1_25lookback_scan_determinismE0ES3_SB_PS6_NS8_17constant_iteratorIiNS8_11use_defaultESG_EENS8_10device_ptrIS6_EENSI_IlEEPmSA_NS8_8equal_toIS6_EEEE10hipError_tPvRmT2_T3_mT4_T5_T6_T7_T8_P12ihipStream_tbENKUlT_T0_E_clISt17integral_constantIbLb1EES14_IbLb0EEEEDaS10_S11_EUlS10_E_NS1_11comp_targetILNS1_3genE9ELNS1_11target_archE1100ELNS1_3gpuE3ELNS1_3repE0EEENS1_30default_config_static_selectorELNS0_4arch9wavefront6targetE1EEEvT1_
                                        ; -- End function
	.section	.AMDGPU.csdata,"",@progbits
; Kernel info:
; codeLenInByte = 0
; NumSgprs: 4
; NumVgprs: 0
; NumAgprs: 0
; TotalNumVgprs: 0
; ScratchSize: 0
; MemoryBound: 0
; FloatMode: 240
; IeeeMode: 1
; LDSByteSize: 0 bytes/workgroup (compile time only)
; SGPRBlocks: 0
; VGPRBlocks: 0
; NumSGPRsForWavesPerEU: 4
; NumVGPRsForWavesPerEU: 1
; AccumOffset: 4
; Occupancy: 8
; WaveLimiterHint : 0
; COMPUTE_PGM_RSRC2:SCRATCH_EN: 0
; COMPUTE_PGM_RSRC2:USER_SGPR: 6
; COMPUTE_PGM_RSRC2:TRAP_HANDLER: 0
; COMPUTE_PGM_RSRC2:TGID_X_EN: 1
; COMPUTE_PGM_RSRC2:TGID_Y_EN: 0
; COMPUTE_PGM_RSRC2:TGID_Z_EN: 0
; COMPUTE_PGM_RSRC2:TIDIG_COMP_CNT: 0
; COMPUTE_PGM_RSRC3_GFX90A:ACCUM_OFFSET: 0
; COMPUTE_PGM_RSRC3_GFX90A:TG_SPLIT: 0
	.section	.text._ZN7rocprim17ROCPRIM_400000_NS6detail17trampoline_kernelINS0_14default_configENS1_29reduce_by_key_config_selectorIN3c104HalfElN6thrust23THRUST_200600_302600_NS4plusIlEEEEZZNS1_33reduce_by_key_impl_wrapped_configILNS1_25lookback_scan_determinismE0ES3_SB_PS6_NS8_17constant_iteratorIiNS8_11use_defaultESG_EENS8_10device_ptrIS6_EENSI_IlEEPmSA_NS8_8equal_toIS6_EEEE10hipError_tPvRmT2_T3_mT4_T5_T6_T7_T8_P12ihipStream_tbENKUlT_T0_E_clISt17integral_constantIbLb1EES14_IbLb0EEEEDaS10_S11_EUlS10_E_NS1_11comp_targetILNS1_3genE8ELNS1_11target_archE1030ELNS1_3gpuE2ELNS1_3repE0EEENS1_30default_config_static_selectorELNS0_4arch9wavefront6targetE1EEEvT1_,"axG",@progbits,_ZN7rocprim17ROCPRIM_400000_NS6detail17trampoline_kernelINS0_14default_configENS1_29reduce_by_key_config_selectorIN3c104HalfElN6thrust23THRUST_200600_302600_NS4plusIlEEEEZZNS1_33reduce_by_key_impl_wrapped_configILNS1_25lookback_scan_determinismE0ES3_SB_PS6_NS8_17constant_iteratorIiNS8_11use_defaultESG_EENS8_10device_ptrIS6_EENSI_IlEEPmSA_NS8_8equal_toIS6_EEEE10hipError_tPvRmT2_T3_mT4_T5_T6_T7_T8_P12ihipStream_tbENKUlT_T0_E_clISt17integral_constantIbLb1EES14_IbLb0EEEEDaS10_S11_EUlS10_E_NS1_11comp_targetILNS1_3genE8ELNS1_11target_archE1030ELNS1_3gpuE2ELNS1_3repE0EEENS1_30default_config_static_selectorELNS0_4arch9wavefront6targetE1EEEvT1_,comdat
	.protected	_ZN7rocprim17ROCPRIM_400000_NS6detail17trampoline_kernelINS0_14default_configENS1_29reduce_by_key_config_selectorIN3c104HalfElN6thrust23THRUST_200600_302600_NS4plusIlEEEEZZNS1_33reduce_by_key_impl_wrapped_configILNS1_25lookback_scan_determinismE0ES3_SB_PS6_NS8_17constant_iteratorIiNS8_11use_defaultESG_EENS8_10device_ptrIS6_EENSI_IlEEPmSA_NS8_8equal_toIS6_EEEE10hipError_tPvRmT2_T3_mT4_T5_T6_T7_T8_P12ihipStream_tbENKUlT_T0_E_clISt17integral_constantIbLb1EES14_IbLb0EEEEDaS10_S11_EUlS10_E_NS1_11comp_targetILNS1_3genE8ELNS1_11target_archE1030ELNS1_3gpuE2ELNS1_3repE0EEENS1_30default_config_static_selectorELNS0_4arch9wavefront6targetE1EEEvT1_ ; -- Begin function _ZN7rocprim17ROCPRIM_400000_NS6detail17trampoline_kernelINS0_14default_configENS1_29reduce_by_key_config_selectorIN3c104HalfElN6thrust23THRUST_200600_302600_NS4plusIlEEEEZZNS1_33reduce_by_key_impl_wrapped_configILNS1_25lookback_scan_determinismE0ES3_SB_PS6_NS8_17constant_iteratorIiNS8_11use_defaultESG_EENS8_10device_ptrIS6_EENSI_IlEEPmSA_NS8_8equal_toIS6_EEEE10hipError_tPvRmT2_T3_mT4_T5_T6_T7_T8_P12ihipStream_tbENKUlT_T0_E_clISt17integral_constantIbLb1EES14_IbLb0EEEEDaS10_S11_EUlS10_E_NS1_11comp_targetILNS1_3genE8ELNS1_11target_archE1030ELNS1_3gpuE2ELNS1_3repE0EEENS1_30default_config_static_selectorELNS0_4arch9wavefront6targetE1EEEvT1_
	.globl	_ZN7rocprim17ROCPRIM_400000_NS6detail17trampoline_kernelINS0_14default_configENS1_29reduce_by_key_config_selectorIN3c104HalfElN6thrust23THRUST_200600_302600_NS4plusIlEEEEZZNS1_33reduce_by_key_impl_wrapped_configILNS1_25lookback_scan_determinismE0ES3_SB_PS6_NS8_17constant_iteratorIiNS8_11use_defaultESG_EENS8_10device_ptrIS6_EENSI_IlEEPmSA_NS8_8equal_toIS6_EEEE10hipError_tPvRmT2_T3_mT4_T5_T6_T7_T8_P12ihipStream_tbENKUlT_T0_E_clISt17integral_constantIbLb1EES14_IbLb0EEEEDaS10_S11_EUlS10_E_NS1_11comp_targetILNS1_3genE8ELNS1_11target_archE1030ELNS1_3gpuE2ELNS1_3repE0EEENS1_30default_config_static_selectorELNS0_4arch9wavefront6targetE1EEEvT1_
	.p2align	8
	.type	_ZN7rocprim17ROCPRIM_400000_NS6detail17trampoline_kernelINS0_14default_configENS1_29reduce_by_key_config_selectorIN3c104HalfElN6thrust23THRUST_200600_302600_NS4plusIlEEEEZZNS1_33reduce_by_key_impl_wrapped_configILNS1_25lookback_scan_determinismE0ES3_SB_PS6_NS8_17constant_iteratorIiNS8_11use_defaultESG_EENS8_10device_ptrIS6_EENSI_IlEEPmSA_NS8_8equal_toIS6_EEEE10hipError_tPvRmT2_T3_mT4_T5_T6_T7_T8_P12ihipStream_tbENKUlT_T0_E_clISt17integral_constantIbLb1EES14_IbLb0EEEEDaS10_S11_EUlS10_E_NS1_11comp_targetILNS1_3genE8ELNS1_11target_archE1030ELNS1_3gpuE2ELNS1_3repE0EEENS1_30default_config_static_selectorELNS0_4arch9wavefront6targetE1EEEvT1_,@function
_ZN7rocprim17ROCPRIM_400000_NS6detail17trampoline_kernelINS0_14default_configENS1_29reduce_by_key_config_selectorIN3c104HalfElN6thrust23THRUST_200600_302600_NS4plusIlEEEEZZNS1_33reduce_by_key_impl_wrapped_configILNS1_25lookback_scan_determinismE0ES3_SB_PS6_NS8_17constant_iteratorIiNS8_11use_defaultESG_EENS8_10device_ptrIS6_EENSI_IlEEPmSA_NS8_8equal_toIS6_EEEE10hipError_tPvRmT2_T3_mT4_T5_T6_T7_T8_P12ihipStream_tbENKUlT_T0_E_clISt17integral_constantIbLb1EES14_IbLb0EEEEDaS10_S11_EUlS10_E_NS1_11comp_targetILNS1_3genE8ELNS1_11target_archE1030ELNS1_3gpuE2ELNS1_3repE0EEENS1_30default_config_static_selectorELNS0_4arch9wavefront6targetE1EEEvT1_: ; @_ZN7rocprim17ROCPRIM_400000_NS6detail17trampoline_kernelINS0_14default_configENS1_29reduce_by_key_config_selectorIN3c104HalfElN6thrust23THRUST_200600_302600_NS4plusIlEEEEZZNS1_33reduce_by_key_impl_wrapped_configILNS1_25lookback_scan_determinismE0ES3_SB_PS6_NS8_17constant_iteratorIiNS8_11use_defaultESG_EENS8_10device_ptrIS6_EENSI_IlEEPmSA_NS8_8equal_toIS6_EEEE10hipError_tPvRmT2_T3_mT4_T5_T6_T7_T8_P12ihipStream_tbENKUlT_T0_E_clISt17integral_constantIbLb1EES14_IbLb0EEEEDaS10_S11_EUlS10_E_NS1_11comp_targetILNS1_3genE8ELNS1_11target_archE1030ELNS1_3gpuE2ELNS1_3repE0EEENS1_30default_config_static_selectorELNS0_4arch9wavefront6targetE1EEEvT1_
; %bb.0:
	.section	.rodata,"a",@progbits
	.p2align	6, 0x0
	.amdhsa_kernel _ZN7rocprim17ROCPRIM_400000_NS6detail17trampoline_kernelINS0_14default_configENS1_29reduce_by_key_config_selectorIN3c104HalfElN6thrust23THRUST_200600_302600_NS4plusIlEEEEZZNS1_33reduce_by_key_impl_wrapped_configILNS1_25lookback_scan_determinismE0ES3_SB_PS6_NS8_17constant_iteratorIiNS8_11use_defaultESG_EENS8_10device_ptrIS6_EENSI_IlEEPmSA_NS8_8equal_toIS6_EEEE10hipError_tPvRmT2_T3_mT4_T5_T6_T7_T8_P12ihipStream_tbENKUlT_T0_E_clISt17integral_constantIbLb1EES14_IbLb0EEEEDaS10_S11_EUlS10_E_NS1_11comp_targetILNS1_3genE8ELNS1_11target_archE1030ELNS1_3gpuE2ELNS1_3repE0EEENS1_30default_config_static_selectorELNS0_4arch9wavefront6targetE1EEEvT1_
		.amdhsa_group_segment_fixed_size 0
		.amdhsa_private_segment_fixed_size 0
		.amdhsa_kernarg_size 144
		.amdhsa_user_sgpr_count 6
		.amdhsa_user_sgpr_private_segment_buffer 1
		.amdhsa_user_sgpr_dispatch_ptr 0
		.amdhsa_user_sgpr_queue_ptr 0
		.amdhsa_user_sgpr_kernarg_segment_ptr 1
		.amdhsa_user_sgpr_dispatch_id 0
		.amdhsa_user_sgpr_flat_scratch_init 0
		.amdhsa_user_sgpr_kernarg_preload_length 0
		.amdhsa_user_sgpr_kernarg_preload_offset 0
		.amdhsa_user_sgpr_private_segment_size 0
		.amdhsa_uses_dynamic_stack 0
		.amdhsa_system_sgpr_private_segment_wavefront_offset 0
		.amdhsa_system_sgpr_workgroup_id_x 1
		.amdhsa_system_sgpr_workgroup_id_y 0
		.amdhsa_system_sgpr_workgroup_id_z 0
		.amdhsa_system_sgpr_workgroup_info 0
		.amdhsa_system_vgpr_workitem_id 0
		.amdhsa_next_free_vgpr 1
		.amdhsa_next_free_sgpr 0
		.amdhsa_accum_offset 4
		.amdhsa_reserve_vcc 0
		.amdhsa_reserve_flat_scratch 0
		.amdhsa_float_round_mode_32 0
		.amdhsa_float_round_mode_16_64 0
		.amdhsa_float_denorm_mode_32 3
		.amdhsa_float_denorm_mode_16_64 3
		.amdhsa_dx10_clamp 1
		.amdhsa_ieee_mode 1
		.amdhsa_fp16_overflow 0
		.amdhsa_tg_split 0
		.amdhsa_exception_fp_ieee_invalid_op 0
		.amdhsa_exception_fp_denorm_src 0
		.amdhsa_exception_fp_ieee_div_zero 0
		.amdhsa_exception_fp_ieee_overflow 0
		.amdhsa_exception_fp_ieee_underflow 0
		.amdhsa_exception_fp_ieee_inexact 0
		.amdhsa_exception_int_div_zero 0
	.end_amdhsa_kernel
	.section	.text._ZN7rocprim17ROCPRIM_400000_NS6detail17trampoline_kernelINS0_14default_configENS1_29reduce_by_key_config_selectorIN3c104HalfElN6thrust23THRUST_200600_302600_NS4plusIlEEEEZZNS1_33reduce_by_key_impl_wrapped_configILNS1_25lookback_scan_determinismE0ES3_SB_PS6_NS8_17constant_iteratorIiNS8_11use_defaultESG_EENS8_10device_ptrIS6_EENSI_IlEEPmSA_NS8_8equal_toIS6_EEEE10hipError_tPvRmT2_T3_mT4_T5_T6_T7_T8_P12ihipStream_tbENKUlT_T0_E_clISt17integral_constantIbLb1EES14_IbLb0EEEEDaS10_S11_EUlS10_E_NS1_11comp_targetILNS1_3genE8ELNS1_11target_archE1030ELNS1_3gpuE2ELNS1_3repE0EEENS1_30default_config_static_selectorELNS0_4arch9wavefront6targetE1EEEvT1_,"axG",@progbits,_ZN7rocprim17ROCPRIM_400000_NS6detail17trampoline_kernelINS0_14default_configENS1_29reduce_by_key_config_selectorIN3c104HalfElN6thrust23THRUST_200600_302600_NS4plusIlEEEEZZNS1_33reduce_by_key_impl_wrapped_configILNS1_25lookback_scan_determinismE0ES3_SB_PS6_NS8_17constant_iteratorIiNS8_11use_defaultESG_EENS8_10device_ptrIS6_EENSI_IlEEPmSA_NS8_8equal_toIS6_EEEE10hipError_tPvRmT2_T3_mT4_T5_T6_T7_T8_P12ihipStream_tbENKUlT_T0_E_clISt17integral_constantIbLb1EES14_IbLb0EEEEDaS10_S11_EUlS10_E_NS1_11comp_targetILNS1_3genE8ELNS1_11target_archE1030ELNS1_3gpuE2ELNS1_3repE0EEENS1_30default_config_static_selectorELNS0_4arch9wavefront6targetE1EEEvT1_,comdat
.Lfunc_end2226:
	.size	_ZN7rocprim17ROCPRIM_400000_NS6detail17trampoline_kernelINS0_14default_configENS1_29reduce_by_key_config_selectorIN3c104HalfElN6thrust23THRUST_200600_302600_NS4plusIlEEEEZZNS1_33reduce_by_key_impl_wrapped_configILNS1_25lookback_scan_determinismE0ES3_SB_PS6_NS8_17constant_iteratorIiNS8_11use_defaultESG_EENS8_10device_ptrIS6_EENSI_IlEEPmSA_NS8_8equal_toIS6_EEEE10hipError_tPvRmT2_T3_mT4_T5_T6_T7_T8_P12ihipStream_tbENKUlT_T0_E_clISt17integral_constantIbLb1EES14_IbLb0EEEEDaS10_S11_EUlS10_E_NS1_11comp_targetILNS1_3genE8ELNS1_11target_archE1030ELNS1_3gpuE2ELNS1_3repE0EEENS1_30default_config_static_selectorELNS0_4arch9wavefront6targetE1EEEvT1_, .Lfunc_end2226-_ZN7rocprim17ROCPRIM_400000_NS6detail17trampoline_kernelINS0_14default_configENS1_29reduce_by_key_config_selectorIN3c104HalfElN6thrust23THRUST_200600_302600_NS4plusIlEEEEZZNS1_33reduce_by_key_impl_wrapped_configILNS1_25lookback_scan_determinismE0ES3_SB_PS6_NS8_17constant_iteratorIiNS8_11use_defaultESG_EENS8_10device_ptrIS6_EENSI_IlEEPmSA_NS8_8equal_toIS6_EEEE10hipError_tPvRmT2_T3_mT4_T5_T6_T7_T8_P12ihipStream_tbENKUlT_T0_E_clISt17integral_constantIbLb1EES14_IbLb0EEEEDaS10_S11_EUlS10_E_NS1_11comp_targetILNS1_3genE8ELNS1_11target_archE1030ELNS1_3gpuE2ELNS1_3repE0EEENS1_30default_config_static_selectorELNS0_4arch9wavefront6targetE1EEEvT1_
                                        ; -- End function
	.section	.AMDGPU.csdata,"",@progbits
; Kernel info:
; codeLenInByte = 0
; NumSgprs: 4
; NumVgprs: 0
; NumAgprs: 0
; TotalNumVgprs: 0
; ScratchSize: 0
; MemoryBound: 0
; FloatMode: 240
; IeeeMode: 1
; LDSByteSize: 0 bytes/workgroup (compile time only)
; SGPRBlocks: 0
; VGPRBlocks: 0
; NumSGPRsForWavesPerEU: 4
; NumVGPRsForWavesPerEU: 1
; AccumOffset: 4
; Occupancy: 8
; WaveLimiterHint : 0
; COMPUTE_PGM_RSRC2:SCRATCH_EN: 0
; COMPUTE_PGM_RSRC2:USER_SGPR: 6
; COMPUTE_PGM_RSRC2:TRAP_HANDLER: 0
; COMPUTE_PGM_RSRC2:TGID_X_EN: 1
; COMPUTE_PGM_RSRC2:TGID_Y_EN: 0
; COMPUTE_PGM_RSRC2:TGID_Z_EN: 0
; COMPUTE_PGM_RSRC2:TIDIG_COMP_CNT: 0
; COMPUTE_PGM_RSRC3_GFX90A:ACCUM_OFFSET: 0
; COMPUTE_PGM_RSRC3_GFX90A:TG_SPLIT: 0
	.section	.text._ZN7rocprim17ROCPRIM_400000_NS6detail17trampoline_kernelINS0_14default_configENS1_29reduce_by_key_config_selectorIN3c104HalfElN6thrust23THRUST_200600_302600_NS4plusIlEEEEZZNS1_33reduce_by_key_impl_wrapped_configILNS1_25lookback_scan_determinismE0ES3_SB_PS6_NS8_17constant_iteratorIiNS8_11use_defaultESG_EENS8_10device_ptrIS6_EENSI_IlEEPmSA_NS8_8equal_toIS6_EEEE10hipError_tPvRmT2_T3_mT4_T5_T6_T7_T8_P12ihipStream_tbENKUlT_T0_E_clISt17integral_constantIbLb0EES14_IbLb1EEEEDaS10_S11_EUlS10_E_NS1_11comp_targetILNS1_3genE0ELNS1_11target_archE4294967295ELNS1_3gpuE0ELNS1_3repE0EEENS1_30default_config_static_selectorELNS0_4arch9wavefront6targetE1EEEvT1_,"axG",@progbits,_ZN7rocprim17ROCPRIM_400000_NS6detail17trampoline_kernelINS0_14default_configENS1_29reduce_by_key_config_selectorIN3c104HalfElN6thrust23THRUST_200600_302600_NS4plusIlEEEEZZNS1_33reduce_by_key_impl_wrapped_configILNS1_25lookback_scan_determinismE0ES3_SB_PS6_NS8_17constant_iteratorIiNS8_11use_defaultESG_EENS8_10device_ptrIS6_EENSI_IlEEPmSA_NS8_8equal_toIS6_EEEE10hipError_tPvRmT2_T3_mT4_T5_T6_T7_T8_P12ihipStream_tbENKUlT_T0_E_clISt17integral_constantIbLb0EES14_IbLb1EEEEDaS10_S11_EUlS10_E_NS1_11comp_targetILNS1_3genE0ELNS1_11target_archE4294967295ELNS1_3gpuE0ELNS1_3repE0EEENS1_30default_config_static_selectorELNS0_4arch9wavefront6targetE1EEEvT1_,comdat
	.protected	_ZN7rocprim17ROCPRIM_400000_NS6detail17trampoline_kernelINS0_14default_configENS1_29reduce_by_key_config_selectorIN3c104HalfElN6thrust23THRUST_200600_302600_NS4plusIlEEEEZZNS1_33reduce_by_key_impl_wrapped_configILNS1_25lookback_scan_determinismE0ES3_SB_PS6_NS8_17constant_iteratorIiNS8_11use_defaultESG_EENS8_10device_ptrIS6_EENSI_IlEEPmSA_NS8_8equal_toIS6_EEEE10hipError_tPvRmT2_T3_mT4_T5_T6_T7_T8_P12ihipStream_tbENKUlT_T0_E_clISt17integral_constantIbLb0EES14_IbLb1EEEEDaS10_S11_EUlS10_E_NS1_11comp_targetILNS1_3genE0ELNS1_11target_archE4294967295ELNS1_3gpuE0ELNS1_3repE0EEENS1_30default_config_static_selectorELNS0_4arch9wavefront6targetE1EEEvT1_ ; -- Begin function _ZN7rocprim17ROCPRIM_400000_NS6detail17trampoline_kernelINS0_14default_configENS1_29reduce_by_key_config_selectorIN3c104HalfElN6thrust23THRUST_200600_302600_NS4plusIlEEEEZZNS1_33reduce_by_key_impl_wrapped_configILNS1_25lookback_scan_determinismE0ES3_SB_PS6_NS8_17constant_iteratorIiNS8_11use_defaultESG_EENS8_10device_ptrIS6_EENSI_IlEEPmSA_NS8_8equal_toIS6_EEEE10hipError_tPvRmT2_T3_mT4_T5_T6_T7_T8_P12ihipStream_tbENKUlT_T0_E_clISt17integral_constantIbLb0EES14_IbLb1EEEEDaS10_S11_EUlS10_E_NS1_11comp_targetILNS1_3genE0ELNS1_11target_archE4294967295ELNS1_3gpuE0ELNS1_3repE0EEENS1_30default_config_static_selectorELNS0_4arch9wavefront6targetE1EEEvT1_
	.globl	_ZN7rocprim17ROCPRIM_400000_NS6detail17trampoline_kernelINS0_14default_configENS1_29reduce_by_key_config_selectorIN3c104HalfElN6thrust23THRUST_200600_302600_NS4plusIlEEEEZZNS1_33reduce_by_key_impl_wrapped_configILNS1_25lookback_scan_determinismE0ES3_SB_PS6_NS8_17constant_iteratorIiNS8_11use_defaultESG_EENS8_10device_ptrIS6_EENSI_IlEEPmSA_NS8_8equal_toIS6_EEEE10hipError_tPvRmT2_T3_mT4_T5_T6_T7_T8_P12ihipStream_tbENKUlT_T0_E_clISt17integral_constantIbLb0EES14_IbLb1EEEEDaS10_S11_EUlS10_E_NS1_11comp_targetILNS1_3genE0ELNS1_11target_archE4294967295ELNS1_3gpuE0ELNS1_3repE0EEENS1_30default_config_static_selectorELNS0_4arch9wavefront6targetE1EEEvT1_
	.p2align	8
	.type	_ZN7rocprim17ROCPRIM_400000_NS6detail17trampoline_kernelINS0_14default_configENS1_29reduce_by_key_config_selectorIN3c104HalfElN6thrust23THRUST_200600_302600_NS4plusIlEEEEZZNS1_33reduce_by_key_impl_wrapped_configILNS1_25lookback_scan_determinismE0ES3_SB_PS6_NS8_17constant_iteratorIiNS8_11use_defaultESG_EENS8_10device_ptrIS6_EENSI_IlEEPmSA_NS8_8equal_toIS6_EEEE10hipError_tPvRmT2_T3_mT4_T5_T6_T7_T8_P12ihipStream_tbENKUlT_T0_E_clISt17integral_constantIbLb0EES14_IbLb1EEEEDaS10_S11_EUlS10_E_NS1_11comp_targetILNS1_3genE0ELNS1_11target_archE4294967295ELNS1_3gpuE0ELNS1_3repE0EEENS1_30default_config_static_selectorELNS0_4arch9wavefront6targetE1EEEvT1_,@function
_ZN7rocprim17ROCPRIM_400000_NS6detail17trampoline_kernelINS0_14default_configENS1_29reduce_by_key_config_selectorIN3c104HalfElN6thrust23THRUST_200600_302600_NS4plusIlEEEEZZNS1_33reduce_by_key_impl_wrapped_configILNS1_25lookback_scan_determinismE0ES3_SB_PS6_NS8_17constant_iteratorIiNS8_11use_defaultESG_EENS8_10device_ptrIS6_EENSI_IlEEPmSA_NS8_8equal_toIS6_EEEE10hipError_tPvRmT2_T3_mT4_T5_T6_T7_T8_P12ihipStream_tbENKUlT_T0_E_clISt17integral_constantIbLb0EES14_IbLb1EEEEDaS10_S11_EUlS10_E_NS1_11comp_targetILNS1_3genE0ELNS1_11target_archE4294967295ELNS1_3gpuE0ELNS1_3repE0EEENS1_30default_config_static_selectorELNS0_4arch9wavefront6targetE1EEEvT1_: ; @_ZN7rocprim17ROCPRIM_400000_NS6detail17trampoline_kernelINS0_14default_configENS1_29reduce_by_key_config_selectorIN3c104HalfElN6thrust23THRUST_200600_302600_NS4plusIlEEEEZZNS1_33reduce_by_key_impl_wrapped_configILNS1_25lookback_scan_determinismE0ES3_SB_PS6_NS8_17constant_iteratorIiNS8_11use_defaultESG_EENS8_10device_ptrIS6_EENSI_IlEEPmSA_NS8_8equal_toIS6_EEEE10hipError_tPvRmT2_T3_mT4_T5_T6_T7_T8_P12ihipStream_tbENKUlT_T0_E_clISt17integral_constantIbLb0EES14_IbLb1EEEEDaS10_S11_EUlS10_E_NS1_11comp_targetILNS1_3genE0ELNS1_11target_archE4294967295ELNS1_3gpuE0ELNS1_3repE0EEENS1_30default_config_static_selectorELNS0_4arch9wavefront6targetE1EEEvT1_
; %bb.0:
	.section	.rodata,"a",@progbits
	.p2align	6, 0x0
	.amdhsa_kernel _ZN7rocprim17ROCPRIM_400000_NS6detail17trampoline_kernelINS0_14default_configENS1_29reduce_by_key_config_selectorIN3c104HalfElN6thrust23THRUST_200600_302600_NS4plusIlEEEEZZNS1_33reduce_by_key_impl_wrapped_configILNS1_25lookback_scan_determinismE0ES3_SB_PS6_NS8_17constant_iteratorIiNS8_11use_defaultESG_EENS8_10device_ptrIS6_EENSI_IlEEPmSA_NS8_8equal_toIS6_EEEE10hipError_tPvRmT2_T3_mT4_T5_T6_T7_T8_P12ihipStream_tbENKUlT_T0_E_clISt17integral_constantIbLb0EES14_IbLb1EEEEDaS10_S11_EUlS10_E_NS1_11comp_targetILNS1_3genE0ELNS1_11target_archE4294967295ELNS1_3gpuE0ELNS1_3repE0EEENS1_30default_config_static_selectorELNS0_4arch9wavefront6targetE1EEEvT1_
		.amdhsa_group_segment_fixed_size 0
		.amdhsa_private_segment_fixed_size 0
		.amdhsa_kernarg_size 144
		.amdhsa_user_sgpr_count 6
		.amdhsa_user_sgpr_private_segment_buffer 1
		.amdhsa_user_sgpr_dispatch_ptr 0
		.amdhsa_user_sgpr_queue_ptr 0
		.amdhsa_user_sgpr_kernarg_segment_ptr 1
		.amdhsa_user_sgpr_dispatch_id 0
		.amdhsa_user_sgpr_flat_scratch_init 0
		.amdhsa_user_sgpr_kernarg_preload_length 0
		.amdhsa_user_sgpr_kernarg_preload_offset 0
		.amdhsa_user_sgpr_private_segment_size 0
		.amdhsa_uses_dynamic_stack 0
		.amdhsa_system_sgpr_private_segment_wavefront_offset 0
		.amdhsa_system_sgpr_workgroup_id_x 1
		.amdhsa_system_sgpr_workgroup_id_y 0
		.amdhsa_system_sgpr_workgroup_id_z 0
		.amdhsa_system_sgpr_workgroup_info 0
		.amdhsa_system_vgpr_workitem_id 0
		.amdhsa_next_free_vgpr 1
		.amdhsa_next_free_sgpr 0
		.amdhsa_accum_offset 4
		.amdhsa_reserve_vcc 0
		.amdhsa_reserve_flat_scratch 0
		.amdhsa_float_round_mode_32 0
		.amdhsa_float_round_mode_16_64 0
		.amdhsa_float_denorm_mode_32 3
		.amdhsa_float_denorm_mode_16_64 3
		.amdhsa_dx10_clamp 1
		.amdhsa_ieee_mode 1
		.amdhsa_fp16_overflow 0
		.amdhsa_tg_split 0
		.amdhsa_exception_fp_ieee_invalid_op 0
		.amdhsa_exception_fp_denorm_src 0
		.amdhsa_exception_fp_ieee_div_zero 0
		.amdhsa_exception_fp_ieee_overflow 0
		.amdhsa_exception_fp_ieee_underflow 0
		.amdhsa_exception_fp_ieee_inexact 0
		.amdhsa_exception_int_div_zero 0
	.end_amdhsa_kernel
	.section	.text._ZN7rocprim17ROCPRIM_400000_NS6detail17trampoline_kernelINS0_14default_configENS1_29reduce_by_key_config_selectorIN3c104HalfElN6thrust23THRUST_200600_302600_NS4plusIlEEEEZZNS1_33reduce_by_key_impl_wrapped_configILNS1_25lookback_scan_determinismE0ES3_SB_PS6_NS8_17constant_iteratorIiNS8_11use_defaultESG_EENS8_10device_ptrIS6_EENSI_IlEEPmSA_NS8_8equal_toIS6_EEEE10hipError_tPvRmT2_T3_mT4_T5_T6_T7_T8_P12ihipStream_tbENKUlT_T0_E_clISt17integral_constantIbLb0EES14_IbLb1EEEEDaS10_S11_EUlS10_E_NS1_11comp_targetILNS1_3genE0ELNS1_11target_archE4294967295ELNS1_3gpuE0ELNS1_3repE0EEENS1_30default_config_static_selectorELNS0_4arch9wavefront6targetE1EEEvT1_,"axG",@progbits,_ZN7rocprim17ROCPRIM_400000_NS6detail17trampoline_kernelINS0_14default_configENS1_29reduce_by_key_config_selectorIN3c104HalfElN6thrust23THRUST_200600_302600_NS4plusIlEEEEZZNS1_33reduce_by_key_impl_wrapped_configILNS1_25lookback_scan_determinismE0ES3_SB_PS6_NS8_17constant_iteratorIiNS8_11use_defaultESG_EENS8_10device_ptrIS6_EENSI_IlEEPmSA_NS8_8equal_toIS6_EEEE10hipError_tPvRmT2_T3_mT4_T5_T6_T7_T8_P12ihipStream_tbENKUlT_T0_E_clISt17integral_constantIbLb0EES14_IbLb1EEEEDaS10_S11_EUlS10_E_NS1_11comp_targetILNS1_3genE0ELNS1_11target_archE4294967295ELNS1_3gpuE0ELNS1_3repE0EEENS1_30default_config_static_selectorELNS0_4arch9wavefront6targetE1EEEvT1_,comdat
.Lfunc_end2227:
	.size	_ZN7rocprim17ROCPRIM_400000_NS6detail17trampoline_kernelINS0_14default_configENS1_29reduce_by_key_config_selectorIN3c104HalfElN6thrust23THRUST_200600_302600_NS4plusIlEEEEZZNS1_33reduce_by_key_impl_wrapped_configILNS1_25lookback_scan_determinismE0ES3_SB_PS6_NS8_17constant_iteratorIiNS8_11use_defaultESG_EENS8_10device_ptrIS6_EENSI_IlEEPmSA_NS8_8equal_toIS6_EEEE10hipError_tPvRmT2_T3_mT4_T5_T6_T7_T8_P12ihipStream_tbENKUlT_T0_E_clISt17integral_constantIbLb0EES14_IbLb1EEEEDaS10_S11_EUlS10_E_NS1_11comp_targetILNS1_3genE0ELNS1_11target_archE4294967295ELNS1_3gpuE0ELNS1_3repE0EEENS1_30default_config_static_selectorELNS0_4arch9wavefront6targetE1EEEvT1_, .Lfunc_end2227-_ZN7rocprim17ROCPRIM_400000_NS6detail17trampoline_kernelINS0_14default_configENS1_29reduce_by_key_config_selectorIN3c104HalfElN6thrust23THRUST_200600_302600_NS4plusIlEEEEZZNS1_33reduce_by_key_impl_wrapped_configILNS1_25lookback_scan_determinismE0ES3_SB_PS6_NS8_17constant_iteratorIiNS8_11use_defaultESG_EENS8_10device_ptrIS6_EENSI_IlEEPmSA_NS8_8equal_toIS6_EEEE10hipError_tPvRmT2_T3_mT4_T5_T6_T7_T8_P12ihipStream_tbENKUlT_T0_E_clISt17integral_constantIbLb0EES14_IbLb1EEEEDaS10_S11_EUlS10_E_NS1_11comp_targetILNS1_3genE0ELNS1_11target_archE4294967295ELNS1_3gpuE0ELNS1_3repE0EEENS1_30default_config_static_selectorELNS0_4arch9wavefront6targetE1EEEvT1_
                                        ; -- End function
	.section	.AMDGPU.csdata,"",@progbits
; Kernel info:
; codeLenInByte = 0
; NumSgprs: 4
; NumVgprs: 0
; NumAgprs: 0
; TotalNumVgprs: 0
; ScratchSize: 0
; MemoryBound: 0
; FloatMode: 240
; IeeeMode: 1
; LDSByteSize: 0 bytes/workgroup (compile time only)
; SGPRBlocks: 0
; VGPRBlocks: 0
; NumSGPRsForWavesPerEU: 4
; NumVGPRsForWavesPerEU: 1
; AccumOffset: 4
; Occupancy: 8
; WaveLimiterHint : 0
; COMPUTE_PGM_RSRC2:SCRATCH_EN: 0
; COMPUTE_PGM_RSRC2:USER_SGPR: 6
; COMPUTE_PGM_RSRC2:TRAP_HANDLER: 0
; COMPUTE_PGM_RSRC2:TGID_X_EN: 1
; COMPUTE_PGM_RSRC2:TGID_Y_EN: 0
; COMPUTE_PGM_RSRC2:TGID_Z_EN: 0
; COMPUTE_PGM_RSRC2:TIDIG_COMP_CNT: 0
; COMPUTE_PGM_RSRC3_GFX90A:ACCUM_OFFSET: 0
; COMPUTE_PGM_RSRC3_GFX90A:TG_SPLIT: 0
	.section	.text._ZN7rocprim17ROCPRIM_400000_NS6detail17trampoline_kernelINS0_14default_configENS1_29reduce_by_key_config_selectorIN3c104HalfElN6thrust23THRUST_200600_302600_NS4plusIlEEEEZZNS1_33reduce_by_key_impl_wrapped_configILNS1_25lookback_scan_determinismE0ES3_SB_PS6_NS8_17constant_iteratorIiNS8_11use_defaultESG_EENS8_10device_ptrIS6_EENSI_IlEEPmSA_NS8_8equal_toIS6_EEEE10hipError_tPvRmT2_T3_mT4_T5_T6_T7_T8_P12ihipStream_tbENKUlT_T0_E_clISt17integral_constantIbLb0EES14_IbLb1EEEEDaS10_S11_EUlS10_E_NS1_11comp_targetILNS1_3genE5ELNS1_11target_archE942ELNS1_3gpuE9ELNS1_3repE0EEENS1_30default_config_static_selectorELNS0_4arch9wavefront6targetE1EEEvT1_,"axG",@progbits,_ZN7rocprim17ROCPRIM_400000_NS6detail17trampoline_kernelINS0_14default_configENS1_29reduce_by_key_config_selectorIN3c104HalfElN6thrust23THRUST_200600_302600_NS4plusIlEEEEZZNS1_33reduce_by_key_impl_wrapped_configILNS1_25lookback_scan_determinismE0ES3_SB_PS6_NS8_17constant_iteratorIiNS8_11use_defaultESG_EENS8_10device_ptrIS6_EENSI_IlEEPmSA_NS8_8equal_toIS6_EEEE10hipError_tPvRmT2_T3_mT4_T5_T6_T7_T8_P12ihipStream_tbENKUlT_T0_E_clISt17integral_constantIbLb0EES14_IbLb1EEEEDaS10_S11_EUlS10_E_NS1_11comp_targetILNS1_3genE5ELNS1_11target_archE942ELNS1_3gpuE9ELNS1_3repE0EEENS1_30default_config_static_selectorELNS0_4arch9wavefront6targetE1EEEvT1_,comdat
	.protected	_ZN7rocprim17ROCPRIM_400000_NS6detail17trampoline_kernelINS0_14default_configENS1_29reduce_by_key_config_selectorIN3c104HalfElN6thrust23THRUST_200600_302600_NS4plusIlEEEEZZNS1_33reduce_by_key_impl_wrapped_configILNS1_25lookback_scan_determinismE0ES3_SB_PS6_NS8_17constant_iteratorIiNS8_11use_defaultESG_EENS8_10device_ptrIS6_EENSI_IlEEPmSA_NS8_8equal_toIS6_EEEE10hipError_tPvRmT2_T3_mT4_T5_T6_T7_T8_P12ihipStream_tbENKUlT_T0_E_clISt17integral_constantIbLb0EES14_IbLb1EEEEDaS10_S11_EUlS10_E_NS1_11comp_targetILNS1_3genE5ELNS1_11target_archE942ELNS1_3gpuE9ELNS1_3repE0EEENS1_30default_config_static_selectorELNS0_4arch9wavefront6targetE1EEEvT1_ ; -- Begin function _ZN7rocprim17ROCPRIM_400000_NS6detail17trampoline_kernelINS0_14default_configENS1_29reduce_by_key_config_selectorIN3c104HalfElN6thrust23THRUST_200600_302600_NS4plusIlEEEEZZNS1_33reduce_by_key_impl_wrapped_configILNS1_25lookback_scan_determinismE0ES3_SB_PS6_NS8_17constant_iteratorIiNS8_11use_defaultESG_EENS8_10device_ptrIS6_EENSI_IlEEPmSA_NS8_8equal_toIS6_EEEE10hipError_tPvRmT2_T3_mT4_T5_T6_T7_T8_P12ihipStream_tbENKUlT_T0_E_clISt17integral_constantIbLb0EES14_IbLb1EEEEDaS10_S11_EUlS10_E_NS1_11comp_targetILNS1_3genE5ELNS1_11target_archE942ELNS1_3gpuE9ELNS1_3repE0EEENS1_30default_config_static_selectorELNS0_4arch9wavefront6targetE1EEEvT1_
	.globl	_ZN7rocprim17ROCPRIM_400000_NS6detail17trampoline_kernelINS0_14default_configENS1_29reduce_by_key_config_selectorIN3c104HalfElN6thrust23THRUST_200600_302600_NS4plusIlEEEEZZNS1_33reduce_by_key_impl_wrapped_configILNS1_25lookback_scan_determinismE0ES3_SB_PS6_NS8_17constant_iteratorIiNS8_11use_defaultESG_EENS8_10device_ptrIS6_EENSI_IlEEPmSA_NS8_8equal_toIS6_EEEE10hipError_tPvRmT2_T3_mT4_T5_T6_T7_T8_P12ihipStream_tbENKUlT_T0_E_clISt17integral_constantIbLb0EES14_IbLb1EEEEDaS10_S11_EUlS10_E_NS1_11comp_targetILNS1_3genE5ELNS1_11target_archE942ELNS1_3gpuE9ELNS1_3repE0EEENS1_30default_config_static_selectorELNS0_4arch9wavefront6targetE1EEEvT1_
	.p2align	8
	.type	_ZN7rocprim17ROCPRIM_400000_NS6detail17trampoline_kernelINS0_14default_configENS1_29reduce_by_key_config_selectorIN3c104HalfElN6thrust23THRUST_200600_302600_NS4plusIlEEEEZZNS1_33reduce_by_key_impl_wrapped_configILNS1_25lookback_scan_determinismE0ES3_SB_PS6_NS8_17constant_iteratorIiNS8_11use_defaultESG_EENS8_10device_ptrIS6_EENSI_IlEEPmSA_NS8_8equal_toIS6_EEEE10hipError_tPvRmT2_T3_mT4_T5_T6_T7_T8_P12ihipStream_tbENKUlT_T0_E_clISt17integral_constantIbLb0EES14_IbLb1EEEEDaS10_S11_EUlS10_E_NS1_11comp_targetILNS1_3genE5ELNS1_11target_archE942ELNS1_3gpuE9ELNS1_3repE0EEENS1_30default_config_static_selectorELNS0_4arch9wavefront6targetE1EEEvT1_,@function
_ZN7rocprim17ROCPRIM_400000_NS6detail17trampoline_kernelINS0_14default_configENS1_29reduce_by_key_config_selectorIN3c104HalfElN6thrust23THRUST_200600_302600_NS4plusIlEEEEZZNS1_33reduce_by_key_impl_wrapped_configILNS1_25lookback_scan_determinismE0ES3_SB_PS6_NS8_17constant_iteratorIiNS8_11use_defaultESG_EENS8_10device_ptrIS6_EENSI_IlEEPmSA_NS8_8equal_toIS6_EEEE10hipError_tPvRmT2_T3_mT4_T5_T6_T7_T8_P12ihipStream_tbENKUlT_T0_E_clISt17integral_constantIbLb0EES14_IbLb1EEEEDaS10_S11_EUlS10_E_NS1_11comp_targetILNS1_3genE5ELNS1_11target_archE942ELNS1_3gpuE9ELNS1_3repE0EEENS1_30default_config_static_selectorELNS0_4arch9wavefront6targetE1EEEvT1_: ; @_ZN7rocprim17ROCPRIM_400000_NS6detail17trampoline_kernelINS0_14default_configENS1_29reduce_by_key_config_selectorIN3c104HalfElN6thrust23THRUST_200600_302600_NS4plusIlEEEEZZNS1_33reduce_by_key_impl_wrapped_configILNS1_25lookback_scan_determinismE0ES3_SB_PS6_NS8_17constant_iteratorIiNS8_11use_defaultESG_EENS8_10device_ptrIS6_EENSI_IlEEPmSA_NS8_8equal_toIS6_EEEE10hipError_tPvRmT2_T3_mT4_T5_T6_T7_T8_P12ihipStream_tbENKUlT_T0_E_clISt17integral_constantIbLb0EES14_IbLb1EEEEDaS10_S11_EUlS10_E_NS1_11comp_targetILNS1_3genE5ELNS1_11target_archE942ELNS1_3gpuE9ELNS1_3repE0EEENS1_30default_config_static_selectorELNS0_4arch9wavefront6targetE1EEEvT1_
; %bb.0:
	.section	.rodata,"a",@progbits
	.p2align	6, 0x0
	.amdhsa_kernel _ZN7rocprim17ROCPRIM_400000_NS6detail17trampoline_kernelINS0_14default_configENS1_29reduce_by_key_config_selectorIN3c104HalfElN6thrust23THRUST_200600_302600_NS4plusIlEEEEZZNS1_33reduce_by_key_impl_wrapped_configILNS1_25lookback_scan_determinismE0ES3_SB_PS6_NS8_17constant_iteratorIiNS8_11use_defaultESG_EENS8_10device_ptrIS6_EENSI_IlEEPmSA_NS8_8equal_toIS6_EEEE10hipError_tPvRmT2_T3_mT4_T5_T6_T7_T8_P12ihipStream_tbENKUlT_T0_E_clISt17integral_constantIbLb0EES14_IbLb1EEEEDaS10_S11_EUlS10_E_NS1_11comp_targetILNS1_3genE5ELNS1_11target_archE942ELNS1_3gpuE9ELNS1_3repE0EEENS1_30default_config_static_selectorELNS0_4arch9wavefront6targetE1EEEvT1_
		.amdhsa_group_segment_fixed_size 0
		.amdhsa_private_segment_fixed_size 0
		.amdhsa_kernarg_size 144
		.amdhsa_user_sgpr_count 6
		.amdhsa_user_sgpr_private_segment_buffer 1
		.amdhsa_user_sgpr_dispatch_ptr 0
		.amdhsa_user_sgpr_queue_ptr 0
		.amdhsa_user_sgpr_kernarg_segment_ptr 1
		.amdhsa_user_sgpr_dispatch_id 0
		.amdhsa_user_sgpr_flat_scratch_init 0
		.amdhsa_user_sgpr_kernarg_preload_length 0
		.amdhsa_user_sgpr_kernarg_preload_offset 0
		.amdhsa_user_sgpr_private_segment_size 0
		.amdhsa_uses_dynamic_stack 0
		.amdhsa_system_sgpr_private_segment_wavefront_offset 0
		.amdhsa_system_sgpr_workgroup_id_x 1
		.amdhsa_system_sgpr_workgroup_id_y 0
		.amdhsa_system_sgpr_workgroup_id_z 0
		.amdhsa_system_sgpr_workgroup_info 0
		.amdhsa_system_vgpr_workitem_id 0
		.amdhsa_next_free_vgpr 1
		.amdhsa_next_free_sgpr 0
		.amdhsa_accum_offset 4
		.amdhsa_reserve_vcc 0
		.amdhsa_reserve_flat_scratch 0
		.amdhsa_float_round_mode_32 0
		.amdhsa_float_round_mode_16_64 0
		.amdhsa_float_denorm_mode_32 3
		.amdhsa_float_denorm_mode_16_64 3
		.amdhsa_dx10_clamp 1
		.amdhsa_ieee_mode 1
		.amdhsa_fp16_overflow 0
		.amdhsa_tg_split 0
		.amdhsa_exception_fp_ieee_invalid_op 0
		.amdhsa_exception_fp_denorm_src 0
		.amdhsa_exception_fp_ieee_div_zero 0
		.amdhsa_exception_fp_ieee_overflow 0
		.amdhsa_exception_fp_ieee_underflow 0
		.amdhsa_exception_fp_ieee_inexact 0
		.amdhsa_exception_int_div_zero 0
	.end_amdhsa_kernel
	.section	.text._ZN7rocprim17ROCPRIM_400000_NS6detail17trampoline_kernelINS0_14default_configENS1_29reduce_by_key_config_selectorIN3c104HalfElN6thrust23THRUST_200600_302600_NS4plusIlEEEEZZNS1_33reduce_by_key_impl_wrapped_configILNS1_25lookback_scan_determinismE0ES3_SB_PS6_NS8_17constant_iteratorIiNS8_11use_defaultESG_EENS8_10device_ptrIS6_EENSI_IlEEPmSA_NS8_8equal_toIS6_EEEE10hipError_tPvRmT2_T3_mT4_T5_T6_T7_T8_P12ihipStream_tbENKUlT_T0_E_clISt17integral_constantIbLb0EES14_IbLb1EEEEDaS10_S11_EUlS10_E_NS1_11comp_targetILNS1_3genE5ELNS1_11target_archE942ELNS1_3gpuE9ELNS1_3repE0EEENS1_30default_config_static_selectorELNS0_4arch9wavefront6targetE1EEEvT1_,"axG",@progbits,_ZN7rocprim17ROCPRIM_400000_NS6detail17trampoline_kernelINS0_14default_configENS1_29reduce_by_key_config_selectorIN3c104HalfElN6thrust23THRUST_200600_302600_NS4plusIlEEEEZZNS1_33reduce_by_key_impl_wrapped_configILNS1_25lookback_scan_determinismE0ES3_SB_PS6_NS8_17constant_iteratorIiNS8_11use_defaultESG_EENS8_10device_ptrIS6_EENSI_IlEEPmSA_NS8_8equal_toIS6_EEEE10hipError_tPvRmT2_T3_mT4_T5_T6_T7_T8_P12ihipStream_tbENKUlT_T0_E_clISt17integral_constantIbLb0EES14_IbLb1EEEEDaS10_S11_EUlS10_E_NS1_11comp_targetILNS1_3genE5ELNS1_11target_archE942ELNS1_3gpuE9ELNS1_3repE0EEENS1_30default_config_static_selectorELNS0_4arch9wavefront6targetE1EEEvT1_,comdat
.Lfunc_end2228:
	.size	_ZN7rocprim17ROCPRIM_400000_NS6detail17trampoline_kernelINS0_14default_configENS1_29reduce_by_key_config_selectorIN3c104HalfElN6thrust23THRUST_200600_302600_NS4plusIlEEEEZZNS1_33reduce_by_key_impl_wrapped_configILNS1_25lookback_scan_determinismE0ES3_SB_PS6_NS8_17constant_iteratorIiNS8_11use_defaultESG_EENS8_10device_ptrIS6_EENSI_IlEEPmSA_NS8_8equal_toIS6_EEEE10hipError_tPvRmT2_T3_mT4_T5_T6_T7_T8_P12ihipStream_tbENKUlT_T0_E_clISt17integral_constantIbLb0EES14_IbLb1EEEEDaS10_S11_EUlS10_E_NS1_11comp_targetILNS1_3genE5ELNS1_11target_archE942ELNS1_3gpuE9ELNS1_3repE0EEENS1_30default_config_static_selectorELNS0_4arch9wavefront6targetE1EEEvT1_, .Lfunc_end2228-_ZN7rocprim17ROCPRIM_400000_NS6detail17trampoline_kernelINS0_14default_configENS1_29reduce_by_key_config_selectorIN3c104HalfElN6thrust23THRUST_200600_302600_NS4plusIlEEEEZZNS1_33reduce_by_key_impl_wrapped_configILNS1_25lookback_scan_determinismE0ES3_SB_PS6_NS8_17constant_iteratorIiNS8_11use_defaultESG_EENS8_10device_ptrIS6_EENSI_IlEEPmSA_NS8_8equal_toIS6_EEEE10hipError_tPvRmT2_T3_mT4_T5_T6_T7_T8_P12ihipStream_tbENKUlT_T0_E_clISt17integral_constantIbLb0EES14_IbLb1EEEEDaS10_S11_EUlS10_E_NS1_11comp_targetILNS1_3genE5ELNS1_11target_archE942ELNS1_3gpuE9ELNS1_3repE0EEENS1_30default_config_static_selectorELNS0_4arch9wavefront6targetE1EEEvT1_
                                        ; -- End function
	.section	.AMDGPU.csdata,"",@progbits
; Kernel info:
; codeLenInByte = 0
; NumSgprs: 4
; NumVgprs: 0
; NumAgprs: 0
; TotalNumVgprs: 0
; ScratchSize: 0
; MemoryBound: 0
; FloatMode: 240
; IeeeMode: 1
; LDSByteSize: 0 bytes/workgroup (compile time only)
; SGPRBlocks: 0
; VGPRBlocks: 0
; NumSGPRsForWavesPerEU: 4
; NumVGPRsForWavesPerEU: 1
; AccumOffset: 4
; Occupancy: 8
; WaveLimiterHint : 0
; COMPUTE_PGM_RSRC2:SCRATCH_EN: 0
; COMPUTE_PGM_RSRC2:USER_SGPR: 6
; COMPUTE_PGM_RSRC2:TRAP_HANDLER: 0
; COMPUTE_PGM_RSRC2:TGID_X_EN: 1
; COMPUTE_PGM_RSRC2:TGID_Y_EN: 0
; COMPUTE_PGM_RSRC2:TGID_Z_EN: 0
; COMPUTE_PGM_RSRC2:TIDIG_COMP_CNT: 0
; COMPUTE_PGM_RSRC3_GFX90A:ACCUM_OFFSET: 0
; COMPUTE_PGM_RSRC3_GFX90A:TG_SPLIT: 0
	.section	.text._ZN7rocprim17ROCPRIM_400000_NS6detail17trampoline_kernelINS0_14default_configENS1_29reduce_by_key_config_selectorIN3c104HalfElN6thrust23THRUST_200600_302600_NS4plusIlEEEEZZNS1_33reduce_by_key_impl_wrapped_configILNS1_25lookback_scan_determinismE0ES3_SB_PS6_NS8_17constant_iteratorIiNS8_11use_defaultESG_EENS8_10device_ptrIS6_EENSI_IlEEPmSA_NS8_8equal_toIS6_EEEE10hipError_tPvRmT2_T3_mT4_T5_T6_T7_T8_P12ihipStream_tbENKUlT_T0_E_clISt17integral_constantIbLb0EES14_IbLb1EEEEDaS10_S11_EUlS10_E_NS1_11comp_targetILNS1_3genE4ELNS1_11target_archE910ELNS1_3gpuE8ELNS1_3repE0EEENS1_30default_config_static_selectorELNS0_4arch9wavefront6targetE1EEEvT1_,"axG",@progbits,_ZN7rocprim17ROCPRIM_400000_NS6detail17trampoline_kernelINS0_14default_configENS1_29reduce_by_key_config_selectorIN3c104HalfElN6thrust23THRUST_200600_302600_NS4plusIlEEEEZZNS1_33reduce_by_key_impl_wrapped_configILNS1_25lookback_scan_determinismE0ES3_SB_PS6_NS8_17constant_iteratorIiNS8_11use_defaultESG_EENS8_10device_ptrIS6_EENSI_IlEEPmSA_NS8_8equal_toIS6_EEEE10hipError_tPvRmT2_T3_mT4_T5_T6_T7_T8_P12ihipStream_tbENKUlT_T0_E_clISt17integral_constantIbLb0EES14_IbLb1EEEEDaS10_S11_EUlS10_E_NS1_11comp_targetILNS1_3genE4ELNS1_11target_archE910ELNS1_3gpuE8ELNS1_3repE0EEENS1_30default_config_static_selectorELNS0_4arch9wavefront6targetE1EEEvT1_,comdat
	.protected	_ZN7rocprim17ROCPRIM_400000_NS6detail17trampoline_kernelINS0_14default_configENS1_29reduce_by_key_config_selectorIN3c104HalfElN6thrust23THRUST_200600_302600_NS4plusIlEEEEZZNS1_33reduce_by_key_impl_wrapped_configILNS1_25lookback_scan_determinismE0ES3_SB_PS6_NS8_17constant_iteratorIiNS8_11use_defaultESG_EENS8_10device_ptrIS6_EENSI_IlEEPmSA_NS8_8equal_toIS6_EEEE10hipError_tPvRmT2_T3_mT4_T5_T6_T7_T8_P12ihipStream_tbENKUlT_T0_E_clISt17integral_constantIbLb0EES14_IbLb1EEEEDaS10_S11_EUlS10_E_NS1_11comp_targetILNS1_3genE4ELNS1_11target_archE910ELNS1_3gpuE8ELNS1_3repE0EEENS1_30default_config_static_selectorELNS0_4arch9wavefront6targetE1EEEvT1_ ; -- Begin function _ZN7rocprim17ROCPRIM_400000_NS6detail17trampoline_kernelINS0_14default_configENS1_29reduce_by_key_config_selectorIN3c104HalfElN6thrust23THRUST_200600_302600_NS4plusIlEEEEZZNS1_33reduce_by_key_impl_wrapped_configILNS1_25lookback_scan_determinismE0ES3_SB_PS6_NS8_17constant_iteratorIiNS8_11use_defaultESG_EENS8_10device_ptrIS6_EENSI_IlEEPmSA_NS8_8equal_toIS6_EEEE10hipError_tPvRmT2_T3_mT4_T5_T6_T7_T8_P12ihipStream_tbENKUlT_T0_E_clISt17integral_constantIbLb0EES14_IbLb1EEEEDaS10_S11_EUlS10_E_NS1_11comp_targetILNS1_3genE4ELNS1_11target_archE910ELNS1_3gpuE8ELNS1_3repE0EEENS1_30default_config_static_selectorELNS0_4arch9wavefront6targetE1EEEvT1_
	.globl	_ZN7rocprim17ROCPRIM_400000_NS6detail17trampoline_kernelINS0_14default_configENS1_29reduce_by_key_config_selectorIN3c104HalfElN6thrust23THRUST_200600_302600_NS4plusIlEEEEZZNS1_33reduce_by_key_impl_wrapped_configILNS1_25lookback_scan_determinismE0ES3_SB_PS6_NS8_17constant_iteratorIiNS8_11use_defaultESG_EENS8_10device_ptrIS6_EENSI_IlEEPmSA_NS8_8equal_toIS6_EEEE10hipError_tPvRmT2_T3_mT4_T5_T6_T7_T8_P12ihipStream_tbENKUlT_T0_E_clISt17integral_constantIbLb0EES14_IbLb1EEEEDaS10_S11_EUlS10_E_NS1_11comp_targetILNS1_3genE4ELNS1_11target_archE910ELNS1_3gpuE8ELNS1_3repE0EEENS1_30default_config_static_selectorELNS0_4arch9wavefront6targetE1EEEvT1_
	.p2align	8
	.type	_ZN7rocprim17ROCPRIM_400000_NS6detail17trampoline_kernelINS0_14default_configENS1_29reduce_by_key_config_selectorIN3c104HalfElN6thrust23THRUST_200600_302600_NS4plusIlEEEEZZNS1_33reduce_by_key_impl_wrapped_configILNS1_25lookback_scan_determinismE0ES3_SB_PS6_NS8_17constant_iteratorIiNS8_11use_defaultESG_EENS8_10device_ptrIS6_EENSI_IlEEPmSA_NS8_8equal_toIS6_EEEE10hipError_tPvRmT2_T3_mT4_T5_T6_T7_T8_P12ihipStream_tbENKUlT_T0_E_clISt17integral_constantIbLb0EES14_IbLb1EEEEDaS10_S11_EUlS10_E_NS1_11comp_targetILNS1_3genE4ELNS1_11target_archE910ELNS1_3gpuE8ELNS1_3repE0EEENS1_30default_config_static_selectorELNS0_4arch9wavefront6targetE1EEEvT1_,@function
_ZN7rocprim17ROCPRIM_400000_NS6detail17trampoline_kernelINS0_14default_configENS1_29reduce_by_key_config_selectorIN3c104HalfElN6thrust23THRUST_200600_302600_NS4plusIlEEEEZZNS1_33reduce_by_key_impl_wrapped_configILNS1_25lookback_scan_determinismE0ES3_SB_PS6_NS8_17constant_iteratorIiNS8_11use_defaultESG_EENS8_10device_ptrIS6_EENSI_IlEEPmSA_NS8_8equal_toIS6_EEEE10hipError_tPvRmT2_T3_mT4_T5_T6_T7_T8_P12ihipStream_tbENKUlT_T0_E_clISt17integral_constantIbLb0EES14_IbLb1EEEEDaS10_S11_EUlS10_E_NS1_11comp_targetILNS1_3genE4ELNS1_11target_archE910ELNS1_3gpuE8ELNS1_3repE0EEENS1_30default_config_static_selectorELNS0_4arch9wavefront6targetE1EEEvT1_: ; @_ZN7rocprim17ROCPRIM_400000_NS6detail17trampoline_kernelINS0_14default_configENS1_29reduce_by_key_config_selectorIN3c104HalfElN6thrust23THRUST_200600_302600_NS4plusIlEEEEZZNS1_33reduce_by_key_impl_wrapped_configILNS1_25lookback_scan_determinismE0ES3_SB_PS6_NS8_17constant_iteratorIiNS8_11use_defaultESG_EENS8_10device_ptrIS6_EENSI_IlEEPmSA_NS8_8equal_toIS6_EEEE10hipError_tPvRmT2_T3_mT4_T5_T6_T7_T8_P12ihipStream_tbENKUlT_T0_E_clISt17integral_constantIbLb0EES14_IbLb1EEEEDaS10_S11_EUlS10_E_NS1_11comp_targetILNS1_3genE4ELNS1_11target_archE910ELNS1_3gpuE8ELNS1_3repE0EEENS1_30default_config_static_selectorELNS0_4arch9wavefront6targetE1EEEvT1_
; %bb.0:
	s_load_dwordx4 s[52:55], s[4:5], 0x20
	s_load_dwordx2 s[56:57], s[4:5], 0x30
	s_load_dwordx2 s[30:31], s[4:5], 0x80
	v_cmp_ne_u32_e64 s[2:3], 0, v0
	v_cmp_eq_u32_e64 s[0:1], 0, v0
	s_and_saveexec_b64 s[6:7], s[0:1]
	s_cbranch_execz .LBB2229_4
; %bb.1:
	s_mov_b64 s[10:11], exec
	v_mbcnt_lo_u32_b32 v1, s10, 0
	v_mbcnt_hi_u32_b32 v1, s11, v1
	v_cmp_eq_u32_e32 vcc, 0, v1
                                        ; implicit-def: $vgpr2
	s_and_saveexec_b64 s[8:9], vcc
	s_cbranch_execz .LBB2229_3
; %bb.2:
	s_load_dwordx2 s[12:13], s[4:5], 0x88
	s_bcnt1_i32_b64 s10, s[10:11]
	v_mov_b32_e32 v2, 0
	v_mov_b32_e32 v3, s10
	s_waitcnt lgkmcnt(0)
	global_atomic_add v2, v2, v3, s[12:13] glc
.LBB2229_3:
	s_or_b64 exec, exec, s[8:9]
	s_waitcnt vmcnt(0)
	v_readfirstlane_b32 s8, v2
	v_add_u32_e32 v1, s8, v1
	v_mov_b32_e32 v2, 0
	ds_write_b32 v2, v1
.LBB2229_4:
	s_or_b64 exec, exec, s[6:7]
	s_load_dwordx4 s[8:11], s[4:5], 0x0
	s_load_dword s12, s[4:5], 0x18
	s_load_dwordx16 s[36:51], s[4:5], 0x40
	v_mov_b32_e32 v3, 0
	s_waitcnt lgkmcnt(0)
	s_barrier
	ds_read_b32 v1, v3
	s_mul_i32 s4, s44, s43
	s_mul_hi_u32 s5, s44, s42
	s_add_i32 s4, s5, s4
	s_mul_i32 s5, s45, s42
	s_add_i32 s7, s4, s5
	s_lshl_b64 s[4:5], s[10:11], 1
	s_add_u32 s4, s8, s4
	s_mul_i32 s6, s44, s42
	s_addc_u32 s5, s9, s5
	s_waitcnt lgkmcnt(0)
	v_readfirstlane_b32 s62, v1
	s_add_u32 s6, s6, s62
	s_movk_i32 s8, 0xf00
	s_addc_u32 s7, s7, 0
	v_mul_lo_u32 v2, v1, s8
	s_add_u32 s10, s46, -1
	v_lshlrev_b64 v[2:3], 1, v[2:3]
	s_addc_u32 s11, s47, -1
	v_mov_b32_e32 v1, s5
	v_add_co_u32_e32 v54, vcc, s4, v2
	s_cmp_eq_u64 s[6:7], s[10:11]
	v_addc_co_u32_e32 v55, vcc, v1, v3, vcc
	s_cselect_b64 s[44:45], -1, 0
	s_cmp_lg_u64 s[6:7], s[10:11]
	s_mov_b64 s[8:9], -1
	s_cselect_b64 s[4:5], -1, 0
	s_mul_i32 s33, s10, 0xfffff100
	s_and_b64 vcc, exec, s[44:45]
	v_mad_u32_u24 v40, v0, 15, 1
	v_mad_u32_u24 v42, v0, 15, 3
	;; [unrolled: 1-line block ×7, first 2 shown]
	s_barrier
	s_cbranch_vccnz .LBB2229_6
; %bb.5:
	v_lshlrev_b32_e32 v1, 1, v0
	v_add_co_u32_e32 v2, vcc, v54, v1
	v_addc_co_u32_e32 v3, vcc, 0, v55, vcc
	v_add_co_u32_e32 v2, vcc, 0x1000, v2
	v_readfirstlane_b32 s8, v54
	v_readfirstlane_b32 s9, v55
	v_addc_co_u32_e32 v3, vcc, 0, v3, vcc
	s_nop 3
	global_load_ushort v4, v1, s[8:9]
	global_load_ushort v5, v1, s[8:9] offset:512
	global_load_ushort v13, v1, s[8:9] offset:1024
	;; [unrolled: 1-line block ×7, first 2 shown]
	global_load_ushort v21, v[2:3], off
	global_load_ushort v22, v[2:3], off offset:512
	global_load_ushort v23, v[2:3], off offset:1024
	;; [unrolled: 1-line block ×6, first 2 shown]
	v_mad_u32_u24 v29, v0, 28, v1
	s_ashr_i32 s13, s12, 31
	s_movk_i32 s8, 0xffea
	v_mul_u32_u24_e32 v6, 15, v0
	v_mad_u32_u24 v11, v0, 15, 1
	v_mad_u32_u24 v12, v0, 15, 3
	;; [unrolled: 1-line block ×7, first 2 shown]
	v_pk_mov_b32 v[14:15], s[12:13], s[12:13] op_sel:[0,1]
	v_mad_i32_i24 v30, v0, s8, v29
	s_waitcnt vmcnt(14)
	ds_write_b16 v1, v4
	s_waitcnt vmcnt(13)
	ds_write_b16 v1, v5 offset:512
	s_waitcnt vmcnt(12)
	ds_write_b16 v1, v13 offset:1024
	;; [unrolled: 2-line block ×14, first 2 shown]
	s_waitcnt lgkmcnt(0)
	s_barrier
	ds_read_u16 v1, v29
	ds_read_b128 v[2:5], v29 offset:2
	ds_read_b96 v[22:24], v29 offset:18
	s_waitcnt lgkmcnt(0)
	s_barrier
	ds_write2st64_b64 v30, v[14:15], v[14:15] offset1:4
	ds_write2st64_b64 v30, v[14:15], v[14:15] offset0:8 offset1:12
	ds_write2st64_b64 v30, v[14:15], v[14:15] offset0:16 offset1:20
	;; [unrolled: 1-line block ×6, first 2 shown]
	ds_write_b64 v30, v[14:15] offset:28672
	s_waitcnt lgkmcnt(0)
	s_barrier
	s_add_i32 s33, s33, s48
	s_cbranch_execz .LBB2229_7
	s_branch .LBB2229_38
.LBB2229_6:
                                        ; implicit-def: $vgpr2
                                        ; implicit-def: $vgpr22
                                        ; implicit-def: $vgpr25
                                        ; implicit-def: $vgpr7
                                        ; implicit-def: $vgpr8
                                        ; implicit-def: $vgpr9
                                        ; implicit-def: $vgpr10
                                        ; implicit-def: $vgpr12
                                        ; implicit-def: $vgpr11
                                        ; implicit-def: $vgpr6
                                        ; implicit-def: $vgpr1
	s_andn2_b64 vcc, exec, s[8:9]
	s_add_i32 s33, s33, s48
	s_cbranch_vccnz .LBB2229_38
.LBB2229_7:
	v_cmp_gt_u32_e32 vcc, s33, v0
                                        ; implicit-def: $vgpr1
	s_and_saveexec_b64 s[8:9], vcc
	s_cbranch_execz .LBB2229_9
; %bb.8:
	v_lshlrev_b32_e32 v1, 1, v0
	v_readfirstlane_b32 s10, v54
	v_readfirstlane_b32 s11, v55
	s_nop 4
	global_load_ushort v1, v1, s[10:11]
.LBB2229_9:
	s_or_b64 exec, exec, s[8:9]
	v_or_b32_e32 v2, 0x100, v0
	v_cmp_gt_u32_e32 vcc, s33, v2
                                        ; implicit-def: $vgpr2
	s_and_saveexec_b64 s[8:9], vcc
	s_cbranch_execz .LBB2229_11
; %bb.10:
	v_lshlrev_b32_e32 v2, 1, v0
	v_readfirstlane_b32 s10, v54
	v_readfirstlane_b32 s11, v55
	s_nop 4
	global_load_ushort v2, v2, s[10:11] offset:512
.LBB2229_11:
	s_or_b64 exec, exec, s[8:9]
	v_or_b32_e32 v3, 0x200, v0
	v_cmp_gt_u32_e32 vcc, s33, v3
                                        ; implicit-def: $vgpr3
	s_and_saveexec_b64 s[8:9], vcc
	s_cbranch_execz .LBB2229_13
; %bb.12:
	v_lshlrev_b32_e32 v3, 1, v0
	v_readfirstlane_b32 s10, v54
	v_readfirstlane_b32 s11, v55
	s_nop 4
	global_load_ushort v3, v3, s[10:11] offset:1024
.LBB2229_13:
	s_or_b64 exec, exec, s[8:9]
	v_or_b32_e32 v4, 0x300, v0
	v_cmp_gt_u32_e32 vcc, s33, v4
                                        ; implicit-def: $vgpr4
	s_and_saveexec_b64 s[8:9], vcc
	s_cbranch_execz .LBB2229_15
; %bb.14:
	v_lshlrev_b32_e32 v4, 1, v0
	v_readfirstlane_b32 s10, v54
	v_readfirstlane_b32 s11, v55
	s_nop 4
	global_load_ushort v4, v4, s[10:11] offset:1536
.LBB2229_15:
	s_or_b64 exec, exec, s[8:9]
	v_or_b32_e32 v5, 0x400, v0
	v_cmp_gt_u32_e32 vcc, s33, v5
                                        ; implicit-def: $vgpr5
	s_and_saveexec_b64 s[8:9], vcc
	s_cbranch_execz .LBB2229_17
; %bb.16:
	v_lshlrev_b32_e32 v5, 1, v0
	v_readfirstlane_b32 s10, v54
	v_readfirstlane_b32 s11, v55
	s_nop 4
	global_load_ushort v5, v5, s[10:11] offset:2048
.LBB2229_17:
	s_or_b64 exec, exec, s[8:9]
	v_or_b32_e32 v6, 0x500, v0
	v_cmp_gt_u32_e32 vcc, s33, v6
                                        ; implicit-def: $vgpr6
	s_and_saveexec_b64 s[8:9], vcc
	s_cbranch_execz .LBB2229_19
; %bb.18:
	v_lshlrev_b32_e32 v6, 1, v0
	v_readfirstlane_b32 s10, v54
	v_readfirstlane_b32 s11, v55
	s_nop 4
	global_load_ushort v6, v6, s[10:11] offset:2560
.LBB2229_19:
	s_or_b64 exec, exec, s[8:9]
	v_or_b32_e32 v7, 0x600, v0
	v_cmp_gt_u32_e32 vcc, s33, v7
                                        ; implicit-def: $vgpr7
	s_and_saveexec_b64 s[8:9], vcc
	s_cbranch_execz .LBB2229_21
; %bb.20:
	v_lshlrev_b32_e32 v7, 1, v0
	v_readfirstlane_b32 s10, v54
	v_readfirstlane_b32 s11, v55
	s_nop 4
	global_load_ushort v7, v7, s[10:11] offset:3072
.LBB2229_21:
	s_or_b64 exec, exec, s[8:9]
	v_or_b32_e32 v8, 0x700, v0
	v_cmp_gt_u32_e32 vcc, s33, v8
                                        ; implicit-def: $vgpr8
	s_and_saveexec_b64 s[8:9], vcc
	s_cbranch_execz .LBB2229_23
; %bb.22:
	v_lshlrev_b32_e32 v8, 1, v0
	v_readfirstlane_b32 s10, v54
	v_readfirstlane_b32 s11, v55
	s_nop 4
	global_load_ushort v8, v8, s[10:11] offset:3584
.LBB2229_23:
	s_or_b64 exec, exec, s[8:9]
	v_or_b32_e32 v10, 0x800, v0
	v_cmp_gt_u32_e32 vcc, s33, v10
                                        ; implicit-def: $vgpr9
	s_and_saveexec_b64 s[8:9], vcc
	s_cbranch_execz .LBB2229_25
; %bb.24:
	v_lshlrev_b32_e32 v9, 1, v10
	v_readfirstlane_b32 s10, v54
	v_readfirstlane_b32 s11, v55
	s_nop 4
	global_load_ushort v9, v9, s[10:11]
.LBB2229_25:
	s_or_b64 exec, exec, s[8:9]
	v_or_b32_e32 v11, 0x900, v0
	v_cmp_gt_u32_e32 vcc, s33, v11
                                        ; implicit-def: $vgpr10
	s_and_saveexec_b64 s[8:9], vcc
	s_cbranch_execz .LBB2229_27
; %bb.26:
	v_lshlrev_b32_e32 v10, 1, v11
	v_readfirstlane_b32 s10, v54
	v_readfirstlane_b32 s11, v55
	s_nop 4
	global_load_ushort v10, v10, s[10:11]
.LBB2229_27:
	s_or_b64 exec, exec, s[8:9]
	v_or_b32_e32 v12, 0xa00, v0
	v_cmp_gt_u32_e32 vcc, s33, v12
                                        ; implicit-def: $vgpr11
	s_and_saveexec_b64 s[8:9], vcc
	s_cbranch_execz .LBB2229_29
; %bb.28:
	v_lshlrev_b32_e32 v11, 1, v12
	v_readfirstlane_b32 s10, v54
	v_readfirstlane_b32 s11, v55
	s_nop 4
	global_load_ushort v11, v11, s[10:11]
.LBB2229_29:
	s_or_b64 exec, exec, s[8:9]
	v_or_b32_e32 v13, 0xb00, v0
	v_cmp_gt_u32_e32 vcc, s33, v13
                                        ; implicit-def: $vgpr12
	s_and_saveexec_b64 s[8:9], vcc
	s_cbranch_execz .LBB2229_31
; %bb.30:
	v_lshlrev_b32_e32 v12, 1, v13
	v_readfirstlane_b32 s10, v54
	v_readfirstlane_b32 s11, v55
	s_nop 4
	global_load_ushort v12, v12, s[10:11]
.LBB2229_31:
	s_or_b64 exec, exec, s[8:9]
	v_or_b32_e32 v14, 0xc00, v0
	v_cmp_gt_u32_e32 vcc, s33, v14
                                        ; implicit-def: $vgpr13
	s_and_saveexec_b64 s[8:9], vcc
	s_cbranch_execz .LBB2229_33
; %bb.32:
	v_lshlrev_b32_e32 v13, 1, v14
	v_readfirstlane_b32 s10, v54
	v_readfirstlane_b32 s11, v55
	s_nop 4
	global_load_ushort v13, v13, s[10:11]
.LBB2229_33:
	s_or_b64 exec, exec, s[8:9]
	v_or_b32_e32 v15, 0xd00, v0
	v_cmp_gt_u32_e32 vcc, s33, v15
                                        ; implicit-def: $vgpr14
	s_and_saveexec_b64 s[8:9], vcc
	s_cbranch_execz .LBB2229_35
; %bb.34:
	v_lshlrev_b32_e32 v14, 1, v15
	v_readfirstlane_b32 s10, v54
	v_readfirstlane_b32 s11, v55
	s_nop 4
	global_load_ushort v14, v14, s[10:11]
.LBB2229_35:
	s_or_b64 exec, exec, s[8:9]
	v_or_b32_e32 v16, 0xe00, v0
	v_cmp_gt_u32_e32 vcc, s33, v16
                                        ; implicit-def: $vgpr15
	s_and_saveexec_b64 s[8:9], vcc
	s_cbranch_execz .LBB2229_37
; %bb.36:
	v_lshlrev_b32_e32 v15, 1, v16
	v_readfirstlane_b32 s10, v54
	v_readfirstlane_b32 s11, v55
	s_nop 4
	global_load_ushort v15, v15, s[10:11]
.LBB2229_37:
	s_or_b64 exec, exec, s[8:9]
	v_lshlrev_b32_e32 v16, 1, v0
	s_waitcnt vmcnt(0)
	ds_write_b16 v16, v1
	ds_write_b16 v16, v2 offset:512
	ds_write_b16 v16, v3 offset:1024
	;; [unrolled: 1-line block ×14, first 2 shown]
	v_mad_u32_u24 v7, v0, 28, v16
	s_waitcnt lgkmcnt(0)
	s_barrier
	ds_read_u16 v1, v7
	ds_read_b128 v[2:5], v7 offset:2
	ds_read_b96 v[22:24], v7 offset:18
	s_ashr_i32 s13, s12, 31
	s_movk_i32 s8, 0xffea
	v_mad_i32_i24 v7, v0, s8, v7
	v_pk_mov_b32 v[8:9], s[12:13], s[12:13] op_sel:[0,1]
	v_mul_u32_u24_e32 v6, 15, v0
	s_waitcnt lgkmcnt(0)
	s_barrier
	ds_write2st64_b64 v7, v[8:9], v[8:9] offset1:4
	ds_write2st64_b64 v7, v[8:9], v[8:9] offset0:8 offset1:12
	ds_write2st64_b64 v7, v[8:9], v[8:9] offset0:16 offset1:20
	;; [unrolled: 1-line block ×6, first 2 shown]
	ds_write_b64 v7, v[8:9] offset:28672
	v_mov_b32_e32 v25, v52
	v_mov_b32_e32 v7, v50
	;; [unrolled: 1-line block ×7, first 2 shown]
	s_waitcnt lgkmcnt(0)
	s_barrier
.LBB2229_38:
	v_lshlrev_b32_e32 v6, 3, v6
	v_lshlrev_b32_e32 v11, 3, v11
	;; [unrolled: 1-line block ×4, first 2 shown]
	ds_read2_b64 v[18:21], v6 offset1:2
	ds_read2_b64 v[14:17], v6 offset0:4 offset1:6
	v_lshlrev_b32_e32 v9, 3, v9
	ds_read_b64 v[38:39], v11
	ds_read_b64 v[36:37], v12
	;; [unrolled: 1-line block ×4, first 2 shown]
	ds_read2_b64 v[10:13], v6 offset0:8 offset1:10
	v_lshlrev_b32_e32 v26, 3, v8
	v_lshlrev_b32_e32 v27, 3, v7
	ds_read2_b64 v[6:9], v6 offset0:12 offset1:14
	v_lshlrev_b32_e32 v25, 3, v25
	ds_read_b64 v[32:33], v26
	ds_read_b64 v[28:29], v27
	;; [unrolled: 1-line block ×3, first 2 shown]
	s_cmp_eq_u64 s[6:7], 0
	s_cselect_b64 s[46:47], -1, 0
	s_cmp_lg_u64 s[6:7], 0
	s_mov_b64 s[8:9], 0
	s_cselect_b64 s[10:11], -1, 0
	s_and_b64 vcc, exec, s[4:5]
	s_waitcnt lgkmcnt(0)
	s_barrier
	s_cbranch_vccz .LBB2229_44
; %bb.39:
	s_and_b64 vcc, exec, s[10:11]
	s_cbranch_vccz .LBB2229_45
; %bb.40:
	global_load_ushort v41, v[54:55], off offset:-2
	v_lshrrev_b32_e32 v43, 16, v24
	v_lshlrev_b32_e32 v25, 1, v0
	v_cmp_neq_f16_e32 vcc, v24, v43
	v_cmp_neq_f16_sdwa s[8:9], v23, v24 src0_sel:WORD_1 src1_sel:DWORD
	v_cmp_neq_f16_sdwa s[12:13], v23, v23 src0_sel:DWORD src1_sel:WORD_1
	v_cmp_neq_f16_sdwa s[14:15], v22, v23 src0_sel:WORD_1 src1_sel:DWORD
	v_cmp_neq_f16_sdwa s[16:17], v22, v22 src0_sel:DWORD src1_sel:WORD_1
	;; [unrolled: 2-line block ×6, first 2 shown]
	v_cmp_neq_f16_e64 s[4:5], v1, v2
	ds_write_b16 v25, v43
	s_waitcnt lgkmcnt(0)
	s_barrier
	s_and_saveexec_b64 s[60:61], s[2:3]
	s_cbranch_execz .LBB2229_42
; %bb.41:
	v_add_u32_e32 v25, -2, v25
	s_waitcnt vmcnt(0)
	ds_read_u16 v41, v25
.LBB2229_42:
	s_or_b64 exec, exec, s[60:61]
	v_cndmask_b32_e64 v25, 0, 1, vcc
	v_cndmask_b32_e64 v76, 0, 1, s[8:9]
	v_cndmask_b32_e64 v77, 0, 1, s[12:13]
	;; [unrolled: 1-line block ×13, first 2 shown]
	s_waitcnt vmcnt(0) lgkmcnt(0)
	v_cmp_neq_f16_e64 s[4:5], v1, v41
	s_mov_b64 s[8:9], -1
.LBB2229_43:
                                        ; implicit-def: $sgpr14
	s_branch .LBB2229_57
.LBB2229_44:
                                        ; implicit-def: $sgpr4_sgpr5
                                        ; implicit-def: $vgpr25
                                        ; implicit-def: $vgpr76
                                        ; implicit-def: $vgpr77
                                        ; implicit-def: $vgpr78
                                        ; implicit-def: $vgpr79
                                        ; implicit-def: $vgpr80
                                        ; implicit-def: $vgpr81
                                        ; implicit-def: $vgpr82
                                        ; implicit-def: $vgpr83
                                        ; implicit-def: $vgpr84
                                        ; implicit-def: $vgpr85
                                        ; implicit-def: $vgpr86
                                        ; implicit-def: $vgpr87
                                        ; implicit-def: $vgpr88
                                        ; implicit-def: $sgpr14
	s_cbranch_execnz .LBB2229_49
	s_branch .LBB2229_57
.LBB2229_45:
                                        ; implicit-def: $sgpr4_sgpr5
                                        ; implicit-def: $vgpr25
                                        ; implicit-def: $vgpr76
                                        ; implicit-def: $vgpr77
                                        ; implicit-def: $vgpr78
                                        ; implicit-def: $vgpr79
                                        ; implicit-def: $vgpr80
                                        ; implicit-def: $vgpr81
                                        ; implicit-def: $vgpr82
                                        ; implicit-def: $vgpr83
                                        ; implicit-def: $vgpr84
                                        ; implicit-def: $vgpr85
                                        ; implicit-def: $vgpr86
                                        ; implicit-def: $vgpr87
                                        ; implicit-def: $vgpr88
	s_cbranch_execz .LBB2229_43
; %bb.46:
	v_cmp_neq_f16_sdwa s[4:5], v23, v24 src0_sel:WORD_1 src1_sel:DWORD
	v_cndmask_b32_e64 v76, 0, 1, s[4:5]
	v_cmp_neq_f16_sdwa s[4:5], v23, v23 src0_sel:DWORD src1_sel:WORD_1
	v_cndmask_b32_e64 v77, 0, 1, s[4:5]
	v_cmp_neq_f16_sdwa s[4:5], v22, v23 src0_sel:WORD_1 src1_sel:DWORD
	v_cndmask_b32_e64 v78, 0, 1, s[4:5]
	v_cmp_neq_f16_sdwa s[4:5], v22, v22 src0_sel:DWORD src1_sel:WORD_1
	v_cndmask_b32_e64 v79, 0, 1, s[4:5]
	;; [unrolled: 4-line block ×4, first 2 shown]
	v_cmp_neq_f16_sdwa s[4:5], v3, v4 src0_sel:WORD_1 src1_sel:DWORD
	v_lshrrev_b32_e32 v25, 16, v24
	v_cndmask_b32_e64 v84, 0, 1, s[4:5]
	v_cmp_neq_f16_sdwa s[4:5], v3, v3 src0_sel:DWORD src1_sel:WORD_1
	v_lshlrev_b32_e32 v41, 1, v0
	v_cmp_neq_f16_e32 vcc, v24, v25
	v_cndmask_b32_e64 v85, 0, 1, s[4:5]
	v_cmp_neq_f16_sdwa s[4:5], v2, v3 src0_sel:WORD_1 src1_sel:DWORD
	ds_write_b16 v41, v25
	v_cndmask_b32_e64 v25, 0, 1, vcc
	v_cndmask_b32_e64 v86, 0, 1, s[4:5]
	v_cmp_neq_f16_sdwa s[4:5], v2, v2 src0_sel:DWORD src1_sel:WORD_1
	v_cmp_neq_f16_e32 vcc, v1, v2
	s_mov_b32 s14, 1
	v_cndmask_b32_e64 v87, 0, 1, s[4:5]
	v_cndmask_b32_e64 v88, 0, 1, vcc
	s_waitcnt lgkmcnt(0)
	s_barrier
	s_waitcnt lgkmcnt(0)
                                        ; implicit-def: $sgpr4_sgpr5
	s_and_saveexec_b64 s[12:13], s[2:3]
	s_xor_b64 s[12:13], exec, s[12:13]
	s_cbranch_execz .LBB2229_48
; %bb.47:
	v_add_u32_e32 v41, -2, v41
	ds_read_u16 v41, v41
	s_or_b64 s[8:9], s[8:9], exec
	s_waitcnt lgkmcnt(0)
	v_cmp_neq_f16_e32 vcc, v41, v1
	s_and_b64 s[4:5], vcc, exec
.LBB2229_48:
	s_or_b64 exec, exec, s[12:13]
	s_branch .LBB2229_57
.LBB2229_49:
	s_mul_hi_u32 s5, s6, 0xfffff100
	s_mul_i32 s4, s7, 0xfffff100
	s_sub_i32 s5, s5, s6
	s_add_i32 s5, s5, s4
	s_mul_i32 s4, s6, 0xfffff100
	s_add_u32 s12, s4, s48
	s_addc_u32 s13, s5, s49
	s_and_b64 vcc, exec, s[10:11]
	v_lshrrev_b32_e32 v70, 16, v24
	v_mad_u32_u24 v56, v0, 15, 14
	v_cmp_neq_f16_sdwa s[58:59], v23, v24 src0_sel:WORD_1 src1_sel:DWORD
	v_mad_u32_u24 v68, v0, 15, 12
	v_cmp_neq_f16_sdwa s[10:11], v23, v23 src0_sel:DWORD src1_sel:WORD_1
	v_cmp_neq_f16_sdwa s[16:17], v22, v23 src0_sel:WORD_1 src1_sel:DWORD
	v_mad_u32_u24 v66, v0, 15, 10
	v_cmp_neq_f16_sdwa s[20:21], v22, v22 src0_sel:DWORD src1_sel:WORD_1
	;; [unrolled: 3-line block ×6, first 2 shown]
	v_cmp_neq_f16_e64 s[4:5], v1, v2
	s_cbranch_vccz .LBB2229_54
; %bb.50:
	global_load_ushort v71, v[54:55], off offset:-2
	v_mov_b32_e32 v57, 0
	v_cmp_gt_u64_e32 vcc, s[12:13], v[56:57]
	v_cmp_neq_f16_e64 s[6:7], v24, v70
	v_mov_b32_e32 v53, v57
	s_and_b64 s[6:7], vcc, s[6:7]
	v_cmp_gt_u64_e32 vcc, s[12:13], v[52:53]
	v_mov_b32_e32 v69, v57
	s_and_b64 s[8:9], vcc, s[58:59]
	v_cmp_gt_u64_e32 vcc, s[12:13], v[68:69]
	v_mov_b32_e32 v51, v57
	s_and_b64 s[10:11], vcc, s[10:11]
	v_cmp_gt_u64_e32 vcc, s[12:13], v[50:51]
	v_mov_b32_e32 v67, v57
	s_and_b64 s[16:17], vcc, s[16:17]
	v_cmp_gt_u64_e32 vcc, s[12:13], v[66:67]
	v_mov_b32_e32 v49, v57
	s_and_b64 s[20:21], vcc, s[20:21]
	v_cmp_gt_u64_e32 vcc, s[12:13], v[48:49]
	v_mov_b32_e32 v65, v57
	s_and_b64 s[24:25], vcc, s[24:25]
	v_cmp_gt_u64_e32 vcc, s[12:13], v[64:65]
	v_mov_b32_e32 v47, v57
	s_and_b64 s[28:29], vcc, s[28:29]
	v_cmp_gt_u64_e32 vcc, s[12:13], v[46:47]
	v_mov_b32_e32 v63, v57
	s_and_b64 s[48:49], vcc, s[48:49]
	v_cmp_gt_u64_e32 vcc, s[12:13], v[62:63]
	v_mov_b32_e32 v45, v57
	s_and_b64 s[34:35], vcc, s[34:35]
	v_cmp_gt_u64_e32 vcc, s[12:13], v[44:45]
	v_mov_b32_e32 v61, v57
	s_and_b64 s[26:27], vcc, s[26:27]
	v_cmp_gt_u64_e32 vcc, s[12:13], v[60:61]
	v_mov_b32_e32 v43, v57
	s_and_b64 s[22:23], vcc, s[22:23]
	v_cmp_gt_u64_e32 vcc, s[12:13], v[42:43]
	v_mov_b32_e32 v59, v57
	s_and_b64 s[18:19], vcc, s[18:19]
	v_cmp_gt_u64_e32 vcc, s[12:13], v[58:59]
	v_mov_b32_e32 v41, v57
	s_and_b64 s[14:15], vcc, s[14:15]
	v_cmp_gt_u64_e32 vcc, s[12:13], v[40:41]
	v_lshlrev_b32_e32 v25, 1, v0
	v_mul_u32_u24_e32 v54, 15, v0
	s_and_b64 s[4:5], vcc, s[4:5]
	ds_write_b16 v25, v70
	s_waitcnt lgkmcnt(0)
	s_barrier
	s_and_saveexec_b64 s[58:59], s[2:3]
	s_cbranch_execz .LBB2229_52
; %bb.51:
	v_add_u32_e32 v25, -2, v25
	s_waitcnt vmcnt(0)
	ds_read_u16 v71, v25
.LBB2229_52:
	s_or_b64 exec, exec, s[58:59]
	v_mov_b32_e32 v55, v57
	v_cndmask_b32_e64 v88, 0, 1, s[4:5]
	v_cmp_gt_u64_e32 vcc, s[12:13], v[54:55]
	s_waitcnt vmcnt(0) lgkmcnt(0)
	v_cmp_neq_f16_e64 s[4:5], v1, v71
	v_cndmask_b32_e64 v25, 0, 1, s[6:7]
	v_cndmask_b32_e64 v76, 0, 1, s[8:9]
	;; [unrolled: 1-line block ×13, first 2 shown]
	s_and_b64 s[4:5], vcc, s[4:5]
	s_mov_b64 s[8:9], -1
.LBB2229_53:
                                        ; implicit-def: $sgpr14
	v_mov_b32_e32 v89, s14
	s_and_saveexec_b64 s[2:3], s[8:9]
	s_cbranch_execnz .LBB2229_58
	s_branch .LBB2229_59
.LBB2229_54:
                                        ; implicit-def: $sgpr4_sgpr5
                                        ; implicit-def: $vgpr25
                                        ; implicit-def: $vgpr76
                                        ; implicit-def: $vgpr77
                                        ; implicit-def: $vgpr78
                                        ; implicit-def: $vgpr79
                                        ; implicit-def: $vgpr80
                                        ; implicit-def: $vgpr81
                                        ; implicit-def: $vgpr82
                                        ; implicit-def: $vgpr83
                                        ; implicit-def: $vgpr84
                                        ; implicit-def: $vgpr85
                                        ; implicit-def: $vgpr86
                                        ; implicit-def: $vgpr87
                                        ; implicit-def: $vgpr88
	s_cbranch_execz .LBB2229_53
; %bb.55:
	v_mov_b32_e32 v57, 0
	v_cmp_gt_u64_e32 vcc, s[12:13], v[56:57]
	v_cmp_neq_f16_e64 s[4:5], v24, v70
	s_and_b64 s[4:5], vcc, s[4:5]
	v_mov_b32_e32 v53, v57
	v_cndmask_b32_e64 v25, 0, 1, s[4:5]
	v_cmp_gt_u64_e32 vcc, s[12:13], v[52:53]
	v_cmp_neq_f16_sdwa s[4:5], v23, v24 src0_sel:WORD_1 src1_sel:DWORD
	s_and_b64 s[4:5], vcc, s[4:5]
	v_mov_b32_e32 v69, v57
	v_cndmask_b32_e64 v76, 0, 1, s[4:5]
	v_cmp_gt_u64_e32 vcc, s[12:13], v[68:69]
	v_cmp_neq_f16_sdwa s[4:5], v23, v23 src0_sel:DWORD src1_sel:WORD_1
	s_and_b64 s[4:5], vcc, s[4:5]
	v_mov_b32_e32 v51, v57
	v_cndmask_b32_e64 v77, 0, 1, s[4:5]
	v_cmp_gt_u64_e32 vcc, s[12:13], v[50:51]
	v_cmp_neq_f16_sdwa s[4:5], v22, v23 src0_sel:WORD_1 src1_sel:DWORD
	s_and_b64 s[4:5], vcc, s[4:5]
	v_mov_b32_e32 v67, v57
	v_cndmask_b32_e64 v78, 0, 1, s[4:5]
	v_cmp_gt_u64_e32 vcc, s[12:13], v[66:67]
	v_cmp_neq_f16_sdwa s[4:5], v22, v22 src0_sel:DWORD src1_sel:WORD_1
	;; [unrolled: 10-line block ×6, first 2 shown]
	s_and_b64 s[4:5], vcc, s[4:5]
	v_mov_b32_e32 v41, v57
	v_cndmask_b32_e64 v87, 0, 1, s[4:5]
	v_cmp_gt_u64_e32 vcc, s[12:13], v[40:41]
	v_cmp_neq_f16_e64 s[4:5], v1, v2
	s_and_b64 s[4:5], vcc, s[4:5]
	s_mov_b32 s14, 1
	v_lshlrev_b32_e32 v54, 1, v0
	v_cndmask_b32_e64 v88, 0, 1, s[4:5]
	ds_write_b16 v54, v70
	s_waitcnt lgkmcnt(0)
	s_barrier
	s_waitcnt lgkmcnt(0)
                                        ; implicit-def: $sgpr4_sgpr5
	s_and_saveexec_b64 s[6:7], s[2:3]
	s_cbranch_execz .LBB2229_206
; %bb.56:
	v_add_u32_e32 v40, -2, v54
	ds_read_u16 v40, v40
	v_mul_u32_u24_e32 v56, 15, v0
	v_cmp_gt_u64_e32 vcc, s[12:13], v[56:57]
	s_or_b64 s[8:9], s[8:9], exec
	s_waitcnt lgkmcnt(0)
	v_cmp_neq_f16_e64 s[2:3], v40, v1
	s_and_b64 s[2:3], vcc, s[2:3]
	s_and_b64 s[4:5], s[2:3], exec
	s_or_b64 exec, exec, s[6:7]
.LBB2229_57:
	v_mov_b32_e32 v89, s14
	s_and_saveexec_b64 s[2:3], s[8:9]
.LBB2229_58:
	v_cndmask_b32_e64 v89, 0, 1, s[4:5]
.LBB2229_59:
	s_or_b64 exec, exec, s[2:3]
	s_cmp_eq_u64 s[42:43], 0
	v_add3_u32 v40, v88, v89, v87
	s_cselect_b64 s[34:35], -1, 0
	s_cmp_lg_u32 s62, 0
	v_cmp_eq_u32_e64 s[26:27], 0, v88
	v_cmp_eq_u32_e64 s[24:25], 0, v87
	;; [unrolled: 1-line block ×3, first 2 shown]
	v_add3_u32 v92, v40, v86, v85
	v_cmp_eq_u32_e64 s[20:21], 0, v85
	v_cmp_eq_u32_e64 s[18:19], 0, v84
	;; [unrolled: 1-line block ×10, first 2 shown]
	v_cmp_eq_u32_e32 vcc, 0, v25
	v_mbcnt_lo_u32_b32 v91, -1, 0
	s_cbranch_scc0 .LBB2229_126
; %bb.60:
	v_cndmask_b32_e64 v41, 0, v18, s[26:27]
	v_cndmask_b32_e64 v40, 0, v19, s[26:27]
	v_add_co_u32_e64 v41, s[28:29], v41, v38
	v_addc_co_u32_e64 v40, s[28:29], v40, v39, s[28:29]
	v_cndmask_b32_e64 v41, 0, v41, s[24:25]
	v_cndmask_b32_e64 v40, 0, v40, s[24:25]
	v_add_co_u32_e64 v41, s[28:29], v41, v20
	v_addc_co_u32_e64 v40, s[28:29], v40, v21, s[28:29]
	;; [unrolled: 4-line block ×11, first 2 shown]
	v_cndmask_b32_e64 v41, 0, v41, s[4:5]
	v_add3_u32 v42, v92, v84, v83
	v_cndmask_b32_e64 v40, 0, v40, s[4:5]
	v_add_co_u32_e64 v41, s[28:29], v41, v6
	v_add3_u32 v42, v42, v82, v81
	v_addc_co_u32_e64 v40, s[28:29], v40, v7, s[28:29]
	v_cndmask_b32_e64 v41, 0, v41, s[2:3]
	v_add3_u32 v42, v42, v80, v79
	v_cndmask_b32_e64 v40, 0, v40, s[2:3]
	v_add_co_u32_e64 v41, s[28:29], v41, v26
	v_add3_u32 v42, v42, v78, v77
	v_addc_co_u32_e64 v40, s[28:29], v40, v27, s[28:29]
	v_cndmask_b32_e32 v41, 0, v41, vcc
	v_add3_u32 v44, v42, v76, v25
	v_cndmask_b32_e32 v40, 0, v40, vcc
	v_add_co_u32_e32 v42, vcc, v41, v8
	v_mbcnt_hi_u32_b32 v45, -1, v91
	v_addc_co_u32_e32 v43, vcc, v40, v9, vcc
	v_and_b32_e32 v40, 15, v45
	v_mov_b32_dpp v46, v44 row_shr:1 row_mask:0xf bank_mask:0xf
	v_mov_b32_dpp v41, v42 row_shr:1 row_mask:0xf bank_mask:0xf
	;; [unrolled: 1-line block ×3, first 2 shown]
	v_cmp_ne_u32_e32 vcc, 0, v40
	s_and_saveexec_b64 s[28:29], vcc
; %bb.61:
	v_cmp_eq_u32_e32 vcc, 0, v44
	v_cndmask_b32_e32 v41, 0, v41, vcc
	v_add_u32_e32 v46, v46, v44
	v_cndmask_b32_e32 v44, 0, v47, vcc
	v_add_co_u32_e32 v42, vcc, v41, v42
	v_addc_co_u32_e32 v43, vcc, v44, v43, vcc
	v_mov_b32_e32 v44, v46
; %bb.62:
	s_or_b64 exec, exec, s[28:29]
	s_nop 0
	v_mov_b32_dpp v46, v44 row_shr:2 row_mask:0xf bank_mask:0xf
	v_mov_b32_dpp v41, v42 row_shr:2 row_mask:0xf bank_mask:0xf
	v_mov_b32_dpp v47, v43 row_shr:2 row_mask:0xf bank_mask:0xf
	v_cmp_lt_u32_e32 vcc, 1, v40
	s_and_saveexec_b64 s[28:29], vcc
; %bb.63:
	v_cmp_eq_u32_e32 vcc, 0, v44
	v_cndmask_b32_e32 v41, 0, v41, vcc
	v_add_u32_e32 v46, v46, v44
	v_cndmask_b32_e32 v44, 0, v47, vcc
	v_add_co_u32_e32 v42, vcc, v41, v42
	v_addc_co_u32_e32 v43, vcc, v44, v43, vcc
	v_mov_b32_e32 v44, v46
; %bb.64:
	s_or_b64 exec, exec, s[28:29]
	s_nop 0
	v_mov_b32_dpp v46, v44 row_shr:4 row_mask:0xf bank_mask:0xf
	v_mov_b32_dpp v41, v42 row_shr:4 row_mask:0xf bank_mask:0xf
	v_mov_b32_dpp v47, v43 row_shr:4 row_mask:0xf bank_mask:0xf
	v_cmp_lt_u32_e32 vcc, 3, v40
	;; [unrolled: 16-line block ×3, first 2 shown]
	s_and_saveexec_b64 s[28:29], vcc
; %bb.67:
	v_cmp_eq_u32_e32 vcc, 0, v44
	v_cndmask_b32_e32 v41, 0, v41, vcc
	v_add_u32_e32 v40, v46, v44
	v_cndmask_b32_e32 v44, 0, v47, vcc
	v_add_co_u32_e32 v42, vcc, v41, v42
	v_addc_co_u32_e32 v43, vcc, v44, v43, vcc
	v_mov_b32_e32 v44, v40
; %bb.68:
	s_or_b64 exec, exec, s[28:29]
	v_and_b32_e32 v47, 16, v45
	v_mov_b32_dpp v41, v44 row_bcast:15 row_mask:0xf bank_mask:0xf
	v_mov_b32_dpp v40, v42 row_bcast:15 row_mask:0xf bank_mask:0xf
	;; [unrolled: 1-line block ×3, first 2 shown]
	v_cmp_ne_u32_e32 vcc, 0, v47
	s_and_saveexec_b64 s[28:29], vcc
; %bb.69:
	v_cmp_eq_u32_e32 vcc, 0, v44
	v_cndmask_b32_e32 v40, 0, v40, vcc
	v_add_u32_e32 v41, v41, v44
	v_cndmask_b32_e32 v44, 0, v46, vcc
	v_add_co_u32_e32 v42, vcc, v40, v42
	v_addc_co_u32_e32 v43, vcc, v44, v43, vcc
	v_mov_b32_e32 v44, v41
; %bb.70:
	s_or_b64 exec, exec, s[28:29]
	s_nop 0
	v_mov_b32_dpp v41, v44 row_bcast:31 row_mask:0xf bank_mask:0xf
	v_mov_b32_dpp v40, v42 row_bcast:31 row_mask:0xf bank_mask:0xf
	;; [unrolled: 1-line block ×3, first 2 shown]
	v_cmp_lt_u32_e32 vcc, 31, v45
	s_and_saveexec_b64 s[28:29], vcc
; %bb.71:
	v_cmp_eq_u32_e32 vcc, 0, v44
	v_cndmask_b32_e32 v40, 0, v40, vcc
	v_add_u32_e32 v41, v41, v44
	v_cndmask_b32_e32 v44, 0, v46, vcc
	v_add_co_u32_e32 v42, vcc, v40, v42
	v_addc_co_u32_e32 v43, vcc, v44, v43, vcc
	v_mov_b32_e32 v44, v41
; %bb.72:
	s_or_b64 exec, exec, s[28:29]
	v_lshrrev_b32_e32 v40, 6, v0
	v_or_b32_e32 v41, 63, v0
	v_cmp_eq_u32_e32 vcc, v41, v0
	v_lshlrev_b32_e32 v46, 4, v40
	s_and_saveexec_b64 s[28:29], vcc
	s_cbranch_execz .LBB2229_74
; %bb.73:
	ds_write_b32 v46, v44 offset:1056
	ds_write_b64 v46, v[42:43] offset:1064
.LBB2229_74:
	s_or_b64 exec, exec, s[28:29]
	v_cmp_gt_u32_e32 vcc, 4, v0
	s_waitcnt lgkmcnt(0)
	s_barrier
	s_and_saveexec_b64 s[28:29], vcc
	s_cbranch_execz .LBB2229_80
; %bb.75:
	v_lshlrev_b32_e32 v47, 4, v0
	ds_read_b32 v48, v47 offset:1056
	ds_read_b64 v[40:41], v47 offset:1064
	v_and_b32_e32 v49, 3, v45
	v_cmp_ne_u32_e32 vcc, 0, v49
	s_waitcnt lgkmcnt(1)
	v_mov_b32_dpp v51, v48 row_shr:1 row_mask:0xf bank_mask:0xf
	s_waitcnt lgkmcnt(0)
	v_mov_b32_dpp v50, v40 row_shr:1 row_mask:0xf bank_mask:0xf
	v_mov_b32_dpp v52, v41 row_shr:1 row_mask:0xf bank_mask:0xf
	s_and_saveexec_b64 s[42:43], vcc
; %bb.76:
	v_cmp_eq_u32_e32 vcc, 0, v48
	v_cndmask_b32_e32 v50, 0, v50, vcc
	v_add_u32_e32 v51, v51, v48
	v_cndmask_b32_e32 v48, 0, v52, vcc
	v_add_co_u32_e32 v40, vcc, v50, v40
	v_addc_co_u32_e32 v41, vcc, v48, v41, vcc
	v_mov_b32_e32 v48, v51
; %bb.77:
	s_or_b64 exec, exec, s[42:43]
	s_nop 0
	v_mov_b32_dpp v51, v48 row_shr:2 row_mask:0xf bank_mask:0xf
	v_mov_b32_dpp v50, v40 row_shr:2 row_mask:0xf bank_mask:0xf
	;; [unrolled: 1-line block ×3, first 2 shown]
	v_cmp_lt_u32_e32 vcc, 1, v49
	s_and_saveexec_b64 s[42:43], vcc
; %bb.78:
	v_cmp_eq_u32_e32 vcc, 0, v48
	v_cndmask_b32_e32 v50, 0, v50, vcc
	v_add_u32_e32 v49, v51, v48
	v_cndmask_b32_e32 v48, 0, v52, vcc
	v_add_co_u32_e32 v40, vcc, v50, v40
	v_addc_co_u32_e32 v41, vcc, v48, v41, vcc
	v_mov_b32_e32 v48, v49
; %bb.79:
	s_or_b64 exec, exec, s[42:43]
	ds_write_b32 v47, v48 offset:1056
	ds_write_b64 v47, v[40:41] offset:1064
.LBB2229_80:
	s_or_b64 exec, exec, s[28:29]
	v_cmp_gt_u32_e32 vcc, 64, v0
	v_cmp_lt_u32_e64 s[28:29], 63, v0
	v_pk_mov_b32 v[40:41], 0, 0
	v_mov_b32_e32 v52, 0
	s_waitcnt lgkmcnt(0)
	s_barrier
	s_and_saveexec_b64 s[42:43], s[28:29]
	s_cbranch_execz .LBB2229_82
; %bb.81:
	ds_read_b32 v52, v46 offset:1040
	ds_read_b64 v[40:41], v46 offset:1048
	v_cmp_eq_u32_e64 s[28:29], 0, v44
	s_waitcnt lgkmcnt(1)
	v_add_u32_e32 v46, v52, v44
	s_waitcnt lgkmcnt(0)
	v_cndmask_b32_e64 v47, 0, v40, s[28:29]
	v_cndmask_b32_e64 v44, 0, v41, s[28:29]
	v_add_co_u32_e64 v42, s[28:29], v47, v42
	v_addc_co_u32_e64 v43, s[28:29], v44, v43, s[28:29]
	v_mov_b32_e32 v44, v46
.LBB2229_82:
	s_or_b64 exec, exec, s[42:43]
	v_add_u32_e32 v46, -1, v45
	v_and_b32_e32 v47, 64, v45
	v_cmp_lt_i32_e64 s[28:29], v46, v47
	v_cndmask_b32_e64 v46, v46, v45, s[28:29]
	v_lshlrev_b32_e32 v46, 2, v46
	ds_bpermute_b32 v53, v46, v44
	ds_bpermute_b32 v54, v46, v42
	;; [unrolled: 1-line block ×3, first 2 shown]
	v_cmp_eq_u32_e64 s[28:29], 0, v45
	s_and_saveexec_b64 s[42:43], vcc
	s_cbranch_execz .LBB2229_125
; %bb.83:
	v_mov_b32_e32 v47, 0
	ds_read_b32 v56, v47 offset:1104
	ds_read_b64 v[42:43], v47 offset:1112
	s_and_saveexec_b64 s[48:49], s[28:29]
	s_cbranch_execz .LBB2229_85
; %bb.84:
	s_add_i32 s58, s62, 64
	s_mov_b32 s59, 0
	s_lshl_b64 s[60:61], s[58:59], 4
	s_add_u32 s60, s36, s60
	s_addc_u32 s61, s37, s61
	v_mov_b32_e32 v44, s58
	v_mov_b32_e32 v46, 1
	s_waitcnt lgkmcnt(1)
	global_store_dword v47, v56, s[60:61]
	s_waitcnt lgkmcnt(0)
	global_store_dwordx2 v47, v[42:43], s[60:61] offset:8
	s_waitcnt vmcnt(0)
	buffer_wbinvl1_vol
	global_store_byte v44, v46, s[40:41]
.LBB2229_85:
	s_or_b64 exec, exec, s[48:49]
	v_xad_u32 v44, v45, -1, s62
	v_add_u32_e32 v46, 64, v44
	global_load_ubyte v57, v46, s[40:41] glc
	s_waitcnt vmcnt(0)
	v_cmp_eq_u16_e32 vcc, 0, v57
	s_and_saveexec_b64 s[48:49], vcc
	s_cbranch_execz .LBB2229_89
; %bb.86:
	v_mov_b32_e32 v49, s41
	v_add_co_u32_e32 v48, vcc, s40, v46
	v_addc_co_u32_e32 v49, vcc, 0, v49, vcc
	s_mov_b64 s[58:59], 0
.LBB2229_87:                            ; =>This Inner Loop Header: Depth=1
	global_load_ubyte v57, v[48:49], off glc
	s_waitcnt vmcnt(0)
	v_cmp_ne_u16_e32 vcc, 0, v57
	s_or_b64 s[58:59], vcc, s[58:59]
	s_andn2_b64 exec, exec, s[58:59]
	s_cbranch_execnz .LBB2229_87
; %bb.88:
	s_or_b64 exec, exec, s[58:59]
.LBB2229_89:
	s_or_b64 exec, exec, s[48:49]
	v_mov_b32_e32 v48, s39
	v_mov_b32_e32 v49, s37
	v_cmp_eq_u16_e32 vcc, 1, v57
	v_cndmask_b32_e32 v48, v48, v49, vcc
	v_mov_b32_e32 v49, s38
	v_mov_b32_e32 v50, s36
	v_cndmask_b32_e32 v49, v49, v50, vcc
	v_lshlrev_b64 v[46:47], 4, v[46:47]
	v_add_co_u32_e32 v46, vcc, v49, v46
	v_addc_co_u32_e32 v47, vcc, v48, v47, vcc
	s_waitcnt lgkmcnt(0)
	buffer_wbinvl1_vol
	global_load_dword v72, v[46:47], off
	global_load_dwordx2 v[50:51], v[46:47], off offset:8
	v_cmp_eq_u16_e32 vcc, 2, v57
	v_lshlrev_b64 v[46:47], v45, -1
	v_and_b32_e32 v58, 63, v45
	v_and_b32_e32 v48, vcc_hi, v47
	v_and_b32_e32 v62, vcc_lo, v46
	v_cmp_ne_u32_e32 vcc, 63, v58
	v_addc_co_u32_e32 v49, vcc, 0, v45, vcc
	v_lshlrev_b32_e32 v59, 2, v49
	v_or_b32_e32 v48, 0x80000000, v48
	v_ffbl_b32_e32 v48, v48
	v_add_u32_e32 v48, 32, v48
	v_ffbl_b32_e32 v62, v62
	v_min_u32_e32 v48, v62, v48
	v_cmp_lt_u32_e32 vcc, v58, v48
	s_waitcnt vmcnt(1)
	ds_bpermute_b32 v60, v59, v72
	s_waitcnt vmcnt(0)
	ds_bpermute_b32 v49, v59, v50
	ds_bpermute_b32 v61, v59, v51
	s_and_saveexec_b64 s[48:49], vcc
	s_cbranch_execz .LBB2229_91
; %bb.90:
	v_cmp_eq_u32_e32 vcc, 0, v72
	s_waitcnt lgkmcnt(1)
	v_cndmask_b32_e32 v49, 0, v49, vcc
	v_add_u32_e32 v60, v60, v72
	s_waitcnt lgkmcnt(0)
	v_cndmask_b32_e32 v61, 0, v61, vcc
	v_add_co_u32_e32 v50, vcc, v49, v50
	v_addc_co_u32_e32 v51, vcc, v61, v51, vcc
	v_mov_b32_e32 v72, v60
.LBB2229_91:
	s_or_b64 exec, exec, s[48:49]
	v_cmp_gt_u32_e32 vcc, 62, v58
	s_waitcnt lgkmcnt(1)
	v_cndmask_b32_e64 v49, 0, 1, vcc
	v_lshlrev_b32_e32 v49, 1, v49
	v_add_lshl_u32 v60, v49, v45, 2
	ds_bpermute_b32 v62, v60, v72
	ds_bpermute_b32 v49, v60, v50
	ds_bpermute_b32 v63, v60, v51
	s_waitcnt lgkmcnt(3)
	v_add_u32_e32 v61, 2, v58
	v_cmp_le_u32_e32 vcc, v61, v48
	s_and_saveexec_b64 s[48:49], vcc
	s_cbranch_execz .LBB2229_93
; %bb.92:
	v_cmp_eq_u32_e32 vcc, 0, v72
	s_waitcnt lgkmcnt(1)
	v_cndmask_b32_e32 v49, 0, v49, vcc
	v_add_u32_e32 v62, v62, v72
	s_waitcnt lgkmcnt(0)
	v_cndmask_b32_e32 v63, 0, v63, vcc
	v_add_co_u32_e32 v50, vcc, v49, v50
	v_addc_co_u32_e32 v51, vcc, v63, v51, vcc
	v_mov_b32_e32 v72, v62
.LBB2229_93:
	s_or_b64 exec, exec, s[48:49]
	v_cmp_gt_u32_e32 vcc, 60, v58
	s_waitcnt lgkmcnt(1)
	v_cndmask_b32_e64 v49, 0, 1, vcc
	v_lshlrev_b32_e32 v49, 2, v49
	v_add_lshl_u32 v62, v49, v45, 2
	ds_bpermute_b32 v64, v62, v72
	ds_bpermute_b32 v49, v62, v50
	ds_bpermute_b32 v65, v62, v51
	s_waitcnt lgkmcnt(3)
	v_add_u32_e32 v63, 4, v58
	v_cmp_le_u32_e32 vcc, v63, v48
	;; [unrolled: 25-line block ×4, first 2 shown]
	s_and_saveexec_b64 s[48:49], vcc
	s_cbranch_execz .LBB2229_99
; %bb.98:
	v_cmp_eq_u32_e32 vcc, 0, v72
	s_waitcnt lgkmcnt(1)
	v_cndmask_b32_e32 v49, 0, v49, vcc
	v_add_u32_e32 v68, v68, v72
	s_waitcnt lgkmcnt(0)
	v_cndmask_b32_e32 v69, 0, v69, vcc
	v_add_co_u32_e32 v50, vcc, v49, v50
	v_addc_co_u32_e32 v51, vcc, v69, v51, vcc
	v_mov_b32_e32 v72, v68
.LBB2229_99:
	s_or_b64 exec, exec, s[48:49]
	v_cmp_gt_u32_e32 vcc, 32, v58
	s_waitcnt lgkmcnt(1)
	v_cndmask_b32_e64 v49, 0, 1, vcc
	v_lshlrev_b32_e32 v49, 5, v49
	v_add_lshl_u32 v68, v49, v45, 2
	ds_bpermute_b32 v49, v68, v72
	ds_bpermute_b32 v45, v68, v50
	s_waitcnt lgkmcnt(2)
	ds_bpermute_b32 v69, v68, v51
	v_add_u32_e32 v70, 32, v58
	v_cmp_le_u32_e32 vcc, v70, v48
	s_and_saveexec_b64 s[48:49], vcc
	s_cbranch_execz .LBB2229_101
; %bb.100:
	v_cmp_eq_u32_e32 vcc, 0, v72
	s_waitcnt lgkmcnt(1)
	v_cndmask_b32_e32 v45, 0, v45, vcc
	v_add_u32_e32 v48, v49, v72
	s_waitcnt lgkmcnt(0)
	v_cndmask_b32_e32 v49, 0, v69, vcc
	v_add_co_u32_e32 v50, vcc, v45, v50
	v_addc_co_u32_e32 v51, vcc, v49, v51, vcc
	v_mov_b32_e32 v72, v48
.LBB2229_101:
	s_or_b64 exec, exec, s[48:49]
	s_waitcnt lgkmcnt(1)
	v_mov_b32_e32 v45, 0
	v_mov_b32_e32 v71, 2
	s_branch .LBB2229_103
.LBB2229_102:                           ;   in Loop: Header=BB2229_103 Depth=1
	s_or_b64 exec, exec, s[48:49]
	v_cmp_eq_u32_e32 vcc, 0, v69
	v_cndmask_b32_e32 v50, 0, v50, vcc
	v_cndmask_b32_e32 v51, 0, v51, vcc
	v_add_co_u32_e32 v50, vcc, v50, v48
	v_subrev_u32_e32 v44, 64, v44
	v_add_u32_e32 v72, v73, v69
	v_addc_co_u32_e32 v51, vcc, v51, v49, vcc
.LBB2229_103:                           ; =>This Loop Header: Depth=1
                                        ;     Child Loop BB2229_106 Depth 2
	v_cmp_ne_u16_sdwa s[48:49], v57, v71 src0_sel:BYTE_0 src1_sel:DWORD
	v_pk_mov_b32 v[48:49], v[50:51], v[50:51] op_sel:[0,1]
	v_cndmask_b32_e64 v50, 0, 1, s[48:49]
	;;#ASMSTART
	;;#ASMEND
	v_cmp_ne_u32_e32 vcc, 0, v50
	s_cmp_lg_u64 vcc, exec
	s_waitcnt lgkmcnt(0)
	v_mov_b32_e32 v69, v72
	s_cbranch_scc1 .LBB2229_120
; %bb.104:                              ;   in Loop: Header=BB2229_103 Depth=1
	global_load_ubyte v57, v44, s[40:41] glc
	s_waitcnt vmcnt(0)
	v_cmp_eq_u16_e32 vcc, 0, v57
	s_and_saveexec_b64 s[48:49], vcc
	s_cbranch_execz .LBB2229_108
; %bb.105:                              ;   in Loop: Header=BB2229_103 Depth=1
	v_mov_b32_e32 v51, s41
	v_add_co_u32_e32 v50, vcc, s40, v44
	v_addc_co_u32_e32 v51, vcc, 0, v51, vcc
	s_mov_b64 s[58:59], 0
.LBB2229_106:                           ;   Parent Loop BB2229_103 Depth=1
                                        ; =>  This Inner Loop Header: Depth=2
	global_load_ubyte v57, v[50:51], off glc
	s_waitcnt vmcnt(0)
	v_cmp_ne_u16_e32 vcc, 0, v57
	s_or_b64 s[58:59], vcc, s[58:59]
	s_andn2_b64 exec, exec, s[58:59]
	s_cbranch_execnz .LBB2229_106
; %bb.107:                              ;   in Loop: Header=BB2229_103 Depth=1
	s_or_b64 exec, exec, s[58:59]
.LBB2229_108:                           ;   in Loop: Header=BB2229_103 Depth=1
	s_or_b64 exec, exec, s[48:49]
	v_mov_b32_e32 v50, s39
	v_mov_b32_e32 v51, s37
	v_cmp_eq_u16_e32 vcc, 1, v57
	v_cndmask_b32_e32 v72, v50, v51, vcc
	v_mov_b32_e32 v50, s38
	v_mov_b32_e32 v51, s36
	v_cndmask_b32_e32 v73, v50, v51, vcc
	v_lshlrev_b64 v[50:51], 4, v[44:45]
	v_add_co_u32_e32 v50, vcc, v73, v50
	v_addc_co_u32_e32 v51, vcc, v72, v51, vcc
	buffer_wbinvl1_vol
	global_load_dword v73, v[50:51], off
	s_nop 0
	global_load_dwordx2 v[50:51], v[50:51], off offset:8
	v_cmp_eq_u16_e32 vcc, 2, v57
	v_and_b32_e32 v72, vcc_hi, v47
	v_or_b32_e32 v72, 0x80000000, v72
	v_and_b32_e32 v93, vcc_lo, v46
	v_ffbl_b32_e32 v72, v72
	v_add_u32_e32 v72, 32, v72
	v_ffbl_b32_e32 v93, v93
	v_min_u32_e32 v72, v93, v72
	v_cmp_lt_u32_e32 vcc, v58, v72
	s_waitcnt vmcnt(1)
	ds_bpermute_b32 v75, v59, v73
	s_waitcnt vmcnt(0)
	ds_bpermute_b32 v74, v59, v50
	ds_bpermute_b32 v90, v59, v51
	s_and_saveexec_b64 s[48:49], vcc
	s_cbranch_execz .LBB2229_110
; %bb.109:                              ;   in Loop: Header=BB2229_103 Depth=1
	v_cmp_eq_u32_e32 vcc, 0, v73
	s_waitcnt lgkmcnt(1)
	v_cndmask_b32_e32 v74, 0, v74, vcc
	v_add_u32_e32 v75, v75, v73
	s_waitcnt lgkmcnt(0)
	v_cndmask_b32_e32 v73, 0, v90, vcc
	v_add_co_u32_e32 v50, vcc, v74, v50
	v_addc_co_u32_e32 v51, vcc, v73, v51, vcc
	v_mov_b32_e32 v73, v75
.LBB2229_110:                           ;   in Loop: Header=BB2229_103 Depth=1
	s_or_b64 exec, exec, s[48:49]
	s_waitcnt lgkmcnt(2)
	ds_bpermute_b32 v75, v60, v73
	s_waitcnt lgkmcnt(2)
	ds_bpermute_b32 v74, v60, v50
	s_waitcnt lgkmcnt(2)
	ds_bpermute_b32 v90, v60, v51
	v_cmp_le_u32_e32 vcc, v61, v72
	s_and_saveexec_b64 s[48:49], vcc
	s_cbranch_execz .LBB2229_112
; %bb.111:                              ;   in Loop: Header=BB2229_103 Depth=1
	v_cmp_eq_u32_e32 vcc, 0, v73
	s_waitcnt lgkmcnt(1)
	v_cndmask_b32_e32 v74, 0, v74, vcc
	v_add_u32_e32 v75, v75, v73
	s_waitcnt lgkmcnt(0)
	v_cndmask_b32_e32 v73, 0, v90, vcc
	v_add_co_u32_e32 v50, vcc, v74, v50
	v_addc_co_u32_e32 v51, vcc, v73, v51, vcc
	v_mov_b32_e32 v73, v75
.LBB2229_112:                           ;   in Loop: Header=BB2229_103 Depth=1
	s_or_b64 exec, exec, s[48:49]
	s_waitcnt lgkmcnt(2)
	ds_bpermute_b32 v75, v62, v73
	s_waitcnt lgkmcnt(2)
	ds_bpermute_b32 v74, v62, v50
	s_waitcnt lgkmcnt(2)
	ds_bpermute_b32 v90, v62, v51
	v_cmp_le_u32_e32 vcc, v63, v72
	;; [unrolled: 21-line block ×5, first 2 shown]
	s_and_saveexec_b64 s[48:49], vcc
	s_cbranch_execz .LBB2229_102
; %bb.119:                              ;   in Loop: Header=BB2229_103 Depth=1
	v_cmp_eq_u32_e32 vcc, 0, v73
	s_waitcnt lgkmcnt(1)
	v_cndmask_b32_e32 v74, 0, v74, vcc
	v_add_u32_e32 v72, v75, v73
	s_waitcnt lgkmcnt(0)
	v_cndmask_b32_e32 v73, 0, v90, vcc
	v_add_co_u32_e32 v50, vcc, v74, v50
	v_addc_co_u32_e32 v51, vcc, v73, v51, vcc
	v_mov_b32_e32 v73, v72
	s_branch .LBB2229_102
.LBB2229_120:                           ;   in Loop: Header=BB2229_103 Depth=1
                                        ; implicit-def: $vgpr50_vgpr51
                                        ; implicit-def: $vgpr72
                                        ; implicit-def: $vgpr57
	s_cbranch_execz .LBB2229_103
; %bb.121:
	s_and_saveexec_b64 s[36:37], s[28:29]
	s_cbranch_execz .LBB2229_123
; %bb.122:
	s_mov_b32 s49, 0
	v_cmp_eq_u32_e32 vcc, 0, v56
	s_add_i32 s48, s62, 64
	v_cndmask_b32_e32 v44, 0, v48, vcc
	s_lshl_b64 s[58:59], s[48:49], 4
	v_cndmask_b32_e32 v45, 0, v49, vcc
	v_add_co_u32_e32 v44, vcc, v44, v42
	s_add_u32 s58, s38, s58
	v_add_u32_e32 v46, v69, v56
	v_addc_co_u32_e32 v45, vcc, v45, v43, vcc
	s_addc_u32 s59, s39, s59
	v_mov_b32_e32 v47, 0
	global_store_dword v47, v46, s[58:59]
	global_store_dwordx2 v47, v[44:45], s[58:59] offset:8
	v_mov_b32_e32 v44, s48
	v_mov_b32_e32 v45, 2
	s_waitcnt vmcnt(0) lgkmcnt(0)
	buffer_wbinvl1_vol
	global_store_byte v44, v45, s[40:41]
	ds_write_b32 v47, v56 offset:1024
	ds_write_b64 v47, v[42:43] offset:1032
	ds_write_b32 v47, v69 offset:1040
	ds_write_b64 v47, v[48:49] offset:1048
.LBB2229_123:
	s_or_b64 exec, exec, s[36:37]
	s_and_b64 exec, exec, s[0:1]
	s_cbranch_execz .LBB2229_125
; %bb.124:
	v_mov_b32_e32 v42, 0
	ds_write_b32 v42, v69 offset:1104
	ds_write_b64 v42, v[48:49] offset:1112
.LBB2229_125:
	s_or_b64 exec, exec, s[42:43]
	v_mov_b32_e32 v45, 0
	s_waitcnt lgkmcnt(0)
	s_barrier
	ds_read_b32 v44, v45 offset:1104
	ds_read_b64 v[42:43], v45 offset:1112
	v_cndmask_b32_e64 v46, v53, v52, s[28:29]
	v_cmp_eq_u32_e32 vcc, 0, v46
	v_cndmask_b32_e64 v40, v54, v40, s[28:29]
	v_cndmask_b32_e64 v41, v55, v41, s[28:29]
	s_waitcnt lgkmcnt(0)
	v_cndmask_b32_e32 v48, 0, v42, vcc
	v_cndmask_b32_e32 v47, 0, v43, vcc
	v_add_co_u32_e32 v40, vcc, v48, v40
	v_addc_co_u32_e32 v41, vcc, v47, v41, vcc
	v_cndmask_b32_e64 v70, v40, v42, s[0:1]
	v_cmp_eq_u32_e32 vcc, 0, v89
	v_cndmask_b32_e64 v46, v46, 0, s[0:1]
	v_cndmask_b32_e64 v71, v41, v43, s[0:1]
	v_cndmask_b32_e32 v41, 0, v70, vcc
	v_add_u32_e32 v90, v44, v46
	v_cndmask_b32_e32 v40, 0, v71, vcc
	v_add_co_u32_e32 v46, vcc, v41, v18
	v_addc_co_u32_e32 v47, vcc, v40, v19, vcc
	v_cndmask_b32_e64 v41, 0, v46, s[26:27]
	v_cndmask_b32_e64 v40, 0, v47, s[26:27]
	v_add_co_u32_e32 v48, vcc, v41, v38
	v_addc_co_u32_e32 v49, vcc, v40, v39, vcc
	v_cndmask_b32_e64 v41, 0, v48, s[24:25]
	v_cndmask_b32_e64 v40, 0, v49, s[24:25]
	;; [unrolled: 4-line block ×11, first 2 shown]
	v_add_co_u32_e32 v68, vcc, v41, v28
	v_addc_co_u32_e32 v69, vcc, v40, v29, vcc
	s_barrier
	ds_read_b32 v40, v45 offset:1024
	ds_read_b64 v[42:43], v45 offset:1032
	ds_read_b32 v44, v45 offset:1040
	ds_read_b64 v[94:95], v45 offset:1048
	v_cndmask_b32_e64 v72, 0, v68, s[4:5]
	v_cndmask_b32_e64 v41, 0, v69, s[4:5]
	v_add_co_u32_e32 v72, vcc, v72, v6
	v_addc_co_u32_e32 v73, vcc, v41, v7, vcc
	s_waitcnt lgkmcnt(3)
	v_cmp_eq_u32_e32 vcc, 0, v40
	s_waitcnt lgkmcnt(0)
	v_cndmask_b32_e32 v45, 0, v94, vcc
	v_cndmask_b32_e32 v41, 0, v95, vcc
	v_add_co_u32_e32 v42, vcc, v45, v42
	v_cndmask_b32_e64 v75, 0, v73, s[2:3]
	v_cndmask_b32_e64 v74, 0, v72, s[2:3]
	v_addc_co_u32_e32 v43, vcc, v41, v43, vcc
	s_branch .LBB2229_154
.LBB2229_126:
                                        ; implicit-def: $vgpr40
                                        ; implicit-def: $vgpr42_vgpr43
                                        ; implicit-def: $vgpr44
                                        ; implicit-def: $vgpr70_vgpr71
                                        ; implicit-def: $vgpr46_vgpr47
                                        ; implicit-def: $vgpr48_vgpr49
                                        ; implicit-def: $vgpr50_vgpr51
                                        ; implicit-def: $vgpr52_vgpr53
                                        ; implicit-def: $vgpr54_vgpr55
                                        ; implicit-def: $vgpr56_vgpr57
                                        ; implicit-def: $vgpr58_vgpr59
                                        ; implicit-def: $vgpr60_vgpr61
                                        ; implicit-def: $vgpr62_vgpr63
                                        ; implicit-def: $vgpr64_vgpr65
                                        ; implicit-def: $vgpr66_vgpr67
                                        ; implicit-def: $vgpr68_vgpr69
                                        ; implicit-def: $vgpr72_vgpr73
                                        ; implicit-def: $vgpr74_vgpr75
                                        ; implicit-def: $vgpr90
	s_cbranch_execz .LBB2229_154
; %bb.127:
	s_and_b64 s[2:3], s[34:35], exec
	s_cselect_b32 s3, 0, s31
	s_cselect_b32 s2, 0, s30
	s_cmp_eq_u64 s[2:3], 0
	v_pk_mov_b32 v[44:45], v[18:19], v[18:19] op_sel:[0,1]
	s_cbranch_scc1 .LBB2229_129
; %bb.128:
	v_mov_b32_e32 v40, 0
	global_load_dwordx2 v[44:45], v40, s[2:3]
.LBB2229_129:
	v_cmp_eq_u32_e64 s[24:25], 0, v88
	v_cndmask_b32_e64 v41, 0, v18, s[24:25]
	v_cndmask_b32_e64 v40, 0, v19, s[24:25]
	v_add_co_u32_e32 v41, vcc, v41, v38
	v_cmp_eq_u32_e64 s[22:23], 0, v87
	v_addc_co_u32_e32 v40, vcc, v40, v39, vcc
	v_cndmask_b32_e64 v41, 0, v41, s[22:23]
	v_cndmask_b32_e64 v40, 0, v40, s[22:23]
	v_add_co_u32_e32 v41, vcc, v41, v20
	v_cmp_eq_u32_e64 s[20:21], 0, v86
	v_addc_co_u32_e32 v40, vcc, v40, v21, vcc
	;; [unrolled: 5-line block ×11, first 2 shown]
	v_cndmask_b32_e64 v41, 0, v41, s[4:5]
	v_cndmask_b32_e64 v40, 0, v40, s[4:5]
	v_add_co_u32_e32 v41, vcc, v41, v6
	v_addc_co_u32_e32 v40, vcc, v40, v7, vcc
	v_cmp_eq_u32_e32 vcc, 0, v76
	v_cndmask_b32_e32 v41, 0, v41, vcc
	v_add3_u32 v42, v92, v84, v83
	v_cndmask_b32_e32 v40, 0, v40, vcc
	v_add_co_u32_e64 v41, s[26:27], v41, v26
	v_add3_u32 v42, v42, v82, v81
	v_addc_co_u32_e64 v40, s[26:27], v40, v27, s[26:27]
	v_add3_u32 v42, v42, v80, v79
	v_cmp_eq_u32_e64 s[26:27], 0, v25
	v_add3_u32 v42, v42, v78, v77
	v_cndmask_b32_e64 v41, 0, v41, s[26:27]
	v_add3_u32 v43, v42, v76, v25
	v_cndmask_b32_e64 v40, 0, v40, s[26:27]
	v_add_co_u32_e64 v8, s[26:27], v41, v8
	v_mbcnt_hi_u32_b32 v42, -1, v91
	v_addc_co_u32_e64 v9, s[26:27], v40, v9, s[26:27]
	v_and_b32_e32 v40, 15, v42
	v_mov_b32_dpp v46, v43 row_shr:1 row_mask:0xf bank_mask:0xf
	v_mov_b32_dpp v41, v8 row_shr:1 row_mask:0xf bank_mask:0xf
	;; [unrolled: 1-line block ×3, first 2 shown]
	v_cmp_ne_u32_e64 s[26:27], 0, v40
	s_and_saveexec_b64 s[28:29], s[26:27]
; %bb.130:
	v_cmp_eq_u32_e64 s[26:27], 0, v43
	v_cndmask_b32_e64 v41, 0, v41, s[26:27]
	v_add_u32_e32 v46, v46, v43
	v_cndmask_b32_e64 v43, 0, v47, s[26:27]
	v_add_co_u32_e64 v8, s[26:27], v41, v8
	v_addc_co_u32_e64 v9, s[26:27], v43, v9, s[26:27]
	v_mov_b32_e32 v43, v46
; %bb.131:
	s_or_b64 exec, exec, s[28:29]
	s_nop 0
	v_mov_b32_dpp v46, v43 row_shr:2 row_mask:0xf bank_mask:0xf
	v_mov_b32_dpp v41, v8 row_shr:2 row_mask:0xf bank_mask:0xf
	v_mov_b32_dpp v47, v9 row_shr:2 row_mask:0xf bank_mask:0xf
	v_cmp_lt_u32_e64 s[26:27], 1, v40
	s_and_saveexec_b64 s[28:29], s[26:27]
; %bb.132:
	v_cmp_eq_u32_e64 s[26:27], 0, v43
	v_cndmask_b32_e64 v41, 0, v41, s[26:27]
	v_add_u32_e32 v46, v46, v43
	v_cndmask_b32_e64 v43, 0, v47, s[26:27]
	v_add_co_u32_e64 v8, s[26:27], v41, v8
	v_addc_co_u32_e64 v9, s[26:27], v43, v9, s[26:27]
	v_mov_b32_e32 v43, v46
; %bb.133:
	s_or_b64 exec, exec, s[28:29]
	s_nop 0
	v_mov_b32_dpp v46, v43 row_shr:4 row_mask:0xf bank_mask:0xf
	v_mov_b32_dpp v41, v8 row_shr:4 row_mask:0xf bank_mask:0xf
	v_mov_b32_dpp v47, v9 row_shr:4 row_mask:0xf bank_mask:0xf
	v_cmp_lt_u32_e64 s[26:27], 3, v40
	;; [unrolled: 16-line block ×3, first 2 shown]
	s_and_saveexec_b64 s[28:29], s[26:27]
; %bb.136:
	v_cmp_eq_u32_e64 s[26:27], 0, v43
	v_cndmask_b32_e64 v41, 0, v41, s[26:27]
	v_add_u32_e32 v40, v46, v43
	v_cndmask_b32_e64 v43, 0, v47, s[26:27]
	v_add_co_u32_e64 v8, s[26:27], v41, v8
	v_addc_co_u32_e64 v9, s[26:27], v43, v9, s[26:27]
	v_mov_b32_e32 v43, v40
; %bb.137:
	s_or_b64 exec, exec, s[28:29]
	v_and_b32_e32 v47, 16, v42
	v_mov_b32_dpp v41, v43 row_bcast:15 row_mask:0xf bank_mask:0xf
	v_mov_b32_dpp v40, v8 row_bcast:15 row_mask:0xf bank_mask:0xf
	v_mov_b32_dpp v46, v9 row_bcast:15 row_mask:0xf bank_mask:0xf
	v_cmp_ne_u32_e64 s[26:27], 0, v47
	s_and_saveexec_b64 s[28:29], s[26:27]
; %bb.138:
	v_cmp_eq_u32_e64 s[26:27], 0, v43
	v_cndmask_b32_e64 v40, 0, v40, s[26:27]
	v_add_u32_e32 v41, v41, v43
	v_cndmask_b32_e64 v43, 0, v46, s[26:27]
	v_add_co_u32_e64 v8, s[26:27], v40, v8
	v_addc_co_u32_e64 v9, s[26:27], v43, v9, s[26:27]
	v_mov_b32_e32 v43, v41
; %bb.139:
	s_or_b64 exec, exec, s[28:29]
	s_nop 0
	v_mov_b32_dpp v41, v43 row_bcast:31 row_mask:0xf bank_mask:0xf
	v_mov_b32_dpp v40, v8 row_bcast:31 row_mask:0xf bank_mask:0xf
	;; [unrolled: 1-line block ×3, first 2 shown]
	v_cmp_lt_u32_e64 s[26:27], 31, v42
	s_and_saveexec_b64 s[28:29], s[26:27]
; %bb.140:
	v_cmp_eq_u32_e64 s[26:27], 0, v43
	v_cndmask_b32_e64 v40, 0, v40, s[26:27]
	v_add_u32_e32 v41, v41, v43
	v_cndmask_b32_e64 v43, 0, v46, s[26:27]
	v_add_co_u32_e64 v8, s[26:27], v40, v8
	v_addc_co_u32_e64 v9, s[26:27], v43, v9, s[26:27]
	v_mov_b32_e32 v43, v41
; %bb.141:
	s_or_b64 exec, exec, s[28:29]
	v_lshrrev_b32_e32 v40, 6, v0
	v_or_b32_e32 v41, 63, v0
	v_cmp_eq_u32_e64 s[26:27], v41, v0
	v_lshlrev_b32_e32 v46, 4, v40
	s_and_saveexec_b64 s[28:29], s[26:27]
	s_cbranch_execz .LBB2229_143
; %bb.142:
	ds_write_b32 v46, v43 offset:1056
	ds_write_b64 v46, v[8:9] offset:1064
.LBB2229_143:
	s_or_b64 exec, exec, s[28:29]
	v_cmp_gt_u32_e64 s[26:27], 4, v0
	s_waitcnt lgkmcnt(0)
	s_barrier
	s_and_saveexec_b64 s[28:29], s[26:27]
	s_cbranch_execz .LBB2229_149
; %bb.144:
	v_lshlrev_b32_e32 v47, 4, v0
	ds_read_b32 v48, v47 offset:1056
	ds_read_b64 v[40:41], v47 offset:1064
	v_and_b32_e32 v49, 3, v42
	v_cmp_ne_u32_e64 s[26:27], 0, v49
	s_waitcnt lgkmcnt(1)
	v_mov_b32_dpp v51, v48 row_shr:1 row_mask:0xf bank_mask:0xf
	s_waitcnt lgkmcnt(0)
	v_mov_b32_dpp v50, v40 row_shr:1 row_mask:0xf bank_mask:0xf
	v_mov_b32_dpp v52, v41 row_shr:1 row_mask:0xf bank_mask:0xf
	s_and_saveexec_b64 s[30:31], s[26:27]
; %bb.145:
	v_cmp_eq_u32_e64 s[26:27], 0, v48
	v_cndmask_b32_e64 v50, 0, v50, s[26:27]
	v_add_u32_e32 v51, v51, v48
	v_cndmask_b32_e64 v48, 0, v52, s[26:27]
	v_add_co_u32_e64 v40, s[26:27], v50, v40
	v_addc_co_u32_e64 v41, s[26:27], v48, v41, s[26:27]
	v_mov_b32_e32 v48, v51
; %bb.146:
	s_or_b64 exec, exec, s[30:31]
	s_nop 0
	v_mov_b32_dpp v51, v48 row_shr:2 row_mask:0xf bank_mask:0xf
	v_mov_b32_dpp v50, v40 row_shr:2 row_mask:0xf bank_mask:0xf
	;; [unrolled: 1-line block ×3, first 2 shown]
	v_cmp_lt_u32_e64 s[26:27], 1, v49
	s_and_saveexec_b64 s[30:31], s[26:27]
; %bb.147:
	v_cmp_eq_u32_e64 s[26:27], 0, v48
	v_cndmask_b32_e64 v50, 0, v50, s[26:27]
	v_add_u32_e32 v49, v51, v48
	v_cndmask_b32_e64 v48, 0, v52, s[26:27]
	v_add_co_u32_e64 v40, s[26:27], v50, v40
	v_addc_co_u32_e64 v41, s[26:27], v48, v41, s[26:27]
	v_mov_b32_e32 v48, v49
; %bb.148:
	s_or_b64 exec, exec, s[30:31]
	ds_write_b32 v47, v48 offset:1056
	ds_write_b64 v47, v[40:41] offset:1064
.LBB2229_149:
	s_or_b64 exec, exec, s[28:29]
	v_cmp_lt_u32_e64 s[26:27], 63, v0
	v_mov_b32_e32 v91, 0
	v_mov_b32_e32 v47, 0
	s_waitcnt vmcnt(0)
	v_pk_mov_b32 v[40:41], v[44:45], v[44:45] op_sel:[0,1]
	s_waitcnt lgkmcnt(0)
	s_barrier
	s_and_saveexec_b64 s[28:29], s[26:27]
	s_cbranch_execz .LBB2229_151
; %bb.150:
	ds_read_b32 v47, v46 offset:1040
	ds_read_b64 v[40:41], v46 offset:1048
	s_waitcnt lgkmcnt(1)
	v_cmp_eq_u32_e64 s[26:27], 0, v47
	v_cndmask_b32_e64 v48, 0, v44, s[26:27]
	v_cndmask_b32_e64 v46, 0, v45, s[26:27]
	s_waitcnt lgkmcnt(0)
	v_add_co_u32_e64 v40, s[26:27], v48, v40
	v_addc_co_u32_e64 v41, s[26:27], v46, v41, s[26:27]
.LBB2229_151:
	s_or_b64 exec, exec, s[28:29]
	v_cmp_eq_u32_e64 s[26:27], 0, v43
	v_cndmask_b32_e64 v48, 0, v40, s[26:27]
	v_add_u32_e32 v46, v47, v43
	v_cndmask_b32_e64 v43, 0, v41, s[26:27]
	v_add_co_u32_e64 v8, s[26:27], v48, v8
	v_addc_co_u32_e64 v9, s[26:27], v43, v9, s[26:27]
	v_add_u32_e32 v43, -1, v42
	v_and_b32_e32 v48, 64, v42
	v_cmp_lt_i32_e64 s[26:27], v43, v48
	v_cndmask_b32_e64 v43, v43, v42, s[26:27]
	v_lshlrev_b32_e32 v43, 2, v43
	ds_bpermute_b32 v8, v43, v8
	ds_bpermute_b32 v46, v43, v46
	;; [unrolled: 1-line block ×3, first 2 shown]
	v_cmp_eq_u32_e64 s[26:27], 0, v42
	s_waitcnt lgkmcnt(2)
	v_cndmask_b32_e64 v70, v8, v40, s[26:27]
	s_waitcnt lgkmcnt(1)
	v_cndmask_b32_e64 v90, v46, v47, s[26:27]
	;; [unrolled: 2-line block ×3, first 2 shown]
	v_cndmask_b32_e64 v8, v70, v44, s[0:1]
	v_cmp_eq_u32_e64 s[26:27], 0, v89
	v_cndmask_b32_e64 v9, v71, v45, s[0:1]
	v_cndmask_b32_e64 v8, 0, v8, s[26:27]
	;; [unrolled: 1-line block ×3, first 2 shown]
	v_add_co_u32_e64 v46, s[26:27], v8, v18
	v_addc_co_u32_e64 v47, s[26:27], v9, v19, s[26:27]
	v_cndmask_b32_e64 v9, 0, v46, s[24:25]
	v_cndmask_b32_e64 v8, 0, v47, s[24:25]
	v_add_co_u32_e64 v48, s[24:25], v9, v38
	v_addc_co_u32_e64 v49, s[24:25], v8, v39, s[24:25]
	v_cndmask_b32_e64 v9, 0, v48, s[22:23]
	v_cndmask_b32_e64 v8, 0, v49, s[22:23]
	;; [unrolled: 4-line block ×11, first 2 shown]
	v_add_co_u32_e64 v68, s[2:3], v9, v28
	v_addc_co_u32_e64 v69, s[2:3], v8, v29, s[2:3]
	v_cndmask_b32_e64 v9, 0, v68, s[4:5]
	ds_read_b32 v40, v91 offset:1104
	v_cndmask_b32_e64 v8, 0, v69, s[4:5]
	v_add_co_u32_e64 v72, s[2:3], v9, v6
	v_addc_co_u32_e64 v73, s[2:3], v8, v7, s[2:3]
	ds_read_b64 v[6:7], v91 offset:1112
	v_cndmask_b32_e32 v75, 0, v73, vcc
	v_cndmask_b32_e32 v74, 0, v72, vcc
	s_waitcnt lgkmcnt(1)
	v_cmp_eq_u32_e32 vcc, 0, v40
	v_cndmask_b32_e32 v9, 0, v44, vcc
	v_cndmask_b32_e32 v8, 0, v45, vcc
	s_waitcnt lgkmcnt(0)
	v_add_co_u32_e32 v42, vcc, v9, v6
	v_addc_co_u32_e32 v43, vcc, v8, v7, vcc
	s_and_saveexec_b64 s[2:3], s[0:1]
	s_cbranch_execz .LBB2229_153
; %bb.152:
	v_mov_b32_e32 v90, 0
	v_mov_b32_e32 v6, 2
	v_pk_mov_b32 v[70:71], v[44:45], v[44:45] op_sel:[0,1]
	global_store_dword v90, v40, s[38:39] offset:1024
	global_store_dwordx2 v90, v[42:43], s[38:39] offset:1032
	s_waitcnt vmcnt(0)
	buffer_wbinvl1_vol
	global_store_byte v90, v6, s[40:41] offset:64
.LBB2229_153:
	s_or_b64 exec, exec, s[2:3]
	v_mov_b32_e32 v44, 0
.LBB2229_154:
	s_and_b64 s[2:3], s[34:35], exec
	s_cselect_b32 s3, 0, s51
	s_cselect_b32 s2, 0, s50
	s_cmp_eq_u64 s[2:3], 0
	v_pk_mov_b32 v[8:9], 0, 0
	s_barrier
	s_cbranch_scc1 .LBB2229_156
; %bb.155:
	v_mov_b32_e32 v6, 0
	global_load_dwordx2 v[8:9], v6, s[2:3]
.LBB2229_156:
	s_waitcnt vmcnt(0)
	v_lshlrev_b64 v[6:7], 1, v[8:9]
	v_mov_b32_e32 v10, s53
	v_add_co_u32_e32 v11, vcc, s52, v6
	v_mov_b32_e32 v45, 0
	v_addc_co_u32_e32 v10, vcc, v10, v7, vcc
	v_lshlrev_b64 v[6:7], 1, v[44:45]
	v_add_co_u32_e32 v32, vcc, v11, v6
	v_addc_co_u32_e32 v33, vcc, v10, v7, vcc
	v_cmp_eq_u32_e32 vcc, 0, v89
	v_cndmask_b32_e64 v6, 1, 2, vcc
	v_cmp_eq_u32_e32 vcc, 0, v88
	v_cndmask_b32_e64 v7, 1, 2, vcc
	v_cmp_eq_u32_e32 vcc, 0, v87
	v_and_b32_e32 v6, v7, v6
	v_cndmask_b32_e64 v7, 1, 2, vcc
	v_cmp_eq_u32_e32 vcc, 0, v86
	v_add_u32_e32 v31, v90, v89
	v_and_b32_e32 v6, v6, v7
	v_cndmask_b32_e64 v7, 1, 2, vcc
	v_cmp_eq_u32_e32 vcc, 0, v85
	v_add_u32_e32 v30, v31, v88
	;; [unrolled: 4-line block ×12, first 2 shown]
	v_and_b32_e32 v6, v6, v7
	v_cndmask_b32_e64 v7, 1, 2, vcc
	s_movk_i32 s34, 0x100
	v_add_u32_e32 v13, v14, v77
	v_and_b32_e32 v6, v6, v7
	v_cmp_gt_u32_e32 vcc, s34, v40
	v_add_u32_e32 v12, v13, v76
	v_cmp_ne_u32_e64 s[30:31], 0, v89
	v_cmp_ne_u32_e64 s[28:29], 0, v88
	;; [unrolled: 1-line block ×15, first 2 shown]
	s_mov_b64 s[36:37], -1
	v_cmp_gt_i16_e64 s[34:35], 2, v6
	s_cbranch_vccz .LBB2229_163
; %bb.157:
	s_and_saveexec_b64 s[36:37], s[34:35]
	s_cbranch_execz .LBB2229_162
; %bb.158:
	v_cmp_ne_u16_e32 vcc, 1, v6
	s_mov_b64 s[38:39], 0
	s_and_saveexec_b64 s[34:35], vcc
	s_xor_b64 s[34:35], exec, s[34:35]
	s_cbranch_execnz .LBB2229_207
; %bb.159:
	s_andn2_saveexec_b64 s[34:35], s[34:35]
	s_cbranch_execnz .LBB2229_223
.LBB2229_160:
	s_or_b64 exec, exec, s[34:35]
	s_and_b64 exec, exec, s[38:39]
	s_cbranch_execz .LBB2229_162
.LBB2229_161:
	v_sub_u32_e32 v10, v12, v44
	v_mov_b32_e32 v11, 0
	v_lshlrev_b64 v[10:11], 1, v[10:11]
	v_add_co_u32_e32 v10, vcc, v32, v10
	v_addc_co_u32_e32 v11, vcc, v33, v11, vcc
	global_store_short_d16_hi v[10:11], v24, off
.LBB2229_162:
	s_or_b64 exec, exec, s[36:37]
	s_mov_b64 s[36:37], 0
.LBB2229_163:
	s_and_b64 vcc, exec, s[36:37]
	s_cbranch_vccz .LBB2229_185
; %bb.164:
	v_cmp_gt_i16_e32 vcc, 2, v6
	s_and_saveexec_b64 s[34:35], vcc
	s_cbranch_execz .LBB2229_169
; %bb.165:
	v_cmp_ne_u16_e32 vcc, 1, v6
	s_mov_b64 s[38:39], 0
	s_and_saveexec_b64 s[36:37], vcc
	s_xor_b64 s[36:37], exec, s[36:37]
	s_cbranch_execnz .LBB2229_224
; %bb.166:
	s_andn2_saveexec_b64 s[2:3], s[36:37]
	s_cbranch_execnz .LBB2229_240
.LBB2229_167:
	s_or_b64 exec, exec, s[2:3]
	s_and_b64 exec, exec, s[38:39]
	s_cbranch_execz .LBB2229_169
.LBB2229_168:
	v_sub_u32_e32 v1, v12, v44
	v_lshlrev_b32_e32 v1, 1, v1
	ds_write_b16_d16_hi v1, v24
.LBB2229_169:
	s_or_b64 exec, exec, s[34:35]
	v_cmp_lt_u32_e32 vcc, v0, v40
	s_waitcnt lgkmcnt(0)
	s_barrier
	s_and_saveexec_b64 s[4:5], vcc
	s_cbranch_execz .LBB2229_184
; %bb.170:
	v_xad_u32 v1, v0, -1, v40
	s_movk_i32 s2, 0x1700
	v_cmp_gt_u32_e64 s[6:7], s2, v1
	s_movk_i32 s2, 0x16ff
	v_cmp_lt_u32_e32 vcc, s2, v1
	v_mov_b32_e32 v2, v0
	s_and_saveexec_b64 s[8:9], vcc
	s_cbranch_execz .LBB2229_181
; %bb.171:
	v_sub_u32_e32 v2, v0, v40
	v_or_b32_e32 v2, 0xff, v2
	v_cmp_ge_u32_e32 vcc, v2, v0
	s_mov_b64 s[2:3], -1
	v_mov_b32_e32 v2, v0
	s_and_saveexec_b64 s[10:11], vcc
	s_cbranch_execz .LBB2229_180
; %bb.172:
	v_lshrrev_b32_e32 v22, 8, v1
	v_add_u32_e32 v4, -3, v22
	v_or_b32_e32 v3, 0x300, v0
	v_or_b32_e32 v2, 0x200, v0
	v_lshrrev_b32_e32 v5, 2, v4
	v_or_b32_e32 v1, 0x100, v0
	v_add_u32_e32 v24, 1, v5
	v_cmp_lt_u32_e32 vcc, 11, v4
	v_pk_mov_b32 v[6:7], v[2:3], v[2:3] op_sel:[0,1]
	v_mov_b32_e32 v36, 0
	v_lshlrev_b32_e32 v23, 1, v0
	v_pk_mov_b32 v[4:5], v[0:1], v[0:1] op_sel:[0,1]
	s_and_saveexec_b64 s[12:13], vcc
	s_cbranch_execz .LBB2229_176
; %bb.173:
	v_pk_mov_b32 v[6:7], v[2:3], v[2:3] op_sel:[0,1]
	v_and_b32_e32 v34, 0x7ffffffc, v24
	s_mov_b32 s16, 0
	s_mov_b64 s[14:15], 0
	v_mov_b32_e32 v11, 0
	v_mov_b32_e32 v35, v23
	v_pk_mov_b32 v[4:5], v[0:1], v[0:1] op_sel:[0,1]
.LBB2229_174:                           ; =>This Inner Loop Header: Depth=1
	v_mov_b32_e32 v10, v4
	v_lshlrev_b64 v[104:105], 1, v[10:11]
	v_add_u32_e32 v38, 0x400, v5
	v_mov_b32_e32 v39, v11
	v_add_co_u32_e64 v104, s[2:3], v32, v104
	v_lshlrev_b64 v[38:39], 1, v[38:39]
	v_addc_co_u32_e64 v105, s[2:3], v33, v105, s[2:3]
	v_add_u32_e32 v36, 0x400, v6
	v_mov_b32_e32 v37, v11
	v_add_co_u32_e64 v38, s[2:3], v32, v38
	v_lshlrev_b64 v[106:107], 1, v[36:37]
	v_addc_co_u32_e64 v39, s[2:3], v33, v39, s[2:3]
	v_add_u32_e32 v2, 0x400, v7
	v_mov_b32_e32 v3, v11
	v_add_co_u32_e64 v106, s[2:3], v32, v106
	v_add_u32_e32 v34, -4, v34
	v_mov_b32_e32 v10, v5
	v_lshlrev_b64 v[2:3], 1, v[2:3]
	v_addc_co_u32_e64 v107, s[2:3], v33, v107, s[2:3]
	v_add_u32_e32 v96, 0x800, v5
	v_mov_b32_e32 v97, v11
	s_add_i32 s16, s16, 16
	v_cmp_eq_u32_e32 vcc, 0, v34
	v_lshlrev_b64 v[108:109], 1, v[10:11]
	v_add_co_u32_e64 v2, s[2:3], v32, v2
	v_lshlrev_b64 v[96:97], 1, v[96:97]
	v_mov_b32_e32 v10, v6
	v_addc_co_u32_e64 v3, s[2:3], v33, v3, s[2:3]
	s_or_b64 s[14:15], vcc, s[14:15]
	v_add_co_u32_e32 v108, vcc, v32, v108
	v_add_u32_e32 v94, 0x800, v6
	v_mov_b32_e32 v95, v11
	v_add_co_u32_e64 v96, s[2:3], v32, v96
	v_addc_co_u32_e32 v109, vcc, v33, v109, vcc
	v_lshlrev_b64 v[110:111], 1, v[10:11]
	v_lshlrev_b64 v[94:95], 1, v[94:95]
	v_addc_co_u32_e64 v97, s[2:3], v33, v97, s[2:3]
	v_mov_b32_e32 v10, v7
	v_add_co_u32_e32 v110, vcc, v32, v110
	ds_read_u16 v1, v35
	ds_read_u16 v41, v35 offset:512
	ds_read_u16 v91, v35 offset:1024
	;; [unrolled: 1-line block ×7, first 2 shown]
	v_add_u32_e32 v92, 0x800, v7
	v_mov_b32_e32 v93, v11
	v_add_co_u32_e64 v94, s[2:3], v32, v94
	v_addc_co_u32_e32 v111, vcc, v33, v111, vcc
	v_lshlrev_b64 v[112:113], 1, v[10:11]
	v_lshlrev_b64 v[92:93], 1, v[92:93]
	v_addc_co_u32_e64 v95, s[2:3], v33, v95, s[2:3]
	v_add_u32_e32 v10, 0x400, v4
	v_add_co_u32_e32 v112, vcc, v32, v112
	v_add_u32_e32 v102, 0xc00, v5
	v_mov_b32_e32 v103, v11
	ds_read_u16 v119, v35 offset:4096
	ds_read_u16 v120, v35 offset:4608
	ds_read_u16 v121, v35 offset:5120
	ds_read_u16 v122, v35 offset:5632
	ds_read_u16 v123, v35 offset:6144
	ds_read_u16 v124, v35 offset:6656
	ds_read_u16 v125, v35 offset:7168
	ds_read_u16 v126, v35 offset:7680
	v_add_co_u32_e64 v92, s[2:3], v32, v92
	v_addc_co_u32_e32 v113, vcc, v33, v113, vcc
	s_waitcnt lgkmcnt(14)
	global_store_short v[104:105], v1, off
	global_store_short v[108:109], v41, off
	s_waitcnt lgkmcnt(13)
	global_store_short v[110:111], v91, off
	v_lshlrev_b64 v[104:105], 1, v[10:11]
	v_lshlrev_b64 v[102:103], 1, v[102:103]
	v_addc_co_u32_e64 v93, s[2:3], v33, v93, s[2:3]
	v_add_u32_e32 v10, 0x800, v4
	v_add_co_u32_e32 v104, vcc, v32, v104
	v_add_u32_e32 v100, 0xc00, v6
	v_mov_b32_e32 v101, v11
	v_add_co_u32_e64 v102, s[2:3], v32, v102
	v_addc_co_u32_e32 v105, vcc, v33, v105, vcc
	v_lshlrev_b64 v[108:109], 1, v[10:11]
	v_lshlrev_b64 v[100:101], 1, v[100:101]
	v_addc_co_u32_e64 v103, s[2:3], v33, v103, s[2:3]
	s_waitcnt lgkmcnt(12)
	global_store_short v[112:113], v114, off
	v_add_u32_e32 v10, 0xc00, v4
	s_waitcnt lgkmcnt(11)
	global_store_short v[104:105], v115, off
	s_waitcnt lgkmcnt(10)
	global_store_short v[38:39], v116, off
	;; [unrolled: 2-line block ×4, first 2 shown]
	v_add_co_u32_e32 v2, vcc, v32, v108
	v_add_u32_e32 v98, 0xc00, v7
	v_mov_b32_e32 v99, v11
	v_add_co_u32_e64 v100, s[2:3], v32, v100
	v_addc_co_u32_e32 v3, vcc, v33, v109, vcc
	v_lshlrev_b64 v[38:39], 1, v[10:11]
	v_lshlrev_b64 v[98:99], 1, v[98:99]
	v_addc_co_u32_e64 v101, s[2:3], v33, v101, s[2:3]
	s_waitcnt lgkmcnt(7)
	global_store_short v[2:3], v119, off
	s_waitcnt lgkmcnt(6)
	global_store_short v[96:97], v120, off
	;; [unrolled: 2-line block ×4, first 2 shown]
	v_add_co_u32_e32 v2, vcc, v32, v38
	v_add_u32_e32 v35, 0x2000, v35
	v_add_u32_e32 v5, 0x1000, v5
	v_mov_b32_e32 v36, s16
	v_add_co_u32_e64 v98, s[2:3], v32, v98
	v_add_u32_e32 v6, 0x1000, v6
	v_add_u32_e32 v7, 0x1000, v7
	;; [unrolled: 1-line block ×3, first 2 shown]
	v_addc_co_u32_e32 v3, vcc, v33, v39, vcc
	v_addc_co_u32_e64 v99, s[2:3], v33, v99, s[2:3]
	s_waitcnt lgkmcnt(3)
	global_store_short v[2:3], v123, off
	s_waitcnt lgkmcnt(2)
	global_store_short v[102:103], v124, off
	;; [unrolled: 2-line block ×4, first 2 shown]
	s_andn2_b64 exec, exec, s[14:15]
	s_cbranch_execnz .LBB2229_174
; %bb.175:
	s_or_b64 exec, exec, s[14:15]
.LBB2229_176:
	s_or_b64 exec, exec, s[12:13]
	v_and_b32_e32 v1, 3, v24
	v_cmp_ne_u32_e32 vcc, 0, v1
	s_and_saveexec_b64 s[12:13], vcc
	s_cbranch_execz .LBB2229_179
; %bb.177:
	v_lshl_or_b32 v10, v36, 9, v23
	s_mov_b64 s[14:15], 0
	v_mov_b32_e32 v3, 0
.LBB2229_178:                           ; =>This Inner Loop Header: Depth=1
	v_mov_b32_e32 v2, v4
	v_add_u32_e32 v1, -1, v1
	v_lshlrev_b64 v[34:35], 1, v[2:3]
	v_mov_b32_e32 v2, v5
	v_cmp_eq_u32_e32 vcc, 0, v1
	v_lshlrev_b64 v[36:37], 1, v[2:3]
	ds_read_u16 v11, v10
	ds_read_u16 v23, v10 offset:512
	ds_read_u16 v24, v10 offset:1024
	ds_read_u16 v41, v10 offset:1536
	v_mov_b32_e32 v2, v6
	s_or_b64 s[14:15], vcc, s[14:15]
	v_add_co_u32_e32 v36, vcc, v32, v36
	v_addc_co_u32_e32 v37, vcc, v33, v37, vcc
	v_lshlrev_b64 v[38:39], 1, v[2:3]
	v_mov_b32_e32 v2, v7
	v_add_co_u32_e32 v38, vcc, v32, v38
	v_add_co_u32_e64 v34, s[2:3], v32, v34
	v_addc_co_u32_e32 v39, vcc, v33, v39, vcc
	v_lshlrev_b64 v[92:93], 1, v[2:3]
	v_add_u32_e32 v4, 0x400, v4
	v_add_u32_e32 v10, 0x800, v10
	;; [unrolled: 1-line block ×3, first 2 shown]
	v_addc_co_u32_e64 v35, s[2:3], v33, v35, s[2:3]
	v_add_u32_e32 v6, 0x400, v6
	v_add_u32_e32 v7, 0x400, v7
	v_add_co_u32_e32 v92, vcc, v32, v92
	v_addc_co_u32_e32 v93, vcc, v33, v93, vcc
	s_waitcnt lgkmcnt(3)
	global_store_short v[34:35], v11, off
	s_waitcnt lgkmcnt(2)
	global_store_short v[36:37], v23, off
	;; [unrolled: 2-line block ×4, first 2 shown]
	s_andn2_b64 exec, exec, s[14:15]
	s_cbranch_execnz .LBB2229_178
.LBB2229_179:
	s_or_b64 exec, exec, s[12:13]
	v_add_u32_e32 v1, 1, v22
	v_and_b32_e32 v3, 0x1fffffc, v1
	v_cmp_ne_u32_e32 vcc, v1, v3
	v_lshl_or_b32 v2, v3, 8, v0
	s_orn2_b64 s[2:3], vcc, exec
.LBB2229_180:
	s_or_b64 exec, exec, s[10:11]
	s_andn2_b64 s[6:7], s[6:7], exec
	s_and_b64 s[2:3], s[2:3], exec
	s_or_b64 s[6:7], s[6:7], s[2:3]
.LBB2229_181:
	s_or_b64 exec, exec, s[8:9]
	s_and_b64 exec, exec, s[6:7]
	s_cbranch_execz .LBB2229_184
; %bb.182:
	v_lshlrev_b32_e32 v1, 1, v2
	s_mov_b64 s[2:3], 0
	v_mov_b32_e32 v3, 0
.LBB2229_183:                           ; =>This Inner Loop Header: Depth=1
	v_lshlrev_b64 v[4:5], 1, v[2:3]
	ds_read_u16 v6, v1
	v_add_co_u32_e32 v4, vcc, v32, v4
	v_add_u32_e32 v2, 0x100, v2
	v_addc_co_u32_e32 v5, vcc, v33, v5, vcc
	v_cmp_ge_u32_e32 vcc, v2, v40
	v_add_u32_e32 v1, 0x200, v1
	s_or_b64 s[2:3], vcc, s[2:3]
	s_waitcnt lgkmcnt(0)
	global_store_short v[4:5], v6, off
	s_andn2_b64 exec, exec, s[2:3]
	s_cbranch_execnz .LBB2229_183
.LBB2229_184:
	s_or_b64 exec, exec, s[4:5]
.LBB2229_185:
	s_cmpk_lg_i32 s33, 0xf00
	s_cselect_b64 s[2:3], -1, 0
	v_cndmask_b32_e64 v10, 0, 1, s[46:47]
	s_and_b64 s[2:3], s[2:3], s[44:45]
	v_sub_u32_e32 v1, v40, v10
	v_cndmask_b32_e64 v4, 0, 1, s[2:3]
	s_and_b64 s[0:1], s[0:1], s[46:47]
	v_add_co_u32_e32 v2, vcc, v74, v26
	v_add_u32_e32 v1, v1, v4
	v_cndmask_b32_e64 v4, v89, 0, s[0:1]
	s_mul_hi_u32 s0, s33, 0x88888889
	v_addc_co_u32_e32 v3, vcc, v75, v27, vcc
	s_lshr_b32 s0, s0, 3
	v_mad_i32_i24 v5, v0, -15, s33
	v_cmp_eq_u32_e32 vcc, s0, v0
	v_cmp_ne_u32_e64 s[0:1], 0, v5
	v_cndmask_b32_e64 v6, 1, v4, s[0:1]
	v_cmp_ne_u32_e64 s[0:1], 1, v5
	v_cndmask_b32_e64 v7, 1, v88, s[0:1]
	;; [unrolled: 2-line block ×15, first 2 shown]
	s_and_b64 vcc, vcc, s[44:45]
	v_cndmask_b32_e32 v25, v25, v5, vcc
	v_cndmask_b32_e32 v39, v4, v6, vcc
	v_lshlrev_b64 v[4:5], 3, v[8:9]
	v_cndmask_b32_e32 v37, v76, v37, vcc
	v_cndmask_b32_e32 v36, v77, v36, vcc
	;; [unrolled: 1-line block ×13, first 2 shown]
	v_mov_b32_e32 v6, s55
	v_add_co_u32_e32 v7, vcc, s54, v4
	v_addc_co_u32_e32 v6, vcc, v6, v5, vcc
	v_lshlrev_b64 v[4:5], 3, v[44:45]
	v_add_co_u32_e32 v4, vcc, v7, v4
	v_addc_co_u32_e32 v5, vcc, v6, v5, vcc
	v_lshlrev_b32_e32 v6, 3, v10
	v_add_co_u32_e32 v6, vcc, v6, v4
	v_addc_co_u32_e32 v7, vcc, 0, v5, vcc
	v_add_co_u32_e32 v6, vcc, -8, v6
	v_addc_co_u32_e32 v7, vcc, -1, v7, vcc
	v_cmp_eq_u32_e32 vcc, 0, v39
	v_cmp_ne_u32_e64 s[28:29], 0, v39
	v_cndmask_b32_e64 v39, 1, 2, vcc
	v_cmp_eq_u32_e32 vcc, 0, v38
	v_cmp_ne_u32_e64 s[26:27], 0, v38
	v_cndmask_b32_e64 v38, 1, 2, vcc
	v_cmp_eq_u32_e32 vcc, 0, v11
	v_and_b32_e32 v38, v38, v39
	v_cmp_ne_u32_e64 s[24:25], 0, v11
	v_cndmask_b32_e64 v11, 1, 2, vcc
	v_cmp_eq_u32_e32 vcc, 0, v22
	v_and_b32_e32 v11, v38, v11
	;; [unrolled: 4-line block ×3, first 2 shown]
	v_cndmask_b32_e64 v22, 1, 2, vcc
	v_cmp_eq_u32_e32 vcc, 0, v24
	v_and_b32_e32 v11, v11, v22
	v_cndmask_b32_e64 v22, 1, 2, vcc
	v_cmp_eq_u32_e32 vcc, 0, v26
	v_and_b32_e32 v11, v11, v22
	;; [unrolled: 3-line block ×10, first 2 shown]
	v_cndmask_b32_e64 v22, 1, 2, vcc
	s_movk_i32 s30, 0x100
	v_and_b32_e32 v11, v11, v22
	v_cmp_gt_u32_e32 vcc, s30, v1
	v_add_u32_e32 v10, v44, v10
	v_cmp_ne_u32_e64 s[20:21], 0, v23
	v_cmp_ne_u32_e64 s[18:19], 0, v24
	;; [unrolled: 1-line block ×11, first 2 shown]
	s_mov_b64 s[34:35], -1
	v_cmp_gt_i16_e64 s[30:31], 2, v11
	s_barrier
	s_cbranch_vccz .LBB2229_192
; %bb.186:
	s_and_saveexec_b64 s[34:35], s[30:31]
	s_cbranch_execz .LBB2229_191
; %bb.187:
	v_cmp_ne_u16_e32 vcc, 1, v11
	s_mov_b64 s[36:37], 0
	s_and_saveexec_b64 s[30:31], vcc
	s_xor_b64 s[30:31], exec, s[30:31]
	s_cbranch_execnz .LBB2229_241
; %bb.188:
	s_andn2_saveexec_b64 s[30:31], s[30:31]
	s_cbranch_execnz .LBB2229_257
.LBB2229_189:
	s_or_b64 exec, exec, s[30:31]
	s_and_b64 exec, exec, s[36:37]
	s_cbranch_execz .LBB2229_191
.LBB2229_190:
	v_sub_u32_e32 v22, v12, v10
	v_mov_b32_e32 v23, 0
	v_lshlrev_b64 v[22:23], 3, v[22:23]
	v_add_co_u32_e32 v22, vcc, v6, v22
	v_addc_co_u32_e32 v23, vcc, v7, v23, vcc
	global_store_dwordx2 v[22:23], v[2:3], off
.LBB2229_191:
	s_or_b64 exec, exec, s[34:35]
	s_mov_b64 s[34:35], 0
.LBB2229_192:
	s_and_b64 vcc, exec, s[34:35]
	s_cbranch_vccz .LBB2229_202
; %bb.193:
	v_cmp_gt_i16_e32 vcc, 2, v11
	s_and_saveexec_b64 s[30:31], vcc
	s_cbranch_execz .LBB2229_198
; %bb.194:
	v_cmp_ne_u16_e32 vcc, 1, v11
	s_mov_b64 s[36:37], 0
	s_and_saveexec_b64 s[34:35], vcc
	s_xor_b64 s[34:35], exec, s[34:35]
	s_cbranch_execnz .LBB2229_258
; %bb.195:
	s_andn2_saveexec_b64 s[0:1], s[34:35]
	s_cbranch_execnz .LBB2229_274
.LBB2229_196:
	s_or_b64 exec, exec, s[0:1]
	s_and_b64 exec, exec, s[36:37]
	s_cbranch_execz .LBB2229_198
.LBB2229_197:
	v_sub_u32_e32 v10, v12, v10
	v_lshlrev_b32_e32 v10, 3, v10
	ds_write_b64 v10, v[2:3]
.LBB2229_198:
	s_or_b64 exec, exec, s[30:31]
	v_cmp_lt_u32_e32 vcc, v0, v1
	s_waitcnt lgkmcnt(0)
	s_barrier
	s_and_saveexec_b64 s[0:1], vcc
	s_cbranch_execz .LBB2229_201
; %bb.199:
	v_lshlrev_b32_e32 v10, 3, v0
	s_mov_b64 s[2:3], 0
	v_mov_b32_e32 v3, 0
	v_mov_b32_e32 v2, v0
.LBB2229_200:                           ; =>This Inner Loop Header: Depth=1
	v_lshlrev_b64 v[12:13], 3, v[2:3]
	ds_read_b64 v[14:15], v10
	v_add_co_u32_e32 v12, vcc, v6, v12
	v_add_u32_e32 v2, 0x100, v2
	v_addc_co_u32_e32 v13, vcc, v7, v13, vcc
	v_cmp_ge_u32_e32 vcc, v2, v1
	v_add_u32_e32 v10, 0x800, v10
	s_or_b64 s[2:3], vcc, s[2:3]
	s_waitcnt lgkmcnt(0)
	global_store_dwordx2 v[12:13], v[14:15], off
	s_andn2_b64 exec, exec, s[2:3]
	s_cbranch_execnz .LBB2229_200
.LBB2229_201:
	s_or_b64 exec, exec, s[0:1]
.LBB2229_202:
	s_movk_i32 s0, 0xff
	v_cmp_eq_u32_e32 vcc, s0, v0
	s_and_b64 s[0:1], vcc, s[44:45]
	s_and_saveexec_b64 s[2:3], s[0:1]
	s_cbranch_execz .LBB2229_205
; %bb.203:
	v_add_co_u32_e32 v0, vcc, v40, v44
	v_addc_co_u32_e64 v1, s[0:1], 0, 0, vcc
	v_add_co_u32_e32 v0, vcc, v0, v8
	v_mov_b32_e32 v41, 0
	v_addc_co_u32_e32 v1, vcc, v1, v9, vcc
	s_cmpk_lg_i32 s33, 0xf00
	global_store_dwordx2 v41, v[0:1], s[56:57]
	s_cbranch_scc1 .LBB2229_205
; %bb.204:
	v_lshlrev_b64 v[0:1], 3, v[40:41]
	v_add_co_u32_e32 v0, vcc, v4, v0
	v_addc_co_u32_e32 v1, vcc, v5, v1, vcc
	global_store_dwordx2 v[0:1], v[42:43], off offset:-8
.LBB2229_205:
	s_endpgm
.LBB2229_206:
	s_or_b64 exec, exec, s[6:7]
	v_mov_b32_e32 v89, s14
	s_and_saveexec_b64 s[2:3], s[8:9]
	s_cbranch_execnz .LBB2229_58
	s_branch .LBB2229_59
.LBB2229_207:
	s_and_saveexec_b64 s[38:39], s[30:31]
	s_cbranch_execnz .LBB2229_275
; %bb.208:
	s_or_b64 exec, exec, s[38:39]
	s_and_saveexec_b64 s[38:39], s[28:29]
	s_cbranch_execnz .LBB2229_276
.LBB2229_209:
	s_or_b64 exec, exec, s[38:39]
	s_and_saveexec_b64 s[38:39], s[26:27]
	s_cbranch_execnz .LBB2229_277
.LBB2229_210:
	s_or_b64 exec, exec, s[38:39]
	s_and_saveexec_b64 s[38:39], s[24:25]
	s_cbranch_execnz .LBB2229_278
.LBB2229_211:
	s_or_b64 exec, exec, s[38:39]
	s_and_saveexec_b64 s[38:39], s[22:23]
	s_cbranch_execnz .LBB2229_279
.LBB2229_212:
	s_or_b64 exec, exec, s[38:39]
	s_and_saveexec_b64 s[38:39], s[20:21]
	s_cbranch_execnz .LBB2229_280
.LBB2229_213:
	s_or_b64 exec, exec, s[38:39]
	s_and_saveexec_b64 s[38:39], s[18:19]
	s_cbranch_execnz .LBB2229_281
.LBB2229_214:
	s_or_b64 exec, exec, s[38:39]
	s_and_saveexec_b64 s[38:39], s[16:17]
	s_cbranch_execnz .LBB2229_282
.LBB2229_215:
	s_or_b64 exec, exec, s[38:39]
	s_and_saveexec_b64 s[38:39], s[14:15]
	s_cbranch_execnz .LBB2229_283
.LBB2229_216:
	s_or_b64 exec, exec, s[38:39]
	s_and_saveexec_b64 s[38:39], s[12:13]
	s_cbranch_execnz .LBB2229_284
.LBB2229_217:
	s_or_b64 exec, exec, s[38:39]
	s_and_saveexec_b64 s[38:39], s[10:11]
	s_cbranch_execnz .LBB2229_285
.LBB2229_218:
	s_or_b64 exec, exec, s[38:39]
	s_and_saveexec_b64 s[38:39], s[8:9]
	s_cbranch_execnz .LBB2229_286
.LBB2229_219:
	s_or_b64 exec, exec, s[38:39]
	s_and_saveexec_b64 s[38:39], s[6:7]
	s_cbranch_execnz .LBB2229_287
.LBB2229_220:
	s_or_b64 exec, exec, s[38:39]
	s_and_saveexec_b64 s[38:39], s[4:5]
	s_cbranch_execz .LBB2229_222
.LBB2229_221:
	v_sub_u32_e32 v10, v13, v44
	v_mov_b32_e32 v11, 0
	v_lshlrev_b64 v[10:11], 1, v[10:11]
	v_add_co_u32_e32 v10, vcc, v32, v10
	v_addc_co_u32_e32 v11, vcc, v33, v11, vcc
	global_store_short v[10:11], v24, off
.LBB2229_222:
	s_or_b64 exec, exec, s[38:39]
	s_and_b64 s[38:39], s[2:3], exec
	s_andn2_saveexec_b64 s[34:35], s[34:35]
	s_cbranch_execz .LBB2229_160
.LBB2229_223:
	v_sub_u32_e32 v10, v90, v44
	v_mov_b32_e32 v11, 0
	v_lshlrev_b64 v[34:35], 1, v[10:11]
	v_add_co_u32_e32 v34, vcc, v32, v34
	v_addc_co_u32_e32 v35, vcc, v33, v35, vcc
	v_sub_u32_e32 v10, v31, v44
	global_store_short v[34:35], v1, off
	v_lshlrev_b64 v[34:35], 1, v[10:11]
	v_add_co_u32_e32 v34, vcc, v32, v34
	v_addc_co_u32_e32 v35, vcc, v33, v35, vcc
	v_sub_u32_e32 v10, v30, v44
	global_store_short v[34:35], v2, off
	v_lshlrev_b64 v[34:35], 1, v[10:11]
	v_add_co_u32_e32 v34, vcc, v32, v34
	v_addc_co_u32_e32 v35, vcc, v33, v35, vcc
	v_sub_u32_e32 v10, v29, v44
	global_store_short_d16_hi v[34:35], v2, off
	v_lshlrev_b64 v[34:35], 1, v[10:11]
	v_add_co_u32_e32 v34, vcc, v32, v34
	v_addc_co_u32_e32 v35, vcc, v33, v35, vcc
	v_sub_u32_e32 v10, v28, v44
	global_store_short v[34:35], v3, off
	v_lshlrev_b64 v[34:35], 1, v[10:11]
	v_add_co_u32_e32 v34, vcc, v32, v34
	v_addc_co_u32_e32 v35, vcc, v33, v35, vcc
	v_sub_u32_e32 v10, v21, v44
	global_store_short_d16_hi v[34:35], v3, off
	;; [unrolled: 10-line block ×5, first 2 shown]
	v_lshlrev_b64 v[34:35], 1, v[10:11]
	v_add_co_u32_e32 v34, vcc, v32, v34
	v_addc_co_u32_e32 v35, vcc, v33, v35, vcc
	v_sub_u32_e32 v10, v14, v44
	global_store_short v[34:35], v23, off
	v_lshlrev_b64 v[34:35], 1, v[10:11]
	v_add_co_u32_e32 v34, vcc, v32, v34
	v_sub_u32_e32 v10, v13, v44
	v_addc_co_u32_e32 v35, vcc, v33, v35, vcc
	v_lshlrev_b64 v[10:11], 1, v[10:11]
	v_add_co_u32_e32 v10, vcc, v32, v10
	v_addc_co_u32_e32 v11, vcc, v33, v11, vcc
	s_or_b64 s[38:39], s[38:39], exec
	global_store_short_d16_hi v[34:35], v23, off
	global_store_short v[10:11], v24, off
	s_or_b64 exec, exec, s[34:35]
	s_and_b64 exec, exec, s[38:39]
	s_cbranch_execnz .LBB2229_161
	s_branch .LBB2229_162
.LBB2229_224:
	s_and_saveexec_b64 s[38:39], s[30:31]
	s_cbranch_execnz .LBB2229_288
; %bb.225:
	s_or_b64 exec, exec, s[38:39]
	s_and_saveexec_b64 s[30:31], s[28:29]
	s_cbranch_execnz .LBB2229_289
.LBB2229_226:
	s_or_b64 exec, exec, s[30:31]
	s_and_saveexec_b64 s[28:29], s[26:27]
	s_cbranch_execnz .LBB2229_290
.LBB2229_227:
	s_or_b64 exec, exec, s[28:29]
	s_and_saveexec_b64 s[26:27], s[24:25]
	s_cbranch_execnz .LBB2229_291
.LBB2229_228:
	s_or_b64 exec, exec, s[26:27]
	s_and_saveexec_b64 s[24:25], s[22:23]
	s_cbranch_execnz .LBB2229_292
.LBB2229_229:
	s_or_b64 exec, exec, s[24:25]
	s_and_saveexec_b64 s[22:23], s[20:21]
	s_cbranch_execnz .LBB2229_293
.LBB2229_230:
	s_or_b64 exec, exec, s[22:23]
	s_and_saveexec_b64 s[20:21], s[18:19]
	s_cbranch_execnz .LBB2229_294
.LBB2229_231:
	s_or_b64 exec, exec, s[20:21]
	s_and_saveexec_b64 s[18:19], s[16:17]
	s_cbranch_execnz .LBB2229_295
.LBB2229_232:
	s_or_b64 exec, exec, s[18:19]
	s_and_saveexec_b64 s[16:17], s[14:15]
	s_cbranch_execnz .LBB2229_296
.LBB2229_233:
	s_or_b64 exec, exec, s[16:17]
	s_and_saveexec_b64 s[14:15], s[12:13]
	s_cbranch_execnz .LBB2229_297
.LBB2229_234:
	s_or_b64 exec, exec, s[14:15]
	s_and_saveexec_b64 s[12:13], s[10:11]
	s_cbranch_execnz .LBB2229_298
.LBB2229_235:
	s_or_b64 exec, exec, s[12:13]
	s_and_saveexec_b64 s[10:11], s[8:9]
	s_cbranch_execnz .LBB2229_299
.LBB2229_236:
	s_or_b64 exec, exec, s[10:11]
	s_and_saveexec_b64 s[8:9], s[6:7]
	s_cbranch_execnz .LBB2229_300
.LBB2229_237:
	s_or_b64 exec, exec, s[8:9]
	s_and_saveexec_b64 s[6:7], s[4:5]
	s_cbranch_execz .LBB2229_239
.LBB2229_238:
	v_sub_u32_e32 v1, v13, v44
	v_lshlrev_b32_e32 v1, 1, v1
	ds_write_b16 v1, v24
.LBB2229_239:
	s_or_b64 exec, exec, s[6:7]
	s_and_b64 s[38:39], s[2:3], exec
                                        ; implicit-def: $vgpr1
                                        ; implicit-def: $vgpr2
	s_andn2_saveexec_b64 s[2:3], s[36:37]
	s_cbranch_execz .LBB2229_167
.LBB2229_240:
	v_sub_u32_e32 v6, v90, v44
	v_lshlrev_b32_e32 v6, 1, v6
	ds_write_b16 v6, v1
	v_sub_u32_e32 v1, v31, v44
	v_lshlrev_b32_e32 v1, 1, v1
	ds_write_b16 v1, v2
	v_sub_u32_e32 v1, v30, v44
	v_lshlrev_b32_e32 v1, 1, v1
	ds_write_b16_d16_hi v1, v2
	v_sub_u32_e32 v1, v29, v44
	v_lshlrev_b32_e32 v1, 1, v1
	ds_write_b16 v1, v3
	v_sub_u32_e32 v1, v28, v44
	v_lshlrev_b32_e32 v1, 1, v1
	ds_write_b16_d16_hi v1, v3
	;; [unrolled: 6-line block ×6, first 2 shown]
	v_sub_u32_e32 v1, v13, v44
	v_lshlrev_b32_e32 v1, 1, v1
	s_or_b64 s[38:39], s[38:39], exec
	ds_write_b16 v1, v24
	s_or_b64 exec, exec, s[2:3]
	s_and_b64 exec, exec, s[38:39]
	s_cbranch_execnz .LBB2229_168
	s_branch .LBB2229_169
.LBB2229_241:
	s_and_saveexec_b64 s[36:37], s[28:29]
	s_cbranch_execnz .LBB2229_301
; %bb.242:
	s_or_b64 exec, exec, s[36:37]
	s_and_saveexec_b64 s[36:37], s[26:27]
	s_cbranch_execnz .LBB2229_302
.LBB2229_243:
	s_or_b64 exec, exec, s[36:37]
	s_and_saveexec_b64 s[36:37], s[24:25]
	s_cbranch_execnz .LBB2229_303
.LBB2229_244:
	s_or_b64 exec, exec, s[36:37]
	s_and_saveexec_b64 s[36:37], s[22:23]
	s_cbranch_execnz .LBB2229_304
.LBB2229_245:
	s_or_b64 exec, exec, s[36:37]
	s_and_saveexec_b64 s[36:37], s[20:21]
	s_cbranch_execnz .LBB2229_305
.LBB2229_246:
	s_or_b64 exec, exec, s[36:37]
	s_and_saveexec_b64 s[36:37], s[18:19]
	s_cbranch_execnz .LBB2229_306
.LBB2229_247:
	s_or_b64 exec, exec, s[36:37]
	s_and_saveexec_b64 s[36:37], s[16:17]
	s_cbranch_execnz .LBB2229_307
.LBB2229_248:
	s_or_b64 exec, exec, s[36:37]
	s_and_saveexec_b64 s[36:37], s[14:15]
	s_cbranch_execnz .LBB2229_308
.LBB2229_249:
	s_or_b64 exec, exec, s[36:37]
	s_and_saveexec_b64 s[36:37], s[12:13]
	s_cbranch_execnz .LBB2229_309
.LBB2229_250:
	s_or_b64 exec, exec, s[36:37]
	s_and_saveexec_b64 s[36:37], s[10:11]
	s_cbranch_execnz .LBB2229_310
.LBB2229_251:
	s_or_b64 exec, exec, s[36:37]
	s_and_saveexec_b64 s[36:37], s[8:9]
	s_cbranch_execnz .LBB2229_311
.LBB2229_252:
	s_or_b64 exec, exec, s[36:37]
	s_and_saveexec_b64 s[36:37], s[6:7]
	s_cbranch_execnz .LBB2229_312
.LBB2229_253:
	s_or_b64 exec, exec, s[36:37]
	s_and_saveexec_b64 s[36:37], s[4:5]
	s_cbranch_execnz .LBB2229_313
.LBB2229_254:
	s_or_b64 exec, exec, s[36:37]
	s_and_saveexec_b64 s[36:37], s[2:3]
	s_cbranch_execz .LBB2229_256
.LBB2229_255:
	v_sub_u32_e32 v22, v13, v10
	v_mov_b32_e32 v23, 0
	v_lshlrev_b64 v[22:23], 3, v[22:23]
	v_add_co_u32_e32 v22, vcc, v6, v22
	v_addc_co_u32_e32 v23, vcc, v7, v23, vcc
	global_store_dwordx2 v[22:23], v[72:73], off
.LBB2229_256:
	s_or_b64 exec, exec, s[36:37]
	s_and_b64 s[36:37], s[0:1], exec
	s_andn2_saveexec_b64 s[30:31], s[30:31]
	s_cbranch_execz .LBB2229_189
.LBB2229_257:
	v_sub_u32_e32 v22, v90, v10
	v_mov_b32_e32 v23, 0
	v_lshlrev_b64 v[24:25], 3, v[22:23]
	v_add_co_u32_e32 v24, vcc, v6, v24
	v_addc_co_u32_e32 v25, vcc, v7, v25, vcc
	v_sub_u32_e32 v22, v31, v10
	global_store_dwordx2 v[24:25], v[70:71], off
	v_lshlrev_b64 v[24:25], 3, v[22:23]
	v_add_co_u32_e32 v24, vcc, v6, v24
	v_addc_co_u32_e32 v25, vcc, v7, v25, vcc
	v_sub_u32_e32 v22, v30, v10
	global_store_dwordx2 v[24:25], v[46:47], off
	;; [unrolled: 5-line block ×12, first 2 shown]
	v_lshlrev_b64 v[24:25], 3, v[22:23]
	v_add_co_u32_e32 v24, vcc, v6, v24
	v_sub_u32_e32 v22, v13, v10
	v_addc_co_u32_e32 v25, vcc, v7, v25, vcc
	v_lshlrev_b64 v[22:23], 3, v[22:23]
	v_add_co_u32_e32 v22, vcc, v6, v22
	v_addc_co_u32_e32 v23, vcc, v7, v23, vcc
	s_or_b64 s[36:37], s[36:37], exec
	global_store_dwordx2 v[24:25], v[68:69], off
	global_store_dwordx2 v[22:23], v[72:73], off
	s_or_b64 exec, exec, s[30:31]
	s_and_b64 exec, exec, s[36:37]
	s_cbranch_execnz .LBB2229_190
	s_branch .LBB2229_191
.LBB2229_258:
	s_and_saveexec_b64 s[36:37], s[28:29]
	s_cbranch_execnz .LBB2229_314
; %bb.259:
	s_or_b64 exec, exec, s[36:37]
	s_and_saveexec_b64 s[28:29], s[26:27]
	s_cbranch_execnz .LBB2229_315
.LBB2229_260:
	s_or_b64 exec, exec, s[28:29]
	s_and_saveexec_b64 s[26:27], s[24:25]
	s_cbranch_execnz .LBB2229_316
.LBB2229_261:
	s_or_b64 exec, exec, s[26:27]
	s_and_saveexec_b64 s[24:25], s[22:23]
	s_cbranch_execnz .LBB2229_317
.LBB2229_262:
	s_or_b64 exec, exec, s[24:25]
	s_and_saveexec_b64 s[22:23], s[20:21]
	s_cbranch_execnz .LBB2229_318
.LBB2229_263:
	s_or_b64 exec, exec, s[22:23]
	s_and_saveexec_b64 s[20:21], s[18:19]
	s_cbranch_execnz .LBB2229_319
.LBB2229_264:
	s_or_b64 exec, exec, s[20:21]
	s_and_saveexec_b64 s[18:19], s[16:17]
	s_cbranch_execnz .LBB2229_320
.LBB2229_265:
	s_or_b64 exec, exec, s[18:19]
	s_and_saveexec_b64 s[16:17], s[14:15]
	s_cbranch_execnz .LBB2229_321
.LBB2229_266:
	s_or_b64 exec, exec, s[16:17]
	s_and_saveexec_b64 s[14:15], s[12:13]
	s_cbranch_execnz .LBB2229_322
.LBB2229_267:
	s_or_b64 exec, exec, s[14:15]
	s_and_saveexec_b64 s[12:13], s[10:11]
	s_cbranch_execnz .LBB2229_323
.LBB2229_268:
	s_or_b64 exec, exec, s[12:13]
	s_and_saveexec_b64 s[10:11], s[8:9]
	s_cbranch_execnz .LBB2229_324
.LBB2229_269:
	s_or_b64 exec, exec, s[10:11]
	s_and_saveexec_b64 s[8:9], s[6:7]
	s_cbranch_execnz .LBB2229_325
.LBB2229_270:
	s_or_b64 exec, exec, s[8:9]
	s_and_saveexec_b64 s[6:7], s[4:5]
	s_cbranch_execnz .LBB2229_326
.LBB2229_271:
	s_or_b64 exec, exec, s[6:7]
	s_and_saveexec_b64 s[4:5], s[2:3]
	s_cbranch_execz .LBB2229_273
.LBB2229_272:
	v_sub_u32_e32 v11, v13, v10
	v_lshlrev_b32_e32 v11, 3, v11
	ds_write_b64 v11, v[72:73]
.LBB2229_273:
	s_or_b64 exec, exec, s[4:5]
	s_and_b64 s[36:37], s[0:1], exec
                                        ; implicit-def: $vgpr70_vgpr71
                                        ; implicit-def: $vgpr46_vgpr47
                                        ; implicit-def: $vgpr48_vgpr49
                                        ; implicit-def: $vgpr50_vgpr51
                                        ; implicit-def: $vgpr52_vgpr53
                                        ; implicit-def: $vgpr54_vgpr55
                                        ; implicit-def: $vgpr56_vgpr57
                                        ; implicit-def: $vgpr58_vgpr59
                                        ; implicit-def: $vgpr60_vgpr61
                                        ; implicit-def: $vgpr62_vgpr63
                                        ; implicit-def: $vgpr64_vgpr65
                                        ; implicit-def: $vgpr66_vgpr67
                                        ; implicit-def: $vgpr68_vgpr69
                                        ; implicit-def: $vgpr72_vgpr73
                                        ; implicit-def: $vgpr90
                                        ; implicit-def: $vgpr31
                                        ; implicit-def: $vgpr30
                                        ; implicit-def: $vgpr29
                                        ; implicit-def: $vgpr28
                                        ; implicit-def: $vgpr21
                                        ; implicit-def: $vgpr20
                                        ; implicit-def: $vgpr19
                                        ; implicit-def: $vgpr18
                                        ; implicit-def: $vgpr17
                                        ; implicit-def: $vgpr16
                                        ; implicit-def: $vgpr15
                                        ; implicit-def: $vgpr14
                                        ; implicit-def: $vgpr13
	s_andn2_saveexec_b64 s[0:1], s[34:35]
	s_cbranch_execz .LBB2229_196
.LBB2229_274:
	v_sub_u32_e32 v11, v90, v10
	v_lshlrev_b32_e32 v11, 3, v11
	ds_write_b64 v11, v[70:71]
	v_sub_u32_e32 v11, v31, v10
	v_lshlrev_b32_e32 v11, 3, v11
	ds_write_b64 v11, v[46:47]
	;; [unrolled: 3-line block ×13, first 2 shown]
	v_sub_u32_e32 v11, v13, v10
	v_lshlrev_b32_e32 v11, 3, v11
	s_or_b64 s[36:37], s[36:37], exec
	ds_write_b64 v11, v[72:73]
	s_or_b64 exec, exec, s[0:1]
	s_and_b64 exec, exec, s[36:37]
	s_cbranch_execnz .LBB2229_197
	s_branch .LBB2229_198
.LBB2229_275:
	v_sub_u32_e32 v10, v90, v44
	v_mov_b32_e32 v11, 0
	v_lshlrev_b64 v[10:11], 1, v[10:11]
	v_add_co_u32_e32 v10, vcc, v32, v10
	v_addc_co_u32_e32 v11, vcc, v33, v11, vcc
	global_store_short v[10:11], v1, off
	s_or_b64 exec, exec, s[38:39]
	s_and_saveexec_b64 s[38:39], s[28:29]
	s_cbranch_execz .LBB2229_209
.LBB2229_276:
	v_sub_u32_e32 v10, v31, v44
	v_mov_b32_e32 v11, 0
	v_lshlrev_b64 v[10:11], 1, v[10:11]
	v_add_co_u32_e32 v10, vcc, v32, v10
	v_addc_co_u32_e32 v11, vcc, v33, v11, vcc
	global_store_short v[10:11], v2, off
	s_or_b64 exec, exec, s[38:39]
	s_and_saveexec_b64 s[38:39], s[26:27]
	s_cbranch_execz .LBB2229_210
.LBB2229_277:
	v_sub_u32_e32 v10, v30, v44
	v_mov_b32_e32 v11, 0
	v_lshlrev_b64 v[10:11], 1, v[10:11]
	v_add_co_u32_e32 v10, vcc, v32, v10
	v_addc_co_u32_e32 v11, vcc, v33, v11, vcc
	global_store_short_d16_hi v[10:11], v2, off
	s_or_b64 exec, exec, s[38:39]
	s_and_saveexec_b64 s[38:39], s[24:25]
	s_cbranch_execz .LBB2229_211
.LBB2229_278:
	v_sub_u32_e32 v10, v29, v44
	v_mov_b32_e32 v11, 0
	v_lshlrev_b64 v[10:11], 1, v[10:11]
	v_add_co_u32_e32 v10, vcc, v32, v10
	v_addc_co_u32_e32 v11, vcc, v33, v11, vcc
	global_store_short v[10:11], v3, off
	s_or_b64 exec, exec, s[38:39]
	s_and_saveexec_b64 s[38:39], s[22:23]
	s_cbranch_execz .LBB2229_212
.LBB2229_279:
	v_sub_u32_e32 v10, v28, v44
	v_mov_b32_e32 v11, 0
	v_lshlrev_b64 v[10:11], 1, v[10:11]
	v_add_co_u32_e32 v10, vcc, v32, v10
	v_addc_co_u32_e32 v11, vcc, v33, v11, vcc
	global_store_short_d16_hi v[10:11], v3, off
	s_or_b64 exec, exec, s[38:39]
	s_and_saveexec_b64 s[38:39], s[20:21]
	s_cbranch_execz .LBB2229_213
.LBB2229_280:
	v_sub_u32_e32 v10, v21, v44
	v_mov_b32_e32 v11, 0
	v_lshlrev_b64 v[10:11], 1, v[10:11]
	v_add_co_u32_e32 v10, vcc, v32, v10
	v_addc_co_u32_e32 v11, vcc, v33, v11, vcc
	global_store_short v[10:11], v4, off
	s_or_b64 exec, exec, s[38:39]
	s_and_saveexec_b64 s[38:39], s[18:19]
	s_cbranch_execz .LBB2229_214
.LBB2229_281:
	v_sub_u32_e32 v10, v20, v44
	v_mov_b32_e32 v11, 0
	v_lshlrev_b64 v[10:11], 1, v[10:11]
	v_add_co_u32_e32 v10, vcc, v32, v10
	v_addc_co_u32_e32 v11, vcc, v33, v11, vcc
	global_store_short_d16_hi v[10:11], v4, off
	s_or_b64 exec, exec, s[38:39]
	s_and_saveexec_b64 s[38:39], s[16:17]
	s_cbranch_execz .LBB2229_215
.LBB2229_282:
	v_sub_u32_e32 v10, v19, v44
	v_mov_b32_e32 v11, 0
	v_lshlrev_b64 v[10:11], 1, v[10:11]
	v_add_co_u32_e32 v10, vcc, v32, v10
	v_addc_co_u32_e32 v11, vcc, v33, v11, vcc
	global_store_short v[10:11], v5, off
	s_or_b64 exec, exec, s[38:39]
	s_and_saveexec_b64 s[38:39], s[14:15]
	s_cbranch_execz .LBB2229_216
.LBB2229_283:
	v_sub_u32_e32 v10, v18, v44
	v_mov_b32_e32 v11, 0
	v_lshlrev_b64 v[10:11], 1, v[10:11]
	v_add_co_u32_e32 v10, vcc, v32, v10
	v_addc_co_u32_e32 v11, vcc, v33, v11, vcc
	global_store_short_d16_hi v[10:11], v5, off
	s_or_b64 exec, exec, s[38:39]
	s_and_saveexec_b64 s[38:39], s[12:13]
	s_cbranch_execz .LBB2229_217
.LBB2229_284:
	v_sub_u32_e32 v10, v17, v44
	v_mov_b32_e32 v11, 0
	v_lshlrev_b64 v[10:11], 1, v[10:11]
	v_add_co_u32_e32 v10, vcc, v32, v10
	v_addc_co_u32_e32 v11, vcc, v33, v11, vcc
	global_store_short v[10:11], v22, off
	s_or_b64 exec, exec, s[38:39]
	s_and_saveexec_b64 s[38:39], s[10:11]
	s_cbranch_execz .LBB2229_218
.LBB2229_285:
	v_sub_u32_e32 v10, v16, v44
	v_mov_b32_e32 v11, 0
	v_lshlrev_b64 v[10:11], 1, v[10:11]
	v_add_co_u32_e32 v10, vcc, v32, v10
	v_addc_co_u32_e32 v11, vcc, v33, v11, vcc
	global_store_short_d16_hi v[10:11], v22, off
	s_or_b64 exec, exec, s[38:39]
	s_and_saveexec_b64 s[38:39], s[8:9]
	s_cbranch_execz .LBB2229_219
.LBB2229_286:
	v_sub_u32_e32 v10, v15, v44
	v_mov_b32_e32 v11, 0
	v_lshlrev_b64 v[10:11], 1, v[10:11]
	v_add_co_u32_e32 v10, vcc, v32, v10
	v_addc_co_u32_e32 v11, vcc, v33, v11, vcc
	global_store_short v[10:11], v23, off
	s_or_b64 exec, exec, s[38:39]
	s_and_saveexec_b64 s[38:39], s[6:7]
	s_cbranch_execz .LBB2229_220
.LBB2229_287:
	v_sub_u32_e32 v10, v14, v44
	v_mov_b32_e32 v11, 0
	v_lshlrev_b64 v[10:11], 1, v[10:11]
	v_add_co_u32_e32 v10, vcc, v32, v10
	v_addc_co_u32_e32 v11, vcc, v33, v11, vcc
	global_store_short_d16_hi v[10:11], v23, off
	s_or_b64 exec, exec, s[38:39]
	s_and_saveexec_b64 s[38:39], s[4:5]
	s_cbranch_execnz .LBB2229_221
	s_branch .LBB2229_222
.LBB2229_288:
	v_sub_u32_e32 v6, v90, v44
	v_lshlrev_b32_e32 v6, 1, v6
	ds_write_b16 v6, v1
	s_or_b64 exec, exec, s[38:39]
	s_and_saveexec_b64 s[30:31], s[28:29]
	s_cbranch_execz .LBB2229_226
.LBB2229_289:
	v_sub_u32_e32 v1, v31, v44
	v_lshlrev_b32_e32 v1, 1, v1
	ds_write_b16 v1, v2
	s_or_b64 exec, exec, s[30:31]
	s_and_saveexec_b64 s[28:29], s[26:27]
	s_cbranch_execz .LBB2229_227
.LBB2229_290:
	v_sub_u32_e32 v1, v30, v44
	v_lshlrev_b32_e32 v1, 1, v1
	ds_write_b16_d16_hi v1, v2
	s_or_b64 exec, exec, s[28:29]
	s_and_saveexec_b64 s[26:27], s[24:25]
	s_cbranch_execz .LBB2229_228
.LBB2229_291:
	v_sub_u32_e32 v1, v29, v44
	v_lshlrev_b32_e32 v1, 1, v1
	ds_write_b16 v1, v3
	s_or_b64 exec, exec, s[26:27]
	s_and_saveexec_b64 s[24:25], s[22:23]
	s_cbranch_execz .LBB2229_229
.LBB2229_292:
	v_sub_u32_e32 v1, v28, v44
	v_lshlrev_b32_e32 v1, 1, v1
	ds_write_b16_d16_hi v1, v3
	s_or_b64 exec, exec, s[24:25]
	s_and_saveexec_b64 s[22:23], s[20:21]
	s_cbranch_execz .LBB2229_230
.LBB2229_293:
	v_sub_u32_e32 v1, v21, v44
	v_lshlrev_b32_e32 v1, 1, v1
	ds_write_b16 v1, v4
	s_or_b64 exec, exec, s[22:23]
	s_and_saveexec_b64 s[20:21], s[18:19]
	s_cbranch_execz .LBB2229_231
.LBB2229_294:
	v_sub_u32_e32 v1, v20, v44
	v_lshlrev_b32_e32 v1, 1, v1
	ds_write_b16_d16_hi v1, v4
	s_or_b64 exec, exec, s[20:21]
	s_and_saveexec_b64 s[18:19], s[16:17]
	s_cbranch_execz .LBB2229_232
.LBB2229_295:
	v_sub_u32_e32 v1, v19, v44
	v_lshlrev_b32_e32 v1, 1, v1
	ds_write_b16 v1, v5
	s_or_b64 exec, exec, s[18:19]
	s_and_saveexec_b64 s[16:17], s[14:15]
	s_cbranch_execz .LBB2229_233
.LBB2229_296:
	v_sub_u32_e32 v1, v18, v44
	v_lshlrev_b32_e32 v1, 1, v1
	ds_write_b16_d16_hi v1, v5
	s_or_b64 exec, exec, s[16:17]
	s_and_saveexec_b64 s[14:15], s[12:13]
	s_cbranch_execz .LBB2229_234
.LBB2229_297:
	v_sub_u32_e32 v1, v17, v44
	v_lshlrev_b32_e32 v1, 1, v1
	ds_write_b16 v1, v22
	s_or_b64 exec, exec, s[14:15]
	s_and_saveexec_b64 s[12:13], s[10:11]
	s_cbranch_execz .LBB2229_235
.LBB2229_298:
	v_sub_u32_e32 v1, v16, v44
	v_lshlrev_b32_e32 v1, 1, v1
	ds_write_b16_d16_hi v1, v22
	s_or_b64 exec, exec, s[12:13]
	s_and_saveexec_b64 s[10:11], s[8:9]
	s_cbranch_execz .LBB2229_236
.LBB2229_299:
	v_sub_u32_e32 v1, v15, v44
	v_lshlrev_b32_e32 v1, 1, v1
	ds_write_b16 v1, v23
	s_or_b64 exec, exec, s[10:11]
	s_and_saveexec_b64 s[8:9], s[6:7]
	s_cbranch_execz .LBB2229_237
.LBB2229_300:
	v_sub_u32_e32 v1, v14, v44
	v_lshlrev_b32_e32 v1, 1, v1
	ds_write_b16_d16_hi v1, v23
	s_or_b64 exec, exec, s[8:9]
	s_and_saveexec_b64 s[6:7], s[4:5]
	s_cbranch_execnz .LBB2229_238
	s_branch .LBB2229_239
.LBB2229_301:
	v_sub_u32_e32 v22, v90, v10
	v_mov_b32_e32 v23, 0
	v_lshlrev_b64 v[22:23], 3, v[22:23]
	v_add_co_u32_e32 v22, vcc, v6, v22
	v_addc_co_u32_e32 v23, vcc, v7, v23, vcc
	global_store_dwordx2 v[22:23], v[70:71], off
	s_or_b64 exec, exec, s[36:37]
	s_and_saveexec_b64 s[36:37], s[26:27]
	s_cbranch_execz .LBB2229_243
.LBB2229_302:
	v_sub_u32_e32 v22, v31, v10
	v_mov_b32_e32 v23, 0
	v_lshlrev_b64 v[22:23], 3, v[22:23]
	v_add_co_u32_e32 v22, vcc, v6, v22
	v_addc_co_u32_e32 v23, vcc, v7, v23, vcc
	global_store_dwordx2 v[22:23], v[46:47], off
	s_or_b64 exec, exec, s[36:37]
	s_and_saveexec_b64 s[36:37], s[24:25]
	s_cbranch_execz .LBB2229_244
.LBB2229_303:
	v_sub_u32_e32 v22, v30, v10
	v_mov_b32_e32 v23, 0
	v_lshlrev_b64 v[22:23], 3, v[22:23]
	v_add_co_u32_e32 v22, vcc, v6, v22
	v_addc_co_u32_e32 v23, vcc, v7, v23, vcc
	global_store_dwordx2 v[22:23], v[48:49], off
	s_or_b64 exec, exec, s[36:37]
	s_and_saveexec_b64 s[36:37], s[22:23]
	s_cbranch_execz .LBB2229_245
.LBB2229_304:
	v_sub_u32_e32 v22, v29, v10
	v_mov_b32_e32 v23, 0
	v_lshlrev_b64 v[22:23], 3, v[22:23]
	v_add_co_u32_e32 v22, vcc, v6, v22
	v_addc_co_u32_e32 v23, vcc, v7, v23, vcc
	global_store_dwordx2 v[22:23], v[50:51], off
	s_or_b64 exec, exec, s[36:37]
	s_and_saveexec_b64 s[36:37], s[20:21]
	s_cbranch_execz .LBB2229_246
.LBB2229_305:
	v_sub_u32_e32 v22, v28, v10
	v_mov_b32_e32 v23, 0
	v_lshlrev_b64 v[22:23], 3, v[22:23]
	v_add_co_u32_e32 v22, vcc, v6, v22
	v_addc_co_u32_e32 v23, vcc, v7, v23, vcc
	global_store_dwordx2 v[22:23], v[52:53], off
	s_or_b64 exec, exec, s[36:37]
	s_and_saveexec_b64 s[36:37], s[18:19]
	s_cbranch_execz .LBB2229_247
.LBB2229_306:
	v_sub_u32_e32 v22, v21, v10
	v_mov_b32_e32 v23, 0
	v_lshlrev_b64 v[22:23], 3, v[22:23]
	v_add_co_u32_e32 v22, vcc, v6, v22
	v_addc_co_u32_e32 v23, vcc, v7, v23, vcc
	global_store_dwordx2 v[22:23], v[54:55], off
	s_or_b64 exec, exec, s[36:37]
	s_and_saveexec_b64 s[36:37], s[16:17]
	s_cbranch_execz .LBB2229_248
.LBB2229_307:
	v_sub_u32_e32 v22, v20, v10
	v_mov_b32_e32 v23, 0
	v_lshlrev_b64 v[22:23], 3, v[22:23]
	v_add_co_u32_e32 v22, vcc, v6, v22
	v_addc_co_u32_e32 v23, vcc, v7, v23, vcc
	global_store_dwordx2 v[22:23], v[56:57], off
	s_or_b64 exec, exec, s[36:37]
	s_and_saveexec_b64 s[36:37], s[14:15]
	s_cbranch_execz .LBB2229_249
.LBB2229_308:
	v_sub_u32_e32 v22, v19, v10
	v_mov_b32_e32 v23, 0
	v_lshlrev_b64 v[22:23], 3, v[22:23]
	v_add_co_u32_e32 v22, vcc, v6, v22
	v_addc_co_u32_e32 v23, vcc, v7, v23, vcc
	global_store_dwordx2 v[22:23], v[58:59], off
	s_or_b64 exec, exec, s[36:37]
	s_and_saveexec_b64 s[36:37], s[12:13]
	s_cbranch_execz .LBB2229_250
.LBB2229_309:
	v_sub_u32_e32 v22, v18, v10
	v_mov_b32_e32 v23, 0
	v_lshlrev_b64 v[22:23], 3, v[22:23]
	v_add_co_u32_e32 v22, vcc, v6, v22
	v_addc_co_u32_e32 v23, vcc, v7, v23, vcc
	global_store_dwordx2 v[22:23], v[60:61], off
	s_or_b64 exec, exec, s[36:37]
	s_and_saveexec_b64 s[36:37], s[10:11]
	s_cbranch_execz .LBB2229_251
.LBB2229_310:
	v_sub_u32_e32 v22, v17, v10
	v_mov_b32_e32 v23, 0
	v_lshlrev_b64 v[22:23], 3, v[22:23]
	v_add_co_u32_e32 v22, vcc, v6, v22
	v_addc_co_u32_e32 v23, vcc, v7, v23, vcc
	global_store_dwordx2 v[22:23], v[62:63], off
	s_or_b64 exec, exec, s[36:37]
	s_and_saveexec_b64 s[36:37], s[8:9]
	s_cbranch_execz .LBB2229_252
.LBB2229_311:
	v_sub_u32_e32 v22, v16, v10
	v_mov_b32_e32 v23, 0
	v_lshlrev_b64 v[22:23], 3, v[22:23]
	v_add_co_u32_e32 v22, vcc, v6, v22
	v_addc_co_u32_e32 v23, vcc, v7, v23, vcc
	global_store_dwordx2 v[22:23], v[64:65], off
	s_or_b64 exec, exec, s[36:37]
	s_and_saveexec_b64 s[36:37], s[6:7]
	s_cbranch_execz .LBB2229_253
.LBB2229_312:
	v_sub_u32_e32 v22, v15, v10
	v_mov_b32_e32 v23, 0
	v_lshlrev_b64 v[22:23], 3, v[22:23]
	v_add_co_u32_e32 v22, vcc, v6, v22
	v_addc_co_u32_e32 v23, vcc, v7, v23, vcc
	global_store_dwordx2 v[22:23], v[66:67], off
	s_or_b64 exec, exec, s[36:37]
	s_and_saveexec_b64 s[36:37], s[4:5]
	s_cbranch_execz .LBB2229_254
.LBB2229_313:
	v_sub_u32_e32 v22, v14, v10
	v_mov_b32_e32 v23, 0
	v_lshlrev_b64 v[22:23], 3, v[22:23]
	v_add_co_u32_e32 v22, vcc, v6, v22
	v_addc_co_u32_e32 v23, vcc, v7, v23, vcc
	global_store_dwordx2 v[22:23], v[68:69], off
	s_or_b64 exec, exec, s[36:37]
	s_and_saveexec_b64 s[36:37], s[2:3]
	s_cbranch_execnz .LBB2229_255
	s_branch .LBB2229_256
.LBB2229_314:
	v_sub_u32_e32 v11, v90, v10
	v_lshlrev_b32_e32 v11, 3, v11
	ds_write_b64 v11, v[70:71]
	s_or_b64 exec, exec, s[36:37]
	s_and_saveexec_b64 s[28:29], s[26:27]
	s_cbranch_execz .LBB2229_260
.LBB2229_315:
	v_sub_u32_e32 v11, v31, v10
	v_lshlrev_b32_e32 v11, 3, v11
	ds_write_b64 v11, v[46:47]
	s_or_b64 exec, exec, s[28:29]
	s_and_saveexec_b64 s[26:27], s[24:25]
	s_cbranch_execz .LBB2229_261
.LBB2229_316:
	v_sub_u32_e32 v11, v30, v10
	v_lshlrev_b32_e32 v11, 3, v11
	ds_write_b64 v11, v[48:49]
	s_or_b64 exec, exec, s[26:27]
	s_and_saveexec_b64 s[24:25], s[22:23]
	s_cbranch_execz .LBB2229_262
.LBB2229_317:
	v_sub_u32_e32 v11, v29, v10
	v_lshlrev_b32_e32 v11, 3, v11
	ds_write_b64 v11, v[50:51]
	s_or_b64 exec, exec, s[24:25]
	s_and_saveexec_b64 s[22:23], s[20:21]
	s_cbranch_execz .LBB2229_263
.LBB2229_318:
	v_sub_u32_e32 v11, v28, v10
	v_lshlrev_b32_e32 v11, 3, v11
	ds_write_b64 v11, v[52:53]
	s_or_b64 exec, exec, s[22:23]
	s_and_saveexec_b64 s[20:21], s[18:19]
	s_cbranch_execz .LBB2229_264
.LBB2229_319:
	v_sub_u32_e32 v11, v21, v10
	v_lshlrev_b32_e32 v11, 3, v11
	ds_write_b64 v11, v[54:55]
	s_or_b64 exec, exec, s[20:21]
	s_and_saveexec_b64 s[18:19], s[16:17]
	s_cbranch_execz .LBB2229_265
.LBB2229_320:
	v_sub_u32_e32 v11, v20, v10
	v_lshlrev_b32_e32 v11, 3, v11
	ds_write_b64 v11, v[56:57]
	s_or_b64 exec, exec, s[18:19]
	s_and_saveexec_b64 s[16:17], s[14:15]
	s_cbranch_execz .LBB2229_266
.LBB2229_321:
	v_sub_u32_e32 v11, v19, v10
	v_lshlrev_b32_e32 v11, 3, v11
	ds_write_b64 v11, v[58:59]
	s_or_b64 exec, exec, s[16:17]
	s_and_saveexec_b64 s[14:15], s[12:13]
	s_cbranch_execz .LBB2229_267
.LBB2229_322:
	v_sub_u32_e32 v11, v18, v10
	v_lshlrev_b32_e32 v11, 3, v11
	ds_write_b64 v11, v[60:61]
	s_or_b64 exec, exec, s[14:15]
	s_and_saveexec_b64 s[12:13], s[10:11]
	s_cbranch_execz .LBB2229_268
.LBB2229_323:
	v_sub_u32_e32 v11, v17, v10
	v_lshlrev_b32_e32 v11, 3, v11
	ds_write_b64 v11, v[62:63]
	s_or_b64 exec, exec, s[12:13]
	s_and_saveexec_b64 s[10:11], s[8:9]
	s_cbranch_execz .LBB2229_269
.LBB2229_324:
	v_sub_u32_e32 v11, v16, v10
	v_lshlrev_b32_e32 v11, 3, v11
	ds_write_b64 v11, v[64:65]
	s_or_b64 exec, exec, s[10:11]
	s_and_saveexec_b64 s[8:9], s[6:7]
	s_cbranch_execz .LBB2229_270
.LBB2229_325:
	v_sub_u32_e32 v11, v15, v10
	v_lshlrev_b32_e32 v11, 3, v11
	ds_write_b64 v11, v[66:67]
	s_or_b64 exec, exec, s[8:9]
	s_and_saveexec_b64 s[6:7], s[4:5]
	s_cbranch_execz .LBB2229_271
.LBB2229_326:
	v_sub_u32_e32 v11, v14, v10
	v_lshlrev_b32_e32 v11, 3, v11
	ds_write_b64 v11, v[68:69]
	s_or_b64 exec, exec, s[6:7]
	s_and_saveexec_b64 s[4:5], s[2:3]
	s_cbranch_execnz .LBB2229_272
	s_branch .LBB2229_273
	.section	.rodata,"a",@progbits
	.p2align	6, 0x0
	.amdhsa_kernel _ZN7rocprim17ROCPRIM_400000_NS6detail17trampoline_kernelINS0_14default_configENS1_29reduce_by_key_config_selectorIN3c104HalfElN6thrust23THRUST_200600_302600_NS4plusIlEEEEZZNS1_33reduce_by_key_impl_wrapped_configILNS1_25lookback_scan_determinismE0ES3_SB_PS6_NS8_17constant_iteratorIiNS8_11use_defaultESG_EENS8_10device_ptrIS6_EENSI_IlEEPmSA_NS8_8equal_toIS6_EEEE10hipError_tPvRmT2_T3_mT4_T5_T6_T7_T8_P12ihipStream_tbENKUlT_T0_E_clISt17integral_constantIbLb0EES14_IbLb1EEEEDaS10_S11_EUlS10_E_NS1_11comp_targetILNS1_3genE4ELNS1_11target_archE910ELNS1_3gpuE8ELNS1_3repE0EEENS1_30default_config_static_selectorELNS0_4arch9wavefront6targetE1EEEvT1_
		.amdhsa_group_segment_fixed_size 30720
		.amdhsa_private_segment_fixed_size 0
		.amdhsa_kernarg_size 144
		.amdhsa_user_sgpr_count 6
		.amdhsa_user_sgpr_private_segment_buffer 1
		.amdhsa_user_sgpr_dispatch_ptr 0
		.amdhsa_user_sgpr_queue_ptr 0
		.amdhsa_user_sgpr_kernarg_segment_ptr 1
		.amdhsa_user_sgpr_dispatch_id 0
		.amdhsa_user_sgpr_flat_scratch_init 0
		.amdhsa_user_sgpr_kernarg_preload_length 0
		.amdhsa_user_sgpr_kernarg_preload_offset 0
		.amdhsa_user_sgpr_private_segment_size 0
		.amdhsa_uses_dynamic_stack 0
		.amdhsa_system_sgpr_private_segment_wavefront_offset 0
		.amdhsa_system_sgpr_workgroup_id_x 1
		.amdhsa_system_sgpr_workgroup_id_y 0
		.amdhsa_system_sgpr_workgroup_id_z 0
		.amdhsa_system_sgpr_workgroup_info 0
		.amdhsa_system_vgpr_workitem_id 0
		.amdhsa_next_free_vgpr 127
		.amdhsa_next_free_sgpr 63
		.amdhsa_accum_offset 128
		.amdhsa_reserve_vcc 1
		.amdhsa_reserve_flat_scratch 0
		.amdhsa_float_round_mode_32 0
		.amdhsa_float_round_mode_16_64 0
		.amdhsa_float_denorm_mode_32 3
		.amdhsa_float_denorm_mode_16_64 3
		.amdhsa_dx10_clamp 1
		.amdhsa_ieee_mode 1
		.amdhsa_fp16_overflow 0
		.amdhsa_tg_split 0
		.amdhsa_exception_fp_ieee_invalid_op 0
		.amdhsa_exception_fp_denorm_src 0
		.amdhsa_exception_fp_ieee_div_zero 0
		.amdhsa_exception_fp_ieee_overflow 0
		.amdhsa_exception_fp_ieee_underflow 0
		.amdhsa_exception_fp_ieee_inexact 0
		.amdhsa_exception_int_div_zero 0
	.end_amdhsa_kernel
	.section	.text._ZN7rocprim17ROCPRIM_400000_NS6detail17trampoline_kernelINS0_14default_configENS1_29reduce_by_key_config_selectorIN3c104HalfElN6thrust23THRUST_200600_302600_NS4plusIlEEEEZZNS1_33reduce_by_key_impl_wrapped_configILNS1_25lookback_scan_determinismE0ES3_SB_PS6_NS8_17constant_iteratorIiNS8_11use_defaultESG_EENS8_10device_ptrIS6_EENSI_IlEEPmSA_NS8_8equal_toIS6_EEEE10hipError_tPvRmT2_T3_mT4_T5_T6_T7_T8_P12ihipStream_tbENKUlT_T0_E_clISt17integral_constantIbLb0EES14_IbLb1EEEEDaS10_S11_EUlS10_E_NS1_11comp_targetILNS1_3genE4ELNS1_11target_archE910ELNS1_3gpuE8ELNS1_3repE0EEENS1_30default_config_static_selectorELNS0_4arch9wavefront6targetE1EEEvT1_,"axG",@progbits,_ZN7rocprim17ROCPRIM_400000_NS6detail17trampoline_kernelINS0_14default_configENS1_29reduce_by_key_config_selectorIN3c104HalfElN6thrust23THRUST_200600_302600_NS4plusIlEEEEZZNS1_33reduce_by_key_impl_wrapped_configILNS1_25lookback_scan_determinismE0ES3_SB_PS6_NS8_17constant_iteratorIiNS8_11use_defaultESG_EENS8_10device_ptrIS6_EENSI_IlEEPmSA_NS8_8equal_toIS6_EEEE10hipError_tPvRmT2_T3_mT4_T5_T6_T7_T8_P12ihipStream_tbENKUlT_T0_E_clISt17integral_constantIbLb0EES14_IbLb1EEEEDaS10_S11_EUlS10_E_NS1_11comp_targetILNS1_3genE4ELNS1_11target_archE910ELNS1_3gpuE8ELNS1_3repE0EEENS1_30default_config_static_selectorELNS0_4arch9wavefront6targetE1EEEvT1_,comdat
.Lfunc_end2229:
	.size	_ZN7rocprim17ROCPRIM_400000_NS6detail17trampoline_kernelINS0_14default_configENS1_29reduce_by_key_config_selectorIN3c104HalfElN6thrust23THRUST_200600_302600_NS4plusIlEEEEZZNS1_33reduce_by_key_impl_wrapped_configILNS1_25lookback_scan_determinismE0ES3_SB_PS6_NS8_17constant_iteratorIiNS8_11use_defaultESG_EENS8_10device_ptrIS6_EENSI_IlEEPmSA_NS8_8equal_toIS6_EEEE10hipError_tPvRmT2_T3_mT4_T5_T6_T7_T8_P12ihipStream_tbENKUlT_T0_E_clISt17integral_constantIbLb0EES14_IbLb1EEEEDaS10_S11_EUlS10_E_NS1_11comp_targetILNS1_3genE4ELNS1_11target_archE910ELNS1_3gpuE8ELNS1_3repE0EEENS1_30default_config_static_selectorELNS0_4arch9wavefront6targetE1EEEvT1_, .Lfunc_end2229-_ZN7rocprim17ROCPRIM_400000_NS6detail17trampoline_kernelINS0_14default_configENS1_29reduce_by_key_config_selectorIN3c104HalfElN6thrust23THRUST_200600_302600_NS4plusIlEEEEZZNS1_33reduce_by_key_impl_wrapped_configILNS1_25lookback_scan_determinismE0ES3_SB_PS6_NS8_17constant_iteratorIiNS8_11use_defaultESG_EENS8_10device_ptrIS6_EENSI_IlEEPmSA_NS8_8equal_toIS6_EEEE10hipError_tPvRmT2_T3_mT4_T5_T6_T7_T8_P12ihipStream_tbENKUlT_T0_E_clISt17integral_constantIbLb0EES14_IbLb1EEEEDaS10_S11_EUlS10_E_NS1_11comp_targetILNS1_3genE4ELNS1_11target_archE910ELNS1_3gpuE8ELNS1_3repE0EEENS1_30default_config_static_selectorELNS0_4arch9wavefront6targetE1EEEvT1_
                                        ; -- End function
	.section	.AMDGPU.csdata,"",@progbits
; Kernel info:
; codeLenInByte = 17364
; NumSgprs: 67
; NumVgprs: 127
; NumAgprs: 0
; TotalNumVgprs: 127
; ScratchSize: 0
; MemoryBound: 0
; FloatMode: 240
; IeeeMode: 1
; LDSByteSize: 30720 bytes/workgroup (compile time only)
; SGPRBlocks: 8
; VGPRBlocks: 15
; NumSGPRsForWavesPerEU: 67
; NumVGPRsForWavesPerEU: 127
; AccumOffset: 128
; Occupancy: 2
; WaveLimiterHint : 1
; COMPUTE_PGM_RSRC2:SCRATCH_EN: 0
; COMPUTE_PGM_RSRC2:USER_SGPR: 6
; COMPUTE_PGM_RSRC2:TRAP_HANDLER: 0
; COMPUTE_PGM_RSRC2:TGID_X_EN: 1
; COMPUTE_PGM_RSRC2:TGID_Y_EN: 0
; COMPUTE_PGM_RSRC2:TGID_Z_EN: 0
; COMPUTE_PGM_RSRC2:TIDIG_COMP_CNT: 0
; COMPUTE_PGM_RSRC3_GFX90A:ACCUM_OFFSET: 31
; COMPUTE_PGM_RSRC3_GFX90A:TG_SPLIT: 0
	.section	.text._ZN7rocprim17ROCPRIM_400000_NS6detail17trampoline_kernelINS0_14default_configENS1_29reduce_by_key_config_selectorIN3c104HalfElN6thrust23THRUST_200600_302600_NS4plusIlEEEEZZNS1_33reduce_by_key_impl_wrapped_configILNS1_25lookback_scan_determinismE0ES3_SB_PS6_NS8_17constant_iteratorIiNS8_11use_defaultESG_EENS8_10device_ptrIS6_EENSI_IlEEPmSA_NS8_8equal_toIS6_EEEE10hipError_tPvRmT2_T3_mT4_T5_T6_T7_T8_P12ihipStream_tbENKUlT_T0_E_clISt17integral_constantIbLb0EES14_IbLb1EEEEDaS10_S11_EUlS10_E_NS1_11comp_targetILNS1_3genE3ELNS1_11target_archE908ELNS1_3gpuE7ELNS1_3repE0EEENS1_30default_config_static_selectorELNS0_4arch9wavefront6targetE1EEEvT1_,"axG",@progbits,_ZN7rocprim17ROCPRIM_400000_NS6detail17trampoline_kernelINS0_14default_configENS1_29reduce_by_key_config_selectorIN3c104HalfElN6thrust23THRUST_200600_302600_NS4plusIlEEEEZZNS1_33reduce_by_key_impl_wrapped_configILNS1_25lookback_scan_determinismE0ES3_SB_PS6_NS8_17constant_iteratorIiNS8_11use_defaultESG_EENS8_10device_ptrIS6_EENSI_IlEEPmSA_NS8_8equal_toIS6_EEEE10hipError_tPvRmT2_T3_mT4_T5_T6_T7_T8_P12ihipStream_tbENKUlT_T0_E_clISt17integral_constantIbLb0EES14_IbLb1EEEEDaS10_S11_EUlS10_E_NS1_11comp_targetILNS1_3genE3ELNS1_11target_archE908ELNS1_3gpuE7ELNS1_3repE0EEENS1_30default_config_static_selectorELNS0_4arch9wavefront6targetE1EEEvT1_,comdat
	.protected	_ZN7rocprim17ROCPRIM_400000_NS6detail17trampoline_kernelINS0_14default_configENS1_29reduce_by_key_config_selectorIN3c104HalfElN6thrust23THRUST_200600_302600_NS4plusIlEEEEZZNS1_33reduce_by_key_impl_wrapped_configILNS1_25lookback_scan_determinismE0ES3_SB_PS6_NS8_17constant_iteratorIiNS8_11use_defaultESG_EENS8_10device_ptrIS6_EENSI_IlEEPmSA_NS8_8equal_toIS6_EEEE10hipError_tPvRmT2_T3_mT4_T5_T6_T7_T8_P12ihipStream_tbENKUlT_T0_E_clISt17integral_constantIbLb0EES14_IbLb1EEEEDaS10_S11_EUlS10_E_NS1_11comp_targetILNS1_3genE3ELNS1_11target_archE908ELNS1_3gpuE7ELNS1_3repE0EEENS1_30default_config_static_selectorELNS0_4arch9wavefront6targetE1EEEvT1_ ; -- Begin function _ZN7rocprim17ROCPRIM_400000_NS6detail17trampoline_kernelINS0_14default_configENS1_29reduce_by_key_config_selectorIN3c104HalfElN6thrust23THRUST_200600_302600_NS4plusIlEEEEZZNS1_33reduce_by_key_impl_wrapped_configILNS1_25lookback_scan_determinismE0ES3_SB_PS6_NS8_17constant_iteratorIiNS8_11use_defaultESG_EENS8_10device_ptrIS6_EENSI_IlEEPmSA_NS8_8equal_toIS6_EEEE10hipError_tPvRmT2_T3_mT4_T5_T6_T7_T8_P12ihipStream_tbENKUlT_T0_E_clISt17integral_constantIbLb0EES14_IbLb1EEEEDaS10_S11_EUlS10_E_NS1_11comp_targetILNS1_3genE3ELNS1_11target_archE908ELNS1_3gpuE7ELNS1_3repE0EEENS1_30default_config_static_selectorELNS0_4arch9wavefront6targetE1EEEvT1_
	.globl	_ZN7rocprim17ROCPRIM_400000_NS6detail17trampoline_kernelINS0_14default_configENS1_29reduce_by_key_config_selectorIN3c104HalfElN6thrust23THRUST_200600_302600_NS4plusIlEEEEZZNS1_33reduce_by_key_impl_wrapped_configILNS1_25lookback_scan_determinismE0ES3_SB_PS6_NS8_17constant_iteratorIiNS8_11use_defaultESG_EENS8_10device_ptrIS6_EENSI_IlEEPmSA_NS8_8equal_toIS6_EEEE10hipError_tPvRmT2_T3_mT4_T5_T6_T7_T8_P12ihipStream_tbENKUlT_T0_E_clISt17integral_constantIbLb0EES14_IbLb1EEEEDaS10_S11_EUlS10_E_NS1_11comp_targetILNS1_3genE3ELNS1_11target_archE908ELNS1_3gpuE7ELNS1_3repE0EEENS1_30default_config_static_selectorELNS0_4arch9wavefront6targetE1EEEvT1_
	.p2align	8
	.type	_ZN7rocprim17ROCPRIM_400000_NS6detail17trampoline_kernelINS0_14default_configENS1_29reduce_by_key_config_selectorIN3c104HalfElN6thrust23THRUST_200600_302600_NS4plusIlEEEEZZNS1_33reduce_by_key_impl_wrapped_configILNS1_25lookback_scan_determinismE0ES3_SB_PS6_NS8_17constant_iteratorIiNS8_11use_defaultESG_EENS8_10device_ptrIS6_EENSI_IlEEPmSA_NS8_8equal_toIS6_EEEE10hipError_tPvRmT2_T3_mT4_T5_T6_T7_T8_P12ihipStream_tbENKUlT_T0_E_clISt17integral_constantIbLb0EES14_IbLb1EEEEDaS10_S11_EUlS10_E_NS1_11comp_targetILNS1_3genE3ELNS1_11target_archE908ELNS1_3gpuE7ELNS1_3repE0EEENS1_30default_config_static_selectorELNS0_4arch9wavefront6targetE1EEEvT1_,@function
_ZN7rocprim17ROCPRIM_400000_NS6detail17trampoline_kernelINS0_14default_configENS1_29reduce_by_key_config_selectorIN3c104HalfElN6thrust23THRUST_200600_302600_NS4plusIlEEEEZZNS1_33reduce_by_key_impl_wrapped_configILNS1_25lookback_scan_determinismE0ES3_SB_PS6_NS8_17constant_iteratorIiNS8_11use_defaultESG_EENS8_10device_ptrIS6_EENSI_IlEEPmSA_NS8_8equal_toIS6_EEEE10hipError_tPvRmT2_T3_mT4_T5_T6_T7_T8_P12ihipStream_tbENKUlT_T0_E_clISt17integral_constantIbLb0EES14_IbLb1EEEEDaS10_S11_EUlS10_E_NS1_11comp_targetILNS1_3genE3ELNS1_11target_archE908ELNS1_3gpuE7ELNS1_3repE0EEENS1_30default_config_static_selectorELNS0_4arch9wavefront6targetE1EEEvT1_: ; @_ZN7rocprim17ROCPRIM_400000_NS6detail17trampoline_kernelINS0_14default_configENS1_29reduce_by_key_config_selectorIN3c104HalfElN6thrust23THRUST_200600_302600_NS4plusIlEEEEZZNS1_33reduce_by_key_impl_wrapped_configILNS1_25lookback_scan_determinismE0ES3_SB_PS6_NS8_17constant_iteratorIiNS8_11use_defaultESG_EENS8_10device_ptrIS6_EENSI_IlEEPmSA_NS8_8equal_toIS6_EEEE10hipError_tPvRmT2_T3_mT4_T5_T6_T7_T8_P12ihipStream_tbENKUlT_T0_E_clISt17integral_constantIbLb0EES14_IbLb1EEEEDaS10_S11_EUlS10_E_NS1_11comp_targetILNS1_3genE3ELNS1_11target_archE908ELNS1_3gpuE7ELNS1_3repE0EEENS1_30default_config_static_selectorELNS0_4arch9wavefront6targetE1EEEvT1_
; %bb.0:
	.section	.rodata,"a",@progbits
	.p2align	6, 0x0
	.amdhsa_kernel _ZN7rocprim17ROCPRIM_400000_NS6detail17trampoline_kernelINS0_14default_configENS1_29reduce_by_key_config_selectorIN3c104HalfElN6thrust23THRUST_200600_302600_NS4plusIlEEEEZZNS1_33reduce_by_key_impl_wrapped_configILNS1_25lookback_scan_determinismE0ES3_SB_PS6_NS8_17constant_iteratorIiNS8_11use_defaultESG_EENS8_10device_ptrIS6_EENSI_IlEEPmSA_NS8_8equal_toIS6_EEEE10hipError_tPvRmT2_T3_mT4_T5_T6_T7_T8_P12ihipStream_tbENKUlT_T0_E_clISt17integral_constantIbLb0EES14_IbLb1EEEEDaS10_S11_EUlS10_E_NS1_11comp_targetILNS1_3genE3ELNS1_11target_archE908ELNS1_3gpuE7ELNS1_3repE0EEENS1_30default_config_static_selectorELNS0_4arch9wavefront6targetE1EEEvT1_
		.amdhsa_group_segment_fixed_size 0
		.amdhsa_private_segment_fixed_size 0
		.amdhsa_kernarg_size 144
		.amdhsa_user_sgpr_count 6
		.amdhsa_user_sgpr_private_segment_buffer 1
		.amdhsa_user_sgpr_dispatch_ptr 0
		.amdhsa_user_sgpr_queue_ptr 0
		.amdhsa_user_sgpr_kernarg_segment_ptr 1
		.amdhsa_user_sgpr_dispatch_id 0
		.amdhsa_user_sgpr_flat_scratch_init 0
		.amdhsa_user_sgpr_kernarg_preload_length 0
		.amdhsa_user_sgpr_kernarg_preload_offset 0
		.amdhsa_user_sgpr_private_segment_size 0
		.amdhsa_uses_dynamic_stack 0
		.amdhsa_system_sgpr_private_segment_wavefront_offset 0
		.amdhsa_system_sgpr_workgroup_id_x 1
		.amdhsa_system_sgpr_workgroup_id_y 0
		.amdhsa_system_sgpr_workgroup_id_z 0
		.amdhsa_system_sgpr_workgroup_info 0
		.amdhsa_system_vgpr_workitem_id 0
		.amdhsa_next_free_vgpr 1
		.amdhsa_next_free_sgpr 0
		.amdhsa_accum_offset 4
		.amdhsa_reserve_vcc 0
		.amdhsa_reserve_flat_scratch 0
		.amdhsa_float_round_mode_32 0
		.amdhsa_float_round_mode_16_64 0
		.amdhsa_float_denorm_mode_32 3
		.amdhsa_float_denorm_mode_16_64 3
		.amdhsa_dx10_clamp 1
		.amdhsa_ieee_mode 1
		.amdhsa_fp16_overflow 0
		.amdhsa_tg_split 0
		.amdhsa_exception_fp_ieee_invalid_op 0
		.amdhsa_exception_fp_denorm_src 0
		.amdhsa_exception_fp_ieee_div_zero 0
		.amdhsa_exception_fp_ieee_overflow 0
		.amdhsa_exception_fp_ieee_underflow 0
		.amdhsa_exception_fp_ieee_inexact 0
		.amdhsa_exception_int_div_zero 0
	.end_amdhsa_kernel
	.section	.text._ZN7rocprim17ROCPRIM_400000_NS6detail17trampoline_kernelINS0_14default_configENS1_29reduce_by_key_config_selectorIN3c104HalfElN6thrust23THRUST_200600_302600_NS4plusIlEEEEZZNS1_33reduce_by_key_impl_wrapped_configILNS1_25lookback_scan_determinismE0ES3_SB_PS6_NS8_17constant_iteratorIiNS8_11use_defaultESG_EENS8_10device_ptrIS6_EENSI_IlEEPmSA_NS8_8equal_toIS6_EEEE10hipError_tPvRmT2_T3_mT4_T5_T6_T7_T8_P12ihipStream_tbENKUlT_T0_E_clISt17integral_constantIbLb0EES14_IbLb1EEEEDaS10_S11_EUlS10_E_NS1_11comp_targetILNS1_3genE3ELNS1_11target_archE908ELNS1_3gpuE7ELNS1_3repE0EEENS1_30default_config_static_selectorELNS0_4arch9wavefront6targetE1EEEvT1_,"axG",@progbits,_ZN7rocprim17ROCPRIM_400000_NS6detail17trampoline_kernelINS0_14default_configENS1_29reduce_by_key_config_selectorIN3c104HalfElN6thrust23THRUST_200600_302600_NS4plusIlEEEEZZNS1_33reduce_by_key_impl_wrapped_configILNS1_25lookback_scan_determinismE0ES3_SB_PS6_NS8_17constant_iteratorIiNS8_11use_defaultESG_EENS8_10device_ptrIS6_EENSI_IlEEPmSA_NS8_8equal_toIS6_EEEE10hipError_tPvRmT2_T3_mT4_T5_T6_T7_T8_P12ihipStream_tbENKUlT_T0_E_clISt17integral_constantIbLb0EES14_IbLb1EEEEDaS10_S11_EUlS10_E_NS1_11comp_targetILNS1_3genE3ELNS1_11target_archE908ELNS1_3gpuE7ELNS1_3repE0EEENS1_30default_config_static_selectorELNS0_4arch9wavefront6targetE1EEEvT1_,comdat
.Lfunc_end2230:
	.size	_ZN7rocprim17ROCPRIM_400000_NS6detail17trampoline_kernelINS0_14default_configENS1_29reduce_by_key_config_selectorIN3c104HalfElN6thrust23THRUST_200600_302600_NS4plusIlEEEEZZNS1_33reduce_by_key_impl_wrapped_configILNS1_25lookback_scan_determinismE0ES3_SB_PS6_NS8_17constant_iteratorIiNS8_11use_defaultESG_EENS8_10device_ptrIS6_EENSI_IlEEPmSA_NS8_8equal_toIS6_EEEE10hipError_tPvRmT2_T3_mT4_T5_T6_T7_T8_P12ihipStream_tbENKUlT_T0_E_clISt17integral_constantIbLb0EES14_IbLb1EEEEDaS10_S11_EUlS10_E_NS1_11comp_targetILNS1_3genE3ELNS1_11target_archE908ELNS1_3gpuE7ELNS1_3repE0EEENS1_30default_config_static_selectorELNS0_4arch9wavefront6targetE1EEEvT1_, .Lfunc_end2230-_ZN7rocprim17ROCPRIM_400000_NS6detail17trampoline_kernelINS0_14default_configENS1_29reduce_by_key_config_selectorIN3c104HalfElN6thrust23THRUST_200600_302600_NS4plusIlEEEEZZNS1_33reduce_by_key_impl_wrapped_configILNS1_25lookback_scan_determinismE0ES3_SB_PS6_NS8_17constant_iteratorIiNS8_11use_defaultESG_EENS8_10device_ptrIS6_EENSI_IlEEPmSA_NS8_8equal_toIS6_EEEE10hipError_tPvRmT2_T3_mT4_T5_T6_T7_T8_P12ihipStream_tbENKUlT_T0_E_clISt17integral_constantIbLb0EES14_IbLb1EEEEDaS10_S11_EUlS10_E_NS1_11comp_targetILNS1_3genE3ELNS1_11target_archE908ELNS1_3gpuE7ELNS1_3repE0EEENS1_30default_config_static_selectorELNS0_4arch9wavefront6targetE1EEEvT1_
                                        ; -- End function
	.section	.AMDGPU.csdata,"",@progbits
; Kernel info:
; codeLenInByte = 0
; NumSgprs: 4
; NumVgprs: 0
; NumAgprs: 0
; TotalNumVgprs: 0
; ScratchSize: 0
; MemoryBound: 0
; FloatMode: 240
; IeeeMode: 1
; LDSByteSize: 0 bytes/workgroup (compile time only)
; SGPRBlocks: 0
; VGPRBlocks: 0
; NumSGPRsForWavesPerEU: 4
; NumVGPRsForWavesPerEU: 1
; AccumOffset: 4
; Occupancy: 8
; WaveLimiterHint : 0
; COMPUTE_PGM_RSRC2:SCRATCH_EN: 0
; COMPUTE_PGM_RSRC2:USER_SGPR: 6
; COMPUTE_PGM_RSRC2:TRAP_HANDLER: 0
; COMPUTE_PGM_RSRC2:TGID_X_EN: 1
; COMPUTE_PGM_RSRC2:TGID_Y_EN: 0
; COMPUTE_PGM_RSRC2:TGID_Z_EN: 0
; COMPUTE_PGM_RSRC2:TIDIG_COMP_CNT: 0
; COMPUTE_PGM_RSRC3_GFX90A:ACCUM_OFFSET: 0
; COMPUTE_PGM_RSRC3_GFX90A:TG_SPLIT: 0
	.section	.text._ZN7rocprim17ROCPRIM_400000_NS6detail17trampoline_kernelINS0_14default_configENS1_29reduce_by_key_config_selectorIN3c104HalfElN6thrust23THRUST_200600_302600_NS4plusIlEEEEZZNS1_33reduce_by_key_impl_wrapped_configILNS1_25lookback_scan_determinismE0ES3_SB_PS6_NS8_17constant_iteratorIiNS8_11use_defaultESG_EENS8_10device_ptrIS6_EENSI_IlEEPmSA_NS8_8equal_toIS6_EEEE10hipError_tPvRmT2_T3_mT4_T5_T6_T7_T8_P12ihipStream_tbENKUlT_T0_E_clISt17integral_constantIbLb0EES14_IbLb1EEEEDaS10_S11_EUlS10_E_NS1_11comp_targetILNS1_3genE2ELNS1_11target_archE906ELNS1_3gpuE6ELNS1_3repE0EEENS1_30default_config_static_selectorELNS0_4arch9wavefront6targetE1EEEvT1_,"axG",@progbits,_ZN7rocprim17ROCPRIM_400000_NS6detail17trampoline_kernelINS0_14default_configENS1_29reduce_by_key_config_selectorIN3c104HalfElN6thrust23THRUST_200600_302600_NS4plusIlEEEEZZNS1_33reduce_by_key_impl_wrapped_configILNS1_25lookback_scan_determinismE0ES3_SB_PS6_NS8_17constant_iteratorIiNS8_11use_defaultESG_EENS8_10device_ptrIS6_EENSI_IlEEPmSA_NS8_8equal_toIS6_EEEE10hipError_tPvRmT2_T3_mT4_T5_T6_T7_T8_P12ihipStream_tbENKUlT_T0_E_clISt17integral_constantIbLb0EES14_IbLb1EEEEDaS10_S11_EUlS10_E_NS1_11comp_targetILNS1_3genE2ELNS1_11target_archE906ELNS1_3gpuE6ELNS1_3repE0EEENS1_30default_config_static_selectorELNS0_4arch9wavefront6targetE1EEEvT1_,comdat
	.protected	_ZN7rocprim17ROCPRIM_400000_NS6detail17trampoline_kernelINS0_14default_configENS1_29reduce_by_key_config_selectorIN3c104HalfElN6thrust23THRUST_200600_302600_NS4plusIlEEEEZZNS1_33reduce_by_key_impl_wrapped_configILNS1_25lookback_scan_determinismE0ES3_SB_PS6_NS8_17constant_iteratorIiNS8_11use_defaultESG_EENS8_10device_ptrIS6_EENSI_IlEEPmSA_NS8_8equal_toIS6_EEEE10hipError_tPvRmT2_T3_mT4_T5_T6_T7_T8_P12ihipStream_tbENKUlT_T0_E_clISt17integral_constantIbLb0EES14_IbLb1EEEEDaS10_S11_EUlS10_E_NS1_11comp_targetILNS1_3genE2ELNS1_11target_archE906ELNS1_3gpuE6ELNS1_3repE0EEENS1_30default_config_static_selectorELNS0_4arch9wavefront6targetE1EEEvT1_ ; -- Begin function _ZN7rocprim17ROCPRIM_400000_NS6detail17trampoline_kernelINS0_14default_configENS1_29reduce_by_key_config_selectorIN3c104HalfElN6thrust23THRUST_200600_302600_NS4plusIlEEEEZZNS1_33reduce_by_key_impl_wrapped_configILNS1_25lookback_scan_determinismE0ES3_SB_PS6_NS8_17constant_iteratorIiNS8_11use_defaultESG_EENS8_10device_ptrIS6_EENSI_IlEEPmSA_NS8_8equal_toIS6_EEEE10hipError_tPvRmT2_T3_mT4_T5_T6_T7_T8_P12ihipStream_tbENKUlT_T0_E_clISt17integral_constantIbLb0EES14_IbLb1EEEEDaS10_S11_EUlS10_E_NS1_11comp_targetILNS1_3genE2ELNS1_11target_archE906ELNS1_3gpuE6ELNS1_3repE0EEENS1_30default_config_static_selectorELNS0_4arch9wavefront6targetE1EEEvT1_
	.globl	_ZN7rocprim17ROCPRIM_400000_NS6detail17trampoline_kernelINS0_14default_configENS1_29reduce_by_key_config_selectorIN3c104HalfElN6thrust23THRUST_200600_302600_NS4plusIlEEEEZZNS1_33reduce_by_key_impl_wrapped_configILNS1_25lookback_scan_determinismE0ES3_SB_PS6_NS8_17constant_iteratorIiNS8_11use_defaultESG_EENS8_10device_ptrIS6_EENSI_IlEEPmSA_NS8_8equal_toIS6_EEEE10hipError_tPvRmT2_T3_mT4_T5_T6_T7_T8_P12ihipStream_tbENKUlT_T0_E_clISt17integral_constantIbLb0EES14_IbLb1EEEEDaS10_S11_EUlS10_E_NS1_11comp_targetILNS1_3genE2ELNS1_11target_archE906ELNS1_3gpuE6ELNS1_3repE0EEENS1_30default_config_static_selectorELNS0_4arch9wavefront6targetE1EEEvT1_
	.p2align	8
	.type	_ZN7rocprim17ROCPRIM_400000_NS6detail17trampoline_kernelINS0_14default_configENS1_29reduce_by_key_config_selectorIN3c104HalfElN6thrust23THRUST_200600_302600_NS4plusIlEEEEZZNS1_33reduce_by_key_impl_wrapped_configILNS1_25lookback_scan_determinismE0ES3_SB_PS6_NS8_17constant_iteratorIiNS8_11use_defaultESG_EENS8_10device_ptrIS6_EENSI_IlEEPmSA_NS8_8equal_toIS6_EEEE10hipError_tPvRmT2_T3_mT4_T5_T6_T7_T8_P12ihipStream_tbENKUlT_T0_E_clISt17integral_constantIbLb0EES14_IbLb1EEEEDaS10_S11_EUlS10_E_NS1_11comp_targetILNS1_3genE2ELNS1_11target_archE906ELNS1_3gpuE6ELNS1_3repE0EEENS1_30default_config_static_selectorELNS0_4arch9wavefront6targetE1EEEvT1_,@function
_ZN7rocprim17ROCPRIM_400000_NS6detail17trampoline_kernelINS0_14default_configENS1_29reduce_by_key_config_selectorIN3c104HalfElN6thrust23THRUST_200600_302600_NS4plusIlEEEEZZNS1_33reduce_by_key_impl_wrapped_configILNS1_25lookback_scan_determinismE0ES3_SB_PS6_NS8_17constant_iteratorIiNS8_11use_defaultESG_EENS8_10device_ptrIS6_EENSI_IlEEPmSA_NS8_8equal_toIS6_EEEE10hipError_tPvRmT2_T3_mT4_T5_T6_T7_T8_P12ihipStream_tbENKUlT_T0_E_clISt17integral_constantIbLb0EES14_IbLb1EEEEDaS10_S11_EUlS10_E_NS1_11comp_targetILNS1_3genE2ELNS1_11target_archE906ELNS1_3gpuE6ELNS1_3repE0EEENS1_30default_config_static_selectorELNS0_4arch9wavefront6targetE1EEEvT1_: ; @_ZN7rocprim17ROCPRIM_400000_NS6detail17trampoline_kernelINS0_14default_configENS1_29reduce_by_key_config_selectorIN3c104HalfElN6thrust23THRUST_200600_302600_NS4plusIlEEEEZZNS1_33reduce_by_key_impl_wrapped_configILNS1_25lookback_scan_determinismE0ES3_SB_PS6_NS8_17constant_iteratorIiNS8_11use_defaultESG_EENS8_10device_ptrIS6_EENSI_IlEEPmSA_NS8_8equal_toIS6_EEEE10hipError_tPvRmT2_T3_mT4_T5_T6_T7_T8_P12ihipStream_tbENKUlT_T0_E_clISt17integral_constantIbLb0EES14_IbLb1EEEEDaS10_S11_EUlS10_E_NS1_11comp_targetILNS1_3genE2ELNS1_11target_archE906ELNS1_3gpuE6ELNS1_3repE0EEENS1_30default_config_static_selectorELNS0_4arch9wavefront6targetE1EEEvT1_
; %bb.0:
	.section	.rodata,"a",@progbits
	.p2align	6, 0x0
	.amdhsa_kernel _ZN7rocprim17ROCPRIM_400000_NS6detail17trampoline_kernelINS0_14default_configENS1_29reduce_by_key_config_selectorIN3c104HalfElN6thrust23THRUST_200600_302600_NS4plusIlEEEEZZNS1_33reduce_by_key_impl_wrapped_configILNS1_25lookback_scan_determinismE0ES3_SB_PS6_NS8_17constant_iteratorIiNS8_11use_defaultESG_EENS8_10device_ptrIS6_EENSI_IlEEPmSA_NS8_8equal_toIS6_EEEE10hipError_tPvRmT2_T3_mT4_T5_T6_T7_T8_P12ihipStream_tbENKUlT_T0_E_clISt17integral_constantIbLb0EES14_IbLb1EEEEDaS10_S11_EUlS10_E_NS1_11comp_targetILNS1_3genE2ELNS1_11target_archE906ELNS1_3gpuE6ELNS1_3repE0EEENS1_30default_config_static_selectorELNS0_4arch9wavefront6targetE1EEEvT1_
		.amdhsa_group_segment_fixed_size 0
		.amdhsa_private_segment_fixed_size 0
		.amdhsa_kernarg_size 144
		.amdhsa_user_sgpr_count 6
		.amdhsa_user_sgpr_private_segment_buffer 1
		.amdhsa_user_sgpr_dispatch_ptr 0
		.amdhsa_user_sgpr_queue_ptr 0
		.amdhsa_user_sgpr_kernarg_segment_ptr 1
		.amdhsa_user_sgpr_dispatch_id 0
		.amdhsa_user_sgpr_flat_scratch_init 0
		.amdhsa_user_sgpr_kernarg_preload_length 0
		.amdhsa_user_sgpr_kernarg_preload_offset 0
		.amdhsa_user_sgpr_private_segment_size 0
		.amdhsa_uses_dynamic_stack 0
		.amdhsa_system_sgpr_private_segment_wavefront_offset 0
		.amdhsa_system_sgpr_workgroup_id_x 1
		.amdhsa_system_sgpr_workgroup_id_y 0
		.amdhsa_system_sgpr_workgroup_id_z 0
		.amdhsa_system_sgpr_workgroup_info 0
		.amdhsa_system_vgpr_workitem_id 0
		.amdhsa_next_free_vgpr 1
		.amdhsa_next_free_sgpr 0
		.amdhsa_accum_offset 4
		.amdhsa_reserve_vcc 0
		.amdhsa_reserve_flat_scratch 0
		.amdhsa_float_round_mode_32 0
		.amdhsa_float_round_mode_16_64 0
		.amdhsa_float_denorm_mode_32 3
		.amdhsa_float_denorm_mode_16_64 3
		.amdhsa_dx10_clamp 1
		.amdhsa_ieee_mode 1
		.amdhsa_fp16_overflow 0
		.amdhsa_tg_split 0
		.amdhsa_exception_fp_ieee_invalid_op 0
		.amdhsa_exception_fp_denorm_src 0
		.amdhsa_exception_fp_ieee_div_zero 0
		.amdhsa_exception_fp_ieee_overflow 0
		.amdhsa_exception_fp_ieee_underflow 0
		.amdhsa_exception_fp_ieee_inexact 0
		.amdhsa_exception_int_div_zero 0
	.end_amdhsa_kernel
	.section	.text._ZN7rocprim17ROCPRIM_400000_NS6detail17trampoline_kernelINS0_14default_configENS1_29reduce_by_key_config_selectorIN3c104HalfElN6thrust23THRUST_200600_302600_NS4plusIlEEEEZZNS1_33reduce_by_key_impl_wrapped_configILNS1_25lookback_scan_determinismE0ES3_SB_PS6_NS8_17constant_iteratorIiNS8_11use_defaultESG_EENS8_10device_ptrIS6_EENSI_IlEEPmSA_NS8_8equal_toIS6_EEEE10hipError_tPvRmT2_T3_mT4_T5_T6_T7_T8_P12ihipStream_tbENKUlT_T0_E_clISt17integral_constantIbLb0EES14_IbLb1EEEEDaS10_S11_EUlS10_E_NS1_11comp_targetILNS1_3genE2ELNS1_11target_archE906ELNS1_3gpuE6ELNS1_3repE0EEENS1_30default_config_static_selectorELNS0_4arch9wavefront6targetE1EEEvT1_,"axG",@progbits,_ZN7rocprim17ROCPRIM_400000_NS6detail17trampoline_kernelINS0_14default_configENS1_29reduce_by_key_config_selectorIN3c104HalfElN6thrust23THRUST_200600_302600_NS4plusIlEEEEZZNS1_33reduce_by_key_impl_wrapped_configILNS1_25lookback_scan_determinismE0ES3_SB_PS6_NS8_17constant_iteratorIiNS8_11use_defaultESG_EENS8_10device_ptrIS6_EENSI_IlEEPmSA_NS8_8equal_toIS6_EEEE10hipError_tPvRmT2_T3_mT4_T5_T6_T7_T8_P12ihipStream_tbENKUlT_T0_E_clISt17integral_constantIbLb0EES14_IbLb1EEEEDaS10_S11_EUlS10_E_NS1_11comp_targetILNS1_3genE2ELNS1_11target_archE906ELNS1_3gpuE6ELNS1_3repE0EEENS1_30default_config_static_selectorELNS0_4arch9wavefront6targetE1EEEvT1_,comdat
.Lfunc_end2231:
	.size	_ZN7rocprim17ROCPRIM_400000_NS6detail17trampoline_kernelINS0_14default_configENS1_29reduce_by_key_config_selectorIN3c104HalfElN6thrust23THRUST_200600_302600_NS4plusIlEEEEZZNS1_33reduce_by_key_impl_wrapped_configILNS1_25lookback_scan_determinismE0ES3_SB_PS6_NS8_17constant_iteratorIiNS8_11use_defaultESG_EENS8_10device_ptrIS6_EENSI_IlEEPmSA_NS8_8equal_toIS6_EEEE10hipError_tPvRmT2_T3_mT4_T5_T6_T7_T8_P12ihipStream_tbENKUlT_T0_E_clISt17integral_constantIbLb0EES14_IbLb1EEEEDaS10_S11_EUlS10_E_NS1_11comp_targetILNS1_3genE2ELNS1_11target_archE906ELNS1_3gpuE6ELNS1_3repE0EEENS1_30default_config_static_selectorELNS0_4arch9wavefront6targetE1EEEvT1_, .Lfunc_end2231-_ZN7rocprim17ROCPRIM_400000_NS6detail17trampoline_kernelINS0_14default_configENS1_29reduce_by_key_config_selectorIN3c104HalfElN6thrust23THRUST_200600_302600_NS4plusIlEEEEZZNS1_33reduce_by_key_impl_wrapped_configILNS1_25lookback_scan_determinismE0ES3_SB_PS6_NS8_17constant_iteratorIiNS8_11use_defaultESG_EENS8_10device_ptrIS6_EENSI_IlEEPmSA_NS8_8equal_toIS6_EEEE10hipError_tPvRmT2_T3_mT4_T5_T6_T7_T8_P12ihipStream_tbENKUlT_T0_E_clISt17integral_constantIbLb0EES14_IbLb1EEEEDaS10_S11_EUlS10_E_NS1_11comp_targetILNS1_3genE2ELNS1_11target_archE906ELNS1_3gpuE6ELNS1_3repE0EEENS1_30default_config_static_selectorELNS0_4arch9wavefront6targetE1EEEvT1_
                                        ; -- End function
	.section	.AMDGPU.csdata,"",@progbits
; Kernel info:
; codeLenInByte = 0
; NumSgprs: 4
; NumVgprs: 0
; NumAgprs: 0
; TotalNumVgprs: 0
; ScratchSize: 0
; MemoryBound: 0
; FloatMode: 240
; IeeeMode: 1
; LDSByteSize: 0 bytes/workgroup (compile time only)
; SGPRBlocks: 0
; VGPRBlocks: 0
; NumSGPRsForWavesPerEU: 4
; NumVGPRsForWavesPerEU: 1
; AccumOffset: 4
; Occupancy: 8
; WaveLimiterHint : 0
; COMPUTE_PGM_RSRC2:SCRATCH_EN: 0
; COMPUTE_PGM_RSRC2:USER_SGPR: 6
; COMPUTE_PGM_RSRC2:TRAP_HANDLER: 0
; COMPUTE_PGM_RSRC2:TGID_X_EN: 1
; COMPUTE_PGM_RSRC2:TGID_Y_EN: 0
; COMPUTE_PGM_RSRC2:TGID_Z_EN: 0
; COMPUTE_PGM_RSRC2:TIDIG_COMP_CNT: 0
; COMPUTE_PGM_RSRC3_GFX90A:ACCUM_OFFSET: 0
; COMPUTE_PGM_RSRC3_GFX90A:TG_SPLIT: 0
	.section	.text._ZN7rocprim17ROCPRIM_400000_NS6detail17trampoline_kernelINS0_14default_configENS1_29reduce_by_key_config_selectorIN3c104HalfElN6thrust23THRUST_200600_302600_NS4plusIlEEEEZZNS1_33reduce_by_key_impl_wrapped_configILNS1_25lookback_scan_determinismE0ES3_SB_PS6_NS8_17constant_iteratorIiNS8_11use_defaultESG_EENS8_10device_ptrIS6_EENSI_IlEEPmSA_NS8_8equal_toIS6_EEEE10hipError_tPvRmT2_T3_mT4_T5_T6_T7_T8_P12ihipStream_tbENKUlT_T0_E_clISt17integral_constantIbLb0EES14_IbLb1EEEEDaS10_S11_EUlS10_E_NS1_11comp_targetILNS1_3genE10ELNS1_11target_archE1201ELNS1_3gpuE5ELNS1_3repE0EEENS1_30default_config_static_selectorELNS0_4arch9wavefront6targetE1EEEvT1_,"axG",@progbits,_ZN7rocprim17ROCPRIM_400000_NS6detail17trampoline_kernelINS0_14default_configENS1_29reduce_by_key_config_selectorIN3c104HalfElN6thrust23THRUST_200600_302600_NS4plusIlEEEEZZNS1_33reduce_by_key_impl_wrapped_configILNS1_25lookback_scan_determinismE0ES3_SB_PS6_NS8_17constant_iteratorIiNS8_11use_defaultESG_EENS8_10device_ptrIS6_EENSI_IlEEPmSA_NS8_8equal_toIS6_EEEE10hipError_tPvRmT2_T3_mT4_T5_T6_T7_T8_P12ihipStream_tbENKUlT_T0_E_clISt17integral_constantIbLb0EES14_IbLb1EEEEDaS10_S11_EUlS10_E_NS1_11comp_targetILNS1_3genE10ELNS1_11target_archE1201ELNS1_3gpuE5ELNS1_3repE0EEENS1_30default_config_static_selectorELNS0_4arch9wavefront6targetE1EEEvT1_,comdat
	.protected	_ZN7rocprim17ROCPRIM_400000_NS6detail17trampoline_kernelINS0_14default_configENS1_29reduce_by_key_config_selectorIN3c104HalfElN6thrust23THRUST_200600_302600_NS4plusIlEEEEZZNS1_33reduce_by_key_impl_wrapped_configILNS1_25lookback_scan_determinismE0ES3_SB_PS6_NS8_17constant_iteratorIiNS8_11use_defaultESG_EENS8_10device_ptrIS6_EENSI_IlEEPmSA_NS8_8equal_toIS6_EEEE10hipError_tPvRmT2_T3_mT4_T5_T6_T7_T8_P12ihipStream_tbENKUlT_T0_E_clISt17integral_constantIbLb0EES14_IbLb1EEEEDaS10_S11_EUlS10_E_NS1_11comp_targetILNS1_3genE10ELNS1_11target_archE1201ELNS1_3gpuE5ELNS1_3repE0EEENS1_30default_config_static_selectorELNS0_4arch9wavefront6targetE1EEEvT1_ ; -- Begin function _ZN7rocprim17ROCPRIM_400000_NS6detail17trampoline_kernelINS0_14default_configENS1_29reduce_by_key_config_selectorIN3c104HalfElN6thrust23THRUST_200600_302600_NS4plusIlEEEEZZNS1_33reduce_by_key_impl_wrapped_configILNS1_25lookback_scan_determinismE0ES3_SB_PS6_NS8_17constant_iteratorIiNS8_11use_defaultESG_EENS8_10device_ptrIS6_EENSI_IlEEPmSA_NS8_8equal_toIS6_EEEE10hipError_tPvRmT2_T3_mT4_T5_T6_T7_T8_P12ihipStream_tbENKUlT_T0_E_clISt17integral_constantIbLb0EES14_IbLb1EEEEDaS10_S11_EUlS10_E_NS1_11comp_targetILNS1_3genE10ELNS1_11target_archE1201ELNS1_3gpuE5ELNS1_3repE0EEENS1_30default_config_static_selectorELNS0_4arch9wavefront6targetE1EEEvT1_
	.globl	_ZN7rocprim17ROCPRIM_400000_NS6detail17trampoline_kernelINS0_14default_configENS1_29reduce_by_key_config_selectorIN3c104HalfElN6thrust23THRUST_200600_302600_NS4plusIlEEEEZZNS1_33reduce_by_key_impl_wrapped_configILNS1_25lookback_scan_determinismE0ES3_SB_PS6_NS8_17constant_iteratorIiNS8_11use_defaultESG_EENS8_10device_ptrIS6_EENSI_IlEEPmSA_NS8_8equal_toIS6_EEEE10hipError_tPvRmT2_T3_mT4_T5_T6_T7_T8_P12ihipStream_tbENKUlT_T0_E_clISt17integral_constantIbLb0EES14_IbLb1EEEEDaS10_S11_EUlS10_E_NS1_11comp_targetILNS1_3genE10ELNS1_11target_archE1201ELNS1_3gpuE5ELNS1_3repE0EEENS1_30default_config_static_selectorELNS0_4arch9wavefront6targetE1EEEvT1_
	.p2align	8
	.type	_ZN7rocprim17ROCPRIM_400000_NS6detail17trampoline_kernelINS0_14default_configENS1_29reduce_by_key_config_selectorIN3c104HalfElN6thrust23THRUST_200600_302600_NS4plusIlEEEEZZNS1_33reduce_by_key_impl_wrapped_configILNS1_25lookback_scan_determinismE0ES3_SB_PS6_NS8_17constant_iteratorIiNS8_11use_defaultESG_EENS8_10device_ptrIS6_EENSI_IlEEPmSA_NS8_8equal_toIS6_EEEE10hipError_tPvRmT2_T3_mT4_T5_T6_T7_T8_P12ihipStream_tbENKUlT_T0_E_clISt17integral_constantIbLb0EES14_IbLb1EEEEDaS10_S11_EUlS10_E_NS1_11comp_targetILNS1_3genE10ELNS1_11target_archE1201ELNS1_3gpuE5ELNS1_3repE0EEENS1_30default_config_static_selectorELNS0_4arch9wavefront6targetE1EEEvT1_,@function
_ZN7rocprim17ROCPRIM_400000_NS6detail17trampoline_kernelINS0_14default_configENS1_29reduce_by_key_config_selectorIN3c104HalfElN6thrust23THRUST_200600_302600_NS4plusIlEEEEZZNS1_33reduce_by_key_impl_wrapped_configILNS1_25lookback_scan_determinismE0ES3_SB_PS6_NS8_17constant_iteratorIiNS8_11use_defaultESG_EENS8_10device_ptrIS6_EENSI_IlEEPmSA_NS8_8equal_toIS6_EEEE10hipError_tPvRmT2_T3_mT4_T5_T6_T7_T8_P12ihipStream_tbENKUlT_T0_E_clISt17integral_constantIbLb0EES14_IbLb1EEEEDaS10_S11_EUlS10_E_NS1_11comp_targetILNS1_3genE10ELNS1_11target_archE1201ELNS1_3gpuE5ELNS1_3repE0EEENS1_30default_config_static_selectorELNS0_4arch9wavefront6targetE1EEEvT1_: ; @_ZN7rocprim17ROCPRIM_400000_NS6detail17trampoline_kernelINS0_14default_configENS1_29reduce_by_key_config_selectorIN3c104HalfElN6thrust23THRUST_200600_302600_NS4plusIlEEEEZZNS1_33reduce_by_key_impl_wrapped_configILNS1_25lookback_scan_determinismE0ES3_SB_PS6_NS8_17constant_iteratorIiNS8_11use_defaultESG_EENS8_10device_ptrIS6_EENSI_IlEEPmSA_NS8_8equal_toIS6_EEEE10hipError_tPvRmT2_T3_mT4_T5_T6_T7_T8_P12ihipStream_tbENKUlT_T0_E_clISt17integral_constantIbLb0EES14_IbLb1EEEEDaS10_S11_EUlS10_E_NS1_11comp_targetILNS1_3genE10ELNS1_11target_archE1201ELNS1_3gpuE5ELNS1_3repE0EEENS1_30default_config_static_selectorELNS0_4arch9wavefront6targetE1EEEvT1_
; %bb.0:
	.section	.rodata,"a",@progbits
	.p2align	6, 0x0
	.amdhsa_kernel _ZN7rocprim17ROCPRIM_400000_NS6detail17trampoline_kernelINS0_14default_configENS1_29reduce_by_key_config_selectorIN3c104HalfElN6thrust23THRUST_200600_302600_NS4plusIlEEEEZZNS1_33reduce_by_key_impl_wrapped_configILNS1_25lookback_scan_determinismE0ES3_SB_PS6_NS8_17constant_iteratorIiNS8_11use_defaultESG_EENS8_10device_ptrIS6_EENSI_IlEEPmSA_NS8_8equal_toIS6_EEEE10hipError_tPvRmT2_T3_mT4_T5_T6_T7_T8_P12ihipStream_tbENKUlT_T0_E_clISt17integral_constantIbLb0EES14_IbLb1EEEEDaS10_S11_EUlS10_E_NS1_11comp_targetILNS1_3genE10ELNS1_11target_archE1201ELNS1_3gpuE5ELNS1_3repE0EEENS1_30default_config_static_selectorELNS0_4arch9wavefront6targetE1EEEvT1_
		.amdhsa_group_segment_fixed_size 0
		.amdhsa_private_segment_fixed_size 0
		.amdhsa_kernarg_size 144
		.amdhsa_user_sgpr_count 6
		.amdhsa_user_sgpr_private_segment_buffer 1
		.amdhsa_user_sgpr_dispatch_ptr 0
		.amdhsa_user_sgpr_queue_ptr 0
		.amdhsa_user_sgpr_kernarg_segment_ptr 1
		.amdhsa_user_sgpr_dispatch_id 0
		.amdhsa_user_sgpr_flat_scratch_init 0
		.amdhsa_user_sgpr_kernarg_preload_length 0
		.amdhsa_user_sgpr_kernarg_preload_offset 0
		.amdhsa_user_sgpr_private_segment_size 0
		.amdhsa_uses_dynamic_stack 0
		.amdhsa_system_sgpr_private_segment_wavefront_offset 0
		.amdhsa_system_sgpr_workgroup_id_x 1
		.amdhsa_system_sgpr_workgroup_id_y 0
		.amdhsa_system_sgpr_workgroup_id_z 0
		.amdhsa_system_sgpr_workgroup_info 0
		.amdhsa_system_vgpr_workitem_id 0
		.amdhsa_next_free_vgpr 1
		.amdhsa_next_free_sgpr 0
		.amdhsa_accum_offset 4
		.amdhsa_reserve_vcc 0
		.amdhsa_reserve_flat_scratch 0
		.amdhsa_float_round_mode_32 0
		.amdhsa_float_round_mode_16_64 0
		.amdhsa_float_denorm_mode_32 3
		.amdhsa_float_denorm_mode_16_64 3
		.amdhsa_dx10_clamp 1
		.amdhsa_ieee_mode 1
		.amdhsa_fp16_overflow 0
		.amdhsa_tg_split 0
		.amdhsa_exception_fp_ieee_invalid_op 0
		.amdhsa_exception_fp_denorm_src 0
		.amdhsa_exception_fp_ieee_div_zero 0
		.amdhsa_exception_fp_ieee_overflow 0
		.amdhsa_exception_fp_ieee_underflow 0
		.amdhsa_exception_fp_ieee_inexact 0
		.amdhsa_exception_int_div_zero 0
	.end_amdhsa_kernel
	.section	.text._ZN7rocprim17ROCPRIM_400000_NS6detail17trampoline_kernelINS0_14default_configENS1_29reduce_by_key_config_selectorIN3c104HalfElN6thrust23THRUST_200600_302600_NS4plusIlEEEEZZNS1_33reduce_by_key_impl_wrapped_configILNS1_25lookback_scan_determinismE0ES3_SB_PS6_NS8_17constant_iteratorIiNS8_11use_defaultESG_EENS8_10device_ptrIS6_EENSI_IlEEPmSA_NS8_8equal_toIS6_EEEE10hipError_tPvRmT2_T3_mT4_T5_T6_T7_T8_P12ihipStream_tbENKUlT_T0_E_clISt17integral_constantIbLb0EES14_IbLb1EEEEDaS10_S11_EUlS10_E_NS1_11comp_targetILNS1_3genE10ELNS1_11target_archE1201ELNS1_3gpuE5ELNS1_3repE0EEENS1_30default_config_static_selectorELNS0_4arch9wavefront6targetE1EEEvT1_,"axG",@progbits,_ZN7rocprim17ROCPRIM_400000_NS6detail17trampoline_kernelINS0_14default_configENS1_29reduce_by_key_config_selectorIN3c104HalfElN6thrust23THRUST_200600_302600_NS4plusIlEEEEZZNS1_33reduce_by_key_impl_wrapped_configILNS1_25lookback_scan_determinismE0ES3_SB_PS6_NS8_17constant_iteratorIiNS8_11use_defaultESG_EENS8_10device_ptrIS6_EENSI_IlEEPmSA_NS8_8equal_toIS6_EEEE10hipError_tPvRmT2_T3_mT4_T5_T6_T7_T8_P12ihipStream_tbENKUlT_T0_E_clISt17integral_constantIbLb0EES14_IbLb1EEEEDaS10_S11_EUlS10_E_NS1_11comp_targetILNS1_3genE10ELNS1_11target_archE1201ELNS1_3gpuE5ELNS1_3repE0EEENS1_30default_config_static_selectorELNS0_4arch9wavefront6targetE1EEEvT1_,comdat
.Lfunc_end2232:
	.size	_ZN7rocprim17ROCPRIM_400000_NS6detail17trampoline_kernelINS0_14default_configENS1_29reduce_by_key_config_selectorIN3c104HalfElN6thrust23THRUST_200600_302600_NS4plusIlEEEEZZNS1_33reduce_by_key_impl_wrapped_configILNS1_25lookback_scan_determinismE0ES3_SB_PS6_NS8_17constant_iteratorIiNS8_11use_defaultESG_EENS8_10device_ptrIS6_EENSI_IlEEPmSA_NS8_8equal_toIS6_EEEE10hipError_tPvRmT2_T3_mT4_T5_T6_T7_T8_P12ihipStream_tbENKUlT_T0_E_clISt17integral_constantIbLb0EES14_IbLb1EEEEDaS10_S11_EUlS10_E_NS1_11comp_targetILNS1_3genE10ELNS1_11target_archE1201ELNS1_3gpuE5ELNS1_3repE0EEENS1_30default_config_static_selectorELNS0_4arch9wavefront6targetE1EEEvT1_, .Lfunc_end2232-_ZN7rocprim17ROCPRIM_400000_NS6detail17trampoline_kernelINS0_14default_configENS1_29reduce_by_key_config_selectorIN3c104HalfElN6thrust23THRUST_200600_302600_NS4plusIlEEEEZZNS1_33reduce_by_key_impl_wrapped_configILNS1_25lookback_scan_determinismE0ES3_SB_PS6_NS8_17constant_iteratorIiNS8_11use_defaultESG_EENS8_10device_ptrIS6_EENSI_IlEEPmSA_NS8_8equal_toIS6_EEEE10hipError_tPvRmT2_T3_mT4_T5_T6_T7_T8_P12ihipStream_tbENKUlT_T0_E_clISt17integral_constantIbLb0EES14_IbLb1EEEEDaS10_S11_EUlS10_E_NS1_11comp_targetILNS1_3genE10ELNS1_11target_archE1201ELNS1_3gpuE5ELNS1_3repE0EEENS1_30default_config_static_selectorELNS0_4arch9wavefront6targetE1EEEvT1_
                                        ; -- End function
	.section	.AMDGPU.csdata,"",@progbits
; Kernel info:
; codeLenInByte = 0
; NumSgprs: 4
; NumVgprs: 0
; NumAgprs: 0
; TotalNumVgprs: 0
; ScratchSize: 0
; MemoryBound: 0
; FloatMode: 240
; IeeeMode: 1
; LDSByteSize: 0 bytes/workgroup (compile time only)
; SGPRBlocks: 0
; VGPRBlocks: 0
; NumSGPRsForWavesPerEU: 4
; NumVGPRsForWavesPerEU: 1
; AccumOffset: 4
; Occupancy: 8
; WaveLimiterHint : 0
; COMPUTE_PGM_RSRC2:SCRATCH_EN: 0
; COMPUTE_PGM_RSRC2:USER_SGPR: 6
; COMPUTE_PGM_RSRC2:TRAP_HANDLER: 0
; COMPUTE_PGM_RSRC2:TGID_X_EN: 1
; COMPUTE_PGM_RSRC2:TGID_Y_EN: 0
; COMPUTE_PGM_RSRC2:TGID_Z_EN: 0
; COMPUTE_PGM_RSRC2:TIDIG_COMP_CNT: 0
; COMPUTE_PGM_RSRC3_GFX90A:ACCUM_OFFSET: 0
; COMPUTE_PGM_RSRC3_GFX90A:TG_SPLIT: 0
	.section	.text._ZN7rocprim17ROCPRIM_400000_NS6detail17trampoline_kernelINS0_14default_configENS1_29reduce_by_key_config_selectorIN3c104HalfElN6thrust23THRUST_200600_302600_NS4plusIlEEEEZZNS1_33reduce_by_key_impl_wrapped_configILNS1_25lookback_scan_determinismE0ES3_SB_PS6_NS8_17constant_iteratorIiNS8_11use_defaultESG_EENS8_10device_ptrIS6_EENSI_IlEEPmSA_NS8_8equal_toIS6_EEEE10hipError_tPvRmT2_T3_mT4_T5_T6_T7_T8_P12ihipStream_tbENKUlT_T0_E_clISt17integral_constantIbLb0EES14_IbLb1EEEEDaS10_S11_EUlS10_E_NS1_11comp_targetILNS1_3genE10ELNS1_11target_archE1200ELNS1_3gpuE4ELNS1_3repE0EEENS1_30default_config_static_selectorELNS0_4arch9wavefront6targetE1EEEvT1_,"axG",@progbits,_ZN7rocprim17ROCPRIM_400000_NS6detail17trampoline_kernelINS0_14default_configENS1_29reduce_by_key_config_selectorIN3c104HalfElN6thrust23THRUST_200600_302600_NS4plusIlEEEEZZNS1_33reduce_by_key_impl_wrapped_configILNS1_25lookback_scan_determinismE0ES3_SB_PS6_NS8_17constant_iteratorIiNS8_11use_defaultESG_EENS8_10device_ptrIS6_EENSI_IlEEPmSA_NS8_8equal_toIS6_EEEE10hipError_tPvRmT2_T3_mT4_T5_T6_T7_T8_P12ihipStream_tbENKUlT_T0_E_clISt17integral_constantIbLb0EES14_IbLb1EEEEDaS10_S11_EUlS10_E_NS1_11comp_targetILNS1_3genE10ELNS1_11target_archE1200ELNS1_3gpuE4ELNS1_3repE0EEENS1_30default_config_static_selectorELNS0_4arch9wavefront6targetE1EEEvT1_,comdat
	.protected	_ZN7rocprim17ROCPRIM_400000_NS6detail17trampoline_kernelINS0_14default_configENS1_29reduce_by_key_config_selectorIN3c104HalfElN6thrust23THRUST_200600_302600_NS4plusIlEEEEZZNS1_33reduce_by_key_impl_wrapped_configILNS1_25lookback_scan_determinismE0ES3_SB_PS6_NS8_17constant_iteratorIiNS8_11use_defaultESG_EENS8_10device_ptrIS6_EENSI_IlEEPmSA_NS8_8equal_toIS6_EEEE10hipError_tPvRmT2_T3_mT4_T5_T6_T7_T8_P12ihipStream_tbENKUlT_T0_E_clISt17integral_constantIbLb0EES14_IbLb1EEEEDaS10_S11_EUlS10_E_NS1_11comp_targetILNS1_3genE10ELNS1_11target_archE1200ELNS1_3gpuE4ELNS1_3repE0EEENS1_30default_config_static_selectorELNS0_4arch9wavefront6targetE1EEEvT1_ ; -- Begin function _ZN7rocprim17ROCPRIM_400000_NS6detail17trampoline_kernelINS0_14default_configENS1_29reduce_by_key_config_selectorIN3c104HalfElN6thrust23THRUST_200600_302600_NS4plusIlEEEEZZNS1_33reduce_by_key_impl_wrapped_configILNS1_25lookback_scan_determinismE0ES3_SB_PS6_NS8_17constant_iteratorIiNS8_11use_defaultESG_EENS8_10device_ptrIS6_EENSI_IlEEPmSA_NS8_8equal_toIS6_EEEE10hipError_tPvRmT2_T3_mT4_T5_T6_T7_T8_P12ihipStream_tbENKUlT_T0_E_clISt17integral_constantIbLb0EES14_IbLb1EEEEDaS10_S11_EUlS10_E_NS1_11comp_targetILNS1_3genE10ELNS1_11target_archE1200ELNS1_3gpuE4ELNS1_3repE0EEENS1_30default_config_static_selectorELNS0_4arch9wavefront6targetE1EEEvT1_
	.globl	_ZN7rocprim17ROCPRIM_400000_NS6detail17trampoline_kernelINS0_14default_configENS1_29reduce_by_key_config_selectorIN3c104HalfElN6thrust23THRUST_200600_302600_NS4plusIlEEEEZZNS1_33reduce_by_key_impl_wrapped_configILNS1_25lookback_scan_determinismE0ES3_SB_PS6_NS8_17constant_iteratorIiNS8_11use_defaultESG_EENS8_10device_ptrIS6_EENSI_IlEEPmSA_NS8_8equal_toIS6_EEEE10hipError_tPvRmT2_T3_mT4_T5_T6_T7_T8_P12ihipStream_tbENKUlT_T0_E_clISt17integral_constantIbLb0EES14_IbLb1EEEEDaS10_S11_EUlS10_E_NS1_11comp_targetILNS1_3genE10ELNS1_11target_archE1200ELNS1_3gpuE4ELNS1_3repE0EEENS1_30default_config_static_selectorELNS0_4arch9wavefront6targetE1EEEvT1_
	.p2align	8
	.type	_ZN7rocprim17ROCPRIM_400000_NS6detail17trampoline_kernelINS0_14default_configENS1_29reduce_by_key_config_selectorIN3c104HalfElN6thrust23THRUST_200600_302600_NS4plusIlEEEEZZNS1_33reduce_by_key_impl_wrapped_configILNS1_25lookback_scan_determinismE0ES3_SB_PS6_NS8_17constant_iteratorIiNS8_11use_defaultESG_EENS8_10device_ptrIS6_EENSI_IlEEPmSA_NS8_8equal_toIS6_EEEE10hipError_tPvRmT2_T3_mT4_T5_T6_T7_T8_P12ihipStream_tbENKUlT_T0_E_clISt17integral_constantIbLb0EES14_IbLb1EEEEDaS10_S11_EUlS10_E_NS1_11comp_targetILNS1_3genE10ELNS1_11target_archE1200ELNS1_3gpuE4ELNS1_3repE0EEENS1_30default_config_static_selectorELNS0_4arch9wavefront6targetE1EEEvT1_,@function
_ZN7rocprim17ROCPRIM_400000_NS6detail17trampoline_kernelINS0_14default_configENS1_29reduce_by_key_config_selectorIN3c104HalfElN6thrust23THRUST_200600_302600_NS4plusIlEEEEZZNS1_33reduce_by_key_impl_wrapped_configILNS1_25lookback_scan_determinismE0ES3_SB_PS6_NS8_17constant_iteratorIiNS8_11use_defaultESG_EENS8_10device_ptrIS6_EENSI_IlEEPmSA_NS8_8equal_toIS6_EEEE10hipError_tPvRmT2_T3_mT4_T5_T6_T7_T8_P12ihipStream_tbENKUlT_T0_E_clISt17integral_constantIbLb0EES14_IbLb1EEEEDaS10_S11_EUlS10_E_NS1_11comp_targetILNS1_3genE10ELNS1_11target_archE1200ELNS1_3gpuE4ELNS1_3repE0EEENS1_30default_config_static_selectorELNS0_4arch9wavefront6targetE1EEEvT1_: ; @_ZN7rocprim17ROCPRIM_400000_NS6detail17trampoline_kernelINS0_14default_configENS1_29reduce_by_key_config_selectorIN3c104HalfElN6thrust23THRUST_200600_302600_NS4plusIlEEEEZZNS1_33reduce_by_key_impl_wrapped_configILNS1_25lookback_scan_determinismE0ES3_SB_PS6_NS8_17constant_iteratorIiNS8_11use_defaultESG_EENS8_10device_ptrIS6_EENSI_IlEEPmSA_NS8_8equal_toIS6_EEEE10hipError_tPvRmT2_T3_mT4_T5_T6_T7_T8_P12ihipStream_tbENKUlT_T0_E_clISt17integral_constantIbLb0EES14_IbLb1EEEEDaS10_S11_EUlS10_E_NS1_11comp_targetILNS1_3genE10ELNS1_11target_archE1200ELNS1_3gpuE4ELNS1_3repE0EEENS1_30default_config_static_selectorELNS0_4arch9wavefront6targetE1EEEvT1_
; %bb.0:
	.section	.rodata,"a",@progbits
	.p2align	6, 0x0
	.amdhsa_kernel _ZN7rocprim17ROCPRIM_400000_NS6detail17trampoline_kernelINS0_14default_configENS1_29reduce_by_key_config_selectorIN3c104HalfElN6thrust23THRUST_200600_302600_NS4plusIlEEEEZZNS1_33reduce_by_key_impl_wrapped_configILNS1_25lookback_scan_determinismE0ES3_SB_PS6_NS8_17constant_iteratorIiNS8_11use_defaultESG_EENS8_10device_ptrIS6_EENSI_IlEEPmSA_NS8_8equal_toIS6_EEEE10hipError_tPvRmT2_T3_mT4_T5_T6_T7_T8_P12ihipStream_tbENKUlT_T0_E_clISt17integral_constantIbLb0EES14_IbLb1EEEEDaS10_S11_EUlS10_E_NS1_11comp_targetILNS1_3genE10ELNS1_11target_archE1200ELNS1_3gpuE4ELNS1_3repE0EEENS1_30default_config_static_selectorELNS0_4arch9wavefront6targetE1EEEvT1_
		.amdhsa_group_segment_fixed_size 0
		.amdhsa_private_segment_fixed_size 0
		.amdhsa_kernarg_size 144
		.amdhsa_user_sgpr_count 6
		.amdhsa_user_sgpr_private_segment_buffer 1
		.amdhsa_user_sgpr_dispatch_ptr 0
		.amdhsa_user_sgpr_queue_ptr 0
		.amdhsa_user_sgpr_kernarg_segment_ptr 1
		.amdhsa_user_sgpr_dispatch_id 0
		.amdhsa_user_sgpr_flat_scratch_init 0
		.amdhsa_user_sgpr_kernarg_preload_length 0
		.amdhsa_user_sgpr_kernarg_preload_offset 0
		.amdhsa_user_sgpr_private_segment_size 0
		.amdhsa_uses_dynamic_stack 0
		.amdhsa_system_sgpr_private_segment_wavefront_offset 0
		.amdhsa_system_sgpr_workgroup_id_x 1
		.amdhsa_system_sgpr_workgroup_id_y 0
		.amdhsa_system_sgpr_workgroup_id_z 0
		.amdhsa_system_sgpr_workgroup_info 0
		.amdhsa_system_vgpr_workitem_id 0
		.amdhsa_next_free_vgpr 1
		.amdhsa_next_free_sgpr 0
		.amdhsa_accum_offset 4
		.amdhsa_reserve_vcc 0
		.amdhsa_reserve_flat_scratch 0
		.amdhsa_float_round_mode_32 0
		.amdhsa_float_round_mode_16_64 0
		.amdhsa_float_denorm_mode_32 3
		.amdhsa_float_denorm_mode_16_64 3
		.amdhsa_dx10_clamp 1
		.amdhsa_ieee_mode 1
		.amdhsa_fp16_overflow 0
		.amdhsa_tg_split 0
		.amdhsa_exception_fp_ieee_invalid_op 0
		.amdhsa_exception_fp_denorm_src 0
		.amdhsa_exception_fp_ieee_div_zero 0
		.amdhsa_exception_fp_ieee_overflow 0
		.amdhsa_exception_fp_ieee_underflow 0
		.amdhsa_exception_fp_ieee_inexact 0
		.amdhsa_exception_int_div_zero 0
	.end_amdhsa_kernel
	.section	.text._ZN7rocprim17ROCPRIM_400000_NS6detail17trampoline_kernelINS0_14default_configENS1_29reduce_by_key_config_selectorIN3c104HalfElN6thrust23THRUST_200600_302600_NS4plusIlEEEEZZNS1_33reduce_by_key_impl_wrapped_configILNS1_25lookback_scan_determinismE0ES3_SB_PS6_NS8_17constant_iteratorIiNS8_11use_defaultESG_EENS8_10device_ptrIS6_EENSI_IlEEPmSA_NS8_8equal_toIS6_EEEE10hipError_tPvRmT2_T3_mT4_T5_T6_T7_T8_P12ihipStream_tbENKUlT_T0_E_clISt17integral_constantIbLb0EES14_IbLb1EEEEDaS10_S11_EUlS10_E_NS1_11comp_targetILNS1_3genE10ELNS1_11target_archE1200ELNS1_3gpuE4ELNS1_3repE0EEENS1_30default_config_static_selectorELNS0_4arch9wavefront6targetE1EEEvT1_,"axG",@progbits,_ZN7rocprim17ROCPRIM_400000_NS6detail17trampoline_kernelINS0_14default_configENS1_29reduce_by_key_config_selectorIN3c104HalfElN6thrust23THRUST_200600_302600_NS4plusIlEEEEZZNS1_33reduce_by_key_impl_wrapped_configILNS1_25lookback_scan_determinismE0ES3_SB_PS6_NS8_17constant_iteratorIiNS8_11use_defaultESG_EENS8_10device_ptrIS6_EENSI_IlEEPmSA_NS8_8equal_toIS6_EEEE10hipError_tPvRmT2_T3_mT4_T5_T6_T7_T8_P12ihipStream_tbENKUlT_T0_E_clISt17integral_constantIbLb0EES14_IbLb1EEEEDaS10_S11_EUlS10_E_NS1_11comp_targetILNS1_3genE10ELNS1_11target_archE1200ELNS1_3gpuE4ELNS1_3repE0EEENS1_30default_config_static_selectorELNS0_4arch9wavefront6targetE1EEEvT1_,comdat
.Lfunc_end2233:
	.size	_ZN7rocprim17ROCPRIM_400000_NS6detail17trampoline_kernelINS0_14default_configENS1_29reduce_by_key_config_selectorIN3c104HalfElN6thrust23THRUST_200600_302600_NS4plusIlEEEEZZNS1_33reduce_by_key_impl_wrapped_configILNS1_25lookback_scan_determinismE0ES3_SB_PS6_NS8_17constant_iteratorIiNS8_11use_defaultESG_EENS8_10device_ptrIS6_EENSI_IlEEPmSA_NS8_8equal_toIS6_EEEE10hipError_tPvRmT2_T3_mT4_T5_T6_T7_T8_P12ihipStream_tbENKUlT_T0_E_clISt17integral_constantIbLb0EES14_IbLb1EEEEDaS10_S11_EUlS10_E_NS1_11comp_targetILNS1_3genE10ELNS1_11target_archE1200ELNS1_3gpuE4ELNS1_3repE0EEENS1_30default_config_static_selectorELNS0_4arch9wavefront6targetE1EEEvT1_, .Lfunc_end2233-_ZN7rocprim17ROCPRIM_400000_NS6detail17trampoline_kernelINS0_14default_configENS1_29reduce_by_key_config_selectorIN3c104HalfElN6thrust23THRUST_200600_302600_NS4plusIlEEEEZZNS1_33reduce_by_key_impl_wrapped_configILNS1_25lookback_scan_determinismE0ES3_SB_PS6_NS8_17constant_iteratorIiNS8_11use_defaultESG_EENS8_10device_ptrIS6_EENSI_IlEEPmSA_NS8_8equal_toIS6_EEEE10hipError_tPvRmT2_T3_mT4_T5_T6_T7_T8_P12ihipStream_tbENKUlT_T0_E_clISt17integral_constantIbLb0EES14_IbLb1EEEEDaS10_S11_EUlS10_E_NS1_11comp_targetILNS1_3genE10ELNS1_11target_archE1200ELNS1_3gpuE4ELNS1_3repE0EEENS1_30default_config_static_selectorELNS0_4arch9wavefront6targetE1EEEvT1_
                                        ; -- End function
	.section	.AMDGPU.csdata,"",@progbits
; Kernel info:
; codeLenInByte = 0
; NumSgprs: 4
; NumVgprs: 0
; NumAgprs: 0
; TotalNumVgprs: 0
; ScratchSize: 0
; MemoryBound: 0
; FloatMode: 240
; IeeeMode: 1
; LDSByteSize: 0 bytes/workgroup (compile time only)
; SGPRBlocks: 0
; VGPRBlocks: 0
; NumSGPRsForWavesPerEU: 4
; NumVGPRsForWavesPerEU: 1
; AccumOffset: 4
; Occupancy: 8
; WaveLimiterHint : 0
; COMPUTE_PGM_RSRC2:SCRATCH_EN: 0
; COMPUTE_PGM_RSRC2:USER_SGPR: 6
; COMPUTE_PGM_RSRC2:TRAP_HANDLER: 0
; COMPUTE_PGM_RSRC2:TGID_X_EN: 1
; COMPUTE_PGM_RSRC2:TGID_Y_EN: 0
; COMPUTE_PGM_RSRC2:TGID_Z_EN: 0
; COMPUTE_PGM_RSRC2:TIDIG_COMP_CNT: 0
; COMPUTE_PGM_RSRC3_GFX90A:ACCUM_OFFSET: 0
; COMPUTE_PGM_RSRC3_GFX90A:TG_SPLIT: 0
	.section	.text._ZN7rocprim17ROCPRIM_400000_NS6detail17trampoline_kernelINS0_14default_configENS1_29reduce_by_key_config_selectorIN3c104HalfElN6thrust23THRUST_200600_302600_NS4plusIlEEEEZZNS1_33reduce_by_key_impl_wrapped_configILNS1_25lookback_scan_determinismE0ES3_SB_PS6_NS8_17constant_iteratorIiNS8_11use_defaultESG_EENS8_10device_ptrIS6_EENSI_IlEEPmSA_NS8_8equal_toIS6_EEEE10hipError_tPvRmT2_T3_mT4_T5_T6_T7_T8_P12ihipStream_tbENKUlT_T0_E_clISt17integral_constantIbLb0EES14_IbLb1EEEEDaS10_S11_EUlS10_E_NS1_11comp_targetILNS1_3genE9ELNS1_11target_archE1100ELNS1_3gpuE3ELNS1_3repE0EEENS1_30default_config_static_selectorELNS0_4arch9wavefront6targetE1EEEvT1_,"axG",@progbits,_ZN7rocprim17ROCPRIM_400000_NS6detail17trampoline_kernelINS0_14default_configENS1_29reduce_by_key_config_selectorIN3c104HalfElN6thrust23THRUST_200600_302600_NS4plusIlEEEEZZNS1_33reduce_by_key_impl_wrapped_configILNS1_25lookback_scan_determinismE0ES3_SB_PS6_NS8_17constant_iteratorIiNS8_11use_defaultESG_EENS8_10device_ptrIS6_EENSI_IlEEPmSA_NS8_8equal_toIS6_EEEE10hipError_tPvRmT2_T3_mT4_T5_T6_T7_T8_P12ihipStream_tbENKUlT_T0_E_clISt17integral_constantIbLb0EES14_IbLb1EEEEDaS10_S11_EUlS10_E_NS1_11comp_targetILNS1_3genE9ELNS1_11target_archE1100ELNS1_3gpuE3ELNS1_3repE0EEENS1_30default_config_static_selectorELNS0_4arch9wavefront6targetE1EEEvT1_,comdat
	.protected	_ZN7rocprim17ROCPRIM_400000_NS6detail17trampoline_kernelINS0_14default_configENS1_29reduce_by_key_config_selectorIN3c104HalfElN6thrust23THRUST_200600_302600_NS4plusIlEEEEZZNS1_33reduce_by_key_impl_wrapped_configILNS1_25lookback_scan_determinismE0ES3_SB_PS6_NS8_17constant_iteratorIiNS8_11use_defaultESG_EENS8_10device_ptrIS6_EENSI_IlEEPmSA_NS8_8equal_toIS6_EEEE10hipError_tPvRmT2_T3_mT4_T5_T6_T7_T8_P12ihipStream_tbENKUlT_T0_E_clISt17integral_constantIbLb0EES14_IbLb1EEEEDaS10_S11_EUlS10_E_NS1_11comp_targetILNS1_3genE9ELNS1_11target_archE1100ELNS1_3gpuE3ELNS1_3repE0EEENS1_30default_config_static_selectorELNS0_4arch9wavefront6targetE1EEEvT1_ ; -- Begin function _ZN7rocprim17ROCPRIM_400000_NS6detail17trampoline_kernelINS0_14default_configENS1_29reduce_by_key_config_selectorIN3c104HalfElN6thrust23THRUST_200600_302600_NS4plusIlEEEEZZNS1_33reduce_by_key_impl_wrapped_configILNS1_25lookback_scan_determinismE0ES3_SB_PS6_NS8_17constant_iteratorIiNS8_11use_defaultESG_EENS8_10device_ptrIS6_EENSI_IlEEPmSA_NS8_8equal_toIS6_EEEE10hipError_tPvRmT2_T3_mT4_T5_T6_T7_T8_P12ihipStream_tbENKUlT_T0_E_clISt17integral_constantIbLb0EES14_IbLb1EEEEDaS10_S11_EUlS10_E_NS1_11comp_targetILNS1_3genE9ELNS1_11target_archE1100ELNS1_3gpuE3ELNS1_3repE0EEENS1_30default_config_static_selectorELNS0_4arch9wavefront6targetE1EEEvT1_
	.globl	_ZN7rocprim17ROCPRIM_400000_NS6detail17trampoline_kernelINS0_14default_configENS1_29reduce_by_key_config_selectorIN3c104HalfElN6thrust23THRUST_200600_302600_NS4plusIlEEEEZZNS1_33reduce_by_key_impl_wrapped_configILNS1_25lookback_scan_determinismE0ES3_SB_PS6_NS8_17constant_iteratorIiNS8_11use_defaultESG_EENS8_10device_ptrIS6_EENSI_IlEEPmSA_NS8_8equal_toIS6_EEEE10hipError_tPvRmT2_T3_mT4_T5_T6_T7_T8_P12ihipStream_tbENKUlT_T0_E_clISt17integral_constantIbLb0EES14_IbLb1EEEEDaS10_S11_EUlS10_E_NS1_11comp_targetILNS1_3genE9ELNS1_11target_archE1100ELNS1_3gpuE3ELNS1_3repE0EEENS1_30default_config_static_selectorELNS0_4arch9wavefront6targetE1EEEvT1_
	.p2align	8
	.type	_ZN7rocprim17ROCPRIM_400000_NS6detail17trampoline_kernelINS0_14default_configENS1_29reduce_by_key_config_selectorIN3c104HalfElN6thrust23THRUST_200600_302600_NS4plusIlEEEEZZNS1_33reduce_by_key_impl_wrapped_configILNS1_25lookback_scan_determinismE0ES3_SB_PS6_NS8_17constant_iteratorIiNS8_11use_defaultESG_EENS8_10device_ptrIS6_EENSI_IlEEPmSA_NS8_8equal_toIS6_EEEE10hipError_tPvRmT2_T3_mT4_T5_T6_T7_T8_P12ihipStream_tbENKUlT_T0_E_clISt17integral_constantIbLb0EES14_IbLb1EEEEDaS10_S11_EUlS10_E_NS1_11comp_targetILNS1_3genE9ELNS1_11target_archE1100ELNS1_3gpuE3ELNS1_3repE0EEENS1_30default_config_static_selectorELNS0_4arch9wavefront6targetE1EEEvT1_,@function
_ZN7rocprim17ROCPRIM_400000_NS6detail17trampoline_kernelINS0_14default_configENS1_29reduce_by_key_config_selectorIN3c104HalfElN6thrust23THRUST_200600_302600_NS4plusIlEEEEZZNS1_33reduce_by_key_impl_wrapped_configILNS1_25lookback_scan_determinismE0ES3_SB_PS6_NS8_17constant_iteratorIiNS8_11use_defaultESG_EENS8_10device_ptrIS6_EENSI_IlEEPmSA_NS8_8equal_toIS6_EEEE10hipError_tPvRmT2_T3_mT4_T5_T6_T7_T8_P12ihipStream_tbENKUlT_T0_E_clISt17integral_constantIbLb0EES14_IbLb1EEEEDaS10_S11_EUlS10_E_NS1_11comp_targetILNS1_3genE9ELNS1_11target_archE1100ELNS1_3gpuE3ELNS1_3repE0EEENS1_30default_config_static_selectorELNS0_4arch9wavefront6targetE1EEEvT1_: ; @_ZN7rocprim17ROCPRIM_400000_NS6detail17trampoline_kernelINS0_14default_configENS1_29reduce_by_key_config_selectorIN3c104HalfElN6thrust23THRUST_200600_302600_NS4plusIlEEEEZZNS1_33reduce_by_key_impl_wrapped_configILNS1_25lookback_scan_determinismE0ES3_SB_PS6_NS8_17constant_iteratorIiNS8_11use_defaultESG_EENS8_10device_ptrIS6_EENSI_IlEEPmSA_NS8_8equal_toIS6_EEEE10hipError_tPvRmT2_T3_mT4_T5_T6_T7_T8_P12ihipStream_tbENKUlT_T0_E_clISt17integral_constantIbLb0EES14_IbLb1EEEEDaS10_S11_EUlS10_E_NS1_11comp_targetILNS1_3genE9ELNS1_11target_archE1100ELNS1_3gpuE3ELNS1_3repE0EEENS1_30default_config_static_selectorELNS0_4arch9wavefront6targetE1EEEvT1_
; %bb.0:
	.section	.rodata,"a",@progbits
	.p2align	6, 0x0
	.amdhsa_kernel _ZN7rocprim17ROCPRIM_400000_NS6detail17trampoline_kernelINS0_14default_configENS1_29reduce_by_key_config_selectorIN3c104HalfElN6thrust23THRUST_200600_302600_NS4plusIlEEEEZZNS1_33reduce_by_key_impl_wrapped_configILNS1_25lookback_scan_determinismE0ES3_SB_PS6_NS8_17constant_iteratorIiNS8_11use_defaultESG_EENS8_10device_ptrIS6_EENSI_IlEEPmSA_NS8_8equal_toIS6_EEEE10hipError_tPvRmT2_T3_mT4_T5_T6_T7_T8_P12ihipStream_tbENKUlT_T0_E_clISt17integral_constantIbLb0EES14_IbLb1EEEEDaS10_S11_EUlS10_E_NS1_11comp_targetILNS1_3genE9ELNS1_11target_archE1100ELNS1_3gpuE3ELNS1_3repE0EEENS1_30default_config_static_selectorELNS0_4arch9wavefront6targetE1EEEvT1_
		.amdhsa_group_segment_fixed_size 0
		.amdhsa_private_segment_fixed_size 0
		.amdhsa_kernarg_size 144
		.amdhsa_user_sgpr_count 6
		.amdhsa_user_sgpr_private_segment_buffer 1
		.amdhsa_user_sgpr_dispatch_ptr 0
		.amdhsa_user_sgpr_queue_ptr 0
		.amdhsa_user_sgpr_kernarg_segment_ptr 1
		.amdhsa_user_sgpr_dispatch_id 0
		.amdhsa_user_sgpr_flat_scratch_init 0
		.amdhsa_user_sgpr_kernarg_preload_length 0
		.amdhsa_user_sgpr_kernarg_preload_offset 0
		.amdhsa_user_sgpr_private_segment_size 0
		.amdhsa_uses_dynamic_stack 0
		.amdhsa_system_sgpr_private_segment_wavefront_offset 0
		.amdhsa_system_sgpr_workgroup_id_x 1
		.amdhsa_system_sgpr_workgroup_id_y 0
		.amdhsa_system_sgpr_workgroup_id_z 0
		.amdhsa_system_sgpr_workgroup_info 0
		.amdhsa_system_vgpr_workitem_id 0
		.amdhsa_next_free_vgpr 1
		.amdhsa_next_free_sgpr 0
		.amdhsa_accum_offset 4
		.amdhsa_reserve_vcc 0
		.amdhsa_reserve_flat_scratch 0
		.amdhsa_float_round_mode_32 0
		.amdhsa_float_round_mode_16_64 0
		.amdhsa_float_denorm_mode_32 3
		.amdhsa_float_denorm_mode_16_64 3
		.amdhsa_dx10_clamp 1
		.amdhsa_ieee_mode 1
		.amdhsa_fp16_overflow 0
		.amdhsa_tg_split 0
		.amdhsa_exception_fp_ieee_invalid_op 0
		.amdhsa_exception_fp_denorm_src 0
		.amdhsa_exception_fp_ieee_div_zero 0
		.amdhsa_exception_fp_ieee_overflow 0
		.amdhsa_exception_fp_ieee_underflow 0
		.amdhsa_exception_fp_ieee_inexact 0
		.amdhsa_exception_int_div_zero 0
	.end_amdhsa_kernel
	.section	.text._ZN7rocprim17ROCPRIM_400000_NS6detail17trampoline_kernelINS0_14default_configENS1_29reduce_by_key_config_selectorIN3c104HalfElN6thrust23THRUST_200600_302600_NS4plusIlEEEEZZNS1_33reduce_by_key_impl_wrapped_configILNS1_25lookback_scan_determinismE0ES3_SB_PS6_NS8_17constant_iteratorIiNS8_11use_defaultESG_EENS8_10device_ptrIS6_EENSI_IlEEPmSA_NS8_8equal_toIS6_EEEE10hipError_tPvRmT2_T3_mT4_T5_T6_T7_T8_P12ihipStream_tbENKUlT_T0_E_clISt17integral_constantIbLb0EES14_IbLb1EEEEDaS10_S11_EUlS10_E_NS1_11comp_targetILNS1_3genE9ELNS1_11target_archE1100ELNS1_3gpuE3ELNS1_3repE0EEENS1_30default_config_static_selectorELNS0_4arch9wavefront6targetE1EEEvT1_,"axG",@progbits,_ZN7rocprim17ROCPRIM_400000_NS6detail17trampoline_kernelINS0_14default_configENS1_29reduce_by_key_config_selectorIN3c104HalfElN6thrust23THRUST_200600_302600_NS4plusIlEEEEZZNS1_33reduce_by_key_impl_wrapped_configILNS1_25lookback_scan_determinismE0ES3_SB_PS6_NS8_17constant_iteratorIiNS8_11use_defaultESG_EENS8_10device_ptrIS6_EENSI_IlEEPmSA_NS8_8equal_toIS6_EEEE10hipError_tPvRmT2_T3_mT4_T5_T6_T7_T8_P12ihipStream_tbENKUlT_T0_E_clISt17integral_constantIbLb0EES14_IbLb1EEEEDaS10_S11_EUlS10_E_NS1_11comp_targetILNS1_3genE9ELNS1_11target_archE1100ELNS1_3gpuE3ELNS1_3repE0EEENS1_30default_config_static_selectorELNS0_4arch9wavefront6targetE1EEEvT1_,comdat
.Lfunc_end2234:
	.size	_ZN7rocprim17ROCPRIM_400000_NS6detail17trampoline_kernelINS0_14default_configENS1_29reduce_by_key_config_selectorIN3c104HalfElN6thrust23THRUST_200600_302600_NS4plusIlEEEEZZNS1_33reduce_by_key_impl_wrapped_configILNS1_25lookback_scan_determinismE0ES3_SB_PS6_NS8_17constant_iteratorIiNS8_11use_defaultESG_EENS8_10device_ptrIS6_EENSI_IlEEPmSA_NS8_8equal_toIS6_EEEE10hipError_tPvRmT2_T3_mT4_T5_T6_T7_T8_P12ihipStream_tbENKUlT_T0_E_clISt17integral_constantIbLb0EES14_IbLb1EEEEDaS10_S11_EUlS10_E_NS1_11comp_targetILNS1_3genE9ELNS1_11target_archE1100ELNS1_3gpuE3ELNS1_3repE0EEENS1_30default_config_static_selectorELNS0_4arch9wavefront6targetE1EEEvT1_, .Lfunc_end2234-_ZN7rocprim17ROCPRIM_400000_NS6detail17trampoline_kernelINS0_14default_configENS1_29reduce_by_key_config_selectorIN3c104HalfElN6thrust23THRUST_200600_302600_NS4plusIlEEEEZZNS1_33reduce_by_key_impl_wrapped_configILNS1_25lookback_scan_determinismE0ES3_SB_PS6_NS8_17constant_iteratorIiNS8_11use_defaultESG_EENS8_10device_ptrIS6_EENSI_IlEEPmSA_NS8_8equal_toIS6_EEEE10hipError_tPvRmT2_T3_mT4_T5_T6_T7_T8_P12ihipStream_tbENKUlT_T0_E_clISt17integral_constantIbLb0EES14_IbLb1EEEEDaS10_S11_EUlS10_E_NS1_11comp_targetILNS1_3genE9ELNS1_11target_archE1100ELNS1_3gpuE3ELNS1_3repE0EEENS1_30default_config_static_selectorELNS0_4arch9wavefront6targetE1EEEvT1_
                                        ; -- End function
	.section	.AMDGPU.csdata,"",@progbits
; Kernel info:
; codeLenInByte = 0
; NumSgprs: 4
; NumVgprs: 0
; NumAgprs: 0
; TotalNumVgprs: 0
; ScratchSize: 0
; MemoryBound: 0
; FloatMode: 240
; IeeeMode: 1
; LDSByteSize: 0 bytes/workgroup (compile time only)
; SGPRBlocks: 0
; VGPRBlocks: 0
; NumSGPRsForWavesPerEU: 4
; NumVGPRsForWavesPerEU: 1
; AccumOffset: 4
; Occupancy: 8
; WaveLimiterHint : 0
; COMPUTE_PGM_RSRC2:SCRATCH_EN: 0
; COMPUTE_PGM_RSRC2:USER_SGPR: 6
; COMPUTE_PGM_RSRC2:TRAP_HANDLER: 0
; COMPUTE_PGM_RSRC2:TGID_X_EN: 1
; COMPUTE_PGM_RSRC2:TGID_Y_EN: 0
; COMPUTE_PGM_RSRC2:TGID_Z_EN: 0
; COMPUTE_PGM_RSRC2:TIDIG_COMP_CNT: 0
; COMPUTE_PGM_RSRC3_GFX90A:ACCUM_OFFSET: 0
; COMPUTE_PGM_RSRC3_GFX90A:TG_SPLIT: 0
	.section	.text._ZN7rocprim17ROCPRIM_400000_NS6detail17trampoline_kernelINS0_14default_configENS1_29reduce_by_key_config_selectorIN3c104HalfElN6thrust23THRUST_200600_302600_NS4plusIlEEEEZZNS1_33reduce_by_key_impl_wrapped_configILNS1_25lookback_scan_determinismE0ES3_SB_PS6_NS8_17constant_iteratorIiNS8_11use_defaultESG_EENS8_10device_ptrIS6_EENSI_IlEEPmSA_NS8_8equal_toIS6_EEEE10hipError_tPvRmT2_T3_mT4_T5_T6_T7_T8_P12ihipStream_tbENKUlT_T0_E_clISt17integral_constantIbLb0EES14_IbLb1EEEEDaS10_S11_EUlS10_E_NS1_11comp_targetILNS1_3genE8ELNS1_11target_archE1030ELNS1_3gpuE2ELNS1_3repE0EEENS1_30default_config_static_selectorELNS0_4arch9wavefront6targetE1EEEvT1_,"axG",@progbits,_ZN7rocprim17ROCPRIM_400000_NS6detail17trampoline_kernelINS0_14default_configENS1_29reduce_by_key_config_selectorIN3c104HalfElN6thrust23THRUST_200600_302600_NS4plusIlEEEEZZNS1_33reduce_by_key_impl_wrapped_configILNS1_25lookback_scan_determinismE0ES3_SB_PS6_NS8_17constant_iteratorIiNS8_11use_defaultESG_EENS8_10device_ptrIS6_EENSI_IlEEPmSA_NS8_8equal_toIS6_EEEE10hipError_tPvRmT2_T3_mT4_T5_T6_T7_T8_P12ihipStream_tbENKUlT_T0_E_clISt17integral_constantIbLb0EES14_IbLb1EEEEDaS10_S11_EUlS10_E_NS1_11comp_targetILNS1_3genE8ELNS1_11target_archE1030ELNS1_3gpuE2ELNS1_3repE0EEENS1_30default_config_static_selectorELNS0_4arch9wavefront6targetE1EEEvT1_,comdat
	.protected	_ZN7rocprim17ROCPRIM_400000_NS6detail17trampoline_kernelINS0_14default_configENS1_29reduce_by_key_config_selectorIN3c104HalfElN6thrust23THRUST_200600_302600_NS4plusIlEEEEZZNS1_33reduce_by_key_impl_wrapped_configILNS1_25lookback_scan_determinismE0ES3_SB_PS6_NS8_17constant_iteratorIiNS8_11use_defaultESG_EENS8_10device_ptrIS6_EENSI_IlEEPmSA_NS8_8equal_toIS6_EEEE10hipError_tPvRmT2_T3_mT4_T5_T6_T7_T8_P12ihipStream_tbENKUlT_T0_E_clISt17integral_constantIbLb0EES14_IbLb1EEEEDaS10_S11_EUlS10_E_NS1_11comp_targetILNS1_3genE8ELNS1_11target_archE1030ELNS1_3gpuE2ELNS1_3repE0EEENS1_30default_config_static_selectorELNS0_4arch9wavefront6targetE1EEEvT1_ ; -- Begin function _ZN7rocprim17ROCPRIM_400000_NS6detail17trampoline_kernelINS0_14default_configENS1_29reduce_by_key_config_selectorIN3c104HalfElN6thrust23THRUST_200600_302600_NS4plusIlEEEEZZNS1_33reduce_by_key_impl_wrapped_configILNS1_25lookback_scan_determinismE0ES3_SB_PS6_NS8_17constant_iteratorIiNS8_11use_defaultESG_EENS8_10device_ptrIS6_EENSI_IlEEPmSA_NS8_8equal_toIS6_EEEE10hipError_tPvRmT2_T3_mT4_T5_T6_T7_T8_P12ihipStream_tbENKUlT_T0_E_clISt17integral_constantIbLb0EES14_IbLb1EEEEDaS10_S11_EUlS10_E_NS1_11comp_targetILNS1_3genE8ELNS1_11target_archE1030ELNS1_3gpuE2ELNS1_3repE0EEENS1_30default_config_static_selectorELNS0_4arch9wavefront6targetE1EEEvT1_
	.globl	_ZN7rocprim17ROCPRIM_400000_NS6detail17trampoline_kernelINS0_14default_configENS1_29reduce_by_key_config_selectorIN3c104HalfElN6thrust23THRUST_200600_302600_NS4plusIlEEEEZZNS1_33reduce_by_key_impl_wrapped_configILNS1_25lookback_scan_determinismE0ES3_SB_PS6_NS8_17constant_iteratorIiNS8_11use_defaultESG_EENS8_10device_ptrIS6_EENSI_IlEEPmSA_NS8_8equal_toIS6_EEEE10hipError_tPvRmT2_T3_mT4_T5_T6_T7_T8_P12ihipStream_tbENKUlT_T0_E_clISt17integral_constantIbLb0EES14_IbLb1EEEEDaS10_S11_EUlS10_E_NS1_11comp_targetILNS1_3genE8ELNS1_11target_archE1030ELNS1_3gpuE2ELNS1_3repE0EEENS1_30default_config_static_selectorELNS0_4arch9wavefront6targetE1EEEvT1_
	.p2align	8
	.type	_ZN7rocprim17ROCPRIM_400000_NS6detail17trampoline_kernelINS0_14default_configENS1_29reduce_by_key_config_selectorIN3c104HalfElN6thrust23THRUST_200600_302600_NS4plusIlEEEEZZNS1_33reduce_by_key_impl_wrapped_configILNS1_25lookback_scan_determinismE0ES3_SB_PS6_NS8_17constant_iteratorIiNS8_11use_defaultESG_EENS8_10device_ptrIS6_EENSI_IlEEPmSA_NS8_8equal_toIS6_EEEE10hipError_tPvRmT2_T3_mT4_T5_T6_T7_T8_P12ihipStream_tbENKUlT_T0_E_clISt17integral_constantIbLb0EES14_IbLb1EEEEDaS10_S11_EUlS10_E_NS1_11comp_targetILNS1_3genE8ELNS1_11target_archE1030ELNS1_3gpuE2ELNS1_3repE0EEENS1_30default_config_static_selectorELNS0_4arch9wavefront6targetE1EEEvT1_,@function
_ZN7rocprim17ROCPRIM_400000_NS6detail17trampoline_kernelINS0_14default_configENS1_29reduce_by_key_config_selectorIN3c104HalfElN6thrust23THRUST_200600_302600_NS4plusIlEEEEZZNS1_33reduce_by_key_impl_wrapped_configILNS1_25lookback_scan_determinismE0ES3_SB_PS6_NS8_17constant_iteratorIiNS8_11use_defaultESG_EENS8_10device_ptrIS6_EENSI_IlEEPmSA_NS8_8equal_toIS6_EEEE10hipError_tPvRmT2_T3_mT4_T5_T6_T7_T8_P12ihipStream_tbENKUlT_T0_E_clISt17integral_constantIbLb0EES14_IbLb1EEEEDaS10_S11_EUlS10_E_NS1_11comp_targetILNS1_3genE8ELNS1_11target_archE1030ELNS1_3gpuE2ELNS1_3repE0EEENS1_30default_config_static_selectorELNS0_4arch9wavefront6targetE1EEEvT1_: ; @_ZN7rocprim17ROCPRIM_400000_NS6detail17trampoline_kernelINS0_14default_configENS1_29reduce_by_key_config_selectorIN3c104HalfElN6thrust23THRUST_200600_302600_NS4plusIlEEEEZZNS1_33reduce_by_key_impl_wrapped_configILNS1_25lookback_scan_determinismE0ES3_SB_PS6_NS8_17constant_iteratorIiNS8_11use_defaultESG_EENS8_10device_ptrIS6_EENSI_IlEEPmSA_NS8_8equal_toIS6_EEEE10hipError_tPvRmT2_T3_mT4_T5_T6_T7_T8_P12ihipStream_tbENKUlT_T0_E_clISt17integral_constantIbLb0EES14_IbLb1EEEEDaS10_S11_EUlS10_E_NS1_11comp_targetILNS1_3genE8ELNS1_11target_archE1030ELNS1_3gpuE2ELNS1_3repE0EEENS1_30default_config_static_selectorELNS0_4arch9wavefront6targetE1EEEvT1_
; %bb.0:
	.section	.rodata,"a",@progbits
	.p2align	6, 0x0
	.amdhsa_kernel _ZN7rocprim17ROCPRIM_400000_NS6detail17trampoline_kernelINS0_14default_configENS1_29reduce_by_key_config_selectorIN3c104HalfElN6thrust23THRUST_200600_302600_NS4plusIlEEEEZZNS1_33reduce_by_key_impl_wrapped_configILNS1_25lookback_scan_determinismE0ES3_SB_PS6_NS8_17constant_iteratorIiNS8_11use_defaultESG_EENS8_10device_ptrIS6_EENSI_IlEEPmSA_NS8_8equal_toIS6_EEEE10hipError_tPvRmT2_T3_mT4_T5_T6_T7_T8_P12ihipStream_tbENKUlT_T0_E_clISt17integral_constantIbLb0EES14_IbLb1EEEEDaS10_S11_EUlS10_E_NS1_11comp_targetILNS1_3genE8ELNS1_11target_archE1030ELNS1_3gpuE2ELNS1_3repE0EEENS1_30default_config_static_selectorELNS0_4arch9wavefront6targetE1EEEvT1_
		.amdhsa_group_segment_fixed_size 0
		.amdhsa_private_segment_fixed_size 0
		.amdhsa_kernarg_size 144
		.amdhsa_user_sgpr_count 6
		.amdhsa_user_sgpr_private_segment_buffer 1
		.amdhsa_user_sgpr_dispatch_ptr 0
		.amdhsa_user_sgpr_queue_ptr 0
		.amdhsa_user_sgpr_kernarg_segment_ptr 1
		.amdhsa_user_sgpr_dispatch_id 0
		.amdhsa_user_sgpr_flat_scratch_init 0
		.amdhsa_user_sgpr_kernarg_preload_length 0
		.amdhsa_user_sgpr_kernarg_preload_offset 0
		.amdhsa_user_sgpr_private_segment_size 0
		.amdhsa_uses_dynamic_stack 0
		.amdhsa_system_sgpr_private_segment_wavefront_offset 0
		.amdhsa_system_sgpr_workgroup_id_x 1
		.amdhsa_system_sgpr_workgroup_id_y 0
		.amdhsa_system_sgpr_workgroup_id_z 0
		.amdhsa_system_sgpr_workgroup_info 0
		.amdhsa_system_vgpr_workitem_id 0
		.amdhsa_next_free_vgpr 1
		.amdhsa_next_free_sgpr 0
		.amdhsa_accum_offset 4
		.amdhsa_reserve_vcc 0
		.amdhsa_reserve_flat_scratch 0
		.amdhsa_float_round_mode_32 0
		.amdhsa_float_round_mode_16_64 0
		.amdhsa_float_denorm_mode_32 3
		.amdhsa_float_denorm_mode_16_64 3
		.amdhsa_dx10_clamp 1
		.amdhsa_ieee_mode 1
		.amdhsa_fp16_overflow 0
		.amdhsa_tg_split 0
		.amdhsa_exception_fp_ieee_invalid_op 0
		.amdhsa_exception_fp_denorm_src 0
		.amdhsa_exception_fp_ieee_div_zero 0
		.amdhsa_exception_fp_ieee_overflow 0
		.amdhsa_exception_fp_ieee_underflow 0
		.amdhsa_exception_fp_ieee_inexact 0
		.amdhsa_exception_int_div_zero 0
	.end_amdhsa_kernel
	.section	.text._ZN7rocprim17ROCPRIM_400000_NS6detail17trampoline_kernelINS0_14default_configENS1_29reduce_by_key_config_selectorIN3c104HalfElN6thrust23THRUST_200600_302600_NS4plusIlEEEEZZNS1_33reduce_by_key_impl_wrapped_configILNS1_25lookback_scan_determinismE0ES3_SB_PS6_NS8_17constant_iteratorIiNS8_11use_defaultESG_EENS8_10device_ptrIS6_EENSI_IlEEPmSA_NS8_8equal_toIS6_EEEE10hipError_tPvRmT2_T3_mT4_T5_T6_T7_T8_P12ihipStream_tbENKUlT_T0_E_clISt17integral_constantIbLb0EES14_IbLb1EEEEDaS10_S11_EUlS10_E_NS1_11comp_targetILNS1_3genE8ELNS1_11target_archE1030ELNS1_3gpuE2ELNS1_3repE0EEENS1_30default_config_static_selectorELNS0_4arch9wavefront6targetE1EEEvT1_,"axG",@progbits,_ZN7rocprim17ROCPRIM_400000_NS6detail17trampoline_kernelINS0_14default_configENS1_29reduce_by_key_config_selectorIN3c104HalfElN6thrust23THRUST_200600_302600_NS4plusIlEEEEZZNS1_33reduce_by_key_impl_wrapped_configILNS1_25lookback_scan_determinismE0ES3_SB_PS6_NS8_17constant_iteratorIiNS8_11use_defaultESG_EENS8_10device_ptrIS6_EENSI_IlEEPmSA_NS8_8equal_toIS6_EEEE10hipError_tPvRmT2_T3_mT4_T5_T6_T7_T8_P12ihipStream_tbENKUlT_T0_E_clISt17integral_constantIbLb0EES14_IbLb1EEEEDaS10_S11_EUlS10_E_NS1_11comp_targetILNS1_3genE8ELNS1_11target_archE1030ELNS1_3gpuE2ELNS1_3repE0EEENS1_30default_config_static_selectorELNS0_4arch9wavefront6targetE1EEEvT1_,comdat
.Lfunc_end2235:
	.size	_ZN7rocprim17ROCPRIM_400000_NS6detail17trampoline_kernelINS0_14default_configENS1_29reduce_by_key_config_selectorIN3c104HalfElN6thrust23THRUST_200600_302600_NS4plusIlEEEEZZNS1_33reduce_by_key_impl_wrapped_configILNS1_25lookback_scan_determinismE0ES3_SB_PS6_NS8_17constant_iteratorIiNS8_11use_defaultESG_EENS8_10device_ptrIS6_EENSI_IlEEPmSA_NS8_8equal_toIS6_EEEE10hipError_tPvRmT2_T3_mT4_T5_T6_T7_T8_P12ihipStream_tbENKUlT_T0_E_clISt17integral_constantIbLb0EES14_IbLb1EEEEDaS10_S11_EUlS10_E_NS1_11comp_targetILNS1_3genE8ELNS1_11target_archE1030ELNS1_3gpuE2ELNS1_3repE0EEENS1_30default_config_static_selectorELNS0_4arch9wavefront6targetE1EEEvT1_, .Lfunc_end2235-_ZN7rocprim17ROCPRIM_400000_NS6detail17trampoline_kernelINS0_14default_configENS1_29reduce_by_key_config_selectorIN3c104HalfElN6thrust23THRUST_200600_302600_NS4plusIlEEEEZZNS1_33reduce_by_key_impl_wrapped_configILNS1_25lookback_scan_determinismE0ES3_SB_PS6_NS8_17constant_iteratorIiNS8_11use_defaultESG_EENS8_10device_ptrIS6_EENSI_IlEEPmSA_NS8_8equal_toIS6_EEEE10hipError_tPvRmT2_T3_mT4_T5_T6_T7_T8_P12ihipStream_tbENKUlT_T0_E_clISt17integral_constantIbLb0EES14_IbLb1EEEEDaS10_S11_EUlS10_E_NS1_11comp_targetILNS1_3genE8ELNS1_11target_archE1030ELNS1_3gpuE2ELNS1_3repE0EEENS1_30default_config_static_selectorELNS0_4arch9wavefront6targetE1EEEvT1_
                                        ; -- End function
	.section	.AMDGPU.csdata,"",@progbits
; Kernel info:
; codeLenInByte = 0
; NumSgprs: 4
; NumVgprs: 0
; NumAgprs: 0
; TotalNumVgprs: 0
; ScratchSize: 0
; MemoryBound: 0
; FloatMode: 240
; IeeeMode: 1
; LDSByteSize: 0 bytes/workgroup (compile time only)
; SGPRBlocks: 0
; VGPRBlocks: 0
; NumSGPRsForWavesPerEU: 4
; NumVGPRsForWavesPerEU: 1
; AccumOffset: 4
; Occupancy: 8
; WaveLimiterHint : 0
; COMPUTE_PGM_RSRC2:SCRATCH_EN: 0
; COMPUTE_PGM_RSRC2:USER_SGPR: 6
; COMPUTE_PGM_RSRC2:TRAP_HANDLER: 0
; COMPUTE_PGM_RSRC2:TGID_X_EN: 1
; COMPUTE_PGM_RSRC2:TGID_Y_EN: 0
; COMPUTE_PGM_RSRC2:TGID_Z_EN: 0
; COMPUTE_PGM_RSRC2:TIDIG_COMP_CNT: 0
; COMPUTE_PGM_RSRC3_GFX90A:ACCUM_OFFSET: 0
; COMPUTE_PGM_RSRC3_GFX90A:TG_SPLIT: 0
	.section	.text._ZN7rocprim17ROCPRIM_400000_NS6detail17trampoline_kernelINS0_14default_configENS1_22reduce_config_selectorIN6thrust23THRUST_200600_302600_NS5tupleIblNS6_9null_typeES8_S8_S8_S8_S8_S8_S8_EEEEZNS1_11reduce_implILb1ES3_NS6_12zip_iteratorINS7_INS6_11hip_rocprim26transform_input_iterator_tIbPN3c104HalfENS6_6detail10functional5actorINSJ_9compositeIJNSJ_27transparent_binary_operatorINS6_8equal_toIvEEEENSK_INSJ_8argumentILj0EEEEENSJ_5valueISG_EEEEEEEEENSD_19counting_iterator_tIlEES8_S8_S8_S8_S8_S8_S8_S8_EEEEPS9_S9_NSD_9__find_if7functorIS9_EEEE10hipError_tPvRmT1_T2_T3_mT4_P12ihipStream_tbEUlT_E0_NS1_11comp_targetILNS1_3genE0ELNS1_11target_archE4294967295ELNS1_3gpuE0ELNS1_3repE0EEENS1_30default_config_static_selectorELNS0_4arch9wavefront6targetE1EEEvS19_,"axG",@progbits,_ZN7rocprim17ROCPRIM_400000_NS6detail17trampoline_kernelINS0_14default_configENS1_22reduce_config_selectorIN6thrust23THRUST_200600_302600_NS5tupleIblNS6_9null_typeES8_S8_S8_S8_S8_S8_S8_EEEEZNS1_11reduce_implILb1ES3_NS6_12zip_iteratorINS7_INS6_11hip_rocprim26transform_input_iterator_tIbPN3c104HalfENS6_6detail10functional5actorINSJ_9compositeIJNSJ_27transparent_binary_operatorINS6_8equal_toIvEEEENSK_INSJ_8argumentILj0EEEEENSJ_5valueISG_EEEEEEEEENSD_19counting_iterator_tIlEES8_S8_S8_S8_S8_S8_S8_S8_EEEEPS9_S9_NSD_9__find_if7functorIS9_EEEE10hipError_tPvRmT1_T2_T3_mT4_P12ihipStream_tbEUlT_E0_NS1_11comp_targetILNS1_3genE0ELNS1_11target_archE4294967295ELNS1_3gpuE0ELNS1_3repE0EEENS1_30default_config_static_selectorELNS0_4arch9wavefront6targetE1EEEvS19_,comdat
	.protected	_ZN7rocprim17ROCPRIM_400000_NS6detail17trampoline_kernelINS0_14default_configENS1_22reduce_config_selectorIN6thrust23THRUST_200600_302600_NS5tupleIblNS6_9null_typeES8_S8_S8_S8_S8_S8_S8_EEEEZNS1_11reduce_implILb1ES3_NS6_12zip_iteratorINS7_INS6_11hip_rocprim26transform_input_iterator_tIbPN3c104HalfENS6_6detail10functional5actorINSJ_9compositeIJNSJ_27transparent_binary_operatorINS6_8equal_toIvEEEENSK_INSJ_8argumentILj0EEEEENSJ_5valueISG_EEEEEEEEENSD_19counting_iterator_tIlEES8_S8_S8_S8_S8_S8_S8_S8_EEEEPS9_S9_NSD_9__find_if7functorIS9_EEEE10hipError_tPvRmT1_T2_T3_mT4_P12ihipStream_tbEUlT_E0_NS1_11comp_targetILNS1_3genE0ELNS1_11target_archE4294967295ELNS1_3gpuE0ELNS1_3repE0EEENS1_30default_config_static_selectorELNS0_4arch9wavefront6targetE1EEEvS19_ ; -- Begin function _ZN7rocprim17ROCPRIM_400000_NS6detail17trampoline_kernelINS0_14default_configENS1_22reduce_config_selectorIN6thrust23THRUST_200600_302600_NS5tupleIblNS6_9null_typeES8_S8_S8_S8_S8_S8_S8_EEEEZNS1_11reduce_implILb1ES3_NS6_12zip_iteratorINS7_INS6_11hip_rocprim26transform_input_iterator_tIbPN3c104HalfENS6_6detail10functional5actorINSJ_9compositeIJNSJ_27transparent_binary_operatorINS6_8equal_toIvEEEENSK_INSJ_8argumentILj0EEEEENSJ_5valueISG_EEEEEEEEENSD_19counting_iterator_tIlEES8_S8_S8_S8_S8_S8_S8_S8_EEEEPS9_S9_NSD_9__find_if7functorIS9_EEEE10hipError_tPvRmT1_T2_T3_mT4_P12ihipStream_tbEUlT_E0_NS1_11comp_targetILNS1_3genE0ELNS1_11target_archE4294967295ELNS1_3gpuE0ELNS1_3repE0EEENS1_30default_config_static_selectorELNS0_4arch9wavefront6targetE1EEEvS19_
	.globl	_ZN7rocprim17ROCPRIM_400000_NS6detail17trampoline_kernelINS0_14default_configENS1_22reduce_config_selectorIN6thrust23THRUST_200600_302600_NS5tupleIblNS6_9null_typeES8_S8_S8_S8_S8_S8_S8_EEEEZNS1_11reduce_implILb1ES3_NS6_12zip_iteratorINS7_INS6_11hip_rocprim26transform_input_iterator_tIbPN3c104HalfENS6_6detail10functional5actorINSJ_9compositeIJNSJ_27transparent_binary_operatorINS6_8equal_toIvEEEENSK_INSJ_8argumentILj0EEEEENSJ_5valueISG_EEEEEEEEENSD_19counting_iterator_tIlEES8_S8_S8_S8_S8_S8_S8_S8_EEEEPS9_S9_NSD_9__find_if7functorIS9_EEEE10hipError_tPvRmT1_T2_T3_mT4_P12ihipStream_tbEUlT_E0_NS1_11comp_targetILNS1_3genE0ELNS1_11target_archE4294967295ELNS1_3gpuE0ELNS1_3repE0EEENS1_30default_config_static_selectorELNS0_4arch9wavefront6targetE1EEEvS19_
	.p2align	8
	.type	_ZN7rocprim17ROCPRIM_400000_NS6detail17trampoline_kernelINS0_14default_configENS1_22reduce_config_selectorIN6thrust23THRUST_200600_302600_NS5tupleIblNS6_9null_typeES8_S8_S8_S8_S8_S8_S8_EEEEZNS1_11reduce_implILb1ES3_NS6_12zip_iteratorINS7_INS6_11hip_rocprim26transform_input_iterator_tIbPN3c104HalfENS6_6detail10functional5actorINSJ_9compositeIJNSJ_27transparent_binary_operatorINS6_8equal_toIvEEEENSK_INSJ_8argumentILj0EEEEENSJ_5valueISG_EEEEEEEEENSD_19counting_iterator_tIlEES8_S8_S8_S8_S8_S8_S8_S8_EEEEPS9_S9_NSD_9__find_if7functorIS9_EEEE10hipError_tPvRmT1_T2_T3_mT4_P12ihipStream_tbEUlT_E0_NS1_11comp_targetILNS1_3genE0ELNS1_11target_archE4294967295ELNS1_3gpuE0ELNS1_3repE0EEENS1_30default_config_static_selectorELNS0_4arch9wavefront6targetE1EEEvS19_,@function
_ZN7rocprim17ROCPRIM_400000_NS6detail17trampoline_kernelINS0_14default_configENS1_22reduce_config_selectorIN6thrust23THRUST_200600_302600_NS5tupleIblNS6_9null_typeES8_S8_S8_S8_S8_S8_S8_EEEEZNS1_11reduce_implILb1ES3_NS6_12zip_iteratorINS7_INS6_11hip_rocprim26transform_input_iterator_tIbPN3c104HalfENS6_6detail10functional5actorINSJ_9compositeIJNSJ_27transparent_binary_operatorINS6_8equal_toIvEEEENSK_INSJ_8argumentILj0EEEEENSJ_5valueISG_EEEEEEEEENSD_19counting_iterator_tIlEES8_S8_S8_S8_S8_S8_S8_S8_EEEEPS9_S9_NSD_9__find_if7functorIS9_EEEE10hipError_tPvRmT1_T2_T3_mT4_P12ihipStream_tbEUlT_E0_NS1_11comp_targetILNS1_3genE0ELNS1_11target_archE4294967295ELNS1_3gpuE0ELNS1_3repE0EEENS1_30default_config_static_selectorELNS0_4arch9wavefront6targetE1EEEvS19_: ; @_ZN7rocprim17ROCPRIM_400000_NS6detail17trampoline_kernelINS0_14default_configENS1_22reduce_config_selectorIN6thrust23THRUST_200600_302600_NS5tupleIblNS6_9null_typeES8_S8_S8_S8_S8_S8_S8_EEEEZNS1_11reduce_implILb1ES3_NS6_12zip_iteratorINS7_INS6_11hip_rocprim26transform_input_iterator_tIbPN3c104HalfENS6_6detail10functional5actorINSJ_9compositeIJNSJ_27transparent_binary_operatorINS6_8equal_toIvEEEENSK_INSJ_8argumentILj0EEEEENSJ_5valueISG_EEEEEEEEENSD_19counting_iterator_tIlEES8_S8_S8_S8_S8_S8_S8_S8_EEEEPS9_S9_NSD_9__find_if7functorIS9_EEEE10hipError_tPvRmT1_T2_T3_mT4_P12ihipStream_tbEUlT_E0_NS1_11comp_targetILNS1_3genE0ELNS1_11target_archE4294967295ELNS1_3gpuE0ELNS1_3repE0EEENS1_30default_config_static_selectorELNS0_4arch9wavefront6targetE1EEEvS19_
; %bb.0:
	.section	.rodata,"a",@progbits
	.p2align	6, 0x0
	.amdhsa_kernel _ZN7rocprim17ROCPRIM_400000_NS6detail17trampoline_kernelINS0_14default_configENS1_22reduce_config_selectorIN6thrust23THRUST_200600_302600_NS5tupleIblNS6_9null_typeES8_S8_S8_S8_S8_S8_S8_EEEEZNS1_11reduce_implILb1ES3_NS6_12zip_iteratorINS7_INS6_11hip_rocprim26transform_input_iterator_tIbPN3c104HalfENS6_6detail10functional5actorINSJ_9compositeIJNSJ_27transparent_binary_operatorINS6_8equal_toIvEEEENSK_INSJ_8argumentILj0EEEEENSJ_5valueISG_EEEEEEEEENSD_19counting_iterator_tIlEES8_S8_S8_S8_S8_S8_S8_S8_EEEEPS9_S9_NSD_9__find_if7functorIS9_EEEE10hipError_tPvRmT1_T2_T3_mT4_P12ihipStream_tbEUlT_E0_NS1_11comp_targetILNS1_3genE0ELNS1_11target_archE4294967295ELNS1_3gpuE0ELNS1_3repE0EEENS1_30default_config_static_selectorELNS0_4arch9wavefront6targetE1EEEvS19_
		.amdhsa_group_segment_fixed_size 0
		.amdhsa_private_segment_fixed_size 0
		.amdhsa_kernarg_size 88
		.amdhsa_user_sgpr_count 6
		.amdhsa_user_sgpr_private_segment_buffer 1
		.amdhsa_user_sgpr_dispatch_ptr 0
		.amdhsa_user_sgpr_queue_ptr 0
		.amdhsa_user_sgpr_kernarg_segment_ptr 1
		.amdhsa_user_sgpr_dispatch_id 0
		.amdhsa_user_sgpr_flat_scratch_init 0
		.amdhsa_user_sgpr_kernarg_preload_length 0
		.amdhsa_user_sgpr_kernarg_preload_offset 0
		.amdhsa_user_sgpr_private_segment_size 0
		.amdhsa_uses_dynamic_stack 0
		.amdhsa_system_sgpr_private_segment_wavefront_offset 0
		.amdhsa_system_sgpr_workgroup_id_x 1
		.amdhsa_system_sgpr_workgroup_id_y 0
		.amdhsa_system_sgpr_workgroup_id_z 0
		.amdhsa_system_sgpr_workgroup_info 0
		.amdhsa_system_vgpr_workitem_id 0
		.amdhsa_next_free_vgpr 1
		.amdhsa_next_free_sgpr 0
		.amdhsa_accum_offset 4
		.amdhsa_reserve_vcc 0
		.amdhsa_reserve_flat_scratch 0
		.amdhsa_float_round_mode_32 0
		.amdhsa_float_round_mode_16_64 0
		.amdhsa_float_denorm_mode_32 3
		.amdhsa_float_denorm_mode_16_64 3
		.amdhsa_dx10_clamp 1
		.amdhsa_ieee_mode 1
		.amdhsa_fp16_overflow 0
		.amdhsa_tg_split 0
		.amdhsa_exception_fp_ieee_invalid_op 0
		.amdhsa_exception_fp_denorm_src 0
		.amdhsa_exception_fp_ieee_div_zero 0
		.amdhsa_exception_fp_ieee_overflow 0
		.amdhsa_exception_fp_ieee_underflow 0
		.amdhsa_exception_fp_ieee_inexact 0
		.amdhsa_exception_int_div_zero 0
	.end_amdhsa_kernel
	.section	.text._ZN7rocprim17ROCPRIM_400000_NS6detail17trampoline_kernelINS0_14default_configENS1_22reduce_config_selectorIN6thrust23THRUST_200600_302600_NS5tupleIblNS6_9null_typeES8_S8_S8_S8_S8_S8_S8_EEEEZNS1_11reduce_implILb1ES3_NS6_12zip_iteratorINS7_INS6_11hip_rocprim26transform_input_iterator_tIbPN3c104HalfENS6_6detail10functional5actorINSJ_9compositeIJNSJ_27transparent_binary_operatorINS6_8equal_toIvEEEENSK_INSJ_8argumentILj0EEEEENSJ_5valueISG_EEEEEEEEENSD_19counting_iterator_tIlEES8_S8_S8_S8_S8_S8_S8_S8_EEEEPS9_S9_NSD_9__find_if7functorIS9_EEEE10hipError_tPvRmT1_T2_T3_mT4_P12ihipStream_tbEUlT_E0_NS1_11comp_targetILNS1_3genE0ELNS1_11target_archE4294967295ELNS1_3gpuE0ELNS1_3repE0EEENS1_30default_config_static_selectorELNS0_4arch9wavefront6targetE1EEEvS19_,"axG",@progbits,_ZN7rocprim17ROCPRIM_400000_NS6detail17trampoline_kernelINS0_14default_configENS1_22reduce_config_selectorIN6thrust23THRUST_200600_302600_NS5tupleIblNS6_9null_typeES8_S8_S8_S8_S8_S8_S8_EEEEZNS1_11reduce_implILb1ES3_NS6_12zip_iteratorINS7_INS6_11hip_rocprim26transform_input_iterator_tIbPN3c104HalfENS6_6detail10functional5actorINSJ_9compositeIJNSJ_27transparent_binary_operatorINS6_8equal_toIvEEEENSK_INSJ_8argumentILj0EEEEENSJ_5valueISG_EEEEEEEEENSD_19counting_iterator_tIlEES8_S8_S8_S8_S8_S8_S8_S8_EEEEPS9_S9_NSD_9__find_if7functorIS9_EEEE10hipError_tPvRmT1_T2_T3_mT4_P12ihipStream_tbEUlT_E0_NS1_11comp_targetILNS1_3genE0ELNS1_11target_archE4294967295ELNS1_3gpuE0ELNS1_3repE0EEENS1_30default_config_static_selectorELNS0_4arch9wavefront6targetE1EEEvS19_,comdat
.Lfunc_end2236:
	.size	_ZN7rocprim17ROCPRIM_400000_NS6detail17trampoline_kernelINS0_14default_configENS1_22reduce_config_selectorIN6thrust23THRUST_200600_302600_NS5tupleIblNS6_9null_typeES8_S8_S8_S8_S8_S8_S8_EEEEZNS1_11reduce_implILb1ES3_NS6_12zip_iteratorINS7_INS6_11hip_rocprim26transform_input_iterator_tIbPN3c104HalfENS6_6detail10functional5actorINSJ_9compositeIJNSJ_27transparent_binary_operatorINS6_8equal_toIvEEEENSK_INSJ_8argumentILj0EEEEENSJ_5valueISG_EEEEEEEEENSD_19counting_iterator_tIlEES8_S8_S8_S8_S8_S8_S8_S8_EEEEPS9_S9_NSD_9__find_if7functorIS9_EEEE10hipError_tPvRmT1_T2_T3_mT4_P12ihipStream_tbEUlT_E0_NS1_11comp_targetILNS1_3genE0ELNS1_11target_archE4294967295ELNS1_3gpuE0ELNS1_3repE0EEENS1_30default_config_static_selectorELNS0_4arch9wavefront6targetE1EEEvS19_, .Lfunc_end2236-_ZN7rocprim17ROCPRIM_400000_NS6detail17trampoline_kernelINS0_14default_configENS1_22reduce_config_selectorIN6thrust23THRUST_200600_302600_NS5tupleIblNS6_9null_typeES8_S8_S8_S8_S8_S8_S8_EEEEZNS1_11reduce_implILb1ES3_NS6_12zip_iteratorINS7_INS6_11hip_rocprim26transform_input_iterator_tIbPN3c104HalfENS6_6detail10functional5actorINSJ_9compositeIJNSJ_27transparent_binary_operatorINS6_8equal_toIvEEEENSK_INSJ_8argumentILj0EEEEENSJ_5valueISG_EEEEEEEEENSD_19counting_iterator_tIlEES8_S8_S8_S8_S8_S8_S8_S8_EEEEPS9_S9_NSD_9__find_if7functorIS9_EEEE10hipError_tPvRmT1_T2_T3_mT4_P12ihipStream_tbEUlT_E0_NS1_11comp_targetILNS1_3genE0ELNS1_11target_archE4294967295ELNS1_3gpuE0ELNS1_3repE0EEENS1_30default_config_static_selectorELNS0_4arch9wavefront6targetE1EEEvS19_
                                        ; -- End function
	.section	.AMDGPU.csdata,"",@progbits
; Kernel info:
; codeLenInByte = 0
; NumSgprs: 4
; NumVgprs: 0
; NumAgprs: 0
; TotalNumVgprs: 0
; ScratchSize: 0
; MemoryBound: 0
; FloatMode: 240
; IeeeMode: 1
; LDSByteSize: 0 bytes/workgroup (compile time only)
; SGPRBlocks: 0
; VGPRBlocks: 0
; NumSGPRsForWavesPerEU: 4
; NumVGPRsForWavesPerEU: 1
; AccumOffset: 4
; Occupancy: 8
; WaveLimiterHint : 0
; COMPUTE_PGM_RSRC2:SCRATCH_EN: 0
; COMPUTE_PGM_RSRC2:USER_SGPR: 6
; COMPUTE_PGM_RSRC2:TRAP_HANDLER: 0
; COMPUTE_PGM_RSRC2:TGID_X_EN: 1
; COMPUTE_PGM_RSRC2:TGID_Y_EN: 0
; COMPUTE_PGM_RSRC2:TGID_Z_EN: 0
; COMPUTE_PGM_RSRC2:TIDIG_COMP_CNT: 0
; COMPUTE_PGM_RSRC3_GFX90A:ACCUM_OFFSET: 0
; COMPUTE_PGM_RSRC3_GFX90A:TG_SPLIT: 0
	.section	.text._ZN7rocprim17ROCPRIM_400000_NS6detail17trampoline_kernelINS0_14default_configENS1_22reduce_config_selectorIN6thrust23THRUST_200600_302600_NS5tupleIblNS6_9null_typeES8_S8_S8_S8_S8_S8_S8_EEEEZNS1_11reduce_implILb1ES3_NS6_12zip_iteratorINS7_INS6_11hip_rocprim26transform_input_iterator_tIbPN3c104HalfENS6_6detail10functional5actorINSJ_9compositeIJNSJ_27transparent_binary_operatorINS6_8equal_toIvEEEENSK_INSJ_8argumentILj0EEEEENSJ_5valueISG_EEEEEEEEENSD_19counting_iterator_tIlEES8_S8_S8_S8_S8_S8_S8_S8_EEEEPS9_S9_NSD_9__find_if7functorIS9_EEEE10hipError_tPvRmT1_T2_T3_mT4_P12ihipStream_tbEUlT_E0_NS1_11comp_targetILNS1_3genE5ELNS1_11target_archE942ELNS1_3gpuE9ELNS1_3repE0EEENS1_30default_config_static_selectorELNS0_4arch9wavefront6targetE1EEEvS19_,"axG",@progbits,_ZN7rocprim17ROCPRIM_400000_NS6detail17trampoline_kernelINS0_14default_configENS1_22reduce_config_selectorIN6thrust23THRUST_200600_302600_NS5tupleIblNS6_9null_typeES8_S8_S8_S8_S8_S8_S8_EEEEZNS1_11reduce_implILb1ES3_NS6_12zip_iteratorINS7_INS6_11hip_rocprim26transform_input_iterator_tIbPN3c104HalfENS6_6detail10functional5actorINSJ_9compositeIJNSJ_27transparent_binary_operatorINS6_8equal_toIvEEEENSK_INSJ_8argumentILj0EEEEENSJ_5valueISG_EEEEEEEEENSD_19counting_iterator_tIlEES8_S8_S8_S8_S8_S8_S8_S8_EEEEPS9_S9_NSD_9__find_if7functorIS9_EEEE10hipError_tPvRmT1_T2_T3_mT4_P12ihipStream_tbEUlT_E0_NS1_11comp_targetILNS1_3genE5ELNS1_11target_archE942ELNS1_3gpuE9ELNS1_3repE0EEENS1_30default_config_static_selectorELNS0_4arch9wavefront6targetE1EEEvS19_,comdat
	.protected	_ZN7rocprim17ROCPRIM_400000_NS6detail17trampoline_kernelINS0_14default_configENS1_22reduce_config_selectorIN6thrust23THRUST_200600_302600_NS5tupleIblNS6_9null_typeES8_S8_S8_S8_S8_S8_S8_EEEEZNS1_11reduce_implILb1ES3_NS6_12zip_iteratorINS7_INS6_11hip_rocprim26transform_input_iterator_tIbPN3c104HalfENS6_6detail10functional5actorINSJ_9compositeIJNSJ_27transparent_binary_operatorINS6_8equal_toIvEEEENSK_INSJ_8argumentILj0EEEEENSJ_5valueISG_EEEEEEEEENSD_19counting_iterator_tIlEES8_S8_S8_S8_S8_S8_S8_S8_EEEEPS9_S9_NSD_9__find_if7functorIS9_EEEE10hipError_tPvRmT1_T2_T3_mT4_P12ihipStream_tbEUlT_E0_NS1_11comp_targetILNS1_3genE5ELNS1_11target_archE942ELNS1_3gpuE9ELNS1_3repE0EEENS1_30default_config_static_selectorELNS0_4arch9wavefront6targetE1EEEvS19_ ; -- Begin function _ZN7rocprim17ROCPRIM_400000_NS6detail17trampoline_kernelINS0_14default_configENS1_22reduce_config_selectorIN6thrust23THRUST_200600_302600_NS5tupleIblNS6_9null_typeES8_S8_S8_S8_S8_S8_S8_EEEEZNS1_11reduce_implILb1ES3_NS6_12zip_iteratorINS7_INS6_11hip_rocprim26transform_input_iterator_tIbPN3c104HalfENS6_6detail10functional5actorINSJ_9compositeIJNSJ_27transparent_binary_operatorINS6_8equal_toIvEEEENSK_INSJ_8argumentILj0EEEEENSJ_5valueISG_EEEEEEEEENSD_19counting_iterator_tIlEES8_S8_S8_S8_S8_S8_S8_S8_EEEEPS9_S9_NSD_9__find_if7functorIS9_EEEE10hipError_tPvRmT1_T2_T3_mT4_P12ihipStream_tbEUlT_E0_NS1_11comp_targetILNS1_3genE5ELNS1_11target_archE942ELNS1_3gpuE9ELNS1_3repE0EEENS1_30default_config_static_selectorELNS0_4arch9wavefront6targetE1EEEvS19_
	.globl	_ZN7rocprim17ROCPRIM_400000_NS6detail17trampoline_kernelINS0_14default_configENS1_22reduce_config_selectorIN6thrust23THRUST_200600_302600_NS5tupleIblNS6_9null_typeES8_S8_S8_S8_S8_S8_S8_EEEEZNS1_11reduce_implILb1ES3_NS6_12zip_iteratorINS7_INS6_11hip_rocprim26transform_input_iterator_tIbPN3c104HalfENS6_6detail10functional5actorINSJ_9compositeIJNSJ_27transparent_binary_operatorINS6_8equal_toIvEEEENSK_INSJ_8argumentILj0EEEEENSJ_5valueISG_EEEEEEEEENSD_19counting_iterator_tIlEES8_S8_S8_S8_S8_S8_S8_S8_EEEEPS9_S9_NSD_9__find_if7functorIS9_EEEE10hipError_tPvRmT1_T2_T3_mT4_P12ihipStream_tbEUlT_E0_NS1_11comp_targetILNS1_3genE5ELNS1_11target_archE942ELNS1_3gpuE9ELNS1_3repE0EEENS1_30default_config_static_selectorELNS0_4arch9wavefront6targetE1EEEvS19_
	.p2align	8
	.type	_ZN7rocprim17ROCPRIM_400000_NS6detail17trampoline_kernelINS0_14default_configENS1_22reduce_config_selectorIN6thrust23THRUST_200600_302600_NS5tupleIblNS6_9null_typeES8_S8_S8_S8_S8_S8_S8_EEEEZNS1_11reduce_implILb1ES3_NS6_12zip_iteratorINS7_INS6_11hip_rocprim26transform_input_iterator_tIbPN3c104HalfENS6_6detail10functional5actorINSJ_9compositeIJNSJ_27transparent_binary_operatorINS6_8equal_toIvEEEENSK_INSJ_8argumentILj0EEEEENSJ_5valueISG_EEEEEEEEENSD_19counting_iterator_tIlEES8_S8_S8_S8_S8_S8_S8_S8_EEEEPS9_S9_NSD_9__find_if7functorIS9_EEEE10hipError_tPvRmT1_T2_T3_mT4_P12ihipStream_tbEUlT_E0_NS1_11comp_targetILNS1_3genE5ELNS1_11target_archE942ELNS1_3gpuE9ELNS1_3repE0EEENS1_30default_config_static_selectorELNS0_4arch9wavefront6targetE1EEEvS19_,@function
_ZN7rocprim17ROCPRIM_400000_NS6detail17trampoline_kernelINS0_14default_configENS1_22reduce_config_selectorIN6thrust23THRUST_200600_302600_NS5tupleIblNS6_9null_typeES8_S8_S8_S8_S8_S8_S8_EEEEZNS1_11reduce_implILb1ES3_NS6_12zip_iteratorINS7_INS6_11hip_rocprim26transform_input_iterator_tIbPN3c104HalfENS6_6detail10functional5actorINSJ_9compositeIJNSJ_27transparent_binary_operatorINS6_8equal_toIvEEEENSK_INSJ_8argumentILj0EEEEENSJ_5valueISG_EEEEEEEEENSD_19counting_iterator_tIlEES8_S8_S8_S8_S8_S8_S8_S8_EEEEPS9_S9_NSD_9__find_if7functorIS9_EEEE10hipError_tPvRmT1_T2_T3_mT4_P12ihipStream_tbEUlT_E0_NS1_11comp_targetILNS1_3genE5ELNS1_11target_archE942ELNS1_3gpuE9ELNS1_3repE0EEENS1_30default_config_static_selectorELNS0_4arch9wavefront6targetE1EEEvS19_: ; @_ZN7rocprim17ROCPRIM_400000_NS6detail17trampoline_kernelINS0_14default_configENS1_22reduce_config_selectorIN6thrust23THRUST_200600_302600_NS5tupleIblNS6_9null_typeES8_S8_S8_S8_S8_S8_S8_EEEEZNS1_11reduce_implILb1ES3_NS6_12zip_iteratorINS7_INS6_11hip_rocprim26transform_input_iterator_tIbPN3c104HalfENS6_6detail10functional5actorINSJ_9compositeIJNSJ_27transparent_binary_operatorINS6_8equal_toIvEEEENSK_INSJ_8argumentILj0EEEEENSJ_5valueISG_EEEEEEEEENSD_19counting_iterator_tIlEES8_S8_S8_S8_S8_S8_S8_S8_EEEEPS9_S9_NSD_9__find_if7functorIS9_EEEE10hipError_tPvRmT1_T2_T3_mT4_P12ihipStream_tbEUlT_E0_NS1_11comp_targetILNS1_3genE5ELNS1_11target_archE942ELNS1_3gpuE9ELNS1_3repE0EEENS1_30default_config_static_selectorELNS0_4arch9wavefront6targetE1EEEvS19_
; %bb.0:
	.section	.rodata,"a",@progbits
	.p2align	6, 0x0
	.amdhsa_kernel _ZN7rocprim17ROCPRIM_400000_NS6detail17trampoline_kernelINS0_14default_configENS1_22reduce_config_selectorIN6thrust23THRUST_200600_302600_NS5tupleIblNS6_9null_typeES8_S8_S8_S8_S8_S8_S8_EEEEZNS1_11reduce_implILb1ES3_NS6_12zip_iteratorINS7_INS6_11hip_rocprim26transform_input_iterator_tIbPN3c104HalfENS6_6detail10functional5actorINSJ_9compositeIJNSJ_27transparent_binary_operatorINS6_8equal_toIvEEEENSK_INSJ_8argumentILj0EEEEENSJ_5valueISG_EEEEEEEEENSD_19counting_iterator_tIlEES8_S8_S8_S8_S8_S8_S8_S8_EEEEPS9_S9_NSD_9__find_if7functorIS9_EEEE10hipError_tPvRmT1_T2_T3_mT4_P12ihipStream_tbEUlT_E0_NS1_11comp_targetILNS1_3genE5ELNS1_11target_archE942ELNS1_3gpuE9ELNS1_3repE0EEENS1_30default_config_static_selectorELNS0_4arch9wavefront6targetE1EEEvS19_
		.amdhsa_group_segment_fixed_size 0
		.amdhsa_private_segment_fixed_size 0
		.amdhsa_kernarg_size 88
		.amdhsa_user_sgpr_count 6
		.amdhsa_user_sgpr_private_segment_buffer 1
		.amdhsa_user_sgpr_dispatch_ptr 0
		.amdhsa_user_sgpr_queue_ptr 0
		.amdhsa_user_sgpr_kernarg_segment_ptr 1
		.amdhsa_user_sgpr_dispatch_id 0
		.amdhsa_user_sgpr_flat_scratch_init 0
		.amdhsa_user_sgpr_kernarg_preload_length 0
		.amdhsa_user_sgpr_kernarg_preload_offset 0
		.amdhsa_user_sgpr_private_segment_size 0
		.amdhsa_uses_dynamic_stack 0
		.amdhsa_system_sgpr_private_segment_wavefront_offset 0
		.amdhsa_system_sgpr_workgroup_id_x 1
		.amdhsa_system_sgpr_workgroup_id_y 0
		.amdhsa_system_sgpr_workgroup_id_z 0
		.amdhsa_system_sgpr_workgroup_info 0
		.amdhsa_system_vgpr_workitem_id 0
		.amdhsa_next_free_vgpr 1
		.amdhsa_next_free_sgpr 0
		.amdhsa_accum_offset 4
		.amdhsa_reserve_vcc 0
		.amdhsa_reserve_flat_scratch 0
		.amdhsa_float_round_mode_32 0
		.amdhsa_float_round_mode_16_64 0
		.amdhsa_float_denorm_mode_32 3
		.amdhsa_float_denorm_mode_16_64 3
		.amdhsa_dx10_clamp 1
		.amdhsa_ieee_mode 1
		.amdhsa_fp16_overflow 0
		.amdhsa_tg_split 0
		.amdhsa_exception_fp_ieee_invalid_op 0
		.amdhsa_exception_fp_denorm_src 0
		.amdhsa_exception_fp_ieee_div_zero 0
		.amdhsa_exception_fp_ieee_overflow 0
		.amdhsa_exception_fp_ieee_underflow 0
		.amdhsa_exception_fp_ieee_inexact 0
		.amdhsa_exception_int_div_zero 0
	.end_amdhsa_kernel
	.section	.text._ZN7rocprim17ROCPRIM_400000_NS6detail17trampoline_kernelINS0_14default_configENS1_22reduce_config_selectorIN6thrust23THRUST_200600_302600_NS5tupleIblNS6_9null_typeES8_S8_S8_S8_S8_S8_S8_EEEEZNS1_11reduce_implILb1ES3_NS6_12zip_iteratorINS7_INS6_11hip_rocprim26transform_input_iterator_tIbPN3c104HalfENS6_6detail10functional5actorINSJ_9compositeIJNSJ_27transparent_binary_operatorINS6_8equal_toIvEEEENSK_INSJ_8argumentILj0EEEEENSJ_5valueISG_EEEEEEEEENSD_19counting_iterator_tIlEES8_S8_S8_S8_S8_S8_S8_S8_EEEEPS9_S9_NSD_9__find_if7functorIS9_EEEE10hipError_tPvRmT1_T2_T3_mT4_P12ihipStream_tbEUlT_E0_NS1_11comp_targetILNS1_3genE5ELNS1_11target_archE942ELNS1_3gpuE9ELNS1_3repE0EEENS1_30default_config_static_selectorELNS0_4arch9wavefront6targetE1EEEvS19_,"axG",@progbits,_ZN7rocprim17ROCPRIM_400000_NS6detail17trampoline_kernelINS0_14default_configENS1_22reduce_config_selectorIN6thrust23THRUST_200600_302600_NS5tupleIblNS6_9null_typeES8_S8_S8_S8_S8_S8_S8_EEEEZNS1_11reduce_implILb1ES3_NS6_12zip_iteratorINS7_INS6_11hip_rocprim26transform_input_iterator_tIbPN3c104HalfENS6_6detail10functional5actorINSJ_9compositeIJNSJ_27transparent_binary_operatorINS6_8equal_toIvEEEENSK_INSJ_8argumentILj0EEEEENSJ_5valueISG_EEEEEEEEENSD_19counting_iterator_tIlEES8_S8_S8_S8_S8_S8_S8_S8_EEEEPS9_S9_NSD_9__find_if7functorIS9_EEEE10hipError_tPvRmT1_T2_T3_mT4_P12ihipStream_tbEUlT_E0_NS1_11comp_targetILNS1_3genE5ELNS1_11target_archE942ELNS1_3gpuE9ELNS1_3repE0EEENS1_30default_config_static_selectorELNS0_4arch9wavefront6targetE1EEEvS19_,comdat
.Lfunc_end2237:
	.size	_ZN7rocprim17ROCPRIM_400000_NS6detail17trampoline_kernelINS0_14default_configENS1_22reduce_config_selectorIN6thrust23THRUST_200600_302600_NS5tupleIblNS6_9null_typeES8_S8_S8_S8_S8_S8_S8_EEEEZNS1_11reduce_implILb1ES3_NS6_12zip_iteratorINS7_INS6_11hip_rocprim26transform_input_iterator_tIbPN3c104HalfENS6_6detail10functional5actorINSJ_9compositeIJNSJ_27transparent_binary_operatorINS6_8equal_toIvEEEENSK_INSJ_8argumentILj0EEEEENSJ_5valueISG_EEEEEEEEENSD_19counting_iterator_tIlEES8_S8_S8_S8_S8_S8_S8_S8_EEEEPS9_S9_NSD_9__find_if7functorIS9_EEEE10hipError_tPvRmT1_T2_T3_mT4_P12ihipStream_tbEUlT_E0_NS1_11comp_targetILNS1_3genE5ELNS1_11target_archE942ELNS1_3gpuE9ELNS1_3repE0EEENS1_30default_config_static_selectorELNS0_4arch9wavefront6targetE1EEEvS19_, .Lfunc_end2237-_ZN7rocprim17ROCPRIM_400000_NS6detail17trampoline_kernelINS0_14default_configENS1_22reduce_config_selectorIN6thrust23THRUST_200600_302600_NS5tupleIblNS6_9null_typeES8_S8_S8_S8_S8_S8_S8_EEEEZNS1_11reduce_implILb1ES3_NS6_12zip_iteratorINS7_INS6_11hip_rocprim26transform_input_iterator_tIbPN3c104HalfENS6_6detail10functional5actorINSJ_9compositeIJNSJ_27transparent_binary_operatorINS6_8equal_toIvEEEENSK_INSJ_8argumentILj0EEEEENSJ_5valueISG_EEEEEEEEENSD_19counting_iterator_tIlEES8_S8_S8_S8_S8_S8_S8_S8_EEEEPS9_S9_NSD_9__find_if7functorIS9_EEEE10hipError_tPvRmT1_T2_T3_mT4_P12ihipStream_tbEUlT_E0_NS1_11comp_targetILNS1_3genE5ELNS1_11target_archE942ELNS1_3gpuE9ELNS1_3repE0EEENS1_30default_config_static_selectorELNS0_4arch9wavefront6targetE1EEEvS19_
                                        ; -- End function
	.section	.AMDGPU.csdata,"",@progbits
; Kernel info:
; codeLenInByte = 0
; NumSgprs: 4
; NumVgprs: 0
; NumAgprs: 0
; TotalNumVgprs: 0
; ScratchSize: 0
; MemoryBound: 0
; FloatMode: 240
; IeeeMode: 1
; LDSByteSize: 0 bytes/workgroup (compile time only)
; SGPRBlocks: 0
; VGPRBlocks: 0
; NumSGPRsForWavesPerEU: 4
; NumVGPRsForWavesPerEU: 1
; AccumOffset: 4
; Occupancy: 8
; WaveLimiterHint : 0
; COMPUTE_PGM_RSRC2:SCRATCH_EN: 0
; COMPUTE_PGM_RSRC2:USER_SGPR: 6
; COMPUTE_PGM_RSRC2:TRAP_HANDLER: 0
; COMPUTE_PGM_RSRC2:TGID_X_EN: 1
; COMPUTE_PGM_RSRC2:TGID_Y_EN: 0
; COMPUTE_PGM_RSRC2:TGID_Z_EN: 0
; COMPUTE_PGM_RSRC2:TIDIG_COMP_CNT: 0
; COMPUTE_PGM_RSRC3_GFX90A:ACCUM_OFFSET: 0
; COMPUTE_PGM_RSRC3_GFX90A:TG_SPLIT: 0
	.section	.text._ZN7rocprim17ROCPRIM_400000_NS6detail17trampoline_kernelINS0_14default_configENS1_22reduce_config_selectorIN6thrust23THRUST_200600_302600_NS5tupleIblNS6_9null_typeES8_S8_S8_S8_S8_S8_S8_EEEEZNS1_11reduce_implILb1ES3_NS6_12zip_iteratorINS7_INS6_11hip_rocprim26transform_input_iterator_tIbPN3c104HalfENS6_6detail10functional5actorINSJ_9compositeIJNSJ_27transparent_binary_operatorINS6_8equal_toIvEEEENSK_INSJ_8argumentILj0EEEEENSJ_5valueISG_EEEEEEEEENSD_19counting_iterator_tIlEES8_S8_S8_S8_S8_S8_S8_S8_EEEEPS9_S9_NSD_9__find_if7functorIS9_EEEE10hipError_tPvRmT1_T2_T3_mT4_P12ihipStream_tbEUlT_E0_NS1_11comp_targetILNS1_3genE4ELNS1_11target_archE910ELNS1_3gpuE8ELNS1_3repE0EEENS1_30default_config_static_selectorELNS0_4arch9wavefront6targetE1EEEvS19_,"axG",@progbits,_ZN7rocprim17ROCPRIM_400000_NS6detail17trampoline_kernelINS0_14default_configENS1_22reduce_config_selectorIN6thrust23THRUST_200600_302600_NS5tupleIblNS6_9null_typeES8_S8_S8_S8_S8_S8_S8_EEEEZNS1_11reduce_implILb1ES3_NS6_12zip_iteratorINS7_INS6_11hip_rocprim26transform_input_iterator_tIbPN3c104HalfENS6_6detail10functional5actorINSJ_9compositeIJNSJ_27transparent_binary_operatorINS6_8equal_toIvEEEENSK_INSJ_8argumentILj0EEEEENSJ_5valueISG_EEEEEEEEENSD_19counting_iterator_tIlEES8_S8_S8_S8_S8_S8_S8_S8_EEEEPS9_S9_NSD_9__find_if7functorIS9_EEEE10hipError_tPvRmT1_T2_T3_mT4_P12ihipStream_tbEUlT_E0_NS1_11comp_targetILNS1_3genE4ELNS1_11target_archE910ELNS1_3gpuE8ELNS1_3repE0EEENS1_30default_config_static_selectorELNS0_4arch9wavefront6targetE1EEEvS19_,comdat
	.protected	_ZN7rocprim17ROCPRIM_400000_NS6detail17trampoline_kernelINS0_14default_configENS1_22reduce_config_selectorIN6thrust23THRUST_200600_302600_NS5tupleIblNS6_9null_typeES8_S8_S8_S8_S8_S8_S8_EEEEZNS1_11reduce_implILb1ES3_NS6_12zip_iteratorINS7_INS6_11hip_rocprim26transform_input_iterator_tIbPN3c104HalfENS6_6detail10functional5actorINSJ_9compositeIJNSJ_27transparent_binary_operatorINS6_8equal_toIvEEEENSK_INSJ_8argumentILj0EEEEENSJ_5valueISG_EEEEEEEEENSD_19counting_iterator_tIlEES8_S8_S8_S8_S8_S8_S8_S8_EEEEPS9_S9_NSD_9__find_if7functorIS9_EEEE10hipError_tPvRmT1_T2_T3_mT4_P12ihipStream_tbEUlT_E0_NS1_11comp_targetILNS1_3genE4ELNS1_11target_archE910ELNS1_3gpuE8ELNS1_3repE0EEENS1_30default_config_static_selectorELNS0_4arch9wavefront6targetE1EEEvS19_ ; -- Begin function _ZN7rocprim17ROCPRIM_400000_NS6detail17trampoline_kernelINS0_14default_configENS1_22reduce_config_selectorIN6thrust23THRUST_200600_302600_NS5tupleIblNS6_9null_typeES8_S8_S8_S8_S8_S8_S8_EEEEZNS1_11reduce_implILb1ES3_NS6_12zip_iteratorINS7_INS6_11hip_rocprim26transform_input_iterator_tIbPN3c104HalfENS6_6detail10functional5actorINSJ_9compositeIJNSJ_27transparent_binary_operatorINS6_8equal_toIvEEEENSK_INSJ_8argumentILj0EEEEENSJ_5valueISG_EEEEEEEEENSD_19counting_iterator_tIlEES8_S8_S8_S8_S8_S8_S8_S8_EEEEPS9_S9_NSD_9__find_if7functorIS9_EEEE10hipError_tPvRmT1_T2_T3_mT4_P12ihipStream_tbEUlT_E0_NS1_11comp_targetILNS1_3genE4ELNS1_11target_archE910ELNS1_3gpuE8ELNS1_3repE0EEENS1_30default_config_static_selectorELNS0_4arch9wavefront6targetE1EEEvS19_
	.globl	_ZN7rocprim17ROCPRIM_400000_NS6detail17trampoline_kernelINS0_14default_configENS1_22reduce_config_selectorIN6thrust23THRUST_200600_302600_NS5tupleIblNS6_9null_typeES8_S8_S8_S8_S8_S8_S8_EEEEZNS1_11reduce_implILb1ES3_NS6_12zip_iteratorINS7_INS6_11hip_rocprim26transform_input_iterator_tIbPN3c104HalfENS6_6detail10functional5actorINSJ_9compositeIJNSJ_27transparent_binary_operatorINS6_8equal_toIvEEEENSK_INSJ_8argumentILj0EEEEENSJ_5valueISG_EEEEEEEEENSD_19counting_iterator_tIlEES8_S8_S8_S8_S8_S8_S8_S8_EEEEPS9_S9_NSD_9__find_if7functorIS9_EEEE10hipError_tPvRmT1_T2_T3_mT4_P12ihipStream_tbEUlT_E0_NS1_11comp_targetILNS1_3genE4ELNS1_11target_archE910ELNS1_3gpuE8ELNS1_3repE0EEENS1_30default_config_static_selectorELNS0_4arch9wavefront6targetE1EEEvS19_
	.p2align	8
	.type	_ZN7rocprim17ROCPRIM_400000_NS6detail17trampoline_kernelINS0_14default_configENS1_22reduce_config_selectorIN6thrust23THRUST_200600_302600_NS5tupleIblNS6_9null_typeES8_S8_S8_S8_S8_S8_S8_EEEEZNS1_11reduce_implILb1ES3_NS6_12zip_iteratorINS7_INS6_11hip_rocprim26transform_input_iterator_tIbPN3c104HalfENS6_6detail10functional5actorINSJ_9compositeIJNSJ_27transparent_binary_operatorINS6_8equal_toIvEEEENSK_INSJ_8argumentILj0EEEEENSJ_5valueISG_EEEEEEEEENSD_19counting_iterator_tIlEES8_S8_S8_S8_S8_S8_S8_S8_EEEEPS9_S9_NSD_9__find_if7functorIS9_EEEE10hipError_tPvRmT1_T2_T3_mT4_P12ihipStream_tbEUlT_E0_NS1_11comp_targetILNS1_3genE4ELNS1_11target_archE910ELNS1_3gpuE8ELNS1_3repE0EEENS1_30default_config_static_selectorELNS0_4arch9wavefront6targetE1EEEvS19_,@function
_ZN7rocprim17ROCPRIM_400000_NS6detail17trampoline_kernelINS0_14default_configENS1_22reduce_config_selectorIN6thrust23THRUST_200600_302600_NS5tupleIblNS6_9null_typeES8_S8_S8_S8_S8_S8_S8_EEEEZNS1_11reduce_implILb1ES3_NS6_12zip_iteratorINS7_INS6_11hip_rocprim26transform_input_iterator_tIbPN3c104HalfENS6_6detail10functional5actorINSJ_9compositeIJNSJ_27transparent_binary_operatorINS6_8equal_toIvEEEENSK_INSJ_8argumentILj0EEEEENSJ_5valueISG_EEEEEEEEENSD_19counting_iterator_tIlEES8_S8_S8_S8_S8_S8_S8_S8_EEEEPS9_S9_NSD_9__find_if7functorIS9_EEEE10hipError_tPvRmT1_T2_T3_mT4_P12ihipStream_tbEUlT_E0_NS1_11comp_targetILNS1_3genE4ELNS1_11target_archE910ELNS1_3gpuE8ELNS1_3repE0EEENS1_30default_config_static_selectorELNS0_4arch9wavefront6targetE1EEEvS19_: ; @_ZN7rocprim17ROCPRIM_400000_NS6detail17trampoline_kernelINS0_14default_configENS1_22reduce_config_selectorIN6thrust23THRUST_200600_302600_NS5tupleIblNS6_9null_typeES8_S8_S8_S8_S8_S8_S8_EEEEZNS1_11reduce_implILb1ES3_NS6_12zip_iteratorINS7_INS6_11hip_rocprim26transform_input_iterator_tIbPN3c104HalfENS6_6detail10functional5actorINSJ_9compositeIJNSJ_27transparent_binary_operatorINS6_8equal_toIvEEEENSK_INSJ_8argumentILj0EEEEENSJ_5valueISG_EEEEEEEEENSD_19counting_iterator_tIlEES8_S8_S8_S8_S8_S8_S8_S8_EEEEPS9_S9_NSD_9__find_if7functorIS9_EEEE10hipError_tPvRmT1_T2_T3_mT4_P12ihipStream_tbEUlT_E0_NS1_11comp_targetILNS1_3genE4ELNS1_11target_archE910ELNS1_3gpuE8ELNS1_3repE0EEENS1_30default_config_static_selectorELNS0_4arch9wavefront6targetE1EEEvS19_
; %bb.0:
	s_load_dword s2, s[4:5], 0x8
	s_load_dwordx8 s[8:15], s[4:5], 0x10
	s_load_dwordx2 s[0:1], s[4:5], 0x0
	s_load_dwordx4 s[16:19], s[4:5], 0x30
	s_mov_b32 s23, 0
	s_waitcnt lgkmcnt(0)
	s_lshr_b32 s24, s2, 16
	s_lshl_b64 s[2:3], s[10:11], 1
	s_add_u32 s20, s0, s2
	s_addc_u32 s21, s1, s3
	s_lshl_b32 s22, s6, 9
	s_lshr_b64 s[0:1], s[12:13], 9
	s_lshl_b64 s[2:3], s[22:23], 1
	s_add_u32 s20, s20, s2
	s_addc_u32 s21, s21, s3
	s_add_u32 s2, s8, s22
	s_addc_u32 s3, s9, 0
	s_add_u32 s8, s2, s10
	s_mov_b32 s7, s23
	s_addc_u32 s9, s3, s11
	s_cmp_lg_u64 s[0:1], s[6:7]
	v_lshlrev_b32_e32 v1, 1, v0
	s_cbranch_scc0 .LBB2238_18
; %bb.1:
	global_load_ushort v2, v1, s[20:21] offset:512
	global_load_ushort v3, v1, s[20:21]
	v_mov_b32_e32 v4, s9
	v_add_co_u32_e32 v5, vcc, s8, v0
	v_addc_co_u32_e32 v4, vcc, 0, v4, vcc
	v_add_co_u32_e32 v6, vcc, 0x100, v5
	v_addc_co_u32_e32 v7, vcc, 0, v4, vcc
	s_waitcnt vmcnt(1)
	v_cmp_eq_f16_e32 vcc, s24, v2
	s_waitcnt vmcnt(0)
	v_cmp_eq_f16_e64 s[0:1], s24, v3
	v_cndmask_b32_e64 v3, v7, v4, s[0:1]
	v_cndmask_b32_e64 v2, v6, v5, s[0:1]
	s_or_b64 s[0:1], s[0:1], vcc
	v_cndmask_b32_e64 v6, 0, 1, s[0:1]
	v_mov_b32_dpp v4, v2 quad_perm:[1,0,3,2] row_mask:0xf bank_mask:0xf bound_ctrl:1
	v_mov_b32_dpp v5, v3 quad_perm:[1,0,3,2] row_mask:0xf bank_mask:0xf bound_ctrl:1
	;; [unrolled: 1-line block ×3, first 2 shown]
	v_and_b32_e32 v8, 1, v7
	v_cmp_eq_u32_e32 vcc, 1, v8
	s_and_saveexec_b64 s[2:3], vcc
; %bb.2:
	v_cmp_lt_i64_e32 vcc, v[2:3], v[4:5]
	v_cndmask_b32_e64 v7, v7, 1, s[0:1]
	s_and_b64 vcc, s[0:1], vcc
	v_cndmask_b32_e32 v2, v4, v2, vcc
	v_and_b32_e32 v4, 1, v7
	v_cndmask_b32_e32 v3, v5, v3, vcc
	v_cmp_eq_u32_e32 vcc, 1, v4
	s_andn2_b64 s[0:1], s[0:1], exec
	s_and_b64 s[10:11], vcc, exec
	v_and_b32_e32 v6, 0xff, v7
	s_or_b64 s[0:1], s[0:1], s[10:11]
; %bb.3:
	s_or_b64 exec, exec, s[2:3]
	v_mov_b32_dpp v7, v6 quad_perm:[2,3,0,1] row_mask:0xf bank_mask:0xf bound_ctrl:1
	v_and_b32_e32 v8, 1, v7
	v_mov_b32_dpp v4, v2 quad_perm:[2,3,0,1] row_mask:0xf bank_mask:0xf bound_ctrl:1
	v_mov_b32_dpp v5, v3 quad_perm:[2,3,0,1] row_mask:0xf bank_mask:0xf bound_ctrl:1
	v_cmp_eq_u32_e32 vcc, 1, v8
	s_and_saveexec_b64 s[2:3], vcc
; %bb.4:
	v_cmp_lt_i64_e32 vcc, v[2:3], v[4:5]
	v_cndmask_b32_e64 v7, v7, 1, s[0:1]
	s_and_b64 vcc, s[0:1], vcc
	v_cndmask_b32_e32 v2, v4, v2, vcc
	v_and_b32_e32 v4, 1, v7
	v_cndmask_b32_e32 v3, v5, v3, vcc
	v_cmp_eq_u32_e32 vcc, 1, v4
	s_andn2_b64 s[0:1], s[0:1], exec
	s_and_b64 s[10:11], vcc, exec
	v_and_b32_e32 v6, 0xff, v7
	s_or_b64 s[0:1], s[0:1], s[10:11]
; %bb.5:
	s_or_b64 exec, exec, s[2:3]
	v_mov_b32_dpp v7, v6 row_ror:4 row_mask:0xf bank_mask:0xf bound_ctrl:1
	v_and_b32_e32 v8, 1, v7
	v_mov_b32_dpp v4, v2 row_ror:4 row_mask:0xf bank_mask:0xf bound_ctrl:1
	v_mov_b32_dpp v5, v3 row_ror:4 row_mask:0xf bank_mask:0xf bound_ctrl:1
	v_cmp_eq_u32_e32 vcc, 1, v8
	s_and_saveexec_b64 s[2:3], vcc
; %bb.6:
	v_cmp_lt_i64_e32 vcc, v[2:3], v[4:5]
	v_cndmask_b32_e64 v7, v7, 1, s[0:1]
	s_and_b64 vcc, s[0:1], vcc
	v_cndmask_b32_e32 v2, v4, v2, vcc
	v_and_b32_e32 v4, 1, v7
	v_cndmask_b32_e32 v3, v5, v3, vcc
	v_cmp_eq_u32_e32 vcc, 1, v4
	s_andn2_b64 s[0:1], s[0:1], exec
	s_and_b64 s[10:11], vcc, exec
	v_and_b32_e32 v6, 0xff, v7
	s_or_b64 s[0:1], s[0:1], s[10:11]
; %bb.7:
	s_or_b64 exec, exec, s[2:3]
	v_mov_b32_dpp v7, v6 row_ror:8 row_mask:0xf bank_mask:0xf bound_ctrl:1
	v_and_b32_e32 v8, 1, v7
	v_mov_b32_dpp v4, v2 row_ror:8 row_mask:0xf bank_mask:0xf bound_ctrl:1
	v_mov_b32_dpp v5, v3 row_ror:8 row_mask:0xf bank_mask:0xf bound_ctrl:1
	v_cmp_eq_u32_e32 vcc, 1, v8
	s_and_saveexec_b64 s[2:3], vcc
; %bb.8:
	v_cmp_lt_i64_e32 vcc, v[2:3], v[4:5]
	v_cndmask_b32_e64 v7, v7, 1, s[0:1]
	s_and_b64 vcc, s[0:1], vcc
	v_cndmask_b32_e32 v2, v4, v2, vcc
	v_and_b32_e32 v4, 1, v7
	v_cndmask_b32_e32 v3, v5, v3, vcc
	v_cmp_eq_u32_e32 vcc, 1, v4
	s_andn2_b64 s[0:1], s[0:1], exec
	s_and_b64 s[10:11], vcc, exec
	v_and_b32_e32 v6, 0xff, v7
	s_or_b64 s[0:1], s[0:1], s[10:11]
; %bb.9:
	s_or_b64 exec, exec, s[2:3]
	v_mov_b32_dpp v7, v6 row_bcast:15 row_mask:0xf bank_mask:0xf bound_ctrl:1
	v_and_b32_e32 v8, 1, v7
	v_mov_b32_dpp v4, v2 row_bcast:15 row_mask:0xf bank_mask:0xf bound_ctrl:1
	v_mov_b32_dpp v5, v3 row_bcast:15 row_mask:0xf bank_mask:0xf bound_ctrl:1
	v_cmp_eq_u32_e32 vcc, 1, v8
	s_and_saveexec_b64 s[2:3], vcc
; %bb.10:
	v_cmp_lt_i64_e32 vcc, v[2:3], v[4:5]
	v_cndmask_b32_e64 v7, v7, 1, s[0:1]
	s_and_b64 vcc, s[0:1], vcc
	v_cndmask_b32_e32 v2, v4, v2, vcc
	v_and_b32_e32 v4, 1, v7
	v_cndmask_b32_e32 v3, v5, v3, vcc
	v_cmp_eq_u32_e32 vcc, 1, v4
	s_andn2_b64 s[0:1], s[0:1], exec
	s_and_b64 s[10:11], vcc, exec
	v_and_b32_e32 v6, 0xff, v7
	s_or_b64 s[0:1], s[0:1], s[10:11]
; %bb.11:
	s_or_b64 exec, exec, s[2:3]
	v_mov_b32_dpp v7, v6 row_bcast:31 row_mask:0xf bank_mask:0xf bound_ctrl:1
	v_and_b32_e32 v8, 1, v7
	v_mov_b32_dpp v4, v2 row_bcast:31 row_mask:0xf bank_mask:0xf bound_ctrl:1
	v_mov_b32_dpp v5, v3 row_bcast:31 row_mask:0xf bank_mask:0xf bound_ctrl:1
	v_cmp_eq_u32_e32 vcc, 1, v8
	s_and_saveexec_b64 s[2:3], vcc
; %bb.12:
	v_cmp_lt_i64_e32 vcc, v[2:3], v[4:5]
	v_and_b32_e32 v6, 0xff, v7
	s_and_b64 vcc, s[0:1], vcc
	v_cndmask_b32_e32 v2, v4, v2, vcc
	v_cndmask_b32_e32 v3, v5, v3, vcc
	v_cndmask_b32_e64 v6, v6, 1, s[0:1]
; %bb.13:
	s_or_b64 exec, exec, s[2:3]
	v_mbcnt_lo_u32_b32 v4, -1, 0
	v_mbcnt_hi_u32_b32 v4, -1, v4
	v_bfrev_b32_e32 v5, 0.5
	v_lshl_or_b32 v5, v4, 2, v5
	ds_bpermute_b32 v6, v5, v6
	ds_bpermute_b32 v2, v5, v2
	;; [unrolled: 1-line block ×3, first 2 shown]
	v_cmp_eq_u32_e32 vcc, 0, v4
	s_and_saveexec_b64 s[0:1], vcc
	s_cbranch_execz .LBB2238_15
; %bb.14:
	v_lshrrev_b32_e32 v5, 2, v0
	v_and_b32_e32 v5, 48, v5
	s_waitcnt lgkmcnt(2)
	ds_write_b8 v5, v6
	s_waitcnt lgkmcnt(1)
	ds_write_b64 v5, v[2:3] offset:8
.LBB2238_15:
	s_or_b64 exec, exec, s[0:1]
	v_cmp_gt_u32_e32 vcc, 64, v0
	s_waitcnt lgkmcnt(0)
	s_barrier
	s_and_saveexec_b64 s[2:3], vcc
	s_cbranch_execz .LBB2238_17
; %bb.16:
	v_and_b32_e32 v5, 3, v4
	v_lshlrev_b32_e32 v2, 4, v5
	ds_read_u8 v8, v2
	ds_read_b64 v[2:3], v2 offset:8
	v_cmp_ne_u32_e32 vcc, 3, v5
	v_addc_co_u32_e32 v6, vcc, 0, v4, vcc
	s_waitcnt lgkmcnt(1)
	v_and_b32_e32 v7, 0xff, v8
	v_lshlrev_b32_e32 v9, 2, v6
	ds_bpermute_b32 v10, v9, v7
	s_waitcnt lgkmcnt(1)
	ds_bpermute_b32 v6, v9, v2
	ds_bpermute_b32 v7, v9, v3
	v_and_b32_e32 v9, 1, v8
	s_waitcnt lgkmcnt(2)
	v_and_b32_e32 v11, 1, v10
	v_cmp_eq_u32_e64 s[0:1], 1, v11
	s_waitcnt lgkmcnt(0)
	v_cmp_lt_i64_e32 vcc, v[6:7], v[2:3]
	s_and_b64 vcc, s[0:1], vcc
	v_cndmask_b32_e64 v8, v8, 1, s[0:1]
	v_cndmask_b32_e32 v2, v2, v6, vcc
	v_cndmask_b32_e32 v3, v3, v7, vcc
	v_cmp_eq_u32_e32 vcc, 1, v9
	v_cndmask_b32_e32 v8, v10, v8, vcc
	v_cndmask_b32_e32 v3, v7, v3, vcc
	;; [unrolled: 1-line block ×3, first 2 shown]
	v_cmp_gt_u32_e32 vcc, 2, v5
	v_cndmask_b32_e64 v5, 0, 1, vcc
	v_lshlrev_b32_e32 v5, 1, v5
	v_and_b32_e32 v6, 0xff, v8
	v_add_lshl_u32 v5, v5, v4, 2
	ds_bpermute_b32 v6, v5, v6
	ds_bpermute_b32 v4, v5, v2
	;; [unrolled: 1-line block ×3, first 2 shown]
	v_and_b32_e32 v7, 1, v8
	s_waitcnt lgkmcnt(2)
	v_and_b32_e32 v9, 1, v6
	v_cmp_eq_u32_e64 s[0:1], 1, v9
	s_waitcnt lgkmcnt(0)
	v_cmp_lt_i64_e32 vcc, v[4:5], v[2:3]
	s_and_b64 vcc, s[0:1], vcc
	v_cndmask_b32_e64 v8, v8, 1, s[0:1]
	v_cndmask_b32_e32 v2, v2, v4, vcc
	v_cndmask_b32_e32 v3, v3, v5, vcc
	v_cmp_eq_u32_e32 vcc, 1, v7
	v_cndmask_b32_e32 v6, v6, v8, vcc
	v_cndmask_b32_e32 v3, v5, v3, vcc
	;; [unrolled: 1-line block ×3, first 2 shown]
	v_and_b32_e32 v6, 0xff, v6
.LBB2238_17:
	s_or_b64 exec, exec, s[2:3]
	s_load_dword s10, s[4:5], 0x40
	s_load_dwordx2 s[2:3], s[4:5], 0x48
	s_branch .LBB2238_46
.LBB2238_18:
                                        ; implicit-def: $vgpr2_vgpr3
                                        ; implicit-def: $vgpr6
	s_load_dword s10, s[4:5], 0x40
	s_load_dwordx2 s[2:3], s[4:5], 0x48
	s_cbranch_execz .LBB2238_46
; %bb.19:
	s_sub_i32 s11, s12, s22
	v_pk_mov_b32 v[4:5], 0, 0
	v_cmp_gt_u32_e32 vcc, s11, v0
	v_mov_b32_e32 v6, 0
	v_pk_mov_b32 v[2:3], v[4:5], v[4:5] op_sel:[0,1]
	v_mov_b32_e32 v7, 0
	s_and_saveexec_b64 s[0:1], vcc
	s_cbranch_execz .LBB2238_21
; %bb.20:
	global_load_ushort v7, v1, s[20:21]
	v_mov_b32_e32 v3, s9
	v_add_co_u32_e32 v2, vcc, s8, v0
	v_addc_co_u32_e32 v3, vcc, 0, v3, vcc
	s_waitcnt vmcnt(0)
	v_cmp_eq_f16_e32 vcc, s24, v7
	v_cndmask_b32_e64 v7, 0, 1, vcc
.LBB2238_21:
	s_or_b64 exec, exec, s[0:1]
	v_or_b32_e32 v8, 0x100, v0
	v_cmp_gt_u32_e32 vcc, s11, v8
	s_and_saveexec_b64 s[4:5], vcc
	s_cbranch_execz .LBB2238_23
; %bb.22:
	global_load_ushort v1, v1, s[20:21] offset:512
	v_mov_b32_e32 v5, s9
	v_add_co_u32_e64 v4, s[0:1], s8, v8
	v_addc_co_u32_e64 v5, s[0:1], 0, v5, s[0:1]
	s_waitcnt vmcnt(0)
	v_cmp_eq_f16_e64 s[0:1], s24, v1
	v_cndmask_b32_e64 v6, 0, 1, s[0:1]
.LBB2238_23:
	s_or_b64 exec, exec, s[4:5]
	s_and_saveexec_b64 s[4:5], vcc
	s_cbranch_execz .LBB2238_25
; %bb.24:
	v_and_b32_e32 v8, 1, v6
	v_cmp_lt_i64_e32 vcc, v[4:5], v[2:3]
	v_cmp_eq_u32_e64 s[0:1], 1, v8
	v_and_b32_e32 v1, 1, v7
	s_and_b64 vcc, s[0:1], vcc
	v_cndmask_b32_e64 v7, v7, 1, s[0:1]
	v_cndmask_b32_e32 v2, v2, v4, vcc
	v_cndmask_b32_e32 v3, v3, v5, vcc
	v_cmp_eq_u32_e32 vcc, 1, v1
	v_cndmask_b32_e32 v7, v6, v7, vcc
	v_cndmask_b32_e32 v3, v5, v3, vcc
	;; [unrolled: 1-line block ×3, first 2 shown]
.LBB2238_25:
	s_or_b64 exec, exec, s[4:5]
	v_mbcnt_lo_u32_b32 v1, -1, 0
	v_mbcnt_hi_u32_b32 v1, -1, v1
	v_and_b32_e32 v8, 63, v1
	v_cmp_ne_u32_e32 vcc, 63, v8
	v_addc_co_u32_e32 v4, vcc, 0, v1, vcc
	v_and_b32_e32 v6, 0xffff, v7
	v_lshlrev_b32_e32 v5, 2, v4
	ds_bpermute_b32 v10, v5, v6
	ds_bpermute_b32 v4, v5, v2
	;; [unrolled: 1-line block ×3, first 2 shown]
	s_min_u32 s8, s11, 0x100
	v_and_b32_e32 v9, 0xc0, v0
	v_sub_u32_e64 v9, s8, v9 clamp
	v_add_u32_e32 v11, 1, v8
	v_cmp_lt_u32_e32 vcc, v11, v9
	s_and_saveexec_b64 s[4:5], vcc
	s_cbranch_execz .LBB2238_27
; %bb.26:
	s_waitcnt lgkmcnt(0)
	v_and_b32_e32 v11, 1, v10
	v_cmp_lt_i64_e32 vcc, v[4:5], v[2:3]
	v_cmp_eq_u32_e64 s[0:1], 1, v11
	v_and_b32_e32 v6, 1, v7
	s_and_b64 vcc, s[0:1], vcc
	v_cndmask_b32_e64 v7, v7, 1, s[0:1]
	v_cndmask_b32_e32 v2, v2, v4, vcc
	v_cndmask_b32_e32 v3, v3, v5, vcc
	v_cmp_eq_u32_e32 vcc, 1, v6
	v_cndmask_b32_e32 v7, v10, v7, vcc
	v_cndmask_b32_e32 v3, v5, v3, vcc
	;; [unrolled: 1-line block ×3, first 2 shown]
	v_and_b32_e32 v6, 0xff, v7
.LBB2238_27:
	s_or_b64 exec, exec, s[4:5]
	v_cmp_gt_u32_e32 vcc, 62, v8
	s_waitcnt lgkmcnt(0)
	v_cndmask_b32_e64 v4, 0, 1, vcc
	v_lshlrev_b32_e32 v4, 1, v4
	v_add_lshl_u32 v5, v4, v1, 2
	ds_bpermute_b32 v10, v5, v6
	ds_bpermute_b32 v4, v5, v2
	ds_bpermute_b32 v5, v5, v3
	v_add_u32_e32 v11, 2, v8
	v_cmp_lt_u32_e32 vcc, v11, v9
	s_and_saveexec_b64 s[4:5], vcc
	s_cbranch_execz .LBB2238_29
; %bb.28:
	s_waitcnt lgkmcnt(2)
	v_and_b32_e32 v11, 1, v10
	s_waitcnt lgkmcnt(0)
	v_cmp_lt_i64_e32 vcc, v[4:5], v[2:3]
	v_cmp_eq_u32_e64 s[0:1], 1, v11
	v_and_b32_e32 v6, 1, v7
	s_and_b64 vcc, s[0:1], vcc
	v_cndmask_b32_e64 v7, v7, 1, s[0:1]
	v_cndmask_b32_e32 v2, v2, v4, vcc
	v_cndmask_b32_e32 v3, v3, v5, vcc
	v_cmp_eq_u32_e32 vcc, 1, v6
	v_cndmask_b32_e32 v7, v10, v7, vcc
	v_cndmask_b32_e32 v3, v5, v3, vcc
	v_cndmask_b32_e32 v2, v4, v2, vcc
	v_and_b32_e32 v6, 0xff, v7
.LBB2238_29:
	s_or_b64 exec, exec, s[4:5]
	v_cmp_gt_u32_e32 vcc, 60, v8
	s_waitcnt lgkmcnt(1)
	v_cndmask_b32_e64 v4, 0, 1, vcc
	v_lshlrev_b32_e32 v4, 2, v4
	s_waitcnt lgkmcnt(0)
	v_add_lshl_u32 v5, v4, v1, 2
	ds_bpermute_b32 v10, v5, v6
	ds_bpermute_b32 v4, v5, v2
	ds_bpermute_b32 v5, v5, v3
	v_add_u32_e32 v11, 4, v8
	v_cmp_lt_u32_e32 vcc, v11, v9
	s_and_saveexec_b64 s[4:5], vcc
	s_cbranch_execz .LBB2238_31
; %bb.30:
	s_waitcnt lgkmcnt(2)
	v_and_b32_e32 v11, 1, v10
	s_waitcnt lgkmcnt(0)
	v_cmp_lt_i64_e32 vcc, v[4:5], v[2:3]
	v_cmp_eq_u32_e64 s[0:1], 1, v11
	v_and_b32_e32 v6, 1, v7
	s_and_b64 vcc, s[0:1], vcc
	v_cndmask_b32_e64 v7, v7, 1, s[0:1]
	v_cndmask_b32_e32 v2, v2, v4, vcc
	v_cndmask_b32_e32 v3, v3, v5, vcc
	v_cmp_eq_u32_e32 vcc, 1, v6
	v_cndmask_b32_e32 v7, v10, v7, vcc
	v_cndmask_b32_e32 v3, v5, v3, vcc
	v_cndmask_b32_e32 v2, v4, v2, vcc
	v_and_b32_e32 v6, 0xff, v7
.LBB2238_31:
	s_or_b64 exec, exec, s[4:5]
	v_cmp_gt_u32_e32 vcc, 56, v8
	s_waitcnt lgkmcnt(1)
	v_cndmask_b32_e64 v4, 0, 1, vcc
	v_lshlrev_b32_e32 v4, 3, v4
	s_waitcnt lgkmcnt(0)
	;; [unrolled: 31-line block ×4, first 2 shown]
	v_add_lshl_u32 v5, v4, v1, 2
	ds_bpermute_b32 v10, v5, v6
	ds_bpermute_b32 v4, v5, v2
	;; [unrolled: 1-line block ×3, first 2 shown]
	v_add_u32_e32 v8, 32, v8
	v_cmp_lt_u32_e32 vcc, v8, v9
	s_and_saveexec_b64 s[4:5], vcc
	s_cbranch_execz .LBB2238_37
; %bb.36:
	s_waitcnt lgkmcnt(2)
	v_and_b32_e32 v8, 1, v10
	s_waitcnt lgkmcnt(0)
	v_cmp_lt_i64_e32 vcc, v[4:5], v[2:3]
	v_cmp_eq_u32_e64 s[0:1], 1, v8
	v_and_b32_e32 v6, 1, v7
	s_and_b64 vcc, s[0:1], vcc
	v_cndmask_b32_e64 v7, v7, 1, s[0:1]
	v_cndmask_b32_e32 v2, v2, v4, vcc
	v_cndmask_b32_e32 v3, v3, v5, vcc
	v_cmp_eq_u32_e32 vcc, 1, v6
	v_cndmask_b32_e32 v7, v10, v7, vcc
	v_cndmask_b32_e32 v3, v5, v3, vcc
	;; [unrolled: 1-line block ×3, first 2 shown]
	v_and_b32_e32 v6, 0xff, v7
.LBB2238_37:
	s_or_b64 exec, exec, s[4:5]
	v_cmp_eq_u32_e32 vcc, 0, v1
	s_and_saveexec_b64 s[0:1], vcc
	s_cbranch_execz .LBB2238_39
; %bb.38:
	s_waitcnt lgkmcnt(1)
	v_lshrrev_b32_e32 v4, 2, v0
	v_and_b32_e32 v4, 48, v4
	ds_write_b8 v4, v7 offset:64
	ds_write_b64 v4, v[2:3] offset:72
.LBB2238_39:
	s_or_b64 exec, exec, s[0:1]
	v_cmp_gt_u32_e32 vcc, 4, v0
	s_waitcnt lgkmcnt(0)
	s_barrier
	s_and_saveexec_b64 s[4:5], vcc
	s_cbranch_execz .LBB2238_45
; %bb.40:
	v_lshlrev_b32_e32 v2, 4, v1
	ds_read_u8 v7, v2 offset:64
	ds_read_b64 v[2:3], v2 offset:72
	v_and_b32_e32 v8, 3, v1
	v_cmp_ne_u32_e32 vcc, 3, v8
	v_addc_co_u32_e32 v4, vcc, 0, v1, vcc
	s_waitcnt lgkmcnt(1)
	v_and_b32_e32 v6, 0xff, v7
	v_lshlrev_b32_e32 v5, 2, v4
	ds_bpermute_b32 v9, v5, v6
	s_waitcnt lgkmcnt(1)
	ds_bpermute_b32 v4, v5, v2
	ds_bpermute_b32 v5, v5, v3
	s_add_i32 s8, s8, 63
	s_lshr_b32 s11, s8, 6
	v_add_u32_e32 v10, 1, v8
	v_cmp_gt_u32_e32 vcc, s11, v10
	s_and_saveexec_b64 s[8:9], vcc
	s_cbranch_execz .LBB2238_42
; %bb.41:
	s_waitcnt lgkmcnt(2)
	v_and_b32_e32 v10, 1, v9
	s_waitcnt lgkmcnt(0)
	v_cmp_lt_i64_e32 vcc, v[4:5], v[2:3]
	v_cmp_eq_u32_e64 s[0:1], 1, v10
	v_and_b32_e32 v6, 1, v7
	s_and_b64 vcc, s[0:1], vcc
	v_cndmask_b32_e64 v7, v7, 1, s[0:1]
	v_cndmask_b32_e32 v2, v2, v4, vcc
	v_cndmask_b32_e32 v3, v3, v5, vcc
	v_cmp_eq_u32_e32 vcc, 1, v6
	v_cndmask_b32_e32 v7, v9, v7, vcc
	v_cndmask_b32_e32 v3, v5, v3, vcc
	;; [unrolled: 1-line block ×3, first 2 shown]
	v_and_b32_e32 v6, 0xff, v7
.LBB2238_42:
	s_or_b64 exec, exec, s[8:9]
	v_cmp_gt_u32_e32 vcc, 2, v8
	s_waitcnt lgkmcnt(1)
	v_cndmask_b32_e64 v4, 0, 1, vcc
	v_lshlrev_b32_e32 v4, 1, v4
	s_waitcnt lgkmcnt(0)
	v_add_lshl_u32 v5, v4, v1, 2
	ds_bpermute_b32 v1, v5, v6
	ds_bpermute_b32 v4, v5, v2
	;; [unrolled: 1-line block ×3, first 2 shown]
	v_add_u32_e32 v8, 2, v8
	v_cmp_gt_u32_e32 vcc, s11, v8
	s_and_saveexec_b64 s[8:9], vcc
	s_cbranch_execz .LBB2238_44
; %bb.43:
	s_waitcnt lgkmcnt(2)
	v_and_b32_e32 v8, 1, v1
	s_waitcnt lgkmcnt(0)
	v_cmp_lt_i64_e32 vcc, v[4:5], v[2:3]
	v_cmp_eq_u32_e64 s[0:1], 1, v8
	v_and_b32_e32 v6, 1, v7
	s_and_b64 vcc, s[0:1], vcc
	v_cndmask_b32_e64 v7, v7, 1, s[0:1]
	v_cndmask_b32_e32 v2, v2, v4, vcc
	v_cndmask_b32_e32 v3, v3, v5, vcc
	v_cmp_eq_u32_e32 vcc, 1, v6
	v_cndmask_b32_e32 v1, v1, v7, vcc
	v_cndmask_b32_e32 v3, v5, v3, vcc
	;; [unrolled: 1-line block ×3, first 2 shown]
	v_and_b32_e32 v6, 0xff, v1
.LBB2238_44:
	s_or_b64 exec, exec, s[8:9]
.LBB2238_45:
	s_or_b64 exec, exec, s[4:5]
.LBB2238_46:
	v_cmp_eq_u32_e32 vcc, 0, v0
	s_and_saveexec_b64 s[0:1], vcc
	s_cbranch_execnz .LBB2238_48
; %bb.47:
	s_endpgm
.LBB2238_48:
	s_mul_i32 s0, s18, s17
	s_mul_hi_u32 s1, s18, s16
	s_add_i32 s0, s1, s0
	s_mul_i32 s1, s19, s16
	s_add_i32 s1, s0, s1
	s_mul_i32 s0, s18, s16
	s_lshl_b64 s[0:1], s[0:1], 4
	s_add_u32 s4, s14, s0
	s_addc_u32 s5, s15, s1
	s_cmp_eq_u64 s[12:13], 0
	s_waitcnt lgkmcnt(0)
	v_mov_b32_e32 v0, s3
	s_cselect_b64 vcc, -1, 0
	v_cndmask_b32_e32 v1, v3, v0, vcc
	v_mov_b32_e32 v0, s2
	s_lshl_b64 s[0:1], s[6:7], 4
	v_cndmask_b32_e32 v0, v2, v0, vcc
	v_mov_b32_e32 v2, s10
	s_add_u32 s0, s4, s0
	v_cndmask_b32_e32 v2, v6, v2, vcc
	s_addc_u32 s1, s5, s1
	v_mov_b32_e32 v3, 0
	global_store_byte v3, v2, s[0:1]
	global_store_dwordx2 v3, v[0:1], s[0:1] offset:8
	s_endpgm
	.section	.rodata,"a",@progbits
	.p2align	6, 0x0
	.amdhsa_kernel _ZN7rocprim17ROCPRIM_400000_NS6detail17trampoline_kernelINS0_14default_configENS1_22reduce_config_selectorIN6thrust23THRUST_200600_302600_NS5tupleIblNS6_9null_typeES8_S8_S8_S8_S8_S8_S8_EEEEZNS1_11reduce_implILb1ES3_NS6_12zip_iteratorINS7_INS6_11hip_rocprim26transform_input_iterator_tIbPN3c104HalfENS6_6detail10functional5actorINSJ_9compositeIJNSJ_27transparent_binary_operatorINS6_8equal_toIvEEEENSK_INSJ_8argumentILj0EEEEENSJ_5valueISG_EEEEEEEEENSD_19counting_iterator_tIlEES8_S8_S8_S8_S8_S8_S8_S8_EEEEPS9_S9_NSD_9__find_if7functorIS9_EEEE10hipError_tPvRmT1_T2_T3_mT4_P12ihipStream_tbEUlT_E0_NS1_11comp_targetILNS1_3genE4ELNS1_11target_archE910ELNS1_3gpuE8ELNS1_3repE0EEENS1_30default_config_static_selectorELNS0_4arch9wavefront6targetE1EEEvS19_
		.amdhsa_group_segment_fixed_size 128
		.amdhsa_private_segment_fixed_size 0
		.amdhsa_kernarg_size 88
		.amdhsa_user_sgpr_count 6
		.amdhsa_user_sgpr_private_segment_buffer 1
		.amdhsa_user_sgpr_dispatch_ptr 0
		.amdhsa_user_sgpr_queue_ptr 0
		.amdhsa_user_sgpr_kernarg_segment_ptr 1
		.amdhsa_user_sgpr_dispatch_id 0
		.amdhsa_user_sgpr_flat_scratch_init 0
		.amdhsa_user_sgpr_kernarg_preload_length 0
		.amdhsa_user_sgpr_kernarg_preload_offset 0
		.amdhsa_user_sgpr_private_segment_size 0
		.amdhsa_uses_dynamic_stack 0
		.amdhsa_system_sgpr_private_segment_wavefront_offset 0
		.amdhsa_system_sgpr_workgroup_id_x 1
		.amdhsa_system_sgpr_workgroup_id_y 0
		.amdhsa_system_sgpr_workgroup_id_z 0
		.amdhsa_system_sgpr_workgroup_info 0
		.amdhsa_system_vgpr_workitem_id 0
		.amdhsa_next_free_vgpr 12
		.amdhsa_next_free_sgpr 25
		.amdhsa_accum_offset 12
		.amdhsa_reserve_vcc 1
		.amdhsa_reserve_flat_scratch 0
		.amdhsa_float_round_mode_32 0
		.amdhsa_float_round_mode_16_64 0
		.amdhsa_float_denorm_mode_32 3
		.amdhsa_float_denorm_mode_16_64 3
		.amdhsa_dx10_clamp 1
		.amdhsa_ieee_mode 1
		.amdhsa_fp16_overflow 0
		.amdhsa_tg_split 0
		.amdhsa_exception_fp_ieee_invalid_op 0
		.amdhsa_exception_fp_denorm_src 0
		.amdhsa_exception_fp_ieee_div_zero 0
		.amdhsa_exception_fp_ieee_overflow 0
		.amdhsa_exception_fp_ieee_underflow 0
		.amdhsa_exception_fp_ieee_inexact 0
		.amdhsa_exception_int_div_zero 0
	.end_amdhsa_kernel
	.section	.text._ZN7rocprim17ROCPRIM_400000_NS6detail17trampoline_kernelINS0_14default_configENS1_22reduce_config_selectorIN6thrust23THRUST_200600_302600_NS5tupleIblNS6_9null_typeES8_S8_S8_S8_S8_S8_S8_EEEEZNS1_11reduce_implILb1ES3_NS6_12zip_iteratorINS7_INS6_11hip_rocprim26transform_input_iterator_tIbPN3c104HalfENS6_6detail10functional5actorINSJ_9compositeIJNSJ_27transparent_binary_operatorINS6_8equal_toIvEEEENSK_INSJ_8argumentILj0EEEEENSJ_5valueISG_EEEEEEEEENSD_19counting_iterator_tIlEES8_S8_S8_S8_S8_S8_S8_S8_EEEEPS9_S9_NSD_9__find_if7functorIS9_EEEE10hipError_tPvRmT1_T2_T3_mT4_P12ihipStream_tbEUlT_E0_NS1_11comp_targetILNS1_3genE4ELNS1_11target_archE910ELNS1_3gpuE8ELNS1_3repE0EEENS1_30default_config_static_selectorELNS0_4arch9wavefront6targetE1EEEvS19_,"axG",@progbits,_ZN7rocprim17ROCPRIM_400000_NS6detail17trampoline_kernelINS0_14default_configENS1_22reduce_config_selectorIN6thrust23THRUST_200600_302600_NS5tupleIblNS6_9null_typeES8_S8_S8_S8_S8_S8_S8_EEEEZNS1_11reduce_implILb1ES3_NS6_12zip_iteratorINS7_INS6_11hip_rocprim26transform_input_iterator_tIbPN3c104HalfENS6_6detail10functional5actorINSJ_9compositeIJNSJ_27transparent_binary_operatorINS6_8equal_toIvEEEENSK_INSJ_8argumentILj0EEEEENSJ_5valueISG_EEEEEEEEENSD_19counting_iterator_tIlEES8_S8_S8_S8_S8_S8_S8_S8_EEEEPS9_S9_NSD_9__find_if7functorIS9_EEEE10hipError_tPvRmT1_T2_T3_mT4_P12ihipStream_tbEUlT_E0_NS1_11comp_targetILNS1_3genE4ELNS1_11target_archE910ELNS1_3gpuE8ELNS1_3repE0EEENS1_30default_config_static_selectorELNS0_4arch9wavefront6targetE1EEEvS19_,comdat
.Lfunc_end2238:
	.size	_ZN7rocprim17ROCPRIM_400000_NS6detail17trampoline_kernelINS0_14default_configENS1_22reduce_config_selectorIN6thrust23THRUST_200600_302600_NS5tupleIblNS6_9null_typeES8_S8_S8_S8_S8_S8_S8_EEEEZNS1_11reduce_implILb1ES3_NS6_12zip_iteratorINS7_INS6_11hip_rocprim26transform_input_iterator_tIbPN3c104HalfENS6_6detail10functional5actorINSJ_9compositeIJNSJ_27transparent_binary_operatorINS6_8equal_toIvEEEENSK_INSJ_8argumentILj0EEEEENSJ_5valueISG_EEEEEEEEENSD_19counting_iterator_tIlEES8_S8_S8_S8_S8_S8_S8_S8_EEEEPS9_S9_NSD_9__find_if7functorIS9_EEEE10hipError_tPvRmT1_T2_T3_mT4_P12ihipStream_tbEUlT_E0_NS1_11comp_targetILNS1_3genE4ELNS1_11target_archE910ELNS1_3gpuE8ELNS1_3repE0EEENS1_30default_config_static_selectorELNS0_4arch9wavefront6targetE1EEEvS19_, .Lfunc_end2238-_ZN7rocprim17ROCPRIM_400000_NS6detail17trampoline_kernelINS0_14default_configENS1_22reduce_config_selectorIN6thrust23THRUST_200600_302600_NS5tupleIblNS6_9null_typeES8_S8_S8_S8_S8_S8_S8_EEEEZNS1_11reduce_implILb1ES3_NS6_12zip_iteratorINS7_INS6_11hip_rocprim26transform_input_iterator_tIbPN3c104HalfENS6_6detail10functional5actorINSJ_9compositeIJNSJ_27transparent_binary_operatorINS6_8equal_toIvEEEENSK_INSJ_8argumentILj0EEEEENSJ_5valueISG_EEEEEEEEENSD_19counting_iterator_tIlEES8_S8_S8_S8_S8_S8_S8_S8_EEEEPS9_S9_NSD_9__find_if7functorIS9_EEEE10hipError_tPvRmT1_T2_T3_mT4_P12ihipStream_tbEUlT_E0_NS1_11comp_targetILNS1_3genE4ELNS1_11target_archE910ELNS1_3gpuE8ELNS1_3repE0EEENS1_30default_config_static_selectorELNS0_4arch9wavefront6targetE1EEEvS19_
                                        ; -- End function
	.section	.AMDGPU.csdata,"",@progbits
; Kernel info:
; codeLenInByte = 2808
; NumSgprs: 29
; NumVgprs: 12
; NumAgprs: 0
; TotalNumVgprs: 12
; ScratchSize: 0
; MemoryBound: 0
; FloatMode: 240
; IeeeMode: 1
; LDSByteSize: 128 bytes/workgroup (compile time only)
; SGPRBlocks: 3
; VGPRBlocks: 1
; NumSGPRsForWavesPerEU: 29
; NumVGPRsForWavesPerEU: 12
; AccumOffset: 12
; Occupancy: 8
; WaveLimiterHint : 1
; COMPUTE_PGM_RSRC2:SCRATCH_EN: 0
; COMPUTE_PGM_RSRC2:USER_SGPR: 6
; COMPUTE_PGM_RSRC2:TRAP_HANDLER: 0
; COMPUTE_PGM_RSRC2:TGID_X_EN: 1
; COMPUTE_PGM_RSRC2:TGID_Y_EN: 0
; COMPUTE_PGM_RSRC2:TGID_Z_EN: 0
; COMPUTE_PGM_RSRC2:TIDIG_COMP_CNT: 0
; COMPUTE_PGM_RSRC3_GFX90A:ACCUM_OFFSET: 2
; COMPUTE_PGM_RSRC3_GFX90A:TG_SPLIT: 0
	.section	.text._ZN7rocprim17ROCPRIM_400000_NS6detail17trampoline_kernelINS0_14default_configENS1_22reduce_config_selectorIN6thrust23THRUST_200600_302600_NS5tupleIblNS6_9null_typeES8_S8_S8_S8_S8_S8_S8_EEEEZNS1_11reduce_implILb1ES3_NS6_12zip_iteratorINS7_INS6_11hip_rocprim26transform_input_iterator_tIbPN3c104HalfENS6_6detail10functional5actorINSJ_9compositeIJNSJ_27transparent_binary_operatorINS6_8equal_toIvEEEENSK_INSJ_8argumentILj0EEEEENSJ_5valueISG_EEEEEEEEENSD_19counting_iterator_tIlEES8_S8_S8_S8_S8_S8_S8_S8_EEEEPS9_S9_NSD_9__find_if7functorIS9_EEEE10hipError_tPvRmT1_T2_T3_mT4_P12ihipStream_tbEUlT_E0_NS1_11comp_targetILNS1_3genE3ELNS1_11target_archE908ELNS1_3gpuE7ELNS1_3repE0EEENS1_30default_config_static_selectorELNS0_4arch9wavefront6targetE1EEEvS19_,"axG",@progbits,_ZN7rocprim17ROCPRIM_400000_NS6detail17trampoline_kernelINS0_14default_configENS1_22reduce_config_selectorIN6thrust23THRUST_200600_302600_NS5tupleIblNS6_9null_typeES8_S8_S8_S8_S8_S8_S8_EEEEZNS1_11reduce_implILb1ES3_NS6_12zip_iteratorINS7_INS6_11hip_rocprim26transform_input_iterator_tIbPN3c104HalfENS6_6detail10functional5actorINSJ_9compositeIJNSJ_27transparent_binary_operatorINS6_8equal_toIvEEEENSK_INSJ_8argumentILj0EEEEENSJ_5valueISG_EEEEEEEEENSD_19counting_iterator_tIlEES8_S8_S8_S8_S8_S8_S8_S8_EEEEPS9_S9_NSD_9__find_if7functorIS9_EEEE10hipError_tPvRmT1_T2_T3_mT4_P12ihipStream_tbEUlT_E0_NS1_11comp_targetILNS1_3genE3ELNS1_11target_archE908ELNS1_3gpuE7ELNS1_3repE0EEENS1_30default_config_static_selectorELNS0_4arch9wavefront6targetE1EEEvS19_,comdat
	.protected	_ZN7rocprim17ROCPRIM_400000_NS6detail17trampoline_kernelINS0_14default_configENS1_22reduce_config_selectorIN6thrust23THRUST_200600_302600_NS5tupleIblNS6_9null_typeES8_S8_S8_S8_S8_S8_S8_EEEEZNS1_11reduce_implILb1ES3_NS6_12zip_iteratorINS7_INS6_11hip_rocprim26transform_input_iterator_tIbPN3c104HalfENS6_6detail10functional5actorINSJ_9compositeIJNSJ_27transparent_binary_operatorINS6_8equal_toIvEEEENSK_INSJ_8argumentILj0EEEEENSJ_5valueISG_EEEEEEEEENSD_19counting_iterator_tIlEES8_S8_S8_S8_S8_S8_S8_S8_EEEEPS9_S9_NSD_9__find_if7functorIS9_EEEE10hipError_tPvRmT1_T2_T3_mT4_P12ihipStream_tbEUlT_E0_NS1_11comp_targetILNS1_3genE3ELNS1_11target_archE908ELNS1_3gpuE7ELNS1_3repE0EEENS1_30default_config_static_selectorELNS0_4arch9wavefront6targetE1EEEvS19_ ; -- Begin function _ZN7rocprim17ROCPRIM_400000_NS6detail17trampoline_kernelINS0_14default_configENS1_22reduce_config_selectorIN6thrust23THRUST_200600_302600_NS5tupleIblNS6_9null_typeES8_S8_S8_S8_S8_S8_S8_EEEEZNS1_11reduce_implILb1ES3_NS6_12zip_iteratorINS7_INS6_11hip_rocprim26transform_input_iterator_tIbPN3c104HalfENS6_6detail10functional5actorINSJ_9compositeIJNSJ_27transparent_binary_operatorINS6_8equal_toIvEEEENSK_INSJ_8argumentILj0EEEEENSJ_5valueISG_EEEEEEEEENSD_19counting_iterator_tIlEES8_S8_S8_S8_S8_S8_S8_S8_EEEEPS9_S9_NSD_9__find_if7functorIS9_EEEE10hipError_tPvRmT1_T2_T3_mT4_P12ihipStream_tbEUlT_E0_NS1_11comp_targetILNS1_3genE3ELNS1_11target_archE908ELNS1_3gpuE7ELNS1_3repE0EEENS1_30default_config_static_selectorELNS0_4arch9wavefront6targetE1EEEvS19_
	.globl	_ZN7rocprim17ROCPRIM_400000_NS6detail17trampoline_kernelINS0_14default_configENS1_22reduce_config_selectorIN6thrust23THRUST_200600_302600_NS5tupleIblNS6_9null_typeES8_S8_S8_S8_S8_S8_S8_EEEEZNS1_11reduce_implILb1ES3_NS6_12zip_iteratorINS7_INS6_11hip_rocprim26transform_input_iterator_tIbPN3c104HalfENS6_6detail10functional5actorINSJ_9compositeIJNSJ_27transparent_binary_operatorINS6_8equal_toIvEEEENSK_INSJ_8argumentILj0EEEEENSJ_5valueISG_EEEEEEEEENSD_19counting_iterator_tIlEES8_S8_S8_S8_S8_S8_S8_S8_EEEEPS9_S9_NSD_9__find_if7functorIS9_EEEE10hipError_tPvRmT1_T2_T3_mT4_P12ihipStream_tbEUlT_E0_NS1_11comp_targetILNS1_3genE3ELNS1_11target_archE908ELNS1_3gpuE7ELNS1_3repE0EEENS1_30default_config_static_selectorELNS0_4arch9wavefront6targetE1EEEvS19_
	.p2align	8
	.type	_ZN7rocprim17ROCPRIM_400000_NS6detail17trampoline_kernelINS0_14default_configENS1_22reduce_config_selectorIN6thrust23THRUST_200600_302600_NS5tupleIblNS6_9null_typeES8_S8_S8_S8_S8_S8_S8_EEEEZNS1_11reduce_implILb1ES3_NS6_12zip_iteratorINS7_INS6_11hip_rocprim26transform_input_iterator_tIbPN3c104HalfENS6_6detail10functional5actorINSJ_9compositeIJNSJ_27transparent_binary_operatorINS6_8equal_toIvEEEENSK_INSJ_8argumentILj0EEEEENSJ_5valueISG_EEEEEEEEENSD_19counting_iterator_tIlEES8_S8_S8_S8_S8_S8_S8_S8_EEEEPS9_S9_NSD_9__find_if7functorIS9_EEEE10hipError_tPvRmT1_T2_T3_mT4_P12ihipStream_tbEUlT_E0_NS1_11comp_targetILNS1_3genE3ELNS1_11target_archE908ELNS1_3gpuE7ELNS1_3repE0EEENS1_30default_config_static_selectorELNS0_4arch9wavefront6targetE1EEEvS19_,@function
_ZN7rocprim17ROCPRIM_400000_NS6detail17trampoline_kernelINS0_14default_configENS1_22reduce_config_selectorIN6thrust23THRUST_200600_302600_NS5tupleIblNS6_9null_typeES8_S8_S8_S8_S8_S8_S8_EEEEZNS1_11reduce_implILb1ES3_NS6_12zip_iteratorINS7_INS6_11hip_rocprim26transform_input_iterator_tIbPN3c104HalfENS6_6detail10functional5actorINSJ_9compositeIJNSJ_27transparent_binary_operatorINS6_8equal_toIvEEEENSK_INSJ_8argumentILj0EEEEENSJ_5valueISG_EEEEEEEEENSD_19counting_iterator_tIlEES8_S8_S8_S8_S8_S8_S8_S8_EEEEPS9_S9_NSD_9__find_if7functorIS9_EEEE10hipError_tPvRmT1_T2_T3_mT4_P12ihipStream_tbEUlT_E0_NS1_11comp_targetILNS1_3genE3ELNS1_11target_archE908ELNS1_3gpuE7ELNS1_3repE0EEENS1_30default_config_static_selectorELNS0_4arch9wavefront6targetE1EEEvS19_: ; @_ZN7rocprim17ROCPRIM_400000_NS6detail17trampoline_kernelINS0_14default_configENS1_22reduce_config_selectorIN6thrust23THRUST_200600_302600_NS5tupleIblNS6_9null_typeES8_S8_S8_S8_S8_S8_S8_EEEEZNS1_11reduce_implILb1ES3_NS6_12zip_iteratorINS7_INS6_11hip_rocprim26transform_input_iterator_tIbPN3c104HalfENS6_6detail10functional5actorINSJ_9compositeIJNSJ_27transparent_binary_operatorINS6_8equal_toIvEEEENSK_INSJ_8argumentILj0EEEEENSJ_5valueISG_EEEEEEEEENSD_19counting_iterator_tIlEES8_S8_S8_S8_S8_S8_S8_S8_EEEEPS9_S9_NSD_9__find_if7functorIS9_EEEE10hipError_tPvRmT1_T2_T3_mT4_P12ihipStream_tbEUlT_E0_NS1_11comp_targetILNS1_3genE3ELNS1_11target_archE908ELNS1_3gpuE7ELNS1_3repE0EEENS1_30default_config_static_selectorELNS0_4arch9wavefront6targetE1EEEvS19_
; %bb.0:
	.section	.rodata,"a",@progbits
	.p2align	6, 0x0
	.amdhsa_kernel _ZN7rocprim17ROCPRIM_400000_NS6detail17trampoline_kernelINS0_14default_configENS1_22reduce_config_selectorIN6thrust23THRUST_200600_302600_NS5tupleIblNS6_9null_typeES8_S8_S8_S8_S8_S8_S8_EEEEZNS1_11reduce_implILb1ES3_NS6_12zip_iteratorINS7_INS6_11hip_rocprim26transform_input_iterator_tIbPN3c104HalfENS6_6detail10functional5actorINSJ_9compositeIJNSJ_27transparent_binary_operatorINS6_8equal_toIvEEEENSK_INSJ_8argumentILj0EEEEENSJ_5valueISG_EEEEEEEEENSD_19counting_iterator_tIlEES8_S8_S8_S8_S8_S8_S8_S8_EEEEPS9_S9_NSD_9__find_if7functorIS9_EEEE10hipError_tPvRmT1_T2_T3_mT4_P12ihipStream_tbEUlT_E0_NS1_11comp_targetILNS1_3genE3ELNS1_11target_archE908ELNS1_3gpuE7ELNS1_3repE0EEENS1_30default_config_static_selectorELNS0_4arch9wavefront6targetE1EEEvS19_
		.amdhsa_group_segment_fixed_size 0
		.amdhsa_private_segment_fixed_size 0
		.amdhsa_kernarg_size 88
		.amdhsa_user_sgpr_count 6
		.amdhsa_user_sgpr_private_segment_buffer 1
		.amdhsa_user_sgpr_dispatch_ptr 0
		.amdhsa_user_sgpr_queue_ptr 0
		.amdhsa_user_sgpr_kernarg_segment_ptr 1
		.amdhsa_user_sgpr_dispatch_id 0
		.amdhsa_user_sgpr_flat_scratch_init 0
		.amdhsa_user_sgpr_kernarg_preload_length 0
		.amdhsa_user_sgpr_kernarg_preload_offset 0
		.amdhsa_user_sgpr_private_segment_size 0
		.amdhsa_uses_dynamic_stack 0
		.amdhsa_system_sgpr_private_segment_wavefront_offset 0
		.amdhsa_system_sgpr_workgroup_id_x 1
		.amdhsa_system_sgpr_workgroup_id_y 0
		.amdhsa_system_sgpr_workgroup_id_z 0
		.amdhsa_system_sgpr_workgroup_info 0
		.amdhsa_system_vgpr_workitem_id 0
		.amdhsa_next_free_vgpr 1
		.amdhsa_next_free_sgpr 0
		.amdhsa_accum_offset 4
		.amdhsa_reserve_vcc 0
		.amdhsa_reserve_flat_scratch 0
		.amdhsa_float_round_mode_32 0
		.amdhsa_float_round_mode_16_64 0
		.amdhsa_float_denorm_mode_32 3
		.amdhsa_float_denorm_mode_16_64 3
		.amdhsa_dx10_clamp 1
		.amdhsa_ieee_mode 1
		.amdhsa_fp16_overflow 0
		.amdhsa_tg_split 0
		.amdhsa_exception_fp_ieee_invalid_op 0
		.amdhsa_exception_fp_denorm_src 0
		.amdhsa_exception_fp_ieee_div_zero 0
		.amdhsa_exception_fp_ieee_overflow 0
		.amdhsa_exception_fp_ieee_underflow 0
		.amdhsa_exception_fp_ieee_inexact 0
		.amdhsa_exception_int_div_zero 0
	.end_amdhsa_kernel
	.section	.text._ZN7rocprim17ROCPRIM_400000_NS6detail17trampoline_kernelINS0_14default_configENS1_22reduce_config_selectorIN6thrust23THRUST_200600_302600_NS5tupleIblNS6_9null_typeES8_S8_S8_S8_S8_S8_S8_EEEEZNS1_11reduce_implILb1ES3_NS6_12zip_iteratorINS7_INS6_11hip_rocprim26transform_input_iterator_tIbPN3c104HalfENS6_6detail10functional5actorINSJ_9compositeIJNSJ_27transparent_binary_operatorINS6_8equal_toIvEEEENSK_INSJ_8argumentILj0EEEEENSJ_5valueISG_EEEEEEEEENSD_19counting_iterator_tIlEES8_S8_S8_S8_S8_S8_S8_S8_EEEEPS9_S9_NSD_9__find_if7functorIS9_EEEE10hipError_tPvRmT1_T2_T3_mT4_P12ihipStream_tbEUlT_E0_NS1_11comp_targetILNS1_3genE3ELNS1_11target_archE908ELNS1_3gpuE7ELNS1_3repE0EEENS1_30default_config_static_selectorELNS0_4arch9wavefront6targetE1EEEvS19_,"axG",@progbits,_ZN7rocprim17ROCPRIM_400000_NS6detail17trampoline_kernelINS0_14default_configENS1_22reduce_config_selectorIN6thrust23THRUST_200600_302600_NS5tupleIblNS6_9null_typeES8_S8_S8_S8_S8_S8_S8_EEEEZNS1_11reduce_implILb1ES3_NS6_12zip_iteratorINS7_INS6_11hip_rocprim26transform_input_iterator_tIbPN3c104HalfENS6_6detail10functional5actorINSJ_9compositeIJNSJ_27transparent_binary_operatorINS6_8equal_toIvEEEENSK_INSJ_8argumentILj0EEEEENSJ_5valueISG_EEEEEEEEENSD_19counting_iterator_tIlEES8_S8_S8_S8_S8_S8_S8_S8_EEEEPS9_S9_NSD_9__find_if7functorIS9_EEEE10hipError_tPvRmT1_T2_T3_mT4_P12ihipStream_tbEUlT_E0_NS1_11comp_targetILNS1_3genE3ELNS1_11target_archE908ELNS1_3gpuE7ELNS1_3repE0EEENS1_30default_config_static_selectorELNS0_4arch9wavefront6targetE1EEEvS19_,comdat
.Lfunc_end2239:
	.size	_ZN7rocprim17ROCPRIM_400000_NS6detail17trampoline_kernelINS0_14default_configENS1_22reduce_config_selectorIN6thrust23THRUST_200600_302600_NS5tupleIblNS6_9null_typeES8_S8_S8_S8_S8_S8_S8_EEEEZNS1_11reduce_implILb1ES3_NS6_12zip_iteratorINS7_INS6_11hip_rocprim26transform_input_iterator_tIbPN3c104HalfENS6_6detail10functional5actorINSJ_9compositeIJNSJ_27transparent_binary_operatorINS6_8equal_toIvEEEENSK_INSJ_8argumentILj0EEEEENSJ_5valueISG_EEEEEEEEENSD_19counting_iterator_tIlEES8_S8_S8_S8_S8_S8_S8_S8_EEEEPS9_S9_NSD_9__find_if7functorIS9_EEEE10hipError_tPvRmT1_T2_T3_mT4_P12ihipStream_tbEUlT_E0_NS1_11comp_targetILNS1_3genE3ELNS1_11target_archE908ELNS1_3gpuE7ELNS1_3repE0EEENS1_30default_config_static_selectorELNS0_4arch9wavefront6targetE1EEEvS19_, .Lfunc_end2239-_ZN7rocprim17ROCPRIM_400000_NS6detail17trampoline_kernelINS0_14default_configENS1_22reduce_config_selectorIN6thrust23THRUST_200600_302600_NS5tupleIblNS6_9null_typeES8_S8_S8_S8_S8_S8_S8_EEEEZNS1_11reduce_implILb1ES3_NS6_12zip_iteratorINS7_INS6_11hip_rocprim26transform_input_iterator_tIbPN3c104HalfENS6_6detail10functional5actorINSJ_9compositeIJNSJ_27transparent_binary_operatorINS6_8equal_toIvEEEENSK_INSJ_8argumentILj0EEEEENSJ_5valueISG_EEEEEEEEENSD_19counting_iterator_tIlEES8_S8_S8_S8_S8_S8_S8_S8_EEEEPS9_S9_NSD_9__find_if7functorIS9_EEEE10hipError_tPvRmT1_T2_T3_mT4_P12ihipStream_tbEUlT_E0_NS1_11comp_targetILNS1_3genE3ELNS1_11target_archE908ELNS1_3gpuE7ELNS1_3repE0EEENS1_30default_config_static_selectorELNS0_4arch9wavefront6targetE1EEEvS19_
                                        ; -- End function
	.section	.AMDGPU.csdata,"",@progbits
; Kernel info:
; codeLenInByte = 0
; NumSgprs: 4
; NumVgprs: 0
; NumAgprs: 0
; TotalNumVgprs: 0
; ScratchSize: 0
; MemoryBound: 0
; FloatMode: 240
; IeeeMode: 1
; LDSByteSize: 0 bytes/workgroup (compile time only)
; SGPRBlocks: 0
; VGPRBlocks: 0
; NumSGPRsForWavesPerEU: 4
; NumVGPRsForWavesPerEU: 1
; AccumOffset: 4
; Occupancy: 8
; WaveLimiterHint : 0
; COMPUTE_PGM_RSRC2:SCRATCH_EN: 0
; COMPUTE_PGM_RSRC2:USER_SGPR: 6
; COMPUTE_PGM_RSRC2:TRAP_HANDLER: 0
; COMPUTE_PGM_RSRC2:TGID_X_EN: 1
; COMPUTE_PGM_RSRC2:TGID_Y_EN: 0
; COMPUTE_PGM_RSRC2:TGID_Z_EN: 0
; COMPUTE_PGM_RSRC2:TIDIG_COMP_CNT: 0
; COMPUTE_PGM_RSRC3_GFX90A:ACCUM_OFFSET: 0
; COMPUTE_PGM_RSRC3_GFX90A:TG_SPLIT: 0
	.section	.text._ZN7rocprim17ROCPRIM_400000_NS6detail17trampoline_kernelINS0_14default_configENS1_22reduce_config_selectorIN6thrust23THRUST_200600_302600_NS5tupleIblNS6_9null_typeES8_S8_S8_S8_S8_S8_S8_EEEEZNS1_11reduce_implILb1ES3_NS6_12zip_iteratorINS7_INS6_11hip_rocprim26transform_input_iterator_tIbPN3c104HalfENS6_6detail10functional5actorINSJ_9compositeIJNSJ_27transparent_binary_operatorINS6_8equal_toIvEEEENSK_INSJ_8argumentILj0EEEEENSJ_5valueISG_EEEEEEEEENSD_19counting_iterator_tIlEES8_S8_S8_S8_S8_S8_S8_S8_EEEEPS9_S9_NSD_9__find_if7functorIS9_EEEE10hipError_tPvRmT1_T2_T3_mT4_P12ihipStream_tbEUlT_E0_NS1_11comp_targetILNS1_3genE2ELNS1_11target_archE906ELNS1_3gpuE6ELNS1_3repE0EEENS1_30default_config_static_selectorELNS0_4arch9wavefront6targetE1EEEvS19_,"axG",@progbits,_ZN7rocprim17ROCPRIM_400000_NS6detail17trampoline_kernelINS0_14default_configENS1_22reduce_config_selectorIN6thrust23THRUST_200600_302600_NS5tupleIblNS6_9null_typeES8_S8_S8_S8_S8_S8_S8_EEEEZNS1_11reduce_implILb1ES3_NS6_12zip_iteratorINS7_INS6_11hip_rocprim26transform_input_iterator_tIbPN3c104HalfENS6_6detail10functional5actorINSJ_9compositeIJNSJ_27transparent_binary_operatorINS6_8equal_toIvEEEENSK_INSJ_8argumentILj0EEEEENSJ_5valueISG_EEEEEEEEENSD_19counting_iterator_tIlEES8_S8_S8_S8_S8_S8_S8_S8_EEEEPS9_S9_NSD_9__find_if7functorIS9_EEEE10hipError_tPvRmT1_T2_T3_mT4_P12ihipStream_tbEUlT_E0_NS1_11comp_targetILNS1_3genE2ELNS1_11target_archE906ELNS1_3gpuE6ELNS1_3repE0EEENS1_30default_config_static_selectorELNS0_4arch9wavefront6targetE1EEEvS19_,comdat
	.protected	_ZN7rocprim17ROCPRIM_400000_NS6detail17trampoline_kernelINS0_14default_configENS1_22reduce_config_selectorIN6thrust23THRUST_200600_302600_NS5tupleIblNS6_9null_typeES8_S8_S8_S8_S8_S8_S8_EEEEZNS1_11reduce_implILb1ES3_NS6_12zip_iteratorINS7_INS6_11hip_rocprim26transform_input_iterator_tIbPN3c104HalfENS6_6detail10functional5actorINSJ_9compositeIJNSJ_27transparent_binary_operatorINS6_8equal_toIvEEEENSK_INSJ_8argumentILj0EEEEENSJ_5valueISG_EEEEEEEEENSD_19counting_iterator_tIlEES8_S8_S8_S8_S8_S8_S8_S8_EEEEPS9_S9_NSD_9__find_if7functorIS9_EEEE10hipError_tPvRmT1_T2_T3_mT4_P12ihipStream_tbEUlT_E0_NS1_11comp_targetILNS1_3genE2ELNS1_11target_archE906ELNS1_3gpuE6ELNS1_3repE0EEENS1_30default_config_static_selectorELNS0_4arch9wavefront6targetE1EEEvS19_ ; -- Begin function _ZN7rocprim17ROCPRIM_400000_NS6detail17trampoline_kernelINS0_14default_configENS1_22reduce_config_selectorIN6thrust23THRUST_200600_302600_NS5tupleIblNS6_9null_typeES8_S8_S8_S8_S8_S8_S8_EEEEZNS1_11reduce_implILb1ES3_NS6_12zip_iteratorINS7_INS6_11hip_rocprim26transform_input_iterator_tIbPN3c104HalfENS6_6detail10functional5actorINSJ_9compositeIJNSJ_27transparent_binary_operatorINS6_8equal_toIvEEEENSK_INSJ_8argumentILj0EEEEENSJ_5valueISG_EEEEEEEEENSD_19counting_iterator_tIlEES8_S8_S8_S8_S8_S8_S8_S8_EEEEPS9_S9_NSD_9__find_if7functorIS9_EEEE10hipError_tPvRmT1_T2_T3_mT4_P12ihipStream_tbEUlT_E0_NS1_11comp_targetILNS1_3genE2ELNS1_11target_archE906ELNS1_3gpuE6ELNS1_3repE0EEENS1_30default_config_static_selectorELNS0_4arch9wavefront6targetE1EEEvS19_
	.globl	_ZN7rocprim17ROCPRIM_400000_NS6detail17trampoline_kernelINS0_14default_configENS1_22reduce_config_selectorIN6thrust23THRUST_200600_302600_NS5tupleIblNS6_9null_typeES8_S8_S8_S8_S8_S8_S8_EEEEZNS1_11reduce_implILb1ES3_NS6_12zip_iteratorINS7_INS6_11hip_rocprim26transform_input_iterator_tIbPN3c104HalfENS6_6detail10functional5actorINSJ_9compositeIJNSJ_27transparent_binary_operatorINS6_8equal_toIvEEEENSK_INSJ_8argumentILj0EEEEENSJ_5valueISG_EEEEEEEEENSD_19counting_iterator_tIlEES8_S8_S8_S8_S8_S8_S8_S8_EEEEPS9_S9_NSD_9__find_if7functorIS9_EEEE10hipError_tPvRmT1_T2_T3_mT4_P12ihipStream_tbEUlT_E0_NS1_11comp_targetILNS1_3genE2ELNS1_11target_archE906ELNS1_3gpuE6ELNS1_3repE0EEENS1_30default_config_static_selectorELNS0_4arch9wavefront6targetE1EEEvS19_
	.p2align	8
	.type	_ZN7rocprim17ROCPRIM_400000_NS6detail17trampoline_kernelINS0_14default_configENS1_22reduce_config_selectorIN6thrust23THRUST_200600_302600_NS5tupleIblNS6_9null_typeES8_S8_S8_S8_S8_S8_S8_EEEEZNS1_11reduce_implILb1ES3_NS6_12zip_iteratorINS7_INS6_11hip_rocprim26transform_input_iterator_tIbPN3c104HalfENS6_6detail10functional5actorINSJ_9compositeIJNSJ_27transparent_binary_operatorINS6_8equal_toIvEEEENSK_INSJ_8argumentILj0EEEEENSJ_5valueISG_EEEEEEEEENSD_19counting_iterator_tIlEES8_S8_S8_S8_S8_S8_S8_S8_EEEEPS9_S9_NSD_9__find_if7functorIS9_EEEE10hipError_tPvRmT1_T2_T3_mT4_P12ihipStream_tbEUlT_E0_NS1_11comp_targetILNS1_3genE2ELNS1_11target_archE906ELNS1_3gpuE6ELNS1_3repE0EEENS1_30default_config_static_selectorELNS0_4arch9wavefront6targetE1EEEvS19_,@function
_ZN7rocprim17ROCPRIM_400000_NS6detail17trampoline_kernelINS0_14default_configENS1_22reduce_config_selectorIN6thrust23THRUST_200600_302600_NS5tupleIblNS6_9null_typeES8_S8_S8_S8_S8_S8_S8_EEEEZNS1_11reduce_implILb1ES3_NS6_12zip_iteratorINS7_INS6_11hip_rocprim26transform_input_iterator_tIbPN3c104HalfENS6_6detail10functional5actorINSJ_9compositeIJNSJ_27transparent_binary_operatorINS6_8equal_toIvEEEENSK_INSJ_8argumentILj0EEEEENSJ_5valueISG_EEEEEEEEENSD_19counting_iterator_tIlEES8_S8_S8_S8_S8_S8_S8_S8_EEEEPS9_S9_NSD_9__find_if7functorIS9_EEEE10hipError_tPvRmT1_T2_T3_mT4_P12ihipStream_tbEUlT_E0_NS1_11comp_targetILNS1_3genE2ELNS1_11target_archE906ELNS1_3gpuE6ELNS1_3repE0EEENS1_30default_config_static_selectorELNS0_4arch9wavefront6targetE1EEEvS19_: ; @_ZN7rocprim17ROCPRIM_400000_NS6detail17trampoline_kernelINS0_14default_configENS1_22reduce_config_selectorIN6thrust23THRUST_200600_302600_NS5tupleIblNS6_9null_typeES8_S8_S8_S8_S8_S8_S8_EEEEZNS1_11reduce_implILb1ES3_NS6_12zip_iteratorINS7_INS6_11hip_rocprim26transform_input_iterator_tIbPN3c104HalfENS6_6detail10functional5actorINSJ_9compositeIJNSJ_27transparent_binary_operatorINS6_8equal_toIvEEEENSK_INSJ_8argumentILj0EEEEENSJ_5valueISG_EEEEEEEEENSD_19counting_iterator_tIlEES8_S8_S8_S8_S8_S8_S8_S8_EEEEPS9_S9_NSD_9__find_if7functorIS9_EEEE10hipError_tPvRmT1_T2_T3_mT4_P12ihipStream_tbEUlT_E0_NS1_11comp_targetILNS1_3genE2ELNS1_11target_archE906ELNS1_3gpuE6ELNS1_3repE0EEENS1_30default_config_static_selectorELNS0_4arch9wavefront6targetE1EEEvS19_
; %bb.0:
	.section	.rodata,"a",@progbits
	.p2align	6, 0x0
	.amdhsa_kernel _ZN7rocprim17ROCPRIM_400000_NS6detail17trampoline_kernelINS0_14default_configENS1_22reduce_config_selectorIN6thrust23THRUST_200600_302600_NS5tupleIblNS6_9null_typeES8_S8_S8_S8_S8_S8_S8_EEEEZNS1_11reduce_implILb1ES3_NS6_12zip_iteratorINS7_INS6_11hip_rocprim26transform_input_iterator_tIbPN3c104HalfENS6_6detail10functional5actorINSJ_9compositeIJNSJ_27transparent_binary_operatorINS6_8equal_toIvEEEENSK_INSJ_8argumentILj0EEEEENSJ_5valueISG_EEEEEEEEENSD_19counting_iterator_tIlEES8_S8_S8_S8_S8_S8_S8_S8_EEEEPS9_S9_NSD_9__find_if7functorIS9_EEEE10hipError_tPvRmT1_T2_T3_mT4_P12ihipStream_tbEUlT_E0_NS1_11comp_targetILNS1_3genE2ELNS1_11target_archE906ELNS1_3gpuE6ELNS1_3repE0EEENS1_30default_config_static_selectorELNS0_4arch9wavefront6targetE1EEEvS19_
		.amdhsa_group_segment_fixed_size 0
		.amdhsa_private_segment_fixed_size 0
		.amdhsa_kernarg_size 88
		.amdhsa_user_sgpr_count 6
		.amdhsa_user_sgpr_private_segment_buffer 1
		.amdhsa_user_sgpr_dispatch_ptr 0
		.amdhsa_user_sgpr_queue_ptr 0
		.amdhsa_user_sgpr_kernarg_segment_ptr 1
		.amdhsa_user_sgpr_dispatch_id 0
		.amdhsa_user_sgpr_flat_scratch_init 0
		.amdhsa_user_sgpr_kernarg_preload_length 0
		.amdhsa_user_sgpr_kernarg_preload_offset 0
		.amdhsa_user_sgpr_private_segment_size 0
		.amdhsa_uses_dynamic_stack 0
		.amdhsa_system_sgpr_private_segment_wavefront_offset 0
		.amdhsa_system_sgpr_workgroup_id_x 1
		.amdhsa_system_sgpr_workgroup_id_y 0
		.amdhsa_system_sgpr_workgroup_id_z 0
		.amdhsa_system_sgpr_workgroup_info 0
		.amdhsa_system_vgpr_workitem_id 0
		.amdhsa_next_free_vgpr 1
		.amdhsa_next_free_sgpr 0
		.amdhsa_accum_offset 4
		.amdhsa_reserve_vcc 0
		.amdhsa_reserve_flat_scratch 0
		.amdhsa_float_round_mode_32 0
		.amdhsa_float_round_mode_16_64 0
		.amdhsa_float_denorm_mode_32 3
		.amdhsa_float_denorm_mode_16_64 3
		.amdhsa_dx10_clamp 1
		.amdhsa_ieee_mode 1
		.amdhsa_fp16_overflow 0
		.amdhsa_tg_split 0
		.amdhsa_exception_fp_ieee_invalid_op 0
		.amdhsa_exception_fp_denorm_src 0
		.amdhsa_exception_fp_ieee_div_zero 0
		.amdhsa_exception_fp_ieee_overflow 0
		.amdhsa_exception_fp_ieee_underflow 0
		.amdhsa_exception_fp_ieee_inexact 0
		.amdhsa_exception_int_div_zero 0
	.end_amdhsa_kernel
	.section	.text._ZN7rocprim17ROCPRIM_400000_NS6detail17trampoline_kernelINS0_14default_configENS1_22reduce_config_selectorIN6thrust23THRUST_200600_302600_NS5tupleIblNS6_9null_typeES8_S8_S8_S8_S8_S8_S8_EEEEZNS1_11reduce_implILb1ES3_NS6_12zip_iteratorINS7_INS6_11hip_rocprim26transform_input_iterator_tIbPN3c104HalfENS6_6detail10functional5actorINSJ_9compositeIJNSJ_27transparent_binary_operatorINS6_8equal_toIvEEEENSK_INSJ_8argumentILj0EEEEENSJ_5valueISG_EEEEEEEEENSD_19counting_iterator_tIlEES8_S8_S8_S8_S8_S8_S8_S8_EEEEPS9_S9_NSD_9__find_if7functorIS9_EEEE10hipError_tPvRmT1_T2_T3_mT4_P12ihipStream_tbEUlT_E0_NS1_11comp_targetILNS1_3genE2ELNS1_11target_archE906ELNS1_3gpuE6ELNS1_3repE0EEENS1_30default_config_static_selectorELNS0_4arch9wavefront6targetE1EEEvS19_,"axG",@progbits,_ZN7rocprim17ROCPRIM_400000_NS6detail17trampoline_kernelINS0_14default_configENS1_22reduce_config_selectorIN6thrust23THRUST_200600_302600_NS5tupleIblNS6_9null_typeES8_S8_S8_S8_S8_S8_S8_EEEEZNS1_11reduce_implILb1ES3_NS6_12zip_iteratorINS7_INS6_11hip_rocprim26transform_input_iterator_tIbPN3c104HalfENS6_6detail10functional5actorINSJ_9compositeIJNSJ_27transparent_binary_operatorINS6_8equal_toIvEEEENSK_INSJ_8argumentILj0EEEEENSJ_5valueISG_EEEEEEEEENSD_19counting_iterator_tIlEES8_S8_S8_S8_S8_S8_S8_S8_EEEEPS9_S9_NSD_9__find_if7functorIS9_EEEE10hipError_tPvRmT1_T2_T3_mT4_P12ihipStream_tbEUlT_E0_NS1_11comp_targetILNS1_3genE2ELNS1_11target_archE906ELNS1_3gpuE6ELNS1_3repE0EEENS1_30default_config_static_selectorELNS0_4arch9wavefront6targetE1EEEvS19_,comdat
.Lfunc_end2240:
	.size	_ZN7rocprim17ROCPRIM_400000_NS6detail17trampoline_kernelINS0_14default_configENS1_22reduce_config_selectorIN6thrust23THRUST_200600_302600_NS5tupleIblNS6_9null_typeES8_S8_S8_S8_S8_S8_S8_EEEEZNS1_11reduce_implILb1ES3_NS6_12zip_iteratorINS7_INS6_11hip_rocprim26transform_input_iterator_tIbPN3c104HalfENS6_6detail10functional5actorINSJ_9compositeIJNSJ_27transparent_binary_operatorINS6_8equal_toIvEEEENSK_INSJ_8argumentILj0EEEEENSJ_5valueISG_EEEEEEEEENSD_19counting_iterator_tIlEES8_S8_S8_S8_S8_S8_S8_S8_EEEEPS9_S9_NSD_9__find_if7functorIS9_EEEE10hipError_tPvRmT1_T2_T3_mT4_P12ihipStream_tbEUlT_E0_NS1_11comp_targetILNS1_3genE2ELNS1_11target_archE906ELNS1_3gpuE6ELNS1_3repE0EEENS1_30default_config_static_selectorELNS0_4arch9wavefront6targetE1EEEvS19_, .Lfunc_end2240-_ZN7rocprim17ROCPRIM_400000_NS6detail17trampoline_kernelINS0_14default_configENS1_22reduce_config_selectorIN6thrust23THRUST_200600_302600_NS5tupleIblNS6_9null_typeES8_S8_S8_S8_S8_S8_S8_EEEEZNS1_11reduce_implILb1ES3_NS6_12zip_iteratorINS7_INS6_11hip_rocprim26transform_input_iterator_tIbPN3c104HalfENS6_6detail10functional5actorINSJ_9compositeIJNSJ_27transparent_binary_operatorINS6_8equal_toIvEEEENSK_INSJ_8argumentILj0EEEEENSJ_5valueISG_EEEEEEEEENSD_19counting_iterator_tIlEES8_S8_S8_S8_S8_S8_S8_S8_EEEEPS9_S9_NSD_9__find_if7functorIS9_EEEE10hipError_tPvRmT1_T2_T3_mT4_P12ihipStream_tbEUlT_E0_NS1_11comp_targetILNS1_3genE2ELNS1_11target_archE906ELNS1_3gpuE6ELNS1_3repE0EEENS1_30default_config_static_selectorELNS0_4arch9wavefront6targetE1EEEvS19_
                                        ; -- End function
	.section	.AMDGPU.csdata,"",@progbits
; Kernel info:
; codeLenInByte = 0
; NumSgprs: 4
; NumVgprs: 0
; NumAgprs: 0
; TotalNumVgprs: 0
; ScratchSize: 0
; MemoryBound: 0
; FloatMode: 240
; IeeeMode: 1
; LDSByteSize: 0 bytes/workgroup (compile time only)
; SGPRBlocks: 0
; VGPRBlocks: 0
; NumSGPRsForWavesPerEU: 4
; NumVGPRsForWavesPerEU: 1
; AccumOffset: 4
; Occupancy: 8
; WaveLimiterHint : 0
; COMPUTE_PGM_RSRC2:SCRATCH_EN: 0
; COMPUTE_PGM_RSRC2:USER_SGPR: 6
; COMPUTE_PGM_RSRC2:TRAP_HANDLER: 0
; COMPUTE_PGM_RSRC2:TGID_X_EN: 1
; COMPUTE_PGM_RSRC2:TGID_Y_EN: 0
; COMPUTE_PGM_RSRC2:TGID_Z_EN: 0
; COMPUTE_PGM_RSRC2:TIDIG_COMP_CNT: 0
; COMPUTE_PGM_RSRC3_GFX90A:ACCUM_OFFSET: 0
; COMPUTE_PGM_RSRC3_GFX90A:TG_SPLIT: 0
	.section	.text._ZN7rocprim17ROCPRIM_400000_NS6detail17trampoline_kernelINS0_14default_configENS1_22reduce_config_selectorIN6thrust23THRUST_200600_302600_NS5tupleIblNS6_9null_typeES8_S8_S8_S8_S8_S8_S8_EEEEZNS1_11reduce_implILb1ES3_NS6_12zip_iteratorINS7_INS6_11hip_rocprim26transform_input_iterator_tIbPN3c104HalfENS6_6detail10functional5actorINSJ_9compositeIJNSJ_27transparent_binary_operatorINS6_8equal_toIvEEEENSK_INSJ_8argumentILj0EEEEENSJ_5valueISG_EEEEEEEEENSD_19counting_iterator_tIlEES8_S8_S8_S8_S8_S8_S8_S8_EEEEPS9_S9_NSD_9__find_if7functorIS9_EEEE10hipError_tPvRmT1_T2_T3_mT4_P12ihipStream_tbEUlT_E0_NS1_11comp_targetILNS1_3genE10ELNS1_11target_archE1201ELNS1_3gpuE5ELNS1_3repE0EEENS1_30default_config_static_selectorELNS0_4arch9wavefront6targetE1EEEvS19_,"axG",@progbits,_ZN7rocprim17ROCPRIM_400000_NS6detail17trampoline_kernelINS0_14default_configENS1_22reduce_config_selectorIN6thrust23THRUST_200600_302600_NS5tupleIblNS6_9null_typeES8_S8_S8_S8_S8_S8_S8_EEEEZNS1_11reduce_implILb1ES3_NS6_12zip_iteratorINS7_INS6_11hip_rocprim26transform_input_iterator_tIbPN3c104HalfENS6_6detail10functional5actorINSJ_9compositeIJNSJ_27transparent_binary_operatorINS6_8equal_toIvEEEENSK_INSJ_8argumentILj0EEEEENSJ_5valueISG_EEEEEEEEENSD_19counting_iterator_tIlEES8_S8_S8_S8_S8_S8_S8_S8_EEEEPS9_S9_NSD_9__find_if7functorIS9_EEEE10hipError_tPvRmT1_T2_T3_mT4_P12ihipStream_tbEUlT_E0_NS1_11comp_targetILNS1_3genE10ELNS1_11target_archE1201ELNS1_3gpuE5ELNS1_3repE0EEENS1_30default_config_static_selectorELNS0_4arch9wavefront6targetE1EEEvS19_,comdat
	.protected	_ZN7rocprim17ROCPRIM_400000_NS6detail17trampoline_kernelINS0_14default_configENS1_22reduce_config_selectorIN6thrust23THRUST_200600_302600_NS5tupleIblNS6_9null_typeES8_S8_S8_S8_S8_S8_S8_EEEEZNS1_11reduce_implILb1ES3_NS6_12zip_iteratorINS7_INS6_11hip_rocprim26transform_input_iterator_tIbPN3c104HalfENS6_6detail10functional5actorINSJ_9compositeIJNSJ_27transparent_binary_operatorINS6_8equal_toIvEEEENSK_INSJ_8argumentILj0EEEEENSJ_5valueISG_EEEEEEEEENSD_19counting_iterator_tIlEES8_S8_S8_S8_S8_S8_S8_S8_EEEEPS9_S9_NSD_9__find_if7functorIS9_EEEE10hipError_tPvRmT1_T2_T3_mT4_P12ihipStream_tbEUlT_E0_NS1_11comp_targetILNS1_3genE10ELNS1_11target_archE1201ELNS1_3gpuE5ELNS1_3repE0EEENS1_30default_config_static_selectorELNS0_4arch9wavefront6targetE1EEEvS19_ ; -- Begin function _ZN7rocprim17ROCPRIM_400000_NS6detail17trampoline_kernelINS0_14default_configENS1_22reduce_config_selectorIN6thrust23THRUST_200600_302600_NS5tupleIblNS6_9null_typeES8_S8_S8_S8_S8_S8_S8_EEEEZNS1_11reduce_implILb1ES3_NS6_12zip_iteratorINS7_INS6_11hip_rocprim26transform_input_iterator_tIbPN3c104HalfENS6_6detail10functional5actorINSJ_9compositeIJNSJ_27transparent_binary_operatorINS6_8equal_toIvEEEENSK_INSJ_8argumentILj0EEEEENSJ_5valueISG_EEEEEEEEENSD_19counting_iterator_tIlEES8_S8_S8_S8_S8_S8_S8_S8_EEEEPS9_S9_NSD_9__find_if7functorIS9_EEEE10hipError_tPvRmT1_T2_T3_mT4_P12ihipStream_tbEUlT_E0_NS1_11comp_targetILNS1_3genE10ELNS1_11target_archE1201ELNS1_3gpuE5ELNS1_3repE0EEENS1_30default_config_static_selectorELNS0_4arch9wavefront6targetE1EEEvS19_
	.globl	_ZN7rocprim17ROCPRIM_400000_NS6detail17trampoline_kernelINS0_14default_configENS1_22reduce_config_selectorIN6thrust23THRUST_200600_302600_NS5tupleIblNS6_9null_typeES8_S8_S8_S8_S8_S8_S8_EEEEZNS1_11reduce_implILb1ES3_NS6_12zip_iteratorINS7_INS6_11hip_rocprim26transform_input_iterator_tIbPN3c104HalfENS6_6detail10functional5actorINSJ_9compositeIJNSJ_27transparent_binary_operatorINS6_8equal_toIvEEEENSK_INSJ_8argumentILj0EEEEENSJ_5valueISG_EEEEEEEEENSD_19counting_iterator_tIlEES8_S8_S8_S8_S8_S8_S8_S8_EEEEPS9_S9_NSD_9__find_if7functorIS9_EEEE10hipError_tPvRmT1_T2_T3_mT4_P12ihipStream_tbEUlT_E0_NS1_11comp_targetILNS1_3genE10ELNS1_11target_archE1201ELNS1_3gpuE5ELNS1_3repE0EEENS1_30default_config_static_selectorELNS0_4arch9wavefront6targetE1EEEvS19_
	.p2align	8
	.type	_ZN7rocprim17ROCPRIM_400000_NS6detail17trampoline_kernelINS0_14default_configENS1_22reduce_config_selectorIN6thrust23THRUST_200600_302600_NS5tupleIblNS6_9null_typeES8_S8_S8_S8_S8_S8_S8_EEEEZNS1_11reduce_implILb1ES3_NS6_12zip_iteratorINS7_INS6_11hip_rocprim26transform_input_iterator_tIbPN3c104HalfENS6_6detail10functional5actorINSJ_9compositeIJNSJ_27transparent_binary_operatorINS6_8equal_toIvEEEENSK_INSJ_8argumentILj0EEEEENSJ_5valueISG_EEEEEEEEENSD_19counting_iterator_tIlEES8_S8_S8_S8_S8_S8_S8_S8_EEEEPS9_S9_NSD_9__find_if7functorIS9_EEEE10hipError_tPvRmT1_T2_T3_mT4_P12ihipStream_tbEUlT_E0_NS1_11comp_targetILNS1_3genE10ELNS1_11target_archE1201ELNS1_3gpuE5ELNS1_3repE0EEENS1_30default_config_static_selectorELNS0_4arch9wavefront6targetE1EEEvS19_,@function
_ZN7rocprim17ROCPRIM_400000_NS6detail17trampoline_kernelINS0_14default_configENS1_22reduce_config_selectorIN6thrust23THRUST_200600_302600_NS5tupleIblNS6_9null_typeES8_S8_S8_S8_S8_S8_S8_EEEEZNS1_11reduce_implILb1ES3_NS6_12zip_iteratorINS7_INS6_11hip_rocprim26transform_input_iterator_tIbPN3c104HalfENS6_6detail10functional5actorINSJ_9compositeIJNSJ_27transparent_binary_operatorINS6_8equal_toIvEEEENSK_INSJ_8argumentILj0EEEEENSJ_5valueISG_EEEEEEEEENSD_19counting_iterator_tIlEES8_S8_S8_S8_S8_S8_S8_S8_EEEEPS9_S9_NSD_9__find_if7functorIS9_EEEE10hipError_tPvRmT1_T2_T3_mT4_P12ihipStream_tbEUlT_E0_NS1_11comp_targetILNS1_3genE10ELNS1_11target_archE1201ELNS1_3gpuE5ELNS1_3repE0EEENS1_30default_config_static_selectorELNS0_4arch9wavefront6targetE1EEEvS19_: ; @_ZN7rocprim17ROCPRIM_400000_NS6detail17trampoline_kernelINS0_14default_configENS1_22reduce_config_selectorIN6thrust23THRUST_200600_302600_NS5tupleIblNS6_9null_typeES8_S8_S8_S8_S8_S8_S8_EEEEZNS1_11reduce_implILb1ES3_NS6_12zip_iteratorINS7_INS6_11hip_rocprim26transform_input_iterator_tIbPN3c104HalfENS6_6detail10functional5actorINSJ_9compositeIJNSJ_27transparent_binary_operatorINS6_8equal_toIvEEEENSK_INSJ_8argumentILj0EEEEENSJ_5valueISG_EEEEEEEEENSD_19counting_iterator_tIlEES8_S8_S8_S8_S8_S8_S8_S8_EEEEPS9_S9_NSD_9__find_if7functorIS9_EEEE10hipError_tPvRmT1_T2_T3_mT4_P12ihipStream_tbEUlT_E0_NS1_11comp_targetILNS1_3genE10ELNS1_11target_archE1201ELNS1_3gpuE5ELNS1_3repE0EEENS1_30default_config_static_selectorELNS0_4arch9wavefront6targetE1EEEvS19_
; %bb.0:
	.section	.rodata,"a",@progbits
	.p2align	6, 0x0
	.amdhsa_kernel _ZN7rocprim17ROCPRIM_400000_NS6detail17trampoline_kernelINS0_14default_configENS1_22reduce_config_selectorIN6thrust23THRUST_200600_302600_NS5tupleIblNS6_9null_typeES8_S8_S8_S8_S8_S8_S8_EEEEZNS1_11reduce_implILb1ES3_NS6_12zip_iteratorINS7_INS6_11hip_rocprim26transform_input_iterator_tIbPN3c104HalfENS6_6detail10functional5actorINSJ_9compositeIJNSJ_27transparent_binary_operatorINS6_8equal_toIvEEEENSK_INSJ_8argumentILj0EEEEENSJ_5valueISG_EEEEEEEEENSD_19counting_iterator_tIlEES8_S8_S8_S8_S8_S8_S8_S8_EEEEPS9_S9_NSD_9__find_if7functorIS9_EEEE10hipError_tPvRmT1_T2_T3_mT4_P12ihipStream_tbEUlT_E0_NS1_11comp_targetILNS1_3genE10ELNS1_11target_archE1201ELNS1_3gpuE5ELNS1_3repE0EEENS1_30default_config_static_selectorELNS0_4arch9wavefront6targetE1EEEvS19_
		.amdhsa_group_segment_fixed_size 0
		.amdhsa_private_segment_fixed_size 0
		.amdhsa_kernarg_size 88
		.amdhsa_user_sgpr_count 6
		.amdhsa_user_sgpr_private_segment_buffer 1
		.amdhsa_user_sgpr_dispatch_ptr 0
		.amdhsa_user_sgpr_queue_ptr 0
		.amdhsa_user_sgpr_kernarg_segment_ptr 1
		.amdhsa_user_sgpr_dispatch_id 0
		.amdhsa_user_sgpr_flat_scratch_init 0
		.amdhsa_user_sgpr_kernarg_preload_length 0
		.amdhsa_user_sgpr_kernarg_preload_offset 0
		.amdhsa_user_sgpr_private_segment_size 0
		.amdhsa_uses_dynamic_stack 0
		.amdhsa_system_sgpr_private_segment_wavefront_offset 0
		.amdhsa_system_sgpr_workgroup_id_x 1
		.amdhsa_system_sgpr_workgroup_id_y 0
		.amdhsa_system_sgpr_workgroup_id_z 0
		.amdhsa_system_sgpr_workgroup_info 0
		.amdhsa_system_vgpr_workitem_id 0
		.amdhsa_next_free_vgpr 1
		.amdhsa_next_free_sgpr 0
		.amdhsa_accum_offset 4
		.amdhsa_reserve_vcc 0
		.amdhsa_reserve_flat_scratch 0
		.amdhsa_float_round_mode_32 0
		.amdhsa_float_round_mode_16_64 0
		.amdhsa_float_denorm_mode_32 3
		.amdhsa_float_denorm_mode_16_64 3
		.amdhsa_dx10_clamp 1
		.amdhsa_ieee_mode 1
		.amdhsa_fp16_overflow 0
		.amdhsa_tg_split 0
		.amdhsa_exception_fp_ieee_invalid_op 0
		.amdhsa_exception_fp_denorm_src 0
		.amdhsa_exception_fp_ieee_div_zero 0
		.amdhsa_exception_fp_ieee_overflow 0
		.amdhsa_exception_fp_ieee_underflow 0
		.amdhsa_exception_fp_ieee_inexact 0
		.amdhsa_exception_int_div_zero 0
	.end_amdhsa_kernel
	.section	.text._ZN7rocprim17ROCPRIM_400000_NS6detail17trampoline_kernelINS0_14default_configENS1_22reduce_config_selectorIN6thrust23THRUST_200600_302600_NS5tupleIblNS6_9null_typeES8_S8_S8_S8_S8_S8_S8_EEEEZNS1_11reduce_implILb1ES3_NS6_12zip_iteratorINS7_INS6_11hip_rocprim26transform_input_iterator_tIbPN3c104HalfENS6_6detail10functional5actorINSJ_9compositeIJNSJ_27transparent_binary_operatorINS6_8equal_toIvEEEENSK_INSJ_8argumentILj0EEEEENSJ_5valueISG_EEEEEEEEENSD_19counting_iterator_tIlEES8_S8_S8_S8_S8_S8_S8_S8_EEEEPS9_S9_NSD_9__find_if7functorIS9_EEEE10hipError_tPvRmT1_T2_T3_mT4_P12ihipStream_tbEUlT_E0_NS1_11comp_targetILNS1_3genE10ELNS1_11target_archE1201ELNS1_3gpuE5ELNS1_3repE0EEENS1_30default_config_static_selectorELNS0_4arch9wavefront6targetE1EEEvS19_,"axG",@progbits,_ZN7rocprim17ROCPRIM_400000_NS6detail17trampoline_kernelINS0_14default_configENS1_22reduce_config_selectorIN6thrust23THRUST_200600_302600_NS5tupleIblNS6_9null_typeES8_S8_S8_S8_S8_S8_S8_EEEEZNS1_11reduce_implILb1ES3_NS6_12zip_iteratorINS7_INS6_11hip_rocprim26transform_input_iterator_tIbPN3c104HalfENS6_6detail10functional5actorINSJ_9compositeIJNSJ_27transparent_binary_operatorINS6_8equal_toIvEEEENSK_INSJ_8argumentILj0EEEEENSJ_5valueISG_EEEEEEEEENSD_19counting_iterator_tIlEES8_S8_S8_S8_S8_S8_S8_S8_EEEEPS9_S9_NSD_9__find_if7functorIS9_EEEE10hipError_tPvRmT1_T2_T3_mT4_P12ihipStream_tbEUlT_E0_NS1_11comp_targetILNS1_3genE10ELNS1_11target_archE1201ELNS1_3gpuE5ELNS1_3repE0EEENS1_30default_config_static_selectorELNS0_4arch9wavefront6targetE1EEEvS19_,comdat
.Lfunc_end2241:
	.size	_ZN7rocprim17ROCPRIM_400000_NS6detail17trampoline_kernelINS0_14default_configENS1_22reduce_config_selectorIN6thrust23THRUST_200600_302600_NS5tupleIblNS6_9null_typeES8_S8_S8_S8_S8_S8_S8_EEEEZNS1_11reduce_implILb1ES3_NS6_12zip_iteratorINS7_INS6_11hip_rocprim26transform_input_iterator_tIbPN3c104HalfENS6_6detail10functional5actorINSJ_9compositeIJNSJ_27transparent_binary_operatorINS6_8equal_toIvEEEENSK_INSJ_8argumentILj0EEEEENSJ_5valueISG_EEEEEEEEENSD_19counting_iterator_tIlEES8_S8_S8_S8_S8_S8_S8_S8_EEEEPS9_S9_NSD_9__find_if7functorIS9_EEEE10hipError_tPvRmT1_T2_T3_mT4_P12ihipStream_tbEUlT_E0_NS1_11comp_targetILNS1_3genE10ELNS1_11target_archE1201ELNS1_3gpuE5ELNS1_3repE0EEENS1_30default_config_static_selectorELNS0_4arch9wavefront6targetE1EEEvS19_, .Lfunc_end2241-_ZN7rocprim17ROCPRIM_400000_NS6detail17trampoline_kernelINS0_14default_configENS1_22reduce_config_selectorIN6thrust23THRUST_200600_302600_NS5tupleIblNS6_9null_typeES8_S8_S8_S8_S8_S8_S8_EEEEZNS1_11reduce_implILb1ES3_NS6_12zip_iteratorINS7_INS6_11hip_rocprim26transform_input_iterator_tIbPN3c104HalfENS6_6detail10functional5actorINSJ_9compositeIJNSJ_27transparent_binary_operatorINS6_8equal_toIvEEEENSK_INSJ_8argumentILj0EEEEENSJ_5valueISG_EEEEEEEEENSD_19counting_iterator_tIlEES8_S8_S8_S8_S8_S8_S8_S8_EEEEPS9_S9_NSD_9__find_if7functorIS9_EEEE10hipError_tPvRmT1_T2_T3_mT4_P12ihipStream_tbEUlT_E0_NS1_11comp_targetILNS1_3genE10ELNS1_11target_archE1201ELNS1_3gpuE5ELNS1_3repE0EEENS1_30default_config_static_selectorELNS0_4arch9wavefront6targetE1EEEvS19_
                                        ; -- End function
	.section	.AMDGPU.csdata,"",@progbits
; Kernel info:
; codeLenInByte = 0
; NumSgprs: 4
; NumVgprs: 0
; NumAgprs: 0
; TotalNumVgprs: 0
; ScratchSize: 0
; MemoryBound: 0
; FloatMode: 240
; IeeeMode: 1
; LDSByteSize: 0 bytes/workgroup (compile time only)
; SGPRBlocks: 0
; VGPRBlocks: 0
; NumSGPRsForWavesPerEU: 4
; NumVGPRsForWavesPerEU: 1
; AccumOffset: 4
; Occupancy: 8
; WaveLimiterHint : 0
; COMPUTE_PGM_RSRC2:SCRATCH_EN: 0
; COMPUTE_PGM_RSRC2:USER_SGPR: 6
; COMPUTE_PGM_RSRC2:TRAP_HANDLER: 0
; COMPUTE_PGM_RSRC2:TGID_X_EN: 1
; COMPUTE_PGM_RSRC2:TGID_Y_EN: 0
; COMPUTE_PGM_RSRC2:TGID_Z_EN: 0
; COMPUTE_PGM_RSRC2:TIDIG_COMP_CNT: 0
; COMPUTE_PGM_RSRC3_GFX90A:ACCUM_OFFSET: 0
; COMPUTE_PGM_RSRC3_GFX90A:TG_SPLIT: 0
	.section	.text._ZN7rocprim17ROCPRIM_400000_NS6detail17trampoline_kernelINS0_14default_configENS1_22reduce_config_selectorIN6thrust23THRUST_200600_302600_NS5tupleIblNS6_9null_typeES8_S8_S8_S8_S8_S8_S8_EEEEZNS1_11reduce_implILb1ES3_NS6_12zip_iteratorINS7_INS6_11hip_rocprim26transform_input_iterator_tIbPN3c104HalfENS6_6detail10functional5actorINSJ_9compositeIJNSJ_27transparent_binary_operatorINS6_8equal_toIvEEEENSK_INSJ_8argumentILj0EEEEENSJ_5valueISG_EEEEEEEEENSD_19counting_iterator_tIlEES8_S8_S8_S8_S8_S8_S8_S8_EEEEPS9_S9_NSD_9__find_if7functorIS9_EEEE10hipError_tPvRmT1_T2_T3_mT4_P12ihipStream_tbEUlT_E0_NS1_11comp_targetILNS1_3genE10ELNS1_11target_archE1200ELNS1_3gpuE4ELNS1_3repE0EEENS1_30default_config_static_selectorELNS0_4arch9wavefront6targetE1EEEvS19_,"axG",@progbits,_ZN7rocprim17ROCPRIM_400000_NS6detail17trampoline_kernelINS0_14default_configENS1_22reduce_config_selectorIN6thrust23THRUST_200600_302600_NS5tupleIblNS6_9null_typeES8_S8_S8_S8_S8_S8_S8_EEEEZNS1_11reduce_implILb1ES3_NS6_12zip_iteratorINS7_INS6_11hip_rocprim26transform_input_iterator_tIbPN3c104HalfENS6_6detail10functional5actorINSJ_9compositeIJNSJ_27transparent_binary_operatorINS6_8equal_toIvEEEENSK_INSJ_8argumentILj0EEEEENSJ_5valueISG_EEEEEEEEENSD_19counting_iterator_tIlEES8_S8_S8_S8_S8_S8_S8_S8_EEEEPS9_S9_NSD_9__find_if7functorIS9_EEEE10hipError_tPvRmT1_T2_T3_mT4_P12ihipStream_tbEUlT_E0_NS1_11comp_targetILNS1_3genE10ELNS1_11target_archE1200ELNS1_3gpuE4ELNS1_3repE0EEENS1_30default_config_static_selectorELNS0_4arch9wavefront6targetE1EEEvS19_,comdat
	.protected	_ZN7rocprim17ROCPRIM_400000_NS6detail17trampoline_kernelINS0_14default_configENS1_22reduce_config_selectorIN6thrust23THRUST_200600_302600_NS5tupleIblNS6_9null_typeES8_S8_S8_S8_S8_S8_S8_EEEEZNS1_11reduce_implILb1ES3_NS6_12zip_iteratorINS7_INS6_11hip_rocprim26transform_input_iterator_tIbPN3c104HalfENS6_6detail10functional5actorINSJ_9compositeIJNSJ_27transparent_binary_operatorINS6_8equal_toIvEEEENSK_INSJ_8argumentILj0EEEEENSJ_5valueISG_EEEEEEEEENSD_19counting_iterator_tIlEES8_S8_S8_S8_S8_S8_S8_S8_EEEEPS9_S9_NSD_9__find_if7functorIS9_EEEE10hipError_tPvRmT1_T2_T3_mT4_P12ihipStream_tbEUlT_E0_NS1_11comp_targetILNS1_3genE10ELNS1_11target_archE1200ELNS1_3gpuE4ELNS1_3repE0EEENS1_30default_config_static_selectorELNS0_4arch9wavefront6targetE1EEEvS19_ ; -- Begin function _ZN7rocprim17ROCPRIM_400000_NS6detail17trampoline_kernelINS0_14default_configENS1_22reduce_config_selectorIN6thrust23THRUST_200600_302600_NS5tupleIblNS6_9null_typeES8_S8_S8_S8_S8_S8_S8_EEEEZNS1_11reduce_implILb1ES3_NS6_12zip_iteratorINS7_INS6_11hip_rocprim26transform_input_iterator_tIbPN3c104HalfENS6_6detail10functional5actorINSJ_9compositeIJNSJ_27transparent_binary_operatorINS6_8equal_toIvEEEENSK_INSJ_8argumentILj0EEEEENSJ_5valueISG_EEEEEEEEENSD_19counting_iterator_tIlEES8_S8_S8_S8_S8_S8_S8_S8_EEEEPS9_S9_NSD_9__find_if7functorIS9_EEEE10hipError_tPvRmT1_T2_T3_mT4_P12ihipStream_tbEUlT_E0_NS1_11comp_targetILNS1_3genE10ELNS1_11target_archE1200ELNS1_3gpuE4ELNS1_3repE0EEENS1_30default_config_static_selectorELNS0_4arch9wavefront6targetE1EEEvS19_
	.globl	_ZN7rocprim17ROCPRIM_400000_NS6detail17trampoline_kernelINS0_14default_configENS1_22reduce_config_selectorIN6thrust23THRUST_200600_302600_NS5tupleIblNS6_9null_typeES8_S8_S8_S8_S8_S8_S8_EEEEZNS1_11reduce_implILb1ES3_NS6_12zip_iteratorINS7_INS6_11hip_rocprim26transform_input_iterator_tIbPN3c104HalfENS6_6detail10functional5actorINSJ_9compositeIJNSJ_27transparent_binary_operatorINS6_8equal_toIvEEEENSK_INSJ_8argumentILj0EEEEENSJ_5valueISG_EEEEEEEEENSD_19counting_iterator_tIlEES8_S8_S8_S8_S8_S8_S8_S8_EEEEPS9_S9_NSD_9__find_if7functorIS9_EEEE10hipError_tPvRmT1_T2_T3_mT4_P12ihipStream_tbEUlT_E0_NS1_11comp_targetILNS1_3genE10ELNS1_11target_archE1200ELNS1_3gpuE4ELNS1_3repE0EEENS1_30default_config_static_selectorELNS0_4arch9wavefront6targetE1EEEvS19_
	.p2align	8
	.type	_ZN7rocprim17ROCPRIM_400000_NS6detail17trampoline_kernelINS0_14default_configENS1_22reduce_config_selectorIN6thrust23THRUST_200600_302600_NS5tupleIblNS6_9null_typeES8_S8_S8_S8_S8_S8_S8_EEEEZNS1_11reduce_implILb1ES3_NS6_12zip_iteratorINS7_INS6_11hip_rocprim26transform_input_iterator_tIbPN3c104HalfENS6_6detail10functional5actorINSJ_9compositeIJNSJ_27transparent_binary_operatorINS6_8equal_toIvEEEENSK_INSJ_8argumentILj0EEEEENSJ_5valueISG_EEEEEEEEENSD_19counting_iterator_tIlEES8_S8_S8_S8_S8_S8_S8_S8_EEEEPS9_S9_NSD_9__find_if7functorIS9_EEEE10hipError_tPvRmT1_T2_T3_mT4_P12ihipStream_tbEUlT_E0_NS1_11comp_targetILNS1_3genE10ELNS1_11target_archE1200ELNS1_3gpuE4ELNS1_3repE0EEENS1_30default_config_static_selectorELNS0_4arch9wavefront6targetE1EEEvS19_,@function
_ZN7rocprim17ROCPRIM_400000_NS6detail17trampoline_kernelINS0_14default_configENS1_22reduce_config_selectorIN6thrust23THRUST_200600_302600_NS5tupleIblNS6_9null_typeES8_S8_S8_S8_S8_S8_S8_EEEEZNS1_11reduce_implILb1ES3_NS6_12zip_iteratorINS7_INS6_11hip_rocprim26transform_input_iterator_tIbPN3c104HalfENS6_6detail10functional5actorINSJ_9compositeIJNSJ_27transparent_binary_operatorINS6_8equal_toIvEEEENSK_INSJ_8argumentILj0EEEEENSJ_5valueISG_EEEEEEEEENSD_19counting_iterator_tIlEES8_S8_S8_S8_S8_S8_S8_S8_EEEEPS9_S9_NSD_9__find_if7functorIS9_EEEE10hipError_tPvRmT1_T2_T3_mT4_P12ihipStream_tbEUlT_E0_NS1_11comp_targetILNS1_3genE10ELNS1_11target_archE1200ELNS1_3gpuE4ELNS1_3repE0EEENS1_30default_config_static_selectorELNS0_4arch9wavefront6targetE1EEEvS19_: ; @_ZN7rocprim17ROCPRIM_400000_NS6detail17trampoline_kernelINS0_14default_configENS1_22reduce_config_selectorIN6thrust23THRUST_200600_302600_NS5tupleIblNS6_9null_typeES8_S8_S8_S8_S8_S8_S8_EEEEZNS1_11reduce_implILb1ES3_NS6_12zip_iteratorINS7_INS6_11hip_rocprim26transform_input_iterator_tIbPN3c104HalfENS6_6detail10functional5actorINSJ_9compositeIJNSJ_27transparent_binary_operatorINS6_8equal_toIvEEEENSK_INSJ_8argumentILj0EEEEENSJ_5valueISG_EEEEEEEEENSD_19counting_iterator_tIlEES8_S8_S8_S8_S8_S8_S8_S8_EEEEPS9_S9_NSD_9__find_if7functorIS9_EEEE10hipError_tPvRmT1_T2_T3_mT4_P12ihipStream_tbEUlT_E0_NS1_11comp_targetILNS1_3genE10ELNS1_11target_archE1200ELNS1_3gpuE4ELNS1_3repE0EEENS1_30default_config_static_selectorELNS0_4arch9wavefront6targetE1EEEvS19_
; %bb.0:
	.section	.rodata,"a",@progbits
	.p2align	6, 0x0
	.amdhsa_kernel _ZN7rocprim17ROCPRIM_400000_NS6detail17trampoline_kernelINS0_14default_configENS1_22reduce_config_selectorIN6thrust23THRUST_200600_302600_NS5tupleIblNS6_9null_typeES8_S8_S8_S8_S8_S8_S8_EEEEZNS1_11reduce_implILb1ES3_NS6_12zip_iteratorINS7_INS6_11hip_rocprim26transform_input_iterator_tIbPN3c104HalfENS6_6detail10functional5actorINSJ_9compositeIJNSJ_27transparent_binary_operatorINS6_8equal_toIvEEEENSK_INSJ_8argumentILj0EEEEENSJ_5valueISG_EEEEEEEEENSD_19counting_iterator_tIlEES8_S8_S8_S8_S8_S8_S8_S8_EEEEPS9_S9_NSD_9__find_if7functorIS9_EEEE10hipError_tPvRmT1_T2_T3_mT4_P12ihipStream_tbEUlT_E0_NS1_11comp_targetILNS1_3genE10ELNS1_11target_archE1200ELNS1_3gpuE4ELNS1_3repE0EEENS1_30default_config_static_selectorELNS0_4arch9wavefront6targetE1EEEvS19_
		.amdhsa_group_segment_fixed_size 0
		.amdhsa_private_segment_fixed_size 0
		.amdhsa_kernarg_size 88
		.amdhsa_user_sgpr_count 6
		.amdhsa_user_sgpr_private_segment_buffer 1
		.amdhsa_user_sgpr_dispatch_ptr 0
		.amdhsa_user_sgpr_queue_ptr 0
		.amdhsa_user_sgpr_kernarg_segment_ptr 1
		.amdhsa_user_sgpr_dispatch_id 0
		.amdhsa_user_sgpr_flat_scratch_init 0
		.amdhsa_user_sgpr_kernarg_preload_length 0
		.amdhsa_user_sgpr_kernarg_preload_offset 0
		.amdhsa_user_sgpr_private_segment_size 0
		.amdhsa_uses_dynamic_stack 0
		.amdhsa_system_sgpr_private_segment_wavefront_offset 0
		.amdhsa_system_sgpr_workgroup_id_x 1
		.amdhsa_system_sgpr_workgroup_id_y 0
		.amdhsa_system_sgpr_workgroup_id_z 0
		.amdhsa_system_sgpr_workgroup_info 0
		.amdhsa_system_vgpr_workitem_id 0
		.amdhsa_next_free_vgpr 1
		.amdhsa_next_free_sgpr 0
		.amdhsa_accum_offset 4
		.amdhsa_reserve_vcc 0
		.amdhsa_reserve_flat_scratch 0
		.amdhsa_float_round_mode_32 0
		.amdhsa_float_round_mode_16_64 0
		.amdhsa_float_denorm_mode_32 3
		.amdhsa_float_denorm_mode_16_64 3
		.amdhsa_dx10_clamp 1
		.amdhsa_ieee_mode 1
		.amdhsa_fp16_overflow 0
		.amdhsa_tg_split 0
		.amdhsa_exception_fp_ieee_invalid_op 0
		.amdhsa_exception_fp_denorm_src 0
		.amdhsa_exception_fp_ieee_div_zero 0
		.amdhsa_exception_fp_ieee_overflow 0
		.amdhsa_exception_fp_ieee_underflow 0
		.amdhsa_exception_fp_ieee_inexact 0
		.amdhsa_exception_int_div_zero 0
	.end_amdhsa_kernel
	.section	.text._ZN7rocprim17ROCPRIM_400000_NS6detail17trampoline_kernelINS0_14default_configENS1_22reduce_config_selectorIN6thrust23THRUST_200600_302600_NS5tupleIblNS6_9null_typeES8_S8_S8_S8_S8_S8_S8_EEEEZNS1_11reduce_implILb1ES3_NS6_12zip_iteratorINS7_INS6_11hip_rocprim26transform_input_iterator_tIbPN3c104HalfENS6_6detail10functional5actorINSJ_9compositeIJNSJ_27transparent_binary_operatorINS6_8equal_toIvEEEENSK_INSJ_8argumentILj0EEEEENSJ_5valueISG_EEEEEEEEENSD_19counting_iterator_tIlEES8_S8_S8_S8_S8_S8_S8_S8_EEEEPS9_S9_NSD_9__find_if7functorIS9_EEEE10hipError_tPvRmT1_T2_T3_mT4_P12ihipStream_tbEUlT_E0_NS1_11comp_targetILNS1_3genE10ELNS1_11target_archE1200ELNS1_3gpuE4ELNS1_3repE0EEENS1_30default_config_static_selectorELNS0_4arch9wavefront6targetE1EEEvS19_,"axG",@progbits,_ZN7rocprim17ROCPRIM_400000_NS6detail17trampoline_kernelINS0_14default_configENS1_22reduce_config_selectorIN6thrust23THRUST_200600_302600_NS5tupleIblNS6_9null_typeES8_S8_S8_S8_S8_S8_S8_EEEEZNS1_11reduce_implILb1ES3_NS6_12zip_iteratorINS7_INS6_11hip_rocprim26transform_input_iterator_tIbPN3c104HalfENS6_6detail10functional5actorINSJ_9compositeIJNSJ_27transparent_binary_operatorINS6_8equal_toIvEEEENSK_INSJ_8argumentILj0EEEEENSJ_5valueISG_EEEEEEEEENSD_19counting_iterator_tIlEES8_S8_S8_S8_S8_S8_S8_S8_EEEEPS9_S9_NSD_9__find_if7functorIS9_EEEE10hipError_tPvRmT1_T2_T3_mT4_P12ihipStream_tbEUlT_E0_NS1_11comp_targetILNS1_3genE10ELNS1_11target_archE1200ELNS1_3gpuE4ELNS1_3repE0EEENS1_30default_config_static_selectorELNS0_4arch9wavefront6targetE1EEEvS19_,comdat
.Lfunc_end2242:
	.size	_ZN7rocprim17ROCPRIM_400000_NS6detail17trampoline_kernelINS0_14default_configENS1_22reduce_config_selectorIN6thrust23THRUST_200600_302600_NS5tupleIblNS6_9null_typeES8_S8_S8_S8_S8_S8_S8_EEEEZNS1_11reduce_implILb1ES3_NS6_12zip_iteratorINS7_INS6_11hip_rocprim26transform_input_iterator_tIbPN3c104HalfENS6_6detail10functional5actorINSJ_9compositeIJNSJ_27transparent_binary_operatorINS6_8equal_toIvEEEENSK_INSJ_8argumentILj0EEEEENSJ_5valueISG_EEEEEEEEENSD_19counting_iterator_tIlEES8_S8_S8_S8_S8_S8_S8_S8_EEEEPS9_S9_NSD_9__find_if7functorIS9_EEEE10hipError_tPvRmT1_T2_T3_mT4_P12ihipStream_tbEUlT_E0_NS1_11comp_targetILNS1_3genE10ELNS1_11target_archE1200ELNS1_3gpuE4ELNS1_3repE0EEENS1_30default_config_static_selectorELNS0_4arch9wavefront6targetE1EEEvS19_, .Lfunc_end2242-_ZN7rocprim17ROCPRIM_400000_NS6detail17trampoline_kernelINS0_14default_configENS1_22reduce_config_selectorIN6thrust23THRUST_200600_302600_NS5tupleIblNS6_9null_typeES8_S8_S8_S8_S8_S8_S8_EEEEZNS1_11reduce_implILb1ES3_NS6_12zip_iteratorINS7_INS6_11hip_rocprim26transform_input_iterator_tIbPN3c104HalfENS6_6detail10functional5actorINSJ_9compositeIJNSJ_27transparent_binary_operatorINS6_8equal_toIvEEEENSK_INSJ_8argumentILj0EEEEENSJ_5valueISG_EEEEEEEEENSD_19counting_iterator_tIlEES8_S8_S8_S8_S8_S8_S8_S8_EEEEPS9_S9_NSD_9__find_if7functorIS9_EEEE10hipError_tPvRmT1_T2_T3_mT4_P12ihipStream_tbEUlT_E0_NS1_11comp_targetILNS1_3genE10ELNS1_11target_archE1200ELNS1_3gpuE4ELNS1_3repE0EEENS1_30default_config_static_selectorELNS0_4arch9wavefront6targetE1EEEvS19_
                                        ; -- End function
	.section	.AMDGPU.csdata,"",@progbits
; Kernel info:
; codeLenInByte = 0
; NumSgprs: 4
; NumVgprs: 0
; NumAgprs: 0
; TotalNumVgprs: 0
; ScratchSize: 0
; MemoryBound: 0
; FloatMode: 240
; IeeeMode: 1
; LDSByteSize: 0 bytes/workgroup (compile time only)
; SGPRBlocks: 0
; VGPRBlocks: 0
; NumSGPRsForWavesPerEU: 4
; NumVGPRsForWavesPerEU: 1
; AccumOffset: 4
; Occupancy: 8
; WaveLimiterHint : 0
; COMPUTE_PGM_RSRC2:SCRATCH_EN: 0
; COMPUTE_PGM_RSRC2:USER_SGPR: 6
; COMPUTE_PGM_RSRC2:TRAP_HANDLER: 0
; COMPUTE_PGM_RSRC2:TGID_X_EN: 1
; COMPUTE_PGM_RSRC2:TGID_Y_EN: 0
; COMPUTE_PGM_RSRC2:TGID_Z_EN: 0
; COMPUTE_PGM_RSRC2:TIDIG_COMP_CNT: 0
; COMPUTE_PGM_RSRC3_GFX90A:ACCUM_OFFSET: 0
; COMPUTE_PGM_RSRC3_GFX90A:TG_SPLIT: 0
	.section	.text._ZN7rocprim17ROCPRIM_400000_NS6detail17trampoline_kernelINS0_14default_configENS1_22reduce_config_selectorIN6thrust23THRUST_200600_302600_NS5tupleIblNS6_9null_typeES8_S8_S8_S8_S8_S8_S8_EEEEZNS1_11reduce_implILb1ES3_NS6_12zip_iteratorINS7_INS6_11hip_rocprim26transform_input_iterator_tIbPN3c104HalfENS6_6detail10functional5actorINSJ_9compositeIJNSJ_27transparent_binary_operatorINS6_8equal_toIvEEEENSK_INSJ_8argumentILj0EEEEENSJ_5valueISG_EEEEEEEEENSD_19counting_iterator_tIlEES8_S8_S8_S8_S8_S8_S8_S8_EEEEPS9_S9_NSD_9__find_if7functorIS9_EEEE10hipError_tPvRmT1_T2_T3_mT4_P12ihipStream_tbEUlT_E0_NS1_11comp_targetILNS1_3genE9ELNS1_11target_archE1100ELNS1_3gpuE3ELNS1_3repE0EEENS1_30default_config_static_selectorELNS0_4arch9wavefront6targetE1EEEvS19_,"axG",@progbits,_ZN7rocprim17ROCPRIM_400000_NS6detail17trampoline_kernelINS0_14default_configENS1_22reduce_config_selectorIN6thrust23THRUST_200600_302600_NS5tupleIblNS6_9null_typeES8_S8_S8_S8_S8_S8_S8_EEEEZNS1_11reduce_implILb1ES3_NS6_12zip_iteratorINS7_INS6_11hip_rocprim26transform_input_iterator_tIbPN3c104HalfENS6_6detail10functional5actorINSJ_9compositeIJNSJ_27transparent_binary_operatorINS6_8equal_toIvEEEENSK_INSJ_8argumentILj0EEEEENSJ_5valueISG_EEEEEEEEENSD_19counting_iterator_tIlEES8_S8_S8_S8_S8_S8_S8_S8_EEEEPS9_S9_NSD_9__find_if7functorIS9_EEEE10hipError_tPvRmT1_T2_T3_mT4_P12ihipStream_tbEUlT_E0_NS1_11comp_targetILNS1_3genE9ELNS1_11target_archE1100ELNS1_3gpuE3ELNS1_3repE0EEENS1_30default_config_static_selectorELNS0_4arch9wavefront6targetE1EEEvS19_,comdat
	.protected	_ZN7rocprim17ROCPRIM_400000_NS6detail17trampoline_kernelINS0_14default_configENS1_22reduce_config_selectorIN6thrust23THRUST_200600_302600_NS5tupleIblNS6_9null_typeES8_S8_S8_S8_S8_S8_S8_EEEEZNS1_11reduce_implILb1ES3_NS6_12zip_iteratorINS7_INS6_11hip_rocprim26transform_input_iterator_tIbPN3c104HalfENS6_6detail10functional5actorINSJ_9compositeIJNSJ_27transparent_binary_operatorINS6_8equal_toIvEEEENSK_INSJ_8argumentILj0EEEEENSJ_5valueISG_EEEEEEEEENSD_19counting_iterator_tIlEES8_S8_S8_S8_S8_S8_S8_S8_EEEEPS9_S9_NSD_9__find_if7functorIS9_EEEE10hipError_tPvRmT1_T2_T3_mT4_P12ihipStream_tbEUlT_E0_NS1_11comp_targetILNS1_3genE9ELNS1_11target_archE1100ELNS1_3gpuE3ELNS1_3repE0EEENS1_30default_config_static_selectorELNS0_4arch9wavefront6targetE1EEEvS19_ ; -- Begin function _ZN7rocprim17ROCPRIM_400000_NS6detail17trampoline_kernelINS0_14default_configENS1_22reduce_config_selectorIN6thrust23THRUST_200600_302600_NS5tupleIblNS6_9null_typeES8_S8_S8_S8_S8_S8_S8_EEEEZNS1_11reduce_implILb1ES3_NS6_12zip_iteratorINS7_INS6_11hip_rocprim26transform_input_iterator_tIbPN3c104HalfENS6_6detail10functional5actorINSJ_9compositeIJNSJ_27transparent_binary_operatorINS6_8equal_toIvEEEENSK_INSJ_8argumentILj0EEEEENSJ_5valueISG_EEEEEEEEENSD_19counting_iterator_tIlEES8_S8_S8_S8_S8_S8_S8_S8_EEEEPS9_S9_NSD_9__find_if7functorIS9_EEEE10hipError_tPvRmT1_T2_T3_mT4_P12ihipStream_tbEUlT_E0_NS1_11comp_targetILNS1_3genE9ELNS1_11target_archE1100ELNS1_3gpuE3ELNS1_3repE0EEENS1_30default_config_static_selectorELNS0_4arch9wavefront6targetE1EEEvS19_
	.globl	_ZN7rocprim17ROCPRIM_400000_NS6detail17trampoline_kernelINS0_14default_configENS1_22reduce_config_selectorIN6thrust23THRUST_200600_302600_NS5tupleIblNS6_9null_typeES8_S8_S8_S8_S8_S8_S8_EEEEZNS1_11reduce_implILb1ES3_NS6_12zip_iteratorINS7_INS6_11hip_rocprim26transform_input_iterator_tIbPN3c104HalfENS6_6detail10functional5actorINSJ_9compositeIJNSJ_27transparent_binary_operatorINS6_8equal_toIvEEEENSK_INSJ_8argumentILj0EEEEENSJ_5valueISG_EEEEEEEEENSD_19counting_iterator_tIlEES8_S8_S8_S8_S8_S8_S8_S8_EEEEPS9_S9_NSD_9__find_if7functorIS9_EEEE10hipError_tPvRmT1_T2_T3_mT4_P12ihipStream_tbEUlT_E0_NS1_11comp_targetILNS1_3genE9ELNS1_11target_archE1100ELNS1_3gpuE3ELNS1_3repE0EEENS1_30default_config_static_selectorELNS0_4arch9wavefront6targetE1EEEvS19_
	.p2align	8
	.type	_ZN7rocprim17ROCPRIM_400000_NS6detail17trampoline_kernelINS0_14default_configENS1_22reduce_config_selectorIN6thrust23THRUST_200600_302600_NS5tupleIblNS6_9null_typeES8_S8_S8_S8_S8_S8_S8_EEEEZNS1_11reduce_implILb1ES3_NS6_12zip_iteratorINS7_INS6_11hip_rocprim26transform_input_iterator_tIbPN3c104HalfENS6_6detail10functional5actorINSJ_9compositeIJNSJ_27transparent_binary_operatorINS6_8equal_toIvEEEENSK_INSJ_8argumentILj0EEEEENSJ_5valueISG_EEEEEEEEENSD_19counting_iterator_tIlEES8_S8_S8_S8_S8_S8_S8_S8_EEEEPS9_S9_NSD_9__find_if7functorIS9_EEEE10hipError_tPvRmT1_T2_T3_mT4_P12ihipStream_tbEUlT_E0_NS1_11comp_targetILNS1_3genE9ELNS1_11target_archE1100ELNS1_3gpuE3ELNS1_3repE0EEENS1_30default_config_static_selectorELNS0_4arch9wavefront6targetE1EEEvS19_,@function
_ZN7rocprim17ROCPRIM_400000_NS6detail17trampoline_kernelINS0_14default_configENS1_22reduce_config_selectorIN6thrust23THRUST_200600_302600_NS5tupleIblNS6_9null_typeES8_S8_S8_S8_S8_S8_S8_EEEEZNS1_11reduce_implILb1ES3_NS6_12zip_iteratorINS7_INS6_11hip_rocprim26transform_input_iterator_tIbPN3c104HalfENS6_6detail10functional5actorINSJ_9compositeIJNSJ_27transparent_binary_operatorINS6_8equal_toIvEEEENSK_INSJ_8argumentILj0EEEEENSJ_5valueISG_EEEEEEEEENSD_19counting_iterator_tIlEES8_S8_S8_S8_S8_S8_S8_S8_EEEEPS9_S9_NSD_9__find_if7functorIS9_EEEE10hipError_tPvRmT1_T2_T3_mT4_P12ihipStream_tbEUlT_E0_NS1_11comp_targetILNS1_3genE9ELNS1_11target_archE1100ELNS1_3gpuE3ELNS1_3repE0EEENS1_30default_config_static_selectorELNS0_4arch9wavefront6targetE1EEEvS19_: ; @_ZN7rocprim17ROCPRIM_400000_NS6detail17trampoline_kernelINS0_14default_configENS1_22reduce_config_selectorIN6thrust23THRUST_200600_302600_NS5tupleIblNS6_9null_typeES8_S8_S8_S8_S8_S8_S8_EEEEZNS1_11reduce_implILb1ES3_NS6_12zip_iteratorINS7_INS6_11hip_rocprim26transform_input_iterator_tIbPN3c104HalfENS6_6detail10functional5actorINSJ_9compositeIJNSJ_27transparent_binary_operatorINS6_8equal_toIvEEEENSK_INSJ_8argumentILj0EEEEENSJ_5valueISG_EEEEEEEEENSD_19counting_iterator_tIlEES8_S8_S8_S8_S8_S8_S8_S8_EEEEPS9_S9_NSD_9__find_if7functorIS9_EEEE10hipError_tPvRmT1_T2_T3_mT4_P12ihipStream_tbEUlT_E0_NS1_11comp_targetILNS1_3genE9ELNS1_11target_archE1100ELNS1_3gpuE3ELNS1_3repE0EEENS1_30default_config_static_selectorELNS0_4arch9wavefront6targetE1EEEvS19_
; %bb.0:
	.section	.rodata,"a",@progbits
	.p2align	6, 0x0
	.amdhsa_kernel _ZN7rocprim17ROCPRIM_400000_NS6detail17trampoline_kernelINS0_14default_configENS1_22reduce_config_selectorIN6thrust23THRUST_200600_302600_NS5tupleIblNS6_9null_typeES8_S8_S8_S8_S8_S8_S8_EEEEZNS1_11reduce_implILb1ES3_NS6_12zip_iteratorINS7_INS6_11hip_rocprim26transform_input_iterator_tIbPN3c104HalfENS6_6detail10functional5actorINSJ_9compositeIJNSJ_27transparent_binary_operatorINS6_8equal_toIvEEEENSK_INSJ_8argumentILj0EEEEENSJ_5valueISG_EEEEEEEEENSD_19counting_iterator_tIlEES8_S8_S8_S8_S8_S8_S8_S8_EEEEPS9_S9_NSD_9__find_if7functorIS9_EEEE10hipError_tPvRmT1_T2_T3_mT4_P12ihipStream_tbEUlT_E0_NS1_11comp_targetILNS1_3genE9ELNS1_11target_archE1100ELNS1_3gpuE3ELNS1_3repE0EEENS1_30default_config_static_selectorELNS0_4arch9wavefront6targetE1EEEvS19_
		.amdhsa_group_segment_fixed_size 0
		.amdhsa_private_segment_fixed_size 0
		.amdhsa_kernarg_size 88
		.amdhsa_user_sgpr_count 6
		.amdhsa_user_sgpr_private_segment_buffer 1
		.amdhsa_user_sgpr_dispatch_ptr 0
		.amdhsa_user_sgpr_queue_ptr 0
		.amdhsa_user_sgpr_kernarg_segment_ptr 1
		.amdhsa_user_sgpr_dispatch_id 0
		.amdhsa_user_sgpr_flat_scratch_init 0
		.amdhsa_user_sgpr_kernarg_preload_length 0
		.amdhsa_user_sgpr_kernarg_preload_offset 0
		.amdhsa_user_sgpr_private_segment_size 0
		.amdhsa_uses_dynamic_stack 0
		.amdhsa_system_sgpr_private_segment_wavefront_offset 0
		.amdhsa_system_sgpr_workgroup_id_x 1
		.amdhsa_system_sgpr_workgroup_id_y 0
		.amdhsa_system_sgpr_workgroup_id_z 0
		.amdhsa_system_sgpr_workgroup_info 0
		.amdhsa_system_vgpr_workitem_id 0
		.amdhsa_next_free_vgpr 1
		.amdhsa_next_free_sgpr 0
		.amdhsa_accum_offset 4
		.amdhsa_reserve_vcc 0
		.amdhsa_reserve_flat_scratch 0
		.amdhsa_float_round_mode_32 0
		.amdhsa_float_round_mode_16_64 0
		.amdhsa_float_denorm_mode_32 3
		.amdhsa_float_denorm_mode_16_64 3
		.amdhsa_dx10_clamp 1
		.amdhsa_ieee_mode 1
		.amdhsa_fp16_overflow 0
		.amdhsa_tg_split 0
		.amdhsa_exception_fp_ieee_invalid_op 0
		.amdhsa_exception_fp_denorm_src 0
		.amdhsa_exception_fp_ieee_div_zero 0
		.amdhsa_exception_fp_ieee_overflow 0
		.amdhsa_exception_fp_ieee_underflow 0
		.amdhsa_exception_fp_ieee_inexact 0
		.amdhsa_exception_int_div_zero 0
	.end_amdhsa_kernel
	.section	.text._ZN7rocprim17ROCPRIM_400000_NS6detail17trampoline_kernelINS0_14default_configENS1_22reduce_config_selectorIN6thrust23THRUST_200600_302600_NS5tupleIblNS6_9null_typeES8_S8_S8_S8_S8_S8_S8_EEEEZNS1_11reduce_implILb1ES3_NS6_12zip_iteratorINS7_INS6_11hip_rocprim26transform_input_iterator_tIbPN3c104HalfENS6_6detail10functional5actorINSJ_9compositeIJNSJ_27transparent_binary_operatorINS6_8equal_toIvEEEENSK_INSJ_8argumentILj0EEEEENSJ_5valueISG_EEEEEEEEENSD_19counting_iterator_tIlEES8_S8_S8_S8_S8_S8_S8_S8_EEEEPS9_S9_NSD_9__find_if7functorIS9_EEEE10hipError_tPvRmT1_T2_T3_mT4_P12ihipStream_tbEUlT_E0_NS1_11comp_targetILNS1_3genE9ELNS1_11target_archE1100ELNS1_3gpuE3ELNS1_3repE0EEENS1_30default_config_static_selectorELNS0_4arch9wavefront6targetE1EEEvS19_,"axG",@progbits,_ZN7rocprim17ROCPRIM_400000_NS6detail17trampoline_kernelINS0_14default_configENS1_22reduce_config_selectorIN6thrust23THRUST_200600_302600_NS5tupleIblNS6_9null_typeES8_S8_S8_S8_S8_S8_S8_EEEEZNS1_11reduce_implILb1ES3_NS6_12zip_iteratorINS7_INS6_11hip_rocprim26transform_input_iterator_tIbPN3c104HalfENS6_6detail10functional5actorINSJ_9compositeIJNSJ_27transparent_binary_operatorINS6_8equal_toIvEEEENSK_INSJ_8argumentILj0EEEEENSJ_5valueISG_EEEEEEEEENSD_19counting_iterator_tIlEES8_S8_S8_S8_S8_S8_S8_S8_EEEEPS9_S9_NSD_9__find_if7functorIS9_EEEE10hipError_tPvRmT1_T2_T3_mT4_P12ihipStream_tbEUlT_E0_NS1_11comp_targetILNS1_3genE9ELNS1_11target_archE1100ELNS1_3gpuE3ELNS1_3repE0EEENS1_30default_config_static_selectorELNS0_4arch9wavefront6targetE1EEEvS19_,comdat
.Lfunc_end2243:
	.size	_ZN7rocprim17ROCPRIM_400000_NS6detail17trampoline_kernelINS0_14default_configENS1_22reduce_config_selectorIN6thrust23THRUST_200600_302600_NS5tupleIblNS6_9null_typeES8_S8_S8_S8_S8_S8_S8_EEEEZNS1_11reduce_implILb1ES3_NS6_12zip_iteratorINS7_INS6_11hip_rocprim26transform_input_iterator_tIbPN3c104HalfENS6_6detail10functional5actorINSJ_9compositeIJNSJ_27transparent_binary_operatorINS6_8equal_toIvEEEENSK_INSJ_8argumentILj0EEEEENSJ_5valueISG_EEEEEEEEENSD_19counting_iterator_tIlEES8_S8_S8_S8_S8_S8_S8_S8_EEEEPS9_S9_NSD_9__find_if7functorIS9_EEEE10hipError_tPvRmT1_T2_T3_mT4_P12ihipStream_tbEUlT_E0_NS1_11comp_targetILNS1_3genE9ELNS1_11target_archE1100ELNS1_3gpuE3ELNS1_3repE0EEENS1_30default_config_static_selectorELNS0_4arch9wavefront6targetE1EEEvS19_, .Lfunc_end2243-_ZN7rocprim17ROCPRIM_400000_NS6detail17trampoline_kernelINS0_14default_configENS1_22reduce_config_selectorIN6thrust23THRUST_200600_302600_NS5tupleIblNS6_9null_typeES8_S8_S8_S8_S8_S8_S8_EEEEZNS1_11reduce_implILb1ES3_NS6_12zip_iteratorINS7_INS6_11hip_rocprim26transform_input_iterator_tIbPN3c104HalfENS6_6detail10functional5actorINSJ_9compositeIJNSJ_27transparent_binary_operatorINS6_8equal_toIvEEEENSK_INSJ_8argumentILj0EEEEENSJ_5valueISG_EEEEEEEEENSD_19counting_iterator_tIlEES8_S8_S8_S8_S8_S8_S8_S8_EEEEPS9_S9_NSD_9__find_if7functorIS9_EEEE10hipError_tPvRmT1_T2_T3_mT4_P12ihipStream_tbEUlT_E0_NS1_11comp_targetILNS1_3genE9ELNS1_11target_archE1100ELNS1_3gpuE3ELNS1_3repE0EEENS1_30default_config_static_selectorELNS0_4arch9wavefront6targetE1EEEvS19_
                                        ; -- End function
	.section	.AMDGPU.csdata,"",@progbits
; Kernel info:
; codeLenInByte = 0
; NumSgprs: 4
; NumVgprs: 0
; NumAgprs: 0
; TotalNumVgprs: 0
; ScratchSize: 0
; MemoryBound: 0
; FloatMode: 240
; IeeeMode: 1
; LDSByteSize: 0 bytes/workgroup (compile time only)
; SGPRBlocks: 0
; VGPRBlocks: 0
; NumSGPRsForWavesPerEU: 4
; NumVGPRsForWavesPerEU: 1
; AccumOffset: 4
; Occupancy: 8
; WaveLimiterHint : 0
; COMPUTE_PGM_RSRC2:SCRATCH_EN: 0
; COMPUTE_PGM_RSRC2:USER_SGPR: 6
; COMPUTE_PGM_RSRC2:TRAP_HANDLER: 0
; COMPUTE_PGM_RSRC2:TGID_X_EN: 1
; COMPUTE_PGM_RSRC2:TGID_Y_EN: 0
; COMPUTE_PGM_RSRC2:TGID_Z_EN: 0
; COMPUTE_PGM_RSRC2:TIDIG_COMP_CNT: 0
; COMPUTE_PGM_RSRC3_GFX90A:ACCUM_OFFSET: 0
; COMPUTE_PGM_RSRC3_GFX90A:TG_SPLIT: 0
	.section	.text._ZN7rocprim17ROCPRIM_400000_NS6detail17trampoline_kernelINS0_14default_configENS1_22reduce_config_selectorIN6thrust23THRUST_200600_302600_NS5tupleIblNS6_9null_typeES8_S8_S8_S8_S8_S8_S8_EEEEZNS1_11reduce_implILb1ES3_NS6_12zip_iteratorINS7_INS6_11hip_rocprim26transform_input_iterator_tIbPN3c104HalfENS6_6detail10functional5actorINSJ_9compositeIJNSJ_27transparent_binary_operatorINS6_8equal_toIvEEEENSK_INSJ_8argumentILj0EEEEENSJ_5valueISG_EEEEEEEEENSD_19counting_iterator_tIlEES8_S8_S8_S8_S8_S8_S8_S8_EEEEPS9_S9_NSD_9__find_if7functorIS9_EEEE10hipError_tPvRmT1_T2_T3_mT4_P12ihipStream_tbEUlT_E0_NS1_11comp_targetILNS1_3genE8ELNS1_11target_archE1030ELNS1_3gpuE2ELNS1_3repE0EEENS1_30default_config_static_selectorELNS0_4arch9wavefront6targetE1EEEvS19_,"axG",@progbits,_ZN7rocprim17ROCPRIM_400000_NS6detail17trampoline_kernelINS0_14default_configENS1_22reduce_config_selectorIN6thrust23THRUST_200600_302600_NS5tupleIblNS6_9null_typeES8_S8_S8_S8_S8_S8_S8_EEEEZNS1_11reduce_implILb1ES3_NS6_12zip_iteratorINS7_INS6_11hip_rocprim26transform_input_iterator_tIbPN3c104HalfENS6_6detail10functional5actorINSJ_9compositeIJNSJ_27transparent_binary_operatorINS6_8equal_toIvEEEENSK_INSJ_8argumentILj0EEEEENSJ_5valueISG_EEEEEEEEENSD_19counting_iterator_tIlEES8_S8_S8_S8_S8_S8_S8_S8_EEEEPS9_S9_NSD_9__find_if7functorIS9_EEEE10hipError_tPvRmT1_T2_T3_mT4_P12ihipStream_tbEUlT_E0_NS1_11comp_targetILNS1_3genE8ELNS1_11target_archE1030ELNS1_3gpuE2ELNS1_3repE0EEENS1_30default_config_static_selectorELNS0_4arch9wavefront6targetE1EEEvS19_,comdat
	.protected	_ZN7rocprim17ROCPRIM_400000_NS6detail17trampoline_kernelINS0_14default_configENS1_22reduce_config_selectorIN6thrust23THRUST_200600_302600_NS5tupleIblNS6_9null_typeES8_S8_S8_S8_S8_S8_S8_EEEEZNS1_11reduce_implILb1ES3_NS6_12zip_iteratorINS7_INS6_11hip_rocprim26transform_input_iterator_tIbPN3c104HalfENS6_6detail10functional5actorINSJ_9compositeIJNSJ_27transparent_binary_operatorINS6_8equal_toIvEEEENSK_INSJ_8argumentILj0EEEEENSJ_5valueISG_EEEEEEEEENSD_19counting_iterator_tIlEES8_S8_S8_S8_S8_S8_S8_S8_EEEEPS9_S9_NSD_9__find_if7functorIS9_EEEE10hipError_tPvRmT1_T2_T3_mT4_P12ihipStream_tbEUlT_E0_NS1_11comp_targetILNS1_3genE8ELNS1_11target_archE1030ELNS1_3gpuE2ELNS1_3repE0EEENS1_30default_config_static_selectorELNS0_4arch9wavefront6targetE1EEEvS19_ ; -- Begin function _ZN7rocprim17ROCPRIM_400000_NS6detail17trampoline_kernelINS0_14default_configENS1_22reduce_config_selectorIN6thrust23THRUST_200600_302600_NS5tupleIblNS6_9null_typeES8_S8_S8_S8_S8_S8_S8_EEEEZNS1_11reduce_implILb1ES3_NS6_12zip_iteratorINS7_INS6_11hip_rocprim26transform_input_iterator_tIbPN3c104HalfENS6_6detail10functional5actorINSJ_9compositeIJNSJ_27transparent_binary_operatorINS6_8equal_toIvEEEENSK_INSJ_8argumentILj0EEEEENSJ_5valueISG_EEEEEEEEENSD_19counting_iterator_tIlEES8_S8_S8_S8_S8_S8_S8_S8_EEEEPS9_S9_NSD_9__find_if7functorIS9_EEEE10hipError_tPvRmT1_T2_T3_mT4_P12ihipStream_tbEUlT_E0_NS1_11comp_targetILNS1_3genE8ELNS1_11target_archE1030ELNS1_3gpuE2ELNS1_3repE0EEENS1_30default_config_static_selectorELNS0_4arch9wavefront6targetE1EEEvS19_
	.globl	_ZN7rocprim17ROCPRIM_400000_NS6detail17trampoline_kernelINS0_14default_configENS1_22reduce_config_selectorIN6thrust23THRUST_200600_302600_NS5tupleIblNS6_9null_typeES8_S8_S8_S8_S8_S8_S8_EEEEZNS1_11reduce_implILb1ES3_NS6_12zip_iteratorINS7_INS6_11hip_rocprim26transform_input_iterator_tIbPN3c104HalfENS6_6detail10functional5actorINSJ_9compositeIJNSJ_27transparent_binary_operatorINS6_8equal_toIvEEEENSK_INSJ_8argumentILj0EEEEENSJ_5valueISG_EEEEEEEEENSD_19counting_iterator_tIlEES8_S8_S8_S8_S8_S8_S8_S8_EEEEPS9_S9_NSD_9__find_if7functorIS9_EEEE10hipError_tPvRmT1_T2_T3_mT4_P12ihipStream_tbEUlT_E0_NS1_11comp_targetILNS1_3genE8ELNS1_11target_archE1030ELNS1_3gpuE2ELNS1_3repE0EEENS1_30default_config_static_selectorELNS0_4arch9wavefront6targetE1EEEvS19_
	.p2align	8
	.type	_ZN7rocprim17ROCPRIM_400000_NS6detail17trampoline_kernelINS0_14default_configENS1_22reduce_config_selectorIN6thrust23THRUST_200600_302600_NS5tupleIblNS6_9null_typeES8_S8_S8_S8_S8_S8_S8_EEEEZNS1_11reduce_implILb1ES3_NS6_12zip_iteratorINS7_INS6_11hip_rocprim26transform_input_iterator_tIbPN3c104HalfENS6_6detail10functional5actorINSJ_9compositeIJNSJ_27transparent_binary_operatorINS6_8equal_toIvEEEENSK_INSJ_8argumentILj0EEEEENSJ_5valueISG_EEEEEEEEENSD_19counting_iterator_tIlEES8_S8_S8_S8_S8_S8_S8_S8_EEEEPS9_S9_NSD_9__find_if7functorIS9_EEEE10hipError_tPvRmT1_T2_T3_mT4_P12ihipStream_tbEUlT_E0_NS1_11comp_targetILNS1_3genE8ELNS1_11target_archE1030ELNS1_3gpuE2ELNS1_3repE0EEENS1_30default_config_static_selectorELNS0_4arch9wavefront6targetE1EEEvS19_,@function
_ZN7rocprim17ROCPRIM_400000_NS6detail17trampoline_kernelINS0_14default_configENS1_22reduce_config_selectorIN6thrust23THRUST_200600_302600_NS5tupleIblNS6_9null_typeES8_S8_S8_S8_S8_S8_S8_EEEEZNS1_11reduce_implILb1ES3_NS6_12zip_iteratorINS7_INS6_11hip_rocprim26transform_input_iterator_tIbPN3c104HalfENS6_6detail10functional5actorINSJ_9compositeIJNSJ_27transparent_binary_operatorINS6_8equal_toIvEEEENSK_INSJ_8argumentILj0EEEEENSJ_5valueISG_EEEEEEEEENSD_19counting_iterator_tIlEES8_S8_S8_S8_S8_S8_S8_S8_EEEEPS9_S9_NSD_9__find_if7functorIS9_EEEE10hipError_tPvRmT1_T2_T3_mT4_P12ihipStream_tbEUlT_E0_NS1_11comp_targetILNS1_3genE8ELNS1_11target_archE1030ELNS1_3gpuE2ELNS1_3repE0EEENS1_30default_config_static_selectorELNS0_4arch9wavefront6targetE1EEEvS19_: ; @_ZN7rocprim17ROCPRIM_400000_NS6detail17trampoline_kernelINS0_14default_configENS1_22reduce_config_selectorIN6thrust23THRUST_200600_302600_NS5tupleIblNS6_9null_typeES8_S8_S8_S8_S8_S8_S8_EEEEZNS1_11reduce_implILb1ES3_NS6_12zip_iteratorINS7_INS6_11hip_rocprim26transform_input_iterator_tIbPN3c104HalfENS6_6detail10functional5actorINSJ_9compositeIJNSJ_27transparent_binary_operatorINS6_8equal_toIvEEEENSK_INSJ_8argumentILj0EEEEENSJ_5valueISG_EEEEEEEEENSD_19counting_iterator_tIlEES8_S8_S8_S8_S8_S8_S8_S8_EEEEPS9_S9_NSD_9__find_if7functorIS9_EEEE10hipError_tPvRmT1_T2_T3_mT4_P12ihipStream_tbEUlT_E0_NS1_11comp_targetILNS1_3genE8ELNS1_11target_archE1030ELNS1_3gpuE2ELNS1_3repE0EEENS1_30default_config_static_selectorELNS0_4arch9wavefront6targetE1EEEvS19_
; %bb.0:
	.section	.rodata,"a",@progbits
	.p2align	6, 0x0
	.amdhsa_kernel _ZN7rocprim17ROCPRIM_400000_NS6detail17trampoline_kernelINS0_14default_configENS1_22reduce_config_selectorIN6thrust23THRUST_200600_302600_NS5tupleIblNS6_9null_typeES8_S8_S8_S8_S8_S8_S8_EEEEZNS1_11reduce_implILb1ES3_NS6_12zip_iteratorINS7_INS6_11hip_rocprim26transform_input_iterator_tIbPN3c104HalfENS6_6detail10functional5actorINSJ_9compositeIJNSJ_27transparent_binary_operatorINS6_8equal_toIvEEEENSK_INSJ_8argumentILj0EEEEENSJ_5valueISG_EEEEEEEEENSD_19counting_iterator_tIlEES8_S8_S8_S8_S8_S8_S8_S8_EEEEPS9_S9_NSD_9__find_if7functorIS9_EEEE10hipError_tPvRmT1_T2_T3_mT4_P12ihipStream_tbEUlT_E0_NS1_11comp_targetILNS1_3genE8ELNS1_11target_archE1030ELNS1_3gpuE2ELNS1_3repE0EEENS1_30default_config_static_selectorELNS0_4arch9wavefront6targetE1EEEvS19_
		.amdhsa_group_segment_fixed_size 0
		.amdhsa_private_segment_fixed_size 0
		.amdhsa_kernarg_size 88
		.amdhsa_user_sgpr_count 6
		.amdhsa_user_sgpr_private_segment_buffer 1
		.amdhsa_user_sgpr_dispatch_ptr 0
		.amdhsa_user_sgpr_queue_ptr 0
		.amdhsa_user_sgpr_kernarg_segment_ptr 1
		.amdhsa_user_sgpr_dispatch_id 0
		.amdhsa_user_sgpr_flat_scratch_init 0
		.amdhsa_user_sgpr_kernarg_preload_length 0
		.amdhsa_user_sgpr_kernarg_preload_offset 0
		.amdhsa_user_sgpr_private_segment_size 0
		.amdhsa_uses_dynamic_stack 0
		.amdhsa_system_sgpr_private_segment_wavefront_offset 0
		.amdhsa_system_sgpr_workgroup_id_x 1
		.amdhsa_system_sgpr_workgroup_id_y 0
		.amdhsa_system_sgpr_workgroup_id_z 0
		.amdhsa_system_sgpr_workgroup_info 0
		.amdhsa_system_vgpr_workitem_id 0
		.amdhsa_next_free_vgpr 1
		.amdhsa_next_free_sgpr 0
		.amdhsa_accum_offset 4
		.amdhsa_reserve_vcc 0
		.amdhsa_reserve_flat_scratch 0
		.amdhsa_float_round_mode_32 0
		.amdhsa_float_round_mode_16_64 0
		.amdhsa_float_denorm_mode_32 3
		.amdhsa_float_denorm_mode_16_64 3
		.amdhsa_dx10_clamp 1
		.amdhsa_ieee_mode 1
		.amdhsa_fp16_overflow 0
		.amdhsa_tg_split 0
		.amdhsa_exception_fp_ieee_invalid_op 0
		.amdhsa_exception_fp_denorm_src 0
		.amdhsa_exception_fp_ieee_div_zero 0
		.amdhsa_exception_fp_ieee_overflow 0
		.amdhsa_exception_fp_ieee_underflow 0
		.amdhsa_exception_fp_ieee_inexact 0
		.amdhsa_exception_int_div_zero 0
	.end_amdhsa_kernel
	.section	.text._ZN7rocprim17ROCPRIM_400000_NS6detail17trampoline_kernelINS0_14default_configENS1_22reduce_config_selectorIN6thrust23THRUST_200600_302600_NS5tupleIblNS6_9null_typeES8_S8_S8_S8_S8_S8_S8_EEEEZNS1_11reduce_implILb1ES3_NS6_12zip_iteratorINS7_INS6_11hip_rocprim26transform_input_iterator_tIbPN3c104HalfENS6_6detail10functional5actorINSJ_9compositeIJNSJ_27transparent_binary_operatorINS6_8equal_toIvEEEENSK_INSJ_8argumentILj0EEEEENSJ_5valueISG_EEEEEEEEENSD_19counting_iterator_tIlEES8_S8_S8_S8_S8_S8_S8_S8_EEEEPS9_S9_NSD_9__find_if7functorIS9_EEEE10hipError_tPvRmT1_T2_T3_mT4_P12ihipStream_tbEUlT_E0_NS1_11comp_targetILNS1_3genE8ELNS1_11target_archE1030ELNS1_3gpuE2ELNS1_3repE0EEENS1_30default_config_static_selectorELNS0_4arch9wavefront6targetE1EEEvS19_,"axG",@progbits,_ZN7rocprim17ROCPRIM_400000_NS6detail17trampoline_kernelINS0_14default_configENS1_22reduce_config_selectorIN6thrust23THRUST_200600_302600_NS5tupleIblNS6_9null_typeES8_S8_S8_S8_S8_S8_S8_EEEEZNS1_11reduce_implILb1ES3_NS6_12zip_iteratorINS7_INS6_11hip_rocprim26transform_input_iterator_tIbPN3c104HalfENS6_6detail10functional5actorINSJ_9compositeIJNSJ_27transparent_binary_operatorINS6_8equal_toIvEEEENSK_INSJ_8argumentILj0EEEEENSJ_5valueISG_EEEEEEEEENSD_19counting_iterator_tIlEES8_S8_S8_S8_S8_S8_S8_S8_EEEEPS9_S9_NSD_9__find_if7functorIS9_EEEE10hipError_tPvRmT1_T2_T3_mT4_P12ihipStream_tbEUlT_E0_NS1_11comp_targetILNS1_3genE8ELNS1_11target_archE1030ELNS1_3gpuE2ELNS1_3repE0EEENS1_30default_config_static_selectorELNS0_4arch9wavefront6targetE1EEEvS19_,comdat
.Lfunc_end2244:
	.size	_ZN7rocprim17ROCPRIM_400000_NS6detail17trampoline_kernelINS0_14default_configENS1_22reduce_config_selectorIN6thrust23THRUST_200600_302600_NS5tupleIblNS6_9null_typeES8_S8_S8_S8_S8_S8_S8_EEEEZNS1_11reduce_implILb1ES3_NS6_12zip_iteratorINS7_INS6_11hip_rocprim26transform_input_iterator_tIbPN3c104HalfENS6_6detail10functional5actorINSJ_9compositeIJNSJ_27transparent_binary_operatorINS6_8equal_toIvEEEENSK_INSJ_8argumentILj0EEEEENSJ_5valueISG_EEEEEEEEENSD_19counting_iterator_tIlEES8_S8_S8_S8_S8_S8_S8_S8_EEEEPS9_S9_NSD_9__find_if7functorIS9_EEEE10hipError_tPvRmT1_T2_T3_mT4_P12ihipStream_tbEUlT_E0_NS1_11comp_targetILNS1_3genE8ELNS1_11target_archE1030ELNS1_3gpuE2ELNS1_3repE0EEENS1_30default_config_static_selectorELNS0_4arch9wavefront6targetE1EEEvS19_, .Lfunc_end2244-_ZN7rocprim17ROCPRIM_400000_NS6detail17trampoline_kernelINS0_14default_configENS1_22reduce_config_selectorIN6thrust23THRUST_200600_302600_NS5tupleIblNS6_9null_typeES8_S8_S8_S8_S8_S8_S8_EEEEZNS1_11reduce_implILb1ES3_NS6_12zip_iteratorINS7_INS6_11hip_rocprim26transform_input_iterator_tIbPN3c104HalfENS6_6detail10functional5actorINSJ_9compositeIJNSJ_27transparent_binary_operatorINS6_8equal_toIvEEEENSK_INSJ_8argumentILj0EEEEENSJ_5valueISG_EEEEEEEEENSD_19counting_iterator_tIlEES8_S8_S8_S8_S8_S8_S8_S8_EEEEPS9_S9_NSD_9__find_if7functorIS9_EEEE10hipError_tPvRmT1_T2_T3_mT4_P12ihipStream_tbEUlT_E0_NS1_11comp_targetILNS1_3genE8ELNS1_11target_archE1030ELNS1_3gpuE2ELNS1_3repE0EEENS1_30default_config_static_selectorELNS0_4arch9wavefront6targetE1EEEvS19_
                                        ; -- End function
	.section	.AMDGPU.csdata,"",@progbits
; Kernel info:
; codeLenInByte = 0
; NumSgprs: 4
; NumVgprs: 0
; NumAgprs: 0
; TotalNumVgprs: 0
; ScratchSize: 0
; MemoryBound: 0
; FloatMode: 240
; IeeeMode: 1
; LDSByteSize: 0 bytes/workgroup (compile time only)
; SGPRBlocks: 0
; VGPRBlocks: 0
; NumSGPRsForWavesPerEU: 4
; NumVGPRsForWavesPerEU: 1
; AccumOffset: 4
; Occupancy: 8
; WaveLimiterHint : 0
; COMPUTE_PGM_RSRC2:SCRATCH_EN: 0
; COMPUTE_PGM_RSRC2:USER_SGPR: 6
; COMPUTE_PGM_RSRC2:TRAP_HANDLER: 0
; COMPUTE_PGM_RSRC2:TGID_X_EN: 1
; COMPUTE_PGM_RSRC2:TGID_Y_EN: 0
; COMPUTE_PGM_RSRC2:TGID_Z_EN: 0
; COMPUTE_PGM_RSRC2:TIDIG_COMP_CNT: 0
; COMPUTE_PGM_RSRC3_GFX90A:ACCUM_OFFSET: 0
; COMPUTE_PGM_RSRC3_GFX90A:TG_SPLIT: 0
	.section	.text._ZN7rocprim17ROCPRIM_400000_NS6detail17trampoline_kernelINS0_14default_configENS1_22reduce_config_selectorIN6thrust23THRUST_200600_302600_NS5tupleIblNS6_9null_typeES8_S8_S8_S8_S8_S8_S8_EEEEZNS1_11reduce_implILb1ES3_NS6_12zip_iteratorINS7_INS6_11hip_rocprim26transform_input_iterator_tIbPN3c104HalfENS6_6detail10functional5actorINSJ_9compositeIJNSJ_27transparent_binary_operatorINS6_8equal_toIvEEEENSK_INSJ_8argumentILj0EEEEENSJ_5valueISG_EEEEEEEEENSD_19counting_iterator_tIlEES8_S8_S8_S8_S8_S8_S8_S8_EEEEPS9_S9_NSD_9__find_if7functorIS9_EEEE10hipError_tPvRmT1_T2_T3_mT4_P12ihipStream_tbEUlT_E1_NS1_11comp_targetILNS1_3genE0ELNS1_11target_archE4294967295ELNS1_3gpuE0ELNS1_3repE0EEENS1_30default_config_static_selectorELNS0_4arch9wavefront6targetE1EEEvS19_,"axG",@progbits,_ZN7rocprim17ROCPRIM_400000_NS6detail17trampoline_kernelINS0_14default_configENS1_22reduce_config_selectorIN6thrust23THRUST_200600_302600_NS5tupleIblNS6_9null_typeES8_S8_S8_S8_S8_S8_S8_EEEEZNS1_11reduce_implILb1ES3_NS6_12zip_iteratorINS7_INS6_11hip_rocprim26transform_input_iterator_tIbPN3c104HalfENS6_6detail10functional5actorINSJ_9compositeIJNSJ_27transparent_binary_operatorINS6_8equal_toIvEEEENSK_INSJ_8argumentILj0EEEEENSJ_5valueISG_EEEEEEEEENSD_19counting_iterator_tIlEES8_S8_S8_S8_S8_S8_S8_S8_EEEEPS9_S9_NSD_9__find_if7functorIS9_EEEE10hipError_tPvRmT1_T2_T3_mT4_P12ihipStream_tbEUlT_E1_NS1_11comp_targetILNS1_3genE0ELNS1_11target_archE4294967295ELNS1_3gpuE0ELNS1_3repE0EEENS1_30default_config_static_selectorELNS0_4arch9wavefront6targetE1EEEvS19_,comdat
	.protected	_ZN7rocprim17ROCPRIM_400000_NS6detail17trampoline_kernelINS0_14default_configENS1_22reduce_config_selectorIN6thrust23THRUST_200600_302600_NS5tupleIblNS6_9null_typeES8_S8_S8_S8_S8_S8_S8_EEEEZNS1_11reduce_implILb1ES3_NS6_12zip_iteratorINS7_INS6_11hip_rocprim26transform_input_iterator_tIbPN3c104HalfENS6_6detail10functional5actorINSJ_9compositeIJNSJ_27transparent_binary_operatorINS6_8equal_toIvEEEENSK_INSJ_8argumentILj0EEEEENSJ_5valueISG_EEEEEEEEENSD_19counting_iterator_tIlEES8_S8_S8_S8_S8_S8_S8_S8_EEEEPS9_S9_NSD_9__find_if7functorIS9_EEEE10hipError_tPvRmT1_T2_T3_mT4_P12ihipStream_tbEUlT_E1_NS1_11comp_targetILNS1_3genE0ELNS1_11target_archE4294967295ELNS1_3gpuE0ELNS1_3repE0EEENS1_30default_config_static_selectorELNS0_4arch9wavefront6targetE1EEEvS19_ ; -- Begin function _ZN7rocprim17ROCPRIM_400000_NS6detail17trampoline_kernelINS0_14default_configENS1_22reduce_config_selectorIN6thrust23THRUST_200600_302600_NS5tupleIblNS6_9null_typeES8_S8_S8_S8_S8_S8_S8_EEEEZNS1_11reduce_implILb1ES3_NS6_12zip_iteratorINS7_INS6_11hip_rocprim26transform_input_iterator_tIbPN3c104HalfENS6_6detail10functional5actorINSJ_9compositeIJNSJ_27transparent_binary_operatorINS6_8equal_toIvEEEENSK_INSJ_8argumentILj0EEEEENSJ_5valueISG_EEEEEEEEENSD_19counting_iterator_tIlEES8_S8_S8_S8_S8_S8_S8_S8_EEEEPS9_S9_NSD_9__find_if7functorIS9_EEEE10hipError_tPvRmT1_T2_T3_mT4_P12ihipStream_tbEUlT_E1_NS1_11comp_targetILNS1_3genE0ELNS1_11target_archE4294967295ELNS1_3gpuE0ELNS1_3repE0EEENS1_30default_config_static_selectorELNS0_4arch9wavefront6targetE1EEEvS19_
	.globl	_ZN7rocprim17ROCPRIM_400000_NS6detail17trampoline_kernelINS0_14default_configENS1_22reduce_config_selectorIN6thrust23THRUST_200600_302600_NS5tupleIblNS6_9null_typeES8_S8_S8_S8_S8_S8_S8_EEEEZNS1_11reduce_implILb1ES3_NS6_12zip_iteratorINS7_INS6_11hip_rocprim26transform_input_iterator_tIbPN3c104HalfENS6_6detail10functional5actorINSJ_9compositeIJNSJ_27transparent_binary_operatorINS6_8equal_toIvEEEENSK_INSJ_8argumentILj0EEEEENSJ_5valueISG_EEEEEEEEENSD_19counting_iterator_tIlEES8_S8_S8_S8_S8_S8_S8_S8_EEEEPS9_S9_NSD_9__find_if7functorIS9_EEEE10hipError_tPvRmT1_T2_T3_mT4_P12ihipStream_tbEUlT_E1_NS1_11comp_targetILNS1_3genE0ELNS1_11target_archE4294967295ELNS1_3gpuE0ELNS1_3repE0EEENS1_30default_config_static_selectorELNS0_4arch9wavefront6targetE1EEEvS19_
	.p2align	8
	.type	_ZN7rocprim17ROCPRIM_400000_NS6detail17trampoline_kernelINS0_14default_configENS1_22reduce_config_selectorIN6thrust23THRUST_200600_302600_NS5tupleIblNS6_9null_typeES8_S8_S8_S8_S8_S8_S8_EEEEZNS1_11reduce_implILb1ES3_NS6_12zip_iteratorINS7_INS6_11hip_rocprim26transform_input_iterator_tIbPN3c104HalfENS6_6detail10functional5actorINSJ_9compositeIJNSJ_27transparent_binary_operatorINS6_8equal_toIvEEEENSK_INSJ_8argumentILj0EEEEENSJ_5valueISG_EEEEEEEEENSD_19counting_iterator_tIlEES8_S8_S8_S8_S8_S8_S8_S8_EEEEPS9_S9_NSD_9__find_if7functorIS9_EEEE10hipError_tPvRmT1_T2_T3_mT4_P12ihipStream_tbEUlT_E1_NS1_11comp_targetILNS1_3genE0ELNS1_11target_archE4294967295ELNS1_3gpuE0ELNS1_3repE0EEENS1_30default_config_static_selectorELNS0_4arch9wavefront6targetE1EEEvS19_,@function
_ZN7rocprim17ROCPRIM_400000_NS6detail17trampoline_kernelINS0_14default_configENS1_22reduce_config_selectorIN6thrust23THRUST_200600_302600_NS5tupleIblNS6_9null_typeES8_S8_S8_S8_S8_S8_S8_EEEEZNS1_11reduce_implILb1ES3_NS6_12zip_iteratorINS7_INS6_11hip_rocprim26transform_input_iterator_tIbPN3c104HalfENS6_6detail10functional5actorINSJ_9compositeIJNSJ_27transparent_binary_operatorINS6_8equal_toIvEEEENSK_INSJ_8argumentILj0EEEEENSJ_5valueISG_EEEEEEEEENSD_19counting_iterator_tIlEES8_S8_S8_S8_S8_S8_S8_S8_EEEEPS9_S9_NSD_9__find_if7functorIS9_EEEE10hipError_tPvRmT1_T2_T3_mT4_P12ihipStream_tbEUlT_E1_NS1_11comp_targetILNS1_3genE0ELNS1_11target_archE4294967295ELNS1_3gpuE0ELNS1_3repE0EEENS1_30default_config_static_selectorELNS0_4arch9wavefront6targetE1EEEvS19_: ; @_ZN7rocprim17ROCPRIM_400000_NS6detail17trampoline_kernelINS0_14default_configENS1_22reduce_config_selectorIN6thrust23THRUST_200600_302600_NS5tupleIblNS6_9null_typeES8_S8_S8_S8_S8_S8_S8_EEEEZNS1_11reduce_implILb1ES3_NS6_12zip_iteratorINS7_INS6_11hip_rocprim26transform_input_iterator_tIbPN3c104HalfENS6_6detail10functional5actorINSJ_9compositeIJNSJ_27transparent_binary_operatorINS6_8equal_toIvEEEENSK_INSJ_8argumentILj0EEEEENSJ_5valueISG_EEEEEEEEENSD_19counting_iterator_tIlEES8_S8_S8_S8_S8_S8_S8_S8_EEEEPS9_S9_NSD_9__find_if7functorIS9_EEEE10hipError_tPvRmT1_T2_T3_mT4_P12ihipStream_tbEUlT_E1_NS1_11comp_targetILNS1_3genE0ELNS1_11target_archE4294967295ELNS1_3gpuE0ELNS1_3repE0EEENS1_30default_config_static_selectorELNS0_4arch9wavefront6targetE1EEEvS19_
; %bb.0:
	.section	.rodata,"a",@progbits
	.p2align	6, 0x0
	.amdhsa_kernel _ZN7rocprim17ROCPRIM_400000_NS6detail17trampoline_kernelINS0_14default_configENS1_22reduce_config_selectorIN6thrust23THRUST_200600_302600_NS5tupleIblNS6_9null_typeES8_S8_S8_S8_S8_S8_S8_EEEEZNS1_11reduce_implILb1ES3_NS6_12zip_iteratorINS7_INS6_11hip_rocprim26transform_input_iterator_tIbPN3c104HalfENS6_6detail10functional5actorINSJ_9compositeIJNSJ_27transparent_binary_operatorINS6_8equal_toIvEEEENSK_INSJ_8argumentILj0EEEEENSJ_5valueISG_EEEEEEEEENSD_19counting_iterator_tIlEES8_S8_S8_S8_S8_S8_S8_S8_EEEEPS9_S9_NSD_9__find_if7functorIS9_EEEE10hipError_tPvRmT1_T2_T3_mT4_P12ihipStream_tbEUlT_E1_NS1_11comp_targetILNS1_3genE0ELNS1_11target_archE4294967295ELNS1_3gpuE0ELNS1_3repE0EEENS1_30default_config_static_selectorELNS0_4arch9wavefront6targetE1EEEvS19_
		.amdhsa_group_segment_fixed_size 0
		.amdhsa_private_segment_fixed_size 0
		.amdhsa_kernarg_size 72
		.amdhsa_user_sgpr_count 6
		.amdhsa_user_sgpr_private_segment_buffer 1
		.amdhsa_user_sgpr_dispatch_ptr 0
		.amdhsa_user_sgpr_queue_ptr 0
		.amdhsa_user_sgpr_kernarg_segment_ptr 1
		.amdhsa_user_sgpr_dispatch_id 0
		.amdhsa_user_sgpr_flat_scratch_init 0
		.amdhsa_user_sgpr_kernarg_preload_length 0
		.amdhsa_user_sgpr_kernarg_preload_offset 0
		.amdhsa_user_sgpr_private_segment_size 0
		.amdhsa_uses_dynamic_stack 0
		.amdhsa_system_sgpr_private_segment_wavefront_offset 0
		.amdhsa_system_sgpr_workgroup_id_x 1
		.amdhsa_system_sgpr_workgroup_id_y 0
		.amdhsa_system_sgpr_workgroup_id_z 0
		.amdhsa_system_sgpr_workgroup_info 0
		.amdhsa_system_vgpr_workitem_id 0
		.amdhsa_next_free_vgpr 1
		.amdhsa_next_free_sgpr 0
		.amdhsa_accum_offset 4
		.amdhsa_reserve_vcc 0
		.amdhsa_reserve_flat_scratch 0
		.amdhsa_float_round_mode_32 0
		.amdhsa_float_round_mode_16_64 0
		.amdhsa_float_denorm_mode_32 3
		.amdhsa_float_denorm_mode_16_64 3
		.amdhsa_dx10_clamp 1
		.amdhsa_ieee_mode 1
		.amdhsa_fp16_overflow 0
		.amdhsa_tg_split 0
		.amdhsa_exception_fp_ieee_invalid_op 0
		.amdhsa_exception_fp_denorm_src 0
		.amdhsa_exception_fp_ieee_div_zero 0
		.amdhsa_exception_fp_ieee_overflow 0
		.amdhsa_exception_fp_ieee_underflow 0
		.amdhsa_exception_fp_ieee_inexact 0
		.amdhsa_exception_int_div_zero 0
	.end_amdhsa_kernel
	.section	.text._ZN7rocprim17ROCPRIM_400000_NS6detail17trampoline_kernelINS0_14default_configENS1_22reduce_config_selectorIN6thrust23THRUST_200600_302600_NS5tupleIblNS6_9null_typeES8_S8_S8_S8_S8_S8_S8_EEEEZNS1_11reduce_implILb1ES3_NS6_12zip_iteratorINS7_INS6_11hip_rocprim26transform_input_iterator_tIbPN3c104HalfENS6_6detail10functional5actorINSJ_9compositeIJNSJ_27transparent_binary_operatorINS6_8equal_toIvEEEENSK_INSJ_8argumentILj0EEEEENSJ_5valueISG_EEEEEEEEENSD_19counting_iterator_tIlEES8_S8_S8_S8_S8_S8_S8_S8_EEEEPS9_S9_NSD_9__find_if7functorIS9_EEEE10hipError_tPvRmT1_T2_T3_mT4_P12ihipStream_tbEUlT_E1_NS1_11comp_targetILNS1_3genE0ELNS1_11target_archE4294967295ELNS1_3gpuE0ELNS1_3repE0EEENS1_30default_config_static_selectorELNS0_4arch9wavefront6targetE1EEEvS19_,"axG",@progbits,_ZN7rocprim17ROCPRIM_400000_NS6detail17trampoline_kernelINS0_14default_configENS1_22reduce_config_selectorIN6thrust23THRUST_200600_302600_NS5tupleIblNS6_9null_typeES8_S8_S8_S8_S8_S8_S8_EEEEZNS1_11reduce_implILb1ES3_NS6_12zip_iteratorINS7_INS6_11hip_rocprim26transform_input_iterator_tIbPN3c104HalfENS6_6detail10functional5actorINSJ_9compositeIJNSJ_27transparent_binary_operatorINS6_8equal_toIvEEEENSK_INSJ_8argumentILj0EEEEENSJ_5valueISG_EEEEEEEEENSD_19counting_iterator_tIlEES8_S8_S8_S8_S8_S8_S8_S8_EEEEPS9_S9_NSD_9__find_if7functorIS9_EEEE10hipError_tPvRmT1_T2_T3_mT4_P12ihipStream_tbEUlT_E1_NS1_11comp_targetILNS1_3genE0ELNS1_11target_archE4294967295ELNS1_3gpuE0ELNS1_3repE0EEENS1_30default_config_static_selectorELNS0_4arch9wavefront6targetE1EEEvS19_,comdat
.Lfunc_end2245:
	.size	_ZN7rocprim17ROCPRIM_400000_NS6detail17trampoline_kernelINS0_14default_configENS1_22reduce_config_selectorIN6thrust23THRUST_200600_302600_NS5tupleIblNS6_9null_typeES8_S8_S8_S8_S8_S8_S8_EEEEZNS1_11reduce_implILb1ES3_NS6_12zip_iteratorINS7_INS6_11hip_rocprim26transform_input_iterator_tIbPN3c104HalfENS6_6detail10functional5actorINSJ_9compositeIJNSJ_27transparent_binary_operatorINS6_8equal_toIvEEEENSK_INSJ_8argumentILj0EEEEENSJ_5valueISG_EEEEEEEEENSD_19counting_iterator_tIlEES8_S8_S8_S8_S8_S8_S8_S8_EEEEPS9_S9_NSD_9__find_if7functorIS9_EEEE10hipError_tPvRmT1_T2_T3_mT4_P12ihipStream_tbEUlT_E1_NS1_11comp_targetILNS1_3genE0ELNS1_11target_archE4294967295ELNS1_3gpuE0ELNS1_3repE0EEENS1_30default_config_static_selectorELNS0_4arch9wavefront6targetE1EEEvS19_, .Lfunc_end2245-_ZN7rocprim17ROCPRIM_400000_NS6detail17trampoline_kernelINS0_14default_configENS1_22reduce_config_selectorIN6thrust23THRUST_200600_302600_NS5tupleIblNS6_9null_typeES8_S8_S8_S8_S8_S8_S8_EEEEZNS1_11reduce_implILb1ES3_NS6_12zip_iteratorINS7_INS6_11hip_rocprim26transform_input_iterator_tIbPN3c104HalfENS6_6detail10functional5actorINSJ_9compositeIJNSJ_27transparent_binary_operatorINS6_8equal_toIvEEEENSK_INSJ_8argumentILj0EEEEENSJ_5valueISG_EEEEEEEEENSD_19counting_iterator_tIlEES8_S8_S8_S8_S8_S8_S8_S8_EEEEPS9_S9_NSD_9__find_if7functorIS9_EEEE10hipError_tPvRmT1_T2_T3_mT4_P12ihipStream_tbEUlT_E1_NS1_11comp_targetILNS1_3genE0ELNS1_11target_archE4294967295ELNS1_3gpuE0ELNS1_3repE0EEENS1_30default_config_static_selectorELNS0_4arch9wavefront6targetE1EEEvS19_
                                        ; -- End function
	.section	.AMDGPU.csdata,"",@progbits
; Kernel info:
; codeLenInByte = 0
; NumSgprs: 4
; NumVgprs: 0
; NumAgprs: 0
; TotalNumVgprs: 0
; ScratchSize: 0
; MemoryBound: 0
; FloatMode: 240
; IeeeMode: 1
; LDSByteSize: 0 bytes/workgroup (compile time only)
; SGPRBlocks: 0
; VGPRBlocks: 0
; NumSGPRsForWavesPerEU: 4
; NumVGPRsForWavesPerEU: 1
; AccumOffset: 4
; Occupancy: 8
; WaveLimiterHint : 0
; COMPUTE_PGM_RSRC2:SCRATCH_EN: 0
; COMPUTE_PGM_RSRC2:USER_SGPR: 6
; COMPUTE_PGM_RSRC2:TRAP_HANDLER: 0
; COMPUTE_PGM_RSRC2:TGID_X_EN: 1
; COMPUTE_PGM_RSRC2:TGID_Y_EN: 0
; COMPUTE_PGM_RSRC2:TGID_Z_EN: 0
; COMPUTE_PGM_RSRC2:TIDIG_COMP_CNT: 0
; COMPUTE_PGM_RSRC3_GFX90A:ACCUM_OFFSET: 0
; COMPUTE_PGM_RSRC3_GFX90A:TG_SPLIT: 0
	.section	.text._ZN7rocprim17ROCPRIM_400000_NS6detail17trampoline_kernelINS0_14default_configENS1_22reduce_config_selectorIN6thrust23THRUST_200600_302600_NS5tupleIblNS6_9null_typeES8_S8_S8_S8_S8_S8_S8_EEEEZNS1_11reduce_implILb1ES3_NS6_12zip_iteratorINS7_INS6_11hip_rocprim26transform_input_iterator_tIbPN3c104HalfENS6_6detail10functional5actorINSJ_9compositeIJNSJ_27transparent_binary_operatorINS6_8equal_toIvEEEENSK_INSJ_8argumentILj0EEEEENSJ_5valueISG_EEEEEEEEENSD_19counting_iterator_tIlEES8_S8_S8_S8_S8_S8_S8_S8_EEEEPS9_S9_NSD_9__find_if7functorIS9_EEEE10hipError_tPvRmT1_T2_T3_mT4_P12ihipStream_tbEUlT_E1_NS1_11comp_targetILNS1_3genE5ELNS1_11target_archE942ELNS1_3gpuE9ELNS1_3repE0EEENS1_30default_config_static_selectorELNS0_4arch9wavefront6targetE1EEEvS19_,"axG",@progbits,_ZN7rocprim17ROCPRIM_400000_NS6detail17trampoline_kernelINS0_14default_configENS1_22reduce_config_selectorIN6thrust23THRUST_200600_302600_NS5tupleIblNS6_9null_typeES8_S8_S8_S8_S8_S8_S8_EEEEZNS1_11reduce_implILb1ES3_NS6_12zip_iteratorINS7_INS6_11hip_rocprim26transform_input_iterator_tIbPN3c104HalfENS6_6detail10functional5actorINSJ_9compositeIJNSJ_27transparent_binary_operatorINS6_8equal_toIvEEEENSK_INSJ_8argumentILj0EEEEENSJ_5valueISG_EEEEEEEEENSD_19counting_iterator_tIlEES8_S8_S8_S8_S8_S8_S8_S8_EEEEPS9_S9_NSD_9__find_if7functorIS9_EEEE10hipError_tPvRmT1_T2_T3_mT4_P12ihipStream_tbEUlT_E1_NS1_11comp_targetILNS1_3genE5ELNS1_11target_archE942ELNS1_3gpuE9ELNS1_3repE0EEENS1_30default_config_static_selectorELNS0_4arch9wavefront6targetE1EEEvS19_,comdat
	.protected	_ZN7rocprim17ROCPRIM_400000_NS6detail17trampoline_kernelINS0_14default_configENS1_22reduce_config_selectorIN6thrust23THRUST_200600_302600_NS5tupleIblNS6_9null_typeES8_S8_S8_S8_S8_S8_S8_EEEEZNS1_11reduce_implILb1ES3_NS6_12zip_iteratorINS7_INS6_11hip_rocprim26transform_input_iterator_tIbPN3c104HalfENS6_6detail10functional5actorINSJ_9compositeIJNSJ_27transparent_binary_operatorINS6_8equal_toIvEEEENSK_INSJ_8argumentILj0EEEEENSJ_5valueISG_EEEEEEEEENSD_19counting_iterator_tIlEES8_S8_S8_S8_S8_S8_S8_S8_EEEEPS9_S9_NSD_9__find_if7functorIS9_EEEE10hipError_tPvRmT1_T2_T3_mT4_P12ihipStream_tbEUlT_E1_NS1_11comp_targetILNS1_3genE5ELNS1_11target_archE942ELNS1_3gpuE9ELNS1_3repE0EEENS1_30default_config_static_selectorELNS0_4arch9wavefront6targetE1EEEvS19_ ; -- Begin function _ZN7rocprim17ROCPRIM_400000_NS6detail17trampoline_kernelINS0_14default_configENS1_22reduce_config_selectorIN6thrust23THRUST_200600_302600_NS5tupleIblNS6_9null_typeES8_S8_S8_S8_S8_S8_S8_EEEEZNS1_11reduce_implILb1ES3_NS6_12zip_iteratorINS7_INS6_11hip_rocprim26transform_input_iterator_tIbPN3c104HalfENS6_6detail10functional5actorINSJ_9compositeIJNSJ_27transparent_binary_operatorINS6_8equal_toIvEEEENSK_INSJ_8argumentILj0EEEEENSJ_5valueISG_EEEEEEEEENSD_19counting_iterator_tIlEES8_S8_S8_S8_S8_S8_S8_S8_EEEEPS9_S9_NSD_9__find_if7functorIS9_EEEE10hipError_tPvRmT1_T2_T3_mT4_P12ihipStream_tbEUlT_E1_NS1_11comp_targetILNS1_3genE5ELNS1_11target_archE942ELNS1_3gpuE9ELNS1_3repE0EEENS1_30default_config_static_selectorELNS0_4arch9wavefront6targetE1EEEvS19_
	.globl	_ZN7rocprim17ROCPRIM_400000_NS6detail17trampoline_kernelINS0_14default_configENS1_22reduce_config_selectorIN6thrust23THRUST_200600_302600_NS5tupleIblNS6_9null_typeES8_S8_S8_S8_S8_S8_S8_EEEEZNS1_11reduce_implILb1ES3_NS6_12zip_iteratorINS7_INS6_11hip_rocprim26transform_input_iterator_tIbPN3c104HalfENS6_6detail10functional5actorINSJ_9compositeIJNSJ_27transparent_binary_operatorINS6_8equal_toIvEEEENSK_INSJ_8argumentILj0EEEEENSJ_5valueISG_EEEEEEEEENSD_19counting_iterator_tIlEES8_S8_S8_S8_S8_S8_S8_S8_EEEEPS9_S9_NSD_9__find_if7functorIS9_EEEE10hipError_tPvRmT1_T2_T3_mT4_P12ihipStream_tbEUlT_E1_NS1_11comp_targetILNS1_3genE5ELNS1_11target_archE942ELNS1_3gpuE9ELNS1_3repE0EEENS1_30default_config_static_selectorELNS0_4arch9wavefront6targetE1EEEvS19_
	.p2align	8
	.type	_ZN7rocprim17ROCPRIM_400000_NS6detail17trampoline_kernelINS0_14default_configENS1_22reduce_config_selectorIN6thrust23THRUST_200600_302600_NS5tupleIblNS6_9null_typeES8_S8_S8_S8_S8_S8_S8_EEEEZNS1_11reduce_implILb1ES3_NS6_12zip_iteratorINS7_INS6_11hip_rocprim26transform_input_iterator_tIbPN3c104HalfENS6_6detail10functional5actorINSJ_9compositeIJNSJ_27transparent_binary_operatorINS6_8equal_toIvEEEENSK_INSJ_8argumentILj0EEEEENSJ_5valueISG_EEEEEEEEENSD_19counting_iterator_tIlEES8_S8_S8_S8_S8_S8_S8_S8_EEEEPS9_S9_NSD_9__find_if7functorIS9_EEEE10hipError_tPvRmT1_T2_T3_mT4_P12ihipStream_tbEUlT_E1_NS1_11comp_targetILNS1_3genE5ELNS1_11target_archE942ELNS1_3gpuE9ELNS1_3repE0EEENS1_30default_config_static_selectorELNS0_4arch9wavefront6targetE1EEEvS19_,@function
_ZN7rocprim17ROCPRIM_400000_NS6detail17trampoline_kernelINS0_14default_configENS1_22reduce_config_selectorIN6thrust23THRUST_200600_302600_NS5tupleIblNS6_9null_typeES8_S8_S8_S8_S8_S8_S8_EEEEZNS1_11reduce_implILb1ES3_NS6_12zip_iteratorINS7_INS6_11hip_rocprim26transform_input_iterator_tIbPN3c104HalfENS6_6detail10functional5actorINSJ_9compositeIJNSJ_27transparent_binary_operatorINS6_8equal_toIvEEEENSK_INSJ_8argumentILj0EEEEENSJ_5valueISG_EEEEEEEEENSD_19counting_iterator_tIlEES8_S8_S8_S8_S8_S8_S8_S8_EEEEPS9_S9_NSD_9__find_if7functorIS9_EEEE10hipError_tPvRmT1_T2_T3_mT4_P12ihipStream_tbEUlT_E1_NS1_11comp_targetILNS1_3genE5ELNS1_11target_archE942ELNS1_3gpuE9ELNS1_3repE0EEENS1_30default_config_static_selectorELNS0_4arch9wavefront6targetE1EEEvS19_: ; @_ZN7rocprim17ROCPRIM_400000_NS6detail17trampoline_kernelINS0_14default_configENS1_22reduce_config_selectorIN6thrust23THRUST_200600_302600_NS5tupleIblNS6_9null_typeES8_S8_S8_S8_S8_S8_S8_EEEEZNS1_11reduce_implILb1ES3_NS6_12zip_iteratorINS7_INS6_11hip_rocprim26transform_input_iterator_tIbPN3c104HalfENS6_6detail10functional5actorINSJ_9compositeIJNSJ_27transparent_binary_operatorINS6_8equal_toIvEEEENSK_INSJ_8argumentILj0EEEEENSJ_5valueISG_EEEEEEEEENSD_19counting_iterator_tIlEES8_S8_S8_S8_S8_S8_S8_S8_EEEEPS9_S9_NSD_9__find_if7functorIS9_EEEE10hipError_tPvRmT1_T2_T3_mT4_P12ihipStream_tbEUlT_E1_NS1_11comp_targetILNS1_3genE5ELNS1_11target_archE942ELNS1_3gpuE9ELNS1_3repE0EEENS1_30default_config_static_selectorELNS0_4arch9wavefront6targetE1EEEvS19_
; %bb.0:
	.section	.rodata,"a",@progbits
	.p2align	6, 0x0
	.amdhsa_kernel _ZN7rocprim17ROCPRIM_400000_NS6detail17trampoline_kernelINS0_14default_configENS1_22reduce_config_selectorIN6thrust23THRUST_200600_302600_NS5tupleIblNS6_9null_typeES8_S8_S8_S8_S8_S8_S8_EEEEZNS1_11reduce_implILb1ES3_NS6_12zip_iteratorINS7_INS6_11hip_rocprim26transform_input_iterator_tIbPN3c104HalfENS6_6detail10functional5actorINSJ_9compositeIJNSJ_27transparent_binary_operatorINS6_8equal_toIvEEEENSK_INSJ_8argumentILj0EEEEENSJ_5valueISG_EEEEEEEEENSD_19counting_iterator_tIlEES8_S8_S8_S8_S8_S8_S8_S8_EEEEPS9_S9_NSD_9__find_if7functorIS9_EEEE10hipError_tPvRmT1_T2_T3_mT4_P12ihipStream_tbEUlT_E1_NS1_11comp_targetILNS1_3genE5ELNS1_11target_archE942ELNS1_3gpuE9ELNS1_3repE0EEENS1_30default_config_static_selectorELNS0_4arch9wavefront6targetE1EEEvS19_
		.amdhsa_group_segment_fixed_size 0
		.amdhsa_private_segment_fixed_size 0
		.amdhsa_kernarg_size 72
		.amdhsa_user_sgpr_count 6
		.amdhsa_user_sgpr_private_segment_buffer 1
		.amdhsa_user_sgpr_dispatch_ptr 0
		.amdhsa_user_sgpr_queue_ptr 0
		.amdhsa_user_sgpr_kernarg_segment_ptr 1
		.amdhsa_user_sgpr_dispatch_id 0
		.amdhsa_user_sgpr_flat_scratch_init 0
		.amdhsa_user_sgpr_kernarg_preload_length 0
		.amdhsa_user_sgpr_kernarg_preload_offset 0
		.amdhsa_user_sgpr_private_segment_size 0
		.amdhsa_uses_dynamic_stack 0
		.amdhsa_system_sgpr_private_segment_wavefront_offset 0
		.amdhsa_system_sgpr_workgroup_id_x 1
		.amdhsa_system_sgpr_workgroup_id_y 0
		.amdhsa_system_sgpr_workgroup_id_z 0
		.amdhsa_system_sgpr_workgroup_info 0
		.amdhsa_system_vgpr_workitem_id 0
		.amdhsa_next_free_vgpr 1
		.amdhsa_next_free_sgpr 0
		.amdhsa_accum_offset 4
		.amdhsa_reserve_vcc 0
		.amdhsa_reserve_flat_scratch 0
		.amdhsa_float_round_mode_32 0
		.amdhsa_float_round_mode_16_64 0
		.amdhsa_float_denorm_mode_32 3
		.amdhsa_float_denorm_mode_16_64 3
		.amdhsa_dx10_clamp 1
		.amdhsa_ieee_mode 1
		.amdhsa_fp16_overflow 0
		.amdhsa_tg_split 0
		.amdhsa_exception_fp_ieee_invalid_op 0
		.amdhsa_exception_fp_denorm_src 0
		.amdhsa_exception_fp_ieee_div_zero 0
		.amdhsa_exception_fp_ieee_overflow 0
		.amdhsa_exception_fp_ieee_underflow 0
		.amdhsa_exception_fp_ieee_inexact 0
		.amdhsa_exception_int_div_zero 0
	.end_amdhsa_kernel
	.section	.text._ZN7rocprim17ROCPRIM_400000_NS6detail17trampoline_kernelINS0_14default_configENS1_22reduce_config_selectorIN6thrust23THRUST_200600_302600_NS5tupleIblNS6_9null_typeES8_S8_S8_S8_S8_S8_S8_EEEEZNS1_11reduce_implILb1ES3_NS6_12zip_iteratorINS7_INS6_11hip_rocprim26transform_input_iterator_tIbPN3c104HalfENS6_6detail10functional5actorINSJ_9compositeIJNSJ_27transparent_binary_operatorINS6_8equal_toIvEEEENSK_INSJ_8argumentILj0EEEEENSJ_5valueISG_EEEEEEEEENSD_19counting_iterator_tIlEES8_S8_S8_S8_S8_S8_S8_S8_EEEEPS9_S9_NSD_9__find_if7functorIS9_EEEE10hipError_tPvRmT1_T2_T3_mT4_P12ihipStream_tbEUlT_E1_NS1_11comp_targetILNS1_3genE5ELNS1_11target_archE942ELNS1_3gpuE9ELNS1_3repE0EEENS1_30default_config_static_selectorELNS0_4arch9wavefront6targetE1EEEvS19_,"axG",@progbits,_ZN7rocprim17ROCPRIM_400000_NS6detail17trampoline_kernelINS0_14default_configENS1_22reduce_config_selectorIN6thrust23THRUST_200600_302600_NS5tupleIblNS6_9null_typeES8_S8_S8_S8_S8_S8_S8_EEEEZNS1_11reduce_implILb1ES3_NS6_12zip_iteratorINS7_INS6_11hip_rocprim26transform_input_iterator_tIbPN3c104HalfENS6_6detail10functional5actorINSJ_9compositeIJNSJ_27transparent_binary_operatorINS6_8equal_toIvEEEENSK_INSJ_8argumentILj0EEEEENSJ_5valueISG_EEEEEEEEENSD_19counting_iterator_tIlEES8_S8_S8_S8_S8_S8_S8_S8_EEEEPS9_S9_NSD_9__find_if7functorIS9_EEEE10hipError_tPvRmT1_T2_T3_mT4_P12ihipStream_tbEUlT_E1_NS1_11comp_targetILNS1_3genE5ELNS1_11target_archE942ELNS1_3gpuE9ELNS1_3repE0EEENS1_30default_config_static_selectorELNS0_4arch9wavefront6targetE1EEEvS19_,comdat
.Lfunc_end2246:
	.size	_ZN7rocprim17ROCPRIM_400000_NS6detail17trampoline_kernelINS0_14default_configENS1_22reduce_config_selectorIN6thrust23THRUST_200600_302600_NS5tupleIblNS6_9null_typeES8_S8_S8_S8_S8_S8_S8_EEEEZNS1_11reduce_implILb1ES3_NS6_12zip_iteratorINS7_INS6_11hip_rocprim26transform_input_iterator_tIbPN3c104HalfENS6_6detail10functional5actorINSJ_9compositeIJNSJ_27transparent_binary_operatorINS6_8equal_toIvEEEENSK_INSJ_8argumentILj0EEEEENSJ_5valueISG_EEEEEEEEENSD_19counting_iterator_tIlEES8_S8_S8_S8_S8_S8_S8_S8_EEEEPS9_S9_NSD_9__find_if7functorIS9_EEEE10hipError_tPvRmT1_T2_T3_mT4_P12ihipStream_tbEUlT_E1_NS1_11comp_targetILNS1_3genE5ELNS1_11target_archE942ELNS1_3gpuE9ELNS1_3repE0EEENS1_30default_config_static_selectorELNS0_4arch9wavefront6targetE1EEEvS19_, .Lfunc_end2246-_ZN7rocprim17ROCPRIM_400000_NS6detail17trampoline_kernelINS0_14default_configENS1_22reduce_config_selectorIN6thrust23THRUST_200600_302600_NS5tupleIblNS6_9null_typeES8_S8_S8_S8_S8_S8_S8_EEEEZNS1_11reduce_implILb1ES3_NS6_12zip_iteratorINS7_INS6_11hip_rocprim26transform_input_iterator_tIbPN3c104HalfENS6_6detail10functional5actorINSJ_9compositeIJNSJ_27transparent_binary_operatorINS6_8equal_toIvEEEENSK_INSJ_8argumentILj0EEEEENSJ_5valueISG_EEEEEEEEENSD_19counting_iterator_tIlEES8_S8_S8_S8_S8_S8_S8_S8_EEEEPS9_S9_NSD_9__find_if7functorIS9_EEEE10hipError_tPvRmT1_T2_T3_mT4_P12ihipStream_tbEUlT_E1_NS1_11comp_targetILNS1_3genE5ELNS1_11target_archE942ELNS1_3gpuE9ELNS1_3repE0EEENS1_30default_config_static_selectorELNS0_4arch9wavefront6targetE1EEEvS19_
                                        ; -- End function
	.section	.AMDGPU.csdata,"",@progbits
; Kernel info:
; codeLenInByte = 0
; NumSgprs: 4
; NumVgprs: 0
; NumAgprs: 0
; TotalNumVgprs: 0
; ScratchSize: 0
; MemoryBound: 0
; FloatMode: 240
; IeeeMode: 1
; LDSByteSize: 0 bytes/workgroup (compile time only)
; SGPRBlocks: 0
; VGPRBlocks: 0
; NumSGPRsForWavesPerEU: 4
; NumVGPRsForWavesPerEU: 1
; AccumOffset: 4
; Occupancy: 8
; WaveLimiterHint : 0
; COMPUTE_PGM_RSRC2:SCRATCH_EN: 0
; COMPUTE_PGM_RSRC2:USER_SGPR: 6
; COMPUTE_PGM_RSRC2:TRAP_HANDLER: 0
; COMPUTE_PGM_RSRC2:TGID_X_EN: 1
; COMPUTE_PGM_RSRC2:TGID_Y_EN: 0
; COMPUTE_PGM_RSRC2:TGID_Z_EN: 0
; COMPUTE_PGM_RSRC2:TIDIG_COMP_CNT: 0
; COMPUTE_PGM_RSRC3_GFX90A:ACCUM_OFFSET: 0
; COMPUTE_PGM_RSRC3_GFX90A:TG_SPLIT: 0
	.section	.text._ZN7rocprim17ROCPRIM_400000_NS6detail17trampoline_kernelINS0_14default_configENS1_22reduce_config_selectorIN6thrust23THRUST_200600_302600_NS5tupleIblNS6_9null_typeES8_S8_S8_S8_S8_S8_S8_EEEEZNS1_11reduce_implILb1ES3_NS6_12zip_iteratorINS7_INS6_11hip_rocprim26transform_input_iterator_tIbPN3c104HalfENS6_6detail10functional5actorINSJ_9compositeIJNSJ_27transparent_binary_operatorINS6_8equal_toIvEEEENSK_INSJ_8argumentILj0EEEEENSJ_5valueISG_EEEEEEEEENSD_19counting_iterator_tIlEES8_S8_S8_S8_S8_S8_S8_S8_EEEEPS9_S9_NSD_9__find_if7functorIS9_EEEE10hipError_tPvRmT1_T2_T3_mT4_P12ihipStream_tbEUlT_E1_NS1_11comp_targetILNS1_3genE4ELNS1_11target_archE910ELNS1_3gpuE8ELNS1_3repE0EEENS1_30default_config_static_selectorELNS0_4arch9wavefront6targetE1EEEvS19_,"axG",@progbits,_ZN7rocprim17ROCPRIM_400000_NS6detail17trampoline_kernelINS0_14default_configENS1_22reduce_config_selectorIN6thrust23THRUST_200600_302600_NS5tupleIblNS6_9null_typeES8_S8_S8_S8_S8_S8_S8_EEEEZNS1_11reduce_implILb1ES3_NS6_12zip_iteratorINS7_INS6_11hip_rocprim26transform_input_iterator_tIbPN3c104HalfENS6_6detail10functional5actorINSJ_9compositeIJNSJ_27transparent_binary_operatorINS6_8equal_toIvEEEENSK_INSJ_8argumentILj0EEEEENSJ_5valueISG_EEEEEEEEENSD_19counting_iterator_tIlEES8_S8_S8_S8_S8_S8_S8_S8_EEEEPS9_S9_NSD_9__find_if7functorIS9_EEEE10hipError_tPvRmT1_T2_T3_mT4_P12ihipStream_tbEUlT_E1_NS1_11comp_targetILNS1_3genE4ELNS1_11target_archE910ELNS1_3gpuE8ELNS1_3repE0EEENS1_30default_config_static_selectorELNS0_4arch9wavefront6targetE1EEEvS19_,comdat
	.protected	_ZN7rocprim17ROCPRIM_400000_NS6detail17trampoline_kernelINS0_14default_configENS1_22reduce_config_selectorIN6thrust23THRUST_200600_302600_NS5tupleIblNS6_9null_typeES8_S8_S8_S8_S8_S8_S8_EEEEZNS1_11reduce_implILb1ES3_NS6_12zip_iteratorINS7_INS6_11hip_rocprim26transform_input_iterator_tIbPN3c104HalfENS6_6detail10functional5actorINSJ_9compositeIJNSJ_27transparent_binary_operatorINS6_8equal_toIvEEEENSK_INSJ_8argumentILj0EEEEENSJ_5valueISG_EEEEEEEEENSD_19counting_iterator_tIlEES8_S8_S8_S8_S8_S8_S8_S8_EEEEPS9_S9_NSD_9__find_if7functorIS9_EEEE10hipError_tPvRmT1_T2_T3_mT4_P12ihipStream_tbEUlT_E1_NS1_11comp_targetILNS1_3genE4ELNS1_11target_archE910ELNS1_3gpuE8ELNS1_3repE0EEENS1_30default_config_static_selectorELNS0_4arch9wavefront6targetE1EEEvS19_ ; -- Begin function _ZN7rocprim17ROCPRIM_400000_NS6detail17trampoline_kernelINS0_14default_configENS1_22reduce_config_selectorIN6thrust23THRUST_200600_302600_NS5tupleIblNS6_9null_typeES8_S8_S8_S8_S8_S8_S8_EEEEZNS1_11reduce_implILb1ES3_NS6_12zip_iteratorINS7_INS6_11hip_rocprim26transform_input_iterator_tIbPN3c104HalfENS6_6detail10functional5actorINSJ_9compositeIJNSJ_27transparent_binary_operatorINS6_8equal_toIvEEEENSK_INSJ_8argumentILj0EEEEENSJ_5valueISG_EEEEEEEEENSD_19counting_iterator_tIlEES8_S8_S8_S8_S8_S8_S8_S8_EEEEPS9_S9_NSD_9__find_if7functorIS9_EEEE10hipError_tPvRmT1_T2_T3_mT4_P12ihipStream_tbEUlT_E1_NS1_11comp_targetILNS1_3genE4ELNS1_11target_archE910ELNS1_3gpuE8ELNS1_3repE0EEENS1_30default_config_static_selectorELNS0_4arch9wavefront6targetE1EEEvS19_
	.globl	_ZN7rocprim17ROCPRIM_400000_NS6detail17trampoline_kernelINS0_14default_configENS1_22reduce_config_selectorIN6thrust23THRUST_200600_302600_NS5tupleIblNS6_9null_typeES8_S8_S8_S8_S8_S8_S8_EEEEZNS1_11reduce_implILb1ES3_NS6_12zip_iteratorINS7_INS6_11hip_rocprim26transform_input_iterator_tIbPN3c104HalfENS6_6detail10functional5actorINSJ_9compositeIJNSJ_27transparent_binary_operatorINS6_8equal_toIvEEEENSK_INSJ_8argumentILj0EEEEENSJ_5valueISG_EEEEEEEEENSD_19counting_iterator_tIlEES8_S8_S8_S8_S8_S8_S8_S8_EEEEPS9_S9_NSD_9__find_if7functorIS9_EEEE10hipError_tPvRmT1_T2_T3_mT4_P12ihipStream_tbEUlT_E1_NS1_11comp_targetILNS1_3genE4ELNS1_11target_archE910ELNS1_3gpuE8ELNS1_3repE0EEENS1_30default_config_static_selectorELNS0_4arch9wavefront6targetE1EEEvS19_
	.p2align	8
	.type	_ZN7rocprim17ROCPRIM_400000_NS6detail17trampoline_kernelINS0_14default_configENS1_22reduce_config_selectorIN6thrust23THRUST_200600_302600_NS5tupleIblNS6_9null_typeES8_S8_S8_S8_S8_S8_S8_EEEEZNS1_11reduce_implILb1ES3_NS6_12zip_iteratorINS7_INS6_11hip_rocprim26transform_input_iterator_tIbPN3c104HalfENS6_6detail10functional5actorINSJ_9compositeIJNSJ_27transparent_binary_operatorINS6_8equal_toIvEEEENSK_INSJ_8argumentILj0EEEEENSJ_5valueISG_EEEEEEEEENSD_19counting_iterator_tIlEES8_S8_S8_S8_S8_S8_S8_S8_EEEEPS9_S9_NSD_9__find_if7functorIS9_EEEE10hipError_tPvRmT1_T2_T3_mT4_P12ihipStream_tbEUlT_E1_NS1_11comp_targetILNS1_3genE4ELNS1_11target_archE910ELNS1_3gpuE8ELNS1_3repE0EEENS1_30default_config_static_selectorELNS0_4arch9wavefront6targetE1EEEvS19_,@function
_ZN7rocprim17ROCPRIM_400000_NS6detail17trampoline_kernelINS0_14default_configENS1_22reduce_config_selectorIN6thrust23THRUST_200600_302600_NS5tupleIblNS6_9null_typeES8_S8_S8_S8_S8_S8_S8_EEEEZNS1_11reduce_implILb1ES3_NS6_12zip_iteratorINS7_INS6_11hip_rocprim26transform_input_iterator_tIbPN3c104HalfENS6_6detail10functional5actorINSJ_9compositeIJNSJ_27transparent_binary_operatorINS6_8equal_toIvEEEENSK_INSJ_8argumentILj0EEEEENSJ_5valueISG_EEEEEEEEENSD_19counting_iterator_tIlEES8_S8_S8_S8_S8_S8_S8_S8_EEEEPS9_S9_NSD_9__find_if7functorIS9_EEEE10hipError_tPvRmT1_T2_T3_mT4_P12ihipStream_tbEUlT_E1_NS1_11comp_targetILNS1_3genE4ELNS1_11target_archE910ELNS1_3gpuE8ELNS1_3repE0EEENS1_30default_config_static_selectorELNS0_4arch9wavefront6targetE1EEEvS19_: ; @_ZN7rocprim17ROCPRIM_400000_NS6detail17trampoline_kernelINS0_14default_configENS1_22reduce_config_selectorIN6thrust23THRUST_200600_302600_NS5tupleIblNS6_9null_typeES8_S8_S8_S8_S8_S8_S8_EEEEZNS1_11reduce_implILb1ES3_NS6_12zip_iteratorINS7_INS6_11hip_rocprim26transform_input_iterator_tIbPN3c104HalfENS6_6detail10functional5actorINSJ_9compositeIJNSJ_27transparent_binary_operatorINS6_8equal_toIvEEEENSK_INSJ_8argumentILj0EEEEENSJ_5valueISG_EEEEEEEEENSD_19counting_iterator_tIlEES8_S8_S8_S8_S8_S8_S8_S8_EEEEPS9_S9_NSD_9__find_if7functorIS9_EEEE10hipError_tPvRmT1_T2_T3_mT4_P12ihipStream_tbEUlT_E1_NS1_11comp_targetILNS1_3genE4ELNS1_11target_archE910ELNS1_3gpuE8ELNS1_3repE0EEENS1_30default_config_static_selectorELNS0_4arch9wavefront6targetE1EEEvS19_
; %bb.0:
	s_load_dword s35, s[4:5], 0x4
	s_load_dwordx2 s[24:25], s[4:5], 0x8
	s_load_dword s0, s[4:5], 0x10
	s_load_dwordx4 s[20:23], s[4:5], 0x18
	s_load_dword s33, s[4:5], 0x30
	s_load_dwordx2 s[18:19], s[4:5], 0x38
	s_waitcnt lgkmcnt(0)
	s_lshr_b32 s34, s0, 16
	s_cmp_lt_i32 s35, 4
	s_cbranch_scc1 .LBB2247_21
; %bb.1:
	s_cmp_gt_i32 s35, 7
	s_cbranch_scc0 .LBB2247_22
; %bb.2:
	s_cmp_eq_u32 s35, 8
	s_mov_b64 s[26:27], 0
	s_cbranch_scc0 .LBB2247_23
; %bb.3:
	s_mov_b32 s7, 0
	s_lshl_b32 s30, s6, 11
	s_mov_b32 s31, s7
	s_lshr_b64 s[0:1], s[22:23], 11
	s_lshl_b64 s[2:3], s[30:31], 1
	s_add_u32 s28, s24, s2
	s_addc_u32 s29, s25, s3
	s_add_u32 s36, s20, s30
	s_addc_u32 s37, s21, 0
	s_cmp_lg_u64 s[0:1], s[6:7]
	s_cbranch_scc0 .LBB2247_44
; %bb.4:
	v_lshlrev_b32_e32 v1, 1, v0
	global_load_ushort v2, v1, s[28:29] offset:1024
	global_load_ushort v3, v1, s[28:29] offset:2048
	global_load_ushort v4, v1, s[28:29] offset:3072
	global_load_ushort v5, v1, s[28:29] offset:3584
	global_load_ushort v6, v1, s[28:29] offset:512
	global_load_ushort v7, v1, s[28:29] offset:1536
	global_load_ushort v8, v1, s[28:29] offset:2560
	global_load_ushort v9, v1, s[28:29]
	v_mov_b32_e32 v1, s37
	v_add_co_u32_e32 v17, vcc, s36, v0
	v_mov_b32_e32 v10, 0x200
	v_mov_b32_e32 v11, 0x100
	v_addc_co_u32_e32 v1, vcc, 0, v1, vcc
	v_mov_b32_e32 v12, 0x400
	v_mov_b32_e32 v13, 0x300
	;; [unrolled: 1-line block ×5, first 2 shown]
	s_waitcnt vmcnt(7)
	v_cmp_eq_f16_e32 vcc, s34, v2
	s_waitcnt vmcnt(6)
	v_cmp_eq_f16_e64 s[0:1], s34, v3
	s_waitcnt vmcnt(5)
	v_cmp_eq_f16_e64 s[2:3], s34, v4
	;; [unrolled: 2-line block ×4, first 2 shown]
	v_cndmask_b32_e64 v2, v10, v11, s[10:11]
	s_waitcnt vmcnt(2)
	v_cmp_eq_f16_e64 s[12:13], s34, v7
	s_waitcnt vmcnt(0)
	v_cmp_eq_f16_e64 s[16:17], s34, v9
	s_or_b64 s[10:11], s[16:17], s[10:11]
	s_or_b64 vcc, s[10:11], vcc
	v_cndmask_b32_e64 v3, v12, v13, s[12:13]
	v_cndmask_b32_e64 v2, v2, 0, s[16:17]
	s_or_b64 s[10:11], vcc, s[12:13]
	v_cmp_eq_f16_e64 s[14:15], s34, v8
	v_cndmask_b32_e32 v2, v3, v2, vcc
	s_or_b64 vcc, s[10:11], s[0:1]
	v_cndmask_b32_e64 v4, v14, v15, s[14:15]
	s_or_b64 s[0:1], vcc, s[14:15]
	v_cndmask_b32_e32 v2, v4, v2, vcc
	s_or_b64 vcc, s[0:1], s[2:3]
	v_cndmask_b32_e32 v2, v16, v2, vcc
	v_add_co_u32_e64 v2, s[0:1], v17, v2
	v_addc_co_u32_e64 v3, s[0:1], 0, v1, s[0:1]
	s_or_b64 s[0:1], vcc, s[8:9]
	v_cndmask_b32_e64 v1, 0, 1, s[0:1]
	v_mov_b32_dpp v4, v2 quad_perm:[1,0,3,2] row_mask:0xf bank_mask:0xf bound_ctrl:1
	v_mov_b32_dpp v5, v3 quad_perm:[1,0,3,2] row_mask:0xf bank_mask:0xf bound_ctrl:1
	;; [unrolled: 1-line block ×3, first 2 shown]
	v_and_b32_e32 v7, 1, v6
	v_cmp_eq_u32_e32 vcc, 1, v7
	s_and_saveexec_b64 s[2:3], vcc
; %bb.5:
	v_cmp_lt_i64_e32 vcc, v[2:3], v[4:5]
	v_cndmask_b32_e64 v6, v6, 1, s[0:1]
	s_and_b64 vcc, s[0:1], vcc
	v_cndmask_b32_e32 v2, v4, v2, vcc
	v_and_b32_e32 v4, 1, v6
	v_cndmask_b32_e32 v3, v5, v3, vcc
	v_cmp_eq_u32_e32 vcc, 1, v4
	s_andn2_b64 s[0:1], s[0:1], exec
	s_and_b64 s[8:9], vcc, exec
	v_and_b32_e32 v1, 0xff, v6
	s_or_b64 s[0:1], s[0:1], s[8:9]
; %bb.6:
	s_or_b64 exec, exec, s[2:3]
	v_mov_b32_dpp v6, v1 quad_perm:[2,3,0,1] row_mask:0xf bank_mask:0xf bound_ctrl:1
	v_and_b32_e32 v7, 1, v6
	v_mov_b32_dpp v4, v2 quad_perm:[2,3,0,1] row_mask:0xf bank_mask:0xf bound_ctrl:1
	v_mov_b32_dpp v5, v3 quad_perm:[2,3,0,1] row_mask:0xf bank_mask:0xf bound_ctrl:1
	v_cmp_eq_u32_e32 vcc, 1, v7
	s_and_saveexec_b64 s[2:3], vcc
; %bb.7:
	v_cmp_lt_i64_e32 vcc, v[2:3], v[4:5]
	v_cndmask_b32_e64 v6, v6, 1, s[0:1]
	s_and_b64 vcc, s[0:1], vcc
	v_cndmask_b32_e32 v2, v4, v2, vcc
	v_and_b32_e32 v4, 1, v6
	v_cndmask_b32_e32 v3, v5, v3, vcc
	v_cmp_eq_u32_e32 vcc, 1, v4
	s_andn2_b64 s[0:1], s[0:1], exec
	s_and_b64 s[8:9], vcc, exec
	v_and_b32_e32 v1, 0xff, v6
	s_or_b64 s[0:1], s[0:1], s[8:9]
; %bb.8:
	s_or_b64 exec, exec, s[2:3]
	v_mov_b32_dpp v6, v1 row_ror:4 row_mask:0xf bank_mask:0xf bound_ctrl:1
	v_and_b32_e32 v7, 1, v6
	v_mov_b32_dpp v4, v2 row_ror:4 row_mask:0xf bank_mask:0xf bound_ctrl:1
	v_mov_b32_dpp v5, v3 row_ror:4 row_mask:0xf bank_mask:0xf bound_ctrl:1
	v_cmp_eq_u32_e32 vcc, 1, v7
	s_and_saveexec_b64 s[2:3], vcc
; %bb.9:
	v_cmp_lt_i64_e32 vcc, v[2:3], v[4:5]
	v_cndmask_b32_e64 v6, v6, 1, s[0:1]
	s_and_b64 vcc, s[0:1], vcc
	v_cndmask_b32_e32 v2, v4, v2, vcc
	v_and_b32_e32 v4, 1, v6
	v_cndmask_b32_e32 v3, v5, v3, vcc
	v_cmp_eq_u32_e32 vcc, 1, v4
	s_andn2_b64 s[0:1], s[0:1], exec
	s_and_b64 s[8:9], vcc, exec
	v_and_b32_e32 v1, 0xff, v6
	s_or_b64 s[0:1], s[0:1], s[8:9]
; %bb.10:
	s_or_b64 exec, exec, s[2:3]
	v_mov_b32_dpp v6, v1 row_ror:8 row_mask:0xf bank_mask:0xf bound_ctrl:1
	v_and_b32_e32 v7, 1, v6
	v_mov_b32_dpp v4, v2 row_ror:8 row_mask:0xf bank_mask:0xf bound_ctrl:1
	v_mov_b32_dpp v5, v3 row_ror:8 row_mask:0xf bank_mask:0xf bound_ctrl:1
	v_cmp_eq_u32_e32 vcc, 1, v7
	s_and_saveexec_b64 s[2:3], vcc
; %bb.11:
	v_cmp_lt_i64_e32 vcc, v[2:3], v[4:5]
	v_cndmask_b32_e64 v6, v6, 1, s[0:1]
	s_and_b64 vcc, s[0:1], vcc
	v_cndmask_b32_e32 v2, v4, v2, vcc
	v_and_b32_e32 v4, 1, v6
	v_cndmask_b32_e32 v3, v5, v3, vcc
	v_cmp_eq_u32_e32 vcc, 1, v4
	s_andn2_b64 s[0:1], s[0:1], exec
	s_and_b64 s[8:9], vcc, exec
	v_and_b32_e32 v1, 0xff, v6
	s_or_b64 s[0:1], s[0:1], s[8:9]
; %bb.12:
	s_or_b64 exec, exec, s[2:3]
	v_mov_b32_dpp v6, v1 row_bcast:15 row_mask:0xf bank_mask:0xf bound_ctrl:1
	v_and_b32_e32 v7, 1, v6
	v_mov_b32_dpp v4, v2 row_bcast:15 row_mask:0xf bank_mask:0xf bound_ctrl:1
	v_mov_b32_dpp v5, v3 row_bcast:15 row_mask:0xf bank_mask:0xf bound_ctrl:1
	v_cmp_eq_u32_e32 vcc, 1, v7
	s_and_saveexec_b64 s[2:3], vcc
; %bb.13:
	v_cmp_lt_i64_e32 vcc, v[2:3], v[4:5]
	v_cndmask_b32_e64 v6, v6, 1, s[0:1]
	s_and_b64 vcc, s[0:1], vcc
	v_cndmask_b32_e32 v2, v4, v2, vcc
	v_and_b32_e32 v4, 1, v6
	v_cndmask_b32_e32 v3, v5, v3, vcc
	v_cmp_eq_u32_e32 vcc, 1, v4
	s_andn2_b64 s[0:1], s[0:1], exec
	s_and_b64 s[8:9], vcc, exec
	v_and_b32_e32 v1, 0xff, v6
	s_or_b64 s[0:1], s[0:1], s[8:9]
; %bb.14:
	s_or_b64 exec, exec, s[2:3]
	v_mov_b32_dpp v6, v1 row_bcast:31 row_mask:0xf bank_mask:0xf bound_ctrl:1
	v_and_b32_e32 v7, 1, v6
	v_mov_b32_dpp v4, v2 row_bcast:31 row_mask:0xf bank_mask:0xf bound_ctrl:1
	v_mov_b32_dpp v5, v3 row_bcast:31 row_mask:0xf bank_mask:0xf bound_ctrl:1
	v_cmp_eq_u32_e32 vcc, 1, v7
	s_and_saveexec_b64 s[2:3], vcc
; %bb.15:
	v_cmp_lt_i64_e32 vcc, v[2:3], v[4:5]
	v_and_b32_e32 v1, 0xff, v6
	s_and_b64 vcc, s[0:1], vcc
	v_cndmask_b32_e32 v2, v4, v2, vcc
	v_cndmask_b32_e32 v3, v5, v3, vcc
	v_cndmask_b32_e64 v1, v1, 1, s[0:1]
; %bb.16:
	s_or_b64 exec, exec, s[2:3]
	v_mbcnt_lo_u32_b32 v4, -1, 0
	v_mbcnt_hi_u32_b32 v4, -1, v4
	v_bfrev_b32_e32 v5, 0.5
	v_lshl_or_b32 v5, v4, 2, v5
	ds_bpermute_b32 v7, v5, v1
	ds_bpermute_b32 v2, v5, v2
	;; [unrolled: 1-line block ×3, first 2 shown]
	v_cmp_eq_u32_e32 vcc, 0, v4
	s_and_saveexec_b64 s[0:1], vcc
	s_cbranch_execz .LBB2247_18
; %bb.17:
	v_lshrrev_b32_e32 v1, 2, v0
	v_and_b32_e32 v1, 48, v1
	s_waitcnt lgkmcnt(2)
	ds_write_b8 v1, v7 offset:192
	s_waitcnt lgkmcnt(1)
	ds_write_b64 v1, v[2:3] offset:200
.LBB2247_18:
	s_or_b64 exec, exec, s[0:1]
	v_cmp_gt_u32_e32 vcc, 64, v0
	s_waitcnt lgkmcnt(0)
	s_barrier
	s_and_saveexec_b64 s[2:3], vcc
	s_cbranch_execz .LBB2247_20
; %bb.19:
	v_and_b32_e32 v1, 3, v4
	v_lshlrev_b32_e32 v2, 4, v1
	ds_read_u8 v5, v2 offset:192
	ds_read_b64 v[2:3], v2 offset:200
	v_cmp_ne_u32_e32 vcc, 3, v1
	v_addc_co_u32_e32 v6, vcc, 0, v4, vcc
	s_waitcnt lgkmcnt(1)
	v_and_b32_e32 v7, 0xff, v5
	v_lshlrev_b32_e32 v8, 2, v6
	ds_bpermute_b32 v9, v8, v7
	s_waitcnt lgkmcnt(1)
	ds_bpermute_b32 v6, v8, v2
	ds_bpermute_b32 v7, v8, v3
	v_and_b32_e32 v8, 1, v5
	s_waitcnt lgkmcnt(2)
	v_and_b32_e32 v10, 1, v9
	v_cmp_eq_u32_e64 s[0:1], 1, v10
	s_waitcnt lgkmcnt(0)
	v_cmp_lt_i64_e32 vcc, v[6:7], v[2:3]
	s_and_b64 vcc, s[0:1], vcc
	v_cndmask_b32_e64 v5, v5, 1, s[0:1]
	v_cndmask_b32_e32 v2, v2, v6, vcc
	v_cndmask_b32_e32 v3, v3, v7, vcc
	v_cmp_eq_u32_e32 vcc, 1, v8
	v_cndmask_b32_e32 v8, v9, v5, vcc
	v_cndmask_b32_e32 v3, v7, v3, vcc
	;; [unrolled: 1-line block ×3, first 2 shown]
	v_cmp_gt_u32_e32 vcc, 2, v1
	v_cndmask_b32_e64 v1, 0, 1, vcc
	v_lshlrev_b32_e32 v1, 1, v1
	v_and_b32_e32 v5, 0xff, v8
	v_add_lshl_u32 v1, v1, v4, 2
	ds_bpermute_b32 v6, v1, v5
	ds_bpermute_b32 v4, v1, v2
	;; [unrolled: 1-line block ×3, first 2 shown]
	v_and_b32_e32 v1, 1, v8
	s_waitcnt lgkmcnt(2)
	v_and_b32_e32 v7, 1, v6
	v_cmp_eq_u32_e64 s[0:1], 1, v7
	s_waitcnt lgkmcnt(0)
	v_cmp_lt_i64_e32 vcc, v[4:5], v[2:3]
	s_and_b64 vcc, s[0:1], vcc
	v_cndmask_b32_e64 v7, v8, 1, s[0:1]
	v_cndmask_b32_e32 v2, v2, v4, vcc
	v_cndmask_b32_e32 v3, v3, v5, vcc
	v_cmp_eq_u32_e32 vcc, 1, v1
	v_cndmask_b32_e32 v1, v6, v7, vcc
	v_cndmask_b32_e32 v3, v5, v3, vcc
	;; [unrolled: 1-line block ×3, first 2 shown]
	v_and_b32_e32 v7, 0xff, v1
.LBB2247_20:
	s_or_b64 exec, exec, s[2:3]
	s_branch .LBB2247_89
.LBB2247_21:
	s_mov_b64 s[10:11], 0
                                        ; implicit-def: $vgpr4_vgpr5
                                        ; implicit-def: $vgpr1
	s_cbranch_execnz .LBB2247_133
	s_branch .LBB2247_208
.LBB2247_22:
	s_mov_b64 s[26:27], -1
.LBB2247_23:
	s_mov_b64 s[10:11], 0
                                        ; implicit-def: $vgpr4_vgpr5
                                        ; implicit-def: $vgpr1
	s_and_b64 vcc, exec, s[26:27]
	s_cbranch_vccz .LBB2247_94
.LBB2247_24:
	s_cmp_eq_u32 s35, 4
	s_cbranch_scc0 .LBB2247_43
; %bb.25:
	s_mov_b32 s7, 0
	s_lshl_b32 s14, s6, 10
	s_mov_b32 s15, s7
	s_lshr_b64 s[0:1], s[22:23], 10
	s_lshl_b64 s[2:3], s[14:15], 1
	s_add_u32 s12, s24, s2
	s_addc_u32 s13, s25, s3
	s_add_u32 s16, s20, s14
	s_addc_u32 s17, s21, 0
	s_cmp_lg_u64 s[0:1], s[6:7]
	s_cbranch_scc0 .LBB2247_95
; %bb.26:
	v_lshlrev_b32_e32 v1, 1, v0
	global_load_ushort v2, v1, s[12:13] offset:1024
	global_load_ushort v3, v1, s[12:13] offset:1536
	s_waitcnt lgkmcnt(1)
	global_load_ushort v4, v1, s[12:13] offset:512
	s_waitcnt lgkmcnt(0)
	global_load_ushort v5, v1, s[12:13]
	v_mov_b32_e32 v1, s17
	v_add_co_u32_e32 v9, vcc, s16, v0
	v_mov_b32_e32 v6, 0x200
	v_mov_b32_e32 v7, 0x100
	v_addc_co_u32_e32 v1, vcc, 0, v1, vcc
	v_mov_b32_e32 v8, 0x300
	s_waitcnt vmcnt(3)
	v_cmp_eq_f16_e32 vcc, s34, v2
	s_waitcnt vmcnt(2)
	v_cmp_eq_f16_e64 s[0:1], s34, v3
	s_waitcnt vmcnt(1)
	v_cmp_eq_f16_e64 s[2:3], s34, v4
	;; [unrolled: 2-line block ×3, first 2 shown]
	v_cndmask_b32_e64 v2, v6, v7, s[2:3]
	s_or_b64 s[2:3], s[8:9], s[2:3]
	v_cndmask_b32_e64 v2, v2, 0, s[8:9]
	s_or_b64 vcc, s[2:3], vcc
	v_cndmask_b32_e32 v2, v8, v2, vcc
	v_add_co_u32_e64 v2, s[2:3], v9, v2
	s_or_b64 s[0:1], vcc, s[0:1]
	v_addc_co_u32_e64 v3, s[2:3], 0, v1, s[2:3]
	v_cndmask_b32_e64 v1, 0, 1, s[0:1]
	v_mov_b32_dpp v4, v2 quad_perm:[1,0,3,2] row_mask:0xf bank_mask:0xf bound_ctrl:1
	v_mov_b32_dpp v5, v3 quad_perm:[1,0,3,2] row_mask:0xf bank_mask:0xf bound_ctrl:1
	v_mov_b32_dpp v6, v1 quad_perm:[1,0,3,2] row_mask:0xf bank_mask:0xf bound_ctrl:1
	v_and_b32_e32 v7, 1, v6
	v_cmp_eq_u32_e32 vcc, 1, v7
	s_and_saveexec_b64 s[2:3], vcc
; %bb.27:
	v_cmp_lt_i64_e32 vcc, v[2:3], v[4:5]
	v_cndmask_b32_e64 v6, v6, 1, s[0:1]
	s_and_b64 vcc, s[0:1], vcc
	v_cndmask_b32_e32 v2, v4, v2, vcc
	v_and_b32_e32 v4, 1, v6
	v_cndmask_b32_e32 v3, v5, v3, vcc
	v_cmp_eq_u32_e32 vcc, 1, v4
	s_andn2_b64 s[0:1], s[0:1], exec
	s_and_b64 s[8:9], vcc, exec
	v_and_b32_e32 v1, 0xff, v6
	s_or_b64 s[0:1], s[0:1], s[8:9]
; %bb.28:
	s_or_b64 exec, exec, s[2:3]
	v_mov_b32_dpp v6, v1 quad_perm:[2,3,0,1] row_mask:0xf bank_mask:0xf bound_ctrl:1
	v_and_b32_e32 v7, 1, v6
	v_mov_b32_dpp v4, v2 quad_perm:[2,3,0,1] row_mask:0xf bank_mask:0xf bound_ctrl:1
	v_mov_b32_dpp v5, v3 quad_perm:[2,3,0,1] row_mask:0xf bank_mask:0xf bound_ctrl:1
	v_cmp_eq_u32_e32 vcc, 1, v7
	s_and_saveexec_b64 s[2:3], vcc
; %bb.29:
	v_cmp_lt_i64_e32 vcc, v[2:3], v[4:5]
	v_cndmask_b32_e64 v6, v6, 1, s[0:1]
	s_and_b64 vcc, s[0:1], vcc
	v_cndmask_b32_e32 v2, v4, v2, vcc
	v_and_b32_e32 v4, 1, v6
	v_cndmask_b32_e32 v3, v5, v3, vcc
	v_cmp_eq_u32_e32 vcc, 1, v4
	s_andn2_b64 s[0:1], s[0:1], exec
	s_and_b64 s[8:9], vcc, exec
	v_and_b32_e32 v1, 0xff, v6
	s_or_b64 s[0:1], s[0:1], s[8:9]
; %bb.30:
	s_or_b64 exec, exec, s[2:3]
	v_mov_b32_dpp v6, v1 row_ror:4 row_mask:0xf bank_mask:0xf bound_ctrl:1
	v_and_b32_e32 v7, 1, v6
	v_mov_b32_dpp v4, v2 row_ror:4 row_mask:0xf bank_mask:0xf bound_ctrl:1
	v_mov_b32_dpp v5, v3 row_ror:4 row_mask:0xf bank_mask:0xf bound_ctrl:1
	v_cmp_eq_u32_e32 vcc, 1, v7
	s_and_saveexec_b64 s[2:3], vcc
; %bb.31:
	v_cmp_lt_i64_e32 vcc, v[2:3], v[4:5]
	v_cndmask_b32_e64 v6, v6, 1, s[0:1]
	s_and_b64 vcc, s[0:1], vcc
	v_cndmask_b32_e32 v2, v4, v2, vcc
	v_and_b32_e32 v4, 1, v6
	v_cndmask_b32_e32 v3, v5, v3, vcc
	v_cmp_eq_u32_e32 vcc, 1, v4
	s_andn2_b64 s[0:1], s[0:1], exec
	s_and_b64 s[8:9], vcc, exec
	v_and_b32_e32 v1, 0xff, v6
	s_or_b64 s[0:1], s[0:1], s[8:9]
; %bb.32:
	s_or_b64 exec, exec, s[2:3]
	v_mov_b32_dpp v6, v1 row_ror:8 row_mask:0xf bank_mask:0xf bound_ctrl:1
	v_and_b32_e32 v7, 1, v6
	v_mov_b32_dpp v4, v2 row_ror:8 row_mask:0xf bank_mask:0xf bound_ctrl:1
	v_mov_b32_dpp v5, v3 row_ror:8 row_mask:0xf bank_mask:0xf bound_ctrl:1
	v_cmp_eq_u32_e32 vcc, 1, v7
	s_and_saveexec_b64 s[2:3], vcc
; %bb.33:
	v_cmp_lt_i64_e32 vcc, v[2:3], v[4:5]
	v_cndmask_b32_e64 v6, v6, 1, s[0:1]
	s_and_b64 vcc, s[0:1], vcc
	v_cndmask_b32_e32 v2, v4, v2, vcc
	v_and_b32_e32 v4, 1, v6
	v_cndmask_b32_e32 v3, v5, v3, vcc
	v_cmp_eq_u32_e32 vcc, 1, v4
	s_andn2_b64 s[0:1], s[0:1], exec
	s_and_b64 s[8:9], vcc, exec
	v_and_b32_e32 v1, 0xff, v6
	s_or_b64 s[0:1], s[0:1], s[8:9]
; %bb.34:
	s_or_b64 exec, exec, s[2:3]
	v_mov_b32_dpp v6, v1 row_bcast:15 row_mask:0xf bank_mask:0xf bound_ctrl:1
	v_and_b32_e32 v7, 1, v6
	v_mov_b32_dpp v4, v2 row_bcast:15 row_mask:0xf bank_mask:0xf bound_ctrl:1
	v_mov_b32_dpp v5, v3 row_bcast:15 row_mask:0xf bank_mask:0xf bound_ctrl:1
	v_cmp_eq_u32_e32 vcc, 1, v7
	s_and_saveexec_b64 s[2:3], vcc
; %bb.35:
	v_cmp_lt_i64_e32 vcc, v[2:3], v[4:5]
	v_cndmask_b32_e64 v6, v6, 1, s[0:1]
	s_and_b64 vcc, s[0:1], vcc
	v_cndmask_b32_e32 v2, v4, v2, vcc
	v_and_b32_e32 v4, 1, v6
	v_cndmask_b32_e32 v3, v5, v3, vcc
	v_cmp_eq_u32_e32 vcc, 1, v4
	s_andn2_b64 s[0:1], s[0:1], exec
	s_and_b64 s[8:9], vcc, exec
	v_and_b32_e32 v1, 0xff, v6
	s_or_b64 s[0:1], s[0:1], s[8:9]
; %bb.36:
	s_or_b64 exec, exec, s[2:3]
	v_mov_b32_dpp v6, v1 row_bcast:31 row_mask:0xf bank_mask:0xf bound_ctrl:1
	v_and_b32_e32 v7, 1, v6
	v_mov_b32_dpp v4, v2 row_bcast:31 row_mask:0xf bank_mask:0xf bound_ctrl:1
	v_mov_b32_dpp v5, v3 row_bcast:31 row_mask:0xf bank_mask:0xf bound_ctrl:1
	v_cmp_eq_u32_e32 vcc, 1, v7
	s_and_saveexec_b64 s[2:3], vcc
; %bb.37:
	v_cmp_lt_i64_e32 vcc, v[2:3], v[4:5]
	v_and_b32_e32 v1, 0xff, v6
	s_and_b64 vcc, s[0:1], vcc
	v_cndmask_b32_e32 v2, v4, v2, vcc
	v_cndmask_b32_e32 v3, v5, v3, vcc
	v_cndmask_b32_e64 v1, v1, 1, s[0:1]
; %bb.38:
	s_or_b64 exec, exec, s[2:3]
	v_mbcnt_lo_u32_b32 v4, -1, 0
	v_mbcnt_hi_u32_b32 v4, -1, v4
	v_bfrev_b32_e32 v5, 0.5
	v_lshl_or_b32 v5, v4, 2, v5
	ds_bpermute_b32 v6, v5, v1
	ds_bpermute_b32 v2, v5, v2
	;; [unrolled: 1-line block ×3, first 2 shown]
	v_cmp_eq_u32_e32 vcc, 0, v4
	s_and_saveexec_b64 s[0:1], vcc
	s_cbranch_execz .LBB2247_40
; %bb.39:
	v_lshrrev_b32_e32 v1, 2, v0
	v_and_b32_e32 v1, 48, v1
	s_waitcnt lgkmcnt(2)
	ds_write_b8 v1, v6 offset:128
	s_waitcnt lgkmcnt(1)
	ds_write_b64 v1, v[2:3] offset:136
.LBB2247_40:
	s_or_b64 exec, exec, s[0:1]
	v_cmp_gt_u32_e32 vcc, 64, v0
	s_waitcnt lgkmcnt(0)
	s_barrier
	s_and_saveexec_b64 s[2:3], vcc
	s_cbranch_execz .LBB2247_42
; %bb.41:
	v_and_b32_e32 v1, 3, v4
	v_lshlrev_b32_e32 v2, 4, v1
	ds_read_u8 v5, v2 offset:128
	ds_read_b64 v[2:3], v2 offset:136
	v_cmp_ne_u32_e32 vcc, 3, v1
	v_addc_co_u32_e32 v6, vcc, 0, v4, vcc
	s_waitcnt lgkmcnt(1)
	v_and_b32_e32 v7, 0xff, v5
	v_lshlrev_b32_e32 v8, 2, v6
	ds_bpermute_b32 v9, v8, v7
	s_waitcnt lgkmcnt(1)
	ds_bpermute_b32 v6, v8, v2
	ds_bpermute_b32 v7, v8, v3
	v_and_b32_e32 v8, 1, v5
	s_waitcnt lgkmcnt(2)
	v_and_b32_e32 v10, 1, v9
	v_cmp_eq_u32_e64 s[0:1], 1, v10
	s_waitcnt lgkmcnt(0)
	v_cmp_lt_i64_e32 vcc, v[6:7], v[2:3]
	s_and_b64 vcc, s[0:1], vcc
	v_cndmask_b32_e64 v5, v5, 1, s[0:1]
	v_cndmask_b32_e32 v2, v2, v6, vcc
	v_cndmask_b32_e32 v3, v3, v7, vcc
	v_cmp_eq_u32_e32 vcc, 1, v8
	v_cndmask_b32_e32 v8, v9, v5, vcc
	v_cndmask_b32_e32 v3, v7, v3, vcc
	;; [unrolled: 1-line block ×3, first 2 shown]
	v_cmp_gt_u32_e32 vcc, 2, v1
	v_cndmask_b32_e64 v1, 0, 1, vcc
	v_lshlrev_b32_e32 v1, 1, v1
	v_and_b32_e32 v5, 0xff, v8
	v_add_lshl_u32 v1, v1, v4, 2
	ds_bpermute_b32 v6, v1, v5
	ds_bpermute_b32 v4, v1, v2
	;; [unrolled: 1-line block ×3, first 2 shown]
	v_and_b32_e32 v1, 1, v8
	s_waitcnt lgkmcnt(2)
	v_and_b32_e32 v7, 1, v6
	v_cmp_eq_u32_e64 s[0:1], 1, v7
	s_waitcnt lgkmcnt(0)
	v_cmp_lt_i64_e32 vcc, v[4:5], v[2:3]
	s_and_b64 vcc, s[0:1], vcc
	v_cndmask_b32_e64 v7, v8, 1, s[0:1]
	v_cndmask_b32_e32 v2, v2, v4, vcc
	v_cndmask_b32_e32 v3, v3, v5, vcc
	v_cmp_eq_u32_e32 vcc, 1, v1
	v_cndmask_b32_e32 v1, v6, v7, vcc
	v_cndmask_b32_e32 v3, v5, v3, vcc
	;; [unrolled: 1-line block ×3, first 2 shown]
	v_and_b32_e32 v6, 0xff, v1
.LBB2247_42:
	s_or_b64 exec, exec, s[2:3]
	s_branch .LBB2247_128
.LBB2247_43:
                                        ; implicit-def: $vgpr4_vgpr5
                                        ; implicit-def: $vgpr1
	s_branch .LBB2247_208
.LBB2247_44:
                                        ; implicit-def: $vgpr2_vgpr3
                                        ; implicit-def: $vgpr7
	s_cbranch_execz .LBB2247_89
; %bb.45:
	s_sub_i32 s38, s22, s30
	v_pk_mov_b32 v[10:11], 0, 0
	v_cmp_gt_u32_e32 vcc, s38, v0
	v_mov_b32_e32 v21, 0
	v_pk_mov_b32 v[2:3], v[10:11], v[10:11] op_sel:[0,1]
	v_mov_b32_e32 v1, 0
	s_and_saveexec_b64 s[0:1], vcc
	s_cbranch_execz .LBB2247_47
; %bb.46:
	v_lshlrev_b32_e32 v1, 1, v0
	global_load_ushort v1, v1, s[28:29]
	v_mov_b32_e32 v3, s37
	v_add_co_u32_e32 v2, vcc, s36, v0
	v_addc_co_u32_e32 v3, vcc, 0, v3, vcc
	s_waitcnt vmcnt(0)
	v_cmp_eq_f16_e32 vcc, s34, v1
	v_cndmask_b32_e64 v1, 0, 1, vcc
.LBB2247_47:
	s_or_b64 exec, exec, s[0:1]
	v_or_b32_e32 v4, 0x100, v0
	v_cmp_gt_u32_e64 s[14:15], s38, v4
	s_and_saveexec_b64 s[0:1], s[14:15]
	s_cbranch_execz .LBB2247_49
; %bb.48:
	v_lshlrev_b32_e32 v5, 1, v0
	global_load_ushort v5, v5, s[28:29] offset:512
	v_mov_b32_e32 v6, s37
	v_add_co_u32_e32 v10, vcc, s36, v4
	v_addc_co_u32_e32 v11, vcc, 0, v6, vcc
	s_waitcnt vmcnt(0)
	v_cmp_eq_f16_e32 vcc, s34, v5
	v_cndmask_b32_e64 v21, 0, 1, vcc
.LBB2247_49:
	s_or_b64 exec, exec, s[0:1]
	v_or_b32_e32 v4, 0x200, v0
	v_pk_mov_b32 v[8:9], 0, 0
	v_cmp_gt_u32_e64 s[12:13], s38, v4
	v_mov_b32_e32 v20, 0
	v_pk_mov_b32 v[16:17], v[8:9], v[8:9] op_sel:[0,1]
	v_mov_b32_e32 v24, 0
	s_and_saveexec_b64 s[0:1], s[12:13]
	s_cbranch_execz .LBB2247_51
; %bb.50:
	v_lshlrev_b32_e32 v5, 1, v0
	global_load_ushort v5, v5, s[28:29] offset:1024
	v_mov_b32_e32 v6, s37
	v_add_co_u32_e32 v16, vcc, s36, v4
	v_addc_co_u32_e32 v17, vcc, 0, v6, vcc
	s_waitcnt vmcnt(0)
	v_cmp_eq_f16_e32 vcc, s34, v5
	v_cndmask_b32_e64 v24, 0, 1, vcc
.LBB2247_51:
	s_or_b64 exec, exec, s[0:1]
	v_or_b32_e32 v4, 0x300, v0
	v_cmp_gt_u32_e64 s[10:11], s38, v4
	s_and_saveexec_b64 s[0:1], s[10:11]
	s_cbranch_execz .LBB2247_53
; %bb.52:
	v_lshlrev_b32_e32 v5, 1, v0
	global_load_ushort v5, v5, s[28:29] offset:1536
	v_mov_b32_e32 v6, s37
	v_add_co_u32_e32 v8, vcc, s36, v4
	v_addc_co_u32_e32 v9, vcc, 0, v6, vcc
	s_waitcnt vmcnt(0)
	v_cmp_eq_f16_e32 vcc, s34, v5
	v_cndmask_b32_e64 v20, 0, 1, vcc
.LBB2247_53:
	s_or_b64 exec, exec, s[0:1]
	v_or_b32_e32 v4, 0x400, v0
	v_pk_mov_b32 v[6:7], 0, 0
	v_cmp_gt_u32_e64 s[8:9], s38, v4
	v_mov_b32_e32 v19, 0
	v_pk_mov_b32 v[14:15], v[6:7], v[6:7] op_sel:[0,1]
	v_mov_b32_e32 v23, 0
	s_and_saveexec_b64 s[0:1], s[8:9]
	s_cbranch_execz .LBB2247_55
; %bb.54:
	v_lshlrev_b32_e32 v5, 1, v0
	global_load_ushort v5, v5, s[28:29] offset:2048
	v_mov_b32_e32 v12, s37
	v_add_co_u32_e32 v14, vcc, s36, v4
	v_addc_co_u32_e32 v15, vcc, 0, v12, vcc
	s_waitcnt vmcnt(0)
	v_cmp_eq_f16_e32 vcc, s34, v5
	v_cndmask_b32_e64 v23, 0, 1, vcc
.LBB2247_55:
	s_or_b64 exec, exec, s[0:1]
	v_or_b32_e32 v4, 0x500, v0
	v_cmp_gt_u32_e64 s[2:3], s38, v4
	s_and_saveexec_b64 s[0:1], s[2:3]
	s_cbranch_execz .LBB2247_57
; %bb.56:
	v_lshlrev_b32_e32 v5, 1, v0
	global_load_ushort v5, v5, s[28:29] offset:2560
	v_mov_b32_e32 v7, s37
	v_add_co_u32_e32 v6, vcc, s36, v4
	v_addc_co_u32_e32 v7, vcc, 0, v7, vcc
	s_waitcnt vmcnt(0)
	v_cmp_eq_f16_e32 vcc, s34, v5
	v_cndmask_b32_e64 v19, 0, 1, vcc
.LBB2247_57:
	s_or_b64 exec, exec, s[0:1]
	v_or_b32_e32 v25, 0x600, v0
	v_pk_mov_b32 v[4:5], 0, 0
	v_cmp_gt_u32_e64 s[0:1], s38, v25
	v_mov_b32_e32 v18, 0
	v_mov_b32_e32 v22, 0
	v_pk_mov_b32 v[12:13], v[4:5], v[4:5] op_sel:[0,1]
	s_and_saveexec_b64 s[16:17], s[0:1]
	s_cbranch_execz .LBB2247_59
; %bb.58:
	v_lshlrev_b32_e32 v12, 1, v0
	global_load_ushort v22, v12, s[28:29] offset:3072
	v_mov_b32_e32 v13, s37
	v_add_co_u32_e32 v12, vcc, s36, v25
	v_addc_co_u32_e32 v13, vcc, 0, v13, vcc
	s_waitcnt vmcnt(0)
	v_cmp_eq_f16_e32 vcc, s34, v22
	v_cndmask_b32_e64 v22, 0, 1, vcc
.LBB2247_59:
	s_or_b64 exec, exec, s[16:17]
	v_or_b32_e32 v25, 0x700, v0
	v_cmp_gt_u32_e32 vcc, s38, v25
	s_and_saveexec_b64 s[30:31], vcc
	s_cbranch_execnz .LBB2247_240
; %bb.60:
	s_or_b64 exec, exec, s[30:31]
	s_and_saveexec_b64 s[28:29], s[14:15]
	s_cbranch_execnz .LBB2247_241
.LBB2247_61:
	s_or_b64 exec, exec, s[28:29]
	s_and_saveexec_b64 s[16:17], s[12:13]
	s_cbranch_execnz .LBB2247_242
.LBB2247_62:
	s_or_b64 exec, exec, s[16:17]
	s_and_saveexec_b64 s[14:15], s[10:11]
	s_cbranch_execnz .LBB2247_243
.LBB2247_63:
	s_or_b64 exec, exec, s[14:15]
	s_and_saveexec_b64 s[12:13], s[8:9]
	s_cbranch_execnz .LBB2247_244
.LBB2247_64:
	s_or_b64 exec, exec, s[12:13]
	s_and_saveexec_b64 s[10:11], s[2:3]
	s_cbranch_execnz .LBB2247_245
.LBB2247_65:
	s_or_b64 exec, exec, s[10:11]
	s_and_saveexec_b64 s[8:9], s[0:1]
	s_cbranch_execnz .LBB2247_246
.LBB2247_66:
	s_or_b64 exec, exec, s[8:9]
	s_and_saveexec_b64 s[2:3], vcc
	s_cbranch_execz .LBB2247_68
.LBB2247_67:
	v_and_b32_e32 v7, 1, v18
	v_cmp_lt_i64_e32 vcc, v[4:5], v[2:3]
	v_cmp_eq_u32_e64 s[0:1], 1, v7
	v_and_b32_e32 v6, 1, v1
	s_and_b64 vcc, s[0:1], vcc
	v_cndmask_b32_e64 v1, v1, 1, s[0:1]
	v_cndmask_b32_e32 v2, v2, v4, vcc
	v_cndmask_b32_e32 v3, v3, v5, vcc
	v_cmp_eq_u32_e32 vcc, 1, v6
	v_cndmask_b32_e32 v1, v18, v1, vcc
	v_cndmask_b32_e32 v3, v5, v3, vcc
	;; [unrolled: 1-line block ×3, first 2 shown]
.LBB2247_68:
	s_or_b64 exec, exec, s[2:3]
	v_mbcnt_lo_u32_b32 v4, -1, 0
	v_mbcnt_hi_u32_b32 v6, -1, v4
	v_and_b32_e32 v8, 63, v6
	v_cmp_ne_u32_e32 vcc, 63, v8
	v_addc_co_u32_e32 v4, vcc, 0, v6, vcc
	v_and_b32_e32 v7, 0xffff, v1
	v_lshlrev_b32_e32 v5, 2, v4
	ds_bpermute_b32 v11, v5, v7
	ds_bpermute_b32 v4, v5, v2
	;; [unrolled: 1-line block ×3, first 2 shown]
	s_min_u32 s8, s38, 0x100
	v_and_b32_e32 v9, 0xc0, v0
	v_sub_u32_e64 v10, s8, v9 clamp
	v_add_u32_e32 v9, 1, v8
	v_cmp_lt_u32_e32 vcc, v9, v10
	v_mov_b32_e32 v9, v7
	s_and_saveexec_b64 s[0:1], vcc
	s_xor_b64 s[2:3], exec, s[0:1]
	s_cbranch_execz .LBB2247_70
; %bb.69:
	s_waitcnt lgkmcnt(2)
	v_and_b32_e32 v9, 1, v11
	s_waitcnt lgkmcnt(0)
	v_cmp_lt_i64_e32 vcc, v[4:5], v[2:3]
	v_cmp_eq_u32_e64 s[0:1], 1, v9
	v_and_b32_e32 v1, 1, v1
	s_and_b64 vcc, s[0:1], vcc
	v_cndmask_b32_e64 v7, v7, 1, s[0:1]
	v_cndmask_b32_e32 v2, v2, v4, vcc
	v_cndmask_b32_e32 v3, v3, v5, vcc
	v_cmp_eq_u32_e32 vcc, 1, v1
	v_cndmask_b32_e32 v9, v11, v7, vcc
	v_cndmask_b32_e32 v3, v5, v3, vcc
	;; [unrolled: 1-line block ×3, first 2 shown]
	v_and_b32_e32 v7, 0xff, v9
.LBB2247_70:
	s_or_b64 exec, exec, s[2:3]
	v_cmp_gt_u32_e32 vcc, 62, v8
	v_cndmask_b32_e64 v1, 0, 1, vcc
	v_lshlrev_b32_e32 v1, 1, v1
	s_waitcnt lgkmcnt(0)
	v_add_lshl_u32 v5, v1, v6, 2
	ds_bpermute_b32 v1, v5, v7
	ds_bpermute_b32 v4, v5, v2
	ds_bpermute_b32 v5, v5, v3
	v_add_u32_e32 v11, 2, v8
	v_cmp_lt_u32_e32 vcc, v11, v10
	s_and_saveexec_b64 s[2:3], vcc
	s_cbranch_execz .LBB2247_72
; %bb.71:
	s_waitcnt lgkmcnt(2)
	v_and_b32_e32 v11, 1, v1
	s_waitcnt lgkmcnt(0)
	v_cmp_lt_i64_e32 vcc, v[4:5], v[2:3]
	v_cmp_eq_u32_e64 s[0:1], 1, v11
	v_and_b32_e32 v7, 1, v9
	s_and_b64 vcc, s[0:1], vcc
	v_cndmask_b32_e64 v9, v9, 1, s[0:1]
	v_cndmask_b32_e32 v2, v2, v4, vcc
	v_cndmask_b32_e32 v3, v3, v5, vcc
	v_cmp_eq_u32_e32 vcc, 1, v7
	v_cndmask_b32_e32 v9, v1, v9, vcc
	v_cndmask_b32_e32 v3, v5, v3, vcc
	v_cndmask_b32_e32 v2, v4, v2, vcc
	v_and_b32_e32 v7, 0xff, v9
.LBB2247_72:
	s_or_b64 exec, exec, s[2:3]
	v_cmp_gt_u32_e32 vcc, 60, v8
	s_waitcnt lgkmcnt(2)
	v_cndmask_b32_e64 v1, 0, 1, vcc
	v_lshlrev_b32_e32 v1, 2, v1
	s_waitcnt lgkmcnt(0)
	v_add_lshl_u32 v5, v1, v6, 2
	ds_bpermute_b32 v1, v5, v7
	ds_bpermute_b32 v4, v5, v2
	ds_bpermute_b32 v5, v5, v3
	v_add_u32_e32 v11, 4, v8
	v_cmp_lt_u32_e32 vcc, v11, v10
	s_and_saveexec_b64 s[2:3], vcc
	s_cbranch_execz .LBB2247_74
; %bb.73:
	s_waitcnt lgkmcnt(2)
	v_and_b32_e32 v11, 1, v1
	s_waitcnt lgkmcnt(0)
	v_cmp_lt_i64_e32 vcc, v[4:5], v[2:3]
	v_cmp_eq_u32_e64 s[0:1], 1, v11
	v_and_b32_e32 v7, 1, v9
	s_and_b64 vcc, s[0:1], vcc
	v_cndmask_b32_e64 v9, v9, 1, s[0:1]
	v_cndmask_b32_e32 v2, v2, v4, vcc
	v_cndmask_b32_e32 v3, v3, v5, vcc
	v_cmp_eq_u32_e32 vcc, 1, v7
	v_cndmask_b32_e32 v9, v1, v9, vcc
	v_cndmask_b32_e32 v3, v5, v3, vcc
	v_cndmask_b32_e32 v2, v4, v2, vcc
	v_and_b32_e32 v7, 0xff, v9
.LBB2247_74:
	s_or_b64 exec, exec, s[2:3]
	v_cmp_gt_u32_e32 vcc, 56, v8
	s_waitcnt lgkmcnt(2)
	;; [unrolled: 31-line block ×4, first 2 shown]
	v_cndmask_b32_e64 v1, 0, 1, vcc
	v_lshlrev_b32_e32 v1, 5, v1
	s_waitcnt lgkmcnt(0)
	v_add_lshl_u32 v5, v1, v6, 2
	ds_bpermute_b32 v1, v5, v7
	ds_bpermute_b32 v4, v5, v2
	;; [unrolled: 1-line block ×3, first 2 shown]
	v_add_u32_e32 v8, 32, v8
	v_cmp_lt_u32_e32 vcc, v8, v10
	s_and_saveexec_b64 s[2:3], vcc
	s_cbranch_execz .LBB2247_80
; %bb.79:
	s_waitcnt lgkmcnt(2)
	v_and_b32_e32 v8, 1, v1
	s_waitcnt lgkmcnt(0)
	v_cmp_lt_i64_e32 vcc, v[4:5], v[2:3]
	v_cmp_eq_u32_e64 s[0:1], 1, v8
	v_and_b32_e32 v7, 1, v9
	s_and_b64 vcc, s[0:1], vcc
	v_cndmask_b32_e64 v8, v9, 1, s[0:1]
	v_cndmask_b32_e32 v2, v2, v4, vcc
	v_cndmask_b32_e32 v3, v3, v5, vcc
	v_cmp_eq_u32_e32 vcc, 1, v7
	v_cndmask_b32_e32 v9, v1, v8, vcc
	v_cndmask_b32_e32 v3, v5, v3, vcc
	;; [unrolled: 1-line block ×3, first 2 shown]
	v_and_b32_e32 v7, 0xff, v9
.LBB2247_80:
	s_or_b64 exec, exec, s[2:3]
	v_cmp_eq_u32_e32 vcc, 0, v6
	s_and_saveexec_b64 s[0:1], vcc
	s_cbranch_execz .LBB2247_82
; %bb.81:
	s_waitcnt lgkmcnt(2)
	v_lshrrev_b32_e32 v1, 2, v0
	v_and_b32_e32 v1, 48, v1
	ds_write_b8 v1, v9 offset:256
	ds_write_b64 v1, v[2:3] offset:264
.LBB2247_82:
	s_or_b64 exec, exec, s[0:1]
	v_cmp_gt_u32_e32 vcc, 4, v0
	s_waitcnt lgkmcnt(0)
	s_barrier
	s_and_saveexec_b64 s[2:3], vcc
	s_cbranch_execz .LBB2247_88
; %bb.83:
	v_lshlrev_b32_e32 v2, 4, v6
	ds_read_u8 v1, v2 offset:256
	ds_read_b64 v[2:3], v2 offset:264
	v_and_b32_e32 v8, 3, v6
	v_cmp_ne_u32_e32 vcc, 3, v8
	v_addc_co_u32_e32 v4, vcc, 0, v6, vcc
	s_waitcnt lgkmcnt(1)
	v_and_b32_e32 v7, 0xff, v1
	v_lshlrev_b32_e32 v5, 2, v4
	ds_bpermute_b32 v9, v5, v7
	s_waitcnt lgkmcnt(1)
	ds_bpermute_b32 v4, v5, v2
	ds_bpermute_b32 v5, v5, v3
	s_add_i32 s8, s8, 63
	s_lshr_b32 s10, s8, 6
	v_add_u32_e32 v10, 1, v8
	v_cmp_gt_u32_e32 vcc, s10, v10
	s_and_saveexec_b64 s[8:9], vcc
	s_cbranch_execz .LBB2247_85
; %bb.84:
	s_waitcnt lgkmcnt(2)
	v_and_b32_e32 v10, 1, v9
	s_waitcnt lgkmcnt(0)
	v_cmp_lt_i64_e32 vcc, v[4:5], v[2:3]
	v_cmp_eq_u32_e64 s[0:1], 1, v10
	v_and_b32_e32 v7, 1, v1
	s_and_b64 vcc, s[0:1], vcc
	v_cndmask_b32_e64 v1, v1, 1, s[0:1]
	v_cndmask_b32_e32 v2, v2, v4, vcc
	v_cndmask_b32_e32 v3, v3, v5, vcc
	v_cmp_eq_u32_e32 vcc, 1, v7
	v_cndmask_b32_e32 v1, v9, v1, vcc
	v_cndmask_b32_e32 v3, v5, v3, vcc
	;; [unrolled: 1-line block ×3, first 2 shown]
	v_and_b32_e32 v7, 0xff, v1
.LBB2247_85:
	s_or_b64 exec, exec, s[8:9]
	v_cmp_gt_u32_e32 vcc, 2, v8
	s_waitcnt lgkmcnt(1)
	v_cndmask_b32_e64 v4, 0, 1, vcc
	v_lshlrev_b32_e32 v4, 1, v4
	s_waitcnt lgkmcnt(0)
	v_add_lshl_u32 v5, v4, v6, 2
	ds_bpermute_b32 v6, v5, v7
	ds_bpermute_b32 v4, v5, v2
	;; [unrolled: 1-line block ×3, first 2 shown]
	v_add_u32_e32 v8, 2, v8
	v_cmp_gt_u32_e32 vcc, s10, v8
	s_and_saveexec_b64 s[8:9], vcc
	s_cbranch_execz .LBB2247_87
; %bb.86:
	s_waitcnt lgkmcnt(2)
	v_and_b32_e32 v8, 1, v6
	s_waitcnt lgkmcnt(0)
	v_cmp_lt_i64_e32 vcc, v[4:5], v[2:3]
	v_cmp_eq_u32_e64 s[0:1], 1, v8
	v_and_b32_e32 v7, 1, v1
	s_and_b64 vcc, s[0:1], vcc
	v_cndmask_b32_e64 v1, v1, 1, s[0:1]
	v_cndmask_b32_e32 v2, v2, v4, vcc
	v_cndmask_b32_e32 v3, v3, v5, vcc
	v_cmp_eq_u32_e32 vcc, 1, v7
	v_cndmask_b32_e32 v1, v6, v1, vcc
	v_cndmask_b32_e32 v3, v5, v3, vcc
	;; [unrolled: 1-line block ×3, first 2 shown]
	v_and_b32_e32 v7, 0xff, v1
.LBB2247_87:
	s_or_b64 exec, exec, s[8:9]
.LBB2247_88:
	s_or_b64 exec, exec, s[2:3]
.LBB2247_89:
	v_cmp_eq_u32_e32 vcc, 0, v0
	s_mov_b64 s[10:11], 0
                                        ; implicit-def: $vgpr4_vgpr5
                                        ; implicit-def: $vgpr1
	s_and_saveexec_b64 s[0:1], vcc
	s_xor_b64 s[8:9], exec, s[0:1]
	s_cbranch_execz .LBB2247_93
; %bb.90:
	s_cmp_eq_u64 s[22:23], 0
	s_waitcnt lgkmcnt(0)
	v_pk_mov_b32 v[4:5], s[18:19], s[18:19] op_sel:[0,1]
	v_mov_b32_e32 v1, s33
	s_cbranch_scc1 .LBB2247_92
; %bb.91:
	v_and_b32_e32 v1, 1, v7
	s_bitcmp1_b32 s33, 0
	v_mov_b32_e32 v4, s33
	v_cmp_eq_u32_e32 vcc, 1, v1
	v_cmp_gt_i64_e64 s[2:3], s[18:19], v[2:3]
	v_cndmask_b32_e64 v1, v4, 1, vcc
	s_cselect_b64 s[0:1], -1, 0
	v_mov_b32_e32 v4, s18
	s_and_b64 vcc, vcc, s[2:3]
	v_mov_b32_e32 v5, s19
	v_cndmask_b32_e32 v4, v4, v2, vcc
	v_cndmask_b32_e32 v5, v5, v3, vcc
	v_cndmask_b32_e64 v1, v7, v1, s[0:1]
	v_cndmask_b32_e64 v5, v3, v5, s[0:1]
	;; [unrolled: 1-line block ×3, first 2 shown]
.LBB2247_92:
	s_mov_b64 s[10:11], exec
.LBB2247_93:
	s_or_b64 exec, exec, s[8:9]
	s_and_b64 vcc, exec, s[26:27]
	s_cbranch_vccnz .LBB2247_24
.LBB2247_94:
	s_branch .LBB2247_208
.LBB2247_95:
                                        ; implicit-def: $vgpr2_vgpr3
                                        ; implicit-def: $vgpr6
	s_cbranch_execz .LBB2247_128
; %bb.96:
	s_sub_i32 s26, s22, s14
	s_waitcnt lgkmcnt(2)
	v_pk_mov_b32 v[6:7], 0, 0
	v_cmp_gt_u32_e32 vcc, s26, v0
	v_mov_b32_e32 v11, 0
	v_pk_mov_b32 v[2:3], v[6:7], v[6:7] op_sel:[0,1]
	v_mov_b32_e32 v10, 0
	s_and_saveexec_b64 s[0:1], vcc
	s_cbranch_execz .LBB2247_98
; %bb.97:
	v_lshlrev_b32_e32 v1, 1, v0
	global_load_ushort v1, v1, s[12:13]
	v_mov_b32_e32 v3, s17
	v_add_co_u32_e32 v2, vcc, s16, v0
	v_addc_co_u32_e32 v3, vcc, 0, v3, vcc
	s_waitcnt vmcnt(0)
	v_cmp_eq_f16_e32 vcc, s34, v1
	v_cndmask_b32_e64 v10, 0, 1, vcc
.LBB2247_98:
	s_or_b64 exec, exec, s[0:1]
	v_or_b32_e32 v1, 0x100, v0
	v_cmp_gt_u32_e64 s[2:3], s26, v1
	s_and_saveexec_b64 s[0:1], s[2:3]
	s_cbranch_execz .LBB2247_100
; %bb.99:
	s_waitcnt lgkmcnt(1)
	v_lshlrev_b32_e32 v4, 1, v0
	global_load_ushort v4, v4, s[12:13] offset:512
	s_waitcnt lgkmcnt(0)
	v_mov_b32_e32 v5, s17
	v_add_co_u32_e32 v6, vcc, s16, v1
	v_addc_co_u32_e32 v7, vcc, 0, v5, vcc
	s_waitcnt vmcnt(0)
	v_cmp_eq_f16_e32 vcc, s34, v4
	v_cndmask_b32_e64 v11, 0, 1, vcc
.LBB2247_100:
	s_or_b64 exec, exec, s[0:1]
	v_or_b32_e32 v13, 0x200, v0
	s_waitcnt lgkmcnt(0)
	v_pk_mov_b32 v[4:5], 0, 0
	v_cmp_gt_u32_e64 s[0:1], s26, v13
	v_mov_b32_e32 v1, 0
	v_pk_mov_b32 v[8:9], v[4:5], v[4:5] op_sel:[0,1]
	v_mov_b32_e32 v12, 0
	s_and_saveexec_b64 s[8:9], s[0:1]
	s_cbranch_execz .LBB2247_102
; %bb.101:
	v_lshlrev_b32_e32 v8, 1, v0
	global_load_ushort v12, v8, s[12:13] offset:1024
	v_mov_b32_e32 v9, s17
	v_add_co_u32_e32 v8, vcc, s16, v13
	v_addc_co_u32_e32 v9, vcc, 0, v9, vcc
	s_waitcnt vmcnt(0)
	v_cmp_eq_f16_e32 vcc, s34, v12
	v_cndmask_b32_e64 v12, 0, 1, vcc
.LBB2247_102:
	s_or_b64 exec, exec, s[8:9]
	v_or_b32_e32 v13, 0x300, v0
	v_cmp_gt_u32_e32 vcc, s26, v13
	s_and_saveexec_b64 s[14:15], vcc
	s_cbranch_execnz .LBB2247_247
; %bb.103:
	s_or_b64 exec, exec, s[14:15]
	s_and_saveexec_b64 s[12:13], s[2:3]
	s_cbranch_execnz .LBB2247_248
.LBB2247_104:
	s_or_b64 exec, exec, s[12:13]
	s_and_saveexec_b64 s[8:9], s[0:1]
	s_cbranch_execnz .LBB2247_249
.LBB2247_105:
	s_or_b64 exec, exec, s[8:9]
	s_and_saveexec_b64 s[2:3], vcc
	s_cbranch_execz .LBB2247_107
.LBB2247_106:
	v_and_b32_e32 v7, 1, v1
	v_cmp_lt_i64_e32 vcc, v[4:5], v[2:3]
	v_cmp_eq_u32_e64 s[0:1], 1, v7
	v_and_b32_e32 v6, 1, v10
	s_and_b64 vcc, s[0:1], vcc
	v_cndmask_b32_e64 v7, v10, 1, s[0:1]
	v_cndmask_b32_e32 v2, v2, v4, vcc
	v_cndmask_b32_e32 v3, v3, v5, vcc
	v_cmp_eq_u32_e32 vcc, 1, v6
	v_cndmask_b32_e32 v10, v1, v7, vcc
	v_cndmask_b32_e32 v3, v5, v3, vcc
	;; [unrolled: 1-line block ×3, first 2 shown]
.LBB2247_107:
	s_or_b64 exec, exec, s[2:3]
	v_mbcnt_lo_u32_b32 v1, -1, 0
	v_mbcnt_hi_u32_b32 v1, -1, v1
	v_and_b32_e32 v7, 63, v1
	v_cmp_ne_u32_e32 vcc, 63, v7
	v_addc_co_u32_e32 v4, vcc, 0, v1, vcc
	v_and_b32_e32 v6, 0xffff, v10
	v_lshlrev_b32_e32 v5, 2, v4
	ds_bpermute_b32 v11, v5, v6
	ds_bpermute_b32 v4, v5, v2
	;; [unrolled: 1-line block ×3, first 2 shown]
	s_min_u32 s8, s26, 0x100
	v_and_b32_e32 v8, 0xc0, v0
	v_sub_u32_e64 v9, s8, v8 clamp
	v_add_u32_e32 v8, 1, v7
	v_cmp_lt_u32_e32 vcc, v8, v9
	v_mov_b32_e32 v8, v6
	s_and_saveexec_b64 s[0:1], vcc
	s_xor_b64 s[2:3], exec, s[0:1]
	s_cbranch_execz .LBB2247_109
; %bb.108:
	v_and_b32_e32 v8, 1, v10
	s_waitcnt lgkmcnt(2)
	v_and_b32_e32 v10, 1, v11
	s_waitcnt lgkmcnt(0)
	v_cmp_lt_i64_e32 vcc, v[4:5], v[2:3]
	v_cmp_eq_u32_e64 s[0:1], 1, v10
	s_and_b64 vcc, s[0:1], vcc
	v_cndmask_b32_e64 v6, v6, 1, s[0:1]
	v_cndmask_b32_e32 v2, v2, v4, vcc
	v_cndmask_b32_e32 v3, v3, v5, vcc
	v_cmp_eq_u32_e32 vcc, 1, v8
	v_cndmask_b32_e32 v8, v11, v6, vcc
	v_cndmask_b32_e32 v3, v5, v3, vcc
	;; [unrolled: 1-line block ×3, first 2 shown]
	v_and_b32_e32 v6, 0xff, v8
.LBB2247_109:
	s_or_b64 exec, exec, s[2:3]
	v_cmp_gt_u32_e32 vcc, 62, v7
	s_waitcnt lgkmcnt(1)
	v_cndmask_b32_e64 v4, 0, 1, vcc
	v_lshlrev_b32_e32 v4, 1, v4
	s_waitcnt lgkmcnt(0)
	v_add_lshl_u32 v5, v4, v1, 2
	ds_bpermute_b32 v10, v5, v6
	ds_bpermute_b32 v4, v5, v2
	ds_bpermute_b32 v5, v5, v3
	v_add_u32_e32 v11, 2, v7
	v_cmp_lt_u32_e32 vcc, v11, v9
	s_and_saveexec_b64 s[2:3], vcc
	s_cbranch_execz .LBB2247_111
; %bb.110:
	s_waitcnt lgkmcnt(2)
	v_and_b32_e32 v11, 1, v10
	s_waitcnt lgkmcnt(0)
	v_cmp_lt_i64_e32 vcc, v[4:5], v[2:3]
	v_cmp_eq_u32_e64 s[0:1], 1, v11
	v_and_b32_e32 v6, 1, v8
	s_and_b64 vcc, s[0:1], vcc
	v_cndmask_b32_e64 v8, v8, 1, s[0:1]
	v_cndmask_b32_e32 v2, v2, v4, vcc
	v_cndmask_b32_e32 v3, v3, v5, vcc
	v_cmp_eq_u32_e32 vcc, 1, v6
	v_cndmask_b32_e32 v8, v10, v8, vcc
	v_cndmask_b32_e32 v3, v5, v3, vcc
	v_cndmask_b32_e32 v2, v4, v2, vcc
	v_and_b32_e32 v6, 0xff, v8
.LBB2247_111:
	s_or_b64 exec, exec, s[2:3]
	v_cmp_gt_u32_e32 vcc, 60, v7
	s_waitcnt lgkmcnt(1)
	v_cndmask_b32_e64 v4, 0, 1, vcc
	v_lshlrev_b32_e32 v4, 2, v4
	s_waitcnt lgkmcnt(0)
	v_add_lshl_u32 v5, v4, v1, 2
	ds_bpermute_b32 v10, v5, v6
	ds_bpermute_b32 v4, v5, v2
	ds_bpermute_b32 v5, v5, v3
	v_add_u32_e32 v11, 4, v7
	v_cmp_lt_u32_e32 vcc, v11, v9
	s_and_saveexec_b64 s[2:3], vcc
	s_cbranch_execz .LBB2247_113
; %bb.112:
	s_waitcnt lgkmcnt(2)
	v_and_b32_e32 v11, 1, v10
	s_waitcnt lgkmcnt(0)
	v_cmp_lt_i64_e32 vcc, v[4:5], v[2:3]
	v_cmp_eq_u32_e64 s[0:1], 1, v11
	v_and_b32_e32 v6, 1, v8
	s_and_b64 vcc, s[0:1], vcc
	v_cndmask_b32_e64 v8, v8, 1, s[0:1]
	v_cndmask_b32_e32 v2, v2, v4, vcc
	v_cndmask_b32_e32 v3, v3, v5, vcc
	v_cmp_eq_u32_e32 vcc, 1, v6
	v_cndmask_b32_e32 v8, v10, v8, vcc
	v_cndmask_b32_e32 v3, v5, v3, vcc
	v_cndmask_b32_e32 v2, v4, v2, vcc
	v_and_b32_e32 v6, 0xff, v8
.LBB2247_113:
	;; [unrolled: 31-line block ×5, first 2 shown]
	s_or_b64 exec, exec, s[2:3]
	v_cmp_eq_u32_e32 vcc, 0, v1
	s_and_saveexec_b64 s[0:1], vcc
	s_cbranch_execz .LBB2247_121
; %bb.120:
	s_waitcnt lgkmcnt(1)
	v_lshrrev_b32_e32 v4, 2, v0
	v_and_b32_e32 v4, 48, v4
	ds_write_b8 v4, v8 offset:256
	ds_write_b64 v4, v[2:3] offset:264
.LBB2247_121:
	s_or_b64 exec, exec, s[0:1]
	v_cmp_gt_u32_e32 vcc, 4, v0
	s_waitcnt lgkmcnt(0)
	s_barrier
	s_and_saveexec_b64 s[2:3], vcc
	s_cbranch_execz .LBB2247_127
; %bb.122:
	v_lshlrev_b32_e32 v2, 4, v1
	ds_read_u8 v7, v2 offset:256
	ds_read_b64 v[2:3], v2 offset:264
	v_and_b32_e32 v8, 3, v1
	v_cmp_ne_u32_e32 vcc, 3, v8
	v_addc_co_u32_e32 v4, vcc, 0, v1, vcc
	s_waitcnt lgkmcnt(1)
	v_and_b32_e32 v6, 0xff, v7
	v_lshlrev_b32_e32 v5, 2, v4
	ds_bpermute_b32 v9, v5, v6
	s_waitcnt lgkmcnt(1)
	ds_bpermute_b32 v4, v5, v2
	ds_bpermute_b32 v5, v5, v3
	s_add_i32 s8, s8, 63
	s_lshr_b32 s12, s8, 6
	v_add_u32_e32 v10, 1, v8
	v_cmp_gt_u32_e32 vcc, s12, v10
	s_and_saveexec_b64 s[8:9], vcc
	s_cbranch_execz .LBB2247_124
; %bb.123:
	s_waitcnt lgkmcnt(2)
	v_and_b32_e32 v10, 1, v9
	s_waitcnt lgkmcnt(0)
	v_cmp_lt_i64_e32 vcc, v[4:5], v[2:3]
	v_cmp_eq_u32_e64 s[0:1], 1, v10
	v_and_b32_e32 v6, 1, v7
	s_and_b64 vcc, s[0:1], vcc
	v_cndmask_b32_e64 v7, v7, 1, s[0:1]
	v_cndmask_b32_e32 v2, v2, v4, vcc
	v_cndmask_b32_e32 v3, v3, v5, vcc
	v_cmp_eq_u32_e32 vcc, 1, v6
	v_cndmask_b32_e32 v7, v9, v7, vcc
	v_cndmask_b32_e32 v3, v5, v3, vcc
	;; [unrolled: 1-line block ×3, first 2 shown]
	v_and_b32_e32 v6, 0xff, v7
.LBB2247_124:
	s_or_b64 exec, exec, s[8:9]
	v_cmp_gt_u32_e32 vcc, 2, v8
	s_waitcnt lgkmcnt(1)
	v_cndmask_b32_e64 v4, 0, 1, vcc
	v_lshlrev_b32_e32 v4, 1, v4
	s_waitcnt lgkmcnt(0)
	v_add_lshl_u32 v5, v4, v1, 2
	ds_bpermute_b32 v1, v5, v6
	ds_bpermute_b32 v4, v5, v2
	;; [unrolled: 1-line block ×3, first 2 shown]
	v_add_u32_e32 v8, 2, v8
	v_cmp_gt_u32_e32 vcc, s12, v8
	s_and_saveexec_b64 s[8:9], vcc
	s_cbranch_execz .LBB2247_126
; %bb.125:
	s_waitcnt lgkmcnt(2)
	v_and_b32_e32 v8, 1, v1
	s_waitcnt lgkmcnt(0)
	v_cmp_lt_i64_e32 vcc, v[4:5], v[2:3]
	v_cmp_eq_u32_e64 s[0:1], 1, v8
	v_and_b32_e32 v6, 1, v7
	s_and_b64 vcc, s[0:1], vcc
	v_cndmask_b32_e64 v7, v7, 1, s[0:1]
	v_cndmask_b32_e32 v2, v2, v4, vcc
	v_cndmask_b32_e32 v3, v3, v5, vcc
	v_cmp_eq_u32_e32 vcc, 1, v6
	v_cndmask_b32_e32 v1, v1, v7, vcc
	v_cndmask_b32_e32 v3, v5, v3, vcc
	;; [unrolled: 1-line block ×3, first 2 shown]
	v_and_b32_e32 v6, 0xff, v1
.LBB2247_126:
	s_or_b64 exec, exec, s[8:9]
.LBB2247_127:
	s_or_b64 exec, exec, s[2:3]
.LBB2247_128:
	v_cmp_eq_u32_e32 vcc, 0, v0
                                        ; implicit-def: $vgpr4_vgpr5
                                        ; implicit-def: $vgpr1
	s_and_saveexec_b64 s[0:1], vcc
	s_xor_b64 s[8:9], exec, s[0:1]
	s_cbranch_execz .LBB2247_132
; %bb.129:
	s_cmp_eq_u64 s[22:23], 0
	s_waitcnt lgkmcnt(0)
	v_pk_mov_b32 v[4:5], s[18:19], s[18:19] op_sel:[0,1]
	v_mov_b32_e32 v1, s33
	s_cbranch_scc1 .LBB2247_131
; %bb.130:
	v_and_b32_e32 v1, 1, v6
	s_bitcmp1_b32 s33, 0
	v_mov_b32_e32 v4, s33
	v_cmp_eq_u32_e32 vcc, 1, v1
	v_cmp_gt_i64_e64 s[2:3], s[18:19], v[2:3]
	v_cndmask_b32_e64 v1, v4, 1, vcc
	s_cselect_b64 s[0:1], -1, 0
	v_mov_b32_e32 v4, s18
	s_and_b64 vcc, vcc, s[2:3]
	v_mov_b32_e32 v5, s19
	v_cndmask_b32_e32 v4, v4, v2, vcc
	v_cndmask_b32_e32 v5, v5, v3, vcc
	v_cndmask_b32_e64 v1, v6, v1, s[0:1]
	v_cndmask_b32_e64 v5, v3, v5, s[0:1]
	;; [unrolled: 1-line block ×3, first 2 shown]
.LBB2247_131:
	s_or_b64 s[10:11], s[10:11], exec
.LBB2247_132:
	s_or_b64 exec, exec, s[8:9]
	s_branch .LBB2247_208
.LBB2247_133:
	s_cmp_gt_i32 s35, 1
	s_cbranch_scc0 .LBB2247_153
; %bb.134:
	s_cmp_eq_u32 s35, 2
	s_cbranch_scc0 .LBB2247_154
; %bb.135:
	s_mov_b32 s7, 0
	s_lshl_b32 s8, s6, 9
	s_mov_b32 s9, s7
	s_lshr_b64 s[0:1], s[22:23], 9
	s_lshl_b64 s[2:3], s[8:9], 1
	s_add_u32 s2, s24, s2
	s_addc_u32 s3, s25, s3
	s_add_u32 s14, s20, s8
	s_addc_u32 s15, s21, 0
	s_cmp_lg_u64 s[0:1], s[6:7]
	s_cbranch_scc0 .LBB2247_155
; %bb.136:
	s_waitcnt lgkmcnt(2)
	v_lshlrev_b32_e32 v1, 1, v0
	global_load_ushort v2, v1, s[2:3] offset:512
	global_load_ushort v3, v1, s[2:3]
	v_mov_b32_e32 v1, s15
	s_waitcnt lgkmcnt(1)
	v_add_co_u32_e32 v4, vcc, s14, v0
	v_addc_co_u32_e32 v1, vcc, 0, v1, vcc
	s_waitcnt lgkmcnt(0)
	v_add_co_u32_e32 v5, vcc, 0x100, v4
	v_addc_co_u32_e32 v6, vcc, 0, v1, vcc
	s_waitcnt vmcnt(1)
	v_cmp_eq_f16_e32 vcc, s34, v2
	s_waitcnt vmcnt(0)
	v_cmp_eq_f16_e64 s[0:1], s34, v3
	v_cndmask_b32_e64 v3, v6, v1, s[0:1]
	v_cndmask_b32_e64 v2, v5, v4, s[0:1]
	s_or_b64 s[0:1], s[0:1], vcc
	v_cndmask_b32_e64 v1, 0, 1, s[0:1]
	v_mov_b32_dpp v4, v2 quad_perm:[1,0,3,2] row_mask:0xf bank_mask:0xf bound_ctrl:1
	v_mov_b32_dpp v5, v3 quad_perm:[1,0,3,2] row_mask:0xf bank_mask:0xf bound_ctrl:1
	;; [unrolled: 1-line block ×3, first 2 shown]
	v_and_b32_e32 v7, 1, v6
	v_cmp_eq_u32_e32 vcc, 1, v7
	s_and_saveexec_b64 s[12:13], vcc
; %bb.137:
	v_cmp_lt_i64_e32 vcc, v[2:3], v[4:5]
	v_cndmask_b32_e64 v6, v6, 1, s[0:1]
	s_and_b64 vcc, s[0:1], vcc
	v_cndmask_b32_e32 v2, v4, v2, vcc
	v_and_b32_e32 v4, 1, v6
	v_cndmask_b32_e32 v3, v5, v3, vcc
	v_cmp_eq_u32_e32 vcc, 1, v4
	s_andn2_b64 s[0:1], s[0:1], exec
	s_and_b64 s[16:17], vcc, exec
	v_and_b32_e32 v1, 0xff, v6
	s_or_b64 s[0:1], s[0:1], s[16:17]
; %bb.138:
	s_or_b64 exec, exec, s[12:13]
	v_mov_b32_dpp v6, v1 quad_perm:[2,3,0,1] row_mask:0xf bank_mask:0xf bound_ctrl:1
	v_and_b32_e32 v7, 1, v6
	v_mov_b32_dpp v4, v2 quad_perm:[2,3,0,1] row_mask:0xf bank_mask:0xf bound_ctrl:1
	v_mov_b32_dpp v5, v3 quad_perm:[2,3,0,1] row_mask:0xf bank_mask:0xf bound_ctrl:1
	v_cmp_eq_u32_e32 vcc, 1, v7
	s_and_saveexec_b64 s[12:13], vcc
; %bb.139:
	v_cmp_lt_i64_e32 vcc, v[2:3], v[4:5]
	v_cndmask_b32_e64 v6, v6, 1, s[0:1]
	s_and_b64 vcc, s[0:1], vcc
	v_cndmask_b32_e32 v2, v4, v2, vcc
	v_and_b32_e32 v4, 1, v6
	v_cndmask_b32_e32 v3, v5, v3, vcc
	v_cmp_eq_u32_e32 vcc, 1, v4
	s_andn2_b64 s[0:1], s[0:1], exec
	s_and_b64 s[16:17], vcc, exec
	v_and_b32_e32 v1, 0xff, v6
	s_or_b64 s[0:1], s[0:1], s[16:17]
; %bb.140:
	s_or_b64 exec, exec, s[12:13]
	v_mov_b32_dpp v6, v1 row_ror:4 row_mask:0xf bank_mask:0xf bound_ctrl:1
	v_and_b32_e32 v7, 1, v6
	v_mov_b32_dpp v4, v2 row_ror:4 row_mask:0xf bank_mask:0xf bound_ctrl:1
	v_mov_b32_dpp v5, v3 row_ror:4 row_mask:0xf bank_mask:0xf bound_ctrl:1
	v_cmp_eq_u32_e32 vcc, 1, v7
	s_and_saveexec_b64 s[12:13], vcc
; %bb.141:
	v_cmp_lt_i64_e32 vcc, v[2:3], v[4:5]
	v_cndmask_b32_e64 v6, v6, 1, s[0:1]
	s_and_b64 vcc, s[0:1], vcc
	v_cndmask_b32_e32 v2, v4, v2, vcc
	v_and_b32_e32 v4, 1, v6
	v_cndmask_b32_e32 v3, v5, v3, vcc
	v_cmp_eq_u32_e32 vcc, 1, v4
	s_andn2_b64 s[0:1], s[0:1], exec
	s_and_b64 s[16:17], vcc, exec
	v_and_b32_e32 v1, 0xff, v6
	s_or_b64 s[0:1], s[0:1], s[16:17]
; %bb.142:
	s_or_b64 exec, exec, s[12:13]
	v_mov_b32_dpp v6, v1 row_ror:8 row_mask:0xf bank_mask:0xf bound_ctrl:1
	v_and_b32_e32 v7, 1, v6
	v_mov_b32_dpp v4, v2 row_ror:8 row_mask:0xf bank_mask:0xf bound_ctrl:1
	v_mov_b32_dpp v5, v3 row_ror:8 row_mask:0xf bank_mask:0xf bound_ctrl:1
	v_cmp_eq_u32_e32 vcc, 1, v7
	s_and_saveexec_b64 s[12:13], vcc
; %bb.143:
	v_cmp_lt_i64_e32 vcc, v[2:3], v[4:5]
	v_cndmask_b32_e64 v6, v6, 1, s[0:1]
	s_and_b64 vcc, s[0:1], vcc
	v_cndmask_b32_e32 v2, v4, v2, vcc
	v_and_b32_e32 v4, 1, v6
	v_cndmask_b32_e32 v3, v5, v3, vcc
	v_cmp_eq_u32_e32 vcc, 1, v4
	s_andn2_b64 s[0:1], s[0:1], exec
	s_and_b64 s[16:17], vcc, exec
	v_and_b32_e32 v1, 0xff, v6
	s_or_b64 s[0:1], s[0:1], s[16:17]
; %bb.144:
	s_or_b64 exec, exec, s[12:13]
	v_mov_b32_dpp v6, v1 row_bcast:15 row_mask:0xf bank_mask:0xf bound_ctrl:1
	v_and_b32_e32 v7, 1, v6
	v_mov_b32_dpp v4, v2 row_bcast:15 row_mask:0xf bank_mask:0xf bound_ctrl:1
	v_mov_b32_dpp v5, v3 row_bcast:15 row_mask:0xf bank_mask:0xf bound_ctrl:1
	v_cmp_eq_u32_e32 vcc, 1, v7
	s_and_saveexec_b64 s[12:13], vcc
; %bb.145:
	v_cmp_lt_i64_e32 vcc, v[2:3], v[4:5]
	v_cndmask_b32_e64 v6, v6, 1, s[0:1]
	s_and_b64 vcc, s[0:1], vcc
	v_cndmask_b32_e32 v2, v4, v2, vcc
	v_and_b32_e32 v4, 1, v6
	v_cndmask_b32_e32 v3, v5, v3, vcc
	v_cmp_eq_u32_e32 vcc, 1, v4
	s_andn2_b64 s[0:1], s[0:1], exec
	s_and_b64 s[16:17], vcc, exec
	v_and_b32_e32 v1, 0xff, v6
	s_or_b64 s[0:1], s[0:1], s[16:17]
; %bb.146:
	s_or_b64 exec, exec, s[12:13]
	v_mov_b32_dpp v6, v1 row_bcast:31 row_mask:0xf bank_mask:0xf bound_ctrl:1
	v_and_b32_e32 v7, 1, v6
	v_mov_b32_dpp v4, v2 row_bcast:31 row_mask:0xf bank_mask:0xf bound_ctrl:1
	v_mov_b32_dpp v5, v3 row_bcast:31 row_mask:0xf bank_mask:0xf bound_ctrl:1
	v_cmp_eq_u32_e32 vcc, 1, v7
	s_and_saveexec_b64 s[12:13], vcc
; %bb.147:
	v_cmp_lt_i64_e32 vcc, v[2:3], v[4:5]
	v_and_b32_e32 v1, 0xff, v6
	s_and_b64 vcc, s[0:1], vcc
	v_cndmask_b32_e32 v2, v4, v2, vcc
	v_cndmask_b32_e32 v3, v5, v3, vcc
	v_cndmask_b32_e64 v1, v1, 1, s[0:1]
; %bb.148:
	s_or_b64 exec, exec, s[12:13]
	v_mbcnt_lo_u32_b32 v4, -1, 0
	v_mbcnt_hi_u32_b32 v4, -1, v4
	v_bfrev_b32_e32 v5, 0.5
	v_lshl_or_b32 v5, v4, 2, v5
	ds_bpermute_b32 v6, v5, v1
	ds_bpermute_b32 v2, v5, v2
	;; [unrolled: 1-line block ×3, first 2 shown]
	v_cmp_eq_u32_e32 vcc, 0, v4
	s_and_saveexec_b64 s[0:1], vcc
	s_cbranch_execz .LBB2247_150
; %bb.149:
	v_lshrrev_b32_e32 v1, 2, v0
	v_and_b32_e32 v1, 48, v1
	s_waitcnt lgkmcnt(2)
	ds_write_b8 v1, v6 offset:64
	s_waitcnt lgkmcnt(1)
	ds_write_b64 v1, v[2:3] offset:72
.LBB2247_150:
	s_or_b64 exec, exec, s[0:1]
	v_cmp_gt_u32_e32 vcc, 64, v0
	s_waitcnt lgkmcnt(0)
	s_barrier
	s_and_saveexec_b64 s[12:13], vcc
	s_cbranch_execz .LBB2247_152
; %bb.151:
	v_and_b32_e32 v1, 3, v4
	v_lshlrev_b32_e32 v2, 4, v1
	ds_read_u8 v5, v2 offset:64
	ds_read_b64 v[2:3], v2 offset:72
	v_cmp_ne_u32_e32 vcc, 3, v1
	v_addc_co_u32_e32 v6, vcc, 0, v4, vcc
	s_waitcnt lgkmcnt(1)
	v_and_b32_e32 v7, 0xff, v5
	v_lshlrev_b32_e32 v8, 2, v6
	ds_bpermute_b32 v9, v8, v7
	s_waitcnt lgkmcnt(1)
	ds_bpermute_b32 v6, v8, v2
	ds_bpermute_b32 v7, v8, v3
	v_and_b32_e32 v8, 1, v5
	s_waitcnt lgkmcnt(2)
	v_and_b32_e32 v10, 1, v9
	v_cmp_eq_u32_e64 s[0:1], 1, v10
	s_waitcnt lgkmcnt(0)
	v_cmp_lt_i64_e32 vcc, v[6:7], v[2:3]
	s_and_b64 vcc, s[0:1], vcc
	v_cndmask_b32_e64 v5, v5, 1, s[0:1]
	v_cndmask_b32_e32 v2, v2, v6, vcc
	v_cndmask_b32_e32 v3, v3, v7, vcc
	v_cmp_eq_u32_e32 vcc, 1, v8
	v_cndmask_b32_e32 v8, v9, v5, vcc
	v_cndmask_b32_e32 v3, v7, v3, vcc
	;; [unrolled: 1-line block ×3, first 2 shown]
	v_cmp_gt_u32_e32 vcc, 2, v1
	v_cndmask_b32_e64 v1, 0, 1, vcc
	v_lshlrev_b32_e32 v1, 1, v1
	v_and_b32_e32 v5, 0xff, v8
	v_add_lshl_u32 v1, v1, v4, 2
	ds_bpermute_b32 v6, v1, v5
	ds_bpermute_b32 v4, v1, v2
	;; [unrolled: 1-line block ×3, first 2 shown]
	v_and_b32_e32 v1, 1, v8
	s_waitcnt lgkmcnt(2)
	v_and_b32_e32 v7, 1, v6
	v_cmp_eq_u32_e64 s[0:1], 1, v7
	s_waitcnt lgkmcnt(0)
	v_cmp_lt_i64_e32 vcc, v[4:5], v[2:3]
	s_and_b64 vcc, s[0:1], vcc
	v_cndmask_b32_e64 v7, v8, 1, s[0:1]
	v_cndmask_b32_e32 v2, v2, v4, vcc
	v_cndmask_b32_e32 v3, v3, v5, vcc
	v_cmp_eq_u32_e32 vcc, 1, v1
	v_cndmask_b32_e32 v1, v6, v7, vcc
	v_cndmask_b32_e32 v3, v5, v3, vcc
	;; [unrolled: 1-line block ×3, first 2 shown]
	v_and_b32_e32 v6, 0xff, v1
.LBB2247_152:
	s_or_b64 exec, exec, s[12:13]
	s_branch .LBB2247_183
.LBB2247_153:
                                        ; implicit-def: $vgpr4_vgpr5
                                        ; implicit-def: $vgpr1
	s_cbranch_execnz .LBB2247_188
	s_branch .LBB2247_208
.LBB2247_154:
                                        ; implicit-def: $vgpr4_vgpr5
                                        ; implicit-def: $vgpr1
	s_branch .LBB2247_208
.LBB2247_155:
                                        ; implicit-def: $vgpr2_vgpr3
                                        ; implicit-def: $vgpr6
	s_cbranch_execz .LBB2247_183
; %bb.156:
	s_sub_i32 s12, s22, s8
	s_waitcnt lgkmcnt(0)
	v_pk_mov_b32 v[4:5], 0, 0
	v_cmp_gt_u32_e32 vcc, s12, v0
	v_mov_b32_e32 v1, 0
	v_pk_mov_b32 v[2:3], v[4:5], v[4:5] op_sel:[0,1]
	v_mov_b32_e32 v7, 0
	s_and_saveexec_b64 s[0:1], vcc
	s_cbranch_execz .LBB2247_158
; %bb.157:
	v_lshlrev_b32_e32 v2, 1, v0
	global_load_ushort v6, v2, s[2:3]
	v_mov_b32_e32 v3, s15
	v_add_co_u32_e32 v2, vcc, s14, v0
	v_addc_co_u32_e32 v3, vcc, 0, v3, vcc
	s_waitcnt vmcnt(0)
	v_cmp_eq_f16_e32 vcc, s34, v6
	v_cndmask_b32_e64 v7, 0, 1, vcc
.LBB2247_158:
	s_or_b64 exec, exec, s[0:1]
	v_or_b32_e32 v6, 0x100, v0
	v_cmp_gt_u32_e32 vcc, s12, v6
	s_and_saveexec_b64 s[8:9], vcc
	s_cbranch_execz .LBB2247_160
; %bb.159:
	v_lshlrev_b32_e32 v1, 1, v0
	global_load_ushort v1, v1, s[2:3] offset:512
	v_mov_b32_e32 v5, s15
	v_add_co_u32_e64 v4, s[0:1], s14, v6
	v_addc_co_u32_e64 v5, s[0:1], 0, v5, s[0:1]
	s_waitcnt vmcnt(0)
	v_cmp_eq_f16_e64 s[0:1], s34, v1
	v_cndmask_b32_e64 v1, 0, 1, s[0:1]
.LBB2247_160:
	s_or_b64 exec, exec, s[8:9]
	s_and_saveexec_b64 s[2:3], vcc
	s_cbranch_execz .LBB2247_162
; %bb.161:
	v_and_b32_e32 v8, 1, v1
	v_cmp_lt_i64_e32 vcc, v[4:5], v[2:3]
	v_cmp_eq_u32_e64 s[0:1], 1, v8
	v_and_b32_e32 v6, 1, v7
	s_and_b64 vcc, s[0:1], vcc
	v_cndmask_b32_e64 v7, v7, 1, s[0:1]
	v_cndmask_b32_e32 v2, v2, v4, vcc
	v_cndmask_b32_e32 v3, v3, v5, vcc
	v_cmp_eq_u32_e32 vcc, 1, v6
	v_cndmask_b32_e32 v7, v1, v7, vcc
	v_cndmask_b32_e32 v3, v5, v3, vcc
	;; [unrolled: 1-line block ×3, first 2 shown]
.LBB2247_162:
	s_or_b64 exec, exec, s[2:3]
	v_mbcnt_lo_u32_b32 v1, -1, 0
	v_mbcnt_hi_u32_b32 v1, -1, v1
	v_and_b32_e32 v8, 63, v1
	v_cmp_ne_u32_e32 vcc, 63, v8
	v_addc_co_u32_e32 v4, vcc, 0, v1, vcc
	v_and_b32_e32 v6, 0xffff, v7
	v_lshlrev_b32_e32 v5, 2, v4
	ds_bpermute_b32 v10, v5, v6
	ds_bpermute_b32 v4, v5, v2
	;; [unrolled: 1-line block ×3, first 2 shown]
	s_min_u32 s8, s12, 0x100
	v_and_b32_e32 v9, 0xc0, v0
	v_sub_u32_e64 v9, s8, v9 clamp
	v_add_u32_e32 v11, 1, v8
	v_cmp_lt_u32_e32 vcc, v11, v9
	s_and_saveexec_b64 s[2:3], vcc
	s_cbranch_execz .LBB2247_164
; %bb.163:
	s_waitcnt lgkmcnt(2)
	v_and_b32_e32 v11, 1, v10
	s_waitcnt lgkmcnt(0)
	v_cmp_lt_i64_e32 vcc, v[4:5], v[2:3]
	v_cmp_eq_u32_e64 s[0:1], 1, v11
	v_and_b32_e32 v6, 1, v7
	s_and_b64 vcc, s[0:1], vcc
	v_cndmask_b32_e64 v7, v7, 1, s[0:1]
	v_cndmask_b32_e32 v2, v2, v4, vcc
	v_cndmask_b32_e32 v3, v3, v5, vcc
	v_cmp_eq_u32_e32 vcc, 1, v6
	v_cndmask_b32_e32 v7, v10, v7, vcc
	v_cndmask_b32_e32 v3, v5, v3, vcc
	v_cndmask_b32_e32 v2, v4, v2, vcc
	v_and_b32_e32 v6, 0xff, v7
.LBB2247_164:
	s_or_b64 exec, exec, s[2:3]
	v_cmp_gt_u32_e32 vcc, 62, v8
	s_waitcnt lgkmcnt(1)
	v_cndmask_b32_e64 v4, 0, 1, vcc
	v_lshlrev_b32_e32 v4, 1, v4
	s_waitcnt lgkmcnt(0)
	v_add_lshl_u32 v5, v4, v1, 2
	ds_bpermute_b32 v10, v5, v6
	ds_bpermute_b32 v4, v5, v2
	ds_bpermute_b32 v5, v5, v3
	v_add_u32_e32 v11, 2, v8
	v_cmp_lt_u32_e32 vcc, v11, v9
	s_and_saveexec_b64 s[2:3], vcc
	s_cbranch_execz .LBB2247_166
; %bb.165:
	s_waitcnt lgkmcnt(2)
	v_and_b32_e32 v11, 1, v10
	s_waitcnt lgkmcnt(0)
	v_cmp_lt_i64_e32 vcc, v[4:5], v[2:3]
	v_cmp_eq_u32_e64 s[0:1], 1, v11
	v_and_b32_e32 v6, 1, v7
	s_and_b64 vcc, s[0:1], vcc
	v_cndmask_b32_e64 v7, v7, 1, s[0:1]
	v_cndmask_b32_e32 v2, v2, v4, vcc
	v_cndmask_b32_e32 v3, v3, v5, vcc
	v_cmp_eq_u32_e32 vcc, 1, v6
	v_cndmask_b32_e32 v7, v10, v7, vcc
	v_cndmask_b32_e32 v3, v5, v3, vcc
	v_cndmask_b32_e32 v2, v4, v2, vcc
	v_and_b32_e32 v6, 0xff, v7
.LBB2247_166:
	s_or_b64 exec, exec, s[2:3]
	v_cmp_gt_u32_e32 vcc, 60, v8
	s_waitcnt lgkmcnt(1)
	v_cndmask_b32_e64 v4, 0, 1, vcc
	v_lshlrev_b32_e32 v4, 2, v4
	s_waitcnt lgkmcnt(0)
	v_add_lshl_u32 v5, v4, v1, 2
	ds_bpermute_b32 v10, v5, v6
	ds_bpermute_b32 v4, v5, v2
	ds_bpermute_b32 v5, v5, v3
	v_add_u32_e32 v11, 4, v8
	v_cmp_lt_u32_e32 vcc, v11, v9
	s_and_saveexec_b64 s[2:3], vcc
	s_cbranch_execz .LBB2247_168
; %bb.167:
	s_waitcnt lgkmcnt(2)
	v_and_b32_e32 v11, 1, v10
	s_waitcnt lgkmcnt(0)
	v_cmp_lt_i64_e32 vcc, v[4:5], v[2:3]
	v_cmp_eq_u32_e64 s[0:1], 1, v11
	v_and_b32_e32 v6, 1, v7
	s_and_b64 vcc, s[0:1], vcc
	v_cndmask_b32_e64 v7, v7, 1, s[0:1]
	v_cndmask_b32_e32 v2, v2, v4, vcc
	v_cndmask_b32_e32 v3, v3, v5, vcc
	v_cmp_eq_u32_e32 vcc, 1, v6
	v_cndmask_b32_e32 v7, v10, v7, vcc
	v_cndmask_b32_e32 v3, v5, v3, vcc
	v_cndmask_b32_e32 v2, v4, v2, vcc
	v_and_b32_e32 v6, 0xff, v7
.LBB2247_168:
	s_or_b64 exec, exec, s[2:3]
	v_cmp_gt_u32_e32 vcc, 56, v8
	s_waitcnt lgkmcnt(1)
	v_cndmask_b32_e64 v4, 0, 1, vcc
	v_lshlrev_b32_e32 v4, 3, v4
	s_waitcnt lgkmcnt(0)
	v_add_lshl_u32 v5, v4, v1, 2
	ds_bpermute_b32 v10, v5, v6
	ds_bpermute_b32 v4, v5, v2
	ds_bpermute_b32 v5, v5, v3
	v_add_u32_e32 v11, 8, v8
	v_cmp_lt_u32_e32 vcc, v11, v9
	s_and_saveexec_b64 s[2:3], vcc
	s_cbranch_execz .LBB2247_170
; %bb.169:
	s_waitcnt lgkmcnt(2)
	v_and_b32_e32 v11, 1, v10
	s_waitcnt lgkmcnt(0)
	v_cmp_lt_i64_e32 vcc, v[4:5], v[2:3]
	v_cmp_eq_u32_e64 s[0:1], 1, v11
	v_and_b32_e32 v6, 1, v7
	s_and_b64 vcc, s[0:1], vcc
	v_cndmask_b32_e64 v7, v7, 1, s[0:1]
	v_cndmask_b32_e32 v2, v2, v4, vcc
	v_cndmask_b32_e32 v3, v3, v5, vcc
	v_cmp_eq_u32_e32 vcc, 1, v6
	v_cndmask_b32_e32 v7, v10, v7, vcc
	v_cndmask_b32_e32 v3, v5, v3, vcc
	v_cndmask_b32_e32 v2, v4, v2, vcc
	v_and_b32_e32 v6, 0xff, v7
.LBB2247_170:
	s_or_b64 exec, exec, s[2:3]
	v_cmp_gt_u32_e32 vcc, 48, v8
	s_waitcnt lgkmcnt(1)
	v_cndmask_b32_e64 v4, 0, 1, vcc
	v_lshlrev_b32_e32 v4, 4, v4
	s_waitcnt lgkmcnt(0)
	v_add_lshl_u32 v5, v4, v1, 2
	ds_bpermute_b32 v10, v5, v6
	ds_bpermute_b32 v4, v5, v2
	ds_bpermute_b32 v5, v5, v3
	v_add_u32_e32 v11, 16, v8
	v_cmp_lt_u32_e32 vcc, v11, v9
	s_and_saveexec_b64 s[2:3], vcc
	s_cbranch_execz .LBB2247_172
; %bb.171:
	s_waitcnt lgkmcnt(2)
	v_and_b32_e32 v11, 1, v10
	s_waitcnt lgkmcnt(0)
	v_cmp_lt_i64_e32 vcc, v[4:5], v[2:3]
	v_cmp_eq_u32_e64 s[0:1], 1, v11
	v_and_b32_e32 v6, 1, v7
	s_and_b64 vcc, s[0:1], vcc
	v_cndmask_b32_e64 v7, v7, 1, s[0:1]
	v_cndmask_b32_e32 v2, v2, v4, vcc
	v_cndmask_b32_e32 v3, v3, v5, vcc
	v_cmp_eq_u32_e32 vcc, 1, v6
	v_cndmask_b32_e32 v7, v10, v7, vcc
	v_cndmask_b32_e32 v3, v5, v3, vcc
	v_cndmask_b32_e32 v2, v4, v2, vcc
	v_and_b32_e32 v6, 0xff, v7
.LBB2247_172:
	s_or_b64 exec, exec, s[2:3]
	v_cmp_gt_u32_e32 vcc, 32, v8
	s_waitcnt lgkmcnt(1)
	v_cndmask_b32_e64 v4, 0, 1, vcc
	v_lshlrev_b32_e32 v4, 5, v4
	s_waitcnt lgkmcnt(0)
	v_add_lshl_u32 v5, v4, v1, 2
	ds_bpermute_b32 v10, v5, v6
	ds_bpermute_b32 v4, v5, v2
	ds_bpermute_b32 v5, v5, v3
	v_add_u32_e32 v8, 32, v8
	v_cmp_lt_u32_e32 vcc, v8, v9
	s_and_saveexec_b64 s[2:3], vcc
	s_cbranch_execz .LBB2247_174
; %bb.173:
	s_waitcnt lgkmcnt(2)
	v_and_b32_e32 v8, 1, v10
	s_waitcnt lgkmcnt(0)
	v_cmp_lt_i64_e32 vcc, v[4:5], v[2:3]
	v_cmp_eq_u32_e64 s[0:1], 1, v8
	v_and_b32_e32 v6, 1, v7
	s_and_b64 vcc, s[0:1], vcc
	v_cndmask_b32_e64 v7, v7, 1, s[0:1]
	v_cndmask_b32_e32 v2, v2, v4, vcc
	v_cndmask_b32_e32 v3, v3, v5, vcc
	v_cmp_eq_u32_e32 vcc, 1, v6
	v_cndmask_b32_e32 v7, v10, v7, vcc
	v_cndmask_b32_e32 v3, v5, v3, vcc
	v_cndmask_b32_e32 v2, v4, v2, vcc
	v_and_b32_e32 v6, 0xff, v7
.LBB2247_174:
	s_or_b64 exec, exec, s[2:3]
	v_cmp_eq_u32_e32 vcc, 0, v1
	s_and_saveexec_b64 s[0:1], vcc
	s_cbranch_execz .LBB2247_176
; %bb.175:
	s_waitcnt lgkmcnt(1)
	v_lshrrev_b32_e32 v4, 2, v0
	v_and_b32_e32 v4, 48, v4
	ds_write_b8 v4, v7 offset:256
	ds_write_b64 v4, v[2:3] offset:264
.LBB2247_176:
	s_or_b64 exec, exec, s[0:1]
	v_cmp_gt_u32_e32 vcc, 4, v0
	s_waitcnt lgkmcnt(0)
	s_barrier
	s_and_saveexec_b64 s[2:3], vcc
	s_cbranch_execz .LBB2247_182
; %bb.177:
	v_lshlrev_b32_e32 v2, 4, v1
	ds_read_u8 v7, v2 offset:256
	ds_read_b64 v[2:3], v2 offset:264
	v_and_b32_e32 v8, 3, v1
	v_cmp_ne_u32_e32 vcc, 3, v8
	v_addc_co_u32_e32 v4, vcc, 0, v1, vcc
	s_waitcnt lgkmcnt(1)
	v_and_b32_e32 v6, 0xff, v7
	v_lshlrev_b32_e32 v5, 2, v4
	ds_bpermute_b32 v9, v5, v6
	s_waitcnt lgkmcnt(1)
	ds_bpermute_b32 v4, v5, v2
	ds_bpermute_b32 v5, v5, v3
	s_add_i32 s8, s8, 63
	s_lshr_b32 s12, s8, 6
	v_add_u32_e32 v10, 1, v8
	v_cmp_gt_u32_e32 vcc, s12, v10
	s_and_saveexec_b64 s[8:9], vcc
	s_cbranch_execz .LBB2247_179
; %bb.178:
	s_waitcnt lgkmcnt(2)
	v_and_b32_e32 v10, 1, v9
	s_waitcnt lgkmcnt(0)
	v_cmp_lt_i64_e32 vcc, v[4:5], v[2:3]
	v_cmp_eq_u32_e64 s[0:1], 1, v10
	v_and_b32_e32 v6, 1, v7
	s_and_b64 vcc, s[0:1], vcc
	v_cndmask_b32_e64 v7, v7, 1, s[0:1]
	v_cndmask_b32_e32 v2, v2, v4, vcc
	v_cndmask_b32_e32 v3, v3, v5, vcc
	v_cmp_eq_u32_e32 vcc, 1, v6
	v_cndmask_b32_e32 v7, v9, v7, vcc
	v_cndmask_b32_e32 v3, v5, v3, vcc
	;; [unrolled: 1-line block ×3, first 2 shown]
	v_and_b32_e32 v6, 0xff, v7
.LBB2247_179:
	s_or_b64 exec, exec, s[8:9]
	v_cmp_gt_u32_e32 vcc, 2, v8
	s_waitcnt lgkmcnt(1)
	v_cndmask_b32_e64 v4, 0, 1, vcc
	v_lshlrev_b32_e32 v4, 1, v4
	s_waitcnt lgkmcnt(0)
	v_add_lshl_u32 v5, v4, v1, 2
	ds_bpermute_b32 v1, v5, v6
	ds_bpermute_b32 v4, v5, v2
	;; [unrolled: 1-line block ×3, first 2 shown]
	v_add_u32_e32 v8, 2, v8
	v_cmp_gt_u32_e32 vcc, s12, v8
	s_and_saveexec_b64 s[8:9], vcc
	s_cbranch_execz .LBB2247_181
; %bb.180:
	s_waitcnt lgkmcnt(2)
	v_and_b32_e32 v8, 1, v1
	s_waitcnt lgkmcnt(0)
	v_cmp_lt_i64_e32 vcc, v[4:5], v[2:3]
	v_cmp_eq_u32_e64 s[0:1], 1, v8
	v_and_b32_e32 v6, 1, v7
	s_and_b64 vcc, s[0:1], vcc
	v_cndmask_b32_e64 v7, v7, 1, s[0:1]
	v_cndmask_b32_e32 v2, v2, v4, vcc
	v_cndmask_b32_e32 v3, v3, v5, vcc
	v_cmp_eq_u32_e32 vcc, 1, v6
	v_cndmask_b32_e32 v1, v1, v7, vcc
	v_cndmask_b32_e32 v3, v5, v3, vcc
	;; [unrolled: 1-line block ×3, first 2 shown]
	v_and_b32_e32 v6, 0xff, v1
.LBB2247_181:
	s_or_b64 exec, exec, s[8:9]
.LBB2247_182:
	s_or_b64 exec, exec, s[2:3]
.LBB2247_183:
	v_cmp_eq_u32_e32 vcc, 0, v0
                                        ; implicit-def: $vgpr4_vgpr5
                                        ; implicit-def: $vgpr1
	s_and_saveexec_b64 s[0:1], vcc
	s_xor_b64 s[8:9], exec, s[0:1]
	s_cbranch_execz .LBB2247_187
; %bb.184:
	s_cmp_eq_u64 s[22:23], 0
	s_waitcnt lgkmcnt(0)
	v_pk_mov_b32 v[4:5], s[18:19], s[18:19] op_sel:[0,1]
	v_mov_b32_e32 v1, s33
	s_cbranch_scc1 .LBB2247_186
; %bb.185:
	v_and_b32_e32 v1, 1, v6
	s_bitcmp1_b32 s33, 0
	v_mov_b32_e32 v4, s33
	v_cmp_eq_u32_e32 vcc, 1, v1
	v_cmp_gt_i64_e64 s[2:3], s[18:19], v[2:3]
	v_cndmask_b32_e64 v1, v4, 1, vcc
	s_cselect_b64 s[0:1], -1, 0
	v_mov_b32_e32 v4, s18
	s_and_b64 vcc, vcc, s[2:3]
	v_mov_b32_e32 v5, s19
	v_cndmask_b32_e32 v4, v4, v2, vcc
	v_cndmask_b32_e32 v5, v5, v3, vcc
	v_cndmask_b32_e64 v1, v6, v1, s[0:1]
	v_cndmask_b32_e64 v5, v3, v5, s[0:1]
	;; [unrolled: 1-line block ×3, first 2 shown]
.LBB2247_186:
	s_or_b64 s[10:11], s[10:11], exec
.LBB2247_187:
	s_or_b64 exec, exec, s[8:9]
	s_branch .LBB2247_208
.LBB2247_188:
	s_cmp_eq_u32 s35, 1
	s_cbranch_scc0 .LBB2247_207
; %bb.189:
	s_mov_b32 s3, 0
	s_lshl_b32 s2, s6, 8
	s_mov_b32 s7, s3
	s_lshr_b64 s[0:1], s[22:23], 8
	s_cmp_lg_u64 s[0:1], s[6:7]
	s_cbranch_scc0 .LBB2247_211
; %bb.190:
	s_lshl_b64 s[0:1], s[2:3], 1
	s_add_u32 s0, s24, s0
	s_addc_u32 s1, s25, s1
	s_waitcnt lgkmcnt(2)
	v_lshlrev_b32_e32 v1, 1, v0
	global_load_ushort v1, v1, s[0:1]
	s_add_u32 s0, s20, s2
	s_addc_u32 s1, s21, 0
	v_mov_b32_e32 v3, s1
	v_add_co_u32_e32 v2, vcc, s0, v0
	v_addc_co_u32_e32 v3, vcc, 0, v3, vcc
	s_waitcnt lgkmcnt(1)
	v_mov_b32_dpp v4, v2 quad_perm:[1,0,3,2] row_mask:0xf bank_mask:0xf bound_ctrl:1
	s_waitcnt lgkmcnt(0)
	v_mov_b32_dpp v5, v3 quad_perm:[1,0,3,2] row_mask:0xf bank_mask:0xf bound_ctrl:1
	s_waitcnt vmcnt(0)
	v_cmp_eq_f16_e32 vcc, s34, v1
	v_cndmask_b32_e64 v1, 0, 1, vcc
	v_cndmask_b32_e64 v6, 0, 1, vcc
	s_nop 0
	v_mov_b32_dpp v1, v1 quad_perm:[1,0,3,2] row_mask:0xf bank_mask:0xf bound_ctrl:1
	v_and_b32_e32 v7, 1, v1
	v_cmp_eq_u32_e64 s[0:1], 1, v7
	s_and_saveexec_b64 s[8:9], s[0:1]
; %bb.191:
	v_cmp_lt_i64_e64 s[0:1], v[2:3], v[4:5]
	v_cndmask_b32_e64 v6, v1, 1, vcc
	s_and_b64 vcc, vcc, s[0:1]
	v_cndmask_b32_e32 v3, v5, v3, vcc
	v_cndmask_b32_e32 v2, v4, v2, vcc
; %bb.192:
	s_or_b64 exec, exec, s[8:9]
	v_and_b32_e32 v1, 0xff, v6
	v_and_b32_e32 v6, 1, v6
	v_mov_b32_dpp v4, v2 quad_perm:[2,3,0,1] row_mask:0xf bank_mask:0xf bound_ctrl:1
	v_mov_b32_dpp v7, v1 quad_perm:[2,3,0,1] row_mask:0xf bank_mask:0xf bound_ctrl:1
	v_and_b32_e32 v8, 1, v7
	v_mov_b32_dpp v5, v3 quad_perm:[2,3,0,1] row_mask:0xf bank_mask:0xf bound_ctrl:1
	v_cmp_eq_u32_e32 vcc, 1, v8
	v_cmp_eq_u32_e64 s[0:1], 1, v6
	s_and_saveexec_b64 s[8:9], vcc
; %bb.193:
	v_cmp_lt_i64_e32 vcc, v[2:3], v[4:5]
	v_cndmask_b32_e64 v6, v7, 1, s[0:1]
	s_and_b64 vcc, s[0:1], vcc
	v_cndmask_b32_e32 v2, v4, v2, vcc
	v_and_b32_e32 v4, 1, v6
	v_cndmask_b32_e32 v3, v5, v3, vcc
	v_cmp_eq_u32_e32 vcc, 1, v4
	s_andn2_b64 s[0:1], s[0:1], exec
	s_and_b64 s[12:13], vcc, exec
	v_and_b32_e32 v1, 0xff, v6
	s_or_b64 s[0:1], s[0:1], s[12:13]
; %bb.194:
	s_or_b64 exec, exec, s[8:9]
	v_mov_b32_dpp v6, v1 row_ror:4 row_mask:0xf bank_mask:0xf bound_ctrl:1
	v_and_b32_e32 v7, 1, v6
	v_mov_b32_dpp v4, v2 row_ror:4 row_mask:0xf bank_mask:0xf bound_ctrl:1
	v_mov_b32_dpp v5, v3 row_ror:4 row_mask:0xf bank_mask:0xf bound_ctrl:1
	v_cmp_eq_u32_e32 vcc, 1, v7
	s_and_saveexec_b64 s[8:9], vcc
; %bb.195:
	v_cmp_lt_i64_e32 vcc, v[2:3], v[4:5]
	v_cndmask_b32_e64 v6, v6, 1, s[0:1]
	s_and_b64 vcc, s[0:1], vcc
	v_cndmask_b32_e32 v2, v4, v2, vcc
	v_and_b32_e32 v4, 1, v6
	v_cndmask_b32_e32 v3, v5, v3, vcc
	v_cmp_eq_u32_e32 vcc, 1, v4
	s_andn2_b64 s[0:1], s[0:1], exec
	s_and_b64 s[12:13], vcc, exec
	v_and_b32_e32 v1, 0xff, v6
	s_or_b64 s[0:1], s[0:1], s[12:13]
; %bb.196:
	s_or_b64 exec, exec, s[8:9]
	v_mov_b32_dpp v6, v1 row_ror:8 row_mask:0xf bank_mask:0xf bound_ctrl:1
	v_and_b32_e32 v7, 1, v6
	v_mov_b32_dpp v4, v2 row_ror:8 row_mask:0xf bank_mask:0xf bound_ctrl:1
	v_mov_b32_dpp v5, v3 row_ror:8 row_mask:0xf bank_mask:0xf bound_ctrl:1
	v_cmp_eq_u32_e32 vcc, 1, v7
	s_and_saveexec_b64 s[8:9], vcc
; %bb.197:
	v_cmp_lt_i64_e32 vcc, v[2:3], v[4:5]
	v_cndmask_b32_e64 v6, v6, 1, s[0:1]
	s_and_b64 vcc, s[0:1], vcc
	v_cndmask_b32_e32 v2, v4, v2, vcc
	v_and_b32_e32 v4, 1, v6
	v_cndmask_b32_e32 v3, v5, v3, vcc
	v_cmp_eq_u32_e32 vcc, 1, v4
	s_andn2_b64 s[0:1], s[0:1], exec
	s_and_b64 s[12:13], vcc, exec
	v_and_b32_e32 v1, 0xff, v6
	s_or_b64 s[0:1], s[0:1], s[12:13]
; %bb.198:
	s_or_b64 exec, exec, s[8:9]
	v_mov_b32_dpp v6, v1 row_bcast:15 row_mask:0xf bank_mask:0xf bound_ctrl:1
	v_and_b32_e32 v7, 1, v6
	v_mov_b32_dpp v4, v2 row_bcast:15 row_mask:0xf bank_mask:0xf bound_ctrl:1
	v_mov_b32_dpp v5, v3 row_bcast:15 row_mask:0xf bank_mask:0xf bound_ctrl:1
	v_cmp_eq_u32_e32 vcc, 1, v7
	s_and_saveexec_b64 s[8:9], vcc
; %bb.199:
	v_cmp_lt_i64_e32 vcc, v[2:3], v[4:5]
	v_cndmask_b32_e64 v6, v6, 1, s[0:1]
	s_and_b64 vcc, s[0:1], vcc
	v_cndmask_b32_e32 v2, v4, v2, vcc
	v_and_b32_e32 v4, 1, v6
	v_cndmask_b32_e32 v3, v5, v3, vcc
	v_cmp_eq_u32_e32 vcc, 1, v4
	s_andn2_b64 s[0:1], s[0:1], exec
	s_and_b64 s[12:13], vcc, exec
	v_and_b32_e32 v1, 0xff, v6
	s_or_b64 s[0:1], s[0:1], s[12:13]
; %bb.200:
	s_or_b64 exec, exec, s[8:9]
	v_mov_b32_dpp v6, v1 row_bcast:31 row_mask:0xf bank_mask:0xf bound_ctrl:1
	v_and_b32_e32 v7, 1, v6
	v_mov_b32_dpp v4, v2 row_bcast:31 row_mask:0xf bank_mask:0xf bound_ctrl:1
	v_mov_b32_dpp v5, v3 row_bcast:31 row_mask:0xf bank_mask:0xf bound_ctrl:1
	v_cmp_eq_u32_e32 vcc, 1, v7
	s_and_saveexec_b64 s[8:9], vcc
; %bb.201:
	v_cmp_lt_i64_e32 vcc, v[2:3], v[4:5]
	v_and_b32_e32 v1, 0xff, v6
	s_and_b64 vcc, s[0:1], vcc
	v_cndmask_b32_e32 v2, v4, v2, vcc
	v_cndmask_b32_e32 v3, v5, v3, vcc
	v_cndmask_b32_e64 v1, v1, 1, s[0:1]
; %bb.202:
	s_or_b64 exec, exec, s[8:9]
	v_mbcnt_lo_u32_b32 v4, -1, 0
	v_mbcnt_hi_u32_b32 v4, -1, v4
	v_bfrev_b32_e32 v5, 0.5
	v_lshl_or_b32 v5, v4, 2, v5
	ds_bpermute_b32 v6, v5, v1
	ds_bpermute_b32 v2, v5, v2
	;; [unrolled: 1-line block ×3, first 2 shown]
	v_cmp_eq_u32_e32 vcc, 0, v4
	s_and_saveexec_b64 s[0:1], vcc
	s_cbranch_execz .LBB2247_204
; %bb.203:
	v_lshrrev_b32_e32 v1, 2, v0
	v_and_b32_e32 v1, 48, v1
	s_waitcnt lgkmcnt(2)
	ds_write_b8 v1, v6
	s_waitcnt lgkmcnt(1)
	ds_write_b64 v1, v[2:3] offset:8
.LBB2247_204:
	s_or_b64 exec, exec, s[0:1]
	v_cmp_gt_u32_e32 vcc, 64, v0
	s_waitcnt lgkmcnt(0)
	s_barrier
	s_and_saveexec_b64 s[8:9], vcc
	s_cbranch_execz .LBB2247_206
; %bb.205:
	v_and_b32_e32 v1, 3, v4
	v_lshlrev_b32_e32 v2, 4, v1
	ds_read_u8 v5, v2
	ds_read_b64 v[2:3], v2 offset:8
	v_cmp_ne_u32_e32 vcc, 3, v1
	v_addc_co_u32_e32 v6, vcc, 0, v4, vcc
	s_waitcnt lgkmcnt(1)
	v_and_b32_e32 v7, 0xff, v5
	v_lshlrev_b32_e32 v8, 2, v6
	ds_bpermute_b32 v9, v8, v7
	s_waitcnt lgkmcnt(1)
	ds_bpermute_b32 v6, v8, v2
	ds_bpermute_b32 v7, v8, v3
	v_and_b32_e32 v8, 1, v5
	s_waitcnt lgkmcnt(2)
	v_and_b32_e32 v10, 1, v9
	v_cmp_eq_u32_e64 s[0:1], 1, v10
	s_waitcnt lgkmcnt(0)
	v_cmp_lt_i64_e32 vcc, v[6:7], v[2:3]
	s_and_b64 vcc, s[0:1], vcc
	v_cndmask_b32_e64 v5, v5, 1, s[0:1]
	v_cndmask_b32_e32 v2, v2, v6, vcc
	v_cndmask_b32_e32 v3, v3, v7, vcc
	v_cmp_eq_u32_e32 vcc, 1, v8
	v_cndmask_b32_e32 v8, v9, v5, vcc
	v_cndmask_b32_e32 v3, v7, v3, vcc
	;; [unrolled: 1-line block ×3, first 2 shown]
	v_cmp_gt_u32_e32 vcc, 2, v1
	v_cndmask_b32_e64 v1, 0, 1, vcc
	v_lshlrev_b32_e32 v1, 1, v1
	v_and_b32_e32 v5, 0xff, v8
	v_add_lshl_u32 v1, v1, v4, 2
	ds_bpermute_b32 v6, v1, v5
	ds_bpermute_b32 v4, v1, v2
	;; [unrolled: 1-line block ×3, first 2 shown]
	v_and_b32_e32 v1, 1, v8
	s_waitcnt lgkmcnt(2)
	v_and_b32_e32 v7, 1, v6
	v_cmp_eq_u32_e64 s[0:1], 1, v7
	s_waitcnt lgkmcnt(0)
	v_cmp_lt_i64_e32 vcc, v[4:5], v[2:3]
	s_and_b64 vcc, s[0:1], vcc
	v_cndmask_b32_e64 v7, v8, 1, s[0:1]
	v_cndmask_b32_e32 v2, v2, v4, vcc
	v_cndmask_b32_e32 v3, v3, v5, vcc
	v_cmp_eq_u32_e32 vcc, 1, v1
	v_cndmask_b32_e32 v1, v6, v7, vcc
	v_cndmask_b32_e32 v3, v5, v3, vcc
	;; [unrolled: 1-line block ×3, first 2 shown]
	v_and_b32_e32 v6, 0xff, v1
.LBB2247_206:
	s_or_b64 exec, exec, s[8:9]
	s_branch .LBB2247_235
.LBB2247_207:
                                        ; implicit-def: $vgpr4_vgpr5
                                        ; implicit-def: $vgpr1
                                        ; implicit-def: $sgpr6_sgpr7
.LBB2247_208:
	s_and_saveexec_b64 s[0:1], s[10:11]
	s_cbranch_execz .LBB2247_210
.LBB2247_209:
	s_load_dwordx2 s[0:1], s[4:5], 0x28
	s_lshl_b64 s[2:3], s[6:7], 4
	v_mov_b32_e32 v0, 0
	s_waitcnt lgkmcnt(0)
	s_add_u32 s0, s0, s2
	s_addc_u32 s1, s1, s3
	global_store_byte v0, v1, s[0:1]
	global_store_dwordx2 v0, v[4:5], s[0:1] offset:8
.LBB2247_210:
	s_endpgm
.LBB2247_211:
                                        ; implicit-def: $vgpr2_vgpr3
                                        ; implicit-def: $vgpr6
	s_cbranch_execz .LBB2247_235
; %bb.212:
	s_sub_i32 s8, s22, s2
	v_cmp_gt_u32_e32 vcc, s8, v0
	v_pk_mov_b32 v[2:3], 0, 0
	v_mov_b32_e32 v7, 0
	s_and_saveexec_b64 s[0:1], vcc
	s_cbranch_execz .LBB2247_214
; %bb.213:
	s_add_u32 s9, s20, s2
	s_addc_u32 s12, s21, 0
	s_lshl_b64 s[2:3], s[2:3], 1
	s_add_u32 s2, s24, s2
	s_addc_u32 s3, s25, s3
	s_waitcnt lgkmcnt(2)
	v_lshlrev_b32_e32 v1, 1, v0
	global_load_ushort v1, v1, s[2:3]
	v_mov_b32_e32 v3, s12
	v_add_co_u32_e32 v2, vcc, s9, v0
	v_addc_co_u32_e32 v3, vcc, 0, v3, vcc
	s_waitcnt vmcnt(0)
	v_cmp_eq_f16_e32 vcc, s34, v1
	v_cndmask_b32_e64 v7, 0, 1, vcc
.LBB2247_214:
	s_or_b64 exec, exec, s[0:1]
	s_waitcnt lgkmcnt(2)
	v_mbcnt_lo_u32_b32 v1, -1, 0
	v_mbcnt_hi_u32_b32 v1, -1, v1
	v_and_b32_e32 v8, 63, v1
	v_cmp_ne_u32_e32 vcc, 63, v8
	s_waitcnt lgkmcnt(1)
	v_addc_co_u32_e32 v4, vcc, 0, v1, vcc
	v_and_b32_e32 v6, 0xffff, v7
	s_waitcnt lgkmcnt(0)
	v_lshlrev_b32_e32 v5, 2, v4
	ds_bpermute_b32 v10, v5, v6
	ds_bpermute_b32 v4, v5, v2
	;; [unrolled: 1-line block ×3, first 2 shown]
	s_min_u32 s8, s8, 0x100
	v_and_b32_e32 v9, 0xc0, v0
	v_sub_u32_e64 v9, s8, v9 clamp
	v_add_u32_e32 v11, 1, v8
	v_cmp_lt_u32_e32 vcc, v11, v9
	s_and_saveexec_b64 s[2:3], vcc
	s_cbranch_execz .LBB2247_216
; %bb.215:
	s_waitcnt lgkmcnt(2)
	v_and_b32_e32 v11, 1, v10
	s_waitcnt lgkmcnt(0)
	v_cmp_lt_i64_e32 vcc, v[4:5], v[2:3]
	v_cmp_eq_u32_e64 s[0:1], 1, v11
	v_and_b32_e32 v6, 1, v7
	s_and_b64 vcc, s[0:1], vcc
	v_cndmask_b32_e64 v7, v7, 1, s[0:1]
	v_cndmask_b32_e32 v2, v2, v4, vcc
	v_cndmask_b32_e32 v3, v3, v5, vcc
	v_cmp_eq_u32_e32 vcc, 1, v6
	v_cndmask_b32_e32 v7, v10, v7, vcc
	v_cndmask_b32_e32 v3, v5, v3, vcc
	v_cndmask_b32_e32 v2, v4, v2, vcc
	v_and_b32_e32 v6, 0xff, v7
.LBB2247_216:
	s_or_b64 exec, exec, s[2:3]
	v_cmp_gt_u32_e32 vcc, 62, v8
	s_waitcnt lgkmcnt(1)
	v_cndmask_b32_e64 v4, 0, 1, vcc
	v_lshlrev_b32_e32 v4, 1, v4
	s_waitcnt lgkmcnt(0)
	v_add_lshl_u32 v5, v4, v1, 2
	ds_bpermute_b32 v10, v5, v6
	ds_bpermute_b32 v4, v5, v2
	ds_bpermute_b32 v5, v5, v3
	v_add_u32_e32 v11, 2, v8
	v_cmp_lt_u32_e32 vcc, v11, v9
	s_and_saveexec_b64 s[2:3], vcc
	s_cbranch_execz .LBB2247_218
; %bb.217:
	s_waitcnt lgkmcnt(2)
	v_and_b32_e32 v11, 1, v10
	s_waitcnt lgkmcnt(0)
	v_cmp_lt_i64_e32 vcc, v[4:5], v[2:3]
	v_cmp_eq_u32_e64 s[0:1], 1, v11
	v_and_b32_e32 v6, 1, v7
	s_and_b64 vcc, s[0:1], vcc
	v_cndmask_b32_e64 v7, v7, 1, s[0:1]
	v_cndmask_b32_e32 v2, v2, v4, vcc
	v_cndmask_b32_e32 v3, v3, v5, vcc
	v_cmp_eq_u32_e32 vcc, 1, v6
	v_cndmask_b32_e32 v7, v10, v7, vcc
	v_cndmask_b32_e32 v3, v5, v3, vcc
	v_cndmask_b32_e32 v2, v4, v2, vcc
	v_and_b32_e32 v6, 0xff, v7
.LBB2247_218:
	s_or_b64 exec, exec, s[2:3]
	v_cmp_gt_u32_e32 vcc, 60, v8
	s_waitcnt lgkmcnt(1)
	v_cndmask_b32_e64 v4, 0, 1, vcc
	v_lshlrev_b32_e32 v4, 2, v4
	s_waitcnt lgkmcnt(0)
	v_add_lshl_u32 v5, v4, v1, 2
	ds_bpermute_b32 v10, v5, v6
	ds_bpermute_b32 v4, v5, v2
	ds_bpermute_b32 v5, v5, v3
	;; [unrolled: 31-line block ×5, first 2 shown]
	v_add_u32_e32 v8, 32, v8
	v_cmp_lt_u32_e32 vcc, v8, v9
	s_and_saveexec_b64 s[2:3], vcc
	s_cbranch_execz .LBB2247_226
; %bb.225:
	s_waitcnt lgkmcnt(2)
	v_and_b32_e32 v8, 1, v10
	s_waitcnt lgkmcnt(0)
	v_cmp_lt_i64_e32 vcc, v[4:5], v[2:3]
	v_cmp_eq_u32_e64 s[0:1], 1, v8
	v_and_b32_e32 v6, 1, v7
	s_and_b64 vcc, s[0:1], vcc
	v_cndmask_b32_e64 v7, v7, 1, s[0:1]
	v_cndmask_b32_e32 v2, v2, v4, vcc
	v_cndmask_b32_e32 v3, v3, v5, vcc
	v_cmp_eq_u32_e32 vcc, 1, v6
	v_cndmask_b32_e32 v7, v10, v7, vcc
	v_cndmask_b32_e32 v3, v5, v3, vcc
	;; [unrolled: 1-line block ×3, first 2 shown]
	v_and_b32_e32 v6, 0xff, v7
.LBB2247_226:
	s_or_b64 exec, exec, s[2:3]
	v_cmp_eq_u32_e32 vcc, 0, v1
	s_and_saveexec_b64 s[0:1], vcc
	s_cbranch_execz .LBB2247_228
; %bb.227:
	s_waitcnt lgkmcnt(1)
	v_lshrrev_b32_e32 v4, 2, v0
	v_and_b32_e32 v4, 48, v4
	ds_write_b8 v4, v7 offset:256
	ds_write_b64 v4, v[2:3] offset:264
.LBB2247_228:
	s_or_b64 exec, exec, s[0:1]
	v_cmp_gt_u32_e32 vcc, 4, v0
	s_waitcnt lgkmcnt(0)
	s_barrier
	s_and_saveexec_b64 s[2:3], vcc
	s_cbranch_execz .LBB2247_234
; %bb.229:
	v_lshlrev_b32_e32 v2, 4, v1
	ds_read_u8 v7, v2 offset:256
	ds_read_b64 v[2:3], v2 offset:264
	v_and_b32_e32 v8, 3, v1
	v_cmp_ne_u32_e32 vcc, 3, v8
	v_addc_co_u32_e32 v4, vcc, 0, v1, vcc
	s_waitcnt lgkmcnt(1)
	v_and_b32_e32 v6, 0xff, v7
	v_lshlrev_b32_e32 v5, 2, v4
	ds_bpermute_b32 v9, v5, v6
	s_waitcnt lgkmcnt(1)
	ds_bpermute_b32 v4, v5, v2
	ds_bpermute_b32 v5, v5, v3
	s_add_i32 s8, s8, 63
	s_lshr_b32 s12, s8, 6
	v_add_u32_e32 v10, 1, v8
	v_cmp_gt_u32_e32 vcc, s12, v10
	s_and_saveexec_b64 s[8:9], vcc
	s_cbranch_execz .LBB2247_231
; %bb.230:
	s_waitcnt lgkmcnt(2)
	v_and_b32_e32 v10, 1, v9
	s_waitcnt lgkmcnt(0)
	v_cmp_lt_i64_e32 vcc, v[4:5], v[2:3]
	v_cmp_eq_u32_e64 s[0:1], 1, v10
	v_and_b32_e32 v6, 1, v7
	s_and_b64 vcc, s[0:1], vcc
	v_cndmask_b32_e64 v7, v7, 1, s[0:1]
	v_cndmask_b32_e32 v2, v2, v4, vcc
	v_cndmask_b32_e32 v3, v3, v5, vcc
	v_cmp_eq_u32_e32 vcc, 1, v6
	v_cndmask_b32_e32 v7, v9, v7, vcc
	v_cndmask_b32_e32 v3, v5, v3, vcc
	;; [unrolled: 1-line block ×3, first 2 shown]
	v_and_b32_e32 v6, 0xff, v7
.LBB2247_231:
	s_or_b64 exec, exec, s[8:9]
	v_cmp_gt_u32_e32 vcc, 2, v8
	s_waitcnt lgkmcnt(1)
	v_cndmask_b32_e64 v4, 0, 1, vcc
	v_lshlrev_b32_e32 v4, 1, v4
	s_waitcnt lgkmcnt(0)
	v_add_lshl_u32 v5, v4, v1, 2
	ds_bpermute_b32 v1, v5, v6
	ds_bpermute_b32 v4, v5, v2
	ds_bpermute_b32 v5, v5, v3
	v_add_u32_e32 v8, 2, v8
	v_cmp_gt_u32_e32 vcc, s12, v8
	s_and_saveexec_b64 s[8:9], vcc
	s_cbranch_execz .LBB2247_233
; %bb.232:
	s_waitcnt lgkmcnt(2)
	v_and_b32_e32 v8, 1, v1
	s_waitcnt lgkmcnt(0)
	v_cmp_lt_i64_e32 vcc, v[4:5], v[2:3]
	v_cmp_eq_u32_e64 s[0:1], 1, v8
	v_and_b32_e32 v6, 1, v7
	s_and_b64 vcc, s[0:1], vcc
	v_cndmask_b32_e64 v7, v7, 1, s[0:1]
	v_cndmask_b32_e32 v2, v2, v4, vcc
	v_cndmask_b32_e32 v3, v3, v5, vcc
	v_cmp_eq_u32_e32 vcc, 1, v6
	v_cndmask_b32_e32 v1, v1, v7, vcc
	v_cndmask_b32_e32 v3, v5, v3, vcc
	;; [unrolled: 1-line block ×3, first 2 shown]
	v_and_b32_e32 v6, 0xff, v1
.LBB2247_233:
	s_or_b64 exec, exec, s[8:9]
.LBB2247_234:
	s_or_b64 exec, exec, s[2:3]
.LBB2247_235:
	v_cmp_eq_u32_e32 vcc, 0, v0
                                        ; implicit-def: $vgpr4_vgpr5
                                        ; implicit-def: $vgpr1
	s_and_saveexec_b64 s[8:9], vcc
	s_cbranch_execz .LBB2247_239
; %bb.236:
	s_cmp_eq_u64 s[22:23], 0
	s_waitcnt lgkmcnt(0)
	v_pk_mov_b32 v[4:5], s[18:19], s[18:19] op_sel:[0,1]
	v_mov_b32_e32 v1, s33
	s_cbranch_scc1 .LBB2247_238
; %bb.237:
	v_and_b32_e32 v0, 1, v6
	s_bitcmp1_b32 s33, 0
	v_mov_b32_e32 v1, s33
	v_cmp_eq_u32_e32 vcc, 1, v0
	v_cmp_gt_i64_e64 s[2:3], s[18:19], v[2:3]
	v_cndmask_b32_e64 v0, v1, 1, vcc
	s_cselect_b64 s[0:1], -1, 0
	v_mov_b32_e32 v1, s18
	s_and_b64 vcc, vcc, s[2:3]
	v_cndmask_b32_e32 v4, v1, v2, vcc
	v_mov_b32_e32 v1, s19
	v_cndmask_b32_e32 v5, v1, v3, vcc
	v_cndmask_b32_e64 v1, v6, v0, s[0:1]
	v_cndmask_b32_e64 v5, v3, v5, s[0:1]
	;; [unrolled: 1-line block ×3, first 2 shown]
.LBB2247_238:
	s_or_b64 s[10:11], s[10:11], exec
.LBB2247_239:
	s_or_b64 exec, exec, s[8:9]
	s_and_saveexec_b64 s[0:1], s[10:11]
	s_cbranch_execnz .LBB2247_209
	s_branch .LBB2247_210
.LBB2247_240:
	v_lshlrev_b32_e32 v4, 1, v0
	global_load_ushort v18, v4, s[28:29] offset:3584
	v_mov_b32_e32 v5, s37
	v_add_co_u32_e64 v4, s[16:17], s36, v25
	v_addc_co_u32_e64 v5, s[16:17], 0, v5, s[16:17]
	s_waitcnt vmcnt(0)
	v_cmp_eq_f16_e64 s[16:17], s34, v18
	v_cndmask_b32_e64 v18, 0, 1, s[16:17]
	s_or_b64 exec, exec, s[30:31]
	s_and_saveexec_b64 s[28:29], s[14:15]
	s_cbranch_execz .LBB2247_61
.LBB2247_241:
	v_and_b32_e32 v26, 1, v21
	v_cmp_lt_i64_e64 s[14:15], v[10:11], v[2:3]
	v_cmp_eq_u32_e64 s[16:17], 1, v26
	v_and_b32_e32 v25, 1, v1
	s_and_b64 s[14:15], s[16:17], s[14:15]
	v_cndmask_b32_e64 v1, v1, 1, s[16:17]
	v_cndmask_b32_e64 v2, v2, v10, s[14:15]
	;; [unrolled: 1-line block ×3, first 2 shown]
	v_cmp_eq_u32_e64 s[14:15], 1, v25
	v_cndmask_b32_e64 v1, v21, v1, s[14:15]
	v_cndmask_b32_e64 v3, v11, v3, s[14:15]
	;; [unrolled: 1-line block ×3, first 2 shown]
	s_or_b64 exec, exec, s[28:29]
	s_and_saveexec_b64 s[16:17], s[12:13]
	s_cbranch_execz .LBB2247_62
.LBB2247_242:
	v_and_b32_e32 v11, 1, v24
	v_cmp_lt_i64_e64 s[12:13], v[16:17], v[2:3]
	v_cmp_eq_u32_e64 s[14:15], 1, v11
	v_and_b32_e32 v10, 1, v1
	s_and_b64 s[12:13], s[14:15], s[12:13]
	v_cndmask_b32_e64 v1, v1, 1, s[14:15]
	v_cndmask_b32_e64 v2, v2, v16, s[12:13]
	;; [unrolled: 1-line block ×3, first 2 shown]
	v_cmp_eq_u32_e64 s[12:13], 1, v10
	v_cndmask_b32_e64 v1, v24, v1, s[12:13]
	v_cndmask_b32_e64 v3, v17, v3, s[12:13]
	v_cndmask_b32_e64 v2, v16, v2, s[12:13]
	s_or_b64 exec, exec, s[16:17]
	s_and_saveexec_b64 s[14:15], s[10:11]
	s_cbranch_execz .LBB2247_63
.LBB2247_243:
	v_and_b32_e32 v11, 1, v20
	v_cmp_lt_i64_e64 s[10:11], v[8:9], v[2:3]
	v_cmp_eq_u32_e64 s[12:13], 1, v11
	v_and_b32_e32 v10, 1, v1
	s_and_b64 s[10:11], s[12:13], s[10:11]
	v_cndmask_b32_e64 v1, v1, 1, s[12:13]
	v_cndmask_b32_e64 v2, v2, v8, s[10:11]
	;; [unrolled: 1-line block ×3, first 2 shown]
	v_cmp_eq_u32_e64 s[10:11], 1, v10
	v_cndmask_b32_e64 v1, v20, v1, s[10:11]
	v_cndmask_b32_e64 v3, v9, v3, s[10:11]
	;; [unrolled: 1-line block ×3, first 2 shown]
	s_or_b64 exec, exec, s[14:15]
	s_and_saveexec_b64 s[12:13], s[8:9]
	s_cbranch_execz .LBB2247_64
.LBB2247_244:
	v_and_b32_e32 v9, 1, v23
	v_cmp_lt_i64_e64 s[8:9], v[14:15], v[2:3]
	v_cmp_eq_u32_e64 s[10:11], 1, v9
	v_and_b32_e32 v8, 1, v1
	s_and_b64 s[8:9], s[10:11], s[8:9]
	v_cndmask_b32_e64 v1, v1, 1, s[10:11]
	v_cndmask_b32_e64 v2, v2, v14, s[8:9]
	;; [unrolled: 1-line block ×3, first 2 shown]
	v_cmp_eq_u32_e64 s[8:9], 1, v8
	v_cndmask_b32_e64 v1, v23, v1, s[8:9]
	v_cndmask_b32_e64 v3, v15, v3, s[8:9]
	;; [unrolled: 1-line block ×3, first 2 shown]
	s_or_b64 exec, exec, s[12:13]
	s_and_saveexec_b64 s[10:11], s[2:3]
	s_cbranch_execz .LBB2247_65
.LBB2247_245:
	v_and_b32_e32 v9, 1, v19
	v_cmp_lt_i64_e64 s[2:3], v[6:7], v[2:3]
	v_cmp_eq_u32_e64 s[8:9], 1, v9
	v_and_b32_e32 v8, 1, v1
	s_and_b64 s[2:3], s[8:9], s[2:3]
	v_cndmask_b32_e64 v1, v1, 1, s[8:9]
	v_cndmask_b32_e64 v2, v2, v6, s[2:3]
	;; [unrolled: 1-line block ×3, first 2 shown]
	v_cmp_eq_u32_e64 s[2:3], 1, v8
	v_cndmask_b32_e64 v1, v19, v1, s[2:3]
	v_cndmask_b32_e64 v3, v7, v3, s[2:3]
	;; [unrolled: 1-line block ×3, first 2 shown]
	s_or_b64 exec, exec, s[10:11]
	s_and_saveexec_b64 s[8:9], s[0:1]
	s_cbranch_execz .LBB2247_66
.LBB2247_246:
	v_and_b32_e32 v7, 1, v22
	v_cmp_lt_i64_e64 s[0:1], v[12:13], v[2:3]
	v_cmp_eq_u32_e64 s[2:3], 1, v7
	v_and_b32_e32 v6, 1, v1
	s_and_b64 s[0:1], s[2:3], s[0:1]
	v_cndmask_b32_e64 v1, v1, 1, s[2:3]
	v_cndmask_b32_e64 v2, v2, v12, s[0:1]
	;; [unrolled: 1-line block ×3, first 2 shown]
	v_cmp_eq_u32_e64 s[0:1], 1, v6
	v_cndmask_b32_e64 v1, v22, v1, s[0:1]
	v_cndmask_b32_e64 v3, v13, v3, s[0:1]
	;; [unrolled: 1-line block ×3, first 2 shown]
	s_or_b64 exec, exec, s[8:9]
	s_and_saveexec_b64 s[2:3], vcc
	s_cbranch_execnz .LBB2247_67
	s_branch .LBB2247_68
.LBB2247_247:
	v_lshlrev_b32_e32 v1, 1, v0
	global_load_ushort v1, v1, s[12:13] offset:1536
	v_mov_b32_e32 v5, s17
	v_add_co_u32_e64 v4, s[8:9], s16, v13
	v_addc_co_u32_e64 v5, s[8:9], 0, v5, s[8:9]
	s_waitcnt vmcnt(0)
	v_cmp_eq_f16_e64 s[8:9], s34, v1
	v_cndmask_b32_e64 v1, 0, 1, s[8:9]
	s_or_b64 exec, exec, s[14:15]
	s_and_saveexec_b64 s[12:13], s[2:3]
	s_cbranch_execz .LBB2247_104
.LBB2247_248:
	v_and_b32_e32 v14, 1, v11
	v_cmp_lt_i64_e64 s[2:3], v[6:7], v[2:3]
	v_cmp_eq_u32_e64 s[8:9], 1, v14
	v_and_b32_e32 v13, 1, v10
	s_and_b64 s[2:3], s[8:9], s[2:3]
	v_cndmask_b32_e64 v10, v10, 1, s[8:9]
	v_cndmask_b32_e64 v2, v2, v6, s[2:3]
	;; [unrolled: 1-line block ×3, first 2 shown]
	v_cmp_eq_u32_e64 s[2:3], 1, v13
	v_cndmask_b32_e64 v10, v11, v10, s[2:3]
	v_cndmask_b32_e64 v3, v7, v3, s[2:3]
	v_cndmask_b32_e64 v2, v6, v2, s[2:3]
	s_or_b64 exec, exec, s[12:13]
	s_and_saveexec_b64 s[8:9], s[0:1]
	s_cbranch_execz .LBB2247_105
.LBB2247_249:
	v_and_b32_e32 v7, 1, v12
	v_cmp_lt_i64_e64 s[0:1], v[8:9], v[2:3]
	v_cmp_eq_u32_e64 s[2:3], 1, v7
	v_and_b32_e32 v6, 1, v10
	s_and_b64 s[0:1], s[2:3], s[0:1]
	v_cndmask_b32_e64 v7, v10, 1, s[2:3]
	v_cndmask_b32_e64 v2, v2, v8, s[0:1]
	;; [unrolled: 1-line block ×3, first 2 shown]
	v_cmp_eq_u32_e64 s[0:1], 1, v6
	v_cndmask_b32_e64 v10, v12, v7, s[0:1]
	v_cndmask_b32_e64 v3, v9, v3, s[0:1]
	;; [unrolled: 1-line block ×3, first 2 shown]
	s_or_b64 exec, exec, s[8:9]
	s_and_saveexec_b64 s[2:3], vcc
	s_cbranch_execnz .LBB2247_106
	s_branch .LBB2247_107
	.section	.rodata,"a",@progbits
	.p2align	6, 0x0
	.amdhsa_kernel _ZN7rocprim17ROCPRIM_400000_NS6detail17trampoline_kernelINS0_14default_configENS1_22reduce_config_selectorIN6thrust23THRUST_200600_302600_NS5tupleIblNS6_9null_typeES8_S8_S8_S8_S8_S8_S8_EEEEZNS1_11reduce_implILb1ES3_NS6_12zip_iteratorINS7_INS6_11hip_rocprim26transform_input_iterator_tIbPN3c104HalfENS6_6detail10functional5actorINSJ_9compositeIJNSJ_27transparent_binary_operatorINS6_8equal_toIvEEEENSK_INSJ_8argumentILj0EEEEENSJ_5valueISG_EEEEEEEEENSD_19counting_iterator_tIlEES8_S8_S8_S8_S8_S8_S8_S8_EEEEPS9_S9_NSD_9__find_if7functorIS9_EEEE10hipError_tPvRmT1_T2_T3_mT4_P12ihipStream_tbEUlT_E1_NS1_11comp_targetILNS1_3genE4ELNS1_11target_archE910ELNS1_3gpuE8ELNS1_3repE0EEENS1_30default_config_static_selectorELNS0_4arch9wavefront6targetE1EEEvS19_
		.amdhsa_group_segment_fixed_size 320
		.amdhsa_private_segment_fixed_size 0
		.amdhsa_kernarg_size 72
		.amdhsa_user_sgpr_count 6
		.amdhsa_user_sgpr_private_segment_buffer 1
		.amdhsa_user_sgpr_dispatch_ptr 0
		.amdhsa_user_sgpr_queue_ptr 0
		.amdhsa_user_sgpr_kernarg_segment_ptr 1
		.amdhsa_user_sgpr_dispatch_id 0
		.amdhsa_user_sgpr_flat_scratch_init 0
		.amdhsa_user_sgpr_kernarg_preload_length 0
		.amdhsa_user_sgpr_kernarg_preload_offset 0
		.amdhsa_user_sgpr_private_segment_size 0
		.amdhsa_uses_dynamic_stack 0
		.amdhsa_system_sgpr_private_segment_wavefront_offset 0
		.amdhsa_system_sgpr_workgroup_id_x 1
		.amdhsa_system_sgpr_workgroup_id_y 0
		.amdhsa_system_sgpr_workgroup_id_z 0
		.amdhsa_system_sgpr_workgroup_info 0
		.amdhsa_system_vgpr_workitem_id 0
		.amdhsa_next_free_vgpr 27
		.amdhsa_next_free_sgpr 39
		.amdhsa_accum_offset 28
		.amdhsa_reserve_vcc 1
		.amdhsa_reserve_flat_scratch 0
		.amdhsa_float_round_mode_32 0
		.amdhsa_float_round_mode_16_64 0
		.amdhsa_float_denorm_mode_32 3
		.amdhsa_float_denorm_mode_16_64 3
		.amdhsa_dx10_clamp 1
		.amdhsa_ieee_mode 1
		.amdhsa_fp16_overflow 0
		.amdhsa_tg_split 0
		.amdhsa_exception_fp_ieee_invalid_op 0
		.amdhsa_exception_fp_denorm_src 0
		.amdhsa_exception_fp_ieee_div_zero 0
		.amdhsa_exception_fp_ieee_overflow 0
		.amdhsa_exception_fp_ieee_underflow 0
		.amdhsa_exception_fp_ieee_inexact 0
		.amdhsa_exception_int_div_zero 0
	.end_amdhsa_kernel
	.section	.text._ZN7rocprim17ROCPRIM_400000_NS6detail17trampoline_kernelINS0_14default_configENS1_22reduce_config_selectorIN6thrust23THRUST_200600_302600_NS5tupleIblNS6_9null_typeES8_S8_S8_S8_S8_S8_S8_EEEEZNS1_11reduce_implILb1ES3_NS6_12zip_iteratorINS7_INS6_11hip_rocprim26transform_input_iterator_tIbPN3c104HalfENS6_6detail10functional5actorINSJ_9compositeIJNSJ_27transparent_binary_operatorINS6_8equal_toIvEEEENSK_INSJ_8argumentILj0EEEEENSJ_5valueISG_EEEEEEEEENSD_19counting_iterator_tIlEES8_S8_S8_S8_S8_S8_S8_S8_EEEEPS9_S9_NSD_9__find_if7functorIS9_EEEE10hipError_tPvRmT1_T2_T3_mT4_P12ihipStream_tbEUlT_E1_NS1_11comp_targetILNS1_3genE4ELNS1_11target_archE910ELNS1_3gpuE8ELNS1_3repE0EEENS1_30default_config_static_selectorELNS0_4arch9wavefront6targetE1EEEvS19_,"axG",@progbits,_ZN7rocprim17ROCPRIM_400000_NS6detail17trampoline_kernelINS0_14default_configENS1_22reduce_config_selectorIN6thrust23THRUST_200600_302600_NS5tupleIblNS6_9null_typeES8_S8_S8_S8_S8_S8_S8_EEEEZNS1_11reduce_implILb1ES3_NS6_12zip_iteratorINS7_INS6_11hip_rocprim26transform_input_iterator_tIbPN3c104HalfENS6_6detail10functional5actorINSJ_9compositeIJNSJ_27transparent_binary_operatorINS6_8equal_toIvEEEENSK_INSJ_8argumentILj0EEEEENSJ_5valueISG_EEEEEEEEENSD_19counting_iterator_tIlEES8_S8_S8_S8_S8_S8_S8_S8_EEEEPS9_S9_NSD_9__find_if7functorIS9_EEEE10hipError_tPvRmT1_T2_T3_mT4_P12ihipStream_tbEUlT_E1_NS1_11comp_targetILNS1_3genE4ELNS1_11target_archE910ELNS1_3gpuE8ELNS1_3repE0EEENS1_30default_config_static_selectorELNS0_4arch9wavefront6targetE1EEEvS19_,comdat
.Lfunc_end2247:
	.size	_ZN7rocprim17ROCPRIM_400000_NS6detail17trampoline_kernelINS0_14default_configENS1_22reduce_config_selectorIN6thrust23THRUST_200600_302600_NS5tupleIblNS6_9null_typeES8_S8_S8_S8_S8_S8_S8_EEEEZNS1_11reduce_implILb1ES3_NS6_12zip_iteratorINS7_INS6_11hip_rocprim26transform_input_iterator_tIbPN3c104HalfENS6_6detail10functional5actorINSJ_9compositeIJNSJ_27transparent_binary_operatorINS6_8equal_toIvEEEENSK_INSJ_8argumentILj0EEEEENSJ_5valueISG_EEEEEEEEENSD_19counting_iterator_tIlEES8_S8_S8_S8_S8_S8_S8_S8_EEEEPS9_S9_NSD_9__find_if7functorIS9_EEEE10hipError_tPvRmT1_T2_T3_mT4_P12ihipStream_tbEUlT_E1_NS1_11comp_targetILNS1_3genE4ELNS1_11target_archE910ELNS1_3gpuE8ELNS1_3repE0EEENS1_30default_config_static_selectorELNS0_4arch9wavefront6targetE1EEEvS19_, .Lfunc_end2247-_ZN7rocprim17ROCPRIM_400000_NS6detail17trampoline_kernelINS0_14default_configENS1_22reduce_config_selectorIN6thrust23THRUST_200600_302600_NS5tupleIblNS6_9null_typeES8_S8_S8_S8_S8_S8_S8_EEEEZNS1_11reduce_implILb1ES3_NS6_12zip_iteratorINS7_INS6_11hip_rocprim26transform_input_iterator_tIbPN3c104HalfENS6_6detail10functional5actorINSJ_9compositeIJNSJ_27transparent_binary_operatorINS6_8equal_toIvEEEENSK_INSJ_8argumentILj0EEEEENSJ_5valueISG_EEEEEEEEENSD_19counting_iterator_tIlEES8_S8_S8_S8_S8_S8_S8_S8_EEEEPS9_S9_NSD_9__find_if7functorIS9_EEEE10hipError_tPvRmT1_T2_T3_mT4_P12ihipStream_tbEUlT_E1_NS1_11comp_targetILNS1_3genE4ELNS1_11target_archE910ELNS1_3gpuE8ELNS1_3repE0EEENS1_30default_config_static_selectorELNS0_4arch9wavefront6targetE1EEEvS19_
                                        ; -- End function
	.section	.AMDGPU.csdata,"",@progbits
; Kernel info:
; codeLenInByte = 12940
; NumSgprs: 43
; NumVgprs: 27
; NumAgprs: 0
; TotalNumVgprs: 27
; ScratchSize: 0
; MemoryBound: 0
; FloatMode: 240
; IeeeMode: 1
; LDSByteSize: 320 bytes/workgroup (compile time only)
; SGPRBlocks: 5
; VGPRBlocks: 3
; NumSGPRsForWavesPerEU: 43
; NumVGPRsForWavesPerEU: 27
; AccumOffset: 28
; Occupancy: 8
; WaveLimiterHint : 1
; COMPUTE_PGM_RSRC2:SCRATCH_EN: 0
; COMPUTE_PGM_RSRC2:USER_SGPR: 6
; COMPUTE_PGM_RSRC2:TRAP_HANDLER: 0
; COMPUTE_PGM_RSRC2:TGID_X_EN: 1
; COMPUTE_PGM_RSRC2:TGID_Y_EN: 0
; COMPUTE_PGM_RSRC2:TGID_Z_EN: 0
; COMPUTE_PGM_RSRC2:TIDIG_COMP_CNT: 0
; COMPUTE_PGM_RSRC3_GFX90A:ACCUM_OFFSET: 6
; COMPUTE_PGM_RSRC3_GFX90A:TG_SPLIT: 0
	.section	.text._ZN7rocprim17ROCPRIM_400000_NS6detail17trampoline_kernelINS0_14default_configENS1_22reduce_config_selectorIN6thrust23THRUST_200600_302600_NS5tupleIblNS6_9null_typeES8_S8_S8_S8_S8_S8_S8_EEEEZNS1_11reduce_implILb1ES3_NS6_12zip_iteratorINS7_INS6_11hip_rocprim26transform_input_iterator_tIbPN3c104HalfENS6_6detail10functional5actorINSJ_9compositeIJNSJ_27transparent_binary_operatorINS6_8equal_toIvEEEENSK_INSJ_8argumentILj0EEEEENSJ_5valueISG_EEEEEEEEENSD_19counting_iterator_tIlEES8_S8_S8_S8_S8_S8_S8_S8_EEEEPS9_S9_NSD_9__find_if7functorIS9_EEEE10hipError_tPvRmT1_T2_T3_mT4_P12ihipStream_tbEUlT_E1_NS1_11comp_targetILNS1_3genE3ELNS1_11target_archE908ELNS1_3gpuE7ELNS1_3repE0EEENS1_30default_config_static_selectorELNS0_4arch9wavefront6targetE1EEEvS19_,"axG",@progbits,_ZN7rocprim17ROCPRIM_400000_NS6detail17trampoline_kernelINS0_14default_configENS1_22reduce_config_selectorIN6thrust23THRUST_200600_302600_NS5tupleIblNS6_9null_typeES8_S8_S8_S8_S8_S8_S8_EEEEZNS1_11reduce_implILb1ES3_NS6_12zip_iteratorINS7_INS6_11hip_rocprim26transform_input_iterator_tIbPN3c104HalfENS6_6detail10functional5actorINSJ_9compositeIJNSJ_27transparent_binary_operatorINS6_8equal_toIvEEEENSK_INSJ_8argumentILj0EEEEENSJ_5valueISG_EEEEEEEEENSD_19counting_iterator_tIlEES8_S8_S8_S8_S8_S8_S8_S8_EEEEPS9_S9_NSD_9__find_if7functorIS9_EEEE10hipError_tPvRmT1_T2_T3_mT4_P12ihipStream_tbEUlT_E1_NS1_11comp_targetILNS1_3genE3ELNS1_11target_archE908ELNS1_3gpuE7ELNS1_3repE0EEENS1_30default_config_static_selectorELNS0_4arch9wavefront6targetE1EEEvS19_,comdat
	.protected	_ZN7rocprim17ROCPRIM_400000_NS6detail17trampoline_kernelINS0_14default_configENS1_22reduce_config_selectorIN6thrust23THRUST_200600_302600_NS5tupleIblNS6_9null_typeES8_S8_S8_S8_S8_S8_S8_EEEEZNS1_11reduce_implILb1ES3_NS6_12zip_iteratorINS7_INS6_11hip_rocprim26transform_input_iterator_tIbPN3c104HalfENS6_6detail10functional5actorINSJ_9compositeIJNSJ_27transparent_binary_operatorINS6_8equal_toIvEEEENSK_INSJ_8argumentILj0EEEEENSJ_5valueISG_EEEEEEEEENSD_19counting_iterator_tIlEES8_S8_S8_S8_S8_S8_S8_S8_EEEEPS9_S9_NSD_9__find_if7functorIS9_EEEE10hipError_tPvRmT1_T2_T3_mT4_P12ihipStream_tbEUlT_E1_NS1_11comp_targetILNS1_3genE3ELNS1_11target_archE908ELNS1_3gpuE7ELNS1_3repE0EEENS1_30default_config_static_selectorELNS0_4arch9wavefront6targetE1EEEvS19_ ; -- Begin function _ZN7rocprim17ROCPRIM_400000_NS6detail17trampoline_kernelINS0_14default_configENS1_22reduce_config_selectorIN6thrust23THRUST_200600_302600_NS5tupleIblNS6_9null_typeES8_S8_S8_S8_S8_S8_S8_EEEEZNS1_11reduce_implILb1ES3_NS6_12zip_iteratorINS7_INS6_11hip_rocprim26transform_input_iterator_tIbPN3c104HalfENS6_6detail10functional5actorINSJ_9compositeIJNSJ_27transparent_binary_operatorINS6_8equal_toIvEEEENSK_INSJ_8argumentILj0EEEEENSJ_5valueISG_EEEEEEEEENSD_19counting_iterator_tIlEES8_S8_S8_S8_S8_S8_S8_S8_EEEEPS9_S9_NSD_9__find_if7functorIS9_EEEE10hipError_tPvRmT1_T2_T3_mT4_P12ihipStream_tbEUlT_E1_NS1_11comp_targetILNS1_3genE3ELNS1_11target_archE908ELNS1_3gpuE7ELNS1_3repE0EEENS1_30default_config_static_selectorELNS0_4arch9wavefront6targetE1EEEvS19_
	.globl	_ZN7rocprim17ROCPRIM_400000_NS6detail17trampoline_kernelINS0_14default_configENS1_22reduce_config_selectorIN6thrust23THRUST_200600_302600_NS5tupleIblNS6_9null_typeES8_S8_S8_S8_S8_S8_S8_EEEEZNS1_11reduce_implILb1ES3_NS6_12zip_iteratorINS7_INS6_11hip_rocprim26transform_input_iterator_tIbPN3c104HalfENS6_6detail10functional5actorINSJ_9compositeIJNSJ_27transparent_binary_operatorINS6_8equal_toIvEEEENSK_INSJ_8argumentILj0EEEEENSJ_5valueISG_EEEEEEEEENSD_19counting_iterator_tIlEES8_S8_S8_S8_S8_S8_S8_S8_EEEEPS9_S9_NSD_9__find_if7functorIS9_EEEE10hipError_tPvRmT1_T2_T3_mT4_P12ihipStream_tbEUlT_E1_NS1_11comp_targetILNS1_3genE3ELNS1_11target_archE908ELNS1_3gpuE7ELNS1_3repE0EEENS1_30default_config_static_selectorELNS0_4arch9wavefront6targetE1EEEvS19_
	.p2align	8
	.type	_ZN7rocprim17ROCPRIM_400000_NS6detail17trampoline_kernelINS0_14default_configENS1_22reduce_config_selectorIN6thrust23THRUST_200600_302600_NS5tupleIblNS6_9null_typeES8_S8_S8_S8_S8_S8_S8_EEEEZNS1_11reduce_implILb1ES3_NS6_12zip_iteratorINS7_INS6_11hip_rocprim26transform_input_iterator_tIbPN3c104HalfENS6_6detail10functional5actorINSJ_9compositeIJNSJ_27transparent_binary_operatorINS6_8equal_toIvEEEENSK_INSJ_8argumentILj0EEEEENSJ_5valueISG_EEEEEEEEENSD_19counting_iterator_tIlEES8_S8_S8_S8_S8_S8_S8_S8_EEEEPS9_S9_NSD_9__find_if7functorIS9_EEEE10hipError_tPvRmT1_T2_T3_mT4_P12ihipStream_tbEUlT_E1_NS1_11comp_targetILNS1_3genE3ELNS1_11target_archE908ELNS1_3gpuE7ELNS1_3repE0EEENS1_30default_config_static_selectorELNS0_4arch9wavefront6targetE1EEEvS19_,@function
_ZN7rocprim17ROCPRIM_400000_NS6detail17trampoline_kernelINS0_14default_configENS1_22reduce_config_selectorIN6thrust23THRUST_200600_302600_NS5tupleIblNS6_9null_typeES8_S8_S8_S8_S8_S8_S8_EEEEZNS1_11reduce_implILb1ES3_NS6_12zip_iteratorINS7_INS6_11hip_rocprim26transform_input_iterator_tIbPN3c104HalfENS6_6detail10functional5actorINSJ_9compositeIJNSJ_27transparent_binary_operatorINS6_8equal_toIvEEEENSK_INSJ_8argumentILj0EEEEENSJ_5valueISG_EEEEEEEEENSD_19counting_iterator_tIlEES8_S8_S8_S8_S8_S8_S8_S8_EEEEPS9_S9_NSD_9__find_if7functorIS9_EEEE10hipError_tPvRmT1_T2_T3_mT4_P12ihipStream_tbEUlT_E1_NS1_11comp_targetILNS1_3genE3ELNS1_11target_archE908ELNS1_3gpuE7ELNS1_3repE0EEENS1_30default_config_static_selectorELNS0_4arch9wavefront6targetE1EEEvS19_: ; @_ZN7rocprim17ROCPRIM_400000_NS6detail17trampoline_kernelINS0_14default_configENS1_22reduce_config_selectorIN6thrust23THRUST_200600_302600_NS5tupleIblNS6_9null_typeES8_S8_S8_S8_S8_S8_S8_EEEEZNS1_11reduce_implILb1ES3_NS6_12zip_iteratorINS7_INS6_11hip_rocprim26transform_input_iterator_tIbPN3c104HalfENS6_6detail10functional5actorINSJ_9compositeIJNSJ_27transparent_binary_operatorINS6_8equal_toIvEEEENSK_INSJ_8argumentILj0EEEEENSJ_5valueISG_EEEEEEEEENSD_19counting_iterator_tIlEES8_S8_S8_S8_S8_S8_S8_S8_EEEEPS9_S9_NSD_9__find_if7functorIS9_EEEE10hipError_tPvRmT1_T2_T3_mT4_P12ihipStream_tbEUlT_E1_NS1_11comp_targetILNS1_3genE3ELNS1_11target_archE908ELNS1_3gpuE7ELNS1_3repE0EEENS1_30default_config_static_selectorELNS0_4arch9wavefront6targetE1EEEvS19_
; %bb.0:
	.section	.rodata,"a",@progbits
	.p2align	6, 0x0
	.amdhsa_kernel _ZN7rocprim17ROCPRIM_400000_NS6detail17trampoline_kernelINS0_14default_configENS1_22reduce_config_selectorIN6thrust23THRUST_200600_302600_NS5tupleIblNS6_9null_typeES8_S8_S8_S8_S8_S8_S8_EEEEZNS1_11reduce_implILb1ES3_NS6_12zip_iteratorINS7_INS6_11hip_rocprim26transform_input_iterator_tIbPN3c104HalfENS6_6detail10functional5actorINSJ_9compositeIJNSJ_27transparent_binary_operatorINS6_8equal_toIvEEEENSK_INSJ_8argumentILj0EEEEENSJ_5valueISG_EEEEEEEEENSD_19counting_iterator_tIlEES8_S8_S8_S8_S8_S8_S8_S8_EEEEPS9_S9_NSD_9__find_if7functorIS9_EEEE10hipError_tPvRmT1_T2_T3_mT4_P12ihipStream_tbEUlT_E1_NS1_11comp_targetILNS1_3genE3ELNS1_11target_archE908ELNS1_3gpuE7ELNS1_3repE0EEENS1_30default_config_static_selectorELNS0_4arch9wavefront6targetE1EEEvS19_
		.amdhsa_group_segment_fixed_size 0
		.amdhsa_private_segment_fixed_size 0
		.amdhsa_kernarg_size 72
		.amdhsa_user_sgpr_count 6
		.amdhsa_user_sgpr_private_segment_buffer 1
		.amdhsa_user_sgpr_dispatch_ptr 0
		.amdhsa_user_sgpr_queue_ptr 0
		.amdhsa_user_sgpr_kernarg_segment_ptr 1
		.amdhsa_user_sgpr_dispatch_id 0
		.amdhsa_user_sgpr_flat_scratch_init 0
		.amdhsa_user_sgpr_kernarg_preload_length 0
		.amdhsa_user_sgpr_kernarg_preload_offset 0
		.amdhsa_user_sgpr_private_segment_size 0
		.amdhsa_uses_dynamic_stack 0
		.amdhsa_system_sgpr_private_segment_wavefront_offset 0
		.amdhsa_system_sgpr_workgroup_id_x 1
		.amdhsa_system_sgpr_workgroup_id_y 0
		.amdhsa_system_sgpr_workgroup_id_z 0
		.amdhsa_system_sgpr_workgroup_info 0
		.amdhsa_system_vgpr_workitem_id 0
		.amdhsa_next_free_vgpr 1
		.amdhsa_next_free_sgpr 0
		.amdhsa_accum_offset 4
		.amdhsa_reserve_vcc 0
		.amdhsa_reserve_flat_scratch 0
		.amdhsa_float_round_mode_32 0
		.amdhsa_float_round_mode_16_64 0
		.amdhsa_float_denorm_mode_32 3
		.amdhsa_float_denorm_mode_16_64 3
		.amdhsa_dx10_clamp 1
		.amdhsa_ieee_mode 1
		.amdhsa_fp16_overflow 0
		.amdhsa_tg_split 0
		.amdhsa_exception_fp_ieee_invalid_op 0
		.amdhsa_exception_fp_denorm_src 0
		.amdhsa_exception_fp_ieee_div_zero 0
		.amdhsa_exception_fp_ieee_overflow 0
		.amdhsa_exception_fp_ieee_underflow 0
		.amdhsa_exception_fp_ieee_inexact 0
		.amdhsa_exception_int_div_zero 0
	.end_amdhsa_kernel
	.section	.text._ZN7rocprim17ROCPRIM_400000_NS6detail17trampoline_kernelINS0_14default_configENS1_22reduce_config_selectorIN6thrust23THRUST_200600_302600_NS5tupleIblNS6_9null_typeES8_S8_S8_S8_S8_S8_S8_EEEEZNS1_11reduce_implILb1ES3_NS6_12zip_iteratorINS7_INS6_11hip_rocprim26transform_input_iterator_tIbPN3c104HalfENS6_6detail10functional5actorINSJ_9compositeIJNSJ_27transparent_binary_operatorINS6_8equal_toIvEEEENSK_INSJ_8argumentILj0EEEEENSJ_5valueISG_EEEEEEEEENSD_19counting_iterator_tIlEES8_S8_S8_S8_S8_S8_S8_S8_EEEEPS9_S9_NSD_9__find_if7functorIS9_EEEE10hipError_tPvRmT1_T2_T3_mT4_P12ihipStream_tbEUlT_E1_NS1_11comp_targetILNS1_3genE3ELNS1_11target_archE908ELNS1_3gpuE7ELNS1_3repE0EEENS1_30default_config_static_selectorELNS0_4arch9wavefront6targetE1EEEvS19_,"axG",@progbits,_ZN7rocprim17ROCPRIM_400000_NS6detail17trampoline_kernelINS0_14default_configENS1_22reduce_config_selectorIN6thrust23THRUST_200600_302600_NS5tupleIblNS6_9null_typeES8_S8_S8_S8_S8_S8_S8_EEEEZNS1_11reduce_implILb1ES3_NS6_12zip_iteratorINS7_INS6_11hip_rocprim26transform_input_iterator_tIbPN3c104HalfENS6_6detail10functional5actorINSJ_9compositeIJNSJ_27transparent_binary_operatorINS6_8equal_toIvEEEENSK_INSJ_8argumentILj0EEEEENSJ_5valueISG_EEEEEEEEENSD_19counting_iterator_tIlEES8_S8_S8_S8_S8_S8_S8_S8_EEEEPS9_S9_NSD_9__find_if7functorIS9_EEEE10hipError_tPvRmT1_T2_T3_mT4_P12ihipStream_tbEUlT_E1_NS1_11comp_targetILNS1_3genE3ELNS1_11target_archE908ELNS1_3gpuE7ELNS1_3repE0EEENS1_30default_config_static_selectorELNS0_4arch9wavefront6targetE1EEEvS19_,comdat
.Lfunc_end2248:
	.size	_ZN7rocprim17ROCPRIM_400000_NS6detail17trampoline_kernelINS0_14default_configENS1_22reduce_config_selectorIN6thrust23THRUST_200600_302600_NS5tupleIblNS6_9null_typeES8_S8_S8_S8_S8_S8_S8_EEEEZNS1_11reduce_implILb1ES3_NS6_12zip_iteratorINS7_INS6_11hip_rocprim26transform_input_iterator_tIbPN3c104HalfENS6_6detail10functional5actorINSJ_9compositeIJNSJ_27transparent_binary_operatorINS6_8equal_toIvEEEENSK_INSJ_8argumentILj0EEEEENSJ_5valueISG_EEEEEEEEENSD_19counting_iterator_tIlEES8_S8_S8_S8_S8_S8_S8_S8_EEEEPS9_S9_NSD_9__find_if7functorIS9_EEEE10hipError_tPvRmT1_T2_T3_mT4_P12ihipStream_tbEUlT_E1_NS1_11comp_targetILNS1_3genE3ELNS1_11target_archE908ELNS1_3gpuE7ELNS1_3repE0EEENS1_30default_config_static_selectorELNS0_4arch9wavefront6targetE1EEEvS19_, .Lfunc_end2248-_ZN7rocprim17ROCPRIM_400000_NS6detail17trampoline_kernelINS0_14default_configENS1_22reduce_config_selectorIN6thrust23THRUST_200600_302600_NS5tupleIblNS6_9null_typeES8_S8_S8_S8_S8_S8_S8_EEEEZNS1_11reduce_implILb1ES3_NS6_12zip_iteratorINS7_INS6_11hip_rocprim26transform_input_iterator_tIbPN3c104HalfENS6_6detail10functional5actorINSJ_9compositeIJNSJ_27transparent_binary_operatorINS6_8equal_toIvEEEENSK_INSJ_8argumentILj0EEEEENSJ_5valueISG_EEEEEEEEENSD_19counting_iterator_tIlEES8_S8_S8_S8_S8_S8_S8_S8_EEEEPS9_S9_NSD_9__find_if7functorIS9_EEEE10hipError_tPvRmT1_T2_T3_mT4_P12ihipStream_tbEUlT_E1_NS1_11comp_targetILNS1_3genE3ELNS1_11target_archE908ELNS1_3gpuE7ELNS1_3repE0EEENS1_30default_config_static_selectorELNS0_4arch9wavefront6targetE1EEEvS19_
                                        ; -- End function
	.section	.AMDGPU.csdata,"",@progbits
; Kernel info:
; codeLenInByte = 0
; NumSgprs: 4
; NumVgprs: 0
; NumAgprs: 0
; TotalNumVgprs: 0
; ScratchSize: 0
; MemoryBound: 0
; FloatMode: 240
; IeeeMode: 1
; LDSByteSize: 0 bytes/workgroup (compile time only)
; SGPRBlocks: 0
; VGPRBlocks: 0
; NumSGPRsForWavesPerEU: 4
; NumVGPRsForWavesPerEU: 1
; AccumOffset: 4
; Occupancy: 8
; WaveLimiterHint : 0
; COMPUTE_PGM_RSRC2:SCRATCH_EN: 0
; COMPUTE_PGM_RSRC2:USER_SGPR: 6
; COMPUTE_PGM_RSRC2:TRAP_HANDLER: 0
; COMPUTE_PGM_RSRC2:TGID_X_EN: 1
; COMPUTE_PGM_RSRC2:TGID_Y_EN: 0
; COMPUTE_PGM_RSRC2:TGID_Z_EN: 0
; COMPUTE_PGM_RSRC2:TIDIG_COMP_CNT: 0
; COMPUTE_PGM_RSRC3_GFX90A:ACCUM_OFFSET: 0
; COMPUTE_PGM_RSRC3_GFX90A:TG_SPLIT: 0
	.section	.text._ZN7rocprim17ROCPRIM_400000_NS6detail17trampoline_kernelINS0_14default_configENS1_22reduce_config_selectorIN6thrust23THRUST_200600_302600_NS5tupleIblNS6_9null_typeES8_S8_S8_S8_S8_S8_S8_EEEEZNS1_11reduce_implILb1ES3_NS6_12zip_iteratorINS7_INS6_11hip_rocprim26transform_input_iterator_tIbPN3c104HalfENS6_6detail10functional5actorINSJ_9compositeIJNSJ_27transparent_binary_operatorINS6_8equal_toIvEEEENSK_INSJ_8argumentILj0EEEEENSJ_5valueISG_EEEEEEEEENSD_19counting_iterator_tIlEES8_S8_S8_S8_S8_S8_S8_S8_EEEEPS9_S9_NSD_9__find_if7functorIS9_EEEE10hipError_tPvRmT1_T2_T3_mT4_P12ihipStream_tbEUlT_E1_NS1_11comp_targetILNS1_3genE2ELNS1_11target_archE906ELNS1_3gpuE6ELNS1_3repE0EEENS1_30default_config_static_selectorELNS0_4arch9wavefront6targetE1EEEvS19_,"axG",@progbits,_ZN7rocprim17ROCPRIM_400000_NS6detail17trampoline_kernelINS0_14default_configENS1_22reduce_config_selectorIN6thrust23THRUST_200600_302600_NS5tupleIblNS6_9null_typeES8_S8_S8_S8_S8_S8_S8_EEEEZNS1_11reduce_implILb1ES3_NS6_12zip_iteratorINS7_INS6_11hip_rocprim26transform_input_iterator_tIbPN3c104HalfENS6_6detail10functional5actorINSJ_9compositeIJNSJ_27transparent_binary_operatorINS6_8equal_toIvEEEENSK_INSJ_8argumentILj0EEEEENSJ_5valueISG_EEEEEEEEENSD_19counting_iterator_tIlEES8_S8_S8_S8_S8_S8_S8_S8_EEEEPS9_S9_NSD_9__find_if7functorIS9_EEEE10hipError_tPvRmT1_T2_T3_mT4_P12ihipStream_tbEUlT_E1_NS1_11comp_targetILNS1_3genE2ELNS1_11target_archE906ELNS1_3gpuE6ELNS1_3repE0EEENS1_30default_config_static_selectorELNS0_4arch9wavefront6targetE1EEEvS19_,comdat
	.protected	_ZN7rocprim17ROCPRIM_400000_NS6detail17trampoline_kernelINS0_14default_configENS1_22reduce_config_selectorIN6thrust23THRUST_200600_302600_NS5tupleIblNS6_9null_typeES8_S8_S8_S8_S8_S8_S8_EEEEZNS1_11reduce_implILb1ES3_NS6_12zip_iteratorINS7_INS6_11hip_rocprim26transform_input_iterator_tIbPN3c104HalfENS6_6detail10functional5actorINSJ_9compositeIJNSJ_27transparent_binary_operatorINS6_8equal_toIvEEEENSK_INSJ_8argumentILj0EEEEENSJ_5valueISG_EEEEEEEEENSD_19counting_iterator_tIlEES8_S8_S8_S8_S8_S8_S8_S8_EEEEPS9_S9_NSD_9__find_if7functorIS9_EEEE10hipError_tPvRmT1_T2_T3_mT4_P12ihipStream_tbEUlT_E1_NS1_11comp_targetILNS1_3genE2ELNS1_11target_archE906ELNS1_3gpuE6ELNS1_3repE0EEENS1_30default_config_static_selectorELNS0_4arch9wavefront6targetE1EEEvS19_ ; -- Begin function _ZN7rocprim17ROCPRIM_400000_NS6detail17trampoline_kernelINS0_14default_configENS1_22reduce_config_selectorIN6thrust23THRUST_200600_302600_NS5tupleIblNS6_9null_typeES8_S8_S8_S8_S8_S8_S8_EEEEZNS1_11reduce_implILb1ES3_NS6_12zip_iteratorINS7_INS6_11hip_rocprim26transform_input_iterator_tIbPN3c104HalfENS6_6detail10functional5actorINSJ_9compositeIJNSJ_27transparent_binary_operatorINS6_8equal_toIvEEEENSK_INSJ_8argumentILj0EEEEENSJ_5valueISG_EEEEEEEEENSD_19counting_iterator_tIlEES8_S8_S8_S8_S8_S8_S8_S8_EEEEPS9_S9_NSD_9__find_if7functorIS9_EEEE10hipError_tPvRmT1_T2_T3_mT4_P12ihipStream_tbEUlT_E1_NS1_11comp_targetILNS1_3genE2ELNS1_11target_archE906ELNS1_3gpuE6ELNS1_3repE0EEENS1_30default_config_static_selectorELNS0_4arch9wavefront6targetE1EEEvS19_
	.globl	_ZN7rocprim17ROCPRIM_400000_NS6detail17trampoline_kernelINS0_14default_configENS1_22reduce_config_selectorIN6thrust23THRUST_200600_302600_NS5tupleIblNS6_9null_typeES8_S8_S8_S8_S8_S8_S8_EEEEZNS1_11reduce_implILb1ES3_NS6_12zip_iteratorINS7_INS6_11hip_rocprim26transform_input_iterator_tIbPN3c104HalfENS6_6detail10functional5actorINSJ_9compositeIJNSJ_27transparent_binary_operatorINS6_8equal_toIvEEEENSK_INSJ_8argumentILj0EEEEENSJ_5valueISG_EEEEEEEEENSD_19counting_iterator_tIlEES8_S8_S8_S8_S8_S8_S8_S8_EEEEPS9_S9_NSD_9__find_if7functorIS9_EEEE10hipError_tPvRmT1_T2_T3_mT4_P12ihipStream_tbEUlT_E1_NS1_11comp_targetILNS1_3genE2ELNS1_11target_archE906ELNS1_3gpuE6ELNS1_3repE0EEENS1_30default_config_static_selectorELNS0_4arch9wavefront6targetE1EEEvS19_
	.p2align	8
	.type	_ZN7rocprim17ROCPRIM_400000_NS6detail17trampoline_kernelINS0_14default_configENS1_22reduce_config_selectorIN6thrust23THRUST_200600_302600_NS5tupleIblNS6_9null_typeES8_S8_S8_S8_S8_S8_S8_EEEEZNS1_11reduce_implILb1ES3_NS6_12zip_iteratorINS7_INS6_11hip_rocprim26transform_input_iterator_tIbPN3c104HalfENS6_6detail10functional5actorINSJ_9compositeIJNSJ_27transparent_binary_operatorINS6_8equal_toIvEEEENSK_INSJ_8argumentILj0EEEEENSJ_5valueISG_EEEEEEEEENSD_19counting_iterator_tIlEES8_S8_S8_S8_S8_S8_S8_S8_EEEEPS9_S9_NSD_9__find_if7functorIS9_EEEE10hipError_tPvRmT1_T2_T3_mT4_P12ihipStream_tbEUlT_E1_NS1_11comp_targetILNS1_3genE2ELNS1_11target_archE906ELNS1_3gpuE6ELNS1_3repE0EEENS1_30default_config_static_selectorELNS0_4arch9wavefront6targetE1EEEvS19_,@function
_ZN7rocprim17ROCPRIM_400000_NS6detail17trampoline_kernelINS0_14default_configENS1_22reduce_config_selectorIN6thrust23THRUST_200600_302600_NS5tupleIblNS6_9null_typeES8_S8_S8_S8_S8_S8_S8_EEEEZNS1_11reduce_implILb1ES3_NS6_12zip_iteratorINS7_INS6_11hip_rocprim26transform_input_iterator_tIbPN3c104HalfENS6_6detail10functional5actorINSJ_9compositeIJNSJ_27transparent_binary_operatorINS6_8equal_toIvEEEENSK_INSJ_8argumentILj0EEEEENSJ_5valueISG_EEEEEEEEENSD_19counting_iterator_tIlEES8_S8_S8_S8_S8_S8_S8_S8_EEEEPS9_S9_NSD_9__find_if7functorIS9_EEEE10hipError_tPvRmT1_T2_T3_mT4_P12ihipStream_tbEUlT_E1_NS1_11comp_targetILNS1_3genE2ELNS1_11target_archE906ELNS1_3gpuE6ELNS1_3repE0EEENS1_30default_config_static_selectorELNS0_4arch9wavefront6targetE1EEEvS19_: ; @_ZN7rocprim17ROCPRIM_400000_NS6detail17trampoline_kernelINS0_14default_configENS1_22reduce_config_selectorIN6thrust23THRUST_200600_302600_NS5tupleIblNS6_9null_typeES8_S8_S8_S8_S8_S8_S8_EEEEZNS1_11reduce_implILb1ES3_NS6_12zip_iteratorINS7_INS6_11hip_rocprim26transform_input_iterator_tIbPN3c104HalfENS6_6detail10functional5actorINSJ_9compositeIJNSJ_27transparent_binary_operatorINS6_8equal_toIvEEEENSK_INSJ_8argumentILj0EEEEENSJ_5valueISG_EEEEEEEEENSD_19counting_iterator_tIlEES8_S8_S8_S8_S8_S8_S8_S8_EEEEPS9_S9_NSD_9__find_if7functorIS9_EEEE10hipError_tPvRmT1_T2_T3_mT4_P12ihipStream_tbEUlT_E1_NS1_11comp_targetILNS1_3genE2ELNS1_11target_archE906ELNS1_3gpuE6ELNS1_3repE0EEENS1_30default_config_static_selectorELNS0_4arch9wavefront6targetE1EEEvS19_
; %bb.0:
	.section	.rodata,"a",@progbits
	.p2align	6, 0x0
	.amdhsa_kernel _ZN7rocprim17ROCPRIM_400000_NS6detail17trampoline_kernelINS0_14default_configENS1_22reduce_config_selectorIN6thrust23THRUST_200600_302600_NS5tupleIblNS6_9null_typeES8_S8_S8_S8_S8_S8_S8_EEEEZNS1_11reduce_implILb1ES3_NS6_12zip_iteratorINS7_INS6_11hip_rocprim26transform_input_iterator_tIbPN3c104HalfENS6_6detail10functional5actorINSJ_9compositeIJNSJ_27transparent_binary_operatorINS6_8equal_toIvEEEENSK_INSJ_8argumentILj0EEEEENSJ_5valueISG_EEEEEEEEENSD_19counting_iterator_tIlEES8_S8_S8_S8_S8_S8_S8_S8_EEEEPS9_S9_NSD_9__find_if7functorIS9_EEEE10hipError_tPvRmT1_T2_T3_mT4_P12ihipStream_tbEUlT_E1_NS1_11comp_targetILNS1_3genE2ELNS1_11target_archE906ELNS1_3gpuE6ELNS1_3repE0EEENS1_30default_config_static_selectorELNS0_4arch9wavefront6targetE1EEEvS19_
		.amdhsa_group_segment_fixed_size 0
		.amdhsa_private_segment_fixed_size 0
		.amdhsa_kernarg_size 72
		.amdhsa_user_sgpr_count 6
		.amdhsa_user_sgpr_private_segment_buffer 1
		.amdhsa_user_sgpr_dispatch_ptr 0
		.amdhsa_user_sgpr_queue_ptr 0
		.amdhsa_user_sgpr_kernarg_segment_ptr 1
		.amdhsa_user_sgpr_dispatch_id 0
		.amdhsa_user_sgpr_flat_scratch_init 0
		.amdhsa_user_sgpr_kernarg_preload_length 0
		.amdhsa_user_sgpr_kernarg_preload_offset 0
		.amdhsa_user_sgpr_private_segment_size 0
		.amdhsa_uses_dynamic_stack 0
		.amdhsa_system_sgpr_private_segment_wavefront_offset 0
		.amdhsa_system_sgpr_workgroup_id_x 1
		.amdhsa_system_sgpr_workgroup_id_y 0
		.amdhsa_system_sgpr_workgroup_id_z 0
		.amdhsa_system_sgpr_workgroup_info 0
		.amdhsa_system_vgpr_workitem_id 0
		.amdhsa_next_free_vgpr 1
		.amdhsa_next_free_sgpr 0
		.amdhsa_accum_offset 4
		.amdhsa_reserve_vcc 0
		.amdhsa_reserve_flat_scratch 0
		.amdhsa_float_round_mode_32 0
		.amdhsa_float_round_mode_16_64 0
		.amdhsa_float_denorm_mode_32 3
		.amdhsa_float_denorm_mode_16_64 3
		.amdhsa_dx10_clamp 1
		.amdhsa_ieee_mode 1
		.amdhsa_fp16_overflow 0
		.amdhsa_tg_split 0
		.amdhsa_exception_fp_ieee_invalid_op 0
		.amdhsa_exception_fp_denorm_src 0
		.amdhsa_exception_fp_ieee_div_zero 0
		.amdhsa_exception_fp_ieee_overflow 0
		.amdhsa_exception_fp_ieee_underflow 0
		.amdhsa_exception_fp_ieee_inexact 0
		.amdhsa_exception_int_div_zero 0
	.end_amdhsa_kernel
	.section	.text._ZN7rocprim17ROCPRIM_400000_NS6detail17trampoline_kernelINS0_14default_configENS1_22reduce_config_selectorIN6thrust23THRUST_200600_302600_NS5tupleIblNS6_9null_typeES8_S8_S8_S8_S8_S8_S8_EEEEZNS1_11reduce_implILb1ES3_NS6_12zip_iteratorINS7_INS6_11hip_rocprim26transform_input_iterator_tIbPN3c104HalfENS6_6detail10functional5actorINSJ_9compositeIJNSJ_27transparent_binary_operatorINS6_8equal_toIvEEEENSK_INSJ_8argumentILj0EEEEENSJ_5valueISG_EEEEEEEEENSD_19counting_iterator_tIlEES8_S8_S8_S8_S8_S8_S8_S8_EEEEPS9_S9_NSD_9__find_if7functorIS9_EEEE10hipError_tPvRmT1_T2_T3_mT4_P12ihipStream_tbEUlT_E1_NS1_11comp_targetILNS1_3genE2ELNS1_11target_archE906ELNS1_3gpuE6ELNS1_3repE0EEENS1_30default_config_static_selectorELNS0_4arch9wavefront6targetE1EEEvS19_,"axG",@progbits,_ZN7rocprim17ROCPRIM_400000_NS6detail17trampoline_kernelINS0_14default_configENS1_22reduce_config_selectorIN6thrust23THRUST_200600_302600_NS5tupleIblNS6_9null_typeES8_S8_S8_S8_S8_S8_S8_EEEEZNS1_11reduce_implILb1ES3_NS6_12zip_iteratorINS7_INS6_11hip_rocprim26transform_input_iterator_tIbPN3c104HalfENS6_6detail10functional5actorINSJ_9compositeIJNSJ_27transparent_binary_operatorINS6_8equal_toIvEEEENSK_INSJ_8argumentILj0EEEEENSJ_5valueISG_EEEEEEEEENSD_19counting_iterator_tIlEES8_S8_S8_S8_S8_S8_S8_S8_EEEEPS9_S9_NSD_9__find_if7functorIS9_EEEE10hipError_tPvRmT1_T2_T3_mT4_P12ihipStream_tbEUlT_E1_NS1_11comp_targetILNS1_3genE2ELNS1_11target_archE906ELNS1_3gpuE6ELNS1_3repE0EEENS1_30default_config_static_selectorELNS0_4arch9wavefront6targetE1EEEvS19_,comdat
.Lfunc_end2249:
	.size	_ZN7rocprim17ROCPRIM_400000_NS6detail17trampoline_kernelINS0_14default_configENS1_22reduce_config_selectorIN6thrust23THRUST_200600_302600_NS5tupleIblNS6_9null_typeES8_S8_S8_S8_S8_S8_S8_EEEEZNS1_11reduce_implILb1ES3_NS6_12zip_iteratorINS7_INS6_11hip_rocprim26transform_input_iterator_tIbPN3c104HalfENS6_6detail10functional5actorINSJ_9compositeIJNSJ_27transparent_binary_operatorINS6_8equal_toIvEEEENSK_INSJ_8argumentILj0EEEEENSJ_5valueISG_EEEEEEEEENSD_19counting_iterator_tIlEES8_S8_S8_S8_S8_S8_S8_S8_EEEEPS9_S9_NSD_9__find_if7functorIS9_EEEE10hipError_tPvRmT1_T2_T3_mT4_P12ihipStream_tbEUlT_E1_NS1_11comp_targetILNS1_3genE2ELNS1_11target_archE906ELNS1_3gpuE6ELNS1_3repE0EEENS1_30default_config_static_selectorELNS0_4arch9wavefront6targetE1EEEvS19_, .Lfunc_end2249-_ZN7rocprim17ROCPRIM_400000_NS6detail17trampoline_kernelINS0_14default_configENS1_22reduce_config_selectorIN6thrust23THRUST_200600_302600_NS5tupleIblNS6_9null_typeES8_S8_S8_S8_S8_S8_S8_EEEEZNS1_11reduce_implILb1ES3_NS6_12zip_iteratorINS7_INS6_11hip_rocprim26transform_input_iterator_tIbPN3c104HalfENS6_6detail10functional5actorINSJ_9compositeIJNSJ_27transparent_binary_operatorINS6_8equal_toIvEEEENSK_INSJ_8argumentILj0EEEEENSJ_5valueISG_EEEEEEEEENSD_19counting_iterator_tIlEES8_S8_S8_S8_S8_S8_S8_S8_EEEEPS9_S9_NSD_9__find_if7functorIS9_EEEE10hipError_tPvRmT1_T2_T3_mT4_P12ihipStream_tbEUlT_E1_NS1_11comp_targetILNS1_3genE2ELNS1_11target_archE906ELNS1_3gpuE6ELNS1_3repE0EEENS1_30default_config_static_selectorELNS0_4arch9wavefront6targetE1EEEvS19_
                                        ; -- End function
	.section	.AMDGPU.csdata,"",@progbits
; Kernel info:
; codeLenInByte = 0
; NumSgprs: 4
; NumVgprs: 0
; NumAgprs: 0
; TotalNumVgprs: 0
; ScratchSize: 0
; MemoryBound: 0
; FloatMode: 240
; IeeeMode: 1
; LDSByteSize: 0 bytes/workgroup (compile time only)
; SGPRBlocks: 0
; VGPRBlocks: 0
; NumSGPRsForWavesPerEU: 4
; NumVGPRsForWavesPerEU: 1
; AccumOffset: 4
; Occupancy: 8
; WaveLimiterHint : 0
; COMPUTE_PGM_RSRC2:SCRATCH_EN: 0
; COMPUTE_PGM_RSRC2:USER_SGPR: 6
; COMPUTE_PGM_RSRC2:TRAP_HANDLER: 0
; COMPUTE_PGM_RSRC2:TGID_X_EN: 1
; COMPUTE_PGM_RSRC2:TGID_Y_EN: 0
; COMPUTE_PGM_RSRC2:TGID_Z_EN: 0
; COMPUTE_PGM_RSRC2:TIDIG_COMP_CNT: 0
; COMPUTE_PGM_RSRC3_GFX90A:ACCUM_OFFSET: 0
; COMPUTE_PGM_RSRC3_GFX90A:TG_SPLIT: 0
	.section	.text._ZN7rocprim17ROCPRIM_400000_NS6detail17trampoline_kernelINS0_14default_configENS1_22reduce_config_selectorIN6thrust23THRUST_200600_302600_NS5tupleIblNS6_9null_typeES8_S8_S8_S8_S8_S8_S8_EEEEZNS1_11reduce_implILb1ES3_NS6_12zip_iteratorINS7_INS6_11hip_rocprim26transform_input_iterator_tIbPN3c104HalfENS6_6detail10functional5actorINSJ_9compositeIJNSJ_27transparent_binary_operatorINS6_8equal_toIvEEEENSK_INSJ_8argumentILj0EEEEENSJ_5valueISG_EEEEEEEEENSD_19counting_iterator_tIlEES8_S8_S8_S8_S8_S8_S8_S8_EEEEPS9_S9_NSD_9__find_if7functorIS9_EEEE10hipError_tPvRmT1_T2_T3_mT4_P12ihipStream_tbEUlT_E1_NS1_11comp_targetILNS1_3genE10ELNS1_11target_archE1201ELNS1_3gpuE5ELNS1_3repE0EEENS1_30default_config_static_selectorELNS0_4arch9wavefront6targetE1EEEvS19_,"axG",@progbits,_ZN7rocprim17ROCPRIM_400000_NS6detail17trampoline_kernelINS0_14default_configENS1_22reduce_config_selectorIN6thrust23THRUST_200600_302600_NS5tupleIblNS6_9null_typeES8_S8_S8_S8_S8_S8_S8_EEEEZNS1_11reduce_implILb1ES3_NS6_12zip_iteratorINS7_INS6_11hip_rocprim26transform_input_iterator_tIbPN3c104HalfENS6_6detail10functional5actorINSJ_9compositeIJNSJ_27transparent_binary_operatorINS6_8equal_toIvEEEENSK_INSJ_8argumentILj0EEEEENSJ_5valueISG_EEEEEEEEENSD_19counting_iterator_tIlEES8_S8_S8_S8_S8_S8_S8_S8_EEEEPS9_S9_NSD_9__find_if7functorIS9_EEEE10hipError_tPvRmT1_T2_T3_mT4_P12ihipStream_tbEUlT_E1_NS1_11comp_targetILNS1_3genE10ELNS1_11target_archE1201ELNS1_3gpuE5ELNS1_3repE0EEENS1_30default_config_static_selectorELNS0_4arch9wavefront6targetE1EEEvS19_,comdat
	.protected	_ZN7rocprim17ROCPRIM_400000_NS6detail17trampoline_kernelINS0_14default_configENS1_22reduce_config_selectorIN6thrust23THRUST_200600_302600_NS5tupleIblNS6_9null_typeES8_S8_S8_S8_S8_S8_S8_EEEEZNS1_11reduce_implILb1ES3_NS6_12zip_iteratorINS7_INS6_11hip_rocprim26transform_input_iterator_tIbPN3c104HalfENS6_6detail10functional5actorINSJ_9compositeIJNSJ_27transparent_binary_operatorINS6_8equal_toIvEEEENSK_INSJ_8argumentILj0EEEEENSJ_5valueISG_EEEEEEEEENSD_19counting_iterator_tIlEES8_S8_S8_S8_S8_S8_S8_S8_EEEEPS9_S9_NSD_9__find_if7functorIS9_EEEE10hipError_tPvRmT1_T2_T3_mT4_P12ihipStream_tbEUlT_E1_NS1_11comp_targetILNS1_3genE10ELNS1_11target_archE1201ELNS1_3gpuE5ELNS1_3repE0EEENS1_30default_config_static_selectorELNS0_4arch9wavefront6targetE1EEEvS19_ ; -- Begin function _ZN7rocprim17ROCPRIM_400000_NS6detail17trampoline_kernelINS0_14default_configENS1_22reduce_config_selectorIN6thrust23THRUST_200600_302600_NS5tupleIblNS6_9null_typeES8_S8_S8_S8_S8_S8_S8_EEEEZNS1_11reduce_implILb1ES3_NS6_12zip_iteratorINS7_INS6_11hip_rocprim26transform_input_iterator_tIbPN3c104HalfENS6_6detail10functional5actorINSJ_9compositeIJNSJ_27transparent_binary_operatorINS6_8equal_toIvEEEENSK_INSJ_8argumentILj0EEEEENSJ_5valueISG_EEEEEEEEENSD_19counting_iterator_tIlEES8_S8_S8_S8_S8_S8_S8_S8_EEEEPS9_S9_NSD_9__find_if7functorIS9_EEEE10hipError_tPvRmT1_T2_T3_mT4_P12ihipStream_tbEUlT_E1_NS1_11comp_targetILNS1_3genE10ELNS1_11target_archE1201ELNS1_3gpuE5ELNS1_3repE0EEENS1_30default_config_static_selectorELNS0_4arch9wavefront6targetE1EEEvS19_
	.globl	_ZN7rocprim17ROCPRIM_400000_NS6detail17trampoline_kernelINS0_14default_configENS1_22reduce_config_selectorIN6thrust23THRUST_200600_302600_NS5tupleIblNS6_9null_typeES8_S8_S8_S8_S8_S8_S8_EEEEZNS1_11reduce_implILb1ES3_NS6_12zip_iteratorINS7_INS6_11hip_rocprim26transform_input_iterator_tIbPN3c104HalfENS6_6detail10functional5actorINSJ_9compositeIJNSJ_27transparent_binary_operatorINS6_8equal_toIvEEEENSK_INSJ_8argumentILj0EEEEENSJ_5valueISG_EEEEEEEEENSD_19counting_iterator_tIlEES8_S8_S8_S8_S8_S8_S8_S8_EEEEPS9_S9_NSD_9__find_if7functorIS9_EEEE10hipError_tPvRmT1_T2_T3_mT4_P12ihipStream_tbEUlT_E1_NS1_11comp_targetILNS1_3genE10ELNS1_11target_archE1201ELNS1_3gpuE5ELNS1_3repE0EEENS1_30default_config_static_selectorELNS0_4arch9wavefront6targetE1EEEvS19_
	.p2align	8
	.type	_ZN7rocprim17ROCPRIM_400000_NS6detail17trampoline_kernelINS0_14default_configENS1_22reduce_config_selectorIN6thrust23THRUST_200600_302600_NS5tupleIblNS6_9null_typeES8_S8_S8_S8_S8_S8_S8_EEEEZNS1_11reduce_implILb1ES3_NS6_12zip_iteratorINS7_INS6_11hip_rocprim26transform_input_iterator_tIbPN3c104HalfENS6_6detail10functional5actorINSJ_9compositeIJNSJ_27transparent_binary_operatorINS6_8equal_toIvEEEENSK_INSJ_8argumentILj0EEEEENSJ_5valueISG_EEEEEEEEENSD_19counting_iterator_tIlEES8_S8_S8_S8_S8_S8_S8_S8_EEEEPS9_S9_NSD_9__find_if7functorIS9_EEEE10hipError_tPvRmT1_T2_T3_mT4_P12ihipStream_tbEUlT_E1_NS1_11comp_targetILNS1_3genE10ELNS1_11target_archE1201ELNS1_3gpuE5ELNS1_3repE0EEENS1_30default_config_static_selectorELNS0_4arch9wavefront6targetE1EEEvS19_,@function
_ZN7rocprim17ROCPRIM_400000_NS6detail17trampoline_kernelINS0_14default_configENS1_22reduce_config_selectorIN6thrust23THRUST_200600_302600_NS5tupleIblNS6_9null_typeES8_S8_S8_S8_S8_S8_S8_EEEEZNS1_11reduce_implILb1ES3_NS6_12zip_iteratorINS7_INS6_11hip_rocprim26transform_input_iterator_tIbPN3c104HalfENS6_6detail10functional5actorINSJ_9compositeIJNSJ_27transparent_binary_operatorINS6_8equal_toIvEEEENSK_INSJ_8argumentILj0EEEEENSJ_5valueISG_EEEEEEEEENSD_19counting_iterator_tIlEES8_S8_S8_S8_S8_S8_S8_S8_EEEEPS9_S9_NSD_9__find_if7functorIS9_EEEE10hipError_tPvRmT1_T2_T3_mT4_P12ihipStream_tbEUlT_E1_NS1_11comp_targetILNS1_3genE10ELNS1_11target_archE1201ELNS1_3gpuE5ELNS1_3repE0EEENS1_30default_config_static_selectorELNS0_4arch9wavefront6targetE1EEEvS19_: ; @_ZN7rocprim17ROCPRIM_400000_NS6detail17trampoline_kernelINS0_14default_configENS1_22reduce_config_selectorIN6thrust23THRUST_200600_302600_NS5tupleIblNS6_9null_typeES8_S8_S8_S8_S8_S8_S8_EEEEZNS1_11reduce_implILb1ES3_NS6_12zip_iteratorINS7_INS6_11hip_rocprim26transform_input_iterator_tIbPN3c104HalfENS6_6detail10functional5actorINSJ_9compositeIJNSJ_27transparent_binary_operatorINS6_8equal_toIvEEEENSK_INSJ_8argumentILj0EEEEENSJ_5valueISG_EEEEEEEEENSD_19counting_iterator_tIlEES8_S8_S8_S8_S8_S8_S8_S8_EEEEPS9_S9_NSD_9__find_if7functorIS9_EEEE10hipError_tPvRmT1_T2_T3_mT4_P12ihipStream_tbEUlT_E1_NS1_11comp_targetILNS1_3genE10ELNS1_11target_archE1201ELNS1_3gpuE5ELNS1_3repE0EEENS1_30default_config_static_selectorELNS0_4arch9wavefront6targetE1EEEvS19_
; %bb.0:
	.section	.rodata,"a",@progbits
	.p2align	6, 0x0
	.amdhsa_kernel _ZN7rocprim17ROCPRIM_400000_NS6detail17trampoline_kernelINS0_14default_configENS1_22reduce_config_selectorIN6thrust23THRUST_200600_302600_NS5tupleIblNS6_9null_typeES8_S8_S8_S8_S8_S8_S8_EEEEZNS1_11reduce_implILb1ES3_NS6_12zip_iteratorINS7_INS6_11hip_rocprim26transform_input_iterator_tIbPN3c104HalfENS6_6detail10functional5actorINSJ_9compositeIJNSJ_27transparent_binary_operatorINS6_8equal_toIvEEEENSK_INSJ_8argumentILj0EEEEENSJ_5valueISG_EEEEEEEEENSD_19counting_iterator_tIlEES8_S8_S8_S8_S8_S8_S8_S8_EEEEPS9_S9_NSD_9__find_if7functorIS9_EEEE10hipError_tPvRmT1_T2_T3_mT4_P12ihipStream_tbEUlT_E1_NS1_11comp_targetILNS1_3genE10ELNS1_11target_archE1201ELNS1_3gpuE5ELNS1_3repE0EEENS1_30default_config_static_selectorELNS0_4arch9wavefront6targetE1EEEvS19_
		.amdhsa_group_segment_fixed_size 0
		.amdhsa_private_segment_fixed_size 0
		.amdhsa_kernarg_size 72
		.amdhsa_user_sgpr_count 6
		.amdhsa_user_sgpr_private_segment_buffer 1
		.amdhsa_user_sgpr_dispatch_ptr 0
		.amdhsa_user_sgpr_queue_ptr 0
		.amdhsa_user_sgpr_kernarg_segment_ptr 1
		.amdhsa_user_sgpr_dispatch_id 0
		.amdhsa_user_sgpr_flat_scratch_init 0
		.amdhsa_user_sgpr_kernarg_preload_length 0
		.amdhsa_user_sgpr_kernarg_preload_offset 0
		.amdhsa_user_sgpr_private_segment_size 0
		.amdhsa_uses_dynamic_stack 0
		.amdhsa_system_sgpr_private_segment_wavefront_offset 0
		.amdhsa_system_sgpr_workgroup_id_x 1
		.amdhsa_system_sgpr_workgroup_id_y 0
		.amdhsa_system_sgpr_workgroup_id_z 0
		.amdhsa_system_sgpr_workgroup_info 0
		.amdhsa_system_vgpr_workitem_id 0
		.amdhsa_next_free_vgpr 1
		.amdhsa_next_free_sgpr 0
		.amdhsa_accum_offset 4
		.amdhsa_reserve_vcc 0
		.amdhsa_reserve_flat_scratch 0
		.amdhsa_float_round_mode_32 0
		.amdhsa_float_round_mode_16_64 0
		.amdhsa_float_denorm_mode_32 3
		.amdhsa_float_denorm_mode_16_64 3
		.amdhsa_dx10_clamp 1
		.amdhsa_ieee_mode 1
		.amdhsa_fp16_overflow 0
		.amdhsa_tg_split 0
		.amdhsa_exception_fp_ieee_invalid_op 0
		.amdhsa_exception_fp_denorm_src 0
		.amdhsa_exception_fp_ieee_div_zero 0
		.amdhsa_exception_fp_ieee_overflow 0
		.amdhsa_exception_fp_ieee_underflow 0
		.amdhsa_exception_fp_ieee_inexact 0
		.amdhsa_exception_int_div_zero 0
	.end_amdhsa_kernel
	.section	.text._ZN7rocprim17ROCPRIM_400000_NS6detail17trampoline_kernelINS0_14default_configENS1_22reduce_config_selectorIN6thrust23THRUST_200600_302600_NS5tupleIblNS6_9null_typeES8_S8_S8_S8_S8_S8_S8_EEEEZNS1_11reduce_implILb1ES3_NS6_12zip_iteratorINS7_INS6_11hip_rocprim26transform_input_iterator_tIbPN3c104HalfENS6_6detail10functional5actorINSJ_9compositeIJNSJ_27transparent_binary_operatorINS6_8equal_toIvEEEENSK_INSJ_8argumentILj0EEEEENSJ_5valueISG_EEEEEEEEENSD_19counting_iterator_tIlEES8_S8_S8_S8_S8_S8_S8_S8_EEEEPS9_S9_NSD_9__find_if7functorIS9_EEEE10hipError_tPvRmT1_T2_T3_mT4_P12ihipStream_tbEUlT_E1_NS1_11comp_targetILNS1_3genE10ELNS1_11target_archE1201ELNS1_3gpuE5ELNS1_3repE0EEENS1_30default_config_static_selectorELNS0_4arch9wavefront6targetE1EEEvS19_,"axG",@progbits,_ZN7rocprim17ROCPRIM_400000_NS6detail17trampoline_kernelINS0_14default_configENS1_22reduce_config_selectorIN6thrust23THRUST_200600_302600_NS5tupleIblNS6_9null_typeES8_S8_S8_S8_S8_S8_S8_EEEEZNS1_11reduce_implILb1ES3_NS6_12zip_iteratorINS7_INS6_11hip_rocprim26transform_input_iterator_tIbPN3c104HalfENS6_6detail10functional5actorINSJ_9compositeIJNSJ_27transparent_binary_operatorINS6_8equal_toIvEEEENSK_INSJ_8argumentILj0EEEEENSJ_5valueISG_EEEEEEEEENSD_19counting_iterator_tIlEES8_S8_S8_S8_S8_S8_S8_S8_EEEEPS9_S9_NSD_9__find_if7functorIS9_EEEE10hipError_tPvRmT1_T2_T3_mT4_P12ihipStream_tbEUlT_E1_NS1_11comp_targetILNS1_3genE10ELNS1_11target_archE1201ELNS1_3gpuE5ELNS1_3repE0EEENS1_30default_config_static_selectorELNS0_4arch9wavefront6targetE1EEEvS19_,comdat
.Lfunc_end2250:
	.size	_ZN7rocprim17ROCPRIM_400000_NS6detail17trampoline_kernelINS0_14default_configENS1_22reduce_config_selectorIN6thrust23THRUST_200600_302600_NS5tupleIblNS6_9null_typeES8_S8_S8_S8_S8_S8_S8_EEEEZNS1_11reduce_implILb1ES3_NS6_12zip_iteratorINS7_INS6_11hip_rocprim26transform_input_iterator_tIbPN3c104HalfENS6_6detail10functional5actorINSJ_9compositeIJNSJ_27transparent_binary_operatorINS6_8equal_toIvEEEENSK_INSJ_8argumentILj0EEEEENSJ_5valueISG_EEEEEEEEENSD_19counting_iterator_tIlEES8_S8_S8_S8_S8_S8_S8_S8_EEEEPS9_S9_NSD_9__find_if7functorIS9_EEEE10hipError_tPvRmT1_T2_T3_mT4_P12ihipStream_tbEUlT_E1_NS1_11comp_targetILNS1_3genE10ELNS1_11target_archE1201ELNS1_3gpuE5ELNS1_3repE0EEENS1_30default_config_static_selectorELNS0_4arch9wavefront6targetE1EEEvS19_, .Lfunc_end2250-_ZN7rocprim17ROCPRIM_400000_NS6detail17trampoline_kernelINS0_14default_configENS1_22reduce_config_selectorIN6thrust23THRUST_200600_302600_NS5tupleIblNS6_9null_typeES8_S8_S8_S8_S8_S8_S8_EEEEZNS1_11reduce_implILb1ES3_NS6_12zip_iteratorINS7_INS6_11hip_rocprim26transform_input_iterator_tIbPN3c104HalfENS6_6detail10functional5actorINSJ_9compositeIJNSJ_27transparent_binary_operatorINS6_8equal_toIvEEEENSK_INSJ_8argumentILj0EEEEENSJ_5valueISG_EEEEEEEEENSD_19counting_iterator_tIlEES8_S8_S8_S8_S8_S8_S8_S8_EEEEPS9_S9_NSD_9__find_if7functorIS9_EEEE10hipError_tPvRmT1_T2_T3_mT4_P12ihipStream_tbEUlT_E1_NS1_11comp_targetILNS1_3genE10ELNS1_11target_archE1201ELNS1_3gpuE5ELNS1_3repE0EEENS1_30default_config_static_selectorELNS0_4arch9wavefront6targetE1EEEvS19_
                                        ; -- End function
	.section	.AMDGPU.csdata,"",@progbits
; Kernel info:
; codeLenInByte = 0
; NumSgprs: 4
; NumVgprs: 0
; NumAgprs: 0
; TotalNumVgprs: 0
; ScratchSize: 0
; MemoryBound: 0
; FloatMode: 240
; IeeeMode: 1
; LDSByteSize: 0 bytes/workgroup (compile time only)
; SGPRBlocks: 0
; VGPRBlocks: 0
; NumSGPRsForWavesPerEU: 4
; NumVGPRsForWavesPerEU: 1
; AccumOffset: 4
; Occupancy: 8
; WaveLimiterHint : 0
; COMPUTE_PGM_RSRC2:SCRATCH_EN: 0
; COMPUTE_PGM_RSRC2:USER_SGPR: 6
; COMPUTE_PGM_RSRC2:TRAP_HANDLER: 0
; COMPUTE_PGM_RSRC2:TGID_X_EN: 1
; COMPUTE_PGM_RSRC2:TGID_Y_EN: 0
; COMPUTE_PGM_RSRC2:TGID_Z_EN: 0
; COMPUTE_PGM_RSRC2:TIDIG_COMP_CNT: 0
; COMPUTE_PGM_RSRC3_GFX90A:ACCUM_OFFSET: 0
; COMPUTE_PGM_RSRC3_GFX90A:TG_SPLIT: 0
	.section	.text._ZN7rocprim17ROCPRIM_400000_NS6detail17trampoline_kernelINS0_14default_configENS1_22reduce_config_selectorIN6thrust23THRUST_200600_302600_NS5tupleIblNS6_9null_typeES8_S8_S8_S8_S8_S8_S8_EEEEZNS1_11reduce_implILb1ES3_NS6_12zip_iteratorINS7_INS6_11hip_rocprim26transform_input_iterator_tIbPN3c104HalfENS6_6detail10functional5actorINSJ_9compositeIJNSJ_27transparent_binary_operatorINS6_8equal_toIvEEEENSK_INSJ_8argumentILj0EEEEENSJ_5valueISG_EEEEEEEEENSD_19counting_iterator_tIlEES8_S8_S8_S8_S8_S8_S8_S8_EEEEPS9_S9_NSD_9__find_if7functorIS9_EEEE10hipError_tPvRmT1_T2_T3_mT4_P12ihipStream_tbEUlT_E1_NS1_11comp_targetILNS1_3genE10ELNS1_11target_archE1200ELNS1_3gpuE4ELNS1_3repE0EEENS1_30default_config_static_selectorELNS0_4arch9wavefront6targetE1EEEvS19_,"axG",@progbits,_ZN7rocprim17ROCPRIM_400000_NS6detail17trampoline_kernelINS0_14default_configENS1_22reduce_config_selectorIN6thrust23THRUST_200600_302600_NS5tupleIblNS6_9null_typeES8_S8_S8_S8_S8_S8_S8_EEEEZNS1_11reduce_implILb1ES3_NS6_12zip_iteratorINS7_INS6_11hip_rocprim26transform_input_iterator_tIbPN3c104HalfENS6_6detail10functional5actorINSJ_9compositeIJNSJ_27transparent_binary_operatorINS6_8equal_toIvEEEENSK_INSJ_8argumentILj0EEEEENSJ_5valueISG_EEEEEEEEENSD_19counting_iterator_tIlEES8_S8_S8_S8_S8_S8_S8_S8_EEEEPS9_S9_NSD_9__find_if7functorIS9_EEEE10hipError_tPvRmT1_T2_T3_mT4_P12ihipStream_tbEUlT_E1_NS1_11comp_targetILNS1_3genE10ELNS1_11target_archE1200ELNS1_3gpuE4ELNS1_3repE0EEENS1_30default_config_static_selectorELNS0_4arch9wavefront6targetE1EEEvS19_,comdat
	.protected	_ZN7rocprim17ROCPRIM_400000_NS6detail17trampoline_kernelINS0_14default_configENS1_22reduce_config_selectorIN6thrust23THRUST_200600_302600_NS5tupleIblNS6_9null_typeES8_S8_S8_S8_S8_S8_S8_EEEEZNS1_11reduce_implILb1ES3_NS6_12zip_iteratorINS7_INS6_11hip_rocprim26transform_input_iterator_tIbPN3c104HalfENS6_6detail10functional5actorINSJ_9compositeIJNSJ_27transparent_binary_operatorINS6_8equal_toIvEEEENSK_INSJ_8argumentILj0EEEEENSJ_5valueISG_EEEEEEEEENSD_19counting_iterator_tIlEES8_S8_S8_S8_S8_S8_S8_S8_EEEEPS9_S9_NSD_9__find_if7functorIS9_EEEE10hipError_tPvRmT1_T2_T3_mT4_P12ihipStream_tbEUlT_E1_NS1_11comp_targetILNS1_3genE10ELNS1_11target_archE1200ELNS1_3gpuE4ELNS1_3repE0EEENS1_30default_config_static_selectorELNS0_4arch9wavefront6targetE1EEEvS19_ ; -- Begin function _ZN7rocprim17ROCPRIM_400000_NS6detail17trampoline_kernelINS0_14default_configENS1_22reduce_config_selectorIN6thrust23THRUST_200600_302600_NS5tupleIblNS6_9null_typeES8_S8_S8_S8_S8_S8_S8_EEEEZNS1_11reduce_implILb1ES3_NS6_12zip_iteratorINS7_INS6_11hip_rocprim26transform_input_iterator_tIbPN3c104HalfENS6_6detail10functional5actorINSJ_9compositeIJNSJ_27transparent_binary_operatorINS6_8equal_toIvEEEENSK_INSJ_8argumentILj0EEEEENSJ_5valueISG_EEEEEEEEENSD_19counting_iterator_tIlEES8_S8_S8_S8_S8_S8_S8_S8_EEEEPS9_S9_NSD_9__find_if7functorIS9_EEEE10hipError_tPvRmT1_T2_T3_mT4_P12ihipStream_tbEUlT_E1_NS1_11comp_targetILNS1_3genE10ELNS1_11target_archE1200ELNS1_3gpuE4ELNS1_3repE0EEENS1_30default_config_static_selectorELNS0_4arch9wavefront6targetE1EEEvS19_
	.globl	_ZN7rocprim17ROCPRIM_400000_NS6detail17trampoline_kernelINS0_14default_configENS1_22reduce_config_selectorIN6thrust23THRUST_200600_302600_NS5tupleIblNS6_9null_typeES8_S8_S8_S8_S8_S8_S8_EEEEZNS1_11reduce_implILb1ES3_NS6_12zip_iteratorINS7_INS6_11hip_rocprim26transform_input_iterator_tIbPN3c104HalfENS6_6detail10functional5actorINSJ_9compositeIJNSJ_27transparent_binary_operatorINS6_8equal_toIvEEEENSK_INSJ_8argumentILj0EEEEENSJ_5valueISG_EEEEEEEEENSD_19counting_iterator_tIlEES8_S8_S8_S8_S8_S8_S8_S8_EEEEPS9_S9_NSD_9__find_if7functorIS9_EEEE10hipError_tPvRmT1_T2_T3_mT4_P12ihipStream_tbEUlT_E1_NS1_11comp_targetILNS1_3genE10ELNS1_11target_archE1200ELNS1_3gpuE4ELNS1_3repE0EEENS1_30default_config_static_selectorELNS0_4arch9wavefront6targetE1EEEvS19_
	.p2align	8
	.type	_ZN7rocprim17ROCPRIM_400000_NS6detail17trampoline_kernelINS0_14default_configENS1_22reduce_config_selectorIN6thrust23THRUST_200600_302600_NS5tupleIblNS6_9null_typeES8_S8_S8_S8_S8_S8_S8_EEEEZNS1_11reduce_implILb1ES3_NS6_12zip_iteratorINS7_INS6_11hip_rocprim26transform_input_iterator_tIbPN3c104HalfENS6_6detail10functional5actorINSJ_9compositeIJNSJ_27transparent_binary_operatorINS6_8equal_toIvEEEENSK_INSJ_8argumentILj0EEEEENSJ_5valueISG_EEEEEEEEENSD_19counting_iterator_tIlEES8_S8_S8_S8_S8_S8_S8_S8_EEEEPS9_S9_NSD_9__find_if7functorIS9_EEEE10hipError_tPvRmT1_T2_T3_mT4_P12ihipStream_tbEUlT_E1_NS1_11comp_targetILNS1_3genE10ELNS1_11target_archE1200ELNS1_3gpuE4ELNS1_3repE0EEENS1_30default_config_static_selectorELNS0_4arch9wavefront6targetE1EEEvS19_,@function
_ZN7rocprim17ROCPRIM_400000_NS6detail17trampoline_kernelINS0_14default_configENS1_22reduce_config_selectorIN6thrust23THRUST_200600_302600_NS5tupleIblNS6_9null_typeES8_S8_S8_S8_S8_S8_S8_EEEEZNS1_11reduce_implILb1ES3_NS6_12zip_iteratorINS7_INS6_11hip_rocprim26transform_input_iterator_tIbPN3c104HalfENS6_6detail10functional5actorINSJ_9compositeIJNSJ_27transparent_binary_operatorINS6_8equal_toIvEEEENSK_INSJ_8argumentILj0EEEEENSJ_5valueISG_EEEEEEEEENSD_19counting_iterator_tIlEES8_S8_S8_S8_S8_S8_S8_S8_EEEEPS9_S9_NSD_9__find_if7functorIS9_EEEE10hipError_tPvRmT1_T2_T3_mT4_P12ihipStream_tbEUlT_E1_NS1_11comp_targetILNS1_3genE10ELNS1_11target_archE1200ELNS1_3gpuE4ELNS1_3repE0EEENS1_30default_config_static_selectorELNS0_4arch9wavefront6targetE1EEEvS19_: ; @_ZN7rocprim17ROCPRIM_400000_NS6detail17trampoline_kernelINS0_14default_configENS1_22reduce_config_selectorIN6thrust23THRUST_200600_302600_NS5tupleIblNS6_9null_typeES8_S8_S8_S8_S8_S8_S8_EEEEZNS1_11reduce_implILb1ES3_NS6_12zip_iteratorINS7_INS6_11hip_rocprim26transform_input_iterator_tIbPN3c104HalfENS6_6detail10functional5actorINSJ_9compositeIJNSJ_27transparent_binary_operatorINS6_8equal_toIvEEEENSK_INSJ_8argumentILj0EEEEENSJ_5valueISG_EEEEEEEEENSD_19counting_iterator_tIlEES8_S8_S8_S8_S8_S8_S8_S8_EEEEPS9_S9_NSD_9__find_if7functorIS9_EEEE10hipError_tPvRmT1_T2_T3_mT4_P12ihipStream_tbEUlT_E1_NS1_11comp_targetILNS1_3genE10ELNS1_11target_archE1200ELNS1_3gpuE4ELNS1_3repE0EEENS1_30default_config_static_selectorELNS0_4arch9wavefront6targetE1EEEvS19_
; %bb.0:
	.section	.rodata,"a",@progbits
	.p2align	6, 0x0
	.amdhsa_kernel _ZN7rocprim17ROCPRIM_400000_NS6detail17trampoline_kernelINS0_14default_configENS1_22reduce_config_selectorIN6thrust23THRUST_200600_302600_NS5tupleIblNS6_9null_typeES8_S8_S8_S8_S8_S8_S8_EEEEZNS1_11reduce_implILb1ES3_NS6_12zip_iteratorINS7_INS6_11hip_rocprim26transform_input_iterator_tIbPN3c104HalfENS6_6detail10functional5actorINSJ_9compositeIJNSJ_27transparent_binary_operatorINS6_8equal_toIvEEEENSK_INSJ_8argumentILj0EEEEENSJ_5valueISG_EEEEEEEEENSD_19counting_iterator_tIlEES8_S8_S8_S8_S8_S8_S8_S8_EEEEPS9_S9_NSD_9__find_if7functorIS9_EEEE10hipError_tPvRmT1_T2_T3_mT4_P12ihipStream_tbEUlT_E1_NS1_11comp_targetILNS1_3genE10ELNS1_11target_archE1200ELNS1_3gpuE4ELNS1_3repE0EEENS1_30default_config_static_selectorELNS0_4arch9wavefront6targetE1EEEvS19_
		.amdhsa_group_segment_fixed_size 0
		.amdhsa_private_segment_fixed_size 0
		.amdhsa_kernarg_size 72
		.amdhsa_user_sgpr_count 6
		.amdhsa_user_sgpr_private_segment_buffer 1
		.amdhsa_user_sgpr_dispatch_ptr 0
		.amdhsa_user_sgpr_queue_ptr 0
		.amdhsa_user_sgpr_kernarg_segment_ptr 1
		.amdhsa_user_sgpr_dispatch_id 0
		.amdhsa_user_sgpr_flat_scratch_init 0
		.amdhsa_user_sgpr_kernarg_preload_length 0
		.amdhsa_user_sgpr_kernarg_preload_offset 0
		.amdhsa_user_sgpr_private_segment_size 0
		.amdhsa_uses_dynamic_stack 0
		.amdhsa_system_sgpr_private_segment_wavefront_offset 0
		.amdhsa_system_sgpr_workgroup_id_x 1
		.amdhsa_system_sgpr_workgroup_id_y 0
		.amdhsa_system_sgpr_workgroup_id_z 0
		.amdhsa_system_sgpr_workgroup_info 0
		.amdhsa_system_vgpr_workitem_id 0
		.amdhsa_next_free_vgpr 1
		.amdhsa_next_free_sgpr 0
		.amdhsa_accum_offset 4
		.amdhsa_reserve_vcc 0
		.amdhsa_reserve_flat_scratch 0
		.amdhsa_float_round_mode_32 0
		.amdhsa_float_round_mode_16_64 0
		.amdhsa_float_denorm_mode_32 3
		.amdhsa_float_denorm_mode_16_64 3
		.amdhsa_dx10_clamp 1
		.amdhsa_ieee_mode 1
		.amdhsa_fp16_overflow 0
		.amdhsa_tg_split 0
		.amdhsa_exception_fp_ieee_invalid_op 0
		.amdhsa_exception_fp_denorm_src 0
		.amdhsa_exception_fp_ieee_div_zero 0
		.amdhsa_exception_fp_ieee_overflow 0
		.amdhsa_exception_fp_ieee_underflow 0
		.amdhsa_exception_fp_ieee_inexact 0
		.amdhsa_exception_int_div_zero 0
	.end_amdhsa_kernel
	.section	.text._ZN7rocprim17ROCPRIM_400000_NS6detail17trampoline_kernelINS0_14default_configENS1_22reduce_config_selectorIN6thrust23THRUST_200600_302600_NS5tupleIblNS6_9null_typeES8_S8_S8_S8_S8_S8_S8_EEEEZNS1_11reduce_implILb1ES3_NS6_12zip_iteratorINS7_INS6_11hip_rocprim26transform_input_iterator_tIbPN3c104HalfENS6_6detail10functional5actorINSJ_9compositeIJNSJ_27transparent_binary_operatorINS6_8equal_toIvEEEENSK_INSJ_8argumentILj0EEEEENSJ_5valueISG_EEEEEEEEENSD_19counting_iterator_tIlEES8_S8_S8_S8_S8_S8_S8_S8_EEEEPS9_S9_NSD_9__find_if7functorIS9_EEEE10hipError_tPvRmT1_T2_T3_mT4_P12ihipStream_tbEUlT_E1_NS1_11comp_targetILNS1_3genE10ELNS1_11target_archE1200ELNS1_3gpuE4ELNS1_3repE0EEENS1_30default_config_static_selectorELNS0_4arch9wavefront6targetE1EEEvS19_,"axG",@progbits,_ZN7rocprim17ROCPRIM_400000_NS6detail17trampoline_kernelINS0_14default_configENS1_22reduce_config_selectorIN6thrust23THRUST_200600_302600_NS5tupleIblNS6_9null_typeES8_S8_S8_S8_S8_S8_S8_EEEEZNS1_11reduce_implILb1ES3_NS6_12zip_iteratorINS7_INS6_11hip_rocprim26transform_input_iterator_tIbPN3c104HalfENS6_6detail10functional5actorINSJ_9compositeIJNSJ_27transparent_binary_operatorINS6_8equal_toIvEEEENSK_INSJ_8argumentILj0EEEEENSJ_5valueISG_EEEEEEEEENSD_19counting_iterator_tIlEES8_S8_S8_S8_S8_S8_S8_S8_EEEEPS9_S9_NSD_9__find_if7functorIS9_EEEE10hipError_tPvRmT1_T2_T3_mT4_P12ihipStream_tbEUlT_E1_NS1_11comp_targetILNS1_3genE10ELNS1_11target_archE1200ELNS1_3gpuE4ELNS1_3repE0EEENS1_30default_config_static_selectorELNS0_4arch9wavefront6targetE1EEEvS19_,comdat
.Lfunc_end2251:
	.size	_ZN7rocprim17ROCPRIM_400000_NS6detail17trampoline_kernelINS0_14default_configENS1_22reduce_config_selectorIN6thrust23THRUST_200600_302600_NS5tupleIblNS6_9null_typeES8_S8_S8_S8_S8_S8_S8_EEEEZNS1_11reduce_implILb1ES3_NS6_12zip_iteratorINS7_INS6_11hip_rocprim26transform_input_iterator_tIbPN3c104HalfENS6_6detail10functional5actorINSJ_9compositeIJNSJ_27transparent_binary_operatorINS6_8equal_toIvEEEENSK_INSJ_8argumentILj0EEEEENSJ_5valueISG_EEEEEEEEENSD_19counting_iterator_tIlEES8_S8_S8_S8_S8_S8_S8_S8_EEEEPS9_S9_NSD_9__find_if7functorIS9_EEEE10hipError_tPvRmT1_T2_T3_mT4_P12ihipStream_tbEUlT_E1_NS1_11comp_targetILNS1_3genE10ELNS1_11target_archE1200ELNS1_3gpuE4ELNS1_3repE0EEENS1_30default_config_static_selectorELNS0_4arch9wavefront6targetE1EEEvS19_, .Lfunc_end2251-_ZN7rocprim17ROCPRIM_400000_NS6detail17trampoline_kernelINS0_14default_configENS1_22reduce_config_selectorIN6thrust23THRUST_200600_302600_NS5tupleIblNS6_9null_typeES8_S8_S8_S8_S8_S8_S8_EEEEZNS1_11reduce_implILb1ES3_NS6_12zip_iteratorINS7_INS6_11hip_rocprim26transform_input_iterator_tIbPN3c104HalfENS6_6detail10functional5actorINSJ_9compositeIJNSJ_27transparent_binary_operatorINS6_8equal_toIvEEEENSK_INSJ_8argumentILj0EEEEENSJ_5valueISG_EEEEEEEEENSD_19counting_iterator_tIlEES8_S8_S8_S8_S8_S8_S8_S8_EEEEPS9_S9_NSD_9__find_if7functorIS9_EEEE10hipError_tPvRmT1_T2_T3_mT4_P12ihipStream_tbEUlT_E1_NS1_11comp_targetILNS1_3genE10ELNS1_11target_archE1200ELNS1_3gpuE4ELNS1_3repE0EEENS1_30default_config_static_selectorELNS0_4arch9wavefront6targetE1EEEvS19_
                                        ; -- End function
	.section	.AMDGPU.csdata,"",@progbits
; Kernel info:
; codeLenInByte = 0
; NumSgprs: 4
; NumVgprs: 0
; NumAgprs: 0
; TotalNumVgprs: 0
; ScratchSize: 0
; MemoryBound: 0
; FloatMode: 240
; IeeeMode: 1
; LDSByteSize: 0 bytes/workgroup (compile time only)
; SGPRBlocks: 0
; VGPRBlocks: 0
; NumSGPRsForWavesPerEU: 4
; NumVGPRsForWavesPerEU: 1
; AccumOffset: 4
; Occupancy: 8
; WaveLimiterHint : 0
; COMPUTE_PGM_RSRC2:SCRATCH_EN: 0
; COMPUTE_PGM_RSRC2:USER_SGPR: 6
; COMPUTE_PGM_RSRC2:TRAP_HANDLER: 0
; COMPUTE_PGM_RSRC2:TGID_X_EN: 1
; COMPUTE_PGM_RSRC2:TGID_Y_EN: 0
; COMPUTE_PGM_RSRC2:TGID_Z_EN: 0
; COMPUTE_PGM_RSRC2:TIDIG_COMP_CNT: 0
; COMPUTE_PGM_RSRC3_GFX90A:ACCUM_OFFSET: 0
; COMPUTE_PGM_RSRC3_GFX90A:TG_SPLIT: 0
	.section	.text._ZN7rocprim17ROCPRIM_400000_NS6detail17trampoline_kernelINS0_14default_configENS1_22reduce_config_selectorIN6thrust23THRUST_200600_302600_NS5tupleIblNS6_9null_typeES8_S8_S8_S8_S8_S8_S8_EEEEZNS1_11reduce_implILb1ES3_NS6_12zip_iteratorINS7_INS6_11hip_rocprim26transform_input_iterator_tIbPN3c104HalfENS6_6detail10functional5actorINSJ_9compositeIJNSJ_27transparent_binary_operatorINS6_8equal_toIvEEEENSK_INSJ_8argumentILj0EEEEENSJ_5valueISG_EEEEEEEEENSD_19counting_iterator_tIlEES8_S8_S8_S8_S8_S8_S8_S8_EEEEPS9_S9_NSD_9__find_if7functorIS9_EEEE10hipError_tPvRmT1_T2_T3_mT4_P12ihipStream_tbEUlT_E1_NS1_11comp_targetILNS1_3genE9ELNS1_11target_archE1100ELNS1_3gpuE3ELNS1_3repE0EEENS1_30default_config_static_selectorELNS0_4arch9wavefront6targetE1EEEvS19_,"axG",@progbits,_ZN7rocprim17ROCPRIM_400000_NS6detail17trampoline_kernelINS0_14default_configENS1_22reduce_config_selectorIN6thrust23THRUST_200600_302600_NS5tupleIblNS6_9null_typeES8_S8_S8_S8_S8_S8_S8_EEEEZNS1_11reduce_implILb1ES3_NS6_12zip_iteratorINS7_INS6_11hip_rocprim26transform_input_iterator_tIbPN3c104HalfENS6_6detail10functional5actorINSJ_9compositeIJNSJ_27transparent_binary_operatorINS6_8equal_toIvEEEENSK_INSJ_8argumentILj0EEEEENSJ_5valueISG_EEEEEEEEENSD_19counting_iterator_tIlEES8_S8_S8_S8_S8_S8_S8_S8_EEEEPS9_S9_NSD_9__find_if7functorIS9_EEEE10hipError_tPvRmT1_T2_T3_mT4_P12ihipStream_tbEUlT_E1_NS1_11comp_targetILNS1_3genE9ELNS1_11target_archE1100ELNS1_3gpuE3ELNS1_3repE0EEENS1_30default_config_static_selectorELNS0_4arch9wavefront6targetE1EEEvS19_,comdat
	.protected	_ZN7rocprim17ROCPRIM_400000_NS6detail17trampoline_kernelINS0_14default_configENS1_22reduce_config_selectorIN6thrust23THRUST_200600_302600_NS5tupleIblNS6_9null_typeES8_S8_S8_S8_S8_S8_S8_EEEEZNS1_11reduce_implILb1ES3_NS6_12zip_iteratorINS7_INS6_11hip_rocprim26transform_input_iterator_tIbPN3c104HalfENS6_6detail10functional5actorINSJ_9compositeIJNSJ_27transparent_binary_operatorINS6_8equal_toIvEEEENSK_INSJ_8argumentILj0EEEEENSJ_5valueISG_EEEEEEEEENSD_19counting_iterator_tIlEES8_S8_S8_S8_S8_S8_S8_S8_EEEEPS9_S9_NSD_9__find_if7functorIS9_EEEE10hipError_tPvRmT1_T2_T3_mT4_P12ihipStream_tbEUlT_E1_NS1_11comp_targetILNS1_3genE9ELNS1_11target_archE1100ELNS1_3gpuE3ELNS1_3repE0EEENS1_30default_config_static_selectorELNS0_4arch9wavefront6targetE1EEEvS19_ ; -- Begin function _ZN7rocprim17ROCPRIM_400000_NS6detail17trampoline_kernelINS0_14default_configENS1_22reduce_config_selectorIN6thrust23THRUST_200600_302600_NS5tupleIblNS6_9null_typeES8_S8_S8_S8_S8_S8_S8_EEEEZNS1_11reduce_implILb1ES3_NS6_12zip_iteratorINS7_INS6_11hip_rocprim26transform_input_iterator_tIbPN3c104HalfENS6_6detail10functional5actorINSJ_9compositeIJNSJ_27transparent_binary_operatorINS6_8equal_toIvEEEENSK_INSJ_8argumentILj0EEEEENSJ_5valueISG_EEEEEEEEENSD_19counting_iterator_tIlEES8_S8_S8_S8_S8_S8_S8_S8_EEEEPS9_S9_NSD_9__find_if7functorIS9_EEEE10hipError_tPvRmT1_T2_T3_mT4_P12ihipStream_tbEUlT_E1_NS1_11comp_targetILNS1_3genE9ELNS1_11target_archE1100ELNS1_3gpuE3ELNS1_3repE0EEENS1_30default_config_static_selectorELNS0_4arch9wavefront6targetE1EEEvS19_
	.globl	_ZN7rocprim17ROCPRIM_400000_NS6detail17trampoline_kernelINS0_14default_configENS1_22reduce_config_selectorIN6thrust23THRUST_200600_302600_NS5tupleIblNS6_9null_typeES8_S8_S8_S8_S8_S8_S8_EEEEZNS1_11reduce_implILb1ES3_NS6_12zip_iteratorINS7_INS6_11hip_rocprim26transform_input_iterator_tIbPN3c104HalfENS6_6detail10functional5actorINSJ_9compositeIJNSJ_27transparent_binary_operatorINS6_8equal_toIvEEEENSK_INSJ_8argumentILj0EEEEENSJ_5valueISG_EEEEEEEEENSD_19counting_iterator_tIlEES8_S8_S8_S8_S8_S8_S8_S8_EEEEPS9_S9_NSD_9__find_if7functorIS9_EEEE10hipError_tPvRmT1_T2_T3_mT4_P12ihipStream_tbEUlT_E1_NS1_11comp_targetILNS1_3genE9ELNS1_11target_archE1100ELNS1_3gpuE3ELNS1_3repE0EEENS1_30default_config_static_selectorELNS0_4arch9wavefront6targetE1EEEvS19_
	.p2align	8
	.type	_ZN7rocprim17ROCPRIM_400000_NS6detail17trampoline_kernelINS0_14default_configENS1_22reduce_config_selectorIN6thrust23THRUST_200600_302600_NS5tupleIblNS6_9null_typeES8_S8_S8_S8_S8_S8_S8_EEEEZNS1_11reduce_implILb1ES3_NS6_12zip_iteratorINS7_INS6_11hip_rocprim26transform_input_iterator_tIbPN3c104HalfENS6_6detail10functional5actorINSJ_9compositeIJNSJ_27transparent_binary_operatorINS6_8equal_toIvEEEENSK_INSJ_8argumentILj0EEEEENSJ_5valueISG_EEEEEEEEENSD_19counting_iterator_tIlEES8_S8_S8_S8_S8_S8_S8_S8_EEEEPS9_S9_NSD_9__find_if7functorIS9_EEEE10hipError_tPvRmT1_T2_T3_mT4_P12ihipStream_tbEUlT_E1_NS1_11comp_targetILNS1_3genE9ELNS1_11target_archE1100ELNS1_3gpuE3ELNS1_3repE0EEENS1_30default_config_static_selectorELNS0_4arch9wavefront6targetE1EEEvS19_,@function
_ZN7rocprim17ROCPRIM_400000_NS6detail17trampoline_kernelINS0_14default_configENS1_22reduce_config_selectorIN6thrust23THRUST_200600_302600_NS5tupleIblNS6_9null_typeES8_S8_S8_S8_S8_S8_S8_EEEEZNS1_11reduce_implILb1ES3_NS6_12zip_iteratorINS7_INS6_11hip_rocprim26transform_input_iterator_tIbPN3c104HalfENS6_6detail10functional5actorINSJ_9compositeIJNSJ_27transparent_binary_operatorINS6_8equal_toIvEEEENSK_INSJ_8argumentILj0EEEEENSJ_5valueISG_EEEEEEEEENSD_19counting_iterator_tIlEES8_S8_S8_S8_S8_S8_S8_S8_EEEEPS9_S9_NSD_9__find_if7functorIS9_EEEE10hipError_tPvRmT1_T2_T3_mT4_P12ihipStream_tbEUlT_E1_NS1_11comp_targetILNS1_3genE9ELNS1_11target_archE1100ELNS1_3gpuE3ELNS1_3repE0EEENS1_30default_config_static_selectorELNS0_4arch9wavefront6targetE1EEEvS19_: ; @_ZN7rocprim17ROCPRIM_400000_NS6detail17trampoline_kernelINS0_14default_configENS1_22reduce_config_selectorIN6thrust23THRUST_200600_302600_NS5tupleIblNS6_9null_typeES8_S8_S8_S8_S8_S8_S8_EEEEZNS1_11reduce_implILb1ES3_NS6_12zip_iteratorINS7_INS6_11hip_rocprim26transform_input_iterator_tIbPN3c104HalfENS6_6detail10functional5actorINSJ_9compositeIJNSJ_27transparent_binary_operatorINS6_8equal_toIvEEEENSK_INSJ_8argumentILj0EEEEENSJ_5valueISG_EEEEEEEEENSD_19counting_iterator_tIlEES8_S8_S8_S8_S8_S8_S8_S8_EEEEPS9_S9_NSD_9__find_if7functorIS9_EEEE10hipError_tPvRmT1_T2_T3_mT4_P12ihipStream_tbEUlT_E1_NS1_11comp_targetILNS1_3genE9ELNS1_11target_archE1100ELNS1_3gpuE3ELNS1_3repE0EEENS1_30default_config_static_selectorELNS0_4arch9wavefront6targetE1EEEvS19_
; %bb.0:
	.section	.rodata,"a",@progbits
	.p2align	6, 0x0
	.amdhsa_kernel _ZN7rocprim17ROCPRIM_400000_NS6detail17trampoline_kernelINS0_14default_configENS1_22reduce_config_selectorIN6thrust23THRUST_200600_302600_NS5tupleIblNS6_9null_typeES8_S8_S8_S8_S8_S8_S8_EEEEZNS1_11reduce_implILb1ES3_NS6_12zip_iteratorINS7_INS6_11hip_rocprim26transform_input_iterator_tIbPN3c104HalfENS6_6detail10functional5actorINSJ_9compositeIJNSJ_27transparent_binary_operatorINS6_8equal_toIvEEEENSK_INSJ_8argumentILj0EEEEENSJ_5valueISG_EEEEEEEEENSD_19counting_iterator_tIlEES8_S8_S8_S8_S8_S8_S8_S8_EEEEPS9_S9_NSD_9__find_if7functorIS9_EEEE10hipError_tPvRmT1_T2_T3_mT4_P12ihipStream_tbEUlT_E1_NS1_11comp_targetILNS1_3genE9ELNS1_11target_archE1100ELNS1_3gpuE3ELNS1_3repE0EEENS1_30default_config_static_selectorELNS0_4arch9wavefront6targetE1EEEvS19_
		.amdhsa_group_segment_fixed_size 0
		.amdhsa_private_segment_fixed_size 0
		.amdhsa_kernarg_size 72
		.amdhsa_user_sgpr_count 6
		.amdhsa_user_sgpr_private_segment_buffer 1
		.amdhsa_user_sgpr_dispatch_ptr 0
		.amdhsa_user_sgpr_queue_ptr 0
		.amdhsa_user_sgpr_kernarg_segment_ptr 1
		.amdhsa_user_sgpr_dispatch_id 0
		.amdhsa_user_sgpr_flat_scratch_init 0
		.amdhsa_user_sgpr_kernarg_preload_length 0
		.amdhsa_user_sgpr_kernarg_preload_offset 0
		.amdhsa_user_sgpr_private_segment_size 0
		.amdhsa_uses_dynamic_stack 0
		.amdhsa_system_sgpr_private_segment_wavefront_offset 0
		.amdhsa_system_sgpr_workgroup_id_x 1
		.amdhsa_system_sgpr_workgroup_id_y 0
		.amdhsa_system_sgpr_workgroup_id_z 0
		.amdhsa_system_sgpr_workgroup_info 0
		.amdhsa_system_vgpr_workitem_id 0
		.amdhsa_next_free_vgpr 1
		.amdhsa_next_free_sgpr 0
		.amdhsa_accum_offset 4
		.amdhsa_reserve_vcc 0
		.amdhsa_reserve_flat_scratch 0
		.amdhsa_float_round_mode_32 0
		.amdhsa_float_round_mode_16_64 0
		.amdhsa_float_denorm_mode_32 3
		.amdhsa_float_denorm_mode_16_64 3
		.amdhsa_dx10_clamp 1
		.amdhsa_ieee_mode 1
		.amdhsa_fp16_overflow 0
		.amdhsa_tg_split 0
		.amdhsa_exception_fp_ieee_invalid_op 0
		.amdhsa_exception_fp_denorm_src 0
		.amdhsa_exception_fp_ieee_div_zero 0
		.amdhsa_exception_fp_ieee_overflow 0
		.amdhsa_exception_fp_ieee_underflow 0
		.amdhsa_exception_fp_ieee_inexact 0
		.amdhsa_exception_int_div_zero 0
	.end_amdhsa_kernel
	.section	.text._ZN7rocprim17ROCPRIM_400000_NS6detail17trampoline_kernelINS0_14default_configENS1_22reduce_config_selectorIN6thrust23THRUST_200600_302600_NS5tupleIblNS6_9null_typeES8_S8_S8_S8_S8_S8_S8_EEEEZNS1_11reduce_implILb1ES3_NS6_12zip_iteratorINS7_INS6_11hip_rocprim26transform_input_iterator_tIbPN3c104HalfENS6_6detail10functional5actorINSJ_9compositeIJNSJ_27transparent_binary_operatorINS6_8equal_toIvEEEENSK_INSJ_8argumentILj0EEEEENSJ_5valueISG_EEEEEEEEENSD_19counting_iterator_tIlEES8_S8_S8_S8_S8_S8_S8_S8_EEEEPS9_S9_NSD_9__find_if7functorIS9_EEEE10hipError_tPvRmT1_T2_T3_mT4_P12ihipStream_tbEUlT_E1_NS1_11comp_targetILNS1_3genE9ELNS1_11target_archE1100ELNS1_3gpuE3ELNS1_3repE0EEENS1_30default_config_static_selectorELNS0_4arch9wavefront6targetE1EEEvS19_,"axG",@progbits,_ZN7rocprim17ROCPRIM_400000_NS6detail17trampoline_kernelINS0_14default_configENS1_22reduce_config_selectorIN6thrust23THRUST_200600_302600_NS5tupleIblNS6_9null_typeES8_S8_S8_S8_S8_S8_S8_EEEEZNS1_11reduce_implILb1ES3_NS6_12zip_iteratorINS7_INS6_11hip_rocprim26transform_input_iterator_tIbPN3c104HalfENS6_6detail10functional5actorINSJ_9compositeIJNSJ_27transparent_binary_operatorINS6_8equal_toIvEEEENSK_INSJ_8argumentILj0EEEEENSJ_5valueISG_EEEEEEEEENSD_19counting_iterator_tIlEES8_S8_S8_S8_S8_S8_S8_S8_EEEEPS9_S9_NSD_9__find_if7functorIS9_EEEE10hipError_tPvRmT1_T2_T3_mT4_P12ihipStream_tbEUlT_E1_NS1_11comp_targetILNS1_3genE9ELNS1_11target_archE1100ELNS1_3gpuE3ELNS1_3repE0EEENS1_30default_config_static_selectorELNS0_4arch9wavefront6targetE1EEEvS19_,comdat
.Lfunc_end2252:
	.size	_ZN7rocprim17ROCPRIM_400000_NS6detail17trampoline_kernelINS0_14default_configENS1_22reduce_config_selectorIN6thrust23THRUST_200600_302600_NS5tupleIblNS6_9null_typeES8_S8_S8_S8_S8_S8_S8_EEEEZNS1_11reduce_implILb1ES3_NS6_12zip_iteratorINS7_INS6_11hip_rocprim26transform_input_iterator_tIbPN3c104HalfENS6_6detail10functional5actorINSJ_9compositeIJNSJ_27transparent_binary_operatorINS6_8equal_toIvEEEENSK_INSJ_8argumentILj0EEEEENSJ_5valueISG_EEEEEEEEENSD_19counting_iterator_tIlEES8_S8_S8_S8_S8_S8_S8_S8_EEEEPS9_S9_NSD_9__find_if7functorIS9_EEEE10hipError_tPvRmT1_T2_T3_mT4_P12ihipStream_tbEUlT_E1_NS1_11comp_targetILNS1_3genE9ELNS1_11target_archE1100ELNS1_3gpuE3ELNS1_3repE0EEENS1_30default_config_static_selectorELNS0_4arch9wavefront6targetE1EEEvS19_, .Lfunc_end2252-_ZN7rocprim17ROCPRIM_400000_NS6detail17trampoline_kernelINS0_14default_configENS1_22reduce_config_selectorIN6thrust23THRUST_200600_302600_NS5tupleIblNS6_9null_typeES8_S8_S8_S8_S8_S8_S8_EEEEZNS1_11reduce_implILb1ES3_NS6_12zip_iteratorINS7_INS6_11hip_rocprim26transform_input_iterator_tIbPN3c104HalfENS6_6detail10functional5actorINSJ_9compositeIJNSJ_27transparent_binary_operatorINS6_8equal_toIvEEEENSK_INSJ_8argumentILj0EEEEENSJ_5valueISG_EEEEEEEEENSD_19counting_iterator_tIlEES8_S8_S8_S8_S8_S8_S8_S8_EEEEPS9_S9_NSD_9__find_if7functorIS9_EEEE10hipError_tPvRmT1_T2_T3_mT4_P12ihipStream_tbEUlT_E1_NS1_11comp_targetILNS1_3genE9ELNS1_11target_archE1100ELNS1_3gpuE3ELNS1_3repE0EEENS1_30default_config_static_selectorELNS0_4arch9wavefront6targetE1EEEvS19_
                                        ; -- End function
	.section	.AMDGPU.csdata,"",@progbits
; Kernel info:
; codeLenInByte = 0
; NumSgprs: 4
; NumVgprs: 0
; NumAgprs: 0
; TotalNumVgprs: 0
; ScratchSize: 0
; MemoryBound: 0
; FloatMode: 240
; IeeeMode: 1
; LDSByteSize: 0 bytes/workgroup (compile time only)
; SGPRBlocks: 0
; VGPRBlocks: 0
; NumSGPRsForWavesPerEU: 4
; NumVGPRsForWavesPerEU: 1
; AccumOffset: 4
; Occupancy: 8
; WaveLimiterHint : 0
; COMPUTE_PGM_RSRC2:SCRATCH_EN: 0
; COMPUTE_PGM_RSRC2:USER_SGPR: 6
; COMPUTE_PGM_RSRC2:TRAP_HANDLER: 0
; COMPUTE_PGM_RSRC2:TGID_X_EN: 1
; COMPUTE_PGM_RSRC2:TGID_Y_EN: 0
; COMPUTE_PGM_RSRC2:TGID_Z_EN: 0
; COMPUTE_PGM_RSRC2:TIDIG_COMP_CNT: 0
; COMPUTE_PGM_RSRC3_GFX90A:ACCUM_OFFSET: 0
; COMPUTE_PGM_RSRC3_GFX90A:TG_SPLIT: 0
	.section	.text._ZN7rocprim17ROCPRIM_400000_NS6detail17trampoline_kernelINS0_14default_configENS1_22reduce_config_selectorIN6thrust23THRUST_200600_302600_NS5tupleIblNS6_9null_typeES8_S8_S8_S8_S8_S8_S8_EEEEZNS1_11reduce_implILb1ES3_NS6_12zip_iteratorINS7_INS6_11hip_rocprim26transform_input_iterator_tIbPN3c104HalfENS6_6detail10functional5actorINSJ_9compositeIJNSJ_27transparent_binary_operatorINS6_8equal_toIvEEEENSK_INSJ_8argumentILj0EEEEENSJ_5valueISG_EEEEEEEEENSD_19counting_iterator_tIlEES8_S8_S8_S8_S8_S8_S8_S8_EEEEPS9_S9_NSD_9__find_if7functorIS9_EEEE10hipError_tPvRmT1_T2_T3_mT4_P12ihipStream_tbEUlT_E1_NS1_11comp_targetILNS1_3genE8ELNS1_11target_archE1030ELNS1_3gpuE2ELNS1_3repE0EEENS1_30default_config_static_selectorELNS0_4arch9wavefront6targetE1EEEvS19_,"axG",@progbits,_ZN7rocprim17ROCPRIM_400000_NS6detail17trampoline_kernelINS0_14default_configENS1_22reduce_config_selectorIN6thrust23THRUST_200600_302600_NS5tupleIblNS6_9null_typeES8_S8_S8_S8_S8_S8_S8_EEEEZNS1_11reduce_implILb1ES3_NS6_12zip_iteratorINS7_INS6_11hip_rocprim26transform_input_iterator_tIbPN3c104HalfENS6_6detail10functional5actorINSJ_9compositeIJNSJ_27transparent_binary_operatorINS6_8equal_toIvEEEENSK_INSJ_8argumentILj0EEEEENSJ_5valueISG_EEEEEEEEENSD_19counting_iterator_tIlEES8_S8_S8_S8_S8_S8_S8_S8_EEEEPS9_S9_NSD_9__find_if7functorIS9_EEEE10hipError_tPvRmT1_T2_T3_mT4_P12ihipStream_tbEUlT_E1_NS1_11comp_targetILNS1_3genE8ELNS1_11target_archE1030ELNS1_3gpuE2ELNS1_3repE0EEENS1_30default_config_static_selectorELNS0_4arch9wavefront6targetE1EEEvS19_,comdat
	.protected	_ZN7rocprim17ROCPRIM_400000_NS6detail17trampoline_kernelINS0_14default_configENS1_22reduce_config_selectorIN6thrust23THRUST_200600_302600_NS5tupleIblNS6_9null_typeES8_S8_S8_S8_S8_S8_S8_EEEEZNS1_11reduce_implILb1ES3_NS6_12zip_iteratorINS7_INS6_11hip_rocprim26transform_input_iterator_tIbPN3c104HalfENS6_6detail10functional5actorINSJ_9compositeIJNSJ_27transparent_binary_operatorINS6_8equal_toIvEEEENSK_INSJ_8argumentILj0EEEEENSJ_5valueISG_EEEEEEEEENSD_19counting_iterator_tIlEES8_S8_S8_S8_S8_S8_S8_S8_EEEEPS9_S9_NSD_9__find_if7functorIS9_EEEE10hipError_tPvRmT1_T2_T3_mT4_P12ihipStream_tbEUlT_E1_NS1_11comp_targetILNS1_3genE8ELNS1_11target_archE1030ELNS1_3gpuE2ELNS1_3repE0EEENS1_30default_config_static_selectorELNS0_4arch9wavefront6targetE1EEEvS19_ ; -- Begin function _ZN7rocprim17ROCPRIM_400000_NS6detail17trampoline_kernelINS0_14default_configENS1_22reduce_config_selectorIN6thrust23THRUST_200600_302600_NS5tupleIblNS6_9null_typeES8_S8_S8_S8_S8_S8_S8_EEEEZNS1_11reduce_implILb1ES3_NS6_12zip_iteratorINS7_INS6_11hip_rocprim26transform_input_iterator_tIbPN3c104HalfENS6_6detail10functional5actorINSJ_9compositeIJNSJ_27transparent_binary_operatorINS6_8equal_toIvEEEENSK_INSJ_8argumentILj0EEEEENSJ_5valueISG_EEEEEEEEENSD_19counting_iterator_tIlEES8_S8_S8_S8_S8_S8_S8_S8_EEEEPS9_S9_NSD_9__find_if7functorIS9_EEEE10hipError_tPvRmT1_T2_T3_mT4_P12ihipStream_tbEUlT_E1_NS1_11comp_targetILNS1_3genE8ELNS1_11target_archE1030ELNS1_3gpuE2ELNS1_3repE0EEENS1_30default_config_static_selectorELNS0_4arch9wavefront6targetE1EEEvS19_
	.globl	_ZN7rocprim17ROCPRIM_400000_NS6detail17trampoline_kernelINS0_14default_configENS1_22reduce_config_selectorIN6thrust23THRUST_200600_302600_NS5tupleIblNS6_9null_typeES8_S8_S8_S8_S8_S8_S8_EEEEZNS1_11reduce_implILb1ES3_NS6_12zip_iteratorINS7_INS6_11hip_rocprim26transform_input_iterator_tIbPN3c104HalfENS6_6detail10functional5actorINSJ_9compositeIJNSJ_27transparent_binary_operatorINS6_8equal_toIvEEEENSK_INSJ_8argumentILj0EEEEENSJ_5valueISG_EEEEEEEEENSD_19counting_iterator_tIlEES8_S8_S8_S8_S8_S8_S8_S8_EEEEPS9_S9_NSD_9__find_if7functorIS9_EEEE10hipError_tPvRmT1_T2_T3_mT4_P12ihipStream_tbEUlT_E1_NS1_11comp_targetILNS1_3genE8ELNS1_11target_archE1030ELNS1_3gpuE2ELNS1_3repE0EEENS1_30default_config_static_selectorELNS0_4arch9wavefront6targetE1EEEvS19_
	.p2align	8
	.type	_ZN7rocprim17ROCPRIM_400000_NS6detail17trampoline_kernelINS0_14default_configENS1_22reduce_config_selectorIN6thrust23THRUST_200600_302600_NS5tupleIblNS6_9null_typeES8_S8_S8_S8_S8_S8_S8_EEEEZNS1_11reduce_implILb1ES3_NS6_12zip_iteratorINS7_INS6_11hip_rocprim26transform_input_iterator_tIbPN3c104HalfENS6_6detail10functional5actorINSJ_9compositeIJNSJ_27transparent_binary_operatorINS6_8equal_toIvEEEENSK_INSJ_8argumentILj0EEEEENSJ_5valueISG_EEEEEEEEENSD_19counting_iterator_tIlEES8_S8_S8_S8_S8_S8_S8_S8_EEEEPS9_S9_NSD_9__find_if7functorIS9_EEEE10hipError_tPvRmT1_T2_T3_mT4_P12ihipStream_tbEUlT_E1_NS1_11comp_targetILNS1_3genE8ELNS1_11target_archE1030ELNS1_3gpuE2ELNS1_3repE0EEENS1_30default_config_static_selectorELNS0_4arch9wavefront6targetE1EEEvS19_,@function
_ZN7rocprim17ROCPRIM_400000_NS6detail17trampoline_kernelINS0_14default_configENS1_22reduce_config_selectorIN6thrust23THRUST_200600_302600_NS5tupleIblNS6_9null_typeES8_S8_S8_S8_S8_S8_S8_EEEEZNS1_11reduce_implILb1ES3_NS6_12zip_iteratorINS7_INS6_11hip_rocprim26transform_input_iterator_tIbPN3c104HalfENS6_6detail10functional5actorINSJ_9compositeIJNSJ_27transparent_binary_operatorINS6_8equal_toIvEEEENSK_INSJ_8argumentILj0EEEEENSJ_5valueISG_EEEEEEEEENSD_19counting_iterator_tIlEES8_S8_S8_S8_S8_S8_S8_S8_EEEEPS9_S9_NSD_9__find_if7functorIS9_EEEE10hipError_tPvRmT1_T2_T3_mT4_P12ihipStream_tbEUlT_E1_NS1_11comp_targetILNS1_3genE8ELNS1_11target_archE1030ELNS1_3gpuE2ELNS1_3repE0EEENS1_30default_config_static_selectorELNS0_4arch9wavefront6targetE1EEEvS19_: ; @_ZN7rocprim17ROCPRIM_400000_NS6detail17trampoline_kernelINS0_14default_configENS1_22reduce_config_selectorIN6thrust23THRUST_200600_302600_NS5tupleIblNS6_9null_typeES8_S8_S8_S8_S8_S8_S8_EEEEZNS1_11reduce_implILb1ES3_NS6_12zip_iteratorINS7_INS6_11hip_rocprim26transform_input_iterator_tIbPN3c104HalfENS6_6detail10functional5actorINSJ_9compositeIJNSJ_27transparent_binary_operatorINS6_8equal_toIvEEEENSK_INSJ_8argumentILj0EEEEENSJ_5valueISG_EEEEEEEEENSD_19counting_iterator_tIlEES8_S8_S8_S8_S8_S8_S8_S8_EEEEPS9_S9_NSD_9__find_if7functorIS9_EEEE10hipError_tPvRmT1_T2_T3_mT4_P12ihipStream_tbEUlT_E1_NS1_11comp_targetILNS1_3genE8ELNS1_11target_archE1030ELNS1_3gpuE2ELNS1_3repE0EEENS1_30default_config_static_selectorELNS0_4arch9wavefront6targetE1EEEvS19_
; %bb.0:
	.section	.rodata,"a",@progbits
	.p2align	6, 0x0
	.amdhsa_kernel _ZN7rocprim17ROCPRIM_400000_NS6detail17trampoline_kernelINS0_14default_configENS1_22reduce_config_selectorIN6thrust23THRUST_200600_302600_NS5tupleIblNS6_9null_typeES8_S8_S8_S8_S8_S8_S8_EEEEZNS1_11reduce_implILb1ES3_NS6_12zip_iteratorINS7_INS6_11hip_rocprim26transform_input_iterator_tIbPN3c104HalfENS6_6detail10functional5actorINSJ_9compositeIJNSJ_27transparent_binary_operatorINS6_8equal_toIvEEEENSK_INSJ_8argumentILj0EEEEENSJ_5valueISG_EEEEEEEEENSD_19counting_iterator_tIlEES8_S8_S8_S8_S8_S8_S8_S8_EEEEPS9_S9_NSD_9__find_if7functorIS9_EEEE10hipError_tPvRmT1_T2_T3_mT4_P12ihipStream_tbEUlT_E1_NS1_11comp_targetILNS1_3genE8ELNS1_11target_archE1030ELNS1_3gpuE2ELNS1_3repE0EEENS1_30default_config_static_selectorELNS0_4arch9wavefront6targetE1EEEvS19_
		.amdhsa_group_segment_fixed_size 0
		.amdhsa_private_segment_fixed_size 0
		.amdhsa_kernarg_size 72
		.amdhsa_user_sgpr_count 6
		.amdhsa_user_sgpr_private_segment_buffer 1
		.amdhsa_user_sgpr_dispatch_ptr 0
		.amdhsa_user_sgpr_queue_ptr 0
		.amdhsa_user_sgpr_kernarg_segment_ptr 1
		.amdhsa_user_sgpr_dispatch_id 0
		.amdhsa_user_sgpr_flat_scratch_init 0
		.amdhsa_user_sgpr_kernarg_preload_length 0
		.amdhsa_user_sgpr_kernarg_preload_offset 0
		.amdhsa_user_sgpr_private_segment_size 0
		.amdhsa_uses_dynamic_stack 0
		.amdhsa_system_sgpr_private_segment_wavefront_offset 0
		.amdhsa_system_sgpr_workgroup_id_x 1
		.amdhsa_system_sgpr_workgroup_id_y 0
		.amdhsa_system_sgpr_workgroup_id_z 0
		.amdhsa_system_sgpr_workgroup_info 0
		.amdhsa_system_vgpr_workitem_id 0
		.amdhsa_next_free_vgpr 1
		.amdhsa_next_free_sgpr 0
		.amdhsa_accum_offset 4
		.amdhsa_reserve_vcc 0
		.amdhsa_reserve_flat_scratch 0
		.amdhsa_float_round_mode_32 0
		.amdhsa_float_round_mode_16_64 0
		.amdhsa_float_denorm_mode_32 3
		.amdhsa_float_denorm_mode_16_64 3
		.amdhsa_dx10_clamp 1
		.amdhsa_ieee_mode 1
		.amdhsa_fp16_overflow 0
		.amdhsa_tg_split 0
		.amdhsa_exception_fp_ieee_invalid_op 0
		.amdhsa_exception_fp_denorm_src 0
		.amdhsa_exception_fp_ieee_div_zero 0
		.amdhsa_exception_fp_ieee_overflow 0
		.amdhsa_exception_fp_ieee_underflow 0
		.amdhsa_exception_fp_ieee_inexact 0
		.amdhsa_exception_int_div_zero 0
	.end_amdhsa_kernel
	.section	.text._ZN7rocprim17ROCPRIM_400000_NS6detail17trampoline_kernelINS0_14default_configENS1_22reduce_config_selectorIN6thrust23THRUST_200600_302600_NS5tupleIblNS6_9null_typeES8_S8_S8_S8_S8_S8_S8_EEEEZNS1_11reduce_implILb1ES3_NS6_12zip_iteratorINS7_INS6_11hip_rocprim26transform_input_iterator_tIbPN3c104HalfENS6_6detail10functional5actorINSJ_9compositeIJNSJ_27transparent_binary_operatorINS6_8equal_toIvEEEENSK_INSJ_8argumentILj0EEEEENSJ_5valueISG_EEEEEEEEENSD_19counting_iterator_tIlEES8_S8_S8_S8_S8_S8_S8_S8_EEEEPS9_S9_NSD_9__find_if7functorIS9_EEEE10hipError_tPvRmT1_T2_T3_mT4_P12ihipStream_tbEUlT_E1_NS1_11comp_targetILNS1_3genE8ELNS1_11target_archE1030ELNS1_3gpuE2ELNS1_3repE0EEENS1_30default_config_static_selectorELNS0_4arch9wavefront6targetE1EEEvS19_,"axG",@progbits,_ZN7rocprim17ROCPRIM_400000_NS6detail17trampoline_kernelINS0_14default_configENS1_22reduce_config_selectorIN6thrust23THRUST_200600_302600_NS5tupleIblNS6_9null_typeES8_S8_S8_S8_S8_S8_S8_EEEEZNS1_11reduce_implILb1ES3_NS6_12zip_iteratorINS7_INS6_11hip_rocprim26transform_input_iterator_tIbPN3c104HalfENS6_6detail10functional5actorINSJ_9compositeIJNSJ_27transparent_binary_operatorINS6_8equal_toIvEEEENSK_INSJ_8argumentILj0EEEEENSJ_5valueISG_EEEEEEEEENSD_19counting_iterator_tIlEES8_S8_S8_S8_S8_S8_S8_S8_EEEEPS9_S9_NSD_9__find_if7functorIS9_EEEE10hipError_tPvRmT1_T2_T3_mT4_P12ihipStream_tbEUlT_E1_NS1_11comp_targetILNS1_3genE8ELNS1_11target_archE1030ELNS1_3gpuE2ELNS1_3repE0EEENS1_30default_config_static_selectorELNS0_4arch9wavefront6targetE1EEEvS19_,comdat
.Lfunc_end2253:
	.size	_ZN7rocprim17ROCPRIM_400000_NS6detail17trampoline_kernelINS0_14default_configENS1_22reduce_config_selectorIN6thrust23THRUST_200600_302600_NS5tupleIblNS6_9null_typeES8_S8_S8_S8_S8_S8_S8_EEEEZNS1_11reduce_implILb1ES3_NS6_12zip_iteratorINS7_INS6_11hip_rocprim26transform_input_iterator_tIbPN3c104HalfENS6_6detail10functional5actorINSJ_9compositeIJNSJ_27transparent_binary_operatorINS6_8equal_toIvEEEENSK_INSJ_8argumentILj0EEEEENSJ_5valueISG_EEEEEEEEENSD_19counting_iterator_tIlEES8_S8_S8_S8_S8_S8_S8_S8_EEEEPS9_S9_NSD_9__find_if7functorIS9_EEEE10hipError_tPvRmT1_T2_T3_mT4_P12ihipStream_tbEUlT_E1_NS1_11comp_targetILNS1_3genE8ELNS1_11target_archE1030ELNS1_3gpuE2ELNS1_3repE0EEENS1_30default_config_static_selectorELNS0_4arch9wavefront6targetE1EEEvS19_, .Lfunc_end2253-_ZN7rocprim17ROCPRIM_400000_NS6detail17trampoline_kernelINS0_14default_configENS1_22reduce_config_selectorIN6thrust23THRUST_200600_302600_NS5tupleIblNS6_9null_typeES8_S8_S8_S8_S8_S8_S8_EEEEZNS1_11reduce_implILb1ES3_NS6_12zip_iteratorINS7_INS6_11hip_rocprim26transform_input_iterator_tIbPN3c104HalfENS6_6detail10functional5actorINSJ_9compositeIJNSJ_27transparent_binary_operatorINS6_8equal_toIvEEEENSK_INSJ_8argumentILj0EEEEENSJ_5valueISG_EEEEEEEEENSD_19counting_iterator_tIlEES8_S8_S8_S8_S8_S8_S8_S8_EEEEPS9_S9_NSD_9__find_if7functorIS9_EEEE10hipError_tPvRmT1_T2_T3_mT4_P12ihipStream_tbEUlT_E1_NS1_11comp_targetILNS1_3genE8ELNS1_11target_archE1030ELNS1_3gpuE2ELNS1_3repE0EEENS1_30default_config_static_selectorELNS0_4arch9wavefront6targetE1EEEvS19_
                                        ; -- End function
	.section	.AMDGPU.csdata,"",@progbits
; Kernel info:
; codeLenInByte = 0
; NumSgprs: 4
; NumVgprs: 0
; NumAgprs: 0
; TotalNumVgprs: 0
; ScratchSize: 0
; MemoryBound: 0
; FloatMode: 240
; IeeeMode: 1
; LDSByteSize: 0 bytes/workgroup (compile time only)
; SGPRBlocks: 0
; VGPRBlocks: 0
; NumSGPRsForWavesPerEU: 4
; NumVGPRsForWavesPerEU: 1
; AccumOffset: 4
; Occupancy: 8
; WaveLimiterHint : 0
; COMPUTE_PGM_RSRC2:SCRATCH_EN: 0
; COMPUTE_PGM_RSRC2:USER_SGPR: 6
; COMPUTE_PGM_RSRC2:TRAP_HANDLER: 0
; COMPUTE_PGM_RSRC2:TGID_X_EN: 1
; COMPUTE_PGM_RSRC2:TGID_Y_EN: 0
; COMPUTE_PGM_RSRC2:TGID_Z_EN: 0
; COMPUTE_PGM_RSRC2:TIDIG_COMP_CNT: 0
; COMPUTE_PGM_RSRC3_GFX90A:ACCUM_OFFSET: 0
; COMPUTE_PGM_RSRC3_GFX90A:TG_SPLIT: 0
	.text
	.p2alignl 6, 3212836864
	.fill 256, 4, 3212836864
	.protected	_ZN7rocprim17ROCPRIM_400000_NS16block_radix_sortIhLj256ELj4ElLj1ELj1ELj0ELNS0_26block_radix_rank_algorithmE1ELNS0_18block_padding_hintE2ELNS0_4arch9wavefront6targetE1EE19radix_bits_per_passE ; @_ZN7rocprim17ROCPRIM_400000_NS16block_radix_sortIhLj256ELj4ElLj1ELj1ELj0ELNS0_26block_radix_rank_algorithmE1ELNS0_18block_padding_hintE2ELNS0_4arch9wavefront6targetE1EE19radix_bits_per_passE
	.type	_ZN7rocprim17ROCPRIM_400000_NS16block_radix_sortIhLj256ELj4ElLj1ELj1ELj0ELNS0_26block_radix_rank_algorithmE1ELNS0_18block_padding_hintE2ELNS0_4arch9wavefront6targetE1EE19radix_bits_per_passE,@object
	.section	.rodata._ZN7rocprim17ROCPRIM_400000_NS16block_radix_sortIhLj256ELj4ElLj1ELj1ELj0ELNS0_26block_radix_rank_algorithmE1ELNS0_18block_padding_hintE2ELNS0_4arch9wavefront6targetE1EE19radix_bits_per_passE,"aG",@progbits,_ZN7rocprim17ROCPRIM_400000_NS16block_radix_sortIhLj256ELj4ElLj1ELj1ELj0ELNS0_26block_radix_rank_algorithmE1ELNS0_18block_padding_hintE2ELNS0_4arch9wavefront6targetE1EE19radix_bits_per_passE,comdat
	.weak	_ZN7rocprim17ROCPRIM_400000_NS16block_radix_sortIhLj256ELj4ElLj1ELj1ELj0ELNS0_26block_radix_rank_algorithmE1ELNS0_18block_padding_hintE2ELNS0_4arch9wavefront6targetE1EE19radix_bits_per_passE
	.p2align	2, 0x0
_ZN7rocprim17ROCPRIM_400000_NS16block_radix_sortIhLj256ELj4ElLj1ELj1ELj0ELNS0_26block_radix_rank_algorithmE1ELNS0_18block_padding_hintE2ELNS0_4arch9wavefront6targetE1EE19radix_bits_per_passE:
	.long	8                               ; 0x8
	.size	_ZN7rocprim17ROCPRIM_400000_NS16block_radix_sortIhLj256ELj4ElLj1ELj1ELj0ELNS0_26block_radix_rank_algorithmE1ELNS0_18block_padding_hintE2ELNS0_4arch9wavefront6targetE1EE19radix_bits_per_passE, 4

	.protected	_ZN7rocprim17ROCPRIM_400000_NS16block_radix_sortIaLj256ELj4ElLj1ELj1ELj0ELNS0_26block_radix_rank_algorithmE1ELNS0_18block_padding_hintE2ELNS0_4arch9wavefront6targetE1EE19radix_bits_per_passE ; @_ZN7rocprim17ROCPRIM_400000_NS16block_radix_sortIaLj256ELj4ElLj1ELj1ELj0ELNS0_26block_radix_rank_algorithmE1ELNS0_18block_padding_hintE2ELNS0_4arch9wavefront6targetE1EE19radix_bits_per_passE
	.type	_ZN7rocprim17ROCPRIM_400000_NS16block_radix_sortIaLj256ELj4ElLj1ELj1ELj0ELNS0_26block_radix_rank_algorithmE1ELNS0_18block_padding_hintE2ELNS0_4arch9wavefront6targetE1EE19radix_bits_per_passE,@object
	.section	.rodata._ZN7rocprim17ROCPRIM_400000_NS16block_radix_sortIaLj256ELj4ElLj1ELj1ELj0ELNS0_26block_radix_rank_algorithmE1ELNS0_18block_padding_hintE2ELNS0_4arch9wavefront6targetE1EE19radix_bits_per_passE,"aG",@progbits,_ZN7rocprim17ROCPRIM_400000_NS16block_radix_sortIaLj256ELj4ElLj1ELj1ELj0ELNS0_26block_radix_rank_algorithmE1ELNS0_18block_padding_hintE2ELNS0_4arch9wavefront6targetE1EE19radix_bits_per_passE,comdat
	.weak	_ZN7rocprim17ROCPRIM_400000_NS16block_radix_sortIaLj256ELj4ElLj1ELj1ELj0ELNS0_26block_radix_rank_algorithmE1ELNS0_18block_padding_hintE2ELNS0_4arch9wavefront6targetE1EE19radix_bits_per_passE
	.p2align	2, 0x0
_ZN7rocprim17ROCPRIM_400000_NS16block_radix_sortIaLj256ELj4ElLj1ELj1ELj0ELNS0_26block_radix_rank_algorithmE1ELNS0_18block_padding_hintE2ELNS0_4arch9wavefront6targetE1EE19radix_bits_per_passE:
	.long	8                               ; 0x8
	.size	_ZN7rocprim17ROCPRIM_400000_NS16block_radix_sortIaLj256ELj4ElLj1ELj1ELj0ELNS0_26block_radix_rank_algorithmE1ELNS0_18block_padding_hintE2ELNS0_4arch9wavefront6targetE1EE19radix_bits_per_passE, 4

	.protected	_ZN7rocprim17ROCPRIM_400000_NS16block_radix_sortIiLj256ELj4ElLj1ELj1ELj0ELNS0_26block_radix_rank_algorithmE1ELNS0_18block_padding_hintE2ELNS0_4arch9wavefront6targetE1EE19radix_bits_per_passE ; @_ZN7rocprim17ROCPRIM_400000_NS16block_radix_sortIiLj256ELj4ElLj1ELj1ELj0ELNS0_26block_radix_rank_algorithmE1ELNS0_18block_padding_hintE2ELNS0_4arch9wavefront6targetE1EE19radix_bits_per_passE
	.type	_ZN7rocprim17ROCPRIM_400000_NS16block_radix_sortIiLj256ELj4ElLj1ELj1ELj0ELNS0_26block_radix_rank_algorithmE1ELNS0_18block_padding_hintE2ELNS0_4arch9wavefront6targetE1EE19radix_bits_per_passE,@object
	.section	.rodata._ZN7rocprim17ROCPRIM_400000_NS16block_radix_sortIiLj256ELj4ElLj1ELj1ELj0ELNS0_26block_radix_rank_algorithmE1ELNS0_18block_padding_hintE2ELNS0_4arch9wavefront6targetE1EE19radix_bits_per_passE,"aG",@progbits,_ZN7rocprim17ROCPRIM_400000_NS16block_radix_sortIiLj256ELj4ElLj1ELj1ELj0ELNS0_26block_radix_rank_algorithmE1ELNS0_18block_padding_hintE2ELNS0_4arch9wavefront6targetE1EE19radix_bits_per_passE,comdat
	.weak	_ZN7rocprim17ROCPRIM_400000_NS16block_radix_sortIiLj256ELj4ElLj1ELj1ELj0ELNS0_26block_radix_rank_algorithmE1ELNS0_18block_padding_hintE2ELNS0_4arch9wavefront6targetE1EE19radix_bits_per_passE
	.p2align	2, 0x0
_ZN7rocprim17ROCPRIM_400000_NS16block_radix_sortIiLj256ELj4ElLj1ELj1ELj0ELNS0_26block_radix_rank_algorithmE1ELNS0_18block_padding_hintE2ELNS0_4arch9wavefront6targetE1EE19radix_bits_per_passE:
	.long	8                               ; 0x8
	.size	_ZN7rocprim17ROCPRIM_400000_NS16block_radix_sortIiLj256ELj4ElLj1ELj1ELj0ELNS0_26block_radix_rank_algorithmE1ELNS0_18block_padding_hintE2ELNS0_4arch9wavefront6targetE1EE19radix_bits_per_passE, 4

	.protected	_ZN7rocprim17ROCPRIM_400000_NS16block_radix_sortIlLj256ELj4ElLj1ELj1ELj0ELNS0_26block_radix_rank_algorithmE1ELNS0_18block_padding_hintE2ELNS0_4arch9wavefront6targetE1EE19radix_bits_per_passE ; @_ZN7rocprim17ROCPRIM_400000_NS16block_radix_sortIlLj256ELj4ElLj1ELj1ELj0ELNS0_26block_radix_rank_algorithmE1ELNS0_18block_padding_hintE2ELNS0_4arch9wavefront6targetE1EE19radix_bits_per_passE
	.type	_ZN7rocprim17ROCPRIM_400000_NS16block_radix_sortIlLj256ELj4ElLj1ELj1ELj0ELNS0_26block_radix_rank_algorithmE1ELNS0_18block_padding_hintE2ELNS0_4arch9wavefront6targetE1EE19radix_bits_per_passE,@object
	.section	.rodata._ZN7rocprim17ROCPRIM_400000_NS16block_radix_sortIlLj256ELj4ElLj1ELj1ELj0ELNS0_26block_radix_rank_algorithmE1ELNS0_18block_padding_hintE2ELNS0_4arch9wavefront6targetE1EE19radix_bits_per_passE,"aG",@progbits,_ZN7rocprim17ROCPRIM_400000_NS16block_radix_sortIlLj256ELj4ElLj1ELj1ELj0ELNS0_26block_radix_rank_algorithmE1ELNS0_18block_padding_hintE2ELNS0_4arch9wavefront6targetE1EE19radix_bits_per_passE,comdat
	.weak	_ZN7rocprim17ROCPRIM_400000_NS16block_radix_sortIlLj256ELj4ElLj1ELj1ELj0ELNS0_26block_radix_rank_algorithmE1ELNS0_18block_padding_hintE2ELNS0_4arch9wavefront6targetE1EE19radix_bits_per_passE
	.p2align	2, 0x0
_ZN7rocprim17ROCPRIM_400000_NS16block_radix_sortIlLj256ELj4ElLj1ELj1ELj0ELNS0_26block_radix_rank_algorithmE1ELNS0_18block_padding_hintE2ELNS0_4arch9wavefront6targetE1EE19radix_bits_per_passE:
	.long	8                               ; 0x8
	.size	_ZN7rocprim17ROCPRIM_400000_NS16block_radix_sortIlLj256ELj4ElLj1ELj1ELj0ELNS0_26block_radix_rank_algorithmE1ELNS0_18block_padding_hintE2ELNS0_4arch9wavefront6targetE1EE19radix_bits_per_passE, 4

	.protected	_ZN7rocprim17ROCPRIM_400000_NS16block_radix_sortIsLj256ELj4ElLj1ELj1ELj0ELNS0_26block_radix_rank_algorithmE1ELNS0_18block_padding_hintE2ELNS0_4arch9wavefront6targetE1EE19radix_bits_per_passE ; @_ZN7rocprim17ROCPRIM_400000_NS16block_radix_sortIsLj256ELj4ElLj1ELj1ELj0ELNS0_26block_radix_rank_algorithmE1ELNS0_18block_padding_hintE2ELNS0_4arch9wavefront6targetE1EE19radix_bits_per_passE
	.type	_ZN7rocprim17ROCPRIM_400000_NS16block_radix_sortIsLj256ELj4ElLj1ELj1ELj0ELNS0_26block_radix_rank_algorithmE1ELNS0_18block_padding_hintE2ELNS0_4arch9wavefront6targetE1EE19radix_bits_per_passE,@object
	.section	.rodata._ZN7rocprim17ROCPRIM_400000_NS16block_radix_sortIsLj256ELj4ElLj1ELj1ELj0ELNS0_26block_radix_rank_algorithmE1ELNS0_18block_padding_hintE2ELNS0_4arch9wavefront6targetE1EE19radix_bits_per_passE,"aG",@progbits,_ZN7rocprim17ROCPRIM_400000_NS16block_radix_sortIsLj256ELj4ElLj1ELj1ELj0ELNS0_26block_radix_rank_algorithmE1ELNS0_18block_padding_hintE2ELNS0_4arch9wavefront6targetE1EE19radix_bits_per_passE,comdat
	.weak	_ZN7rocprim17ROCPRIM_400000_NS16block_radix_sortIsLj256ELj4ElLj1ELj1ELj0ELNS0_26block_radix_rank_algorithmE1ELNS0_18block_padding_hintE2ELNS0_4arch9wavefront6targetE1EE19radix_bits_per_passE
	.p2align	2, 0x0
_ZN7rocprim17ROCPRIM_400000_NS16block_radix_sortIsLj256ELj4ElLj1ELj1ELj0ELNS0_26block_radix_rank_algorithmE1ELNS0_18block_padding_hintE2ELNS0_4arch9wavefront6targetE1EE19radix_bits_per_passE:
	.long	8                               ; 0x8
	.size	_ZN7rocprim17ROCPRIM_400000_NS16block_radix_sortIsLj256ELj4ElLj1ELj1ELj0ELNS0_26block_radix_rank_algorithmE1ELNS0_18block_padding_hintE2ELNS0_4arch9wavefront6targetE1EE19radix_bits_per_passE, 4

	.protected	_ZN7rocprim17ROCPRIM_400000_NS16block_radix_sortIdLj256ELj4ElLj1ELj1ELj0ELNS0_26block_radix_rank_algorithmE1ELNS0_18block_padding_hintE2ELNS0_4arch9wavefront6targetE1EE19radix_bits_per_passE ; @_ZN7rocprim17ROCPRIM_400000_NS16block_radix_sortIdLj256ELj4ElLj1ELj1ELj0ELNS0_26block_radix_rank_algorithmE1ELNS0_18block_padding_hintE2ELNS0_4arch9wavefront6targetE1EE19radix_bits_per_passE
	.type	_ZN7rocprim17ROCPRIM_400000_NS16block_radix_sortIdLj256ELj4ElLj1ELj1ELj0ELNS0_26block_radix_rank_algorithmE1ELNS0_18block_padding_hintE2ELNS0_4arch9wavefront6targetE1EE19radix_bits_per_passE,@object
	.section	.rodata._ZN7rocprim17ROCPRIM_400000_NS16block_radix_sortIdLj256ELj4ElLj1ELj1ELj0ELNS0_26block_radix_rank_algorithmE1ELNS0_18block_padding_hintE2ELNS0_4arch9wavefront6targetE1EE19radix_bits_per_passE,"aG",@progbits,_ZN7rocprim17ROCPRIM_400000_NS16block_radix_sortIdLj256ELj4ElLj1ELj1ELj0ELNS0_26block_radix_rank_algorithmE1ELNS0_18block_padding_hintE2ELNS0_4arch9wavefront6targetE1EE19radix_bits_per_passE,comdat
	.weak	_ZN7rocprim17ROCPRIM_400000_NS16block_radix_sortIdLj256ELj4ElLj1ELj1ELj0ELNS0_26block_radix_rank_algorithmE1ELNS0_18block_padding_hintE2ELNS0_4arch9wavefront6targetE1EE19radix_bits_per_passE
	.p2align	2, 0x0
_ZN7rocprim17ROCPRIM_400000_NS16block_radix_sortIdLj256ELj4ElLj1ELj1ELj0ELNS0_26block_radix_rank_algorithmE1ELNS0_18block_padding_hintE2ELNS0_4arch9wavefront6targetE1EE19radix_bits_per_passE:
	.long	8                               ; 0x8
	.size	_ZN7rocprim17ROCPRIM_400000_NS16block_radix_sortIdLj256ELj4ElLj1ELj1ELj0ELNS0_26block_radix_rank_algorithmE1ELNS0_18block_padding_hintE2ELNS0_4arch9wavefront6targetE1EE19radix_bits_per_passE, 4

	.protected	_ZN7rocprim17ROCPRIM_400000_NS16block_radix_sortIfLj256ELj4ElLj1ELj1ELj0ELNS0_26block_radix_rank_algorithmE1ELNS0_18block_padding_hintE2ELNS0_4arch9wavefront6targetE1EE19radix_bits_per_passE ; @_ZN7rocprim17ROCPRIM_400000_NS16block_radix_sortIfLj256ELj4ElLj1ELj1ELj0ELNS0_26block_radix_rank_algorithmE1ELNS0_18block_padding_hintE2ELNS0_4arch9wavefront6targetE1EE19radix_bits_per_passE
	.type	_ZN7rocprim17ROCPRIM_400000_NS16block_radix_sortIfLj256ELj4ElLj1ELj1ELj0ELNS0_26block_radix_rank_algorithmE1ELNS0_18block_padding_hintE2ELNS0_4arch9wavefront6targetE1EE19radix_bits_per_passE,@object
	.section	.rodata._ZN7rocprim17ROCPRIM_400000_NS16block_radix_sortIfLj256ELj4ElLj1ELj1ELj0ELNS0_26block_radix_rank_algorithmE1ELNS0_18block_padding_hintE2ELNS0_4arch9wavefront6targetE1EE19radix_bits_per_passE,"aG",@progbits,_ZN7rocprim17ROCPRIM_400000_NS16block_radix_sortIfLj256ELj4ElLj1ELj1ELj0ELNS0_26block_radix_rank_algorithmE1ELNS0_18block_padding_hintE2ELNS0_4arch9wavefront6targetE1EE19radix_bits_per_passE,comdat
	.weak	_ZN7rocprim17ROCPRIM_400000_NS16block_radix_sortIfLj256ELj4ElLj1ELj1ELj0ELNS0_26block_radix_rank_algorithmE1ELNS0_18block_padding_hintE2ELNS0_4arch9wavefront6targetE1EE19radix_bits_per_passE
	.p2align	2, 0x0
_ZN7rocprim17ROCPRIM_400000_NS16block_radix_sortIfLj256ELj4ElLj1ELj1ELj0ELNS0_26block_radix_rank_algorithmE1ELNS0_18block_padding_hintE2ELNS0_4arch9wavefront6targetE1EE19radix_bits_per_passE:
	.long	8                               ; 0x8
	.size	_ZN7rocprim17ROCPRIM_400000_NS16block_radix_sortIfLj256ELj4ElLj1ELj1ELj0ELNS0_26block_radix_rank_algorithmE1ELNS0_18block_padding_hintE2ELNS0_4arch9wavefront6targetE1EE19radix_bits_per_passE, 4

	.type	__hip_cuid_57ff41cac999cc0f,@object ; @__hip_cuid_57ff41cac999cc0f
	.section	.bss,"aw",@nobits
	.globl	__hip_cuid_57ff41cac999cc0f
__hip_cuid_57ff41cac999cc0f:
	.byte	0                               ; 0x0
	.size	__hip_cuid_57ff41cac999cc0f, 1

	.ident	"AMD clang version 19.0.0git (https://github.com/RadeonOpenCompute/llvm-project roc-6.4.0 25133 c7fe45cf4b819c5991fe208aaa96edf142730f1d)"
	.section	".note.GNU-stack","",@progbits
	.addrsig
	.addrsig_sym __hip_cuid_57ff41cac999cc0f
	.amdgpu_metadata
---
amdhsa.kernels:
  - .agpr_count:     0
    .args:
      - .offset:         0
        .size:           64
        .value_kind:     by_value
    .group_segment_fixed_size: 0
    .kernarg_segment_align: 8
    .kernarg_segment_size: 64
    .language:       OpenCL C
    .language_version:
      - 2
      - 0
    .max_flat_workgroup_size: 256
    .name:           _ZN7rocprim17ROCPRIM_400000_NS6detail17trampoline_kernelINS0_14default_configENS1_22reduce_config_selectorIlEEZNS1_11reduce_implILb1ES3_PlS7_lN6thrust23THRUST_200600_302600_NS4plusIlEEEE10hipError_tPvRmT1_T2_T3_mT4_P12ihipStream_tbEUlT_E0_NS1_11comp_targetILNS1_3genE0ELNS1_11target_archE4294967295ELNS1_3gpuE0ELNS1_3repE0EEENS1_30default_config_static_selectorELNS0_4arch9wavefront6targetE1EEEvSF_
    .private_segment_fixed_size: 0
    .sgpr_count:     4
    .sgpr_spill_count: 0
    .symbol:         _ZN7rocprim17ROCPRIM_400000_NS6detail17trampoline_kernelINS0_14default_configENS1_22reduce_config_selectorIlEEZNS1_11reduce_implILb1ES3_PlS7_lN6thrust23THRUST_200600_302600_NS4plusIlEEEE10hipError_tPvRmT1_T2_T3_mT4_P12ihipStream_tbEUlT_E0_NS1_11comp_targetILNS1_3genE0ELNS1_11target_archE4294967295ELNS1_3gpuE0ELNS1_3repE0EEENS1_30default_config_static_selectorELNS0_4arch9wavefront6targetE1EEEvSF_.kd
    .uniform_work_group_size: 1
    .uses_dynamic_stack: false
    .vgpr_count:     0
    .vgpr_spill_count: 0
    .wavefront_size: 64
  - .agpr_count:     0
    .args:
      - .offset:         0
        .size:           64
        .value_kind:     by_value
    .group_segment_fixed_size: 0
    .kernarg_segment_align: 8
    .kernarg_segment_size: 64
    .language:       OpenCL C
    .language_version:
      - 2
      - 0
    .max_flat_workgroup_size: 256
    .name:           _ZN7rocprim17ROCPRIM_400000_NS6detail17trampoline_kernelINS0_14default_configENS1_22reduce_config_selectorIlEEZNS1_11reduce_implILb1ES3_PlS7_lN6thrust23THRUST_200600_302600_NS4plusIlEEEE10hipError_tPvRmT1_T2_T3_mT4_P12ihipStream_tbEUlT_E0_NS1_11comp_targetILNS1_3genE5ELNS1_11target_archE942ELNS1_3gpuE9ELNS1_3repE0EEENS1_30default_config_static_selectorELNS0_4arch9wavefront6targetE1EEEvSF_
    .private_segment_fixed_size: 0
    .sgpr_count:     4
    .sgpr_spill_count: 0
    .symbol:         _ZN7rocprim17ROCPRIM_400000_NS6detail17trampoline_kernelINS0_14default_configENS1_22reduce_config_selectorIlEEZNS1_11reduce_implILb1ES3_PlS7_lN6thrust23THRUST_200600_302600_NS4plusIlEEEE10hipError_tPvRmT1_T2_T3_mT4_P12ihipStream_tbEUlT_E0_NS1_11comp_targetILNS1_3genE5ELNS1_11target_archE942ELNS1_3gpuE9ELNS1_3repE0EEENS1_30default_config_static_selectorELNS0_4arch9wavefront6targetE1EEEvSF_.kd
    .uniform_work_group_size: 1
    .uses_dynamic_stack: false
    .vgpr_count:     0
    .vgpr_spill_count: 0
    .wavefront_size: 64
  - .agpr_count:     0
    .args:
      - .offset:         0
        .size:           64
        .value_kind:     by_value
    .group_segment_fixed_size: 64
    .kernarg_segment_align: 8
    .kernarg_segment_size: 64
    .language:       OpenCL C
    .language_version:
      - 2
      - 0
    .max_flat_workgroup_size: 256
    .name:           _ZN7rocprim17ROCPRIM_400000_NS6detail17trampoline_kernelINS0_14default_configENS1_22reduce_config_selectorIlEEZNS1_11reduce_implILb1ES3_PlS7_lN6thrust23THRUST_200600_302600_NS4plusIlEEEE10hipError_tPvRmT1_T2_T3_mT4_P12ihipStream_tbEUlT_E0_NS1_11comp_targetILNS1_3genE4ELNS1_11target_archE910ELNS1_3gpuE8ELNS1_3repE0EEENS1_30default_config_static_selectorELNS0_4arch9wavefront6targetE1EEEvSF_
    .private_segment_fixed_size: 0
    .sgpr_count:     26
    .sgpr_spill_count: 0
    .symbol:         _ZN7rocprim17ROCPRIM_400000_NS6detail17trampoline_kernelINS0_14default_configENS1_22reduce_config_selectorIlEEZNS1_11reduce_implILb1ES3_PlS7_lN6thrust23THRUST_200600_302600_NS4plusIlEEEE10hipError_tPvRmT1_T2_T3_mT4_P12ihipStream_tbEUlT_E0_NS1_11comp_targetILNS1_3genE4ELNS1_11target_archE910ELNS1_3gpuE8ELNS1_3repE0EEENS1_30default_config_static_selectorELNS0_4arch9wavefront6targetE1EEEvSF_.kd
    .uniform_work_group_size: 1
    .uses_dynamic_stack: false
    .vgpr_count:     14
    .vgpr_spill_count: 0
    .wavefront_size: 64
  - .agpr_count:     0
    .args:
      - .offset:         0
        .size:           64
        .value_kind:     by_value
    .group_segment_fixed_size: 0
    .kernarg_segment_align: 8
    .kernarg_segment_size: 64
    .language:       OpenCL C
    .language_version:
      - 2
      - 0
    .max_flat_workgroup_size: 256
    .name:           _ZN7rocprim17ROCPRIM_400000_NS6detail17trampoline_kernelINS0_14default_configENS1_22reduce_config_selectorIlEEZNS1_11reduce_implILb1ES3_PlS7_lN6thrust23THRUST_200600_302600_NS4plusIlEEEE10hipError_tPvRmT1_T2_T3_mT4_P12ihipStream_tbEUlT_E0_NS1_11comp_targetILNS1_3genE3ELNS1_11target_archE908ELNS1_3gpuE7ELNS1_3repE0EEENS1_30default_config_static_selectorELNS0_4arch9wavefront6targetE1EEEvSF_
    .private_segment_fixed_size: 0
    .sgpr_count:     4
    .sgpr_spill_count: 0
    .symbol:         _ZN7rocprim17ROCPRIM_400000_NS6detail17trampoline_kernelINS0_14default_configENS1_22reduce_config_selectorIlEEZNS1_11reduce_implILb1ES3_PlS7_lN6thrust23THRUST_200600_302600_NS4plusIlEEEE10hipError_tPvRmT1_T2_T3_mT4_P12ihipStream_tbEUlT_E0_NS1_11comp_targetILNS1_3genE3ELNS1_11target_archE908ELNS1_3gpuE7ELNS1_3repE0EEENS1_30default_config_static_selectorELNS0_4arch9wavefront6targetE1EEEvSF_.kd
    .uniform_work_group_size: 1
    .uses_dynamic_stack: false
    .vgpr_count:     0
    .vgpr_spill_count: 0
    .wavefront_size: 64
  - .agpr_count:     0
    .args:
      - .offset:         0
        .size:           64
        .value_kind:     by_value
    .group_segment_fixed_size: 0
    .kernarg_segment_align: 8
    .kernarg_segment_size: 64
    .language:       OpenCL C
    .language_version:
      - 2
      - 0
    .max_flat_workgroup_size: 256
    .name:           _ZN7rocprim17ROCPRIM_400000_NS6detail17trampoline_kernelINS0_14default_configENS1_22reduce_config_selectorIlEEZNS1_11reduce_implILb1ES3_PlS7_lN6thrust23THRUST_200600_302600_NS4plusIlEEEE10hipError_tPvRmT1_T2_T3_mT4_P12ihipStream_tbEUlT_E0_NS1_11comp_targetILNS1_3genE2ELNS1_11target_archE906ELNS1_3gpuE6ELNS1_3repE0EEENS1_30default_config_static_selectorELNS0_4arch9wavefront6targetE1EEEvSF_
    .private_segment_fixed_size: 0
    .sgpr_count:     4
    .sgpr_spill_count: 0
    .symbol:         _ZN7rocprim17ROCPRIM_400000_NS6detail17trampoline_kernelINS0_14default_configENS1_22reduce_config_selectorIlEEZNS1_11reduce_implILb1ES3_PlS7_lN6thrust23THRUST_200600_302600_NS4plusIlEEEE10hipError_tPvRmT1_T2_T3_mT4_P12ihipStream_tbEUlT_E0_NS1_11comp_targetILNS1_3genE2ELNS1_11target_archE906ELNS1_3gpuE6ELNS1_3repE0EEENS1_30default_config_static_selectorELNS0_4arch9wavefront6targetE1EEEvSF_.kd
    .uniform_work_group_size: 1
    .uses_dynamic_stack: false
    .vgpr_count:     0
    .vgpr_spill_count: 0
    .wavefront_size: 64
  - .agpr_count:     0
    .args:
      - .offset:         0
        .size:           64
        .value_kind:     by_value
    .group_segment_fixed_size: 0
    .kernarg_segment_align: 8
    .kernarg_segment_size: 64
    .language:       OpenCL C
    .language_version:
      - 2
      - 0
    .max_flat_workgroup_size: 256
    .name:           _ZN7rocprim17ROCPRIM_400000_NS6detail17trampoline_kernelINS0_14default_configENS1_22reduce_config_selectorIlEEZNS1_11reduce_implILb1ES3_PlS7_lN6thrust23THRUST_200600_302600_NS4plusIlEEEE10hipError_tPvRmT1_T2_T3_mT4_P12ihipStream_tbEUlT_E0_NS1_11comp_targetILNS1_3genE10ELNS1_11target_archE1201ELNS1_3gpuE5ELNS1_3repE0EEENS1_30default_config_static_selectorELNS0_4arch9wavefront6targetE1EEEvSF_
    .private_segment_fixed_size: 0
    .sgpr_count:     4
    .sgpr_spill_count: 0
    .symbol:         _ZN7rocprim17ROCPRIM_400000_NS6detail17trampoline_kernelINS0_14default_configENS1_22reduce_config_selectorIlEEZNS1_11reduce_implILb1ES3_PlS7_lN6thrust23THRUST_200600_302600_NS4plusIlEEEE10hipError_tPvRmT1_T2_T3_mT4_P12ihipStream_tbEUlT_E0_NS1_11comp_targetILNS1_3genE10ELNS1_11target_archE1201ELNS1_3gpuE5ELNS1_3repE0EEENS1_30default_config_static_selectorELNS0_4arch9wavefront6targetE1EEEvSF_.kd
    .uniform_work_group_size: 1
    .uses_dynamic_stack: false
    .vgpr_count:     0
    .vgpr_spill_count: 0
    .wavefront_size: 64
  - .agpr_count:     0
    .args:
      - .offset:         0
        .size:           64
        .value_kind:     by_value
    .group_segment_fixed_size: 0
    .kernarg_segment_align: 8
    .kernarg_segment_size: 64
    .language:       OpenCL C
    .language_version:
      - 2
      - 0
    .max_flat_workgroup_size: 256
    .name:           _ZN7rocprim17ROCPRIM_400000_NS6detail17trampoline_kernelINS0_14default_configENS1_22reduce_config_selectorIlEEZNS1_11reduce_implILb1ES3_PlS7_lN6thrust23THRUST_200600_302600_NS4plusIlEEEE10hipError_tPvRmT1_T2_T3_mT4_P12ihipStream_tbEUlT_E0_NS1_11comp_targetILNS1_3genE10ELNS1_11target_archE1200ELNS1_3gpuE4ELNS1_3repE0EEENS1_30default_config_static_selectorELNS0_4arch9wavefront6targetE1EEEvSF_
    .private_segment_fixed_size: 0
    .sgpr_count:     4
    .sgpr_spill_count: 0
    .symbol:         _ZN7rocprim17ROCPRIM_400000_NS6detail17trampoline_kernelINS0_14default_configENS1_22reduce_config_selectorIlEEZNS1_11reduce_implILb1ES3_PlS7_lN6thrust23THRUST_200600_302600_NS4plusIlEEEE10hipError_tPvRmT1_T2_T3_mT4_P12ihipStream_tbEUlT_E0_NS1_11comp_targetILNS1_3genE10ELNS1_11target_archE1200ELNS1_3gpuE4ELNS1_3repE0EEENS1_30default_config_static_selectorELNS0_4arch9wavefront6targetE1EEEvSF_.kd
    .uniform_work_group_size: 1
    .uses_dynamic_stack: false
    .vgpr_count:     0
    .vgpr_spill_count: 0
    .wavefront_size: 64
  - .agpr_count:     0
    .args:
      - .offset:         0
        .size:           64
        .value_kind:     by_value
    .group_segment_fixed_size: 0
    .kernarg_segment_align: 8
    .kernarg_segment_size: 64
    .language:       OpenCL C
    .language_version:
      - 2
      - 0
    .max_flat_workgroup_size: 256
    .name:           _ZN7rocprim17ROCPRIM_400000_NS6detail17trampoline_kernelINS0_14default_configENS1_22reduce_config_selectorIlEEZNS1_11reduce_implILb1ES3_PlS7_lN6thrust23THRUST_200600_302600_NS4plusIlEEEE10hipError_tPvRmT1_T2_T3_mT4_P12ihipStream_tbEUlT_E0_NS1_11comp_targetILNS1_3genE9ELNS1_11target_archE1100ELNS1_3gpuE3ELNS1_3repE0EEENS1_30default_config_static_selectorELNS0_4arch9wavefront6targetE1EEEvSF_
    .private_segment_fixed_size: 0
    .sgpr_count:     4
    .sgpr_spill_count: 0
    .symbol:         _ZN7rocprim17ROCPRIM_400000_NS6detail17trampoline_kernelINS0_14default_configENS1_22reduce_config_selectorIlEEZNS1_11reduce_implILb1ES3_PlS7_lN6thrust23THRUST_200600_302600_NS4plusIlEEEE10hipError_tPvRmT1_T2_T3_mT4_P12ihipStream_tbEUlT_E0_NS1_11comp_targetILNS1_3genE9ELNS1_11target_archE1100ELNS1_3gpuE3ELNS1_3repE0EEENS1_30default_config_static_selectorELNS0_4arch9wavefront6targetE1EEEvSF_.kd
    .uniform_work_group_size: 1
    .uses_dynamic_stack: false
    .vgpr_count:     0
    .vgpr_spill_count: 0
    .wavefront_size: 64
  - .agpr_count:     0
    .args:
      - .offset:         0
        .size:           64
        .value_kind:     by_value
    .group_segment_fixed_size: 0
    .kernarg_segment_align: 8
    .kernarg_segment_size: 64
    .language:       OpenCL C
    .language_version:
      - 2
      - 0
    .max_flat_workgroup_size: 256
    .name:           _ZN7rocprim17ROCPRIM_400000_NS6detail17trampoline_kernelINS0_14default_configENS1_22reduce_config_selectorIlEEZNS1_11reduce_implILb1ES3_PlS7_lN6thrust23THRUST_200600_302600_NS4plusIlEEEE10hipError_tPvRmT1_T2_T3_mT4_P12ihipStream_tbEUlT_E0_NS1_11comp_targetILNS1_3genE8ELNS1_11target_archE1030ELNS1_3gpuE2ELNS1_3repE0EEENS1_30default_config_static_selectorELNS0_4arch9wavefront6targetE1EEEvSF_
    .private_segment_fixed_size: 0
    .sgpr_count:     4
    .sgpr_spill_count: 0
    .symbol:         _ZN7rocprim17ROCPRIM_400000_NS6detail17trampoline_kernelINS0_14default_configENS1_22reduce_config_selectorIlEEZNS1_11reduce_implILb1ES3_PlS7_lN6thrust23THRUST_200600_302600_NS4plusIlEEEE10hipError_tPvRmT1_T2_T3_mT4_P12ihipStream_tbEUlT_E0_NS1_11comp_targetILNS1_3genE8ELNS1_11target_archE1030ELNS1_3gpuE2ELNS1_3repE0EEENS1_30default_config_static_selectorELNS0_4arch9wavefront6targetE1EEEvSF_.kd
    .uniform_work_group_size: 1
    .uses_dynamic_stack: false
    .vgpr_count:     0
    .vgpr_spill_count: 0
    .wavefront_size: 64
  - .agpr_count:     0
    .args:
      - .offset:         0
        .size:           48
        .value_kind:     by_value
    .group_segment_fixed_size: 0
    .kernarg_segment_align: 8
    .kernarg_segment_size: 48
    .language:       OpenCL C
    .language_version:
      - 2
      - 0
    .max_flat_workgroup_size: 256
    .name:           _ZN7rocprim17ROCPRIM_400000_NS6detail17trampoline_kernelINS0_14default_configENS1_22reduce_config_selectorIlEEZNS1_11reduce_implILb1ES3_PlS7_lN6thrust23THRUST_200600_302600_NS4plusIlEEEE10hipError_tPvRmT1_T2_T3_mT4_P12ihipStream_tbEUlT_E1_NS1_11comp_targetILNS1_3genE0ELNS1_11target_archE4294967295ELNS1_3gpuE0ELNS1_3repE0EEENS1_30default_config_static_selectorELNS0_4arch9wavefront6targetE1EEEvSF_
    .private_segment_fixed_size: 0
    .sgpr_count:     4
    .sgpr_spill_count: 0
    .symbol:         _ZN7rocprim17ROCPRIM_400000_NS6detail17trampoline_kernelINS0_14default_configENS1_22reduce_config_selectorIlEEZNS1_11reduce_implILb1ES3_PlS7_lN6thrust23THRUST_200600_302600_NS4plusIlEEEE10hipError_tPvRmT1_T2_T3_mT4_P12ihipStream_tbEUlT_E1_NS1_11comp_targetILNS1_3genE0ELNS1_11target_archE4294967295ELNS1_3gpuE0ELNS1_3repE0EEENS1_30default_config_static_selectorELNS0_4arch9wavefront6targetE1EEEvSF_.kd
    .uniform_work_group_size: 1
    .uses_dynamic_stack: false
    .vgpr_count:     0
    .vgpr_spill_count: 0
    .wavefront_size: 64
  - .agpr_count:     0
    .args:
      - .offset:         0
        .size:           48
        .value_kind:     by_value
    .group_segment_fixed_size: 0
    .kernarg_segment_align: 8
    .kernarg_segment_size: 48
    .language:       OpenCL C
    .language_version:
      - 2
      - 0
    .max_flat_workgroup_size: 256
    .name:           _ZN7rocprim17ROCPRIM_400000_NS6detail17trampoline_kernelINS0_14default_configENS1_22reduce_config_selectorIlEEZNS1_11reduce_implILb1ES3_PlS7_lN6thrust23THRUST_200600_302600_NS4plusIlEEEE10hipError_tPvRmT1_T2_T3_mT4_P12ihipStream_tbEUlT_E1_NS1_11comp_targetILNS1_3genE5ELNS1_11target_archE942ELNS1_3gpuE9ELNS1_3repE0EEENS1_30default_config_static_selectorELNS0_4arch9wavefront6targetE1EEEvSF_
    .private_segment_fixed_size: 0
    .sgpr_count:     4
    .sgpr_spill_count: 0
    .symbol:         _ZN7rocprim17ROCPRIM_400000_NS6detail17trampoline_kernelINS0_14default_configENS1_22reduce_config_selectorIlEEZNS1_11reduce_implILb1ES3_PlS7_lN6thrust23THRUST_200600_302600_NS4plusIlEEEE10hipError_tPvRmT1_T2_T3_mT4_P12ihipStream_tbEUlT_E1_NS1_11comp_targetILNS1_3genE5ELNS1_11target_archE942ELNS1_3gpuE9ELNS1_3repE0EEENS1_30default_config_static_selectorELNS0_4arch9wavefront6targetE1EEEvSF_.kd
    .uniform_work_group_size: 1
    .uses_dynamic_stack: false
    .vgpr_count:     0
    .vgpr_spill_count: 0
    .wavefront_size: 64
  - .agpr_count:     0
    .args:
      - .offset:         0
        .size:           48
        .value_kind:     by_value
    .group_segment_fixed_size: 192
    .kernarg_segment_align: 8
    .kernarg_segment_size: 48
    .language:       OpenCL C
    .language_version:
      - 2
      - 0
    .max_flat_workgroup_size: 256
    .name:           _ZN7rocprim17ROCPRIM_400000_NS6detail17trampoline_kernelINS0_14default_configENS1_22reduce_config_selectorIlEEZNS1_11reduce_implILb1ES3_PlS7_lN6thrust23THRUST_200600_302600_NS4plusIlEEEE10hipError_tPvRmT1_T2_T3_mT4_P12ihipStream_tbEUlT_E1_NS1_11comp_targetILNS1_3genE4ELNS1_11target_archE910ELNS1_3gpuE8ELNS1_3repE0EEENS1_30default_config_static_selectorELNS0_4arch9wavefront6targetE1EEEvSF_
    .private_segment_fixed_size: 0
    .sgpr_count:     51
    .sgpr_spill_count: 0
    .symbol:         _ZN7rocprim17ROCPRIM_400000_NS6detail17trampoline_kernelINS0_14default_configENS1_22reduce_config_selectorIlEEZNS1_11reduce_implILb1ES3_PlS7_lN6thrust23THRUST_200600_302600_NS4plusIlEEEE10hipError_tPvRmT1_T2_T3_mT4_P12ihipStream_tbEUlT_E1_NS1_11comp_targetILNS1_3genE4ELNS1_11target_archE910ELNS1_3gpuE8ELNS1_3repE0EEENS1_30default_config_static_selectorELNS0_4arch9wavefront6targetE1EEEvSF_.kd
    .uniform_work_group_size: 1
    .uses_dynamic_stack: false
    .vgpr_count:     36
    .vgpr_spill_count: 0
    .wavefront_size: 64
  - .agpr_count:     0
    .args:
      - .offset:         0
        .size:           48
        .value_kind:     by_value
    .group_segment_fixed_size: 0
    .kernarg_segment_align: 8
    .kernarg_segment_size: 48
    .language:       OpenCL C
    .language_version:
      - 2
      - 0
    .max_flat_workgroup_size: 256
    .name:           _ZN7rocprim17ROCPRIM_400000_NS6detail17trampoline_kernelINS0_14default_configENS1_22reduce_config_selectorIlEEZNS1_11reduce_implILb1ES3_PlS7_lN6thrust23THRUST_200600_302600_NS4plusIlEEEE10hipError_tPvRmT1_T2_T3_mT4_P12ihipStream_tbEUlT_E1_NS1_11comp_targetILNS1_3genE3ELNS1_11target_archE908ELNS1_3gpuE7ELNS1_3repE0EEENS1_30default_config_static_selectorELNS0_4arch9wavefront6targetE1EEEvSF_
    .private_segment_fixed_size: 0
    .sgpr_count:     4
    .sgpr_spill_count: 0
    .symbol:         _ZN7rocprim17ROCPRIM_400000_NS6detail17trampoline_kernelINS0_14default_configENS1_22reduce_config_selectorIlEEZNS1_11reduce_implILb1ES3_PlS7_lN6thrust23THRUST_200600_302600_NS4plusIlEEEE10hipError_tPvRmT1_T2_T3_mT4_P12ihipStream_tbEUlT_E1_NS1_11comp_targetILNS1_3genE3ELNS1_11target_archE908ELNS1_3gpuE7ELNS1_3repE0EEENS1_30default_config_static_selectorELNS0_4arch9wavefront6targetE1EEEvSF_.kd
    .uniform_work_group_size: 1
    .uses_dynamic_stack: false
    .vgpr_count:     0
    .vgpr_spill_count: 0
    .wavefront_size: 64
  - .agpr_count:     0
    .args:
      - .offset:         0
        .size:           48
        .value_kind:     by_value
    .group_segment_fixed_size: 0
    .kernarg_segment_align: 8
    .kernarg_segment_size: 48
    .language:       OpenCL C
    .language_version:
      - 2
      - 0
    .max_flat_workgroup_size: 256
    .name:           _ZN7rocprim17ROCPRIM_400000_NS6detail17trampoline_kernelINS0_14default_configENS1_22reduce_config_selectorIlEEZNS1_11reduce_implILb1ES3_PlS7_lN6thrust23THRUST_200600_302600_NS4plusIlEEEE10hipError_tPvRmT1_T2_T3_mT4_P12ihipStream_tbEUlT_E1_NS1_11comp_targetILNS1_3genE2ELNS1_11target_archE906ELNS1_3gpuE6ELNS1_3repE0EEENS1_30default_config_static_selectorELNS0_4arch9wavefront6targetE1EEEvSF_
    .private_segment_fixed_size: 0
    .sgpr_count:     4
    .sgpr_spill_count: 0
    .symbol:         _ZN7rocprim17ROCPRIM_400000_NS6detail17trampoline_kernelINS0_14default_configENS1_22reduce_config_selectorIlEEZNS1_11reduce_implILb1ES3_PlS7_lN6thrust23THRUST_200600_302600_NS4plusIlEEEE10hipError_tPvRmT1_T2_T3_mT4_P12ihipStream_tbEUlT_E1_NS1_11comp_targetILNS1_3genE2ELNS1_11target_archE906ELNS1_3gpuE6ELNS1_3repE0EEENS1_30default_config_static_selectorELNS0_4arch9wavefront6targetE1EEEvSF_.kd
    .uniform_work_group_size: 1
    .uses_dynamic_stack: false
    .vgpr_count:     0
    .vgpr_spill_count: 0
    .wavefront_size: 64
  - .agpr_count:     0
    .args:
      - .offset:         0
        .size:           48
        .value_kind:     by_value
    .group_segment_fixed_size: 0
    .kernarg_segment_align: 8
    .kernarg_segment_size: 48
    .language:       OpenCL C
    .language_version:
      - 2
      - 0
    .max_flat_workgroup_size: 256
    .name:           _ZN7rocprim17ROCPRIM_400000_NS6detail17trampoline_kernelINS0_14default_configENS1_22reduce_config_selectorIlEEZNS1_11reduce_implILb1ES3_PlS7_lN6thrust23THRUST_200600_302600_NS4plusIlEEEE10hipError_tPvRmT1_T2_T3_mT4_P12ihipStream_tbEUlT_E1_NS1_11comp_targetILNS1_3genE10ELNS1_11target_archE1201ELNS1_3gpuE5ELNS1_3repE0EEENS1_30default_config_static_selectorELNS0_4arch9wavefront6targetE1EEEvSF_
    .private_segment_fixed_size: 0
    .sgpr_count:     4
    .sgpr_spill_count: 0
    .symbol:         _ZN7rocprim17ROCPRIM_400000_NS6detail17trampoline_kernelINS0_14default_configENS1_22reduce_config_selectorIlEEZNS1_11reduce_implILb1ES3_PlS7_lN6thrust23THRUST_200600_302600_NS4plusIlEEEE10hipError_tPvRmT1_T2_T3_mT4_P12ihipStream_tbEUlT_E1_NS1_11comp_targetILNS1_3genE10ELNS1_11target_archE1201ELNS1_3gpuE5ELNS1_3repE0EEENS1_30default_config_static_selectorELNS0_4arch9wavefront6targetE1EEEvSF_.kd
    .uniform_work_group_size: 1
    .uses_dynamic_stack: false
    .vgpr_count:     0
    .vgpr_spill_count: 0
    .wavefront_size: 64
  - .agpr_count:     0
    .args:
      - .offset:         0
        .size:           48
        .value_kind:     by_value
    .group_segment_fixed_size: 0
    .kernarg_segment_align: 8
    .kernarg_segment_size: 48
    .language:       OpenCL C
    .language_version:
      - 2
      - 0
    .max_flat_workgroup_size: 256
    .name:           _ZN7rocprim17ROCPRIM_400000_NS6detail17trampoline_kernelINS0_14default_configENS1_22reduce_config_selectorIlEEZNS1_11reduce_implILb1ES3_PlS7_lN6thrust23THRUST_200600_302600_NS4plusIlEEEE10hipError_tPvRmT1_T2_T3_mT4_P12ihipStream_tbEUlT_E1_NS1_11comp_targetILNS1_3genE10ELNS1_11target_archE1200ELNS1_3gpuE4ELNS1_3repE0EEENS1_30default_config_static_selectorELNS0_4arch9wavefront6targetE1EEEvSF_
    .private_segment_fixed_size: 0
    .sgpr_count:     4
    .sgpr_spill_count: 0
    .symbol:         _ZN7rocprim17ROCPRIM_400000_NS6detail17trampoline_kernelINS0_14default_configENS1_22reduce_config_selectorIlEEZNS1_11reduce_implILb1ES3_PlS7_lN6thrust23THRUST_200600_302600_NS4plusIlEEEE10hipError_tPvRmT1_T2_T3_mT4_P12ihipStream_tbEUlT_E1_NS1_11comp_targetILNS1_3genE10ELNS1_11target_archE1200ELNS1_3gpuE4ELNS1_3repE0EEENS1_30default_config_static_selectorELNS0_4arch9wavefront6targetE1EEEvSF_.kd
    .uniform_work_group_size: 1
    .uses_dynamic_stack: false
    .vgpr_count:     0
    .vgpr_spill_count: 0
    .wavefront_size: 64
  - .agpr_count:     0
    .args:
      - .offset:         0
        .size:           48
        .value_kind:     by_value
    .group_segment_fixed_size: 0
    .kernarg_segment_align: 8
    .kernarg_segment_size: 48
    .language:       OpenCL C
    .language_version:
      - 2
      - 0
    .max_flat_workgroup_size: 256
    .name:           _ZN7rocprim17ROCPRIM_400000_NS6detail17trampoline_kernelINS0_14default_configENS1_22reduce_config_selectorIlEEZNS1_11reduce_implILb1ES3_PlS7_lN6thrust23THRUST_200600_302600_NS4plusIlEEEE10hipError_tPvRmT1_T2_T3_mT4_P12ihipStream_tbEUlT_E1_NS1_11comp_targetILNS1_3genE9ELNS1_11target_archE1100ELNS1_3gpuE3ELNS1_3repE0EEENS1_30default_config_static_selectorELNS0_4arch9wavefront6targetE1EEEvSF_
    .private_segment_fixed_size: 0
    .sgpr_count:     4
    .sgpr_spill_count: 0
    .symbol:         _ZN7rocprim17ROCPRIM_400000_NS6detail17trampoline_kernelINS0_14default_configENS1_22reduce_config_selectorIlEEZNS1_11reduce_implILb1ES3_PlS7_lN6thrust23THRUST_200600_302600_NS4plusIlEEEE10hipError_tPvRmT1_T2_T3_mT4_P12ihipStream_tbEUlT_E1_NS1_11comp_targetILNS1_3genE9ELNS1_11target_archE1100ELNS1_3gpuE3ELNS1_3repE0EEENS1_30default_config_static_selectorELNS0_4arch9wavefront6targetE1EEEvSF_.kd
    .uniform_work_group_size: 1
    .uses_dynamic_stack: false
    .vgpr_count:     0
    .vgpr_spill_count: 0
    .wavefront_size: 64
  - .agpr_count:     0
    .args:
      - .offset:         0
        .size:           48
        .value_kind:     by_value
    .group_segment_fixed_size: 0
    .kernarg_segment_align: 8
    .kernarg_segment_size: 48
    .language:       OpenCL C
    .language_version:
      - 2
      - 0
    .max_flat_workgroup_size: 256
    .name:           _ZN7rocprim17ROCPRIM_400000_NS6detail17trampoline_kernelINS0_14default_configENS1_22reduce_config_selectorIlEEZNS1_11reduce_implILb1ES3_PlS7_lN6thrust23THRUST_200600_302600_NS4plusIlEEEE10hipError_tPvRmT1_T2_T3_mT4_P12ihipStream_tbEUlT_E1_NS1_11comp_targetILNS1_3genE8ELNS1_11target_archE1030ELNS1_3gpuE2ELNS1_3repE0EEENS1_30default_config_static_selectorELNS0_4arch9wavefront6targetE1EEEvSF_
    .private_segment_fixed_size: 0
    .sgpr_count:     4
    .sgpr_spill_count: 0
    .symbol:         _ZN7rocprim17ROCPRIM_400000_NS6detail17trampoline_kernelINS0_14default_configENS1_22reduce_config_selectorIlEEZNS1_11reduce_implILb1ES3_PlS7_lN6thrust23THRUST_200600_302600_NS4plusIlEEEE10hipError_tPvRmT1_T2_T3_mT4_P12ihipStream_tbEUlT_E1_NS1_11comp_targetILNS1_3genE8ELNS1_11target_archE1030ELNS1_3gpuE2ELNS1_3repE0EEENS1_30default_config_static_selectorELNS0_4arch9wavefront6targetE1EEEvSF_.kd
    .uniform_work_group_size: 1
    .uses_dynamic_stack: false
    .vgpr_count:     0
    .vgpr_spill_count: 0
    .wavefront_size: 64
  - .agpr_count:     0
    .args:
      - .offset:         0
        .size:           72
        .value_kind:     by_value
    .group_segment_fixed_size: 0
    .kernarg_segment_align: 8
    .kernarg_segment_size: 72
    .language:       OpenCL C
    .language_version:
      - 2
      - 0
    .max_flat_workgroup_size: 256
    .name:           _ZN7rocprim17ROCPRIM_400000_NS6detail17trampoline_kernelINS0_14default_configENS1_22reduce_config_selectorIlEEZNS1_11reduce_implILb1ES3_N6thrust23THRUST_200600_302600_NS11hip_rocprim26transform_input_iterator_tIlPKhZN2at6native8ModeImplIbEclEPKbSI_EUlhE_EEPllNS8_4plusIlEEEE10hipError_tPvRmT1_T2_T3_mT4_P12ihipStream_tbEUlT_E0_NS1_11comp_targetILNS1_3genE0ELNS1_11target_archE4294967295ELNS1_3gpuE0ELNS1_3repE0EEENS1_30default_config_static_selectorELNS0_4arch9wavefront6targetE1EEEvSR_
    .private_segment_fixed_size: 0
    .sgpr_count:     4
    .sgpr_spill_count: 0
    .symbol:         _ZN7rocprim17ROCPRIM_400000_NS6detail17trampoline_kernelINS0_14default_configENS1_22reduce_config_selectorIlEEZNS1_11reduce_implILb1ES3_N6thrust23THRUST_200600_302600_NS11hip_rocprim26transform_input_iterator_tIlPKhZN2at6native8ModeImplIbEclEPKbSI_EUlhE_EEPllNS8_4plusIlEEEE10hipError_tPvRmT1_T2_T3_mT4_P12ihipStream_tbEUlT_E0_NS1_11comp_targetILNS1_3genE0ELNS1_11target_archE4294967295ELNS1_3gpuE0ELNS1_3repE0EEENS1_30default_config_static_selectorELNS0_4arch9wavefront6targetE1EEEvSR_.kd
    .uniform_work_group_size: 1
    .uses_dynamic_stack: false
    .vgpr_count:     0
    .vgpr_spill_count: 0
    .wavefront_size: 64
  - .agpr_count:     0
    .args:
      - .offset:         0
        .size:           72
        .value_kind:     by_value
    .group_segment_fixed_size: 0
    .kernarg_segment_align: 8
    .kernarg_segment_size: 72
    .language:       OpenCL C
    .language_version:
      - 2
      - 0
    .max_flat_workgroup_size: 256
    .name:           _ZN7rocprim17ROCPRIM_400000_NS6detail17trampoline_kernelINS0_14default_configENS1_22reduce_config_selectorIlEEZNS1_11reduce_implILb1ES3_N6thrust23THRUST_200600_302600_NS11hip_rocprim26transform_input_iterator_tIlPKhZN2at6native8ModeImplIbEclEPKbSI_EUlhE_EEPllNS8_4plusIlEEEE10hipError_tPvRmT1_T2_T3_mT4_P12ihipStream_tbEUlT_E0_NS1_11comp_targetILNS1_3genE5ELNS1_11target_archE942ELNS1_3gpuE9ELNS1_3repE0EEENS1_30default_config_static_selectorELNS0_4arch9wavefront6targetE1EEEvSR_
    .private_segment_fixed_size: 0
    .sgpr_count:     4
    .sgpr_spill_count: 0
    .symbol:         _ZN7rocprim17ROCPRIM_400000_NS6detail17trampoline_kernelINS0_14default_configENS1_22reduce_config_selectorIlEEZNS1_11reduce_implILb1ES3_N6thrust23THRUST_200600_302600_NS11hip_rocprim26transform_input_iterator_tIlPKhZN2at6native8ModeImplIbEclEPKbSI_EUlhE_EEPllNS8_4plusIlEEEE10hipError_tPvRmT1_T2_T3_mT4_P12ihipStream_tbEUlT_E0_NS1_11comp_targetILNS1_3genE5ELNS1_11target_archE942ELNS1_3gpuE9ELNS1_3repE0EEENS1_30default_config_static_selectorELNS0_4arch9wavefront6targetE1EEEvSR_.kd
    .uniform_work_group_size: 1
    .uses_dynamic_stack: false
    .vgpr_count:     0
    .vgpr_spill_count: 0
    .wavefront_size: 64
  - .agpr_count:     0
    .args:
      - .offset:         0
        .size:           72
        .value_kind:     by_value
    .group_segment_fixed_size: 64
    .kernarg_segment_align: 8
    .kernarg_segment_size: 72
    .language:       OpenCL C
    .language_version:
      - 2
      - 0
    .max_flat_workgroup_size: 256
    .name:           _ZN7rocprim17ROCPRIM_400000_NS6detail17trampoline_kernelINS0_14default_configENS1_22reduce_config_selectorIlEEZNS1_11reduce_implILb1ES3_N6thrust23THRUST_200600_302600_NS11hip_rocprim26transform_input_iterator_tIlPKhZN2at6native8ModeImplIbEclEPKbSI_EUlhE_EEPllNS8_4plusIlEEEE10hipError_tPvRmT1_T2_T3_mT4_P12ihipStream_tbEUlT_E0_NS1_11comp_targetILNS1_3genE4ELNS1_11target_archE910ELNS1_3gpuE8ELNS1_3repE0EEENS1_30default_config_static_selectorELNS0_4arch9wavefront6targetE1EEEvSR_
    .private_segment_fixed_size: 0
    .sgpr_count:     25
    .sgpr_spill_count: 0
    .symbol:         _ZN7rocprim17ROCPRIM_400000_NS6detail17trampoline_kernelINS0_14default_configENS1_22reduce_config_selectorIlEEZNS1_11reduce_implILb1ES3_N6thrust23THRUST_200600_302600_NS11hip_rocprim26transform_input_iterator_tIlPKhZN2at6native8ModeImplIbEclEPKbSI_EUlhE_EEPllNS8_4plusIlEEEE10hipError_tPvRmT1_T2_T3_mT4_P12ihipStream_tbEUlT_E0_NS1_11comp_targetILNS1_3genE4ELNS1_11target_archE910ELNS1_3gpuE8ELNS1_3repE0EEENS1_30default_config_static_selectorELNS0_4arch9wavefront6targetE1EEEvSR_.kd
    .uniform_work_group_size: 1
    .uses_dynamic_stack: false
    .vgpr_count:     13
    .vgpr_spill_count: 0
    .wavefront_size: 64
  - .agpr_count:     0
    .args:
      - .offset:         0
        .size:           72
        .value_kind:     by_value
    .group_segment_fixed_size: 0
    .kernarg_segment_align: 8
    .kernarg_segment_size: 72
    .language:       OpenCL C
    .language_version:
      - 2
      - 0
    .max_flat_workgroup_size: 256
    .name:           _ZN7rocprim17ROCPRIM_400000_NS6detail17trampoline_kernelINS0_14default_configENS1_22reduce_config_selectorIlEEZNS1_11reduce_implILb1ES3_N6thrust23THRUST_200600_302600_NS11hip_rocprim26transform_input_iterator_tIlPKhZN2at6native8ModeImplIbEclEPKbSI_EUlhE_EEPllNS8_4plusIlEEEE10hipError_tPvRmT1_T2_T3_mT4_P12ihipStream_tbEUlT_E0_NS1_11comp_targetILNS1_3genE3ELNS1_11target_archE908ELNS1_3gpuE7ELNS1_3repE0EEENS1_30default_config_static_selectorELNS0_4arch9wavefront6targetE1EEEvSR_
    .private_segment_fixed_size: 0
    .sgpr_count:     4
    .sgpr_spill_count: 0
    .symbol:         _ZN7rocprim17ROCPRIM_400000_NS6detail17trampoline_kernelINS0_14default_configENS1_22reduce_config_selectorIlEEZNS1_11reduce_implILb1ES3_N6thrust23THRUST_200600_302600_NS11hip_rocprim26transform_input_iterator_tIlPKhZN2at6native8ModeImplIbEclEPKbSI_EUlhE_EEPllNS8_4plusIlEEEE10hipError_tPvRmT1_T2_T3_mT4_P12ihipStream_tbEUlT_E0_NS1_11comp_targetILNS1_3genE3ELNS1_11target_archE908ELNS1_3gpuE7ELNS1_3repE0EEENS1_30default_config_static_selectorELNS0_4arch9wavefront6targetE1EEEvSR_.kd
    .uniform_work_group_size: 1
    .uses_dynamic_stack: false
    .vgpr_count:     0
    .vgpr_spill_count: 0
    .wavefront_size: 64
  - .agpr_count:     0
    .args:
      - .offset:         0
        .size:           72
        .value_kind:     by_value
    .group_segment_fixed_size: 0
    .kernarg_segment_align: 8
    .kernarg_segment_size: 72
    .language:       OpenCL C
    .language_version:
      - 2
      - 0
    .max_flat_workgroup_size: 256
    .name:           _ZN7rocprim17ROCPRIM_400000_NS6detail17trampoline_kernelINS0_14default_configENS1_22reduce_config_selectorIlEEZNS1_11reduce_implILb1ES3_N6thrust23THRUST_200600_302600_NS11hip_rocprim26transform_input_iterator_tIlPKhZN2at6native8ModeImplIbEclEPKbSI_EUlhE_EEPllNS8_4plusIlEEEE10hipError_tPvRmT1_T2_T3_mT4_P12ihipStream_tbEUlT_E0_NS1_11comp_targetILNS1_3genE2ELNS1_11target_archE906ELNS1_3gpuE6ELNS1_3repE0EEENS1_30default_config_static_selectorELNS0_4arch9wavefront6targetE1EEEvSR_
    .private_segment_fixed_size: 0
    .sgpr_count:     4
    .sgpr_spill_count: 0
    .symbol:         _ZN7rocprim17ROCPRIM_400000_NS6detail17trampoline_kernelINS0_14default_configENS1_22reduce_config_selectorIlEEZNS1_11reduce_implILb1ES3_N6thrust23THRUST_200600_302600_NS11hip_rocprim26transform_input_iterator_tIlPKhZN2at6native8ModeImplIbEclEPKbSI_EUlhE_EEPllNS8_4plusIlEEEE10hipError_tPvRmT1_T2_T3_mT4_P12ihipStream_tbEUlT_E0_NS1_11comp_targetILNS1_3genE2ELNS1_11target_archE906ELNS1_3gpuE6ELNS1_3repE0EEENS1_30default_config_static_selectorELNS0_4arch9wavefront6targetE1EEEvSR_.kd
    .uniform_work_group_size: 1
    .uses_dynamic_stack: false
    .vgpr_count:     0
    .vgpr_spill_count: 0
    .wavefront_size: 64
  - .agpr_count:     0
    .args:
      - .offset:         0
        .size:           72
        .value_kind:     by_value
    .group_segment_fixed_size: 0
    .kernarg_segment_align: 8
    .kernarg_segment_size: 72
    .language:       OpenCL C
    .language_version:
      - 2
      - 0
    .max_flat_workgroup_size: 256
    .name:           _ZN7rocprim17ROCPRIM_400000_NS6detail17trampoline_kernelINS0_14default_configENS1_22reduce_config_selectorIlEEZNS1_11reduce_implILb1ES3_N6thrust23THRUST_200600_302600_NS11hip_rocprim26transform_input_iterator_tIlPKhZN2at6native8ModeImplIbEclEPKbSI_EUlhE_EEPllNS8_4plusIlEEEE10hipError_tPvRmT1_T2_T3_mT4_P12ihipStream_tbEUlT_E0_NS1_11comp_targetILNS1_3genE10ELNS1_11target_archE1201ELNS1_3gpuE5ELNS1_3repE0EEENS1_30default_config_static_selectorELNS0_4arch9wavefront6targetE1EEEvSR_
    .private_segment_fixed_size: 0
    .sgpr_count:     4
    .sgpr_spill_count: 0
    .symbol:         _ZN7rocprim17ROCPRIM_400000_NS6detail17trampoline_kernelINS0_14default_configENS1_22reduce_config_selectorIlEEZNS1_11reduce_implILb1ES3_N6thrust23THRUST_200600_302600_NS11hip_rocprim26transform_input_iterator_tIlPKhZN2at6native8ModeImplIbEclEPKbSI_EUlhE_EEPllNS8_4plusIlEEEE10hipError_tPvRmT1_T2_T3_mT4_P12ihipStream_tbEUlT_E0_NS1_11comp_targetILNS1_3genE10ELNS1_11target_archE1201ELNS1_3gpuE5ELNS1_3repE0EEENS1_30default_config_static_selectorELNS0_4arch9wavefront6targetE1EEEvSR_.kd
    .uniform_work_group_size: 1
    .uses_dynamic_stack: false
    .vgpr_count:     0
    .vgpr_spill_count: 0
    .wavefront_size: 64
  - .agpr_count:     0
    .args:
      - .offset:         0
        .size:           72
        .value_kind:     by_value
    .group_segment_fixed_size: 0
    .kernarg_segment_align: 8
    .kernarg_segment_size: 72
    .language:       OpenCL C
    .language_version:
      - 2
      - 0
    .max_flat_workgroup_size: 256
    .name:           _ZN7rocprim17ROCPRIM_400000_NS6detail17trampoline_kernelINS0_14default_configENS1_22reduce_config_selectorIlEEZNS1_11reduce_implILb1ES3_N6thrust23THRUST_200600_302600_NS11hip_rocprim26transform_input_iterator_tIlPKhZN2at6native8ModeImplIbEclEPKbSI_EUlhE_EEPllNS8_4plusIlEEEE10hipError_tPvRmT1_T2_T3_mT4_P12ihipStream_tbEUlT_E0_NS1_11comp_targetILNS1_3genE10ELNS1_11target_archE1200ELNS1_3gpuE4ELNS1_3repE0EEENS1_30default_config_static_selectorELNS0_4arch9wavefront6targetE1EEEvSR_
    .private_segment_fixed_size: 0
    .sgpr_count:     4
    .sgpr_spill_count: 0
    .symbol:         _ZN7rocprim17ROCPRIM_400000_NS6detail17trampoline_kernelINS0_14default_configENS1_22reduce_config_selectorIlEEZNS1_11reduce_implILb1ES3_N6thrust23THRUST_200600_302600_NS11hip_rocprim26transform_input_iterator_tIlPKhZN2at6native8ModeImplIbEclEPKbSI_EUlhE_EEPllNS8_4plusIlEEEE10hipError_tPvRmT1_T2_T3_mT4_P12ihipStream_tbEUlT_E0_NS1_11comp_targetILNS1_3genE10ELNS1_11target_archE1200ELNS1_3gpuE4ELNS1_3repE0EEENS1_30default_config_static_selectorELNS0_4arch9wavefront6targetE1EEEvSR_.kd
    .uniform_work_group_size: 1
    .uses_dynamic_stack: false
    .vgpr_count:     0
    .vgpr_spill_count: 0
    .wavefront_size: 64
  - .agpr_count:     0
    .args:
      - .offset:         0
        .size:           72
        .value_kind:     by_value
    .group_segment_fixed_size: 0
    .kernarg_segment_align: 8
    .kernarg_segment_size: 72
    .language:       OpenCL C
    .language_version:
      - 2
      - 0
    .max_flat_workgroup_size: 256
    .name:           _ZN7rocprim17ROCPRIM_400000_NS6detail17trampoline_kernelINS0_14default_configENS1_22reduce_config_selectorIlEEZNS1_11reduce_implILb1ES3_N6thrust23THRUST_200600_302600_NS11hip_rocprim26transform_input_iterator_tIlPKhZN2at6native8ModeImplIbEclEPKbSI_EUlhE_EEPllNS8_4plusIlEEEE10hipError_tPvRmT1_T2_T3_mT4_P12ihipStream_tbEUlT_E0_NS1_11comp_targetILNS1_3genE9ELNS1_11target_archE1100ELNS1_3gpuE3ELNS1_3repE0EEENS1_30default_config_static_selectorELNS0_4arch9wavefront6targetE1EEEvSR_
    .private_segment_fixed_size: 0
    .sgpr_count:     4
    .sgpr_spill_count: 0
    .symbol:         _ZN7rocprim17ROCPRIM_400000_NS6detail17trampoline_kernelINS0_14default_configENS1_22reduce_config_selectorIlEEZNS1_11reduce_implILb1ES3_N6thrust23THRUST_200600_302600_NS11hip_rocprim26transform_input_iterator_tIlPKhZN2at6native8ModeImplIbEclEPKbSI_EUlhE_EEPllNS8_4plusIlEEEE10hipError_tPvRmT1_T2_T3_mT4_P12ihipStream_tbEUlT_E0_NS1_11comp_targetILNS1_3genE9ELNS1_11target_archE1100ELNS1_3gpuE3ELNS1_3repE0EEENS1_30default_config_static_selectorELNS0_4arch9wavefront6targetE1EEEvSR_.kd
    .uniform_work_group_size: 1
    .uses_dynamic_stack: false
    .vgpr_count:     0
    .vgpr_spill_count: 0
    .wavefront_size: 64
  - .agpr_count:     0
    .args:
      - .offset:         0
        .size:           72
        .value_kind:     by_value
    .group_segment_fixed_size: 0
    .kernarg_segment_align: 8
    .kernarg_segment_size: 72
    .language:       OpenCL C
    .language_version:
      - 2
      - 0
    .max_flat_workgroup_size: 256
    .name:           _ZN7rocprim17ROCPRIM_400000_NS6detail17trampoline_kernelINS0_14default_configENS1_22reduce_config_selectorIlEEZNS1_11reduce_implILb1ES3_N6thrust23THRUST_200600_302600_NS11hip_rocprim26transform_input_iterator_tIlPKhZN2at6native8ModeImplIbEclEPKbSI_EUlhE_EEPllNS8_4plusIlEEEE10hipError_tPvRmT1_T2_T3_mT4_P12ihipStream_tbEUlT_E0_NS1_11comp_targetILNS1_3genE8ELNS1_11target_archE1030ELNS1_3gpuE2ELNS1_3repE0EEENS1_30default_config_static_selectorELNS0_4arch9wavefront6targetE1EEEvSR_
    .private_segment_fixed_size: 0
    .sgpr_count:     4
    .sgpr_spill_count: 0
    .symbol:         _ZN7rocprim17ROCPRIM_400000_NS6detail17trampoline_kernelINS0_14default_configENS1_22reduce_config_selectorIlEEZNS1_11reduce_implILb1ES3_N6thrust23THRUST_200600_302600_NS11hip_rocprim26transform_input_iterator_tIlPKhZN2at6native8ModeImplIbEclEPKbSI_EUlhE_EEPllNS8_4plusIlEEEE10hipError_tPvRmT1_T2_T3_mT4_P12ihipStream_tbEUlT_E0_NS1_11comp_targetILNS1_3genE8ELNS1_11target_archE1030ELNS1_3gpuE2ELNS1_3repE0EEENS1_30default_config_static_selectorELNS0_4arch9wavefront6targetE1EEEvSR_.kd
    .uniform_work_group_size: 1
    .uses_dynamic_stack: false
    .vgpr_count:     0
    .vgpr_spill_count: 0
    .wavefront_size: 64
  - .agpr_count:     0
    .args:
      - .offset:         0
        .size:           56
        .value_kind:     by_value
    .group_segment_fixed_size: 0
    .kernarg_segment_align: 8
    .kernarg_segment_size: 56
    .language:       OpenCL C
    .language_version:
      - 2
      - 0
    .max_flat_workgroup_size: 256
    .name:           _ZN7rocprim17ROCPRIM_400000_NS6detail17trampoline_kernelINS0_14default_configENS1_22reduce_config_selectorIlEEZNS1_11reduce_implILb1ES3_N6thrust23THRUST_200600_302600_NS11hip_rocprim26transform_input_iterator_tIlPKhZN2at6native8ModeImplIbEclEPKbSI_EUlhE_EEPllNS8_4plusIlEEEE10hipError_tPvRmT1_T2_T3_mT4_P12ihipStream_tbEUlT_E1_NS1_11comp_targetILNS1_3genE0ELNS1_11target_archE4294967295ELNS1_3gpuE0ELNS1_3repE0EEENS1_30default_config_static_selectorELNS0_4arch9wavefront6targetE1EEEvSR_
    .private_segment_fixed_size: 0
    .sgpr_count:     4
    .sgpr_spill_count: 0
    .symbol:         _ZN7rocprim17ROCPRIM_400000_NS6detail17trampoline_kernelINS0_14default_configENS1_22reduce_config_selectorIlEEZNS1_11reduce_implILb1ES3_N6thrust23THRUST_200600_302600_NS11hip_rocprim26transform_input_iterator_tIlPKhZN2at6native8ModeImplIbEclEPKbSI_EUlhE_EEPllNS8_4plusIlEEEE10hipError_tPvRmT1_T2_T3_mT4_P12ihipStream_tbEUlT_E1_NS1_11comp_targetILNS1_3genE0ELNS1_11target_archE4294967295ELNS1_3gpuE0ELNS1_3repE0EEENS1_30default_config_static_selectorELNS0_4arch9wavefront6targetE1EEEvSR_.kd
    .uniform_work_group_size: 1
    .uses_dynamic_stack: false
    .vgpr_count:     0
    .vgpr_spill_count: 0
    .wavefront_size: 64
  - .agpr_count:     0
    .args:
      - .offset:         0
        .size:           56
        .value_kind:     by_value
    .group_segment_fixed_size: 0
    .kernarg_segment_align: 8
    .kernarg_segment_size: 56
    .language:       OpenCL C
    .language_version:
      - 2
      - 0
    .max_flat_workgroup_size: 256
    .name:           _ZN7rocprim17ROCPRIM_400000_NS6detail17trampoline_kernelINS0_14default_configENS1_22reduce_config_selectorIlEEZNS1_11reduce_implILb1ES3_N6thrust23THRUST_200600_302600_NS11hip_rocprim26transform_input_iterator_tIlPKhZN2at6native8ModeImplIbEclEPKbSI_EUlhE_EEPllNS8_4plusIlEEEE10hipError_tPvRmT1_T2_T3_mT4_P12ihipStream_tbEUlT_E1_NS1_11comp_targetILNS1_3genE5ELNS1_11target_archE942ELNS1_3gpuE9ELNS1_3repE0EEENS1_30default_config_static_selectorELNS0_4arch9wavefront6targetE1EEEvSR_
    .private_segment_fixed_size: 0
    .sgpr_count:     4
    .sgpr_spill_count: 0
    .symbol:         _ZN7rocprim17ROCPRIM_400000_NS6detail17trampoline_kernelINS0_14default_configENS1_22reduce_config_selectorIlEEZNS1_11reduce_implILb1ES3_N6thrust23THRUST_200600_302600_NS11hip_rocprim26transform_input_iterator_tIlPKhZN2at6native8ModeImplIbEclEPKbSI_EUlhE_EEPllNS8_4plusIlEEEE10hipError_tPvRmT1_T2_T3_mT4_P12ihipStream_tbEUlT_E1_NS1_11comp_targetILNS1_3genE5ELNS1_11target_archE942ELNS1_3gpuE9ELNS1_3repE0EEENS1_30default_config_static_selectorELNS0_4arch9wavefront6targetE1EEEvSR_.kd
    .uniform_work_group_size: 1
    .uses_dynamic_stack: false
    .vgpr_count:     0
    .vgpr_spill_count: 0
    .wavefront_size: 64
  - .agpr_count:     0
    .args:
      - .offset:         0
        .size:           56
        .value_kind:     by_value
    .group_segment_fixed_size: 192
    .kernarg_segment_align: 8
    .kernarg_segment_size: 56
    .language:       OpenCL C
    .language_version:
      - 2
      - 0
    .max_flat_workgroup_size: 256
    .name:           _ZN7rocprim17ROCPRIM_400000_NS6detail17trampoline_kernelINS0_14default_configENS1_22reduce_config_selectorIlEEZNS1_11reduce_implILb1ES3_N6thrust23THRUST_200600_302600_NS11hip_rocprim26transform_input_iterator_tIlPKhZN2at6native8ModeImplIbEclEPKbSI_EUlhE_EEPllNS8_4plusIlEEEE10hipError_tPvRmT1_T2_T3_mT4_P12ihipStream_tbEUlT_E1_NS1_11comp_targetILNS1_3genE4ELNS1_11target_archE910ELNS1_3gpuE8ELNS1_3repE0EEENS1_30default_config_static_selectorELNS0_4arch9wavefront6targetE1EEEvSR_
    .private_segment_fixed_size: 0
    .sgpr_count:     51
    .sgpr_spill_count: 0
    .symbol:         _ZN7rocprim17ROCPRIM_400000_NS6detail17trampoline_kernelINS0_14default_configENS1_22reduce_config_selectorIlEEZNS1_11reduce_implILb1ES3_N6thrust23THRUST_200600_302600_NS11hip_rocprim26transform_input_iterator_tIlPKhZN2at6native8ModeImplIbEclEPKbSI_EUlhE_EEPllNS8_4plusIlEEEE10hipError_tPvRmT1_T2_T3_mT4_P12ihipStream_tbEUlT_E1_NS1_11comp_targetILNS1_3genE4ELNS1_11target_archE910ELNS1_3gpuE8ELNS1_3repE0EEENS1_30default_config_static_selectorELNS0_4arch9wavefront6targetE1EEEvSR_.kd
    .uniform_work_group_size: 1
    .uses_dynamic_stack: false
    .vgpr_count:     34
    .vgpr_spill_count: 0
    .wavefront_size: 64
  - .agpr_count:     0
    .args:
      - .offset:         0
        .size:           56
        .value_kind:     by_value
    .group_segment_fixed_size: 0
    .kernarg_segment_align: 8
    .kernarg_segment_size: 56
    .language:       OpenCL C
    .language_version:
      - 2
      - 0
    .max_flat_workgroup_size: 256
    .name:           _ZN7rocprim17ROCPRIM_400000_NS6detail17trampoline_kernelINS0_14default_configENS1_22reduce_config_selectorIlEEZNS1_11reduce_implILb1ES3_N6thrust23THRUST_200600_302600_NS11hip_rocprim26transform_input_iterator_tIlPKhZN2at6native8ModeImplIbEclEPKbSI_EUlhE_EEPllNS8_4plusIlEEEE10hipError_tPvRmT1_T2_T3_mT4_P12ihipStream_tbEUlT_E1_NS1_11comp_targetILNS1_3genE3ELNS1_11target_archE908ELNS1_3gpuE7ELNS1_3repE0EEENS1_30default_config_static_selectorELNS0_4arch9wavefront6targetE1EEEvSR_
    .private_segment_fixed_size: 0
    .sgpr_count:     4
    .sgpr_spill_count: 0
    .symbol:         _ZN7rocprim17ROCPRIM_400000_NS6detail17trampoline_kernelINS0_14default_configENS1_22reduce_config_selectorIlEEZNS1_11reduce_implILb1ES3_N6thrust23THRUST_200600_302600_NS11hip_rocprim26transform_input_iterator_tIlPKhZN2at6native8ModeImplIbEclEPKbSI_EUlhE_EEPllNS8_4plusIlEEEE10hipError_tPvRmT1_T2_T3_mT4_P12ihipStream_tbEUlT_E1_NS1_11comp_targetILNS1_3genE3ELNS1_11target_archE908ELNS1_3gpuE7ELNS1_3repE0EEENS1_30default_config_static_selectorELNS0_4arch9wavefront6targetE1EEEvSR_.kd
    .uniform_work_group_size: 1
    .uses_dynamic_stack: false
    .vgpr_count:     0
    .vgpr_spill_count: 0
    .wavefront_size: 64
  - .agpr_count:     0
    .args:
      - .offset:         0
        .size:           56
        .value_kind:     by_value
    .group_segment_fixed_size: 0
    .kernarg_segment_align: 8
    .kernarg_segment_size: 56
    .language:       OpenCL C
    .language_version:
      - 2
      - 0
    .max_flat_workgroup_size: 256
    .name:           _ZN7rocprim17ROCPRIM_400000_NS6detail17trampoline_kernelINS0_14default_configENS1_22reduce_config_selectorIlEEZNS1_11reduce_implILb1ES3_N6thrust23THRUST_200600_302600_NS11hip_rocprim26transform_input_iterator_tIlPKhZN2at6native8ModeImplIbEclEPKbSI_EUlhE_EEPllNS8_4plusIlEEEE10hipError_tPvRmT1_T2_T3_mT4_P12ihipStream_tbEUlT_E1_NS1_11comp_targetILNS1_3genE2ELNS1_11target_archE906ELNS1_3gpuE6ELNS1_3repE0EEENS1_30default_config_static_selectorELNS0_4arch9wavefront6targetE1EEEvSR_
    .private_segment_fixed_size: 0
    .sgpr_count:     4
    .sgpr_spill_count: 0
    .symbol:         _ZN7rocprim17ROCPRIM_400000_NS6detail17trampoline_kernelINS0_14default_configENS1_22reduce_config_selectorIlEEZNS1_11reduce_implILb1ES3_N6thrust23THRUST_200600_302600_NS11hip_rocprim26transform_input_iterator_tIlPKhZN2at6native8ModeImplIbEclEPKbSI_EUlhE_EEPllNS8_4plusIlEEEE10hipError_tPvRmT1_T2_T3_mT4_P12ihipStream_tbEUlT_E1_NS1_11comp_targetILNS1_3genE2ELNS1_11target_archE906ELNS1_3gpuE6ELNS1_3repE0EEENS1_30default_config_static_selectorELNS0_4arch9wavefront6targetE1EEEvSR_.kd
    .uniform_work_group_size: 1
    .uses_dynamic_stack: false
    .vgpr_count:     0
    .vgpr_spill_count: 0
    .wavefront_size: 64
  - .agpr_count:     0
    .args:
      - .offset:         0
        .size:           56
        .value_kind:     by_value
    .group_segment_fixed_size: 0
    .kernarg_segment_align: 8
    .kernarg_segment_size: 56
    .language:       OpenCL C
    .language_version:
      - 2
      - 0
    .max_flat_workgroup_size: 256
    .name:           _ZN7rocprim17ROCPRIM_400000_NS6detail17trampoline_kernelINS0_14default_configENS1_22reduce_config_selectorIlEEZNS1_11reduce_implILb1ES3_N6thrust23THRUST_200600_302600_NS11hip_rocprim26transform_input_iterator_tIlPKhZN2at6native8ModeImplIbEclEPKbSI_EUlhE_EEPllNS8_4plusIlEEEE10hipError_tPvRmT1_T2_T3_mT4_P12ihipStream_tbEUlT_E1_NS1_11comp_targetILNS1_3genE10ELNS1_11target_archE1201ELNS1_3gpuE5ELNS1_3repE0EEENS1_30default_config_static_selectorELNS0_4arch9wavefront6targetE1EEEvSR_
    .private_segment_fixed_size: 0
    .sgpr_count:     4
    .sgpr_spill_count: 0
    .symbol:         _ZN7rocprim17ROCPRIM_400000_NS6detail17trampoline_kernelINS0_14default_configENS1_22reduce_config_selectorIlEEZNS1_11reduce_implILb1ES3_N6thrust23THRUST_200600_302600_NS11hip_rocprim26transform_input_iterator_tIlPKhZN2at6native8ModeImplIbEclEPKbSI_EUlhE_EEPllNS8_4plusIlEEEE10hipError_tPvRmT1_T2_T3_mT4_P12ihipStream_tbEUlT_E1_NS1_11comp_targetILNS1_3genE10ELNS1_11target_archE1201ELNS1_3gpuE5ELNS1_3repE0EEENS1_30default_config_static_selectorELNS0_4arch9wavefront6targetE1EEEvSR_.kd
    .uniform_work_group_size: 1
    .uses_dynamic_stack: false
    .vgpr_count:     0
    .vgpr_spill_count: 0
    .wavefront_size: 64
  - .agpr_count:     0
    .args:
      - .offset:         0
        .size:           56
        .value_kind:     by_value
    .group_segment_fixed_size: 0
    .kernarg_segment_align: 8
    .kernarg_segment_size: 56
    .language:       OpenCL C
    .language_version:
      - 2
      - 0
    .max_flat_workgroup_size: 256
    .name:           _ZN7rocprim17ROCPRIM_400000_NS6detail17trampoline_kernelINS0_14default_configENS1_22reduce_config_selectorIlEEZNS1_11reduce_implILb1ES3_N6thrust23THRUST_200600_302600_NS11hip_rocprim26transform_input_iterator_tIlPKhZN2at6native8ModeImplIbEclEPKbSI_EUlhE_EEPllNS8_4plusIlEEEE10hipError_tPvRmT1_T2_T3_mT4_P12ihipStream_tbEUlT_E1_NS1_11comp_targetILNS1_3genE10ELNS1_11target_archE1200ELNS1_3gpuE4ELNS1_3repE0EEENS1_30default_config_static_selectorELNS0_4arch9wavefront6targetE1EEEvSR_
    .private_segment_fixed_size: 0
    .sgpr_count:     4
    .sgpr_spill_count: 0
    .symbol:         _ZN7rocprim17ROCPRIM_400000_NS6detail17trampoline_kernelINS0_14default_configENS1_22reduce_config_selectorIlEEZNS1_11reduce_implILb1ES3_N6thrust23THRUST_200600_302600_NS11hip_rocprim26transform_input_iterator_tIlPKhZN2at6native8ModeImplIbEclEPKbSI_EUlhE_EEPllNS8_4plusIlEEEE10hipError_tPvRmT1_T2_T3_mT4_P12ihipStream_tbEUlT_E1_NS1_11comp_targetILNS1_3genE10ELNS1_11target_archE1200ELNS1_3gpuE4ELNS1_3repE0EEENS1_30default_config_static_selectorELNS0_4arch9wavefront6targetE1EEEvSR_.kd
    .uniform_work_group_size: 1
    .uses_dynamic_stack: false
    .vgpr_count:     0
    .vgpr_spill_count: 0
    .wavefront_size: 64
  - .agpr_count:     0
    .args:
      - .offset:         0
        .size:           56
        .value_kind:     by_value
    .group_segment_fixed_size: 0
    .kernarg_segment_align: 8
    .kernarg_segment_size: 56
    .language:       OpenCL C
    .language_version:
      - 2
      - 0
    .max_flat_workgroup_size: 256
    .name:           _ZN7rocprim17ROCPRIM_400000_NS6detail17trampoline_kernelINS0_14default_configENS1_22reduce_config_selectorIlEEZNS1_11reduce_implILb1ES3_N6thrust23THRUST_200600_302600_NS11hip_rocprim26transform_input_iterator_tIlPKhZN2at6native8ModeImplIbEclEPKbSI_EUlhE_EEPllNS8_4plusIlEEEE10hipError_tPvRmT1_T2_T3_mT4_P12ihipStream_tbEUlT_E1_NS1_11comp_targetILNS1_3genE9ELNS1_11target_archE1100ELNS1_3gpuE3ELNS1_3repE0EEENS1_30default_config_static_selectorELNS0_4arch9wavefront6targetE1EEEvSR_
    .private_segment_fixed_size: 0
    .sgpr_count:     4
    .sgpr_spill_count: 0
    .symbol:         _ZN7rocprim17ROCPRIM_400000_NS6detail17trampoline_kernelINS0_14default_configENS1_22reduce_config_selectorIlEEZNS1_11reduce_implILb1ES3_N6thrust23THRUST_200600_302600_NS11hip_rocprim26transform_input_iterator_tIlPKhZN2at6native8ModeImplIbEclEPKbSI_EUlhE_EEPllNS8_4plusIlEEEE10hipError_tPvRmT1_T2_T3_mT4_P12ihipStream_tbEUlT_E1_NS1_11comp_targetILNS1_3genE9ELNS1_11target_archE1100ELNS1_3gpuE3ELNS1_3repE0EEENS1_30default_config_static_selectorELNS0_4arch9wavefront6targetE1EEEvSR_.kd
    .uniform_work_group_size: 1
    .uses_dynamic_stack: false
    .vgpr_count:     0
    .vgpr_spill_count: 0
    .wavefront_size: 64
  - .agpr_count:     0
    .args:
      - .offset:         0
        .size:           56
        .value_kind:     by_value
    .group_segment_fixed_size: 0
    .kernarg_segment_align: 8
    .kernarg_segment_size: 56
    .language:       OpenCL C
    .language_version:
      - 2
      - 0
    .max_flat_workgroup_size: 256
    .name:           _ZN7rocprim17ROCPRIM_400000_NS6detail17trampoline_kernelINS0_14default_configENS1_22reduce_config_selectorIlEEZNS1_11reduce_implILb1ES3_N6thrust23THRUST_200600_302600_NS11hip_rocprim26transform_input_iterator_tIlPKhZN2at6native8ModeImplIbEclEPKbSI_EUlhE_EEPllNS8_4plusIlEEEE10hipError_tPvRmT1_T2_T3_mT4_P12ihipStream_tbEUlT_E1_NS1_11comp_targetILNS1_3genE8ELNS1_11target_archE1030ELNS1_3gpuE2ELNS1_3repE0EEENS1_30default_config_static_selectorELNS0_4arch9wavefront6targetE1EEEvSR_
    .private_segment_fixed_size: 0
    .sgpr_count:     4
    .sgpr_spill_count: 0
    .symbol:         _ZN7rocprim17ROCPRIM_400000_NS6detail17trampoline_kernelINS0_14default_configENS1_22reduce_config_selectorIlEEZNS1_11reduce_implILb1ES3_N6thrust23THRUST_200600_302600_NS11hip_rocprim26transform_input_iterator_tIlPKhZN2at6native8ModeImplIbEclEPKbSI_EUlhE_EEPllNS8_4plusIlEEEE10hipError_tPvRmT1_T2_T3_mT4_P12ihipStream_tbEUlT_E1_NS1_11comp_targetILNS1_3genE8ELNS1_11target_archE1030ELNS1_3gpuE2ELNS1_3repE0EEENS1_30default_config_static_selectorELNS0_4arch9wavefront6targetE1EEEvSR_.kd
    .uniform_work_group_size: 1
    .uses_dynamic_stack: false
    .vgpr_count:     0
    .vgpr_spill_count: 0
    .wavefront_size: 64
  - .agpr_count:     0
    .args:
      - .offset:         0
        .size:           72
        .value_kind:     by_value
    .group_segment_fixed_size: 0
    .kernarg_segment_align: 8
    .kernarg_segment_size: 72
    .language:       OpenCL C
    .language_version:
      - 2
      - 0
    .max_flat_workgroup_size: 128
    .name:           _ZN7rocprim17ROCPRIM_400000_NS6detail17trampoline_kernelINS0_14default_configENS1_22reduce_config_selectorIN6thrust23THRUST_200600_302600_NS5tupleIblNS6_9null_typeES8_S8_S8_S8_S8_S8_S8_EEEEZNS1_11reduce_implILb1ES3_PS9_SC_S9_NS6_11hip_rocprim9__find_if7functorIS9_EEEE10hipError_tPvRmT1_T2_T3_mT4_P12ihipStream_tbEUlT_E0_NS1_11comp_targetILNS1_3genE0ELNS1_11target_archE4294967295ELNS1_3gpuE0ELNS1_3repE0EEENS1_30default_config_static_selectorELNS0_4arch9wavefront6targetE1EEEvSK_
    .private_segment_fixed_size: 0
    .sgpr_count:     4
    .sgpr_spill_count: 0
    .symbol:         _ZN7rocprim17ROCPRIM_400000_NS6detail17trampoline_kernelINS0_14default_configENS1_22reduce_config_selectorIN6thrust23THRUST_200600_302600_NS5tupleIblNS6_9null_typeES8_S8_S8_S8_S8_S8_S8_EEEEZNS1_11reduce_implILb1ES3_PS9_SC_S9_NS6_11hip_rocprim9__find_if7functorIS9_EEEE10hipError_tPvRmT1_T2_T3_mT4_P12ihipStream_tbEUlT_E0_NS1_11comp_targetILNS1_3genE0ELNS1_11target_archE4294967295ELNS1_3gpuE0ELNS1_3repE0EEENS1_30default_config_static_selectorELNS0_4arch9wavefront6targetE1EEEvSK_.kd
    .uniform_work_group_size: 1
    .uses_dynamic_stack: false
    .vgpr_count:     0
    .vgpr_spill_count: 0
    .wavefront_size: 64
  - .agpr_count:     0
    .args:
      - .offset:         0
        .size:           72
        .value_kind:     by_value
    .group_segment_fixed_size: 0
    .kernarg_segment_align: 8
    .kernarg_segment_size: 72
    .language:       OpenCL C
    .language_version:
      - 2
      - 0
    .max_flat_workgroup_size: 256
    .name:           _ZN7rocprim17ROCPRIM_400000_NS6detail17trampoline_kernelINS0_14default_configENS1_22reduce_config_selectorIN6thrust23THRUST_200600_302600_NS5tupleIblNS6_9null_typeES8_S8_S8_S8_S8_S8_S8_EEEEZNS1_11reduce_implILb1ES3_PS9_SC_S9_NS6_11hip_rocprim9__find_if7functorIS9_EEEE10hipError_tPvRmT1_T2_T3_mT4_P12ihipStream_tbEUlT_E0_NS1_11comp_targetILNS1_3genE5ELNS1_11target_archE942ELNS1_3gpuE9ELNS1_3repE0EEENS1_30default_config_static_selectorELNS0_4arch9wavefront6targetE1EEEvSK_
    .private_segment_fixed_size: 0
    .sgpr_count:     4
    .sgpr_spill_count: 0
    .symbol:         _ZN7rocprim17ROCPRIM_400000_NS6detail17trampoline_kernelINS0_14default_configENS1_22reduce_config_selectorIN6thrust23THRUST_200600_302600_NS5tupleIblNS6_9null_typeES8_S8_S8_S8_S8_S8_S8_EEEEZNS1_11reduce_implILb1ES3_PS9_SC_S9_NS6_11hip_rocprim9__find_if7functorIS9_EEEE10hipError_tPvRmT1_T2_T3_mT4_P12ihipStream_tbEUlT_E0_NS1_11comp_targetILNS1_3genE5ELNS1_11target_archE942ELNS1_3gpuE9ELNS1_3repE0EEENS1_30default_config_static_selectorELNS0_4arch9wavefront6targetE1EEEvSK_.kd
    .uniform_work_group_size: 1
    .uses_dynamic_stack: false
    .vgpr_count:     0
    .vgpr_spill_count: 0
    .wavefront_size: 64
  - .agpr_count:     0
    .args:
      - .offset:         0
        .size:           72
        .value_kind:     by_value
    .group_segment_fixed_size: 128
    .kernarg_segment_align: 8
    .kernarg_segment_size: 72
    .language:       OpenCL C
    .language_version:
      - 2
      - 0
    .max_flat_workgroup_size: 256
    .name:           _ZN7rocprim17ROCPRIM_400000_NS6detail17trampoline_kernelINS0_14default_configENS1_22reduce_config_selectorIN6thrust23THRUST_200600_302600_NS5tupleIblNS6_9null_typeES8_S8_S8_S8_S8_S8_S8_EEEEZNS1_11reduce_implILb1ES3_PS9_SC_S9_NS6_11hip_rocprim9__find_if7functorIS9_EEEE10hipError_tPvRmT1_T2_T3_mT4_P12ihipStream_tbEUlT_E0_NS1_11comp_targetILNS1_3genE4ELNS1_11target_archE910ELNS1_3gpuE8ELNS1_3repE0EEENS1_30default_config_static_selectorELNS0_4arch9wavefront6targetE1EEEvSK_
    .private_segment_fixed_size: 0
    .sgpr_count:     26
    .sgpr_spill_count: 0
    .symbol:         _ZN7rocprim17ROCPRIM_400000_NS6detail17trampoline_kernelINS0_14default_configENS1_22reduce_config_selectorIN6thrust23THRUST_200600_302600_NS5tupleIblNS6_9null_typeES8_S8_S8_S8_S8_S8_S8_EEEEZNS1_11reduce_implILb1ES3_PS9_SC_S9_NS6_11hip_rocprim9__find_if7functorIS9_EEEE10hipError_tPvRmT1_T2_T3_mT4_P12ihipStream_tbEUlT_E0_NS1_11comp_targetILNS1_3genE4ELNS1_11target_archE910ELNS1_3gpuE8ELNS1_3repE0EEENS1_30default_config_static_selectorELNS0_4arch9wavefront6targetE1EEEvSK_.kd
    .uniform_work_group_size: 1
    .uses_dynamic_stack: false
    .vgpr_count:     12
    .vgpr_spill_count: 0
    .wavefront_size: 64
  - .agpr_count:     0
    .args:
      - .offset:         0
        .size:           72
        .value_kind:     by_value
    .group_segment_fixed_size: 0
    .kernarg_segment_align: 8
    .kernarg_segment_size: 72
    .language:       OpenCL C
    .language_version:
      - 2
      - 0
    .max_flat_workgroup_size: 128
    .name:           _ZN7rocprim17ROCPRIM_400000_NS6detail17trampoline_kernelINS0_14default_configENS1_22reduce_config_selectorIN6thrust23THRUST_200600_302600_NS5tupleIblNS6_9null_typeES8_S8_S8_S8_S8_S8_S8_EEEEZNS1_11reduce_implILb1ES3_PS9_SC_S9_NS6_11hip_rocprim9__find_if7functorIS9_EEEE10hipError_tPvRmT1_T2_T3_mT4_P12ihipStream_tbEUlT_E0_NS1_11comp_targetILNS1_3genE3ELNS1_11target_archE908ELNS1_3gpuE7ELNS1_3repE0EEENS1_30default_config_static_selectorELNS0_4arch9wavefront6targetE1EEEvSK_
    .private_segment_fixed_size: 0
    .sgpr_count:     4
    .sgpr_spill_count: 0
    .symbol:         _ZN7rocprim17ROCPRIM_400000_NS6detail17trampoline_kernelINS0_14default_configENS1_22reduce_config_selectorIN6thrust23THRUST_200600_302600_NS5tupleIblNS6_9null_typeES8_S8_S8_S8_S8_S8_S8_EEEEZNS1_11reduce_implILb1ES3_PS9_SC_S9_NS6_11hip_rocprim9__find_if7functorIS9_EEEE10hipError_tPvRmT1_T2_T3_mT4_P12ihipStream_tbEUlT_E0_NS1_11comp_targetILNS1_3genE3ELNS1_11target_archE908ELNS1_3gpuE7ELNS1_3repE0EEENS1_30default_config_static_selectorELNS0_4arch9wavefront6targetE1EEEvSK_.kd
    .uniform_work_group_size: 1
    .uses_dynamic_stack: false
    .vgpr_count:     0
    .vgpr_spill_count: 0
    .wavefront_size: 64
  - .agpr_count:     0
    .args:
      - .offset:         0
        .size:           72
        .value_kind:     by_value
    .group_segment_fixed_size: 0
    .kernarg_segment_align: 8
    .kernarg_segment_size: 72
    .language:       OpenCL C
    .language_version:
      - 2
      - 0
    .max_flat_workgroup_size: 128
    .name:           _ZN7rocprim17ROCPRIM_400000_NS6detail17trampoline_kernelINS0_14default_configENS1_22reduce_config_selectorIN6thrust23THRUST_200600_302600_NS5tupleIblNS6_9null_typeES8_S8_S8_S8_S8_S8_S8_EEEEZNS1_11reduce_implILb1ES3_PS9_SC_S9_NS6_11hip_rocprim9__find_if7functorIS9_EEEE10hipError_tPvRmT1_T2_T3_mT4_P12ihipStream_tbEUlT_E0_NS1_11comp_targetILNS1_3genE2ELNS1_11target_archE906ELNS1_3gpuE6ELNS1_3repE0EEENS1_30default_config_static_selectorELNS0_4arch9wavefront6targetE1EEEvSK_
    .private_segment_fixed_size: 0
    .sgpr_count:     4
    .sgpr_spill_count: 0
    .symbol:         _ZN7rocprim17ROCPRIM_400000_NS6detail17trampoline_kernelINS0_14default_configENS1_22reduce_config_selectorIN6thrust23THRUST_200600_302600_NS5tupleIblNS6_9null_typeES8_S8_S8_S8_S8_S8_S8_EEEEZNS1_11reduce_implILb1ES3_PS9_SC_S9_NS6_11hip_rocprim9__find_if7functorIS9_EEEE10hipError_tPvRmT1_T2_T3_mT4_P12ihipStream_tbEUlT_E0_NS1_11comp_targetILNS1_3genE2ELNS1_11target_archE906ELNS1_3gpuE6ELNS1_3repE0EEENS1_30default_config_static_selectorELNS0_4arch9wavefront6targetE1EEEvSK_.kd
    .uniform_work_group_size: 1
    .uses_dynamic_stack: false
    .vgpr_count:     0
    .vgpr_spill_count: 0
    .wavefront_size: 64
  - .agpr_count:     0
    .args:
      - .offset:         0
        .size:           72
        .value_kind:     by_value
    .group_segment_fixed_size: 0
    .kernarg_segment_align: 8
    .kernarg_segment_size: 72
    .language:       OpenCL C
    .language_version:
      - 2
      - 0
    .max_flat_workgroup_size: 256
    .name:           _ZN7rocprim17ROCPRIM_400000_NS6detail17trampoline_kernelINS0_14default_configENS1_22reduce_config_selectorIN6thrust23THRUST_200600_302600_NS5tupleIblNS6_9null_typeES8_S8_S8_S8_S8_S8_S8_EEEEZNS1_11reduce_implILb1ES3_PS9_SC_S9_NS6_11hip_rocprim9__find_if7functorIS9_EEEE10hipError_tPvRmT1_T2_T3_mT4_P12ihipStream_tbEUlT_E0_NS1_11comp_targetILNS1_3genE10ELNS1_11target_archE1201ELNS1_3gpuE5ELNS1_3repE0EEENS1_30default_config_static_selectorELNS0_4arch9wavefront6targetE1EEEvSK_
    .private_segment_fixed_size: 0
    .sgpr_count:     4
    .sgpr_spill_count: 0
    .symbol:         _ZN7rocprim17ROCPRIM_400000_NS6detail17trampoline_kernelINS0_14default_configENS1_22reduce_config_selectorIN6thrust23THRUST_200600_302600_NS5tupleIblNS6_9null_typeES8_S8_S8_S8_S8_S8_S8_EEEEZNS1_11reduce_implILb1ES3_PS9_SC_S9_NS6_11hip_rocprim9__find_if7functorIS9_EEEE10hipError_tPvRmT1_T2_T3_mT4_P12ihipStream_tbEUlT_E0_NS1_11comp_targetILNS1_3genE10ELNS1_11target_archE1201ELNS1_3gpuE5ELNS1_3repE0EEENS1_30default_config_static_selectorELNS0_4arch9wavefront6targetE1EEEvSK_.kd
    .uniform_work_group_size: 1
    .uses_dynamic_stack: false
    .vgpr_count:     0
    .vgpr_spill_count: 0
    .wavefront_size: 64
  - .agpr_count:     0
    .args:
      - .offset:         0
        .size:           72
        .value_kind:     by_value
    .group_segment_fixed_size: 0
    .kernarg_segment_align: 8
    .kernarg_segment_size: 72
    .language:       OpenCL C
    .language_version:
      - 2
      - 0
    .max_flat_workgroup_size: 256
    .name:           _ZN7rocprim17ROCPRIM_400000_NS6detail17trampoline_kernelINS0_14default_configENS1_22reduce_config_selectorIN6thrust23THRUST_200600_302600_NS5tupleIblNS6_9null_typeES8_S8_S8_S8_S8_S8_S8_EEEEZNS1_11reduce_implILb1ES3_PS9_SC_S9_NS6_11hip_rocprim9__find_if7functorIS9_EEEE10hipError_tPvRmT1_T2_T3_mT4_P12ihipStream_tbEUlT_E0_NS1_11comp_targetILNS1_3genE10ELNS1_11target_archE1200ELNS1_3gpuE4ELNS1_3repE0EEENS1_30default_config_static_selectorELNS0_4arch9wavefront6targetE1EEEvSK_
    .private_segment_fixed_size: 0
    .sgpr_count:     4
    .sgpr_spill_count: 0
    .symbol:         _ZN7rocprim17ROCPRIM_400000_NS6detail17trampoline_kernelINS0_14default_configENS1_22reduce_config_selectorIN6thrust23THRUST_200600_302600_NS5tupleIblNS6_9null_typeES8_S8_S8_S8_S8_S8_S8_EEEEZNS1_11reduce_implILb1ES3_PS9_SC_S9_NS6_11hip_rocprim9__find_if7functorIS9_EEEE10hipError_tPvRmT1_T2_T3_mT4_P12ihipStream_tbEUlT_E0_NS1_11comp_targetILNS1_3genE10ELNS1_11target_archE1200ELNS1_3gpuE4ELNS1_3repE0EEENS1_30default_config_static_selectorELNS0_4arch9wavefront6targetE1EEEvSK_.kd
    .uniform_work_group_size: 1
    .uses_dynamic_stack: false
    .vgpr_count:     0
    .vgpr_spill_count: 0
    .wavefront_size: 64
  - .agpr_count:     0
    .args:
      - .offset:         0
        .size:           72
        .value_kind:     by_value
    .group_segment_fixed_size: 0
    .kernarg_segment_align: 8
    .kernarg_segment_size: 72
    .language:       OpenCL C
    .language_version:
      - 2
      - 0
    .max_flat_workgroup_size: 256
    .name:           _ZN7rocprim17ROCPRIM_400000_NS6detail17trampoline_kernelINS0_14default_configENS1_22reduce_config_selectorIN6thrust23THRUST_200600_302600_NS5tupleIblNS6_9null_typeES8_S8_S8_S8_S8_S8_S8_EEEEZNS1_11reduce_implILb1ES3_PS9_SC_S9_NS6_11hip_rocprim9__find_if7functorIS9_EEEE10hipError_tPvRmT1_T2_T3_mT4_P12ihipStream_tbEUlT_E0_NS1_11comp_targetILNS1_3genE9ELNS1_11target_archE1100ELNS1_3gpuE3ELNS1_3repE0EEENS1_30default_config_static_selectorELNS0_4arch9wavefront6targetE1EEEvSK_
    .private_segment_fixed_size: 0
    .sgpr_count:     4
    .sgpr_spill_count: 0
    .symbol:         _ZN7rocprim17ROCPRIM_400000_NS6detail17trampoline_kernelINS0_14default_configENS1_22reduce_config_selectorIN6thrust23THRUST_200600_302600_NS5tupleIblNS6_9null_typeES8_S8_S8_S8_S8_S8_S8_EEEEZNS1_11reduce_implILb1ES3_PS9_SC_S9_NS6_11hip_rocprim9__find_if7functorIS9_EEEE10hipError_tPvRmT1_T2_T3_mT4_P12ihipStream_tbEUlT_E0_NS1_11comp_targetILNS1_3genE9ELNS1_11target_archE1100ELNS1_3gpuE3ELNS1_3repE0EEENS1_30default_config_static_selectorELNS0_4arch9wavefront6targetE1EEEvSK_.kd
    .uniform_work_group_size: 1
    .uses_dynamic_stack: false
    .vgpr_count:     0
    .vgpr_spill_count: 0
    .wavefront_size: 64
  - .agpr_count:     0
    .args:
      - .offset:         0
        .size:           72
        .value_kind:     by_value
    .group_segment_fixed_size: 0
    .kernarg_segment_align: 8
    .kernarg_segment_size: 72
    .language:       OpenCL C
    .language_version:
      - 2
      - 0
    .max_flat_workgroup_size: 256
    .name:           _ZN7rocprim17ROCPRIM_400000_NS6detail17trampoline_kernelINS0_14default_configENS1_22reduce_config_selectorIN6thrust23THRUST_200600_302600_NS5tupleIblNS6_9null_typeES8_S8_S8_S8_S8_S8_S8_EEEEZNS1_11reduce_implILb1ES3_PS9_SC_S9_NS6_11hip_rocprim9__find_if7functorIS9_EEEE10hipError_tPvRmT1_T2_T3_mT4_P12ihipStream_tbEUlT_E0_NS1_11comp_targetILNS1_3genE8ELNS1_11target_archE1030ELNS1_3gpuE2ELNS1_3repE0EEENS1_30default_config_static_selectorELNS0_4arch9wavefront6targetE1EEEvSK_
    .private_segment_fixed_size: 0
    .sgpr_count:     4
    .sgpr_spill_count: 0
    .symbol:         _ZN7rocprim17ROCPRIM_400000_NS6detail17trampoline_kernelINS0_14default_configENS1_22reduce_config_selectorIN6thrust23THRUST_200600_302600_NS5tupleIblNS6_9null_typeES8_S8_S8_S8_S8_S8_S8_EEEEZNS1_11reduce_implILb1ES3_PS9_SC_S9_NS6_11hip_rocprim9__find_if7functorIS9_EEEE10hipError_tPvRmT1_T2_T3_mT4_P12ihipStream_tbEUlT_E0_NS1_11comp_targetILNS1_3genE8ELNS1_11target_archE1030ELNS1_3gpuE2ELNS1_3repE0EEENS1_30default_config_static_selectorELNS0_4arch9wavefront6targetE1EEEvSK_.kd
    .uniform_work_group_size: 1
    .uses_dynamic_stack: false
    .vgpr_count:     0
    .vgpr_spill_count: 0
    .wavefront_size: 64
  - .agpr_count:     0
    .args:
      - .offset:         0
        .size:           56
        .value_kind:     by_value
    .group_segment_fixed_size: 0
    .kernarg_segment_align: 8
    .kernarg_segment_size: 56
    .language:       OpenCL C
    .language_version:
      - 2
      - 0
    .max_flat_workgroup_size: 128
    .name:           _ZN7rocprim17ROCPRIM_400000_NS6detail17trampoline_kernelINS0_14default_configENS1_22reduce_config_selectorIN6thrust23THRUST_200600_302600_NS5tupleIblNS6_9null_typeES8_S8_S8_S8_S8_S8_S8_EEEEZNS1_11reduce_implILb1ES3_PS9_SC_S9_NS6_11hip_rocprim9__find_if7functorIS9_EEEE10hipError_tPvRmT1_T2_T3_mT4_P12ihipStream_tbEUlT_E1_NS1_11comp_targetILNS1_3genE0ELNS1_11target_archE4294967295ELNS1_3gpuE0ELNS1_3repE0EEENS1_30default_config_static_selectorELNS0_4arch9wavefront6targetE1EEEvSK_
    .private_segment_fixed_size: 0
    .sgpr_count:     4
    .sgpr_spill_count: 0
    .symbol:         _ZN7rocprim17ROCPRIM_400000_NS6detail17trampoline_kernelINS0_14default_configENS1_22reduce_config_selectorIN6thrust23THRUST_200600_302600_NS5tupleIblNS6_9null_typeES8_S8_S8_S8_S8_S8_S8_EEEEZNS1_11reduce_implILb1ES3_PS9_SC_S9_NS6_11hip_rocprim9__find_if7functorIS9_EEEE10hipError_tPvRmT1_T2_T3_mT4_P12ihipStream_tbEUlT_E1_NS1_11comp_targetILNS1_3genE0ELNS1_11target_archE4294967295ELNS1_3gpuE0ELNS1_3repE0EEENS1_30default_config_static_selectorELNS0_4arch9wavefront6targetE1EEEvSK_.kd
    .uniform_work_group_size: 1
    .uses_dynamic_stack: false
    .vgpr_count:     0
    .vgpr_spill_count: 0
    .wavefront_size: 64
  - .agpr_count:     0
    .args:
      - .offset:         0
        .size:           56
        .value_kind:     by_value
    .group_segment_fixed_size: 0
    .kernarg_segment_align: 8
    .kernarg_segment_size: 56
    .language:       OpenCL C
    .language_version:
      - 2
      - 0
    .max_flat_workgroup_size: 256
    .name:           _ZN7rocprim17ROCPRIM_400000_NS6detail17trampoline_kernelINS0_14default_configENS1_22reduce_config_selectorIN6thrust23THRUST_200600_302600_NS5tupleIblNS6_9null_typeES8_S8_S8_S8_S8_S8_S8_EEEEZNS1_11reduce_implILb1ES3_PS9_SC_S9_NS6_11hip_rocprim9__find_if7functorIS9_EEEE10hipError_tPvRmT1_T2_T3_mT4_P12ihipStream_tbEUlT_E1_NS1_11comp_targetILNS1_3genE5ELNS1_11target_archE942ELNS1_3gpuE9ELNS1_3repE0EEENS1_30default_config_static_selectorELNS0_4arch9wavefront6targetE1EEEvSK_
    .private_segment_fixed_size: 0
    .sgpr_count:     4
    .sgpr_spill_count: 0
    .symbol:         _ZN7rocprim17ROCPRIM_400000_NS6detail17trampoline_kernelINS0_14default_configENS1_22reduce_config_selectorIN6thrust23THRUST_200600_302600_NS5tupleIblNS6_9null_typeES8_S8_S8_S8_S8_S8_S8_EEEEZNS1_11reduce_implILb1ES3_PS9_SC_S9_NS6_11hip_rocprim9__find_if7functorIS9_EEEE10hipError_tPvRmT1_T2_T3_mT4_P12ihipStream_tbEUlT_E1_NS1_11comp_targetILNS1_3genE5ELNS1_11target_archE942ELNS1_3gpuE9ELNS1_3repE0EEENS1_30default_config_static_selectorELNS0_4arch9wavefront6targetE1EEEvSK_.kd
    .uniform_work_group_size: 1
    .uses_dynamic_stack: false
    .vgpr_count:     0
    .vgpr_spill_count: 0
    .wavefront_size: 64
  - .agpr_count:     0
    .args:
      - .offset:         0
        .size:           56
        .value_kind:     by_value
    .group_segment_fixed_size: 320
    .kernarg_segment_align: 8
    .kernarg_segment_size: 56
    .language:       OpenCL C
    .language_version:
      - 2
      - 0
    .max_flat_workgroup_size: 256
    .name:           _ZN7rocprim17ROCPRIM_400000_NS6detail17trampoline_kernelINS0_14default_configENS1_22reduce_config_selectorIN6thrust23THRUST_200600_302600_NS5tupleIblNS6_9null_typeES8_S8_S8_S8_S8_S8_S8_EEEEZNS1_11reduce_implILb1ES3_PS9_SC_S9_NS6_11hip_rocprim9__find_if7functorIS9_EEEE10hipError_tPvRmT1_T2_T3_mT4_P12ihipStream_tbEUlT_E1_NS1_11comp_targetILNS1_3genE4ELNS1_11target_archE910ELNS1_3gpuE8ELNS1_3repE0EEENS1_30default_config_static_selectorELNS0_4arch9wavefront6targetE1EEEvSK_
    .private_segment_fixed_size: 0
    .sgpr_count:     35
    .sgpr_spill_count: 0
    .symbol:         _ZN7rocprim17ROCPRIM_400000_NS6detail17trampoline_kernelINS0_14default_configENS1_22reduce_config_selectorIN6thrust23THRUST_200600_302600_NS5tupleIblNS6_9null_typeES8_S8_S8_S8_S8_S8_S8_EEEEZNS1_11reduce_implILb1ES3_PS9_SC_S9_NS6_11hip_rocprim9__find_if7functorIS9_EEEE10hipError_tPvRmT1_T2_T3_mT4_P12ihipStream_tbEUlT_E1_NS1_11comp_targetILNS1_3genE4ELNS1_11target_archE910ELNS1_3gpuE8ELNS1_3repE0EEENS1_30default_config_static_selectorELNS0_4arch9wavefront6targetE1EEEvSK_.kd
    .uniform_work_group_size: 1
    .uses_dynamic_stack: false
    .vgpr_count:     30
    .vgpr_spill_count: 0
    .wavefront_size: 64
  - .agpr_count:     0
    .args:
      - .offset:         0
        .size:           56
        .value_kind:     by_value
    .group_segment_fixed_size: 0
    .kernarg_segment_align: 8
    .kernarg_segment_size: 56
    .language:       OpenCL C
    .language_version:
      - 2
      - 0
    .max_flat_workgroup_size: 128
    .name:           _ZN7rocprim17ROCPRIM_400000_NS6detail17trampoline_kernelINS0_14default_configENS1_22reduce_config_selectorIN6thrust23THRUST_200600_302600_NS5tupleIblNS6_9null_typeES8_S8_S8_S8_S8_S8_S8_EEEEZNS1_11reduce_implILb1ES3_PS9_SC_S9_NS6_11hip_rocprim9__find_if7functorIS9_EEEE10hipError_tPvRmT1_T2_T3_mT4_P12ihipStream_tbEUlT_E1_NS1_11comp_targetILNS1_3genE3ELNS1_11target_archE908ELNS1_3gpuE7ELNS1_3repE0EEENS1_30default_config_static_selectorELNS0_4arch9wavefront6targetE1EEEvSK_
    .private_segment_fixed_size: 0
    .sgpr_count:     4
    .sgpr_spill_count: 0
    .symbol:         _ZN7rocprim17ROCPRIM_400000_NS6detail17trampoline_kernelINS0_14default_configENS1_22reduce_config_selectorIN6thrust23THRUST_200600_302600_NS5tupleIblNS6_9null_typeES8_S8_S8_S8_S8_S8_S8_EEEEZNS1_11reduce_implILb1ES3_PS9_SC_S9_NS6_11hip_rocprim9__find_if7functorIS9_EEEE10hipError_tPvRmT1_T2_T3_mT4_P12ihipStream_tbEUlT_E1_NS1_11comp_targetILNS1_3genE3ELNS1_11target_archE908ELNS1_3gpuE7ELNS1_3repE0EEENS1_30default_config_static_selectorELNS0_4arch9wavefront6targetE1EEEvSK_.kd
    .uniform_work_group_size: 1
    .uses_dynamic_stack: false
    .vgpr_count:     0
    .vgpr_spill_count: 0
    .wavefront_size: 64
  - .agpr_count:     0
    .args:
      - .offset:         0
        .size:           56
        .value_kind:     by_value
    .group_segment_fixed_size: 0
    .kernarg_segment_align: 8
    .kernarg_segment_size: 56
    .language:       OpenCL C
    .language_version:
      - 2
      - 0
    .max_flat_workgroup_size: 128
    .name:           _ZN7rocprim17ROCPRIM_400000_NS6detail17trampoline_kernelINS0_14default_configENS1_22reduce_config_selectorIN6thrust23THRUST_200600_302600_NS5tupleIblNS6_9null_typeES8_S8_S8_S8_S8_S8_S8_EEEEZNS1_11reduce_implILb1ES3_PS9_SC_S9_NS6_11hip_rocprim9__find_if7functorIS9_EEEE10hipError_tPvRmT1_T2_T3_mT4_P12ihipStream_tbEUlT_E1_NS1_11comp_targetILNS1_3genE2ELNS1_11target_archE906ELNS1_3gpuE6ELNS1_3repE0EEENS1_30default_config_static_selectorELNS0_4arch9wavefront6targetE1EEEvSK_
    .private_segment_fixed_size: 0
    .sgpr_count:     4
    .sgpr_spill_count: 0
    .symbol:         _ZN7rocprim17ROCPRIM_400000_NS6detail17trampoline_kernelINS0_14default_configENS1_22reduce_config_selectorIN6thrust23THRUST_200600_302600_NS5tupleIblNS6_9null_typeES8_S8_S8_S8_S8_S8_S8_EEEEZNS1_11reduce_implILb1ES3_PS9_SC_S9_NS6_11hip_rocprim9__find_if7functorIS9_EEEE10hipError_tPvRmT1_T2_T3_mT4_P12ihipStream_tbEUlT_E1_NS1_11comp_targetILNS1_3genE2ELNS1_11target_archE906ELNS1_3gpuE6ELNS1_3repE0EEENS1_30default_config_static_selectorELNS0_4arch9wavefront6targetE1EEEvSK_.kd
    .uniform_work_group_size: 1
    .uses_dynamic_stack: false
    .vgpr_count:     0
    .vgpr_spill_count: 0
    .wavefront_size: 64
  - .agpr_count:     0
    .args:
      - .offset:         0
        .size:           56
        .value_kind:     by_value
    .group_segment_fixed_size: 0
    .kernarg_segment_align: 8
    .kernarg_segment_size: 56
    .language:       OpenCL C
    .language_version:
      - 2
      - 0
    .max_flat_workgroup_size: 256
    .name:           _ZN7rocprim17ROCPRIM_400000_NS6detail17trampoline_kernelINS0_14default_configENS1_22reduce_config_selectorIN6thrust23THRUST_200600_302600_NS5tupleIblNS6_9null_typeES8_S8_S8_S8_S8_S8_S8_EEEEZNS1_11reduce_implILb1ES3_PS9_SC_S9_NS6_11hip_rocprim9__find_if7functorIS9_EEEE10hipError_tPvRmT1_T2_T3_mT4_P12ihipStream_tbEUlT_E1_NS1_11comp_targetILNS1_3genE10ELNS1_11target_archE1201ELNS1_3gpuE5ELNS1_3repE0EEENS1_30default_config_static_selectorELNS0_4arch9wavefront6targetE1EEEvSK_
    .private_segment_fixed_size: 0
    .sgpr_count:     4
    .sgpr_spill_count: 0
    .symbol:         _ZN7rocprim17ROCPRIM_400000_NS6detail17trampoline_kernelINS0_14default_configENS1_22reduce_config_selectorIN6thrust23THRUST_200600_302600_NS5tupleIblNS6_9null_typeES8_S8_S8_S8_S8_S8_S8_EEEEZNS1_11reduce_implILb1ES3_PS9_SC_S9_NS6_11hip_rocprim9__find_if7functorIS9_EEEE10hipError_tPvRmT1_T2_T3_mT4_P12ihipStream_tbEUlT_E1_NS1_11comp_targetILNS1_3genE10ELNS1_11target_archE1201ELNS1_3gpuE5ELNS1_3repE0EEENS1_30default_config_static_selectorELNS0_4arch9wavefront6targetE1EEEvSK_.kd
    .uniform_work_group_size: 1
    .uses_dynamic_stack: false
    .vgpr_count:     0
    .vgpr_spill_count: 0
    .wavefront_size: 64
  - .agpr_count:     0
    .args:
      - .offset:         0
        .size:           56
        .value_kind:     by_value
    .group_segment_fixed_size: 0
    .kernarg_segment_align: 8
    .kernarg_segment_size: 56
    .language:       OpenCL C
    .language_version:
      - 2
      - 0
    .max_flat_workgroup_size: 256
    .name:           _ZN7rocprim17ROCPRIM_400000_NS6detail17trampoline_kernelINS0_14default_configENS1_22reduce_config_selectorIN6thrust23THRUST_200600_302600_NS5tupleIblNS6_9null_typeES8_S8_S8_S8_S8_S8_S8_EEEEZNS1_11reduce_implILb1ES3_PS9_SC_S9_NS6_11hip_rocprim9__find_if7functorIS9_EEEE10hipError_tPvRmT1_T2_T3_mT4_P12ihipStream_tbEUlT_E1_NS1_11comp_targetILNS1_3genE10ELNS1_11target_archE1200ELNS1_3gpuE4ELNS1_3repE0EEENS1_30default_config_static_selectorELNS0_4arch9wavefront6targetE1EEEvSK_
    .private_segment_fixed_size: 0
    .sgpr_count:     4
    .sgpr_spill_count: 0
    .symbol:         _ZN7rocprim17ROCPRIM_400000_NS6detail17trampoline_kernelINS0_14default_configENS1_22reduce_config_selectorIN6thrust23THRUST_200600_302600_NS5tupleIblNS6_9null_typeES8_S8_S8_S8_S8_S8_S8_EEEEZNS1_11reduce_implILb1ES3_PS9_SC_S9_NS6_11hip_rocprim9__find_if7functorIS9_EEEE10hipError_tPvRmT1_T2_T3_mT4_P12ihipStream_tbEUlT_E1_NS1_11comp_targetILNS1_3genE10ELNS1_11target_archE1200ELNS1_3gpuE4ELNS1_3repE0EEENS1_30default_config_static_selectorELNS0_4arch9wavefront6targetE1EEEvSK_.kd
    .uniform_work_group_size: 1
    .uses_dynamic_stack: false
    .vgpr_count:     0
    .vgpr_spill_count: 0
    .wavefront_size: 64
  - .agpr_count:     0
    .args:
      - .offset:         0
        .size:           56
        .value_kind:     by_value
    .group_segment_fixed_size: 0
    .kernarg_segment_align: 8
    .kernarg_segment_size: 56
    .language:       OpenCL C
    .language_version:
      - 2
      - 0
    .max_flat_workgroup_size: 256
    .name:           _ZN7rocprim17ROCPRIM_400000_NS6detail17trampoline_kernelINS0_14default_configENS1_22reduce_config_selectorIN6thrust23THRUST_200600_302600_NS5tupleIblNS6_9null_typeES8_S8_S8_S8_S8_S8_S8_EEEEZNS1_11reduce_implILb1ES3_PS9_SC_S9_NS6_11hip_rocprim9__find_if7functorIS9_EEEE10hipError_tPvRmT1_T2_T3_mT4_P12ihipStream_tbEUlT_E1_NS1_11comp_targetILNS1_3genE9ELNS1_11target_archE1100ELNS1_3gpuE3ELNS1_3repE0EEENS1_30default_config_static_selectorELNS0_4arch9wavefront6targetE1EEEvSK_
    .private_segment_fixed_size: 0
    .sgpr_count:     4
    .sgpr_spill_count: 0
    .symbol:         _ZN7rocprim17ROCPRIM_400000_NS6detail17trampoline_kernelINS0_14default_configENS1_22reduce_config_selectorIN6thrust23THRUST_200600_302600_NS5tupleIblNS6_9null_typeES8_S8_S8_S8_S8_S8_S8_EEEEZNS1_11reduce_implILb1ES3_PS9_SC_S9_NS6_11hip_rocprim9__find_if7functorIS9_EEEE10hipError_tPvRmT1_T2_T3_mT4_P12ihipStream_tbEUlT_E1_NS1_11comp_targetILNS1_3genE9ELNS1_11target_archE1100ELNS1_3gpuE3ELNS1_3repE0EEENS1_30default_config_static_selectorELNS0_4arch9wavefront6targetE1EEEvSK_.kd
    .uniform_work_group_size: 1
    .uses_dynamic_stack: false
    .vgpr_count:     0
    .vgpr_spill_count: 0
    .wavefront_size: 64
  - .agpr_count:     0
    .args:
      - .offset:         0
        .size:           56
        .value_kind:     by_value
    .group_segment_fixed_size: 0
    .kernarg_segment_align: 8
    .kernarg_segment_size: 56
    .language:       OpenCL C
    .language_version:
      - 2
      - 0
    .max_flat_workgroup_size: 256
    .name:           _ZN7rocprim17ROCPRIM_400000_NS6detail17trampoline_kernelINS0_14default_configENS1_22reduce_config_selectorIN6thrust23THRUST_200600_302600_NS5tupleIblNS6_9null_typeES8_S8_S8_S8_S8_S8_S8_EEEEZNS1_11reduce_implILb1ES3_PS9_SC_S9_NS6_11hip_rocprim9__find_if7functorIS9_EEEE10hipError_tPvRmT1_T2_T3_mT4_P12ihipStream_tbEUlT_E1_NS1_11comp_targetILNS1_3genE8ELNS1_11target_archE1030ELNS1_3gpuE2ELNS1_3repE0EEENS1_30default_config_static_selectorELNS0_4arch9wavefront6targetE1EEEvSK_
    .private_segment_fixed_size: 0
    .sgpr_count:     4
    .sgpr_spill_count: 0
    .symbol:         _ZN7rocprim17ROCPRIM_400000_NS6detail17trampoline_kernelINS0_14default_configENS1_22reduce_config_selectorIN6thrust23THRUST_200600_302600_NS5tupleIblNS6_9null_typeES8_S8_S8_S8_S8_S8_S8_EEEEZNS1_11reduce_implILb1ES3_PS9_SC_S9_NS6_11hip_rocprim9__find_if7functorIS9_EEEE10hipError_tPvRmT1_T2_T3_mT4_P12ihipStream_tbEUlT_E1_NS1_11comp_targetILNS1_3genE8ELNS1_11target_archE1030ELNS1_3gpuE2ELNS1_3repE0EEENS1_30default_config_static_selectorELNS0_4arch9wavefront6targetE1EEEvSK_.kd
    .uniform_work_group_size: 1
    .uses_dynamic_stack: false
    .vgpr_count:     0
    .vgpr_spill_count: 0
    .wavefront_size: 64
  - .agpr_count:     0
    .args:
      - .offset:         0
        .size:           88
        .value_kind:     by_value
    .group_segment_fixed_size: 0
    .kernarg_segment_align: 8
    .kernarg_segment_size: 88
    .language:       OpenCL C
    .language_version:
      - 2
      - 0
    .max_flat_workgroup_size: 128
    .name:           _ZN7rocprim17ROCPRIM_400000_NS6detail17trampoline_kernelINS0_14default_configENS1_22reduce_config_selectorIN6thrust23THRUST_200600_302600_NS5tupleIblNS6_9null_typeES8_S8_S8_S8_S8_S8_S8_EEEEZNS1_11reduce_implILb1ES3_NS6_12zip_iteratorINS7_INS6_11hip_rocprim26transform_input_iterator_tIbPKhN2at6native10EqualsModeEEENSD_19counting_iterator_tIlEES8_S8_S8_S8_S8_S8_S8_S8_EEEEPS9_S9_NSD_9__find_if7functorIS9_EEEE10hipError_tPvRmT1_T2_T3_mT4_P12ihipStream_tbEUlT_E0_NS1_11comp_targetILNS1_3genE0ELNS1_11target_archE4294967295ELNS1_3gpuE0ELNS1_3repE0EEENS1_30default_config_static_selectorELNS0_4arch9wavefront6targetE1EEEvSW_
    .private_segment_fixed_size: 0
    .sgpr_count:     4
    .sgpr_spill_count: 0
    .symbol:         _ZN7rocprim17ROCPRIM_400000_NS6detail17trampoline_kernelINS0_14default_configENS1_22reduce_config_selectorIN6thrust23THRUST_200600_302600_NS5tupleIblNS6_9null_typeES8_S8_S8_S8_S8_S8_S8_EEEEZNS1_11reduce_implILb1ES3_NS6_12zip_iteratorINS7_INS6_11hip_rocprim26transform_input_iterator_tIbPKhN2at6native10EqualsModeEEENSD_19counting_iterator_tIlEES8_S8_S8_S8_S8_S8_S8_S8_EEEEPS9_S9_NSD_9__find_if7functorIS9_EEEE10hipError_tPvRmT1_T2_T3_mT4_P12ihipStream_tbEUlT_E0_NS1_11comp_targetILNS1_3genE0ELNS1_11target_archE4294967295ELNS1_3gpuE0ELNS1_3repE0EEENS1_30default_config_static_selectorELNS0_4arch9wavefront6targetE1EEEvSW_.kd
    .uniform_work_group_size: 1
    .uses_dynamic_stack: false
    .vgpr_count:     0
    .vgpr_spill_count: 0
    .wavefront_size: 64
  - .agpr_count:     0
    .args:
      - .offset:         0
        .size:           88
        .value_kind:     by_value
    .group_segment_fixed_size: 0
    .kernarg_segment_align: 8
    .kernarg_segment_size: 88
    .language:       OpenCL C
    .language_version:
      - 2
      - 0
    .max_flat_workgroup_size: 256
    .name:           _ZN7rocprim17ROCPRIM_400000_NS6detail17trampoline_kernelINS0_14default_configENS1_22reduce_config_selectorIN6thrust23THRUST_200600_302600_NS5tupleIblNS6_9null_typeES8_S8_S8_S8_S8_S8_S8_EEEEZNS1_11reduce_implILb1ES3_NS6_12zip_iteratorINS7_INS6_11hip_rocprim26transform_input_iterator_tIbPKhN2at6native10EqualsModeEEENSD_19counting_iterator_tIlEES8_S8_S8_S8_S8_S8_S8_S8_EEEEPS9_S9_NSD_9__find_if7functorIS9_EEEE10hipError_tPvRmT1_T2_T3_mT4_P12ihipStream_tbEUlT_E0_NS1_11comp_targetILNS1_3genE5ELNS1_11target_archE942ELNS1_3gpuE9ELNS1_3repE0EEENS1_30default_config_static_selectorELNS0_4arch9wavefront6targetE1EEEvSW_
    .private_segment_fixed_size: 0
    .sgpr_count:     4
    .sgpr_spill_count: 0
    .symbol:         _ZN7rocprim17ROCPRIM_400000_NS6detail17trampoline_kernelINS0_14default_configENS1_22reduce_config_selectorIN6thrust23THRUST_200600_302600_NS5tupleIblNS6_9null_typeES8_S8_S8_S8_S8_S8_S8_EEEEZNS1_11reduce_implILb1ES3_NS6_12zip_iteratorINS7_INS6_11hip_rocprim26transform_input_iterator_tIbPKhN2at6native10EqualsModeEEENSD_19counting_iterator_tIlEES8_S8_S8_S8_S8_S8_S8_S8_EEEEPS9_S9_NSD_9__find_if7functorIS9_EEEE10hipError_tPvRmT1_T2_T3_mT4_P12ihipStream_tbEUlT_E0_NS1_11comp_targetILNS1_3genE5ELNS1_11target_archE942ELNS1_3gpuE9ELNS1_3repE0EEENS1_30default_config_static_selectorELNS0_4arch9wavefront6targetE1EEEvSW_.kd
    .uniform_work_group_size: 1
    .uses_dynamic_stack: false
    .vgpr_count:     0
    .vgpr_spill_count: 0
    .wavefront_size: 64
  - .agpr_count:     0
    .args:
      - .offset:         0
        .size:           88
        .value_kind:     by_value
    .group_segment_fixed_size: 128
    .kernarg_segment_align: 8
    .kernarg_segment_size: 88
    .language:       OpenCL C
    .language_version:
      - 2
      - 0
    .max_flat_workgroup_size: 256
    .name:           _ZN7rocprim17ROCPRIM_400000_NS6detail17trampoline_kernelINS0_14default_configENS1_22reduce_config_selectorIN6thrust23THRUST_200600_302600_NS5tupleIblNS6_9null_typeES8_S8_S8_S8_S8_S8_S8_EEEEZNS1_11reduce_implILb1ES3_NS6_12zip_iteratorINS7_INS6_11hip_rocprim26transform_input_iterator_tIbPKhN2at6native10EqualsModeEEENSD_19counting_iterator_tIlEES8_S8_S8_S8_S8_S8_S8_S8_EEEEPS9_S9_NSD_9__find_if7functorIS9_EEEE10hipError_tPvRmT1_T2_T3_mT4_P12ihipStream_tbEUlT_E0_NS1_11comp_targetILNS1_3genE4ELNS1_11target_archE910ELNS1_3gpuE8ELNS1_3repE0EEENS1_30default_config_static_selectorELNS0_4arch9wavefront6targetE1EEEvSW_
    .private_segment_fixed_size: 0
    .sgpr_count:     28
    .sgpr_spill_count: 0
    .symbol:         _ZN7rocprim17ROCPRIM_400000_NS6detail17trampoline_kernelINS0_14default_configENS1_22reduce_config_selectorIN6thrust23THRUST_200600_302600_NS5tupleIblNS6_9null_typeES8_S8_S8_S8_S8_S8_S8_EEEEZNS1_11reduce_implILb1ES3_NS6_12zip_iteratorINS7_INS6_11hip_rocprim26transform_input_iterator_tIbPKhN2at6native10EqualsModeEEENSD_19counting_iterator_tIlEES8_S8_S8_S8_S8_S8_S8_S8_EEEEPS9_S9_NSD_9__find_if7functorIS9_EEEE10hipError_tPvRmT1_T2_T3_mT4_P12ihipStream_tbEUlT_E0_NS1_11comp_targetILNS1_3genE4ELNS1_11target_archE910ELNS1_3gpuE8ELNS1_3repE0EEENS1_30default_config_static_selectorELNS0_4arch9wavefront6targetE1EEEvSW_.kd
    .uniform_work_group_size: 1
    .uses_dynamic_stack: false
    .vgpr_count:     12
    .vgpr_spill_count: 0
    .wavefront_size: 64
  - .agpr_count:     0
    .args:
      - .offset:         0
        .size:           88
        .value_kind:     by_value
    .group_segment_fixed_size: 0
    .kernarg_segment_align: 8
    .kernarg_segment_size: 88
    .language:       OpenCL C
    .language_version:
      - 2
      - 0
    .max_flat_workgroup_size: 128
    .name:           _ZN7rocprim17ROCPRIM_400000_NS6detail17trampoline_kernelINS0_14default_configENS1_22reduce_config_selectorIN6thrust23THRUST_200600_302600_NS5tupleIblNS6_9null_typeES8_S8_S8_S8_S8_S8_S8_EEEEZNS1_11reduce_implILb1ES3_NS6_12zip_iteratorINS7_INS6_11hip_rocprim26transform_input_iterator_tIbPKhN2at6native10EqualsModeEEENSD_19counting_iterator_tIlEES8_S8_S8_S8_S8_S8_S8_S8_EEEEPS9_S9_NSD_9__find_if7functorIS9_EEEE10hipError_tPvRmT1_T2_T3_mT4_P12ihipStream_tbEUlT_E0_NS1_11comp_targetILNS1_3genE3ELNS1_11target_archE908ELNS1_3gpuE7ELNS1_3repE0EEENS1_30default_config_static_selectorELNS0_4arch9wavefront6targetE1EEEvSW_
    .private_segment_fixed_size: 0
    .sgpr_count:     4
    .sgpr_spill_count: 0
    .symbol:         _ZN7rocprim17ROCPRIM_400000_NS6detail17trampoline_kernelINS0_14default_configENS1_22reduce_config_selectorIN6thrust23THRUST_200600_302600_NS5tupleIblNS6_9null_typeES8_S8_S8_S8_S8_S8_S8_EEEEZNS1_11reduce_implILb1ES3_NS6_12zip_iteratorINS7_INS6_11hip_rocprim26transform_input_iterator_tIbPKhN2at6native10EqualsModeEEENSD_19counting_iterator_tIlEES8_S8_S8_S8_S8_S8_S8_S8_EEEEPS9_S9_NSD_9__find_if7functorIS9_EEEE10hipError_tPvRmT1_T2_T3_mT4_P12ihipStream_tbEUlT_E0_NS1_11comp_targetILNS1_3genE3ELNS1_11target_archE908ELNS1_3gpuE7ELNS1_3repE0EEENS1_30default_config_static_selectorELNS0_4arch9wavefront6targetE1EEEvSW_.kd
    .uniform_work_group_size: 1
    .uses_dynamic_stack: false
    .vgpr_count:     0
    .vgpr_spill_count: 0
    .wavefront_size: 64
  - .agpr_count:     0
    .args:
      - .offset:         0
        .size:           88
        .value_kind:     by_value
    .group_segment_fixed_size: 0
    .kernarg_segment_align: 8
    .kernarg_segment_size: 88
    .language:       OpenCL C
    .language_version:
      - 2
      - 0
    .max_flat_workgroup_size: 128
    .name:           _ZN7rocprim17ROCPRIM_400000_NS6detail17trampoline_kernelINS0_14default_configENS1_22reduce_config_selectorIN6thrust23THRUST_200600_302600_NS5tupleIblNS6_9null_typeES8_S8_S8_S8_S8_S8_S8_EEEEZNS1_11reduce_implILb1ES3_NS6_12zip_iteratorINS7_INS6_11hip_rocprim26transform_input_iterator_tIbPKhN2at6native10EqualsModeEEENSD_19counting_iterator_tIlEES8_S8_S8_S8_S8_S8_S8_S8_EEEEPS9_S9_NSD_9__find_if7functorIS9_EEEE10hipError_tPvRmT1_T2_T3_mT4_P12ihipStream_tbEUlT_E0_NS1_11comp_targetILNS1_3genE2ELNS1_11target_archE906ELNS1_3gpuE6ELNS1_3repE0EEENS1_30default_config_static_selectorELNS0_4arch9wavefront6targetE1EEEvSW_
    .private_segment_fixed_size: 0
    .sgpr_count:     4
    .sgpr_spill_count: 0
    .symbol:         _ZN7rocprim17ROCPRIM_400000_NS6detail17trampoline_kernelINS0_14default_configENS1_22reduce_config_selectorIN6thrust23THRUST_200600_302600_NS5tupleIblNS6_9null_typeES8_S8_S8_S8_S8_S8_S8_EEEEZNS1_11reduce_implILb1ES3_NS6_12zip_iteratorINS7_INS6_11hip_rocprim26transform_input_iterator_tIbPKhN2at6native10EqualsModeEEENSD_19counting_iterator_tIlEES8_S8_S8_S8_S8_S8_S8_S8_EEEEPS9_S9_NSD_9__find_if7functorIS9_EEEE10hipError_tPvRmT1_T2_T3_mT4_P12ihipStream_tbEUlT_E0_NS1_11comp_targetILNS1_3genE2ELNS1_11target_archE906ELNS1_3gpuE6ELNS1_3repE0EEENS1_30default_config_static_selectorELNS0_4arch9wavefront6targetE1EEEvSW_.kd
    .uniform_work_group_size: 1
    .uses_dynamic_stack: false
    .vgpr_count:     0
    .vgpr_spill_count: 0
    .wavefront_size: 64
  - .agpr_count:     0
    .args:
      - .offset:         0
        .size:           88
        .value_kind:     by_value
    .group_segment_fixed_size: 0
    .kernarg_segment_align: 8
    .kernarg_segment_size: 88
    .language:       OpenCL C
    .language_version:
      - 2
      - 0
    .max_flat_workgroup_size: 256
    .name:           _ZN7rocprim17ROCPRIM_400000_NS6detail17trampoline_kernelINS0_14default_configENS1_22reduce_config_selectorIN6thrust23THRUST_200600_302600_NS5tupleIblNS6_9null_typeES8_S8_S8_S8_S8_S8_S8_EEEEZNS1_11reduce_implILb1ES3_NS6_12zip_iteratorINS7_INS6_11hip_rocprim26transform_input_iterator_tIbPKhN2at6native10EqualsModeEEENSD_19counting_iterator_tIlEES8_S8_S8_S8_S8_S8_S8_S8_EEEEPS9_S9_NSD_9__find_if7functorIS9_EEEE10hipError_tPvRmT1_T2_T3_mT4_P12ihipStream_tbEUlT_E0_NS1_11comp_targetILNS1_3genE10ELNS1_11target_archE1201ELNS1_3gpuE5ELNS1_3repE0EEENS1_30default_config_static_selectorELNS0_4arch9wavefront6targetE1EEEvSW_
    .private_segment_fixed_size: 0
    .sgpr_count:     4
    .sgpr_spill_count: 0
    .symbol:         _ZN7rocprim17ROCPRIM_400000_NS6detail17trampoline_kernelINS0_14default_configENS1_22reduce_config_selectorIN6thrust23THRUST_200600_302600_NS5tupleIblNS6_9null_typeES8_S8_S8_S8_S8_S8_S8_EEEEZNS1_11reduce_implILb1ES3_NS6_12zip_iteratorINS7_INS6_11hip_rocprim26transform_input_iterator_tIbPKhN2at6native10EqualsModeEEENSD_19counting_iterator_tIlEES8_S8_S8_S8_S8_S8_S8_S8_EEEEPS9_S9_NSD_9__find_if7functorIS9_EEEE10hipError_tPvRmT1_T2_T3_mT4_P12ihipStream_tbEUlT_E0_NS1_11comp_targetILNS1_3genE10ELNS1_11target_archE1201ELNS1_3gpuE5ELNS1_3repE0EEENS1_30default_config_static_selectorELNS0_4arch9wavefront6targetE1EEEvSW_.kd
    .uniform_work_group_size: 1
    .uses_dynamic_stack: false
    .vgpr_count:     0
    .vgpr_spill_count: 0
    .wavefront_size: 64
  - .agpr_count:     0
    .args:
      - .offset:         0
        .size:           88
        .value_kind:     by_value
    .group_segment_fixed_size: 0
    .kernarg_segment_align: 8
    .kernarg_segment_size: 88
    .language:       OpenCL C
    .language_version:
      - 2
      - 0
    .max_flat_workgroup_size: 256
    .name:           _ZN7rocprim17ROCPRIM_400000_NS6detail17trampoline_kernelINS0_14default_configENS1_22reduce_config_selectorIN6thrust23THRUST_200600_302600_NS5tupleIblNS6_9null_typeES8_S8_S8_S8_S8_S8_S8_EEEEZNS1_11reduce_implILb1ES3_NS6_12zip_iteratorINS7_INS6_11hip_rocprim26transform_input_iterator_tIbPKhN2at6native10EqualsModeEEENSD_19counting_iterator_tIlEES8_S8_S8_S8_S8_S8_S8_S8_EEEEPS9_S9_NSD_9__find_if7functorIS9_EEEE10hipError_tPvRmT1_T2_T3_mT4_P12ihipStream_tbEUlT_E0_NS1_11comp_targetILNS1_3genE10ELNS1_11target_archE1200ELNS1_3gpuE4ELNS1_3repE0EEENS1_30default_config_static_selectorELNS0_4arch9wavefront6targetE1EEEvSW_
    .private_segment_fixed_size: 0
    .sgpr_count:     4
    .sgpr_spill_count: 0
    .symbol:         _ZN7rocprim17ROCPRIM_400000_NS6detail17trampoline_kernelINS0_14default_configENS1_22reduce_config_selectorIN6thrust23THRUST_200600_302600_NS5tupleIblNS6_9null_typeES8_S8_S8_S8_S8_S8_S8_EEEEZNS1_11reduce_implILb1ES3_NS6_12zip_iteratorINS7_INS6_11hip_rocprim26transform_input_iterator_tIbPKhN2at6native10EqualsModeEEENSD_19counting_iterator_tIlEES8_S8_S8_S8_S8_S8_S8_S8_EEEEPS9_S9_NSD_9__find_if7functorIS9_EEEE10hipError_tPvRmT1_T2_T3_mT4_P12ihipStream_tbEUlT_E0_NS1_11comp_targetILNS1_3genE10ELNS1_11target_archE1200ELNS1_3gpuE4ELNS1_3repE0EEENS1_30default_config_static_selectorELNS0_4arch9wavefront6targetE1EEEvSW_.kd
    .uniform_work_group_size: 1
    .uses_dynamic_stack: false
    .vgpr_count:     0
    .vgpr_spill_count: 0
    .wavefront_size: 64
  - .agpr_count:     0
    .args:
      - .offset:         0
        .size:           88
        .value_kind:     by_value
    .group_segment_fixed_size: 0
    .kernarg_segment_align: 8
    .kernarg_segment_size: 88
    .language:       OpenCL C
    .language_version:
      - 2
      - 0
    .max_flat_workgroup_size: 256
    .name:           _ZN7rocprim17ROCPRIM_400000_NS6detail17trampoline_kernelINS0_14default_configENS1_22reduce_config_selectorIN6thrust23THRUST_200600_302600_NS5tupleIblNS6_9null_typeES8_S8_S8_S8_S8_S8_S8_EEEEZNS1_11reduce_implILb1ES3_NS6_12zip_iteratorINS7_INS6_11hip_rocprim26transform_input_iterator_tIbPKhN2at6native10EqualsModeEEENSD_19counting_iterator_tIlEES8_S8_S8_S8_S8_S8_S8_S8_EEEEPS9_S9_NSD_9__find_if7functorIS9_EEEE10hipError_tPvRmT1_T2_T3_mT4_P12ihipStream_tbEUlT_E0_NS1_11comp_targetILNS1_3genE9ELNS1_11target_archE1100ELNS1_3gpuE3ELNS1_3repE0EEENS1_30default_config_static_selectorELNS0_4arch9wavefront6targetE1EEEvSW_
    .private_segment_fixed_size: 0
    .sgpr_count:     4
    .sgpr_spill_count: 0
    .symbol:         _ZN7rocprim17ROCPRIM_400000_NS6detail17trampoline_kernelINS0_14default_configENS1_22reduce_config_selectorIN6thrust23THRUST_200600_302600_NS5tupleIblNS6_9null_typeES8_S8_S8_S8_S8_S8_S8_EEEEZNS1_11reduce_implILb1ES3_NS6_12zip_iteratorINS7_INS6_11hip_rocprim26transform_input_iterator_tIbPKhN2at6native10EqualsModeEEENSD_19counting_iterator_tIlEES8_S8_S8_S8_S8_S8_S8_S8_EEEEPS9_S9_NSD_9__find_if7functorIS9_EEEE10hipError_tPvRmT1_T2_T3_mT4_P12ihipStream_tbEUlT_E0_NS1_11comp_targetILNS1_3genE9ELNS1_11target_archE1100ELNS1_3gpuE3ELNS1_3repE0EEENS1_30default_config_static_selectorELNS0_4arch9wavefront6targetE1EEEvSW_.kd
    .uniform_work_group_size: 1
    .uses_dynamic_stack: false
    .vgpr_count:     0
    .vgpr_spill_count: 0
    .wavefront_size: 64
  - .agpr_count:     0
    .args:
      - .offset:         0
        .size:           88
        .value_kind:     by_value
    .group_segment_fixed_size: 0
    .kernarg_segment_align: 8
    .kernarg_segment_size: 88
    .language:       OpenCL C
    .language_version:
      - 2
      - 0
    .max_flat_workgroup_size: 256
    .name:           _ZN7rocprim17ROCPRIM_400000_NS6detail17trampoline_kernelINS0_14default_configENS1_22reduce_config_selectorIN6thrust23THRUST_200600_302600_NS5tupleIblNS6_9null_typeES8_S8_S8_S8_S8_S8_S8_EEEEZNS1_11reduce_implILb1ES3_NS6_12zip_iteratorINS7_INS6_11hip_rocprim26transform_input_iterator_tIbPKhN2at6native10EqualsModeEEENSD_19counting_iterator_tIlEES8_S8_S8_S8_S8_S8_S8_S8_EEEEPS9_S9_NSD_9__find_if7functorIS9_EEEE10hipError_tPvRmT1_T2_T3_mT4_P12ihipStream_tbEUlT_E0_NS1_11comp_targetILNS1_3genE8ELNS1_11target_archE1030ELNS1_3gpuE2ELNS1_3repE0EEENS1_30default_config_static_selectorELNS0_4arch9wavefront6targetE1EEEvSW_
    .private_segment_fixed_size: 0
    .sgpr_count:     4
    .sgpr_spill_count: 0
    .symbol:         _ZN7rocprim17ROCPRIM_400000_NS6detail17trampoline_kernelINS0_14default_configENS1_22reduce_config_selectorIN6thrust23THRUST_200600_302600_NS5tupleIblNS6_9null_typeES8_S8_S8_S8_S8_S8_S8_EEEEZNS1_11reduce_implILb1ES3_NS6_12zip_iteratorINS7_INS6_11hip_rocprim26transform_input_iterator_tIbPKhN2at6native10EqualsModeEEENSD_19counting_iterator_tIlEES8_S8_S8_S8_S8_S8_S8_S8_EEEEPS9_S9_NSD_9__find_if7functorIS9_EEEE10hipError_tPvRmT1_T2_T3_mT4_P12ihipStream_tbEUlT_E0_NS1_11comp_targetILNS1_3genE8ELNS1_11target_archE1030ELNS1_3gpuE2ELNS1_3repE0EEENS1_30default_config_static_selectorELNS0_4arch9wavefront6targetE1EEEvSW_.kd
    .uniform_work_group_size: 1
    .uses_dynamic_stack: false
    .vgpr_count:     0
    .vgpr_spill_count: 0
    .wavefront_size: 64
  - .agpr_count:     0
    .args:
      - .offset:         0
        .size:           72
        .value_kind:     by_value
    .group_segment_fixed_size: 0
    .kernarg_segment_align: 8
    .kernarg_segment_size: 72
    .language:       OpenCL C
    .language_version:
      - 2
      - 0
    .max_flat_workgroup_size: 128
    .name:           _ZN7rocprim17ROCPRIM_400000_NS6detail17trampoline_kernelINS0_14default_configENS1_22reduce_config_selectorIN6thrust23THRUST_200600_302600_NS5tupleIblNS6_9null_typeES8_S8_S8_S8_S8_S8_S8_EEEEZNS1_11reduce_implILb1ES3_NS6_12zip_iteratorINS7_INS6_11hip_rocprim26transform_input_iterator_tIbPKhN2at6native10EqualsModeEEENSD_19counting_iterator_tIlEES8_S8_S8_S8_S8_S8_S8_S8_EEEEPS9_S9_NSD_9__find_if7functorIS9_EEEE10hipError_tPvRmT1_T2_T3_mT4_P12ihipStream_tbEUlT_E1_NS1_11comp_targetILNS1_3genE0ELNS1_11target_archE4294967295ELNS1_3gpuE0ELNS1_3repE0EEENS1_30default_config_static_selectorELNS0_4arch9wavefront6targetE1EEEvSW_
    .private_segment_fixed_size: 0
    .sgpr_count:     4
    .sgpr_spill_count: 0
    .symbol:         _ZN7rocprim17ROCPRIM_400000_NS6detail17trampoline_kernelINS0_14default_configENS1_22reduce_config_selectorIN6thrust23THRUST_200600_302600_NS5tupleIblNS6_9null_typeES8_S8_S8_S8_S8_S8_S8_EEEEZNS1_11reduce_implILb1ES3_NS6_12zip_iteratorINS7_INS6_11hip_rocprim26transform_input_iterator_tIbPKhN2at6native10EqualsModeEEENSD_19counting_iterator_tIlEES8_S8_S8_S8_S8_S8_S8_S8_EEEEPS9_S9_NSD_9__find_if7functorIS9_EEEE10hipError_tPvRmT1_T2_T3_mT4_P12ihipStream_tbEUlT_E1_NS1_11comp_targetILNS1_3genE0ELNS1_11target_archE4294967295ELNS1_3gpuE0ELNS1_3repE0EEENS1_30default_config_static_selectorELNS0_4arch9wavefront6targetE1EEEvSW_.kd
    .uniform_work_group_size: 1
    .uses_dynamic_stack: false
    .vgpr_count:     0
    .vgpr_spill_count: 0
    .wavefront_size: 64
  - .agpr_count:     0
    .args:
      - .offset:         0
        .size:           72
        .value_kind:     by_value
    .group_segment_fixed_size: 0
    .kernarg_segment_align: 8
    .kernarg_segment_size: 72
    .language:       OpenCL C
    .language_version:
      - 2
      - 0
    .max_flat_workgroup_size: 256
    .name:           _ZN7rocprim17ROCPRIM_400000_NS6detail17trampoline_kernelINS0_14default_configENS1_22reduce_config_selectorIN6thrust23THRUST_200600_302600_NS5tupleIblNS6_9null_typeES8_S8_S8_S8_S8_S8_S8_EEEEZNS1_11reduce_implILb1ES3_NS6_12zip_iteratorINS7_INS6_11hip_rocprim26transform_input_iterator_tIbPKhN2at6native10EqualsModeEEENSD_19counting_iterator_tIlEES8_S8_S8_S8_S8_S8_S8_S8_EEEEPS9_S9_NSD_9__find_if7functorIS9_EEEE10hipError_tPvRmT1_T2_T3_mT4_P12ihipStream_tbEUlT_E1_NS1_11comp_targetILNS1_3genE5ELNS1_11target_archE942ELNS1_3gpuE9ELNS1_3repE0EEENS1_30default_config_static_selectorELNS0_4arch9wavefront6targetE1EEEvSW_
    .private_segment_fixed_size: 0
    .sgpr_count:     4
    .sgpr_spill_count: 0
    .symbol:         _ZN7rocprim17ROCPRIM_400000_NS6detail17trampoline_kernelINS0_14default_configENS1_22reduce_config_selectorIN6thrust23THRUST_200600_302600_NS5tupleIblNS6_9null_typeES8_S8_S8_S8_S8_S8_S8_EEEEZNS1_11reduce_implILb1ES3_NS6_12zip_iteratorINS7_INS6_11hip_rocprim26transform_input_iterator_tIbPKhN2at6native10EqualsModeEEENSD_19counting_iterator_tIlEES8_S8_S8_S8_S8_S8_S8_S8_EEEEPS9_S9_NSD_9__find_if7functorIS9_EEEE10hipError_tPvRmT1_T2_T3_mT4_P12ihipStream_tbEUlT_E1_NS1_11comp_targetILNS1_3genE5ELNS1_11target_archE942ELNS1_3gpuE9ELNS1_3repE0EEENS1_30default_config_static_selectorELNS0_4arch9wavefront6targetE1EEEvSW_.kd
    .uniform_work_group_size: 1
    .uses_dynamic_stack: false
    .vgpr_count:     0
    .vgpr_spill_count: 0
    .wavefront_size: 64
  - .agpr_count:     0
    .args:
      - .offset:         0
        .size:           72
        .value_kind:     by_value
    .group_segment_fixed_size: 320
    .kernarg_segment_align: 8
    .kernarg_segment_size: 72
    .language:       OpenCL C
    .language_version:
      - 2
      - 0
    .max_flat_workgroup_size: 256
    .name:           _ZN7rocprim17ROCPRIM_400000_NS6detail17trampoline_kernelINS0_14default_configENS1_22reduce_config_selectorIN6thrust23THRUST_200600_302600_NS5tupleIblNS6_9null_typeES8_S8_S8_S8_S8_S8_S8_EEEEZNS1_11reduce_implILb1ES3_NS6_12zip_iteratorINS7_INS6_11hip_rocprim26transform_input_iterator_tIbPKhN2at6native10EqualsModeEEENSD_19counting_iterator_tIlEES8_S8_S8_S8_S8_S8_S8_S8_EEEEPS9_S9_NSD_9__find_if7functorIS9_EEEE10hipError_tPvRmT1_T2_T3_mT4_P12ihipStream_tbEUlT_E1_NS1_11comp_targetILNS1_3genE4ELNS1_11target_archE910ELNS1_3gpuE8ELNS1_3repE0EEENS1_30default_config_static_selectorELNS0_4arch9wavefront6targetE1EEEvSW_
    .private_segment_fixed_size: 0
    .sgpr_count:     42
    .sgpr_spill_count: 0
    .symbol:         _ZN7rocprim17ROCPRIM_400000_NS6detail17trampoline_kernelINS0_14default_configENS1_22reduce_config_selectorIN6thrust23THRUST_200600_302600_NS5tupleIblNS6_9null_typeES8_S8_S8_S8_S8_S8_S8_EEEEZNS1_11reduce_implILb1ES3_NS6_12zip_iteratorINS7_INS6_11hip_rocprim26transform_input_iterator_tIbPKhN2at6native10EqualsModeEEENSD_19counting_iterator_tIlEES8_S8_S8_S8_S8_S8_S8_S8_EEEEPS9_S9_NSD_9__find_if7functorIS9_EEEE10hipError_tPvRmT1_T2_T3_mT4_P12ihipStream_tbEUlT_E1_NS1_11comp_targetILNS1_3genE4ELNS1_11target_archE910ELNS1_3gpuE8ELNS1_3repE0EEENS1_30default_config_static_selectorELNS0_4arch9wavefront6targetE1EEEvSW_.kd
    .uniform_work_group_size: 1
    .uses_dynamic_stack: false
    .vgpr_count:     27
    .vgpr_spill_count: 0
    .wavefront_size: 64
  - .agpr_count:     0
    .args:
      - .offset:         0
        .size:           72
        .value_kind:     by_value
    .group_segment_fixed_size: 0
    .kernarg_segment_align: 8
    .kernarg_segment_size: 72
    .language:       OpenCL C
    .language_version:
      - 2
      - 0
    .max_flat_workgroup_size: 128
    .name:           _ZN7rocprim17ROCPRIM_400000_NS6detail17trampoline_kernelINS0_14default_configENS1_22reduce_config_selectorIN6thrust23THRUST_200600_302600_NS5tupleIblNS6_9null_typeES8_S8_S8_S8_S8_S8_S8_EEEEZNS1_11reduce_implILb1ES3_NS6_12zip_iteratorINS7_INS6_11hip_rocprim26transform_input_iterator_tIbPKhN2at6native10EqualsModeEEENSD_19counting_iterator_tIlEES8_S8_S8_S8_S8_S8_S8_S8_EEEEPS9_S9_NSD_9__find_if7functorIS9_EEEE10hipError_tPvRmT1_T2_T3_mT4_P12ihipStream_tbEUlT_E1_NS1_11comp_targetILNS1_3genE3ELNS1_11target_archE908ELNS1_3gpuE7ELNS1_3repE0EEENS1_30default_config_static_selectorELNS0_4arch9wavefront6targetE1EEEvSW_
    .private_segment_fixed_size: 0
    .sgpr_count:     4
    .sgpr_spill_count: 0
    .symbol:         _ZN7rocprim17ROCPRIM_400000_NS6detail17trampoline_kernelINS0_14default_configENS1_22reduce_config_selectorIN6thrust23THRUST_200600_302600_NS5tupleIblNS6_9null_typeES8_S8_S8_S8_S8_S8_S8_EEEEZNS1_11reduce_implILb1ES3_NS6_12zip_iteratorINS7_INS6_11hip_rocprim26transform_input_iterator_tIbPKhN2at6native10EqualsModeEEENSD_19counting_iterator_tIlEES8_S8_S8_S8_S8_S8_S8_S8_EEEEPS9_S9_NSD_9__find_if7functorIS9_EEEE10hipError_tPvRmT1_T2_T3_mT4_P12ihipStream_tbEUlT_E1_NS1_11comp_targetILNS1_3genE3ELNS1_11target_archE908ELNS1_3gpuE7ELNS1_3repE0EEENS1_30default_config_static_selectorELNS0_4arch9wavefront6targetE1EEEvSW_.kd
    .uniform_work_group_size: 1
    .uses_dynamic_stack: false
    .vgpr_count:     0
    .vgpr_spill_count: 0
    .wavefront_size: 64
  - .agpr_count:     0
    .args:
      - .offset:         0
        .size:           72
        .value_kind:     by_value
    .group_segment_fixed_size: 0
    .kernarg_segment_align: 8
    .kernarg_segment_size: 72
    .language:       OpenCL C
    .language_version:
      - 2
      - 0
    .max_flat_workgroup_size: 128
    .name:           _ZN7rocprim17ROCPRIM_400000_NS6detail17trampoline_kernelINS0_14default_configENS1_22reduce_config_selectorIN6thrust23THRUST_200600_302600_NS5tupleIblNS6_9null_typeES8_S8_S8_S8_S8_S8_S8_EEEEZNS1_11reduce_implILb1ES3_NS6_12zip_iteratorINS7_INS6_11hip_rocprim26transform_input_iterator_tIbPKhN2at6native10EqualsModeEEENSD_19counting_iterator_tIlEES8_S8_S8_S8_S8_S8_S8_S8_EEEEPS9_S9_NSD_9__find_if7functorIS9_EEEE10hipError_tPvRmT1_T2_T3_mT4_P12ihipStream_tbEUlT_E1_NS1_11comp_targetILNS1_3genE2ELNS1_11target_archE906ELNS1_3gpuE6ELNS1_3repE0EEENS1_30default_config_static_selectorELNS0_4arch9wavefront6targetE1EEEvSW_
    .private_segment_fixed_size: 0
    .sgpr_count:     4
    .sgpr_spill_count: 0
    .symbol:         _ZN7rocprim17ROCPRIM_400000_NS6detail17trampoline_kernelINS0_14default_configENS1_22reduce_config_selectorIN6thrust23THRUST_200600_302600_NS5tupleIblNS6_9null_typeES8_S8_S8_S8_S8_S8_S8_EEEEZNS1_11reduce_implILb1ES3_NS6_12zip_iteratorINS7_INS6_11hip_rocprim26transform_input_iterator_tIbPKhN2at6native10EqualsModeEEENSD_19counting_iterator_tIlEES8_S8_S8_S8_S8_S8_S8_S8_EEEEPS9_S9_NSD_9__find_if7functorIS9_EEEE10hipError_tPvRmT1_T2_T3_mT4_P12ihipStream_tbEUlT_E1_NS1_11comp_targetILNS1_3genE2ELNS1_11target_archE906ELNS1_3gpuE6ELNS1_3repE0EEENS1_30default_config_static_selectorELNS0_4arch9wavefront6targetE1EEEvSW_.kd
    .uniform_work_group_size: 1
    .uses_dynamic_stack: false
    .vgpr_count:     0
    .vgpr_spill_count: 0
    .wavefront_size: 64
  - .agpr_count:     0
    .args:
      - .offset:         0
        .size:           72
        .value_kind:     by_value
    .group_segment_fixed_size: 0
    .kernarg_segment_align: 8
    .kernarg_segment_size: 72
    .language:       OpenCL C
    .language_version:
      - 2
      - 0
    .max_flat_workgroup_size: 256
    .name:           _ZN7rocprim17ROCPRIM_400000_NS6detail17trampoline_kernelINS0_14default_configENS1_22reduce_config_selectorIN6thrust23THRUST_200600_302600_NS5tupleIblNS6_9null_typeES8_S8_S8_S8_S8_S8_S8_EEEEZNS1_11reduce_implILb1ES3_NS6_12zip_iteratorINS7_INS6_11hip_rocprim26transform_input_iterator_tIbPKhN2at6native10EqualsModeEEENSD_19counting_iterator_tIlEES8_S8_S8_S8_S8_S8_S8_S8_EEEEPS9_S9_NSD_9__find_if7functorIS9_EEEE10hipError_tPvRmT1_T2_T3_mT4_P12ihipStream_tbEUlT_E1_NS1_11comp_targetILNS1_3genE10ELNS1_11target_archE1201ELNS1_3gpuE5ELNS1_3repE0EEENS1_30default_config_static_selectorELNS0_4arch9wavefront6targetE1EEEvSW_
    .private_segment_fixed_size: 0
    .sgpr_count:     4
    .sgpr_spill_count: 0
    .symbol:         _ZN7rocprim17ROCPRIM_400000_NS6detail17trampoline_kernelINS0_14default_configENS1_22reduce_config_selectorIN6thrust23THRUST_200600_302600_NS5tupleIblNS6_9null_typeES8_S8_S8_S8_S8_S8_S8_EEEEZNS1_11reduce_implILb1ES3_NS6_12zip_iteratorINS7_INS6_11hip_rocprim26transform_input_iterator_tIbPKhN2at6native10EqualsModeEEENSD_19counting_iterator_tIlEES8_S8_S8_S8_S8_S8_S8_S8_EEEEPS9_S9_NSD_9__find_if7functorIS9_EEEE10hipError_tPvRmT1_T2_T3_mT4_P12ihipStream_tbEUlT_E1_NS1_11comp_targetILNS1_3genE10ELNS1_11target_archE1201ELNS1_3gpuE5ELNS1_3repE0EEENS1_30default_config_static_selectorELNS0_4arch9wavefront6targetE1EEEvSW_.kd
    .uniform_work_group_size: 1
    .uses_dynamic_stack: false
    .vgpr_count:     0
    .vgpr_spill_count: 0
    .wavefront_size: 64
  - .agpr_count:     0
    .args:
      - .offset:         0
        .size:           72
        .value_kind:     by_value
    .group_segment_fixed_size: 0
    .kernarg_segment_align: 8
    .kernarg_segment_size: 72
    .language:       OpenCL C
    .language_version:
      - 2
      - 0
    .max_flat_workgroup_size: 256
    .name:           _ZN7rocprim17ROCPRIM_400000_NS6detail17trampoline_kernelINS0_14default_configENS1_22reduce_config_selectorIN6thrust23THRUST_200600_302600_NS5tupleIblNS6_9null_typeES8_S8_S8_S8_S8_S8_S8_EEEEZNS1_11reduce_implILb1ES3_NS6_12zip_iteratorINS7_INS6_11hip_rocprim26transform_input_iterator_tIbPKhN2at6native10EqualsModeEEENSD_19counting_iterator_tIlEES8_S8_S8_S8_S8_S8_S8_S8_EEEEPS9_S9_NSD_9__find_if7functorIS9_EEEE10hipError_tPvRmT1_T2_T3_mT4_P12ihipStream_tbEUlT_E1_NS1_11comp_targetILNS1_3genE10ELNS1_11target_archE1200ELNS1_3gpuE4ELNS1_3repE0EEENS1_30default_config_static_selectorELNS0_4arch9wavefront6targetE1EEEvSW_
    .private_segment_fixed_size: 0
    .sgpr_count:     4
    .sgpr_spill_count: 0
    .symbol:         _ZN7rocprim17ROCPRIM_400000_NS6detail17trampoline_kernelINS0_14default_configENS1_22reduce_config_selectorIN6thrust23THRUST_200600_302600_NS5tupleIblNS6_9null_typeES8_S8_S8_S8_S8_S8_S8_EEEEZNS1_11reduce_implILb1ES3_NS6_12zip_iteratorINS7_INS6_11hip_rocprim26transform_input_iterator_tIbPKhN2at6native10EqualsModeEEENSD_19counting_iterator_tIlEES8_S8_S8_S8_S8_S8_S8_S8_EEEEPS9_S9_NSD_9__find_if7functorIS9_EEEE10hipError_tPvRmT1_T2_T3_mT4_P12ihipStream_tbEUlT_E1_NS1_11comp_targetILNS1_3genE10ELNS1_11target_archE1200ELNS1_3gpuE4ELNS1_3repE0EEENS1_30default_config_static_selectorELNS0_4arch9wavefront6targetE1EEEvSW_.kd
    .uniform_work_group_size: 1
    .uses_dynamic_stack: false
    .vgpr_count:     0
    .vgpr_spill_count: 0
    .wavefront_size: 64
  - .agpr_count:     0
    .args:
      - .offset:         0
        .size:           72
        .value_kind:     by_value
    .group_segment_fixed_size: 0
    .kernarg_segment_align: 8
    .kernarg_segment_size: 72
    .language:       OpenCL C
    .language_version:
      - 2
      - 0
    .max_flat_workgroup_size: 256
    .name:           _ZN7rocprim17ROCPRIM_400000_NS6detail17trampoline_kernelINS0_14default_configENS1_22reduce_config_selectorIN6thrust23THRUST_200600_302600_NS5tupleIblNS6_9null_typeES8_S8_S8_S8_S8_S8_S8_EEEEZNS1_11reduce_implILb1ES3_NS6_12zip_iteratorINS7_INS6_11hip_rocprim26transform_input_iterator_tIbPKhN2at6native10EqualsModeEEENSD_19counting_iterator_tIlEES8_S8_S8_S8_S8_S8_S8_S8_EEEEPS9_S9_NSD_9__find_if7functorIS9_EEEE10hipError_tPvRmT1_T2_T3_mT4_P12ihipStream_tbEUlT_E1_NS1_11comp_targetILNS1_3genE9ELNS1_11target_archE1100ELNS1_3gpuE3ELNS1_3repE0EEENS1_30default_config_static_selectorELNS0_4arch9wavefront6targetE1EEEvSW_
    .private_segment_fixed_size: 0
    .sgpr_count:     4
    .sgpr_spill_count: 0
    .symbol:         _ZN7rocprim17ROCPRIM_400000_NS6detail17trampoline_kernelINS0_14default_configENS1_22reduce_config_selectorIN6thrust23THRUST_200600_302600_NS5tupleIblNS6_9null_typeES8_S8_S8_S8_S8_S8_S8_EEEEZNS1_11reduce_implILb1ES3_NS6_12zip_iteratorINS7_INS6_11hip_rocprim26transform_input_iterator_tIbPKhN2at6native10EqualsModeEEENSD_19counting_iterator_tIlEES8_S8_S8_S8_S8_S8_S8_S8_EEEEPS9_S9_NSD_9__find_if7functorIS9_EEEE10hipError_tPvRmT1_T2_T3_mT4_P12ihipStream_tbEUlT_E1_NS1_11comp_targetILNS1_3genE9ELNS1_11target_archE1100ELNS1_3gpuE3ELNS1_3repE0EEENS1_30default_config_static_selectorELNS0_4arch9wavefront6targetE1EEEvSW_.kd
    .uniform_work_group_size: 1
    .uses_dynamic_stack: false
    .vgpr_count:     0
    .vgpr_spill_count: 0
    .wavefront_size: 64
  - .agpr_count:     0
    .args:
      - .offset:         0
        .size:           72
        .value_kind:     by_value
    .group_segment_fixed_size: 0
    .kernarg_segment_align: 8
    .kernarg_segment_size: 72
    .language:       OpenCL C
    .language_version:
      - 2
      - 0
    .max_flat_workgroup_size: 256
    .name:           _ZN7rocprim17ROCPRIM_400000_NS6detail17trampoline_kernelINS0_14default_configENS1_22reduce_config_selectorIN6thrust23THRUST_200600_302600_NS5tupleIblNS6_9null_typeES8_S8_S8_S8_S8_S8_S8_EEEEZNS1_11reduce_implILb1ES3_NS6_12zip_iteratorINS7_INS6_11hip_rocprim26transform_input_iterator_tIbPKhN2at6native10EqualsModeEEENSD_19counting_iterator_tIlEES8_S8_S8_S8_S8_S8_S8_S8_EEEEPS9_S9_NSD_9__find_if7functorIS9_EEEE10hipError_tPvRmT1_T2_T3_mT4_P12ihipStream_tbEUlT_E1_NS1_11comp_targetILNS1_3genE8ELNS1_11target_archE1030ELNS1_3gpuE2ELNS1_3repE0EEENS1_30default_config_static_selectorELNS0_4arch9wavefront6targetE1EEEvSW_
    .private_segment_fixed_size: 0
    .sgpr_count:     4
    .sgpr_spill_count: 0
    .symbol:         _ZN7rocprim17ROCPRIM_400000_NS6detail17trampoline_kernelINS0_14default_configENS1_22reduce_config_selectorIN6thrust23THRUST_200600_302600_NS5tupleIblNS6_9null_typeES8_S8_S8_S8_S8_S8_S8_EEEEZNS1_11reduce_implILb1ES3_NS6_12zip_iteratorINS7_INS6_11hip_rocprim26transform_input_iterator_tIbPKhN2at6native10EqualsModeEEENSD_19counting_iterator_tIlEES8_S8_S8_S8_S8_S8_S8_S8_EEEEPS9_S9_NSD_9__find_if7functorIS9_EEEE10hipError_tPvRmT1_T2_T3_mT4_P12ihipStream_tbEUlT_E1_NS1_11comp_targetILNS1_3genE8ELNS1_11target_archE1030ELNS1_3gpuE2ELNS1_3repE0EEENS1_30default_config_static_selectorELNS0_4arch9wavefront6targetE1EEEvSW_.kd
    .uniform_work_group_size: 1
    .uses_dynamic_stack: false
    .vgpr_count:     0
    .vgpr_spill_count: 0
    .wavefront_size: 64
  - .agpr_count:     0
    .args:
      - .offset:         0
        .size:           16
        .value_kind:     by_value
      - .offset:         16
        .size:           8
        .value_kind:     by_value
      - .offset:         24
        .size:           8
        .value_kind:     by_value
    .group_segment_fixed_size: 0
    .kernarg_segment_align: 8
    .kernarg_segment_size: 32
    .language:       OpenCL C
    .language_version:
      - 2
      - 0
    .max_flat_workgroup_size: 256
    .name:           _ZN6thrust23THRUST_200600_302600_NS11hip_rocprim14__parallel_for6kernelILj256ENS1_10for_each_fINS0_7pointerINS0_5tupleIblNS0_9null_typeES7_S7_S7_S7_S7_S7_S7_EENS0_6detail22execute_with_allocatorIRN2at4cuda15ThrustAllocatorENS1_22execute_on_stream_baseEEENS0_11use_defaultESH_EENS9_16wrapped_functionINS9_23allocator_traits_detail24construct1_via_allocatorINS9_18no_throw_allocatorINS9_19temporary_allocatorIS8_SG_EEEEEEvEEEEmLj1EEEvT0_T1_SU_
    .private_segment_fixed_size: 0
    .sgpr_count:     16
    .sgpr_spill_count: 0
    .symbol:         _ZN6thrust23THRUST_200600_302600_NS11hip_rocprim14__parallel_for6kernelILj256ENS1_10for_each_fINS0_7pointerINS0_5tupleIblNS0_9null_typeES7_S7_S7_S7_S7_S7_S7_EENS0_6detail22execute_with_allocatorIRN2at4cuda15ThrustAllocatorENS1_22execute_on_stream_baseEEENS0_11use_defaultESH_EENS9_16wrapped_functionINS9_23allocator_traits_detail24construct1_via_allocatorINS9_18no_throw_allocatorINS9_19temporary_allocatorIS8_SG_EEEEEEvEEEEmLj1EEEvT0_T1_SU_.kd
    .uniform_work_group_size: 1
    .uses_dynamic_stack: false
    .vgpr_count:     4
    .vgpr_spill_count: 0
    .wavefront_size: 64
  - .agpr_count:     0
    .args:
      - .offset:         0
        .size:           16
        .value_kind:     by_value
      - .offset:         16
        .size:           8
        .value_kind:     by_value
      - .offset:         24
        .size:           8
        .value_kind:     by_value
    .group_segment_fixed_size: 0
    .kernarg_segment_align: 8
    .kernarg_segment_size: 32
    .language:       OpenCL C
    .language_version:
      - 2
      - 0
    .max_flat_workgroup_size: 256
    .name:           _ZN6thrust23THRUST_200600_302600_NS11hip_rocprim14__parallel_for6kernelILj256ENS1_10for_each_fINS0_7pointerINS0_5tupleIblNS0_9null_typeES7_S7_S7_S7_S7_S7_S7_EENS0_6detail22execute_with_allocatorIRN2at4cuda15ThrustAllocatorENS1_22execute_on_stream_baseEEENS0_11use_defaultESH_EENS9_16wrapped_functionINS9_23allocator_traits_detail5gozerEvEEEElLj1EEEvT0_T1_SP_
    .private_segment_fixed_size: 0
    .sgpr_count:     4
    .sgpr_spill_count: 0
    .symbol:         _ZN6thrust23THRUST_200600_302600_NS11hip_rocprim14__parallel_for6kernelILj256ENS1_10for_each_fINS0_7pointerINS0_5tupleIblNS0_9null_typeES7_S7_S7_S7_S7_S7_S7_EENS0_6detail22execute_with_allocatorIRN2at4cuda15ThrustAllocatorENS1_22execute_on_stream_baseEEENS0_11use_defaultESH_EENS9_16wrapped_functionINS9_23allocator_traits_detail5gozerEvEEEElLj1EEEvT0_T1_SP_.kd
    .uniform_work_group_size: 1
    .uses_dynamic_stack: false
    .vgpr_count:     0
    .vgpr_spill_count: 0
    .wavefront_size: 64
  - .agpr_count:     0
    .args:
      - .offset:         0
        .size:           16
        .value_kind:     by_value
      - .offset:         16
        .size:           8
        .value_kind:     by_value
      - .offset:         24
        .size:           8
        .value_kind:     by_value
    .group_segment_fixed_size: 0
    .kernarg_segment_align: 8
    .kernarg_segment_size: 32
    .language:       OpenCL C
    .language_version:
      - 2
      - 0
    .max_flat_workgroup_size: 256
    .name:           _ZN6thrust23THRUST_200600_302600_NS11hip_rocprim14__parallel_for6kernelILj256ENS1_20__uninitialized_copy7functorIPNS0_5tupleIblNS0_9null_typeES7_S7_S7_S7_S7_S7_S7_EENS0_7pointerIS8_NS0_6detail22execute_with_allocatorIRN2at4cuda15ThrustAllocatorENS1_22execute_on_stream_baseEEENS0_11use_defaultESJ_EEEEmLj1EEEvT0_T1_SN_
    .private_segment_fixed_size: 0
    .sgpr_count:     20
    .sgpr_spill_count: 0
    .symbol:         _ZN6thrust23THRUST_200600_302600_NS11hip_rocprim14__parallel_for6kernelILj256ENS1_20__uninitialized_copy7functorIPNS0_5tupleIblNS0_9null_typeES7_S7_S7_S7_S7_S7_S7_EENS0_7pointerIS8_NS0_6detail22execute_with_allocatorIRN2at4cuda15ThrustAllocatorENS1_22execute_on_stream_baseEEENS0_11use_defaultESJ_EEEEmLj1EEEvT0_T1_SN_.kd
    .uniform_work_group_size: 1
    .uses_dynamic_stack: false
    .vgpr_count:     8
    .vgpr_spill_count: 0
    .wavefront_size: 64
  - .agpr_count:     0
    .args:
      - .address_space:  global
        .offset:         0
        .size:           8
        .value_kind:     global_buffer
      - .offset:         8
        .size:           216
        .value_kind:     by_value
      - .offset:         224
        .size:           216
        .value_kind:     by_value
      - .offset:         440
        .size:           8
        .value_kind:     by_value
      - .offset:         448
        .size:           8
        .value_kind:     by_value
      - .offset:         456
        .size:           4
        .value_kind:     hidden_block_count_x
      - .offset:         460
        .size:           4
        .value_kind:     hidden_block_count_y
      - .offset:         464
        .size:           4
        .value_kind:     hidden_block_count_z
      - .offset:         468
        .size:           2
        .value_kind:     hidden_group_size_x
      - .offset:         470
        .size:           2
        .value_kind:     hidden_group_size_y
      - .offset:         472
        .size:           2
        .value_kind:     hidden_group_size_z
      - .offset:         474
        .size:           2
        .value_kind:     hidden_remainder_x
      - .offset:         476
        .size:           2
        .value_kind:     hidden_remainder_y
      - .offset:         478
        .size:           2
        .value_kind:     hidden_remainder_z
      - .offset:         496
        .size:           8
        .value_kind:     hidden_global_offset_x
      - .offset:         504
        .size:           8
        .value_kind:     hidden_global_offset_y
      - .offset:         512
        .size:           8
        .value_kind:     hidden_global_offset_z
      - .offset:         520
        .size:           2
        .value_kind:     hidden_grid_dims
      - .offset:         576
        .size:           4
        .value_kind:     hidden_dynamic_lds_size
    .group_segment_fixed_size: 1
    .kernarg_segment_align: 8
    .kernarg_segment_size: 712
    .language:       OpenCL C
    .language_version:
      - 2
      - 0
    .max_flat_workgroup_size: 1024
    .name:           _ZN2at6native12compute_modeIhLj2048EEEvPKT_NS_4cuda6detail10TensorInfoIS2_jEENS7_IljEEll
    .private_segment_fixed_size: 0
    .sgpr_count:     28
    .sgpr_spill_count: 0
    .symbol:         _ZN2at6native12compute_modeIhLj2048EEEvPKT_NS_4cuda6detail10TensorInfoIS2_jEENS7_IljEEll.kd
    .uniform_work_group_size: 1
    .uses_dynamic_stack: false
    .vgpr_count:     28
    .vgpr_spill_count: 0
    .wavefront_size: 64
  - .agpr_count:     0
    .args:
      - .address_space:  global
        .offset:         0
        .size:           8
        .value_kind:     global_buffer
      - .offset:         8
        .size:           216
        .value_kind:     by_value
      - .offset:         224
        .size:           216
        .value_kind:     by_value
      - .offset:         440
        .size:           8
        .value_kind:     by_value
      - .offset:         448
        .size:           8
        .value_kind:     by_value
      - .offset:         456
        .size:           4
        .value_kind:     hidden_block_count_x
      - .offset:         460
        .size:           4
        .value_kind:     hidden_block_count_y
      - .offset:         464
        .size:           4
        .value_kind:     hidden_block_count_z
      - .offset:         468
        .size:           2
        .value_kind:     hidden_group_size_x
      - .offset:         470
        .size:           2
        .value_kind:     hidden_group_size_y
      - .offset:         472
        .size:           2
        .value_kind:     hidden_group_size_z
      - .offset:         474
        .size:           2
        .value_kind:     hidden_remainder_x
      - .offset:         476
        .size:           2
        .value_kind:     hidden_remainder_y
      - .offset:         478
        .size:           2
        .value_kind:     hidden_remainder_z
      - .offset:         496
        .size:           8
        .value_kind:     hidden_global_offset_x
      - .offset:         504
        .size:           8
        .value_kind:     hidden_global_offset_y
      - .offset:         512
        .size:           8
        .value_kind:     hidden_global_offset_z
      - .offset:         520
        .size:           2
        .value_kind:     hidden_grid_dims
      - .offset:         576
        .size:           4
        .value_kind:     hidden_dynamic_lds_size
    .group_segment_fixed_size: 1
    .kernarg_segment_align: 8
    .kernarg_segment_size: 712
    .language:       OpenCL C
    .language_version:
      - 2
      - 0
    .max_flat_workgroup_size: 1024
    .name:           _ZN2at6native12compute_modeIhLj1024EEEvPKT_NS_4cuda6detail10TensorInfoIS2_jEENS7_IljEEll
    .private_segment_fixed_size: 0
    .sgpr_count:     26
    .sgpr_spill_count: 0
    .symbol:         _ZN2at6native12compute_modeIhLj1024EEEvPKT_NS_4cuda6detail10TensorInfoIS2_jEENS7_IljEEll.kd
    .uniform_work_group_size: 1
    .uses_dynamic_stack: false
    .vgpr_count:     25
    .vgpr_spill_count: 0
    .wavefront_size: 64
  - .agpr_count:     0
    .args:
      - .address_space:  global
        .offset:         0
        .size:           8
        .value_kind:     global_buffer
      - .offset:         8
        .size:           216
        .value_kind:     by_value
      - .offset:         224
        .size:           216
        .value_kind:     by_value
      - .offset:         440
        .size:           8
        .value_kind:     by_value
      - .offset:         448
        .size:           8
        .value_kind:     by_value
      - .offset:         456
        .size:           4
        .value_kind:     hidden_block_count_x
      - .offset:         460
        .size:           4
        .value_kind:     hidden_block_count_y
      - .offset:         464
        .size:           4
        .value_kind:     hidden_block_count_z
      - .offset:         468
        .size:           2
        .value_kind:     hidden_group_size_x
      - .offset:         470
        .size:           2
        .value_kind:     hidden_group_size_y
      - .offset:         472
        .size:           2
        .value_kind:     hidden_group_size_z
      - .offset:         474
        .size:           2
        .value_kind:     hidden_remainder_x
      - .offset:         476
        .size:           2
        .value_kind:     hidden_remainder_y
      - .offset:         478
        .size:           2
        .value_kind:     hidden_remainder_z
      - .offset:         496
        .size:           8
        .value_kind:     hidden_global_offset_x
      - .offset:         504
        .size:           8
        .value_kind:     hidden_global_offset_y
      - .offset:         512
        .size:           8
        .value_kind:     hidden_global_offset_z
      - .offset:         520
        .size:           2
        .value_kind:     hidden_grid_dims
      - .offset:         576
        .size:           4
        .value_kind:     hidden_dynamic_lds_size
    .group_segment_fixed_size: 1
    .kernarg_segment_align: 8
    .kernarg_segment_size: 712
    .language:       OpenCL C
    .language_version:
      - 2
      - 0
    .max_flat_workgroup_size: 1024
    .name:           _ZN2at6native12compute_modeIhLj128EEEvPKT_NS_4cuda6detail10TensorInfoIS2_jEENS7_IljEEll
    .private_segment_fixed_size: 0
    .sgpr_count:     26
    .sgpr_spill_count: 0
    .symbol:         _ZN2at6native12compute_modeIhLj128EEEvPKT_NS_4cuda6detail10TensorInfoIS2_jEENS7_IljEEll.kd
    .uniform_work_group_size: 1
    .uses_dynamic_stack: false
    .vgpr_count:     19
    .vgpr_spill_count: 0
    .wavefront_size: 64
  - .agpr_count:     0
    .args:
      - .address_space:  global
        .offset:         0
        .size:           8
        .value_kind:     global_buffer
      - .offset:         8
        .size:           216
        .value_kind:     by_value
      - .offset:         224
        .size:           216
        .value_kind:     by_value
      - .offset:         440
        .size:           8
        .value_kind:     by_value
      - .offset:         448
        .size:           8
        .value_kind:     by_value
      - .offset:         456
        .size:           4
        .value_kind:     hidden_block_count_x
      - .offset:         460
        .size:           4
        .value_kind:     hidden_block_count_y
      - .offset:         464
        .size:           4
        .value_kind:     hidden_block_count_z
      - .offset:         468
        .size:           2
        .value_kind:     hidden_group_size_x
      - .offset:         470
        .size:           2
        .value_kind:     hidden_group_size_y
      - .offset:         472
        .size:           2
        .value_kind:     hidden_group_size_z
      - .offset:         474
        .size:           2
        .value_kind:     hidden_remainder_x
      - .offset:         476
        .size:           2
        .value_kind:     hidden_remainder_y
      - .offset:         478
        .size:           2
        .value_kind:     hidden_remainder_z
      - .offset:         496
        .size:           8
        .value_kind:     hidden_global_offset_x
      - .offset:         504
        .size:           8
        .value_kind:     hidden_global_offset_y
      - .offset:         512
        .size:           8
        .value_kind:     hidden_global_offset_z
      - .offset:         520
        .size:           2
        .value_kind:     hidden_grid_dims
      - .offset:         576
        .size:           4
        .value_kind:     hidden_dynamic_lds_size
    .group_segment_fixed_size: 1
    .kernarg_segment_align: 8
    .kernarg_segment_size: 712
    .language:       OpenCL C
    .language_version:
      - 2
      - 0
    .max_flat_workgroup_size: 1024
    .name:           _ZN2at6native12compute_modeIaLj2048EEEvPKT_NS_4cuda6detail10TensorInfoIS2_jEENS7_IljEEll
    .private_segment_fixed_size: 0
    .sgpr_count:     28
    .sgpr_spill_count: 0
    .symbol:         _ZN2at6native12compute_modeIaLj2048EEEvPKT_NS_4cuda6detail10TensorInfoIS2_jEENS7_IljEEll.kd
    .uniform_work_group_size: 1
    .uses_dynamic_stack: false
    .vgpr_count:     28
    .vgpr_spill_count: 0
    .wavefront_size: 64
  - .agpr_count:     0
    .args:
      - .address_space:  global
        .offset:         0
        .size:           8
        .value_kind:     global_buffer
      - .offset:         8
        .size:           216
        .value_kind:     by_value
      - .offset:         224
        .size:           216
        .value_kind:     by_value
      - .offset:         440
        .size:           8
        .value_kind:     by_value
      - .offset:         448
        .size:           8
        .value_kind:     by_value
      - .offset:         456
        .size:           4
        .value_kind:     hidden_block_count_x
      - .offset:         460
        .size:           4
        .value_kind:     hidden_block_count_y
      - .offset:         464
        .size:           4
        .value_kind:     hidden_block_count_z
      - .offset:         468
        .size:           2
        .value_kind:     hidden_group_size_x
      - .offset:         470
        .size:           2
        .value_kind:     hidden_group_size_y
      - .offset:         472
        .size:           2
        .value_kind:     hidden_group_size_z
      - .offset:         474
        .size:           2
        .value_kind:     hidden_remainder_x
      - .offset:         476
        .size:           2
        .value_kind:     hidden_remainder_y
      - .offset:         478
        .size:           2
        .value_kind:     hidden_remainder_z
      - .offset:         496
        .size:           8
        .value_kind:     hidden_global_offset_x
      - .offset:         504
        .size:           8
        .value_kind:     hidden_global_offset_y
      - .offset:         512
        .size:           8
        .value_kind:     hidden_global_offset_z
      - .offset:         520
        .size:           2
        .value_kind:     hidden_grid_dims
      - .offset:         576
        .size:           4
        .value_kind:     hidden_dynamic_lds_size
    .group_segment_fixed_size: 1
    .kernarg_segment_align: 8
    .kernarg_segment_size: 712
    .language:       OpenCL C
    .language_version:
      - 2
      - 0
    .max_flat_workgroup_size: 1024
    .name:           _ZN2at6native12compute_modeIaLj1024EEEvPKT_NS_4cuda6detail10TensorInfoIS2_jEENS7_IljEEll
    .private_segment_fixed_size: 0
    .sgpr_count:     26
    .sgpr_spill_count: 0
    .symbol:         _ZN2at6native12compute_modeIaLj1024EEEvPKT_NS_4cuda6detail10TensorInfoIS2_jEENS7_IljEEll.kd
    .uniform_work_group_size: 1
    .uses_dynamic_stack: false
    .vgpr_count:     25
    .vgpr_spill_count: 0
    .wavefront_size: 64
  - .agpr_count:     0
    .args:
      - .address_space:  global
        .offset:         0
        .size:           8
        .value_kind:     global_buffer
      - .offset:         8
        .size:           216
        .value_kind:     by_value
      - .offset:         224
        .size:           216
        .value_kind:     by_value
      - .offset:         440
        .size:           8
        .value_kind:     by_value
      - .offset:         448
        .size:           8
        .value_kind:     by_value
      - .offset:         456
        .size:           4
        .value_kind:     hidden_block_count_x
      - .offset:         460
        .size:           4
        .value_kind:     hidden_block_count_y
      - .offset:         464
        .size:           4
        .value_kind:     hidden_block_count_z
      - .offset:         468
        .size:           2
        .value_kind:     hidden_group_size_x
      - .offset:         470
        .size:           2
        .value_kind:     hidden_group_size_y
      - .offset:         472
        .size:           2
        .value_kind:     hidden_group_size_z
      - .offset:         474
        .size:           2
        .value_kind:     hidden_remainder_x
      - .offset:         476
        .size:           2
        .value_kind:     hidden_remainder_y
      - .offset:         478
        .size:           2
        .value_kind:     hidden_remainder_z
      - .offset:         496
        .size:           8
        .value_kind:     hidden_global_offset_x
      - .offset:         504
        .size:           8
        .value_kind:     hidden_global_offset_y
      - .offset:         512
        .size:           8
        .value_kind:     hidden_global_offset_z
      - .offset:         520
        .size:           2
        .value_kind:     hidden_grid_dims
      - .offset:         576
        .size:           4
        .value_kind:     hidden_dynamic_lds_size
    .group_segment_fixed_size: 1
    .kernarg_segment_align: 8
    .kernarg_segment_size: 712
    .language:       OpenCL C
    .language_version:
      - 2
      - 0
    .max_flat_workgroup_size: 1024
    .name:           _ZN2at6native12compute_modeIaLj128EEEvPKT_NS_4cuda6detail10TensorInfoIS2_jEENS7_IljEEll
    .private_segment_fixed_size: 0
    .sgpr_count:     26
    .sgpr_spill_count: 0
    .symbol:         _ZN2at6native12compute_modeIaLj128EEEvPKT_NS_4cuda6detail10TensorInfoIS2_jEENS7_IljEEll.kd
    .uniform_work_group_size: 1
    .uses_dynamic_stack: false
    .vgpr_count:     19
    .vgpr_spill_count: 0
    .wavefront_size: 64
  - .agpr_count:     0
    .args:
      - .address_space:  global
        .offset:         0
        .size:           8
        .value_kind:     global_buffer
      - .offset:         8
        .size:           216
        .value_kind:     by_value
      - .offset:         224
        .size:           216
        .value_kind:     by_value
      - .offset:         440
        .size:           8
        .value_kind:     by_value
      - .offset:         448
        .size:           8
        .value_kind:     by_value
      - .offset:         456
        .size:           4
        .value_kind:     hidden_block_count_x
      - .offset:         460
        .size:           4
        .value_kind:     hidden_block_count_y
      - .offset:         464
        .size:           4
        .value_kind:     hidden_block_count_z
      - .offset:         468
        .size:           2
        .value_kind:     hidden_group_size_x
      - .offset:         470
        .size:           2
        .value_kind:     hidden_group_size_y
      - .offset:         472
        .size:           2
        .value_kind:     hidden_group_size_z
      - .offset:         474
        .size:           2
        .value_kind:     hidden_remainder_x
      - .offset:         476
        .size:           2
        .value_kind:     hidden_remainder_y
      - .offset:         478
        .size:           2
        .value_kind:     hidden_remainder_z
      - .offset:         496
        .size:           8
        .value_kind:     hidden_global_offset_x
      - .offset:         504
        .size:           8
        .value_kind:     hidden_global_offset_y
      - .offset:         512
        .size:           8
        .value_kind:     hidden_global_offset_z
      - .offset:         520
        .size:           2
        .value_kind:     hidden_grid_dims
      - .offset:         576
        .size:           4
        .value_kind:     hidden_dynamic_lds_size
    .group_segment_fixed_size: 4
    .kernarg_segment_align: 8
    .kernarg_segment_size: 712
    .language:       OpenCL C
    .language_version:
      - 2
      - 0
    .max_flat_workgroup_size: 1024
    .name:           _ZN2at6native12compute_modeIiLj2048EEEvPKT_NS_4cuda6detail10TensorInfoIS2_jEENS7_IljEEll
    .private_segment_fixed_size: 0
    .sgpr_count:     28
    .sgpr_spill_count: 0
    .symbol:         _ZN2at6native12compute_modeIiLj2048EEEvPKT_NS_4cuda6detail10TensorInfoIS2_jEENS7_IljEEll.kd
    .uniform_work_group_size: 1
    .uses_dynamic_stack: false
    .vgpr_count:     28
    .vgpr_spill_count: 0
    .wavefront_size: 64
  - .agpr_count:     0
    .args:
      - .address_space:  global
        .offset:         0
        .size:           8
        .value_kind:     global_buffer
      - .offset:         8
        .size:           216
        .value_kind:     by_value
      - .offset:         224
        .size:           216
        .value_kind:     by_value
      - .offset:         440
        .size:           8
        .value_kind:     by_value
      - .offset:         448
        .size:           8
        .value_kind:     by_value
      - .offset:         456
        .size:           4
        .value_kind:     hidden_block_count_x
      - .offset:         460
        .size:           4
        .value_kind:     hidden_block_count_y
      - .offset:         464
        .size:           4
        .value_kind:     hidden_block_count_z
      - .offset:         468
        .size:           2
        .value_kind:     hidden_group_size_x
      - .offset:         470
        .size:           2
        .value_kind:     hidden_group_size_y
      - .offset:         472
        .size:           2
        .value_kind:     hidden_group_size_z
      - .offset:         474
        .size:           2
        .value_kind:     hidden_remainder_x
      - .offset:         476
        .size:           2
        .value_kind:     hidden_remainder_y
      - .offset:         478
        .size:           2
        .value_kind:     hidden_remainder_z
      - .offset:         496
        .size:           8
        .value_kind:     hidden_global_offset_x
      - .offset:         504
        .size:           8
        .value_kind:     hidden_global_offset_y
      - .offset:         512
        .size:           8
        .value_kind:     hidden_global_offset_z
      - .offset:         520
        .size:           2
        .value_kind:     hidden_grid_dims
      - .offset:         576
        .size:           4
        .value_kind:     hidden_dynamic_lds_size
    .group_segment_fixed_size: 4
    .kernarg_segment_align: 8
    .kernarg_segment_size: 712
    .language:       OpenCL C
    .language_version:
      - 2
      - 0
    .max_flat_workgroup_size: 1024
    .name:           _ZN2at6native12compute_modeIiLj1024EEEvPKT_NS_4cuda6detail10TensorInfoIS2_jEENS7_IljEEll
    .private_segment_fixed_size: 0
    .sgpr_count:     26
    .sgpr_spill_count: 0
    .symbol:         _ZN2at6native12compute_modeIiLj1024EEEvPKT_NS_4cuda6detail10TensorInfoIS2_jEENS7_IljEEll.kd
    .uniform_work_group_size: 1
    .uses_dynamic_stack: false
    .vgpr_count:     37
    .vgpr_spill_count: 0
    .wavefront_size: 64
  - .agpr_count:     0
    .args:
      - .address_space:  global
        .offset:         0
        .size:           8
        .value_kind:     global_buffer
      - .offset:         8
        .size:           216
        .value_kind:     by_value
      - .offset:         224
        .size:           216
        .value_kind:     by_value
      - .offset:         440
        .size:           8
        .value_kind:     by_value
      - .offset:         448
        .size:           8
        .value_kind:     by_value
      - .offset:         456
        .size:           4
        .value_kind:     hidden_block_count_x
      - .offset:         460
        .size:           4
        .value_kind:     hidden_block_count_y
      - .offset:         464
        .size:           4
        .value_kind:     hidden_block_count_z
      - .offset:         468
        .size:           2
        .value_kind:     hidden_group_size_x
      - .offset:         470
        .size:           2
        .value_kind:     hidden_group_size_y
      - .offset:         472
        .size:           2
        .value_kind:     hidden_group_size_z
      - .offset:         474
        .size:           2
        .value_kind:     hidden_remainder_x
      - .offset:         476
        .size:           2
        .value_kind:     hidden_remainder_y
      - .offset:         478
        .size:           2
        .value_kind:     hidden_remainder_z
      - .offset:         496
        .size:           8
        .value_kind:     hidden_global_offset_x
      - .offset:         504
        .size:           8
        .value_kind:     hidden_global_offset_y
      - .offset:         512
        .size:           8
        .value_kind:     hidden_global_offset_z
      - .offset:         520
        .size:           2
        .value_kind:     hidden_grid_dims
      - .offset:         576
        .size:           4
        .value_kind:     hidden_dynamic_lds_size
    .group_segment_fixed_size: 4
    .kernarg_segment_align: 8
    .kernarg_segment_size: 712
    .language:       OpenCL C
    .language_version:
      - 2
      - 0
    .max_flat_workgroup_size: 1024
    .name:           _ZN2at6native12compute_modeIiLj128EEEvPKT_NS_4cuda6detail10TensorInfoIS2_jEENS7_IljEEll
    .private_segment_fixed_size: 0
    .sgpr_count:     26
    .sgpr_spill_count: 0
    .symbol:         _ZN2at6native12compute_modeIiLj128EEEvPKT_NS_4cuda6detail10TensorInfoIS2_jEENS7_IljEEll.kd
    .uniform_work_group_size: 1
    .uses_dynamic_stack: false
    .vgpr_count:     28
    .vgpr_spill_count: 0
    .wavefront_size: 64
  - .agpr_count:     0
    .args:
      - .address_space:  global
        .offset:         0
        .size:           8
        .value_kind:     global_buffer
      - .offset:         8
        .size:           216
        .value_kind:     by_value
      - .offset:         224
        .size:           216
        .value_kind:     by_value
      - .offset:         440
        .size:           8
        .value_kind:     by_value
      - .offset:         448
        .size:           8
        .value_kind:     by_value
      - .offset:         456
        .size:           4
        .value_kind:     hidden_block_count_x
      - .offset:         460
        .size:           4
        .value_kind:     hidden_block_count_y
      - .offset:         464
        .size:           4
        .value_kind:     hidden_block_count_z
      - .offset:         468
        .size:           2
        .value_kind:     hidden_group_size_x
      - .offset:         470
        .size:           2
        .value_kind:     hidden_group_size_y
      - .offset:         472
        .size:           2
        .value_kind:     hidden_group_size_z
      - .offset:         474
        .size:           2
        .value_kind:     hidden_remainder_x
      - .offset:         476
        .size:           2
        .value_kind:     hidden_remainder_y
      - .offset:         478
        .size:           2
        .value_kind:     hidden_remainder_z
      - .offset:         496
        .size:           8
        .value_kind:     hidden_global_offset_x
      - .offset:         504
        .size:           8
        .value_kind:     hidden_global_offset_y
      - .offset:         512
        .size:           8
        .value_kind:     hidden_global_offset_z
      - .offset:         520
        .size:           2
        .value_kind:     hidden_grid_dims
      - .offset:         576
        .size:           4
        .value_kind:     hidden_dynamic_lds_size
    .group_segment_fixed_size: 8
    .kernarg_segment_align: 8
    .kernarg_segment_size: 712
    .language:       OpenCL C
    .language_version:
      - 2
      - 0
    .max_flat_workgroup_size: 1024
    .name:           _ZN2at6native12compute_modeIlLj2048EEEvPKT_NS_4cuda6detail10TensorInfoIS2_jEENS7_IljEEll
    .private_segment_fixed_size: 0
    .sgpr_count:     28
    .sgpr_spill_count: 0
    .symbol:         _ZN2at6native12compute_modeIlLj2048EEEvPKT_NS_4cuda6detail10TensorInfoIS2_jEENS7_IljEEll.kd
    .uniform_work_group_size: 1
    .uses_dynamic_stack: false
    .vgpr_count:     28
    .vgpr_spill_count: 0
    .wavefront_size: 64
  - .agpr_count:     0
    .args:
      - .address_space:  global
        .offset:         0
        .size:           8
        .value_kind:     global_buffer
      - .offset:         8
        .size:           216
        .value_kind:     by_value
      - .offset:         224
        .size:           216
        .value_kind:     by_value
      - .offset:         440
        .size:           8
        .value_kind:     by_value
      - .offset:         448
        .size:           8
        .value_kind:     by_value
      - .offset:         456
        .size:           4
        .value_kind:     hidden_block_count_x
      - .offset:         460
        .size:           4
        .value_kind:     hidden_block_count_y
      - .offset:         464
        .size:           4
        .value_kind:     hidden_block_count_z
      - .offset:         468
        .size:           2
        .value_kind:     hidden_group_size_x
      - .offset:         470
        .size:           2
        .value_kind:     hidden_group_size_y
      - .offset:         472
        .size:           2
        .value_kind:     hidden_group_size_z
      - .offset:         474
        .size:           2
        .value_kind:     hidden_remainder_x
      - .offset:         476
        .size:           2
        .value_kind:     hidden_remainder_y
      - .offset:         478
        .size:           2
        .value_kind:     hidden_remainder_z
      - .offset:         496
        .size:           8
        .value_kind:     hidden_global_offset_x
      - .offset:         504
        .size:           8
        .value_kind:     hidden_global_offset_y
      - .offset:         512
        .size:           8
        .value_kind:     hidden_global_offset_z
      - .offset:         520
        .size:           2
        .value_kind:     hidden_grid_dims
      - .offset:         576
        .size:           4
        .value_kind:     hidden_dynamic_lds_size
    .group_segment_fixed_size: 8
    .kernarg_segment_align: 8
    .kernarg_segment_size: 712
    .language:       OpenCL C
    .language_version:
      - 2
      - 0
    .max_flat_workgroup_size: 1024
    .name:           _ZN2at6native12compute_modeIlLj1024EEEvPKT_NS_4cuda6detail10TensorInfoIS2_jEENS7_IljEEll
    .private_segment_fixed_size: 0
    .sgpr_count:     26
    .sgpr_spill_count: 0
    .symbol:         _ZN2at6native12compute_modeIlLj1024EEEvPKT_NS_4cuda6detail10TensorInfoIS2_jEENS7_IljEEll.kd
    .uniform_work_group_size: 1
    .uses_dynamic_stack: false
    .vgpr_count:     40
    .vgpr_spill_count: 0
    .wavefront_size: 64
  - .agpr_count:     0
    .args:
      - .address_space:  global
        .offset:         0
        .size:           8
        .value_kind:     global_buffer
      - .offset:         8
        .size:           216
        .value_kind:     by_value
      - .offset:         224
        .size:           216
        .value_kind:     by_value
      - .offset:         440
        .size:           8
        .value_kind:     by_value
      - .offset:         448
        .size:           8
        .value_kind:     by_value
      - .offset:         456
        .size:           4
        .value_kind:     hidden_block_count_x
      - .offset:         460
        .size:           4
        .value_kind:     hidden_block_count_y
      - .offset:         464
        .size:           4
        .value_kind:     hidden_block_count_z
      - .offset:         468
        .size:           2
        .value_kind:     hidden_group_size_x
      - .offset:         470
        .size:           2
        .value_kind:     hidden_group_size_y
      - .offset:         472
        .size:           2
        .value_kind:     hidden_group_size_z
      - .offset:         474
        .size:           2
        .value_kind:     hidden_remainder_x
      - .offset:         476
        .size:           2
        .value_kind:     hidden_remainder_y
      - .offset:         478
        .size:           2
        .value_kind:     hidden_remainder_z
      - .offset:         496
        .size:           8
        .value_kind:     hidden_global_offset_x
      - .offset:         504
        .size:           8
        .value_kind:     hidden_global_offset_y
      - .offset:         512
        .size:           8
        .value_kind:     hidden_global_offset_z
      - .offset:         520
        .size:           2
        .value_kind:     hidden_grid_dims
      - .offset:         576
        .size:           4
        .value_kind:     hidden_dynamic_lds_size
    .group_segment_fixed_size: 8
    .kernarg_segment_align: 8
    .kernarg_segment_size: 712
    .language:       OpenCL C
    .language_version:
      - 2
      - 0
    .max_flat_workgroup_size: 1024
    .name:           _ZN2at6native12compute_modeIlLj128EEEvPKT_NS_4cuda6detail10TensorInfoIS2_jEENS7_IljEEll
    .private_segment_fixed_size: 0
    .sgpr_count:     26
    .sgpr_spill_count: 0
    .symbol:         _ZN2at6native12compute_modeIlLj128EEEvPKT_NS_4cuda6detail10TensorInfoIS2_jEENS7_IljEEll.kd
    .uniform_work_group_size: 1
    .uses_dynamic_stack: false
    .vgpr_count:     31
    .vgpr_spill_count: 0
    .wavefront_size: 64
  - .agpr_count:     0
    .args:
      - .address_space:  global
        .offset:         0
        .size:           8
        .value_kind:     global_buffer
      - .offset:         8
        .size:           216
        .value_kind:     by_value
      - .offset:         224
        .size:           216
        .value_kind:     by_value
      - .offset:         440
        .size:           8
        .value_kind:     by_value
      - .offset:         448
        .size:           8
        .value_kind:     by_value
      - .offset:         456
        .size:           4
        .value_kind:     hidden_block_count_x
      - .offset:         460
        .size:           4
        .value_kind:     hidden_block_count_y
      - .offset:         464
        .size:           4
        .value_kind:     hidden_block_count_z
      - .offset:         468
        .size:           2
        .value_kind:     hidden_group_size_x
      - .offset:         470
        .size:           2
        .value_kind:     hidden_group_size_y
      - .offset:         472
        .size:           2
        .value_kind:     hidden_group_size_z
      - .offset:         474
        .size:           2
        .value_kind:     hidden_remainder_x
      - .offset:         476
        .size:           2
        .value_kind:     hidden_remainder_y
      - .offset:         478
        .size:           2
        .value_kind:     hidden_remainder_z
      - .offset:         496
        .size:           8
        .value_kind:     hidden_global_offset_x
      - .offset:         504
        .size:           8
        .value_kind:     hidden_global_offset_y
      - .offset:         512
        .size:           8
        .value_kind:     hidden_global_offset_z
      - .offset:         520
        .size:           2
        .value_kind:     hidden_grid_dims
      - .offset:         576
        .size:           4
        .value_kind:     hidden_dynamic_lds_size
    .group_segment_fixed_size: 2
    .kernarg_segment_align: 8
    .kernarg_segment_size: 712
    .language:       OpenCL C
    .language_version:
      - 2
      - 0
    .max_flat_workgroup_size: 1024
    .name:           _ZN2at6native12compute_modeIsLj2048EEEvPKT_NS_4cuda6detail10TensorInfoIS2_jEENS7_IljEEll
    .private_segment_fixed_size: 0
    .sgpr_count:     28
    .sgpr_spill_count: 0
    .symbol:         _ZN2at6native12compute_modeIsLj2048EEEvPKT_NS_4cuda6detail10TensorInfoIS2_jEENS7_IljEEll.kd
    .uniform_work_group_size: 1
    .uses_dynamic_stack: false
    .vgpr_count:     28
    .vgpr_spill_count: 0
    .wavefront_size: 64
  - .agpr_count:     0
    .args:
      - .address_space:  global
        .offset:         0
        .size:           8
        .value_kind:     global_buffer
      - .offset:         8
        .size:           216
        .value_kind:     by_value
      - .offset:         224
        .size:           216
        .value_kind:     by_value
      - .offset:         440
        .size:           8
        .value_kind:     by_value
      - .offset:         448
        .size:           8
        .value_kind:     by_value
      - .offset:         456
        .size:           4
        .value_kind:     hidden_block_count_x
      - .offset:         460
        .size:           4
        .value_kind:     hidden_block_count_y
      - .offset:         464
        .size:           4
        .value_kind:     hidden_block_count_z
      - .offset:         468
        .size:           2
        .value_kind:     hidden_group_size_x
      - .offset:         470
        .size:           2
        .value_kind:     hidden_group_size_y
      - .offset:         472
        .size:           2
        .value_kind:     hidden_group_size_z
      - .offset:         474
        .size:           2
        .value_kind:     hidden_remainder_x
      - .offset:         476
        .size:           2
        .value_kind:     hidden_remainder_y
      - .offset:         478
        .size:           2
        .value_kind:     hidden_remainder_z
      - .offset:         496
        .size:           8
        .value_kind:     hidden_global_offset_x
      - .offset:         504
        .size:           8
        .value_kind:     hidden_global_offset_y
      - .offset:         512
        .size:           8
        .value_kind:     hidden_global_offset_z
      - .offset:         520
        .size:           2
        .value_kind:     hidden_grid_dims
      - .offset:         576
        .size:           4
        .value_kind:     hidden_dynamic_lds_size
    .group_segment_fixed_size: 2
    .kernarg_segment_align: 8
    .kernarg_segment_size: 712
    .language:       OpenCL C
    .language_version:
      - 2
      - 0
    .max_flat_workgroup_size: 1024
    .name:           _ZN2at6native12compute_modeIsLj1024EEEvPKT_NS_4cuda6detail10TensorInfoIS2_jEENS7_IljEEll
    .private_segment_fixed_size: 0
    .sgpr_count:     26
    .sgpr_spill_count: 0
    .symbol:         _ZN2at6native12compute_modeIsLj1024EEEvPKT_NS_4cuda6detail10TensorInfoIS2_jEENS7_IljEEll.kd
    .uniform_work_group_size: 1
    .uses_dynamic_stack: false
    .vgpr_count:     37
    .vgpr_spill_count: 0
    .wavefront_size: 64
  - .agpr_count:     0
    .args:
      - .address_space:  global
        .offset:         0
        .size:           8
        .value_kind:     global_buffer
      - .offset:         8
        .size:           216
        .value_kind:     by_value
      - .offset:         224
        .size:           216
        .value_kind:     by_value
      - .offset:         440
        .size:           8
        .value_kind:     by_value
      - .offset:         448
        .size:           8
        .value_kind:     by_value
      - .offset:         456
        .size:           4
        .value_kind:     hidden_block_count_x
      - .offset:         460
        .size:           4
        .value_kind:     hidden_block_count_y
      - .offset:         464
        .size:           4
        .value_kind:     hidden_block_count_z
      - .offset:         468
        .size:           2
        .value_kind:     hidden_group_size_x
      - .offset:         470
        .size:           2
        .value_kind:     hidden_group_size_y
      - .offset:         472
        .size:           2
        .value_kind:     hidden_group_size_z
      - .offset:         474
        .size:           2
        .value_kind:     hidden_remainder_x
      - .offset:         476
        .size:           2
        .value_kind:     hidden_remainder_y
      - .offset:         478
        .size:           2
        .value_kind:     hidden_remainder_z
      - .offset:         496
        .size:           8
        .value_kind:     hidden_global_offset_x
      - .offset:         504
        .size:           8
        .value_kind:     hidden_global_offset_y
      - .offset:         512
        .size:           8
        .value_kind:     hidden_global_offset_z
      - .offset:         520
        .size:           2
        .value_kind:     hidden_grid_dims
      - .offset:         576
        .size:           4
        .value_kind:     hidden_dynamic_lds_size
    .group_segment_fixed_size: 2
    .kernarg_segment_align: 8
    .kernarg_segment_size: 712
    .language:       OpenCL C
    .language_version:
      - 2
      - 0
    .max_flat_workgroup_size: 1024
    .name:           _ZN2at6native12compute_modeIsLj128EEEvPKT_NS_4cuda6detail10TensorInfoIS2_jEENS7_IljEEll
    .private_segment_fixed_size: 0
    .sgpr_count:     26
    .sgpr_spill_count: 0
    .symbol:         _ZN2at6native12compute_modeIsLj128EEEvPKT_NS_4cuda6detail10TensorInfoIS2_jEENS7_IljEEll.kd
    .uniform_work_group_size: 1
    .uses_dynamic_stack: false
    .vgpr_count:     28
    .vgpr_spill_count: 0
    .wavefront_size: 64
  - .agpr_count:     0
    .args:
      - .address_space:  global
        .offset:         0
        .size:           8
        .value_kind:     global_buffer
      - .offset:         8
        .size:           216
        .value_kind:     by_value
      - .offset:         224
        .size:           216
        .value_kind:     by_value
      - .offset:         440
        .size:           8
        .value_kind:     by_value
      - .offset:         448
        .size:           8
        .value_kind:     by_value
      - .offset:         456
        .size:           4
        .value_kind:     hidden_block_count_x
      - .offset:         460
        .size:           4
        .value_kind:     hidden_block_count_y
      - .offset:         464
        .size:           4
        .value_kind:     hidden_block_count_z
      - .offset:         468
        .size:           2
        .value_kind:     hidden_group_size_x
      - .offset:         470
        .size:           2
        .value_kind:     hidden_group_size_y
      - .offset:         472
        .size:           2
        .value_kind:     hidden_group_size_z
      - .offset:         474
        .size:           2
        .value_kind:     hidden_remainder_x
      - .offset:         476
        .size:           2
        .value_kind:     hidden_remainder_y
      - .offset:         478
        .size:           2
        .value_kind:     hidden_remainder_z
      - .offset:         496
        .size:           8
        .value_kind:     hidden_global_offset_x
      - .offset:         504
        .size:           8
        .value_kind:     hidden_global_offset_y
      - .offset:         512
        .size:           8
        .value_kind:     hidden_global_offset_z
      - .offset:         520
        .size:           2
        .value_kind:     hidden_grid_dims
      - .offset:         576
        .size:           4
        .value_kind:     hidden_dynamic_lds_size
    .group_segment_fixed_size: 8
    .kernarg_segment_align: 8
    .kernarg_segment_size: 712
    .language:       OpenCL C
    .language_version:
      - 2
      - 0
    .max_flat_workgroup_size: 1024
    .name:           _ZN2at6native12compute_modeIdLj2048EEEvPKT_NS_4cuda6detail10TensorInfoIS2_jEENS7_IljEEll
    .private_segment_fixed_size: 0
    .sgpr_count:     28
    .sgpr_spill_count: 0
    .symbol:         _ZN2at6native12compute_modeIdLj2048EEEvPKT_NS_4cuda6detail10TensorInfoIS2_jEENS7_IljEEll.kd
    .uniform_work_group_size: 1
    .uses_dynamic_stack: false
    .vgpr_count:     28
    .vgpr_spill_count: 0
    .wavefront_size: 64
  - .agpr_count:     0
    .args:
      - .address_space:  global
        .offset:         0
        .size:           8
        .value_kind:     global_buffer
      - .offset:         8
        .size:           216
        .value_kind:     by_value
      - .offset:         224
        .size:           216
        .value_kind:     by_value
      - .offset:         440
        .size:           8
        .value_kind:     by_value
      - .offset:         448
        .size:           8
        .value_kind:     by_value
      - .offset:         456
        .size:           4
        .value_kind:     hidden_block_count_x
      - .offset:         460
        .size:           4
        .value_kind:     hidden_block_count_y
      - .offset:         464
        .size:           4
        .value_kind:     hidden_block_count_z
      - .offset:         468
        .size:           2
        .value_kind:     hidden_group_size_x
      - .offset:         470
        .size:           2
        .value_kind:     hidden_group_size_y
      - .offset:         472
        .size:           2
        .value_kind:     hidden_group_size_z
      - .offset:         474
        .size:           2
        .value_kind:     hidden_remainder_x
      - .offset:         476
        .size:           2
        .value_kind:     hidden_remainder_y
      - .offset:         478
        .size:           2
        .value_kind:     hidden_remainder_z
      - .offset:         496
        .size:           8
        .value_kind:     hidden_global_offset_x
      - .offset:         504
        .size:           8
        .value_kind:     hidden_global_offset_y
      - .offset:         512
        .size:           8
        .value_kind:     hidden_global_offset_z
      - .offset:         520
        .size:           2
        .value_kind:     hidden_grid_dims
      - .offset:         576
        .size:           4
        .value_kind:     hidden_dynamic_lds_size
    .group_segment_fixed_size: 8
    .kernarg_segment_align: 8
    .kernarg_segment_size: 712
    .language:       OpenCL C
    .language_version:
      - 2
      - 0
    .max_flat_workgroup_size: 1024
    .name:           _ZN2at6native12compute_modeIdLj1024EEEvPKT_NS_4cuda6detail10TensorInfoIS2_jEENS7_IljEEll
    .private_segment_fixed_size: 0
    .sgpr_count:     26
    .sgpr_spill_count: 0
    .symbol:         _ZN2at6native12compute_modeIdLj1024EEEvPKT_NS_4cuda6detail10TensorInfoIS2_jEENS7_IljEEll.kd
    .uniform_work_group_size: 1
    .uses_dynamic_stack: false
    .vgpr_count:     40
    .vgpr_spill_count: 0
    .wavefront_size: 64
  - .agpr_count:     0
    .args:
      - .address_space:  global
        .offset:         0
        .size:           8
        .value_kind:     global_buffer
      - .offset:         8
        .size:           216
        .value_kind:     by_value
      - .offset:         224
        .size:           216
        .value_kind:     by_value
      - .offset:         440
        .size:           8
        .value_kind:     by_value
      - .offset:         448
        .size:           8
        .value_kind:     by_value
      - .offset:         456
        .size:           4
        .value_kind:     hidden_block_count_x
      - .offset:         460
        .size:           4
        .value_kind:     hidden_block_count_y
      - .offset:         464
        .size:           4
        .value_kind:     hidden_block_count_z
      - .offset:         468
        .size:           2
        .value_kind:     hidden_group_size_x
      - .offset:         470
        .size:           2
        .value_kind:     hidden_group_size_y
      - .offset:         472
        .size:           2
        .value_kind:     hidden_group_size_z
      - .offset:         474
        .size:           2
        .value_kind:     hidden_remainder_x
      - .offset:         476
        .size:           2
        .value_kind:     hidden_remainder_y
      - .offset:         478
        .size:           2
        .value_kind:     hidden_remainder_z
      - .offset:         496
        .size:           8
        .value_kind:     hidden_global_offset_x
      - .offset:         504
        .size:           8
        .value_kind:     hidden_global_offset_y
      - .offset:         512
        .size:           8
        .value_kind:     hidden_global_offset_z
      - .offset:         520
        .size:           2
        .value_kind:     hidden_grid_dims
      - .offset:         576
        .size:           4
        .value_kind:     hidden_dynamic_lds_size
    .group_segment_fixed_size: 8
    .kernarg_segment_align: 8
    .kernarg_segment_size: 712
    .language:       OpenCL C
    .language_version:
      - 2
      - 0
    .max_flat_workgroup_size: 1024
    .name:           _ZN2at6native12compute_modeIdLj128EEEvPKT_NS_4cuda6detail10TensorInfoIS2_jEENS7_IljEEll
    .private_segment_fixed_size: 0
    .sgpr_count:     26
    .sgpr_spill_count: 0
    .symbol:         _ZN2at6native12compute_modeIdLj128EEEvPKT_NS_4cuda6detail10TensorInfoIS2_jEENS7_IljEEll.kd
    .uniform_work_group_size: 1
    .uses_dynamic_stack: false
    .vgpr_count:     31
    .vgpr_spill_count: 0
    .wavefront_size: 64
  - .agpr_count:     0
    .args:
      - .address_space:  global
        .offset:         0
        .size:           8
        .value_kind:     global_buffer
      - .offset:         8
        .size:           216
        .value_kind:     by_value
      - .offset:         224
        .size:           216
        .value_kind:     by_value
      - .offset:         440
        .size:           8
        .value_kind:     by_value
      - .offset:         448
        .size:           8
        .value_kind:     by_value
      - .offset:         456
        .size:           4
        .value_kind:     hidden_block_count_x
      - .offset:         460
        .size:           4
        .value_kind:     hidden_block_count_y
      - .offset:         464
        .size:           4
        .value_kind:     hidden_block_count_z
      - .offset:         468
        .size:           2
        .value_kind:     hidden_group_size_x
      - .offset:         470
        .size:           2
        .value_kind:     hidden_group_size_y
      - .offset:         472
        .size:           2
        .value_kind:     hidden_group_size_z
      - .offset:         474
        .size:           2
        .value_kind:     hidden_remainder_x
      - .offset:         476
        .size:           2
        .value_kind:     hidden_remainder_y
      - .offset:         478
        .size:           2
        .value_kind:     hidden_remainder_z
      - .offset:         496
        .size:           8
        .value_kind:     hidden_global_offset_x
      - .offset:         504
        .size:           8
        .value_kind:     hidden_global_offset_y
      - .offset:         512
        .size:           8
        .value_kind:     hidden_global_offset_z
      - .offset:         520
        .size:           2
        .value_kind:     hidden_grid_dims
      - .offset:         576
        .size:           4
        .value_kind:     hidden_dynamic_lds_size
    .group_segment_fixed_size: 4
    .kernarg_segment_align: 8
    .kernarg_segment_size: 712
    .language:       OpenCL C
    .language_version:
      - 2
      - 0
    .max_flat_workgroup_size: 1024
    .name:           _ZN2at6native12compute_modeIfLj2048EEEvPKT_NS_4cuda6detail10TensorInfoIS2_jEENS7_IljEEll
    .private_segment_fixed_size: 0
    .sgpr_count:     28
    .sgpr_spill_count: 0
    .symbol:         _ZN2at6native12compute_modeIfLj2048EEEvPKT_NS_4cuda6detail10TensorInfoIS2_jEENS7_IljEEll.kd
    .uniform_work_group_size: 1
    .uses_dynamic_stack: false
    .vgpr_count:     28
    .vgpr_spill_count: 0
    .wavefront_size: 64
  - .agpr_count:     0
    .args:
      - .address_space:  global
        .offset:         0
        .size:           8
        .value_kind:     global_buffer
      - .offset:         8
        .size:           216
        .value_kind:     by_value
      - .offset:         224
        .size:           216
        .value_kind:     by_value
      - .offset:         440
        .size:           8
        .value_kind:     by_value
      - .offset:         448
        .size:           8
        .value_kind:     by_value
      - .offset:         456
        .size:           4
        .value_kind:     hidden_block_count_x
      - .offset:         460
        .size:           4
        .value_kind:     hidden_block_count_y
      - .offset:         464
        .size:           4
        .value_kind:     hidden_block_count_z
      - .offset:         468
        .size:           2
        .value_kind:     hidden_group_size_x
      - .offset:         470
        .size:           2
        .value_kind:     hidden_group_size_y
      - .offset:         472
        .size:           2
        .value_kind:     hidden_group_size_z
      - .offset:         474
        .size:           2
        .value_kind:     hidden_remainder_x
      - .offset:         476
        .size:           2
        .value_kind:     hidden_remainder_y
      - .offset:         478
        .size:           2
        .value_kind:     hidden_remainder_z
      - .offset:         496
        .size:           8
        .value_kind:     hidden_global_offset_x
      - .offset:         504
        .size:           8
        .value_kind:     hidden_global_offset_y
      - .offset:         512
        .size:           8
        .value_kind:     hidden_global_offset_z
      - .offset:         520
        .size:           2
        .value_kind:     hidden_grid_dims
      - .offset:         576
        .size:           4
        .value_kind:     hidden_dynamic_lds_size
    .group_segment_fixed_size: 4
    .kernarg_segment_align: 8
    .kernarg_segment_size: 712
    .language:       OpenCL C
    .language_version:
      - 2
      - 0
    .max_flat_workgroup_size: 1024
    .name:           _ZN2at6native12compute_modeIfLj1024EEEvPKT_NS_4cuda6detail10TensorInfoIS2_jEENS7_IljEEll
    .private_segment_fixed_size: 0
    .sgpr_count:     26
    .sgpr_spill_count: 0
    .symbol:         _ZN2at6native12compute_modeIfLj1024EEEvPKT_NS_4cuda6detail10TensorInfoIS2_jEENS7_IljEEll.kd
    .uniform_work_group_size: 1
    .uses_dynamic_stack: false
    .vgpr_count:     37
    .vgpr_spill_count: 0
    .wavefront_size: 64
  - .agpr_count:     0
    .args:
      - .address_space:  global
        .offset:         0
        .size:           8
        .value_kind:     global_buffer
      - .offset:         8
        .size:           216
        .value_kind:     by_value
      - .offset:         224
        .size:           216
        .value_kind:     by_value
      - .offset:         440
        .size:           8
        .value_kind:     by_value
      - .offset:         448
        .size:           8
        .value_kind:     by_value
      - .offset:         456
        .size:           4
        .value_kind:     hidden_block_count_x
      - .offset:         460
        .size:           4
        .value_kind:     hidden_block_count_y
      - .offset:         464
        .size:           4
        .value_kind:     hidden_block_count_z
      - .offset:         468
        .size:           2
        .value_kind:     hidden_group_size_x
      - .offset:         470
        .size:           2
        .value_kind:     hidden_group_size_y
      - .offset:         472
        .size:           2
        .value_kind:     hidden_group_size_z
      - .offset:         474
        .size:           2
        .value_kind:     hidden_remainder_x
      - .offset:         476
        .size:           2
        .value_kind:     hidden_remainder_y
      - .offset:         478
        .size:           2
        .value_kind:     hidden_remainder_z
      - .offset:         496
        .size:           8
        .value_kind:     hidden_global_offset_x
      - .offset:         504
        .size:           8
        .value_kind:     hidden_global_offset_y
      - .offset:         512
        .size:           8
        .value_kind:     hidden_global_offset_z
      - .offset:         520
        .size:           2
        .value_kind:     hidden_grid_dims
      - .offset:         576
        .size:           4
        .value_kind:     hidden_dynamic_lds_size
    .group_segment_fixed_size: 4
    .kernarg_segment_align: 8
    .kernarg_segment_size: 712
    .language:       OpenCL C
    .language_version:
      - 2
      - 0
    .max_flat_workgroup_size: 1024
    .name:           _ZN2at6native12compute_modeIfLj128EEEvPKT_NS_4cuda6detail10TensorInfoIS2_jEENS7_IljEEll
    .private_segment_fixed_size: 0
    .sgpr_count:     26
    .sgpr_spill_count: 0
    .symbol:         _ZN2at6native12compute_modeIfLj128EEEvPKT_NS_4cuda6detail10TensorInfoIS2_jEENS7_IljEEll.kd
    .uniform_work_group_size: 1
    .uses_dynamic_stack: false
    .vgpr_count:     28
    .vgpr_spill_count: 0
    .wavefront_size: 64
  - .agpr_count:     0
    .args:
      - .address_space:  global
        .offset:         0
        .size:           8
        .value_kind:     global_buffer
      - .offset:         8
        .size:           216
        .value_kind:     by_value
      - .offset:         224
        .size:           216
        .value_kind:     by_value
      - .offset:         440
        .size:           8
        .value_kind:     by_value
      - .offset:         448
        .size:           8
        .value_kind:     by_value
      - .offset:         456
        .size:           4
        .value_kind:     hidden_block_count_x
      - .offset:         460
        .size:           4
        .value_kind:     hidden_block_count_y
      - .offset:         464
        .size:           4
        .value_kind:     hidden_block_count_z
      - .offset:         468
        .size:           2
        .value_kind:     hidden_group_size_x
      - .offset:         470
        .size:           2
        .value_kind:     hidden_group_size_y
      - .offset:         472
        .size:           2
        .value_kind:     hidden_group_size_z
      - .offset:         474
        .size:           2
        .value_kind:     hidden_remainder_x
      - .offset:         476
        .size:           2
        .value_kind:     hidden_remainder_y
      - .offset:         478
        .size:           2
        .value_kind:     hidden_remainder_z
      - .offset:         496
        .size:           8
        .value_kind:     hidden_global_offset_x
      - .offset:         504
        .size:           8
        .value_kind:     hidden_global_offset_y
      - .offset:         512
        .size:           8
        .value_kind:     hidden_global_offset_z
      - .offset:         520
        .size:           2
        .value_kind:     hidden_grid_dims
      - .offset:         576
        .size:           4
        .value_kind:     hidden_dynamic_lds_size
    .group_segment_fixed_size: 1
    .kernarg_segment_align: 8
    .kernarg_segment_size: 712
    .language:       OpenCL C
    .language_version:
      - 2
      - 0
    .max_flat_workgroup_size: 1024
    .name:           _ZN2at6native12compute_modeIbLj2048EEEvPKT_NS_4cuda6detail10TensorInfoIS2_jEENS7_IljEEll
    .private_segment_fixed_size: 0
    .sgpr_count:     28
    .sgpr_spill_count: 0
    .symbol:         _ZN2at6native12compute_modeIbLj2048EEEvPKT_NS_4cuda6detail10TensorInfoIS2_jEENS7_IljEEll.kd
    .uniform_work_group_size: 1
    .uses_dynamic_stack: false
    .vgpr_count:     28
    .vgpr_spill_count: 0
    .wavefront_size: 64
  - .agpr_count:     0
    .args:
      - .address_space:  global
        .offset:         0
        .size:           8
        .value_kind:     global_buffer
      - .offset:         8
        .size:           216
        .value_kind:     by_value
      - .offset:         224
        .size:           216
        .value_kind:     by_value
      - .offset:         440
        .size:           8
        .value_kind:     by_value
      - .offset:         448
        .size:           8
        .value_kind:     by_value
      - .offset:         456
        .size:           4
        .value_kind:     hidden_block_count_x
      - .offset:         460
        .size:           4
        .value_kind:     hidden_block_count_y
      - .offset:         464
        .size:           4
        .value_kind:     hidden_block_count_z
      - .offset:         468
        .size:           2
        .value_kind:     hidden_group_size_x
      - .offset:         470
        .size:           2
        .value_kind:     hidden_group_size_y
      - .offset:         472
        .size:           2
        .value_kind:     hidden_group_size_z
      - .offset:         474
        .size:           2
        .value_kind:     hidden_remainder_x
      - .offset:         476
        .size:           2
        .value_kind:     hidden_remainder_y
      - .offset:         478
        .size:           2
        .value_kind:     hidden_remainder_z
      - .offset:         496
        .size:           8
        .value_kind:     hidden_global_offset_x
      - .offset:         504
        .size:           8
        .value_kind:     hidden_global_offset_y
      - .offset:         512
        .size:           8
        .value_kind:     hidden_global_offset_z
      - .offset:         520
        .size:           2
        .value_kind:     hidden_grid_dims
      - .offset:         576
        .size:           4
        .value_kind:     hidden_dynamic_lds_size
    .group_segment_fixed_size: 1
    .kernarg_segment_align: 8
    .kernarg_segment_size: 712
    .language:       OpenCL C
    .language_version:
      - 2
      - 0
    .max_flat_workgroup_size: 1024
    .name:           _ZN2at6native12compute_modeIbLj1024EEEvPKT_NS_4cuda6detail10TensorInfoIS2_jEENS7_IljEEll
    .private_segment_fixed_size: 0
    .sgpr_count:     26
    .sgpr_spill_count: 0
    .symbol:         _ZN2at6native12compute_modeIbLj1024EEEvPKT_NS_4cuda6detail10TensorInfoIS2_jEENS7_IljEEll.kd
    .uniform_work_group_size: 1
    .uses_dynamic_stack: false
    .vgpr_count:     25
    .vgpr_spill_count: 0
    .wavefront_size: 64
  - .agpr_count:     0
    .args:
      - .address_space:  global
        .offset:         0
        .size:           8
        .value_kind:     global_buffer
      - .offset:         8
        .size:           216
        .value_kind:     by_value
      - .offset:         224
        .size:           216
        .value_kind:     by_value
      - .offset:         440
        .size:           8
        .value_kind:     by_value
      - .offset:         448
        .size:           8
        .value_kind:     by_value
      - .offset:         456
        .size:           4
        .value_kind:     hidden_block_count_x
      - .offset:         460
        .size:           4
        .value_kind:     hidden_block_count_y
      - .offset:         464
        .size:           4
        .value_kind:     hidden_block_count_z
      - .offset:         468
        .size:           2
        .value_kind:     hidden_group_size_x
      - .offset:         470
        .size:           2
        .value_kind:     hidden_group_size_y
      - .offset:         472
        .size:           2
        .value_kind:     hidden_group_size_z
      - .offset:         474
        .size:           2
        .value_kind:     hidden_remainder_x
      - .offset:         476
        .size:           2
        .value_kind:     hidden_remainder_y
      - .offset:         478
        .size:           2
        .value_kind:     hidden_remainder_z
      - .offset:         496
        .size:           8
        .value_kind:     hidden_global_offset_x
      - .offset:         504
        .size:           8
        .value_kind:     hidden_global_offset_y
      - .offset:         512
        .size:           8
        .value_kind:     hidden_global_offset_z
      - .offset:         520
        .size:           2
        .value_kind:     hidden_grid_dims
      - .offset:         576
        .size:           4
        .value_kind:     hidden_dynamic_lds_size
    .group_segment_fixed_size: 1
    .kernarg_segment_align: 8
    .kernarg_segment_size: 712
    .language:       OpenCL C
    .language_version:
      - 2
      - 0
    .max_flat_workgroup_size: 1024
    .name:           _ZN2at6native12compute_modeIbLj128EEEvPKT_NS_4cuda6detail10TensorInfoIS2_jEENS7_IljEEll
    .private_segment_fixed_size: 0
    .sgpr_count:     26
    .sgpr_spill_count: 0
    .symbol:         _ZN2at6native12compute_modeIbLj128EEEvPKT_NS_4cuda6detail10TensorInfoIS2_jEENS7_IljEEll.kd
    .uniform_work_group_size: 1
    .uses_dynamic_stack: false
    .vgpr_count:     19
    .vgpr_spill_count: 0
    .wavefront_size: 64
  - .agpr_count:     0
    .args:
      - .address_space:  global
        .offset:         0
        .size:           8
        .value_kind:     global_buffer
      - .offset:         8
        .size:           216
        .value_kind:     by_value
      - .offset:         224
        .size:           216
        .value_kind:     by_value
      - .offset:         440
        .size:           8
        .value_kind:     by_value
      - .offset:         448
        .size:           8
        .value_kind:     by_value
      - .offset:         456
        .size:           4
        .value_kind:     hidden_block_count_x
      - .offset:         460
        .size:           4
        .value_kind:     hidden_block_count_y
      - .offset:         464
        .size:           4
        .value_kind:     hidden_block_count_z
      - .offset:         468
        .size:           2
        .value_kind:     hidden_group_size_x
      - .offset:         470
        .size:           2
        .value_kind:     hidden_group_size_y
      - .offset:         472
        .size:           2
        .value_kind:     hidden_group_size_z
      - .offset:         474
        .size:           2
        .value_kind:     hidden_remainder_x
      - .offset:         476
        .size:           2
        .value_kind:     hidden_remainder_y
      - .offset:         478
        .size:           2
        .value_kind:     hidden_remainder_z
      - .offset:         496
        .size:           8
        .value_kind:     hidden_global_offset_x
      - .offset:         504
        .size:           8
        .value_kind:     hidden_global_offset_y
      - .offset:         512
        .size:           8
        .value_kind:     hidden_global_offset_z
      - .offset:         520
        .size:           2
        .value_kind:     hidden_grid_dims
      - .offset:         576
        .size:           4
        .value_kind:     hidden_dynamic_lds_size
    .group_segment_fixed_size: 2
    .kernarg_segment_align: 8
    .kernarg_segment_size: 712
    .language:       OpenCL C
    .language_version:
      - 2
      - 0
    .max_flat_workgroup_size: 1024
    .name:           _ZN2at6native12compute_modeIN3c108BFloat16ELj2048EEEvPKT_NS_4cuda6detail10TensorInfoIS4_jEENS9_IljEEll
    .private_segment_fixed_size: 0
    .sgpr_count:     28
    .sgpr_spill_count: 0
    .symbol:         _ZN2at6native12compute_modeIN3c108BFloat16ELj2048EEEvPKT_NS_4cuda6detail10TensorInfoIS4_jEENS9_IljEEll.kd
    .uniform_work_group_size: 1
    .uses_dynamic_stack: false
    .vgpr_count:     28
    .vgpr_spill_count: 0
    .wavefront_size: 64
  - .agpr_count:     0
    .args:
      - .address_space:  global
        .offset:         0
        .size:           8
        .value_kind:     global_buffer
      - .offset:         8
        .size:           216
        .value_kind:     by_value
      - .offset:         224
        .size:           216
        .value_kind:     by_value
      - .offset:         440
        .size:           8
        .value_kind:     by_value
      - .offset:         448
        .size:           8
        .value_kind:     by_value
      - .offset:         456
        .size:           4
        .value_kind:     hidden_block_count_x
      - .offset:         460
        .size:           4
        .value_kind:     hidden_block_count_y
      - .offset:         464
        .size:           4
        .value_kind:     hidden_block_count_z
      - .offset:         468
        .size:           2
        .value_kind:     hidden_group_size_x
      - .offset:         470
        .size:           2
        .value_kind:     hidden_group_size_y
      - .offset:         472
        .size:           2
        .value_kind:     hidden_group_size_z
      - .offset:         474
        .size:           2
        .value_kind:     hidden_remainder_x
      - .offset:         476
        .size:           2
        .value_kind:     hidden_remainder_y
      - .offset:         478
        .size:           2
        .value_kind:     hidden_remainder_z
      - .offset:         496
        .size:           8
        .value_kind:     hidden_global_offset_x
      - .offset:         504
        .size:           8
        .value_kind:     hidden_global_offset_y
      - .offset:         512
        .size:           8
        .value_kind:     hidden_global_offset_z
      - .offset:         520
        .size:           2
        .value_kind:     hidden_grid_dims
      - .offset:         576
        .size:           4
        .value_kind:     hidden_dynamic_lds_size
    .group_segment_fixed_size: 2
    .kernarg_segment_align: 8
    .kernarg_segment_size: 712
    .language:       OpenCL C
    .language_version:
      - 2
      - 0
    .max_flat_workgroup_size: 1024
    .name:           _ZN2at6native12compute_modeIN3c108BFloat16ELj1024EEEvPKT_NS_4cuda6detail10TensorInfoIS4_jEENS9_IljEEll
    .private_segment_fixed_size: 0
    .sgpr_count:     28
    .sgpr_spill_count: 0
    .symbol:         _ZN2at6native12compute_modeIN3c108BFloat16ELj1024EEEvPKT_NS_4cuda6detail10TensorInfoIS4_jEENS9_IljEEll.kd
    .uniform_work_group_size: 1
    .uses_dynamic_stack: false
    .vgpr_count:     24
    .vgpr_spill_count: 0
    .wavefront_size: 64
  - .agpr_count:     0
    .args:
      - .address_space:  global
        .offset:         0
        .size:           8
        .value_kind:     global_buffer
      - .offset:         8
        .size:           216
        .value_kind:     by_value
      - .offset:         224
        .size:           216
        .value_kind:     by_value
      - .offset:         440
        .size:           8
        .value_kind:     by_value
      - .offset:         448
        .size:           8
        .value_kind:     by_value
      - .offset:         456
        .size:           4
        .value_kind:     hidden_block_count_x
      - .offset:         460
        .size:           4
        .value_kind:     hidden_block_count_y
      - .offset:         464
        .size:           4
        .value_kind:     hidden_block_count_z
      - .offset:         468
        .size:           2
        .value_kind:     hidden_group_size_x
      - .offset:         470
        .size:           2
        .value_kind:     hidden_group_size_y
      - .offset:         472
        .size:           2
        .value_kind:     hidden_group_size_z
      - .offset:         474
        .size:           2
        .value_kind:     hidden_remainder_x
      - .offset:         476
        .size:           2
        .value_kind:     hidden_remainder_y
      - .offset:         478
        .size:           2
        .value_kind:     hidden_remainder_z
      - .offset:         496
        .size:           8
        .value_kind:     hidden_global_offset_x
      - .offset:         504
        .size:           8
        .value_kind:     hidden_global_offset_y
      - .offset:         512
        .size:           8
        .value_kind:     hidden_global_offset_z
      - .offset:         520
        .size:           2
        .value_kind:     hidden_grid_dims
      - .offset:         576
        .size:           4
        .value_kind:     hidden_dynamic_lds_size
    .group_segment_fixed_size: 2
    .kernarg_segment_align: 8
    .kernarg_segment_size: 712
    .language:       OpenCL C
    .language_version:
      - 2
      - 0
    .max_flat_workgroup_size: 1024
    .name:           _ZN2at6native12compute_modeIN3c108BFloat16ELj128EEEvPKT_NS_4cuda6detail10TensorInfoIS4_jEENS9_IljEEll
    .private_segment_fixed_size: 0
    .sgpr_count:     26
    .sgpr_spill_count: 0
    .symbol:         _ZN2at6native12compute_modeIN3c108BFloat16ELj128EEEvPKT_NS_4cuda6detail10TensorInfoIS4_jEENS9_IljEEll.kd
    .uniform_work_group_size: 1
    .uses_dynamic_stack: false
    .vgpr_count:     28
    .vgpr_spill_count: 0
    .wavefront_size: 64
  - .agpr_count:     0
    .args:
      - .address_space:  global
        .offset:         0
        .size:           8
        .value_kind:     global_buffer
      - .offset:         8
        .size:           216
        .value_kind:     by_value
      - .offset:         224
        .size:           216
        .value_kind:     by_value
      - .offset:         440
        .size:           8
        .value_kind:     by_value
      - .offset:         448
        .size:           8
        .value_kind:     by_value
      - .offset:         456
        .size:           4
        .value_kind:     hidden_block_count_x
      - .offset:         460
        .size:           4
        .value_kind:     hidden_block_count_y
      - .offset:         464
        .size:           4
        .value_kind:     hidden_block_count_z
      - .offset:         468
        .size:           2
        .value_kind:     hidden_group_size_x
      - .offset:         470
        .size:           2
        .value_kind:     hidden_group_size_y
      - .offset:         472
        .size:           2
        .value_kind:     hidden_group_size_z
      - .offset:         474
        .size:           2
        .value_kind:     hidden_remainder_x
      - .offset:         476
        .size:           2
        .value_kind:     hidden_remainder_y
      - .offset:         478
        .size:           2
        .value_kind:     hidden_remainder_z
      - .offset:         496
        .size:           8
        .value_kind:     hidden_global_offset_x
      - .offset:         504
        .size:           8
        .value_kind:     hidden_global_offset_y
      - .offset:         512
        .size:           8
        .value_kind:     hidden_global_offset_z
      - .offset:         520
        .size:           2
        .value_kind:     hidden_grid_dims
      - .offset:         576
        .size:           4
        .value_kind:     hidden_dynamic_lds_size
    .group_segment_fixed_size: 2
    .kernarg_segment_align: 8
    .kernarg_segment_size: 712
    .language:       OpenCL C
    .language_version:
      - 2
      - 0
    .max_flat_workgroup_size: 1024
    .name:           _ZN2at6native12compute_modeIN3c104HalfELj2048EEEvPKT_NS_4cuda6detail10TensorInfoIS4_jEENS9_IljEEll
    .private_segment_fixed_size: 0
    .sgpr_count:     28
    .sgpr_spill_count: 0
    .symbol:         _ZN2at6native12compute_modeIN3c104HalfELj2048EEEvPKT_NS_4cuda6detail10TensorInfoIS4_jEENS9_IljEEll.kd
    .uniform_work_group_size: 1
    .uses_dynamic_stack: false
    .vgpr_count:     28
    .vgpr_spill_count: 0
    .wavefront_size: 64
  - .agpr_count:     0
    .args:
      - .address_space:  global
        .offset:         0
        .size:           8
        .value_kind:     global_buffer
      - .offset:         8
        .size:           216
        .value_kind:     by_value
      - .offset:         224
        .size:           216
        .value_kind:     by_value
      - .offset:         440
        .size:           8
        .value_kind:     by_value
      - .offset:         448
        .size:           8
        .value_kind:     by_value
      - .offset:         456
        .size:           4
        .value_kind:     hidden_block_count_x
      - .offset:         460
        .size:           4
        .value_kind:     hidden_block_count_y
      - .offset:         464
        .size:           4
        .value_kind:     hidden_block_count_z
      - .offset:         468
        .size:           2
        .value_kind:     hidden_group_size_x
      - .offset:         470
        .size:           2
        .value_kind:     hidden_group_size_y
      - .offset:         472
        .size:           2
        .value_kind:     hidden_group_size_z
      - .offset:         474
        .size:           2
        .value_kind:     hidden_remainder_x
      - .offset:         476
        .size:           2
        .value_kind:     hidden_remainder_y
      - .offset:         478
        .size:           2
        .value_kind:     hidden_remainder_z
      - .offset:         496
        .size:           8
        .value_kind:     hidden_global_offset_x
      - .offset:         504
        .size:           8
        .value_kind:     hidden_global_offset_y
      - .offset:         512
        .size:           8
        .value_kind:     hidden_global_offset_z
      - .offset:         520
        .size:           2
        .value_kind:     hidden_grid_dims
      - .offset:         576
        .size:           4
        .value_kind:     hidden_dynamic_lds_size
    .group_segment_fixed_size: 2
    .kernarg_segment_align: 8
    .kernarg_segment_size: 712
    .language:       OpenCL C
    .language_version:
      - 2
      - 0
    .max_flat_workgroup_size: 1024
    .name:           _ZN2at6native12compute_modeIN3c104HalfELj1024EEEvPKT_NS_4cuda6detail10TensorInfoIS4_jEENS9_IljEEll
    .private_segment_fixed_size: 0
    .sgpr_count:     28
    .sgpr_spill_count: 0
    .symbol:         _ZN2at6native12compute_modeIN3c104HalfELj1024EEEvPKT_NS_4cuda6detail10TensorInfoIS4_jEENS9_IljEEll.kd
    .uniform_work_group_size: 1
    .uses_dynamic_stack: false
    .vgpr_count:     24
    .vgpr_spill_count: 0
    .wavefront_size: 64
  - .agpr_count:     0
    .args:
      - .address_space:  global
        .offset:         0
        .size:           8
        .value_kind:     global_buffer
      - .offset:         8
        .size:           216
        .value_kind:     by_value
      - .offset:         224
        .size:           216
        .value_kind:     by_value
      - .offset:         440
        .size:           8
        .value_kind:     by_value
      - .offset:         448
        .size:           8
        .value_kind:     by_value
      - .offset:         456
        .size:           4
        .value_kind:     hidden_block_count_x
      - .offset:         460
        .size:           4
        .value_kind:     hidden_block_count_y
      - .offset:         464
        .size:           4
        .value_kind:     hidden_block_count_z
      - .offset:         468
        .size:           2
        .value_kind:     hidden_group_size_x
      - .offset:         470
        .size:           2
        .value_kind:     hidden_group_size_y
      - .offset:         472
        .size:           2
        .value_kind:     hidden_group_size_z
      - .offset:         474
        .size:           2
        .value_kind:     hidden_remainder_x
      - .offset:         476
        .size:           2
        .value_kind:     hidden_remainder_y
      - .offset:         478
        .size:           2
        .value_kind:     hidden_remainder_z
      - .offset:         496
        .size:           8
        .value_kind:     hidden_global_offset_x
      - .offset:         504
        .size:           8
        .value_kind:     hidden_global_offset_y
      - .offset:         512
        .size:           8
        .value_kind:     hidden_global_offset_z
      - .offset:         520
        .size:           2
        .value_kind:     hidden_grid_dims
      - .offset:         576
        .size:           4
        .value_kind:     hidden_dynamic_lds_size
    .group_segment_fixed_size: 2
    .kernarg_segment_align: 8
    .kernarg_segment_size: 712
    .language:       OpenCL C
    .language_version:
      - 2
      - 0
    .max_flat_workgroup_size: 1024
    .name:           _ZN2at6native12compute_modeIN3c104HalfELj128EEEvPKT_NS_4cuda6detail10TensorInfoIS4_jEENS9_IljEEll
    .private_segment_fixed_size: 0
    .sgpr_count:     26
    .sgpr_spill_count: 0
    .symbol:         _ZN2at6native12compute_modeIN3c104HalfELj128EEEvPKT_NS_4cuda6detail10TensorInfoIS4_jEENS9_IljEEll.kd
    .uniform_work_group_size: 1
    .uses_dynamic_stack: false
    .vgpr_count:     28
    .vgpr_spill_count: 0
    .wavefront_size: 64
  - .agpr_count:     0
    .args:
      - .offset:         0
        .size:           24
        .value_kind:     by_value
      - .offset:         24
        .size:           8
        .value_kind:     by_value
      - .offset:         32
        .size:           8
        .value_kind:     by_value
    .group_segment_fixed_size: 0
    .kernarg_segment_align: 8
    .kernarg_segment_size: 40
    .language:       OpenCL C
    .language_version:
      - 2
      - 0
    .max_flat_workgroup_size: 256
    .name:           _ZN6thrust23THRUST_200600_302600_NS11hip_rocprim14__parallel_for6kernelILj256ENS1_11__transform17unary_transform_fINS0_17counting_iteratorIlNS0_11use_defaultES7_S7_EENS0_10device_ptrIlEENS4_14no_stencil_tagENS0_8identityIlEENS4_21always_true_predicateEEElLj1EEEvT0_T1_SH_
    .private_segment_fixed_size: 0
    .sgpr_count:     16
    .sgpr_spill_count: 0
    .symbol:         _ZN6thrust23THRUST_200600_302600_NS11hip_rocprim14__parallel_for6kernelILj256ENS1_11__transform17unary_transform_fINS0_17counting_iteratorIlNS0_11use_defaultES7_S7_EENS0_10device_ptrIlEENS4_14no_stencil_tagENS0_8identityIlEENS4_21always_true_predicateEEElLj1EEEvT0_T1_SH_.kd
    .uniform_work_group_size: 1
    .uses_dynamic_stack: false
    .vgpr_count:     6
    .vgpr_spill_count: 0
    .wavefront_size: 64
  - .agpr_count:     0
    .args:
      - .offset:         0
        .size:           48
        .value_kind:     by_value
    .group_segment_fixed_size: 0
    .kernarg_segment_align: 8
    .kernarg_segment_size: 48
    .language:       OpenCL C
    .language_version:
      - 2
      - 0
    .max_flat_workgroup_size: 256
    .name:           _ZN7rocprim17ROCPRIM_400000_NS6detail17trampoline_kernelINS0_13kernel_configILj256ELj4ELj4294967295EEENS1_37radix_sort_block_sort_config_selectorIhlEEZNS1_21radix_sort_block_sortIS4_Lb0EPhS8_N6thrust23THRUST_200600_302600_NS10device_ptrIlEESC_NS0_19identity_decomposerEEE10hipError_tT1_T2_T3_T4_jRjT5_jjP12ihipStream_tbEUlT_E_NS1_11comp_targetILNS1_3genE0ELNS1_11target_archE4294967295ELNS1_3gpuE0ELNS1_3repE0EEENS1_44radix_sort_block_sort_config_static_selectorELNS0_4arch9wavefront6targetE1EEEvSF_
    .private_segment_fixed_size: 0
    .sgpr_count:     4
    .sgpr_spill_count: 0
    .symbol:         _ZN7rocprim17ROCPRIM_400000_NS6detail17trampoline_kernelINS0_13kernel_configILj256ELj4ELj4294967295EEENS1_37radix_sort_block_sort_config_selectorIhlEEZNS1_21radix_sort_block_sortIS4_Lb0EPhS8_N6thrust23THRUST_200600_302600_NS10device_ptrIlEESC_NS0_19identity_decomposerEEE10hipError_tT1_T2_T3_T4_jRjT5_jjP12ihipStream_tbEUlT_E_NS1_11comp_targetILNS1_3genE0ELNS1_11target_archE4294967295ELNS1_3gpuE0ELNS1_3repE0EEENS1_44radix_sort_block_sort_config_static_selectorELNS0_4arch9wavefront6targetE1EEEvSF_.kd
    .uniform_work_group_size: 1
    .uses_dynamic_stack: false
    .vgpr_count:     0
    .vgpr_spill_count: 0
    .wavefront_size: 64
  - .agpr_count:     0
    .args:
      - .offset:         0
        .size:           48
        .value_kind:     by_value
    .group_segment_fixed_size: 0
    .kernarg_segment_align: 8
    .kernarg_segment_size: 48
    .language:       OpenCL C
    .language_version:
      - 2
      - 0
    .max_flat_workgroup_size: 256
    .name:           _ZN7rocprim17ROCPRIM_400000_NS6detail17trampoline_kernelINS0_13kernel_configILj256ELj4ELj4294967295EEENS1_37radix_sort_block_sort_config_selectorIhlEEZNS1_21radix_sort_block_sortIS4_Lb0EPhS8_N6thrust23THRUST_200600_302600_NS10device_ptrIlEESC_NS0_19identity_decomposerEEE10hipError_tT1_T2_T3_T4_jRjT5_jjP12ihipStream_tbEUlT_E_NS1_11comp_targetILNS1_3genE5ELNS1_11target_archE942ELNS1_3gpuE9ELNS1_3repE0EEENS1_44radix_sort_block_sort_config_static_selectorELNS0_4arch9wavefront6targetE1EEEvSF_
    .private_segment_fixed_size: 0
    .sgpr_count:     4
    .sgpr_spill_count: 0
    .symbol:         _ZN7rocprim17ROCPRIM_400000_NS6detail17trampoline_kernelINS0_13kernel_configILj256ELj4ELj4294967295EEENS1_37radix_sort_block_sort_config_selectorIhlEEZNS1_21radix_sort_block_sortIS4_Lb0EPhS8_N6thrust23THRUST_200600_302600_NS10device_ptrIlEESC_NS0_19identity_decomposerEEE10hipError_tT1_T2_T3_T4_jRjT5_jjP12ihipStream_tbEUlT_E_NS1_11comp_targetILNS1_3genE5ELNS1_11target_archE942ELNS1_3gpuE9ELNS1_3repE0EEENS1_44radix_sort_block_sort_config_static_selectorELNS0_4arch9wavefront6targetE1EEEvSF_.kd
    .uniform_work_group_size: 1
    .uses_dynamic_stack: false
    .vgpr_count:     0
    .vgpr_spill_count: 0
    .wavefront_size: 64
  - .agpr_count:     0
    .args:
      - .offset:         0
        .size:           48
        .value_kind:     by_value
      - .offset:         48
        .size:           4
        .value_kind:     hidden_block_count_x
      - .offset:         52
        .size:           4
        .value_kind:     hidden_block_count_y
      - .offset:         56
        .size:           4
        .value_kind:     hidden_block_count_z
      - .offset:         60
        .size:           2
        .value_kind:     hidden_group_size_x
      - .offset:         62
        .size:           2
        .value_kind:     hidden_group_size_y
      - .offset:         64
        .size:           2
        .value_kind:     hidden_group_size_z
      - .offset:         66
        .size:           2
        .value_kind:     hidden_remainder_x
      - .offset:         68
        .size:           2
        .value_kind:     hidden_remainder_y
      - .offset:         70
        .size:           2
        .value_kind:     hidden_remainder_z
      - .offset:         88
        .size:           8
        .value_kind:     hidden_global_offset_x
      - .offset:         96
        .size:           8
        .value_kind:     hidden_global_offset_y
      - .offset:         104
        .size:           8
        .value_kind:     hidden_global_offset_z
      - .offset:         112
        .size:           2
        .value_kind:     hidden_grid_dims
    .group_segment_fixed_size: 8192
    .kernarg_segment_align: 8
    .kernarg_segment_size: 304
    .language:       OpenCL C
    .language_version:
      - 2
      - 0
    .max_flat_workgroup_size: 256
    .name:           _ZN7rocprim17ROCPRIM_400000_NS6detail17trampoline_kernelINS0_13kernel_configILj256ELj4ELj4294967295EEENS1_37radix_sort_block_sort_config_selectorIhlEEZNS1_21radix_sort_block_sortIS4_Lb0EPhS8_N6thrust23THRUST_200600_302600_NS10device_ptrIlEESC_NS0_19identity_decomposerEEE10hipError_tT1_T2_T3_T4_jRjT5_jjP12ihipStream_tbEUlT_E_NS1_11comp_targetILNS1_3genE4ELNS1_11target_archE910ELNS1_3gpuE8ELNS1_3repE0EEENS1_44radix_sort_block_sort_config_static_selectorELNS0_4arch9wavefront6targetE1EEEvSF_
    .private_segment_fixed_size: 0
    .sgpr_count:     50
    .sgpr_spill_count: 0
    .symbol:         _ZN7rocprim17ROCPRIM_400000_NS6detail17trampoline_kernelINS0_13kernel_configILj256ELj4ELj4294967295EEENS1_37radix_sort_block_sort_config_selectorIhlEEZNS1_21radix_sort_block_sortIS4_Lb0EPhS8_N6thrust23THRUST_200600_302600_NS10device_ptrIlEESC_NS0_19identity_decomposerEEE10hipError_tT1_T2_T3_T4_jRjT5_jjP12ihipStream_tbEUlT_E_NS1_11comp_targetILNS1_3genE4ELNS1_11target_archE910ELNS1_3gpuE8ELNS1_3repE0EEENS1_44radix_sort_block_sort_config_static_selectorELNS0_4arch9wavefront6targetE1EEEvSF_.kd
    .uniform_work_group_size: 1
    .uses_dynamic_stack: false
    .vgpr_count:     54
    .vgpr_spill_count: 0
    .wavefront_size: 64
  - .agpr_count:     0
    .args:
      - .offset:         0
        .size:           48
        .value_kind:     by_value
    .group_segment_fixed_size: 0
    .kernarg_segment_align: 8
    .kernarg_segment_size: 48
    .language:       OpenCL C
    .language_version:
      - 2
      - 0
    .max_flat_workgroup_size: 256
    .name:           _ZN7rocprim17ROCPRIM_400000_NS6detail17trampoline_kernelINS0_13kernel_configILj256ELj4ELj4294967295EEENS1_37radix_sort_block_sort_config_selectorIhlEEZNS1_21radix_sort_block_sortIS4_Lb0EPhS8_N6thrust23THRUST_200600_302600_NS10device_ptrIlEESC_NS0_19identity_decomposerEEE10hipError_tT1_T2_T3_T4_jRjT5_jjP12ihipStream_tbEUlT_E_NS1_11comp_targetILNS1_3genE3ELNS1_11target_archE908ELNS1_3gpuE7ELNS1_3repE0EEENS1_44radix_sort_block_sort_config_static_selectorELNS0_4arch9wavefront6targetE1EEEvSF_
    .private_segment_fixed_size: 0
    .sgpr_count:     4
    .sgpr_spill_count: 0
    .symbol:         _ZN7rocprim17ROCPRIM_400000_NS6detail17trampoline_kernelINS0_13kernel_configILj256ELj4ELj4294967295EEENS1_37radix_sort_block_sort_config_selectorIhlEEZNS1_21radix_sort_block_sortIS4_Lb0EPhS8_N6thrust23THRUST_200600_302600_NS10device_ptrIlEESC_NS0_19identity_decomposerEEE10hipError_tT1_T2_T3_T4_jRjT5_jjP12ihipStream_tbEUlT_E_NS1_11comp_targetILNS1_3genE3ELNS1_11target_archE908ELNS1_3gpuE7ELNS1_3repE0EEENS1_44radix_sort_block_sort_config_static_selectorELNS0_4arch9wavefront6targetE1EEEvSF_.kd
    .uniform_work_group_size: 1
    .uses_dynamic_stack: false
    .vgpr_count:     0
    .vgpr_spill_count: 0
    .wavefront_size: 64
  - .agpr_count:     0
    .args:
      - .offset:         0
        .size:           48
        .value_kind:     by_value
    .group_segment_fixed_size: 0
    .kernarg_segment_align: 8
    .kernarg_segment_size: 48
    .language:       OpenCL C
    .language_version:
      - 2
      - 0
    .max_flat_workgroup_size: 256
    .name:           _ZN7rocprim17ROCPRIM_400000_NS6detail17trampoline_kernelINS0_13kernel_configILj256ELj4ELj4294967295EEENS1_37radix_sort_block_sort_config_selectorIhlEEZNS1_21radix_sort_block_sortIS4_Lb0EPhS8_N6thrust23THRUST_200600_302600_NS10device_ptrIlEESC_NS0_19identity_decomposerEEE10hipError_tT1_T2_T3_T4_jRjT5_jjP12ihipStream_tbEUlT_E_NS1_11comp_targetILNS1_3genE2ELNS1_11target_archE906ELNS1_3gpuE6ELNS1_3repE0EEENS1_44radix_sort_block_sort_config_static_selectorELNS0_4arch9wavefront6targetE1EEEvSF_
    .private_segment_fixed_size: 0
    .sgpr_count:     4
    .sgpr_spill_count: 0
    .symbol:         _ZN7rocprim17ROCPRIM_400000_NS6detail17trampoline_kernelINS0_13kernel_configILj256ELj4ELj4294967295EEENS1_37radix_sort_block_sort_config_selectorIhlEEZNS1_21radix_sort_block_sortIS4_Lb0EPhS8_N6thrust23THRUST_200600_302600_NS10device_ptrIlEESC_NS0_19identity_decomposerEEE10hipError_tT1_T2_T3_T4_jRjT5_jjP12ihipStream_tbEUlT_E_NS1_11comp_targetILNS1_3genE2ELNS1_11target_archE906ELNS1_3gpuE6ELNS1_3repE0EEENS1_44radix_sort_block_sort_config_static_selectorELNS0_4arch9wavefront6targetE1EEEvSF_.kd
    .uniform_work_group_size: 1
    .uses_dynamic_stack: false
    .vgpr_count:     0
    .vgpr_spill_count: 0
    .wavefront_size: 64
  - .agpr_count:     0
    .args:
      - .offset:         0
        .size:           48
        .value_kind:     by_value
    .group_segment_fixed_size: 0
    .kernarg_segment_align: 8
    .kernarg_segment_size: 48
    .language:       OpenCL C
    .language_version:
      - 2
      - 0
    .max_flat_workgroup_size: 256
    .name:           _ZN7rocprim17ROCPRIM_400000_NS6detail17trampoline_kernelINS0_13kernel_configILj256ELj4ELj4294967295EEENS1_37radix_sort_block_sort_config_selectorIhlEEZNS1_21radix_sort_block_sortIS4_Lb0EPhS8_N6thrust23THRUST_200600_302600_NS10device_ptrIlEESC_NS0_19identity_decomposerEEE10hipError_tT1_T2_T3_T4_jRjT5_jjP12ihipStream_tbEUlT_E_NS1_11comp_targetILNS1_3genE10ELNS1_11target_archE1201ELNS1_3gpuE5ELNS1_3repE0EEENS1_44radix_sort_block_sort_config_static_selectorELNS0_4arch9wavefront6targetE1EEEvSF_
    .private_segment_fixed_size: 0
    .sgpr_count:     4
    .sgpr_spill_count: 0
    .symbol:         _ZN7rocprim17ROCPRIM_400000_NS6detail17trampoline_kernelINS0_13kernel_configILj256ELj4ELj4294967295EEENS1_37radix_sort_block_sort_config_selectorIhlEEZNS1_21radix_sort_block_sortIS4_Lb0EPhS8_N6thrust23THRUST_200600_302600_NS10device_ptrIlEESC_NS0_19identity_decomposerEEE10hipError_tT1_T2_T3_T4_jRjT5_jjP12ihipStream_tbEUlT_E_NS1_11comp_targetILNS1_3genE10ELNS1_11target_archE1201ELNS1_3gpuE5ELNS1_3repE0EEENS1_44radix_sort_block_sort_config_static_selectorELNS0_4arch9wavefront6targetE1EEEvSF_.kd
    .uniform_work_group_size: 1
    .uses_dynamic_stack: false
    .vgpr_count:     0
    .vgpr_spill_count: 0
    .wavefront_size: 64
  - .agpr_count:     0
    .args:
      - .offset:         0
        .size:           48
        .value_kind:     by_value
    .group_segment_fixed_size: 0
    .kernarg_segment_align: 8
    .kernarg_segment_size: 48
    .language:       OpenCL C
    .language_version:
      - 2
      - 0
    .max_flat_workgroup_size: 256
    .name:           _ZN7rocprim17ROCPRIM_400000_NS6detail17trampoline_kernelINS0_13kernel_configILj256ELj4ELj4294967295EEENS1_37radix_sort_block_sort_config_selectorIhlEEZNS1_21radix_sort_block_sortIS4_Lb0EPhS8_N6thrust23THRUST_200600_302600_NS10device_ptrIlEESC_NS0_19identity_decomposerEEE10hipError_tT1_T2_T3_T4_jRjT5_jjP12ihipStream_tbEUlT_E_NS1_11comp_targetILNS1_3genE10ELNS1_11target_archE1200ELNS1_3gpuE4ELNS1_3repE0EEENS1_44radix_sort_block_sort_config_static_selectorELNS0_4arch9wavefront6targetE1EEEvSF_
    .private_segment_fixed_size: 0
    .sgpr_count:     4
    .sgpr_spill_count: 0
    .symbol:         _ZN7rocprim17ROCPRIM_400000_NS6detail17trampoline_kernelINS0_13kernel_configILj256ELj4ELj4294967295EEENS1_37radix_sort_block_sort_config_selectorIhlEEZNS1_21radix_sort_block_sortIS4_Lb0EPhS8_N6thrust23THRUST_200600_302600_NS10device_ptrIlEESC_NS0_19identity_decomposerEEE10hipError_tT1_T2_T3_T4_jRjT5_jjP12ihipStream_tbEUlT_E_NS1_11comp_targetILNS1_3genE10ELNS1_11target_archE1200ELNS1_3gpuE4ELNS1_3repE0EEENS1_44radix_sort_block_sort_config_static_selectorELNS0_4arch9wavefront6targetE1EEEvSF_.kd
    .uniform_work_group_size: 1
    .uses_dynamic_stack: false
    .vgpr_count:     0
    .vgpr_spill_count: 0
    .wavefront_size: 64
  - .agpr_count:     0
    .args:
      - .offset:         0
        .size:           48
        .value_kind:     by_value
    .group_segment_fixed_size: 0
    .kernarg_segment_align: 8
    .kernarg_segment_size: 48
    .language:       OpenCL C
    .language_version:
      - 2
      - 0
    .max_flat_workgroup_size: 256
    .name:           _ZN7rocprim17ROCPRIM_400000_NS6detail17trampoline_kernelINS0_13kernel_configILj256ELj4ELj4294967295EEENS1_37radix_sort_block_sort_config_selectorIhlEEZNS1_21radix_sort_block_sortIS4_Lb0EPhS8_N6thrust23THRUST_200600_302600_NS10device_ptrIlEESC_NS0_19identity_decomposerEEE10hipError_tT1_T2_T3_T4_jRjT5_jjP12ihipStream_tbEUlT_E_NS1_11comp_targetILNS1_3genE9ELNS1_11target_archE1100ELNS1_3gpuE3ELNS1_3repE0EEENS1_44radix_sort_block_sort_config_static_selectorELNS0_4arch9wavefront6targetE1EEEvSF_
    .private_segment_fixed_size: 0
    .sgpr_count:     4
    .sgpr_spill_count: 0
    .symbol:         _ZN7rocprim17ROCPRIM_400000_NS6detail17trampoline_kernelINS0_13kernel_configILj256ELj4ELj4294967295EEENS1_37radix_sort_block_sort_config_selectorIhlEEZNS1_21radix_sort_block_sortIS4_Lb0EPhS8_N6thrust23THRUST_200600_302600_NS10device_ptrIlEESC_NS0_19identity_decomposerEEE10hipError_tT1_T2_T3_T4_jRjT5_jjP12ihipStream_tbEUlT_E_NS1_11comp_targetILNS1_3genE9ELNS1_11target_archE1100ELNS1_3gpuE3ELNS1_3repE0EEENS1_44radix_sort_block_sort_config_static_selectorELNS0_4arch9wavefront6targetE1EEEvSF_.kd
    .uniform_work_group_size: 1
    .uses_dynamic_stack: false
    .vgpr_count:     0
    .vgpr_spill_count: 0
    .wavefront_size: 64
  - .agpr_count:     0
    .args:
      - .offset:         0
        .size:           48
        .value_kind:     by_value
    .group_segment_fixed_size: 0
    .kernarg_segment_align: 8
    .kernarg_segment_size: 48
    .language:       OpenCL C
    .language_version:
      - 2
      - 0
    .max_flat_workgroup_size: 256
    .name:           _ZN7rocprim17ROCPRIM_400000_NS6detail17trampoline_kernelINS0_13kernel_configILj256ELj4ELj4294967295EEENS1_37radix_sort_block_sort_config_selectorIhlEEZNS1_21radix_sort_block_sortIS4_Lb0EPhS8_N6thrust23THRUST_200600_302600_NS10device_ptrIlEESC_NS0_19identity_decomposerEEE10hipError_tT1_T2_T3_T4_jRjT5_jjP12ihipStream_tbEUlT_E_NS1_11comp_targetILNS1_3genE8ELNS1_11target_archE1030ELNS1_3gpuE2ELNS1_3repE0EEENS1_44radix_sort_block_sort_config_static_selectorELNS0_4arch9wavefront6targetE1EEEvSF_
    .private_segment_fixed_size: 0
    .sgpr_count:     4
    .sgpr_spill_count: 0
    .symbol:         _ZN7rocprim17ROCPRIM_400000_NS6detail17trampoline_kernelINS0_13kernel_configILj256ELj4ELj4294967295EEENS1_37radix_sort_block_sort_config_selectorIhlEEZNS1_21radix_sort_block_sortIS4_Lb0EPhS8_N6thrust23THRUST_200600_302600_NS10device_ptrIlEESC_NS0_19identity_decomposerEEE10hipError_tT1_T2_T3_T4_jRjT5_jjP12ihipStream_tbEUlT_E_NS1_11comp_targetILNS1_3genE8ELNS1_11target_archE1030ELNS1_3gpuE2ELNS1_3repE0EEENS1_44radix_sort_block_sort_config_static_selectorELNS0_4arch9wavefront6targetE1EEEvSF_.kd
    .uniform_work_group_size: 1
    .uses_dynamic_stack: false
    .vgpr_count:     0
    .vgpr_spill_count: 0
    .wavefront_size: 64
  - .agpr_count:     0
    .args:           []
    .group_segment_fixed_size: 0
    .kernarg_segment_align: 4
    .kernarg_segment_size: 0
    .language:       OpenCL C
    .language_version:
      - 2
      - 0
    .max_flat_workgroup_size: 1024
    .name:           _ZN7rocprim17ROCPRIM_400000_NS6detail44device_merge_sort_compile_time_verifier_archINS1_11comp_targetILNS1_3genE0ELNS1_11target_archE4294967295ELNS1_3gpuE0ELNS1_3repE0EEES8_NS1_28merge_sort_block_sort_configILj256ELj4ELNS0_20block_sort_algorithmE0EEENS0_14default_configENS1_37merge_sort_block_sort_config_selectorIhlEENS1_38merge_sort_block_merge_config_selectorIhlEEEEvv
    .private_segment_fixed_size: 0
    .sgpr_count:     4
    .sgpr_spill_count: 0
    .symbol:         _ZN7rocprim17ROCPRIM_400000_NS6detail44device_merge_sort_compile_time_verifier_archINS1_11comp_targetILNS1_3genE0ELNS1_11target_archE4294967295ELNS1_3gpuE0ELNS1_3repE0EEES8_NS1_28merge_sort_block_sort_configILj256ELj4ELNS0_20block_sort_algorithmE0EEENS0_14default_configENS1_37merge_sort_block_sort_config_selectorIhlEENS1_38merge_sort_block_merge_config_selectorIhlEEEEvv.kd
    .uniform_work_group_size: 1
    .uses_dynamic_stack: false
    .vgpr_count:     0
    .vgpr_spill_count: 0
    .wavefront_size: 64
  - .agpr_count:     0
    .args:           []
    .group_segment_fixed_size: 0
    .kernarg_segment_align: 4
    .kernarg_segment_size: 0
    .language:       OpenCL C
    .language_version:
      - 2
      - 0
    .max_flat_workgroup_size: 1024
    .name:           _ZN7rocprim17ROCPRIM_400000_NS6detail44device_merge_sort_compile_time_verifier_archINS1_11comp_targetILNS1_3genE5ELNS1_11target_archE942ELNS1_3gpuE9ELNS1_3repE0EEES8_NS1_28merge_sort_block_sort_configILj256ELj4ELNS0_20block_sort_algorithmE0EEENS0_14default_configENS1_37merge_sort_block_sort_config_selectorIhlEENS1_38merge_sort_block_merge_config_selectorIhlEEEEvv
    .private_segment_fixed_size: 0
    .sgpr_count:     4
    .sgpr_spill_count: 0
    .symbol:         _ZN7rocprim17ROCPRIM_400000_NS6detail44device_merge_sort_compile_time_verifier_archINS1_11comp_targetILNS1_3genE5ELNS1_11target_archE942ELNS1_3gpuE9ELNS1_3repE0EEES8_NS1_28merge_sort_block_sort_configILj256ELj4ELNS0_20block_sort_algorithmE0EEENS0_14default_configENS1_37merge_sort_block_sort_config_selectorIhlEENS1_38merge_sort_block_merge_config_selectorIhlEEEEvv.kd
    .uniform_work_group_size: 1
    .uses_dynamic_stack: false
    .vgpr_count:     0
    .vgpr_spill_count: 0
    .wavefront_size: 64
  - .agpr_count:     0
    .args:           []
    .group_segment_fixed_size: 0
    .kernarg_segment_align: 4
    .kernarg_segment_size: 0
    .language:       OpenCL C
    .language_version:
      - 2
      - 0
    .max_flat_workgroup_size: 1024
    .name:           _ZN7rocprim17ROCPRIM_400000_NS6detail44device_merge_sort_compile_time_verifier_archINS1_11comp_targetILNS1_3genE4ELNS1_11target_archE910ELNS1_3gpuE8ELNS1_3repE0EEES8_NS1_28merge_sort_block_sort_configILj256ELj4ELNS0_20block_sort_algorithmE0EEENS0_14default_configENS1_37merge_sort_block_sort_config_selectorIhlEENS1_38merge_sort_block_merge_config_selectorIhlEEEEvv
    .private_segment_fixed_size: 0
    .sgpr_count:     4
    .sgpr_spill_count: 0
    .symbol:         _ZN7rocprim17ROCPRIM_400000_NS6detail44device_merge_sort_compile_time_verifier_archINS1_11comp_targetILNS1_3genE4ELNS1_11target_archE910ELNS1_3gpuE8ELNS1_3repE0EEES8_NS1_28merge_sort_block_sort_configILj256ELj4ELNS0_20block_sort_algorithmE0EEENS0_14default_configENS1_37merge_sort_block_sort_config_selectorIhlEENS1_38merge_sort_block_merge_config_selectorIhlEEEEvv.kd
    .uniform_work_group_size: 1
    .uses_dynamic_stack: false
    .vgpr_count:     0
    .vgpr_spill_count: 0
    .wavefront_size: 64
  - .agpr_count:     0
    .args:           []
    .group_segment_fixed_size: 0
    .kernarg_segment_align: 4
    .kernarg_segment_size: 0
    .language:       OpenCL C
    .language_version:
      - 2
      - 0
    .max_flat_workgroup_size: 1024
    .name:           _ZN7rocprim17ROCPRIM_400000_NS6detail44device_merge_sort_compile_time_verifier_archINS1_11comp_targetILNS1_3genE3ELNS1_11target_archE908ELNS1_3gpuE7ELNS1_3repE0EEES8_NS1_28merge_sort_block_sort_configILj256ELj4ELNS0_20block_sort_algorithmE0EEENS0_14default_configENS1_37merge_sort_block_sort_config_selectorIhlEENS1_38merge_sort_block_merge_config_selectorIhlEEEEvv
    .private_segment_fixed_size: 0
    .sgpr_count:     4
    .sgpr_spill_count: 0
    .symbol:         _ZN7rocprim17ROCPRIM_400000_NS6detail44device_merge_sort_compile_time_verifier_archINS1_11comp_targetILNS1_3genE3ELNS1_11target_archE908ELNS1_3gpuE7ELNS1_3repE0EEES8_NS1_28merge_sort_block_sort_configILj256ELj4ELNS0_20block_sort_algorithmE0EEENS0_14default_configENS1_37merge_sort_block_sort_config_selectorIhlEENS1_38merge_sort_block_merge_config_selectorIhlEEEEvv.kd
    .uniform_work_group_size: 1
    .uses_dynamic_stack: false
    .vgpr_count:     0
    .vgpr_spill_count: 0
    .wavefront_size: 64
  - .agpr_count:     0
    .args:           []
    .group_segment_fixed_size: 0
    .kernarg_segment_align: 4
    .kernarg_segment_size: 0
    .language:       OpenCL C
    .language_version:
      - 2
      - 0
    .max_flat_workgroup_size: 1024
    .name:           _ZN7rocprim17ROCPRIM_400000_NS6detail44device_merge_sort_compile_time_verifier_archINS1_11comp_targetILNS1_3genE2ELNS1_11target_archE906ELNS1_3gpuE6ELNS1_3repE0EEES8_NS1_28merge_sort_block_sort_configILj256ELj4ELNS0_20block_sort_algorithmE0EEENS0_14default_configENS1_37merge_sort_block_sort_config_selectorIhlEENS1_38merge_sort_block_merge_config_selectorIhlEEEEvv
    .private_segment_fixed_size: 0
    .sgpr_count:     4
    .sgpr_spill_count: 0
    .symbol:         _ZN7rocprim17ROCPRIM_400000_NS6detail44device_merge_sort_compile_time_verifier_archINS1_11comp_targetILNS1_3genE2ELNS1_11target_archE906ELNS1_3gpuE6ELNS1_3repE0EEES8_NS1_28merge_sort_block_sort_configILj256ELj4ELNS0_20block_sort_algorithmE0EEENS0_14default_configENS1_37merge_sort_block_sort_config_selectorIhlEENS1_38merge_sort_block_merge_config_selectorIhlEEEEvv.kd
    .uniform_work_group_size: 1
    .uses_dynamic_stack: false
    .vgpr_count:     0
    .vgpr_spill_count: 0
    .wavefront_size: 64
  - .agpr_count:     0
    .args:           []
    .group_segment_fixed_size: 0
    .kernarg_segment_align: 4
    .kernarg_segment_size: 0
    .language:       OpenCL C
    .language_version:
      - 2
      - 0
    .max_flat_workgroup_size: 1024
    .name:           _ZN7rocprim17ROCPRIM_400000_NS6detail44device_merge_sort_compile_time_verifier_archINS1_11comp_targetILNS1_3genE10ELNS1_11target_archE1201ELNS1_3gpuE5ELNS1_3repE0EEES8_NS1_28merge_sort_block_sort_configILj256ELj4ELNS0_20block_sort_algorithmE0EEENS0_14default_configENS1_37merge_sort_block_sort_config_selectorIhlEENS1_38merge_sort_block_merge_config_selectorIhlEEEEvv
    .private_segment_fixed_size: 0
    .sgpr_count:     4
    .sgpr_spill_count: 0
    .symbol:         _ZN7rocprim17ROCPRIM_400000_NS6detail44device_merge_sort_compile_time_verifier_archINS1_11comp_targetILNS1_3genE10ELNS1_11target_archE1201ELNS1_3gpuE5ELNS1_3repE0EEES8_NS1_28merge_sort_block_sort_configILj256ELj4ELNS0_20block_sort_algorithmE0EEENS0_14default_configENS1_37merge_sort_block_sort_config_selectorIhlEENS1_38merge_sort_block_merge_config_selectorIhlEEEEvv.kd
    .uniform_work_group_size: 1
    .uses_dynamic_stack: false
    .vgpr_count:     0
    .vgpr_spill_count: 0
    .wavefront_size: 64
  - .agpr_count:     0
    .args:           []
    .group_segment_fixed_size: 0
    .kernarg_segment_align: 4
    .kernarg_segment_size: 0
    .language:       OpenCL C
    .language_version:
      - 2
      - 0
    .max_flat_workgroup_size: 1024
    .name:           _ZN7rocprim17ROCPRIM_400000_NS6detail44device_merge_sort_compile_time_verifier_archINS1_11comp_targetILNS1_3genE10ELNS1_11target_archE1200ELNS1_3gpuE4ELNS1_3repE0EEENS3_ILS4_10ELS5_1201ELS6_5ELS7_0EEENS1_28merge_sort_block_sort_configILj256ELj4ELNS0_20block_sort_algorithmE0EEENS0_14default_configENS1_37merge_sort_block_sort_config_selectorIhlEENS1_38merge_sort_block_merge_config_selectorIhlEEEEvv
    .private_segment_fixed_size: 0
    .sgpr_count:     4
    .sgpr_spill_count: 0
    .symbol:         _ZN7rocprim17ROCPRIM_400000_NS6detail44device_merge_sort_compile_time_verifier_archINS1_11comp_targetILNS1_3genE10ELNS1_11target_archE1200ELNS1_3gpuE4ELNS1_3repE0EEENS3_ILS4_10ELS5_1201ELS6_5ELS7_0EEENS1_28merge_sort_block_sort_configILj256ELj4ELNS0_20block_sort_algorithmE0EEENS0_14default_configENS1_37merge_sort_block_sort_config_selectorIhlEENS1_38merge_sort_block_merge_config_selectorIhlEEEEvv.kd
    .uniform_work_group_size: 1
    .uses_dynamic_stack: false
    .vgpr_count:     0
    .vgpr_spill_count: 0
    .wavefront_size: 64
  - .agpr_count:     0
    .args:           []
    .group_segment_fixed_size: 0
    .kernarg_segment_align: 4
    .kernarg_segment_size: 0
    .language:       OpenCL C
    .language_version:
      - 2
      - 0
    .max_flat_workgroup_size: 1024
    .name:           _ZN7rocprim17ROCPRIM_400000_NS6detail44device_merge_sort_compile_time_verifier_archINS1_11comp_targetILNS1_3genE9ELNS1_11target_archE1100ELNS1_3gpuE3ELNS1_3repE0EEES8_NS1_28merge_sort_block_sort_configILj256ELj4ELNS0_20block_sort_algorithmE0EEENS0_14default_configENS1_37merge_sort_block_sort_config_selectorIhlEENS1_38merge_sort_block_merge_config_selectorIhlEEEEvv
    .private_segment_fixed_size: 0
    .sgpr_count:     4
    .sgpr_spill_count: 0
    .symbol:         _ZN7rocprim17ROCPRIM_400000_NS6detail44device_merge_sort_compile_time_verifier_archINS1_11comp_targetILNS1_3genE9ELNS1_11target_archE1100ELNS1_3gpuE3ELNS1_3repE0EEES8_NS1_28merge_sort_block_sort_configILj256ELj4ELNS0_20block_sort_algorithmE0EEENS0_14default_configENS1_37merge_sort_block_sort_config_selectorIhlEENS1_38merge_sort_block_merge_config_selectorIhlEEEEvv.kd
    .uniform_work_group_size: 1
    .uses_dynamic_stack: false
    .vgpr_count:     0
    .vgpr_spill_count: 0
    .wavefront_size: 64
  - .agpr_count:     0
    .args:           []
    .group_segment_fixed_size: 0
    .kernarg_segment_align: 4
    .kernarg_segment_size: 0
    .language:       OpenCL C
    .language_version:
      - 2
      - 0
    .max_flat_workgroup_size: 1024
    .name:           _ZN7rocprim17ROCPRIM_400000_NS6detail44device_merge_sort_compile_time_verifier_archINS1_11comp_targetILNS1_3genE8ELNS1_11target_archE1030ELNS1_3gpuE2ELNS1_3repE0EEES8_NS1_28merge_sort_block_sort_configILj256ELj4ELNS0_20block_sort_algorithmE0EEENS0_14default_configENS1_37merge_sort_block_sort_config_selectorIhlEENS1_38merge_sort_block_merge_config_selectorIhlEEEEvv
    .private_segment_fixed_size: 0
    .sgpr_count:     4
    .sgpr_spill_count: 0
    .symbol:         _ZN7rocprim17ROCPRIM_400000_NS6detail44device_merge_sort_compile_time_verifier_archINS1_11comp_targetILNS1_3genE8ELNS1_11target_archE1030ELNS1_3gpuE2ELNS1_3repE0EEES8_NS1_28merge_sort_block_sort_configILj256ELj4ELNS0_20block_sort_algorithmE0EEENS0_14default_configENS1_37merge_sort_block_sort_config_selectorIhlEENS1_38merge_sort_block_merge_config_selectorIhlEEEEvv.kd
    .uniform_work_group_size: 1
    .uses_dynamic_stack: false
    .vgpr_count:     0
    .vgpr_spill_count: 0
    .wavefront_size: 64
  - .agpr_count:     0
    .args:
      - .offset:         0
        .size:           40
        .value_kind:     by_value
    .group_segment_fixed_size: 0
    .kernarg_segment_align: 8
    .kernarg_segment_size: 40
    .language:       OpenCL C
    .language_version:
      - 2
      - 0
    .max_flat_workgroup_size: 128
    .name:           _ZN7rocprim17ROCPRIM_400000_NS6detail17trampoline_kernelINS0_14default_configENS1_38merge_sort_block_merge_config_selectorIhlEEZZNS1_27merge_sort_block_merge_implIS3_PhN6thrust23THRUST_200600_302600_NS10device_ptrIlEEjNS1_19radix_merge_compareILb0ELb0EhNS0_19identity_decomposerEEEEE10hipError_tT0_T1_T2_jT3_P12ihipStream_tbPNSt15iterator_traitsISG_E10value_typeEPNSM_ISH_E10value_typeEPSI_NS1_7vsmem_tEENKUlT_SG_SH_SI_E_clIS7_S7_PlSB_EESF_SV_SG_SH_SI_EUlSV_E_NS1_11comp_targetILNS1_3genE0ELNS1_11target_archE4294967295ELNS1_3gpuE0ELNS1_3repE0EEENS1_48merge_mergepath_partition_config_static_selectorELNS0_4arch9wavefront6targetE1EEEvSH_
    .private_segment_fixed_size: 0
    .sgpr_count:     4
    .sgpr_spill_count: 0
    .symbol:         _ZN7rocprim17ROCPRIM_400000_NS6detail17trampoline_kernelINS0_14default_configENS1_38merge_sort_block_merge_config_selectorIhlEEZZNS1_27merge_sort_block_merge_implIS3_PhN6thrust23THRUST_200600_302600_NS10device_ptrIlEEjNS1_19radix_merge_compareILb0ELb0EhNS0_19identity_decomposerEEEEE10hipError_tT0_T1_T2_jT3_P12ihipStream_tbPNSt15iterator_traitsISG_E10value_typeEPNSM_ISH_E10value_typeEPSI_NS1_7vsmem_tEENKUlT_SG_SH_SI_E_clIS7_S7_PlSB_EESF_SV_SG_SH_SI_EUlSV_E_NS1_11comp_targetILNS1_3genE0ELNS1_11target_archE4294967295ELNS1_3gpuE0ELNS1_3repE0EEENS1_48merge_mergepath_partition_config_static_selectorELNS0_4arch9wavefront6targetE1EEEvSH_.kd
    .uniform_work_group_size: 1
    .uses_dynamic_stack: false
    .vgpr_count:     0
    .vgpr_spill_count: 0
    .wavefront_size: 64
  - .agpr_count:     0
    .args:
      - .offset:         0
        .size:           40
        .value_kind:     by_value
    .group_segment_fixed_size: 0
    .kernarg_segment_align: 8
    .kernarg_segment_size: 40
    .language:       OpenCL C
    .language_version:
      - 2
      - 0
    .max_flat_workgroup_size: 128
    .name:           _ZN7rocprim17ROCPRIM_400000_NS6detail17trampoline_kernelINS0_14default_configENS1_38merge_sort_block_merge_config_selectorIhlEEZZNS1_27merge_sort_block_merge_implIS3_PhN6thrust23THRUST_200600_302600_NS10device_ptrIlEEjNS1_19radix_merge_compareILb0ELb0EhNS0_19identity_decomposerEEEEE10hipError_tT0_T1_T2_jT3_P12ihipStream_tbPNSt15iterator_traitsISG_E10value_typeEPNSM_ISH_E10value_typeEPSI_NS1_7vsmem_tEENKUlT_SG_SH_SI_E_clIS7_S7_PlSB_EESF_SV_SG_SH_SI_EUlSV_E_NS1_11comp_targetILNS1_3genE10ELNS1_11target_archE1201ELNS1_3gpuE5ELNS1_3repE0EEENS1_48merge_mergepath_partition_config_static_selectorELNS0_4arch9wavefront6targetE1EEEvSH_
    .private_segment_fixed_size: 0
    .sgpr_count:     4
    .sgpr_spill_count: 0
    .symbol:         _ZN7rocprim17ROCPRIM_400000_NS6detail17trampoline_kernelINS0_14default_configENS1_38merge_sort_block_merge_config_selectorIhlEEZZNS1_27merge_sort_block_merge_implIS3_PhN6thrust23THRUST_200600_302600_NS10device_ptrIlEEjNS1_19radix_merge_compareILb0ELb0EhNS0_19identity_decomposerEEEEE10hipError_tT0_T1_T2_jT3_P12ihipStream_tbPNSt15iterator_traitsISG_E10value_typeEPNSM_ISH_E10value_typeEPSI_NS1_7vsmem_tEENKUlT_SG_SH_SI_E_clIS7_S7_PlSB_EESF_SV_SG_SH_SI_EUlSV_E_NS1_11comp_targetILNS1_3genE10ELNS1_11target_archE1201ELNS1_3gpuE5ELNS1_3repE0EEENS1_48merge_mergepath_partition_config_static_selectorELNS0_4arch9wavefront6targetE1EEEvSH_.kd
    .uniform_work_group_size: 1
    .uses_dynamic_stack: false
    .vgpr_count:     0
    .vgpr_spill_count: 0
    .wavefront_size: 64
  - .agpr_count:     0
    .args:
      - .offset:         0
        .size:           40
        .value_kind:     by_value
    .group_segment_fixed_size: 0
    .kernarg_segment_align: 8
    .kernarg_segment_size: 40
    .language:       OpenCL C
    .language_version:
      - 2
      - 0
    .max_flat_workgroup_size: 128
    .name:           _ZN7rocprim17ROCPRIM_400000_NS6detail17trampoline_kernelINS0_14default_configENS1_38merge_sort_block_merge_config_selectorIhlEEZZNS1_27merge_sort_block_merge_implIS3_PhN6thrust23THRUST_200600_302600_NS10device_ptrIlEEjNS1_19radix_merge_compareILb0ELb0EhNS0_19identity_decomposerEEEEE10hipError_tT0_T1_T2_jT3_P12ihipStream_tbPNSt15iterator_traitsISG_E10value_typeEPNSM_ISH_E10value_typeEPSI_NS1_7vsmem_tEENKUlT_SG_SH_SI_E_clIS7_S7_PlSB_EESF_SV_SG_SH_SI_EUlSV_E_NS1_11comp_targetILNS1_3genE5ELNS1_11target_archE942ELNS1_3gpuE9ELNS1_3repE0EEENS1_48merge_mergepath_partition_config_static_selectorELNS0_4arch9wavefront6targetE1EEEvSH_
    .private_segment_fixed_size: 0
    .sgpr_count:     4
    .sgpr_spill_count: 0
    .symbol:         _ZN7rocprim17ROCPRIM_400000_NS6detail17trampoline_kernelINS0_14default_configENS1_38merge_sort_block_merge_config_selectorIhlEEZZNS1_27merge_sort_block_merge_implIS3_PhN6thrust23THRUST_200600_302600_NS10device_ptrIlEEjNS1_19radix_merge_compareILb0ELb0EhNS0_19identity_decomposerEEEEE10hipError_tT0_T1_T2_jT3_P12ihipStream_tbPNSt15iterator_traitsISG_E10value_typeEPNSM_ISH_E10value_typeEPSI_NS1_7vsmem_tEENKUlT_SG_SH_SI_E_clIS7_S7_PlSB_EESF_SV_SG_SH_SI_EUlSV_E_NS1_11comp_targetILNS1_3genE5ELNS1_11target_archE942ELNS1_3gpuE9ELNS1_3repE0EEENS1_48merge_mergepath_partition_config_static_selectorELNS0_4arch9wavefront6targetE1EEEvSH_.kd
    .uniform_work_group_size: 1
    .uses_dynamic_stack: false
    .vgpr_count:     0
    .vgpr_spill_count: 0
    .wavefront_size: 64
  - .agpr_count:     0
    .args:
      - .offset:         0
        .size:           40
        .value_kind:     by_value
    .group_segment_fixed_size: 0
    .kernarg_segment_align: 8
    .kernarg_segment_size: 40
    .language:       OpenCL C
    .language_version:
      - 2
      - 0
    .max_flat_workgroup_size: 128
    .name:           _ZN7rocprim17ROCPRIM_400000_NS6detail17trampoline_kernelINS0_14default_configENS1_38merge_sort_block_merge_config_selectorIhlEEZZNS1_27merge_sort_block_merge_implIS3_PhN6thrust23THRUST_200600_302600_NS10device_ptrIlEEjNS1_19radix_merge_compareILb0ELb0EhNS0_19identity_decomposerEEEEE10hipError_tT0_T1_T2_jT3_P12ihipStream_tbPNSt15iterator_traitsISG_E10value_typeEPNSM_ISH_E10value_typeEPSI_NS1_7vsmem_tEENKUlT_SG_SH_SI_E_clIS7_S7_PlSB_EESF_SV_SG_SH_SI_EUlSV_E_NS1_11comp_targetILNS1_3genE4ELNS1_11target_archE910ELNS1_3gpuE8ELNS1_3repE0EEENS1_48merge_mergepath_partition_config_static_selectorELNS0_4arch9wavefront6targetE1EEEvSH_
    .private_segment_fixed_size: 0
    .sgpr_count:     12
    .sgpr_spill_count: 0
    .symbol:         _ZN7rocprim17ROCPRIM_400000_NS6detail17trampoline_kernelINS0_14default_configENS1_38merge_sort_block_merge_config_selectorIhlEEZZNS1_27merge_sort_block_merge_implIS3_PhN6thrust23THRUST_200600_302600_NS10device_ptrIlEEjNS1_19radix_merge_compareILb0ELb0EhNS0_19identity_decomposerEEEEE10hipError_tT0_T1_T2_jT3_P12ihipStream_tbPNSt15iterator_traitsISG_E10value_typeEPNSM_ISH_E10value_typeEPSI_NS1_7vsmem_tEENKUlT_SG_SH_SI_E_clIS7_S7_PlSB_EESF_SV_SG_SH_SI_EUlSV_E_NS1_11comp_targetILNS1_3genE4ELNS1_11target_archE910ELNS1_3gpuE8ELNS1_3repE0EEENS1_48merge_mergepath_partition_config_static_selectorELNS0_4arch9wavefront6targetE1EEEvSH_.kd
    .uniform_work_group_size: 1
    .uses_dynamic_stack: false
    .vgpr_count:     16
    .vgpr_spill_count: 0
    .wavefront_size: 64
  - .agpr_count:     0
    .args:
      - .offset:         0
        .size:           40
        .value_kind:     by_value
    .group_segment_fixed_size: 0
    .kernarg_segment_align: 8
    .kernarg_segment_size: 40
    .language:       OpenCL C
    .language_version:
      - 2
      - 0
    .max_flat_workgroup_size: 128
    .name:           _ZN7rocprim17ROCPRIM_400000_NS6detail17trampoline_kernelINS0_14default_configENS1_38merge_sort_block_merge_config_selectorIhlEEZZNS1_27merge_sort_block_merge_implIS3_PhN6thrust23THRUST_200600_302600_NS10device_ptrIlEEjNS1_19radix_merge_compareILb0ELb0EhNS0_19identity_decomposerEEEEE10hipError_tT0_T1_T2_jT3_P12ihipStream_tbPNSt15iterator_traitsISG_E10value_typeEPNSM_ISH_E10value_typeEPSI_NS1_7vsmem_tEENKUlT_SG_SH_SI_E_clIS7_S7_PlSB_EESF_SV_SG_SH_SI_EUlSV_E_NS1_11comp_targetILNS1_3genE3ELNS1_11target_archE908ELNS1_3gpuE7ELNS1_3repE0EEENS1_48merge_mergepath_partition_config_static_selectorELNS0_4arch9wavefront6targetE1EEEvSH_
    .private_segment_fixed_size: 0
    .sgpr_count:     4
    .sgpr_spill_count: 0
    .symbol:         _ZN7rocprim17ROCPRIM_400000_NS6detail17trampoline_kernelINS0_14default_configENS1_38merge_sort_block_merge_config_selectorIhlEEZZNS1_27merge_sort_block_merge_implIS3_PhN6thrust23THRUST_200600_302600_NS10device_ptrIlEEjNS1_19radix_merge_compareILb0ELb0EhNS0_19identity_decomposerEEEEE10hipError_tT0_T1_T2_jT3_P12ihipStream_tbPNSt15iterator_traitsISG_E10value_typeEPNSM_ISH_E10value_typeEPSI_NS1_7vsmem_tEENKUlT_SG_SH_SI_E_clIS7_S7_PlSB_EESF_SV_SG_SH_SI_EUlSV_E_NS1_11comp_targetILNS1_3genE3ELNS1_11target_archE908ELNS1_3gpuE7ELNS1_3repE0EEENS1_48merge_mergepath_partition_config_static_selectorELNS0_4arch9wavefront6targetE1EEEvSH_.kd
    .uniform_work_group_size: 1
    .uses_dynamic_stack: false
    .vgpr_count:     0
    .vgpr_spill_count: 0
    .wavefront_size: 64
  - .agpr_count:     0
    .args:
      - .offset:         0
        .size:           40
        .value_kind:     by_value
    .group_segment_fixed_size: 0
    .kernarg_segment_align: 8
    .kernarg_segment_size: 40
    .language:       OpenCL C
    .language_version:
      - 2
      - 0
    .max_flat_workgroup_size: 128
    .name:           _ZN7rocprim17ROCPRIM_400000_NS6detail17trampoline_kernelINS0_14default_configENS1_38merge_sort_block_merge_config_selectorIhlEEZZNS1_27merge_sort_block_merge_implIS3_PhN6thrust23THRUST_200600_302600_NS10device_ptrIlEEjNS1_19radix_merge_compareILb0ELb0EhNS0_19identity_decomposerEEEEE10hipError_tT0_T1_T2_jT3_P12ihipStream_tbPNSt15iterator_traitsISG_E10value_typeEPNSM_ISH_E10value_typeEPSI_NS1_7vsmem_tEENKUlT_SG_SH_SI_E_clIS7_S7_PlSB_EESF_SV_SG_SH_SI_EUlSV_E_NS1_11comp_targetILNS1_3genE2ELNS1_11target_archE906ELNS1_3gpuE6ELNS1_3repE0EEENS1_48merge_mergepath_partition_config_static_selectorELNS0_4arch9wavefront6targetE1EEEvSH_
    .private_segment_fixed_size: 0
    .sgpr_count:     4
    .sgpr_spill_count: 0
    .symbol:         _ZN7rocprim17ROCPRIM_400000_NS6detail17trampoline_kernelINS0_14default_configENS1_38merge_sort_block_merge_config_selectorIhlEEZZNS1_27merge_sort_block_merge_implIS3_PhN6thrust23THRUST_200600_302600_NS10device_ptrIlEEjNS1_19radix_merge_compareILb0ELb0EhNS0_19identity_decomposerEEEEE10hipError_tT0_T1_T2_jT3_P12ihipStream_tbPNSt15iterator_traitsISG_E10value_typeEPNSM_ISH_E10value_typeEPSI_NS1_7vsmem_tEENKUlT_SG_SH_SI_E_clIS7_S7_PlSB_EESF_SV_SG_SH_SI_EUlSV_E_NS1_11comp_targetILNS1_3genE2ELNS1_11target_archE906ELNS1_3gpuE6ELNS1_3repE0EEENS1_48merge_mergepath_partition_config_static_selectorELNS0_4arch9wavefront6targetE1EEEvSH_.kd
    .uniform_work_group_size: 1
    .uses_dynamic_stack: false
    .vgpr_count:     0
    .vgpr_spill_count: 0
    .wavefront_size: 64
  - .agpr_count:     0
    .args:
      - .offset:         0
        .size:           40
        .value_kind:     by_value
    .group_segment_fixed_size: 0
    .kernarg_segment_align: 8
    .kernarg_segment_size: 40
    .language:       OpenCL C
    .language_version:
      - 2
      - 0
    .max_flat_workgroup_size: 128
    .name:           _ZN7rocprim17ROCPRIM_400000_NS6detail17trampoline_kernelINS0_14default_configENS1_38merge_sort_block_merge_config_selectorIhlEEZZNS1_27merge_sort_block_merge_implIS3_PhN6thrust23THRUST_200600_302600_NS10device_ptrIlEEjNS1_19radix_merge_compareILb0ELb0EhNS0_19identity_decomposerEEEEE10hipError_tT0_T1_T2_jT3_P12ihipStream_tbPNSt15iterator_traitsISG_E10value_typeEPNSM_ISH_E10value_typeEPSI_NS1_7vsmem_tEENKUlT_SG_SH_SI_E_clIS7_S7_PlSB_EESF_SV_SG_SH_SI_EUlSV_E_NS1_11comp_targetILNS1_3genE9ELNS1_11target_archE1100ELNS1_3gpuE3ELNS1_3repE0EEENS1_48merge_mergepath_partition_config_static_selectorELNS0_4arch9wavefront6targetE1EEEvSH_
    .private_segment_fixed_size: 0
    .sgpr_count:     4
    .sgpr_spill_count: 0
    .symbol:         _ZN7rocprim17ROCPRIM_400000_NS6detail17trampoline_kernelINS0_14default_configENS1_38merge_sort_block_merge_config_selectorIhlEEZZNS1_27merge_sort_block_merge_implIS3_PhN6thrust23THRUST_200600_302600_NS10device_ptrIlEEjNS1_19radix_merge_compareILb0ELb0EhNS0_19identity_decomposerEEEEE10hipError_tT0_T1_T2_jT3_P12ihipStream_tbPNSt15iterator_traitsISG_E10value_typeEPNSM_ISH_E10value_typeEPSI_NS1_7vsmem_tEENKUlT_SG_SH_SI_E_clIS7_S7_PlSB_EESF_SV_SG_SH_SI_EUlSV_E_NS1_11comp_targetILNS1_3genE9ELNS1_11target_archE1100ELNS1_3gpuE3ELNS1_3repE0EEENS1_48merge_mergepath_partition_config_static_selectorELNS0_4arch9wavefront6targetE1EEEvSH_.kd
    .uniform_work_group_size: 1
    .uses_dynamic_stack: false
    .vgpr_count:     0
    .vgpr_spill_count: 0
    .wavefront_size: 64
  - .agpr_count:     0
    .args:
      - .offset:         0
        .size:           40
        .value_kind:     by_value
    .group_segment_fixed_size: 0
    .kernarg_segment_align: 8
    .kernarg_segment_size: 40
    .language:       OpenCL C
    .language_version:
      - 2
      - 0
    .max_flat_workgroup_size: 128
    .name:           _ZN7rocprim17ROCPRIM_400000_NS6detail17trampoline_kernelINS0_14default_configENS1_38merge_sort_block_merge_config_selectorIhlEEZZNS1_27merge_sort_block_merge_implIS3_PhN6thrust23THRUST_200600_302600_NS10device_ptrIlEEjNS1_19radix_merge_compareILb0ELb0EhNS0_19identity_decomposerEEEEE10hipError_tT0_T1_T2_jT3_P12ihipStream_tbPNSt15iterator_traitsISG_E10value_typeEPNSM_ISH_E10value_typeEPSI_NS1_7vsmem_tEENKUlT_SG_SH_SI_E_clIS7_S7_PlSB_EESF_SV_SG_SH_SI_EUlSV_E_NS1_11comp_targetILNS1_3genE8ELNS1_11target_archE1030ELNS1_3gpuE2ELNS1_3repE0EEENS1_48merge_mergepath_partition_config_static_selectorELNS0_4arch9wavefront6targetE1EEEvSH_
    .private_segment_fixed_size: 0
    .sgpr_count:     4
    .sgpr_spill_count: 0
    .symbol:         _ZN7rocprim17ROCPRIM_400000_NS6detail17trampoline_kernelINS0_14default_configENS1_38merge_sort_block_merge_config_selectorIhlEEZZNS1_27merge_sort_block_merge_implIS3_PhN6thrust23THRUST_200600_302600_NS10device_ptrIlEEjNS1_19radix_merge_compareILb0ELb0EhNS0_19identity_decomposerEEEEE10hipError_tT0_T1_T2_jT3_P12ihipStream_tbPNSt15iterator_traitsISG_E10value_typeEPNSM_ISH_E10value_typeEPSI_NS1_7vsmem_tEENKUlT_SG_SH_SI_E_clIS7_S7_PlSB_EESF_SV_SG_SH_SI_EUlSV_E_NS1_11comp_targetILNS1_3genE8ELNS1_11target_archE1030ELNS1_3gpuE2ELNS1_3repE0EEENS1_48merge_mergepath_partition_config_static_selectorELNS0_4arch9wavefront6targetE1EEEvSH_.kd
    .uniform_work_group_size: 1
    .uses_dynamic_stack: false
    .vgpr_count:     0
    .vgpr_spill_count: 0
    .wavefront_size: 64
  - .agpr_count:     0
    .args:
      - .offset:         0
        .size:           64
        .value_kind:     by_value
    .group_segment_fixed_size: 0
    .kernarg_segment_align: 8
    .kernarg_segment_size: 64
    .language:       OpenCL C
    .language_version:
      - 2
      - 0
    .max_flat_workgroup_size: 512
    .name:           _ZN7rocprim17ROCPRIM_400000_NS6detail17trampoline_kernelINS0_14default_configENS1_38merge_sort_block_merge_config_selectorIhlEEZZNS1_27merge_sort_block_merge_implIS3_PhN6thrust23THRUST_200600_302600_NS10device_ptrIlEEjNS1_19radix_merge_compareILb0ELb0EhNS0_19identity_decomposerEEEEE10hipError_tT0_T1_T2_jT3_P12ihipStream_tbPNSt15iterator_traitsISG_E10value_typeEPNSM_ISH_E10value_typeEPSI_NS1_7vsmem_tEENKUlT_SG_SH_SI_E_clIS7_S7_PlSB_EESF_SV_SG_SH_SI_EUlSV_E0_NS1_11comp_targetILNS1_3genE0ELNS1_11target_archE4294967295ELNS1_3gpuE0ELNS1_3repE0EEENS1_38merge_mergepath_config_static_selectorELNS0_4arch9wavefront6targetE1EEEvSH_
    .private_segment_fixed_size: 0
    .sgpr_count:     4
    .sgpr_spill_count: 0
    .symbol:         _ZN7rocprim17ROCPRIM_400000_NS6detail17trampoline_kernelINS0_14default_configENS1_38merge_sort_block_merge_config_selectorIhlEEZZNS1_27merge_sort_block_merge_implIS3_PhN6thrust23THRUST_200600_302600_NS10device_ptrIlEEjNS1_19radix_merge_compareILb0ELb0EhNS0_19identity_decomposerEEEEE10hipError_tT0_T1_T2_jT3_P12ihipStream_tbPNSt15iterator_traitsISG_E10value_typeEPNSM_ISH_E10value_typeEPSI_NS1_7vsmem_tEENKUlT_SG_SH_SI_E_clIS7_S7_PlSB_EESF_SV_SG_SH_SI_EUlSV_E0_NS1_11comp_targetILNS1_3genE0ELNS1_11target_archE4294967295ELNS1_3gpuE0ELNS1_3repE0EEENS1_38merge_mergepath_config_static_selectorELNS0_4arch9wavefront6targetE1EEEvSH_.kd
    .uniform_work_group_size: 1
    .uses_dynamic_stack: false
    .vgpr_count:     0
    .vgpr_spill_count: 0
    .wavefront_size: 64
  - .agpr_count:     0
    .args:
      - .offset:         0
        .size:           64
        .value_kind:     by_value
    .group_segment_fixed_size: 0
    .kernarg_segment_align: 8
    .kernarg_segment_size: 64
    .language:       OpenCL C
    .language_version:
      - 2
      - 0
    .max_flat_workgroup_size: 128
    .name:           _ZN7rocprim17ROCPRIM_400000_NS6detail17trampoline_kernelINS0_14default_configENS1_38merge_sort_block_merge_config_selectorIhlEEZZNS1_27merge_sort_block_merge_implIS3_PhN6thrust23THRUST_200600_302600_NS10device_ptrIlEEjNS1_19radix_merge_compareILb0ELb0EhNS0_19identity_decomposerEEEEE10hipError_tT0_T1_T2_jT3_P12ihipStream_tbPNSt15iterator_traitsISG_E10value_typeEPNSM_ISH_E10value_typeEPSI_NS1_7vsmem_tEENKUlT_SG_SH_SI_E_clIS7_S7_PlSB_EESF_SV_SG_SH_SI_EUlSV_E0_NS1_11comp_targetILNS1_3genE10ELNS1_11target_archE1201ELNS1_3gpuE5ELNS1_3repE0EEENS1_38merge_mergepath_config_static_selectorELNS0_4arch9wavefront6targetE1EEEvSH_
    .private_segment_fixed_size: 0
    .sgpr_count:     4
    .sgpr_spill_count: 0
    .symbol:         _ZN7rocprim17ROCPRIM_400000_NS6detail17trampoline_kernelINS0_14default_configENS1_38merge_sort_block_merge_config_selectorIhlEEZZNS1_27merge_sort_block_merge_implIS3_PhN6thrust23THRUST_200600_302600_NS10device_ptrIlEEjNS1_19radix_merge_compareILb0ELb0EhNS0_19identity_decomposerEEEEE10hipError_tT0_T1_T2_jT3_P12ihipStream_tbPNSt15iterator_traitsISG_E10value_typeEPNSM_ISH_E10value_typeEPSI_NS1_7vsmem_tEENKUlT_SG_SH_SI_E_clIS7_S7_PlSB_EESF_SV_SG_SH_SI_EUlSV_E0_NS1_11comp_targetILNS1_3genE10ELNS1_11target_archE1201ELNS1_3gpuE5ELNS1_3repE0EEENS1_38merge_mergepath_config_static_selectorELNS0_4arch9wavefront6targetE1EEEvSH_.kd
    .uniform_work_group_size: 1
    .uses_dynamic_stack: false
    .vgpr_count:     0
    .vgpr_spill_count: 0
    .wavefront_size: 64
  - .agpr_count:     0
    .args:
      - .offset:         0
        .size:           64
        .value_kind:     by_value
    .group_segment_fixed_size: 0
    .kernarg_segment_align: 8
    .kernarg_segment_size: 64
    .language:       OpenCL C
    .language_version:
      - 2
      - 0
    .max_flat_workgroup_size: 128
    .name:           _ZN7rocprim17ROCPRIM_400000_NS6detail17trampoline_kernelINS0_14default_configENS1_38merge_sort_block_merge_config_selectorIhlEEZZNS1_27merge_sort_block_merge_implIS3_PhN6thrust23THRUST_200600_302600_NS10device_ptrIlEEjNS1_19radix_merge_compareILb0ELb0EhNS0_19identity_decomposerEEEEE10hipError_tT0_T1_T2_jT3_P12ihipStream_tbPNSt15iterator_traitsISG_E10value_typeEPNSM_ISH_E10value_typeEPSI_NS1_7vsmem_tEENKUlT_SG_SH_SI_E_clIS7_S7_PlSB_EESF_SV_SG_SH_SI_EUlSV_E0_NS1_11comp_targetILNS1_3genE5ELNS1_11target_archE942ELNS1_3gpuE9ELNS1_3repE0EEENS1_38merge_mergepath_config_static_selectorELNS0_4arch9wavefront6targetE1EEEvSH_
    .private_segment_fixed_size: 0
    .sgpr_count:     4
    .sgpr_spill_count: 0
    .symbol:         _ZN7rocprim17ROCPRIM_400000_NS6detail17trampoline_kernelINS0_14default_configENS1_38merge_sort_block_merge_config_selectorIhlEEZZNS1_27merge_sort_block_merge_implIS3_PhN6thrust23THRUST_200600_302600_NS10device_ptrIlEEjNS1_19radix_merge_compareILb0ELb0EhNS0_19identity_decomposerEEEEE10hipError_tT0_T1_T2_jT3_P12ihipStream_tbPNSt15iterator_traitsISG_E10value_typeEPNSM_ISH_E10value_typeEPSI_NS1_7vsmem_tEENKUlT_SG_SH_SI_E_clIS7_S7_PlSB_EESF_SV_SG_SH_SI_EUlSV_E0_NS1_11comp_targetILNS1_3genE5ELNS1_11target_archE942ELNS1_3gpuE9ELNS1_3repE0EEENS1_38merge_mergepath_config_static_selectorELNS0_4arch9wavefront6targetE1EEEvSH_.kd
    .uniform_work_group_size: 1
    .uses_dynamic_stack: false
    .vgpr_count:     0
    .vgpr_spill_count: 0
    .wavefront_size: 64
  - .agpr_count:     0
    .args:
      - .offset:         0
        .size:           64
        .value_kind:     by_value
      - .offset:         64
        .size:           4
        .value_kind:     hidden_block_count_x
      - .offset:         68
        .size:           4
        .value_kind:     hidden_block_count_y
      - .offset:         72
        .size:           4
        .value_kind:     hidden_block_count_z
      - .offset:         76
        .size:           2
        .value_kind:     hidden_group_size_x
      - .offset:         78
        .size:           2
        .value_kind:     hidden_group_size_y
      - .offset:         80
        .size:           2
        .value_kind:     hidden_group_size_z
      - .offset:         82
        .size:           2
        .value_kind:     hidden_remainder_x
      - .offset:         84
        .size:           2
        .value_kind:     hidden_remainder_y
      - .offset:         86
        .size:           2
        .value_kind:     hidden_remainder_z
      - .offset:         104
        .size:           8
        .value_kind:     hidden_global_offset_x
      - .offset:         112
        .size:           8
        .value_kind:     hidden_global_offset_y
      - .offset:         120
        .size:           8
        .value_kind:     hidden_global_offset_z
      - .offset:         128
        .size:           2
        .value_kind:     hidden_grid_dims
    .group_segment_fixed_size: 8448
    .kernarg_segment_align: 8
    .kernarg_segment_size: 320
    .language:       OpenCL C
    .language_version:
      - 2
      - 0
    .max_flat_workgroup_size: 256
    .name:           _ZN7rocprim17ROCPRIM_400000_NS6detail17trampoline_kernelINS0_14default_configENS1_38merge_sort_block_merge_config_selectorIhlEEZZNS1_27merge_sort_block_merge_implIS3_PhN6thrust23THRUST_200600_302600_NS10device_ptrIlEEjNS1_19radix_merge_compareILb0ELb0EhNS0_19identity_decomposerEEEEE10hipError_tT0_T1_T2_jT3_P12ihipStream_tbPNSt15iterator_traitsISG_E10value_typeEPNSM_ISH_E10value_typeEPSI_NS1_7vsmem_tEENKUlT_SG_SH_SI_E_clIS7_S7_PlSB_EESF_SV_SG_SH_SI_EUlSV_E0_NS1_11comp_targetILNS1_3genE4ELNS1_11target_archE910ELNS1_3gpuE8ELNS1_3repE0EEENS1_38merge_mergepath_config_static_selectorELNS0_4arch9wavefront6targetE1EEEvSH_
    .private_segment_fixed_size: 0
    .sgpr_count:     36
    .sgpr_spill_count: 0
    .symbol:         _ZN7rocprim17ROCPRIM_400000_NS6detail17trampoline_kernelINS0_14default_configENS1_38merge_sort_block_merge_config_selectorIhlEEZZNS1_27merge_sort_block_merge_implIS3_PhN6thrust23THRUST_200600_302600_NS10device_ptrIlEEjNS1_19radix_merge_compareILb0ELb0EhNS0_19identity_decomposerEEEEE10hipError_tT0_T1_T2_jT3_P12ihipStream_tbPNSt15iterator_traitsISG_E10value_typeEPNSM_ISH_E10value_typeEPSI_NS1_7vsmem_tEENKUlT_SG_SH_SI_E_clIS7_S7_PlSB_EESF_SV_SG_SH_SI_EUlSV_E0_NS1_11comp_targetILNS1_3genE4ELNS1_11target_archE910ELNS1_3gpuE8ELNS1_3repE0EEENS1_38merge_mergepath_config_static_selectorELNS0_4arch9wavefront6targetE1EEEvSH_.kd
    .uniform_work_group_size: 1
    .uses_dynamic_stack: false
    .vgpr_count:     36
    .vgpr_spill_count: 0
    .wavefront_size: 64
  - .agpr_count:     0
    .args:
      - .offset:         0
        .size:           64
        .value_kind:     by_value
    .group_segment_fixed_size: 0
    .kernarg_segment_align: 8
    .kernarg_segment_size: 64
    .language:       OpenCL C
    .language_version:
      - 2
      - 0
    .max_flat_workgroup_size: 512
    .name:           _ZN7rocprim17ROCPRIM_400000_NS6detail17trampoline_kernelINS0_14default_configENS1_38merge_sort_block_merge_config_selectorIhlEEZZNS1_27merge_sort_block_merge_implIS3_PhN6thrust23THRUST_200600_302600_NS10device_ptrIlEEjNS1_19radix_merge_compareILb0ELb0EhNS0_19identity_decomposerEEEEE10hipError_tT0_T1_T2_jT3_P12ihipStream_tbPNSt15iterator_traitsISG_E10value_typeEPNSM_ISH_E10value_typeEPSI_NS1_7vsmem_tEENKUlT_SG_SH_SI_E_clIS7_S7_PlSB_EESF_SV_SG_SH_SI_EUlSV_E0_NS1_11comp_targetILNS1_3genE3ELNS1_11target_archE908ELNS1_3gpuE7ELNS1_3repE0EEENS1_38merge_mergepath_config_static_selectorELNS0_4arch9wavefront6targetE1EEEvSH_
    .private_segment_fixed_size: 0
    .sgpr_count:     4
    .sgpr_spill_count: 0
    .symbol:         _ZN7rocprim17ROCPRIM_400000_NS6detail17trampoline_kernelINS0_14default_configENS1_38merge_sort_block_merge_config_selectorIhlEEZZNS1_27merge_sort_block_merge_implIS3_PhN6thrust23THRUST_200600_302600_NS10device_ptrIlEEjNS1_19radix_merge_compareILb0ELb0EhNS0_19identity_decomposerEEEEE10hipError_tT0_T1_T2_jT3_P12ihipStream_tbPNSt15iterator_traitsISG_E10value_typeEPNSM_ISH_E10value_typeEPSI_NS1_7vsmem_tEENKUlT_SG_SH_SI_E_clIS7_S7_PlSB_EESF_SV_SG_SH_SI_EUlSV_E0_NS1_11comp_targetILNS1_3genE3ELNS1_11target_archE908ELNS1_3gpuE7ELNS1_3repE0EEENS1_38merge_mergepath_config_static_selectorELNS0_4arch9wavefront6targetE1EEEvSH_.kd
    .uniform_work_group_size: 1
    .uses_dynamic_stack: false
    .vgpr_count:     0
    .vgpr_spill_count: 0
    .wavefront_size: 64
  - .agpr_count:     0
    .args:
      - .offset:         0
        .size:           64
        .value_kind:     by_value
    .group_segment_fixed_size: 0
    .kernarg_segment_align: 8
    .kernarg_segment_size: 64
    .language:       OpenCL C
    .language_version:
      - 2
      - 0
    .max_flat_workgroup_size: 256
    .name:           _ZN7rocprim17ROCPRIM_400000_NS6detail17trampoline_kernelINS0_14default_configENS1_38merge_sort_block_merge_config_selectorIhlEEZZNS1_27merge_sort_block_merge_implIS3_PhN6thrust23THRUST_200600_302600_NS10device_ptrIlEEjNS1_19radix_merge_compareILb0ELb0EhNS0_19identity_decomposerEEEEE10hipError_tT0_T1_T2_jT3_P12ihipStream_tbPNSt15iterator_traitsISG_E10value_typeEPNSM_ISH_E10value_typeEPSI_NS1_7vsmem_tEENKUlT_SG_SH_SI_E_clIS7_S7_PlSB_EESF_SV_SG_SH_SI_EUlSV_E0_NS1_11comp_targetILNS1_3genE2ELNS1_11target_archE906ELNS1_3gpuE6ELNS1_3repE0EEENS1_38merge_mergepath_config_static_selectorELNS0_4arch9wavefront6targetE1EEEvSH_
    .private_segment_fixed_size: 0
    .sgpr_count:     4
    .sgpr_spill_count: 0
    .symbol:         _ZN7rocprim17ROCPRIM_400000_NS6detail17trampoline_kernelINS0_14default_configENS1_38merge_sort_block_merge_config_selectorIhlEEZZNS1_27merge_sort_block_merge_implIS3_PhN6thrust23THRUST_200600_302600_NS10device_ptrIlEEjNS1_19radix_merge_compareILb0ELb0EhNS0_19identity_decomposerEEEEE10hipError_tT0_T1_T2_jT3_P12ihipStream_tbPNSt15iterator_traitsISG_E10value_typeEPNSM_ISH_E10value_typeEPSI_NS1_7vsmem_tEENKUlT_SG_SH_SI_E_clIS7_S7_PlSB_EESF_SV_SG_SH_SI_EUlSV_E0_NS1_11comp_targetILNS1_3genE2ELNS1_11target_archE906ELNS1_3gpuE6ELNS1_3repE0EEENS1_38merge_mergepath_config_static_selectorELNS0_4arch9wavefront6targetE1EEEvSH_.kd
    .uniform_work_group_size: 1
    .uses_dynamic_stack: false
    .vgpr_count:     0
    .vgpr_spill_count: 0
    .wavefront_size: 64
  - .agpr_count:     0
    .args:
      - .offset:         0
        .size:           64
        .value_kind:     by_value
    .group_segment_fixed_size: 0
    .kernarg_segment_align: 8
    .kernarg_segment_size: 64
    .language:       OpenCL C
    .language_version:
      - 2
      - 0
    .max_flat_workgroup_size: 512
    .name:           _ZN7rocprim17ROCPRIM_400000_NS6detail17trampoline_kernelINS0_14default_configENS1_38merge_sort_block_merge_config_selectorIhlEEZZNS1_27merge_sort_block_merge_implIS3_PhN6thrust23THRUST_200600_302600_NS10device_ptrIlEEjNS1_19radix_merge_compareILb0ELb0EhNS0_19identity_decomposerEEEEE10hipError_tT0_T1_T2_jT3_P12ihipStream_tbPNSt15iterator_traitsISG_E10value_typeEPNSM_ISH_E10value_typeEPSI_NS1_7vsmem_tEENKUlT_SG_SH_SI_E_clIS7_S7_PlSB_EESF_SV_SG_SH_SI_EUlSV_E0_NS1_11comp_targetILNS1_3genE9ELNS1_11target_archE1100ELNS1_3gpuE3ELNS1_3repE0EEENS1_38merge_mergepath_config_static_selectorELNS0_4arch9wavefront6targetE1EEEvSH_
    .private_segment_fixed_size: 0
    .sgpr_count:     4
    .sgpr_spill_count: 0
    .symbol:         _ZN7rocprim17ROCPRIM_400000_NS6detail17trampoline_kernelINS0_14default_configENS1_38merge_sort_block_merge_config_selectorIhlEEZZNS1_27merge_sort_block_merge_implIS3_PhN6thrust23THRUST_200600_302600_NS10device_ptrIlEEjNS1_19radix_merge_compareILb0ELb0EhNS0_19identity_decomposerEEEEE10hipError_tT0_T1_T2_jT3_P12ihipStream_tbPNSt15iterator_traitsISG_E10value_typeEPNSM_ISH_E10value_typeEPSI_NS1_7vsmem_tEENKUlT_SG_SH_SI_E_clIS7_S7_PlSB_EESF_SV_SG_SH_SI_EUlSV_E0_NS1_11comp_targetILNS1_3genE9ELNS1_11target_archE1100ELNS1_3gpuE3ELNS1_3repE0EEENS1_38merge_mergepath_config_static_selectorELNS0_4arch9wavefront6targetE1EEEvSH_.kd
    .uniform_work_group_size: 1
    .uses_dynamic_stack: false
    .vgpr_count:     0
    .vgpr_spill_count: 0
    .wavefront_size: 64
  - .agpr_count:     0
    .args:
      - .offset:         0
        .size:           64
        .value_kind:     by_value
    .group_segment_fixed_size: 0
    .kernarg_segment_align: 8
    .kernarg_segment_size: 64
    .language:       OpenCL C
    .language_version:
      - 2
      - 0
    .max_flat_workgroup_size: 1024
    .name:           _ZN7rocprim17ROCPRIM_400000_NS6detail17trampoline_kernelINS0_14default_configENS1_38merge_sort_block_merge_config_selectorIhlEEZZNS1_27merge_sort_block_merge_implIS3_PhN6thrust23THRUST_200600_302600_NS10device_ptrIlEEjNS1_19radix_merge_compareILb0ELb0EhNS0_19identity_decomposerEEEEE10hipError_tT0_T1_T2_jT3_P12ihipStream_tbPNSt15iterator_traitsISG_E10value_typeEPNSM_ISH_E10value_typeEPSI_NS1_7vsmem_tEENKUlT_SG_SH_SI_E_clIS7_S7_PlSB_EESF_SV_SG_SH_SI_EUlSV_E0_NS1_11comp_targetILNS1_3genE8ELNS1_11target_archE1030ELNS1_3gpuE2ELNS1_3repE0EEENS1_38merge_mergepath_config_static_selectorELNS0_4arch9wavefront6targetE1EEEvSH_
    .private_segment_fixed_size: 0
    .sgpr_count:     4
    .sgpr_spill_count: 0
    .symbol:         _ZN7rocprim17ROCPRIM_400000_NS6detail17trampoline_kernelINS0_14default_configENS1_38merge_sort_block_merge_config_selectorIhlEEZZNS1_27merge_sort_block_merge_implIS3_PhN6thrust23THRUST_200600_302600_NS10device_ptrIlEEjNS1_19radix_merge_compareILb0ELb0EhNS0_19identity_decomposerEEEEE10hipError_tT0_T1_T2_jT3_P12ihipStream_tbPNSt15iterator_traitsISG_E10value_typeEPNSM_ISH_E10value_typeEPSI_NS1_7vsmem_tEENKUlT_SG_SH_SI_E_clIS7_S7_PlSB_EESF_SV_SG_SH_SI_EUlSV_E0_NS1_11comp_targetILNS1_3genE8ELNS1_11target_archE1030ELNS1_3gpuE2ELNS1_3repE0EEENS1_38merge_mergepath_config_static_selectorELNS0_4arch9wavefront6targetE1EEEvSH_.kd
    .uniform_work_group_size: 1
    .uses_dynamic_stack: false
    .vgpr_count:     0
    .vgpr_spill_count: 0
    .wavefront_size: 64
  - .agpr_count:     0
    .args:
      - .offset:         0
        .size:           48
        .value_kind:     by_value
    .group_segment_fixed_size: 0
    .kernarg_segment_align: 8
    .kernarg_segment_size: 48
    .language:       OpenCL C
    .language_version:
      - 2
      - 0
    .max_flat_workgroup_size: 256
    .name:           _ZN7rocprim17ROCPRIM_400000_NS6detail17trampoline_kernelINS0_14default_configENS1_38merge_sort_block_merge_config_selectorIhlEEZZNS1_27merge_sort_block_merge_implIS3_PhN6thrust23THRUST_200600_302600_NS10device_ptrIlEEjNS1_19radix_merge_compareILb0ELb0EhNS0_19identity_decomposerEEEEE10hipError_tT0_T1_T2_jT3_P12ihipStream_tbPNSt15iterator_traitsISG_E10value_typeEPNSM_ISH_E10value_typeEPSI_NS1_7vsmem_tEENKUlT_SG_SH_SI_E_clIS7_S7_PlSB_EESF_SV_SG_SH_SI_EUlSV_E1_NS1_11comp_targetILNS1_3genE0ELNS1_11target_archE4294967295ELNS1_3gpuE0ELNS1_3repE0EEENS1_36merge_oddeven_config_static_selectorELNS0_4arch9wavefront6targetE1EEEvSH_
    .private_segment_fixed_size: 0
    .sgpr_count:     4
    .sgpr_spill_count: 0
    .symbol:         _ZN7rocprim17ROCPRIM_400000_NS6detail17trampoline_kernelINS0_14default_configENS1_38merge_sort_block_merge_config_selectorIhlEEZZNS1_27merge_sort_block_merge_implIS3_PhN6thrust23THRUST_200600_302600_NS10device_ptrIlEEjNS1_19radix_merge_compareILb0ELb0EhNS0_19identity_decomposerEEEEE10hipError_tT0_T1_T2_jT3_P12ihipStream_tbPNSt15iterator_traitsISG_E10value_typeEPNSM_ISH_E10value_typeEPSI_NS1_7vsmem_tEENKUlT_SG_SH_SI_E_clIS7_S7_PlSB_EESF_SV_SG_SH_SI_EUlSV_E1_NS1_11comp_targetILNS1_3genE0ELNS1_11target_archE4294967295ELNS1_3gpuE0ELNS1_3repE0EEENS1_36merge_oddeven_config_static_selectorELNS0_4arch9wavefront6targetE1EEEvSH_.kd
    .uniform_work_group_size: 1
    .uses_dynamic_stack: false
    .vgpr_count:     0
    .vgpr_spill_count: 0
    .wavefront_size: 64
  - .agpr_count:     0
    .args:
      - .offset:         0
        .size:           48
        .value_kind:     by_value
    .group_segment_fixed_size: 0
    .kernarg_segment_align: 8
    .kernarg_segment_size: 48
    .language:       OpenCL C
    .language_version:
      - 2
      - 0
    .max_flat_workgroup_size: 256
    .name:           _ZN7rocprim17ROCPRIM_400000_NS6detail17trampoline_kernelINS0_14default_configENS1_38merge_sort_block_merge_config_selectorIhlEEZZNS1_27merge_sort_block_merge_implIS3_PhN6thrust23THRUST_200600_302600_NS10device_ptrIlEEjNS1_19radix_merge_compareILb0ELb0EhNS0_19identity_decomposerEEEEE10hipError_tT0_T1_T2_jT3_P12ihipStream_tbPNSt15iterator_traitsISG_E10value_typeEPNSM_ISH_E10value_typeEPSI_NS1_7vsmem_tEENKUlT_SG_SH_SI_E_clIS7_S7_PlSB_EESF_SV_SG_SH_SI_EUlSV_E1_NS1_11comp_targetILNS1_3genE10ELNS1_11target_archE1201ELNS1_3gpuE5ELNS1_3repE0EEENS1_36merge_oddeven_config_static_selectorELNS0_4arch9wavefront6targetE1EEEvSH_
    .private_segment_fixed_size: 0
    .sgpr_count:     4
    .sgpr_spill_count: 0
    .symbol:         _ZN7rocprim17ROCPRIM_400000_NS6detail17trampoline_kernelINS0_14default_configENS1_38merge_sort_block_merge_config_selectorIhlEEZZNS1_27merge_sort_block_merge_implIS3_PhN6thrust23THRUST_200600_302600_NS10device_ptrIlEEjNS1_19radix_merge_compareILb0ELb0EhNS0_19identity_decomposerEEEEE10hipError_tT0_T1_T2_jT3_P12ihipStream_tbPNSt15iterator_traitsISG_E10value_typeEPNSM_ISH_E10value_typeEPSI_NS1_7vsmem_tEENKUlT_SG_SH_SI_E_clIS7_S7_PlSB_EESF_SV_SG_SH_SI_EUlSV_E1_NS1_11comp_targetILNS1_3genE10ELNS1_11target_archE1201ELNS1_3gpuE5ELNS1_3repE0EEENS1_36merge_oddeven_config_static_selectorELNS0_4arch9wavefront6targetE1EEEvSH_.kd
    .uniform_work_group_size: 1
    .uses_dynamic_stack: false
    .vgpr_count:     0
    .vgpr_spill_count: 0
    .wavefront_size: 64
  - .agpr_count:     0
    .args:
      - .offset:         0
        .size:           48
        .value_kind:     by_value
    .group_segment_fixed_size: 0
    .kernarg_segment_align: 8
    .kernarg_segment_size: 48
    .language:       OpenCL C
    .language_version:
      - 2
      - 0
    .max_flat_workgroup_size: 256
    .name:           _ZN7rocprim17ROCPRIM_400000_NS6detail17trampoline_kernelINS0_14default_configENS1_38merge_sort_block_merge_config_selectorIhlEEZZNS1_27merge_sort_block_merge_implIS3_PhN6thrust23THRUST_200600_302600_NS10device_ptrIlEEjNS1_19radix_merge_compareILb0ELb0EhNS0_19identity_decomposerEEEEE10hipError_tT0_T1_T2_jT3_P12ihipStream_tbPNSt15iterator_traitsISG_E10value_typeEPNSM_ISH_E10value_typeEPSI_NS1_7vsmem_tEENKUlT_SG_SH_SI_E_clIS7_S7_PlSB_EESF_SV_SG_SH_SI_EUlSV_E1_NS1_11comp_targetILNS1_3genE5ELNS1_11target_archE942ELNS1_3gpuE9ELNS1_3repE0EEENS1_36merge_oddeven_config_static_selectorELNS0_4arch9wavefront6targetE1EEEvSH_
    .private_segment_fixed_size: 0
    .sgpr_count:     4
    .sgpr_spill_count: 0
    .symbol:         _ZN7rocprim17ROCPRIM_400000_NS6detail17trampoline_kernelINS0_14default_configENS1_38merge_sort_block_merge_config_selectorIhlEEZZNS1_27merge_sort_block_merge_implIS3_PhN6thrust23THRUST_200600_302600_NS10device_ptrIlEEjNS1_19radix_merge_compareILb0ELb0EhNS0_19identity_decomposerEEEEE10hipError_tT0_T1_T2_jT3_P12ihipStream_tbPNSt15iterator_traitsISG_E10value_typeEPNSM_ISH_E10value_typeEPSI_NS1_7vsmem_tEENKUlT_SG_SH_SI_E_clIS7_S7_PlSB_EESF_SV_SG_SH_SI_EUlSV_E1_NS1_11comp_targetILNS1_3genE5ELNS1_11target_archE942ELNS1_3gpuE9ELNS1_3repE0EEENS1_36merge_oddeven_config_static_selectorELNS0_4arch9wavefront6targetE1EEEvSH_.kd
    .uniform_work_group_size: 1
    .uses_dynamic_stack: false
    .vgpr_count:     0
    .vgpr_spill_count: 0
    .wavefront_size: 64
  - .agpr_count:     0
    .args:
      - .offset:         0
        .size:           48
        .value_kind:     by_value
    .group_segment_fixed_size: 0
    .kernarg_segment_align: 8
    .kernarg_segment_size: 48
    .language:       OpenCL C
    .language_version:
      - 2
      - 0
    .max_flat_workgroup_size: 256
    .name:           _ZN7rocprim17ROCPRIM_400000_NS6detail17trampoline_kernelINS0_14default_configENS1_38merge_sort_block_merge_config_selectorIhlEEZZNS1_27merge_sort_block_merge_implIS3_PhN6thrust23THRUST_200600_302600_NS10device_ptrIlEEjNS1_19radix_merge_compareILb0ELb0EhNS0_19identity_decomposerEEEEE10hipError_tT0_T1_T2_jT3_P12ihipStream_tbPNSt15iterator_traitsISG_E10value_typeEPNSM_ISH_E10value_typeEPSI_NS1_7vsmem_tEENKUlT_SG_SH_SI_E_clIS7_S7_PlSB_EESF_SV_SG_SH_SI_EUlSV_E1_NS1_11comp_targetILNS1_3genE4ELNS1_11target_archE910ELNS1_3gpuE8ELNS1_3repE0EEENS1_36merge_oddeven_config_static_selectorELNS0_4arch9wavefront6targetE1EEEvSH_
    .private_segment_fixed_size: 0
    .sgpr_count:     28
    .sgpr_spill_count: 0
    .symbol:         _ZN7rocprim17ROCPRIM_400000_NS6detail17trampoline_kernelINS0_14default_configENS1_38merge_sort_block_merge_config_selectorIhlEEZZNS1_27merge_sort_block_merge_implIS3_PhN6thrust23THRUST_200600_302600_NS10device_ptrIlEEjNS1_19radix_merge_compareILb0ELb0EhNS0_19identity_decomposerEEEEE10hipError_tT0_T1_T2_jT3_P12ihipStream_tbPNSt15iterator_traitsISG_E10value_typeEPNSM_ISH_E10value_typeEPSI_NS1_7vsmem_tEENKUlT_SG_SH_SI_E_clIS7_S7_PlSB_EESF_SV_SG_SH_SI_EUlSV_E1_NS1_11comp_targetILNS1_3genE4ELNS1_11target_archE910ELNS1_3gpuE8ELNS1_3repE0EEENS1_36merge_oddeven_config_static_selectorELNS0_4arch9wavefront6targetE1EEEvSH_.kd
    .uniform_work_group_size: 1
    .uses_dynamic_stack: false
    .vgpr_count:     10
    .vgpr_spill_count: 0
    .wavefront_size: 64
  - .agpr_count:     0
    .args:
      - .offset:         0
        .size:           48
        .value_kind:     by_value
    .group_segment_fixed_size: 0
    .kernarg_segment_align: 8
    .kernarg_segment_size: 48
    .language:       OpenCL C
    .language_version:
      - 2
      - 0
    .max_flat_workgroup_size: 256
    .name:           _ZN7rocprim17ROCPRIM_400000_NS6detail17trampoline_kernelINS0_14default_configENS1_38merge_sort_block_merge_config_selectorIhlEEZZNS1_27merge_sort_block_merge_implIS3_PhN6thrust23THRUST_200600_302600_NS10device_ptrIlEEjNS1_19radix_merge_compareILb0ELb0EhNS0_19identity_decomposerEEEEE10hipError_tT0_T1_T2_jT3_P12ihipStream_tbPNSt15iterator_traitsISG_E10value_typeEPNSM_ISH_E10value_typeEPSI_NS1_7vsmem_tEENKUlT_SG_SH_SI_E_clIS7_S7_PlSB_EESF_SV_SG_SH_SI_EUlSV_E1_NS1_11comp_targetILNS1_3genE3ELNS1_11target_archE908ELNS1_3gpuE7ELNS1_3repE0EEENS1_36merge_oddeven_config_static_selectorELNS0_4arch9wavefront6targetE1EEEvSH_
    .private_segment_fixed_size: 0
    .sgpr_count:     4
    .sgpr_spill_count: 0
    .symbol:         _ZN7rocprim17ROCPRIM_400000_NS6detail17trampoline_kernelINS0_14default_configENS1_38merge_sort_block_merge_config_selectorIhlEEZZNS1_27merge_sort_block_merge_implIS3_PhN6thrust23THRUST_200600_302600_NS10device_ptrIlEEjNS1_19radix_merge_compareILb0ELb0EhNS0_19identity_decomposerEEEEE10hipError_tT0_T1_T2_jT3_P12ihipStream_tbPNSt15iterator_traitsISG_E10value_typeEPNSM_ISH_E10value_typeEPSI_NS1_7vsmem_tEENKUlT_SG_SH_SI_E_clIS7_S7_PlSB_EESF_SV_SG_SH_SI_EUlSV_E1_NS1_11comp_targetILNS1_3genE3ELNS1_11target_archE908ELNS1_3gpuE7ELNS1_3repE0EEENS1_36merge_oddeven_config_static_selectorELNS0_4arch9wavefront6targetE1EEEvSH_.kd
    .uniform_work_group_size: 1
    .uses_dynamic_stack: false
    .vgpr_count:     0
    .vgpr_spill_count: 0
    .wavefront_size: 64
  - .agpr_count:     0
    .args:
      - .offset:         0
        .size:           48
        .value_kind:     by_value
    .group_segment_fixed_size: 0
    .kernarg_segment_align: 8
    .kernarg_segment_size: 48
    .language:       OpenCL C
    .language_version:
      - 2
      - 0
    .max_flat_workgroup_size: 256
    .name:           _ZN7rocprim17ROCPRIM_400000_NS6detail17trampoline_kernelINS0_14default_configENS1_38merge_sort_block_merge_config_selectorIhlEEZZNS1_27merge_sort_block_merge_implIS3_PhN6thrust23THRUST_200600_302600_NS10device_ptrIlEEjNS1_19radix_merge_compareILb0ELb0EhNS0_19identity_decomposerEEEEE10hipError_tT0_T1_T2_jT3_P12ihipStream_tbPNSt15iterator_traitsISG_E10value_typeEPNSM_ISH_E10value_typeEPSI_NS1_7vsmem_tEENKUlT_SG_SH_SI_E_clIS7_S7_PlSB_EESF_SV_SG_SH_SI_EUlSV_E1_NS1_11comp_targetILNS1_3genE2ELNS1_11target_archE906ELNS1_3gpuE6ELNS1_3repE0EEENS1_36merge_oddeven_config_static_selectorELNS0_4arch9wavefront6targetE1EEEvSH_
    .private_segment_fixed_size: 0
    .sgpr_count:     4
    .sgpr_spill_count: 0
    .symbol:         _ZN7rocprim17ROCPRIM_400000_NS6detail17trampoline_kernelINS0_14default_configENS1_38merge_sort_block_merge_config_selectorIhlEEZZNS1_27merge_sort_block_merge_implIS3_PhN6thrust23THRUST_200600_302600_NS10device_ptrIlEEjNS1_19radix_merge_compareILb0ELb0EhNS0_19identity_decomposerEEEEE10hipError_tT0_T1_T2_jT3_P12ihipStream_tbPNSt15iterator_traitsISG_E10value_typeEPNSM_ISH_E10value_typeEPSI_NS1_7vsmem_tEENKUlT_SG_SH_SI_E_clIS7_S7_PlSB_EESF_SV_SG_SH_SI_EUlSV_E1_NS1_11comp_targetILNS1_3genE2ELNS1_11target_archE906ELNS1_3gpuE6ELNS1_3repE0EEENS1_36merge_oddeven_config_static_selectorELNS0_4arch9wavefront6targetE1EEEvSH_.kd
    .uniform_work_group_size: 1
    .uses_dynamic_stack: false
    .vgpr_count:     0
    .vgpr_spill_count: 0
    .wavefront_size: 64
  - .agpr_count:     0
    .args:
      - .offset:         0
        .size:           48
        .value_kind:     by_value
    .group_segment_fixed_size: 0
    .kernarg_segment_align: 8
    .kernarg_segment_size: 48
    .language:       OpenCL C
    .language_version:
      - 2
      - 0
    .max_flat_workgroup_size: 256
    .name:           _ZN7rocprim17ROCPRIM_400000_NS6detail17trampoline_kernelINS0_14default_configENS1_38merge_sort_block_merge_config_selectorIhlEEZZNS1_27merge_sort_block_merge_implIS3_PhN6thrust23THRUST_200600_302600_NS10device_ptrIlEEjNS1_19radix_merge_compareILb0ELb0EhNS0_19identity_decomposerEEEEE10hipError_tT0_T1_T2_jT3_P12ihipStream_tbPNSt15iterator_traitsISG_E10value_typeEPNSM_ISH_E10value_typeEPSI_NS1_7vsmem_tEENKUlT_SG_SH_SI_E_clIS7_S7_PlSB_EESF_SV_SG_SH_SI_EUlSV_E1_NS1_11comp_targetILNS1_3genE9ELNS1_11target_archE1100ELNS1_3gpuE3ELNS1_3repE0EEENS1_36merge_oddeven_config_static_selectorELNS0_4arch9wavefront6targetE1EEEvSH_
    .private_segment_fixed_size: 0
    .sgpr_count:     4
    .sgpr_spill_count: 0
    .symbol:         _ZN7rocprim17ROCPRIM_400000_NS6detail17trampoline_kernelINS0_14default_configENS1_38merge_sort_block_merge_config_selectorIhlEEZZNS1_27merge_sort_block_merge_implIS3_PhN6thrust23THRUST_200600_302600_NS10device_ptrIlEEjNS1_19radix_merge_compareILb0ELb0EhNS0_19identity_decomposerEEEEE10hipError_tT0_T1_T2_jT3_P12ihipStream_tbPNSt15iterator_traitsISG_E10value_typeEPNSM_ISH_E10value_typeEPSI_NS1_7vsmem_tEENKUlT_SG_SH_SI_E_clIS7_S7_PlSB_EESF_SV_SG_SH_SI_EUlSV_E1_NS1_11comp_targetILNS1_3genE9ELNS1_11target_archE1100ELNS1_3gpuE3ELNS1_3repE0EEENS1_36merge_oddeven_config_static_selectorELNS0_4arch9wavefront6targetE1EEEvSH_.kd
    .uniform_work_group_size: 1
    .uses_dynamic_stack: false
    .vgpr_count:     0
    .vgpr_spill_count: 0
    .wavefront_size: 64
  - .agpr_count:     0
    .args:
      - .offset:         0
        .size:           48
        .value_kind:     by_value
    .group_segment_fixed_size: 0
    .kernarg_segment_align: 8
    .kernarg_segment_size: 48
    .language:       OpenCL C
    .language_version:
      - 2
      - 0
    .max_flat_workgroup_size: 256
    .name:           _ZN7rocprim17ROCPRIM_400000_NS6detail17trampoline_kernelINS0_14default_configENS1_38merge_sort_block_merge_config_selectorIhlEEZZNS1_27merge_sort_block_merge_implIS3_PhN6thrust23THRUST_200600_302600_NS10device_ptrIlEEjNS1_19radix_merge_compareILb0ELb0EhNS0_19identity_decomposerEEEEE10hipError_tT0_T1_T2_jT3_P12ihipStream_tbPNSt15iterator_traitsISG_E10value_typeEPNSM_ISH_E10value_typeEPSI_NS1_7vsmem_tEENKUlT_SG_SH_SI_E_clIS7_S7_PlSB_EESF_SV_SG_SH_SI_EUlSV_E1_NS1_11comp_targetILNS1_3genE8ELNS1_11target_archE1030ELNS1_3gpuE2ELNS1_3repE0EEENS1_36merge_oddeven_config_static_selectorELNS0_4arch9wavefront6targetE1EEEvSH_
    .private_segment_fixed_size: 0
    .sgpr_count:     4
    .sgpr_spill_count: 0
    .symbol:         _ZN7rocprim17ROCPRIM_400000_NS6detail17trampoline_kernelINS0_14default_configENS1_38merge_sort_block_merge_config_selectorIhlEEZZNS1_27merge_sort_block_merge_implIS3_PhN6thrust23THRUST_200600_302600_NS10device_ptrIlEEjNS1_19radix_merge_compareILb0ELb0EhNS0_19identity_decomposerEEEEE10hipError_tT0_T1_T2_jT3_P12ihipStream_tbPNSt15iterator_traitsISG_E10value_typeEPNSM_ISH_E10value_typeEPSI_NS1_7vsmem_tEENKUlT_SG_SH_SI_E_clIS7_S7_PlSB_EESF_SV_SG_SH_SI_EUlSV_E1_NS1_11comp_targetILNS1_3genE8ELNS1_11target_archE1030ELNS1_3gpuE2ELNS1_3repE0EEENS1_36merge_oddeven_config_static_selectorELNS0_4arch9wavefront6targetE1EEEvSH_.kd
    .uniform_work_group_size: 1
    .uses_dynamic_stack: false
    .vgpr_count:     0
    .vgpr_spill_count: 0
    .wavefront_size: 64
  - .agpr_count:     0
    .args:
      - .offset:         0
        .size:           40
        .value_kind:     by_value
    .group_segment_fixed_size: 0
    .kernarg_segment_align: 8
    .kernarg_segment_size: 40
    .language:       OpenCL C
    .language_version:
      - 2
      - 0
    .max_flat_workgroup_size: 128
    .name:           _ZN7rocprim17ROCPRIM_400000_NS6detail17trampoline_kernelINS0_14default_configENS1_38merge_sort_block_merge_config_selectorIhlEEZZNS1_27merge_sort_block_merge_implIS3_PhN6thrust23THRUST_200600_302600_NS10device_ptrIlEEjNS1_19radix_merge_compareILb0ELb0EhNS0_19identity_decomposerEEEEE10hipError_tT0_T1_T2_jT3_P12ihipStream_tbPNSt15iterator_traitsISG_E10value_typeEPNSM_ISH_E10value_typeEPSI_NS1_7vsmem_tEENKUlT_SG_SH_SI_E_clIS7_S7_SB_PlEESF_SV_SG_SH_SI_EUlSV_E_NS1_11comp_targetILNS1_3genE0ELNS1_11target_archE4294967295ELNS1_3gpuE0ELNS1_3repE0EEENS1_48merge_mergepath_partition_config_static_selectorELNS0_4arch9wavefront6targetE1EEEvSH_
    .private_segment_fixed_size: 0
    .sgpr_count:     4
    .sgpr_spill_count: 0
    .symbol:         _ZN7rocprim17ROCPRIM_400000_NS6detail17trampoline_kernelINS0_14default_configENS1_38merge_sort_block_merge_config_selectorIhlEEZZNS1_27merge_sort_block_merge_implIS3_PhN6thrust23THRUST_200600_302600_NS10device_ptrIlEEjNS1_19radix_merge_compareILb0ELb0EhNS0_19identity_decomposerEEEEE10hipError_tT0_T1_T2_jT3_P12ihipStream_tbPNSt15iterator_traitsISG_E10value_typeEPNSM_ISH_E10value_typeEPSI_NS1_7vsmem_tEENKUlT_SG_SH_SI_E_clIS7_S7_SB_PlEESF_SV_SG_SH_SI_EUlSV_E_NS1_11comp_targetILNS1_3genE0ELNS1_11target_archE4294967295ELNS1_3gpuE0ELNS1_3repE0EEENS1_48merge_mergepath_partition_config_static_selectorELNS0_4arch9wavefront6targetE1EEEvSH_.kd
    .uniform_work_group_size: 1
    .uses_dynamic_stack: false
    .vgpr_count:     0
    .vgpr_spill_count: 0
    .wavefront_size: 64
  - .agpr_count:     0
    .args:
      - .offset:         0
        .size:           40
        .value_kind:     by_value
    .group_segment_fixed_size: 0
    .kernarg_segment_align: 8
    .kernarg_segment_size: 40
    .language:       OpenCL C
    .language_version:
      - 2
      - 0
    .max_flat_workgroup_size: 128
    .name:           _ZN7rocprim17ROCPRIM_400000_NS6detail17trampoline_kernelINS0_14default_configENS1_38merge_sort_block_merge_config_selectorIhlEEZZNS1_27merge_sort_block_merge_implIS3_PhN6thrust23THRUST_200600_302600_NS10device_ptrIlEEjNS1_19radix_merge_compareILb0ELb0EhNS0_19identity_decomposerEEEEE10hipError_tT0_T1_T2_jT3_P12ihipStream_tbPNSt15iterator_traitsISG_E10value_typeEPNSM_ISH_E10value_typeEPSI_NS1_7vsmem_tEENKUlT_SG_SH_SI_E_clIS7_S7_SB_PlEESF_SV_SG_SH_SI_EUlSV_E_NS1_11comp_targetILNS1_3genE10ELNS1_11target_archE1201ELNS1_3gpuE5ELNS1_3repE0EEENS1_48merge_mergepath_partition_config_static_selectorELNS0_4arch9wavefront6targetE1EEEvSH_
    .private_segment_fixed_size: 0
    .sgpr_count:     4
    .sgpr_spill_count: 0
    .symbol:         _ZN7rocprim17ROCPRIM_400000_NS6detail17trampoline_kernelINS0_14default_configENS1_38merge_sort_block_merge_config_selectorIhlEEZZNS1_27merge_sort_block_merge_implIS3_PhN6thrust23THRUST_200600_302600_NS10device_ptrIlEEjNS1_19radix_merge_compareILb0ELb0EhNS0_19identity_decomposerEEEEE10hipError_tT0_T1_T2_jT3_P12ihipStream_tbPNSt15iterator_traitsISG_E10value_typeEPNSM_ISH_E10value_typeEPSI_NS1_7vsmem_tEENKUlT_SG_SH_SI_E_clIS7_S7_SB_PlEESF_SV_SG_SH_SI_EUlSV_E_NS1_11comp_targetILNS1_3genE10ELNS1_11target_archE1201ELNS1_3gpuE5ELNS1_3repE0EEENS1_48merge_mergepath_partition_config_static_selectorELNS0_4arch9wavefront6targetE1EEEvSH_.kd
    .uniform_work_group_size: 1
    .uses_dynamic_stack: false
    .vgpr_count:     0
    .vgpr_spill_count: 0
    .wavefront_size: 64
  - .agpr_count:     0
    .args:
      - .offset:         0
        .size:           40
        .value_kind:     by_value
    .group_segment_fixed_size: 0
    .kernarg_segment_align: 8
    .kernarg_segment_size: 40
    .language:       OpenCL C
    .language_version:
      - 2
      - 0
    .max_flat_workgroup_size: 128
    .name:           _ZN7rocprim17ROCPRIM_400000_NS6detail17trampoline_kernelINS0_14default_configENS1_38merge_sort_block_merge_config_selectorIhlEEZZNS1_27merge_sort_block_merge_implIS3_PhN6thrust23THRUST_200600_302600_NS10device_ptrIlEEjNS1_19radix_merge_compareILb0ELb0EhNS0_19identity_decomposerEEEEE10hipError_tT0_T1_T2_jT3_P12ihipStream_tbPNSt15iterator_traitsISG_E10value_typeEPNSM_ISH_E10value_typeEPSI_NS1_7vsmem_tEENKUlT_SG_SH_SI_E_clIS7_S7_SB_PlEESF_SV_SG_SH_SI_EUlSV_E_NS1_11comp_targetILNS1_3genE5ELNS1_11target_archE942ELNS1_3gpuE9ELNS1_3repE0EEENS1_48merge_mergepath_partition_config_static_selectorELNS0_4arch9wavefront6targetE1EEEvSH_
    .private_segment_fixed_size: 0
    .sgpr_count:     4
    .sgpr_spill_count: 0
    .symbol:         _ZN7rocprim17ROCPRIM_400000_NS6detail17trampoline_kernelINS0_14default_configENS1_38merge_sort_block_merge_config_selectorIhlEEZZNS1_27merge_sort_block_merge_implIS3_PhN6thrust23THRUST_200600_302600_NS10device_ptrIlEEjNS1_19radix_merge_compareILb0ELb0EhNS0_19identity_decomposerEEEEE10hipError_tT0_T1_T2_jT3_P12ihipStream_tbPNSt15iterator_traitsISG_E10value_typeEPNSM_ISH_E10value_typeEPSI_NS1_7vsmem_tEENKUlT_SG_SH_SI_E_clIS7_S7_SB_PlEESF_SV_SG_SH_SI_EUlSV_E_NS1_11comp_targetILNS1_3genE5ELNS1_11target_archE942ELNS1_3gpuE9ELNS1_3repE0EEENS1_48merge_mergepath_partition_config_static_selectorELNS0_4arch9wavefront6targetE1EEEvSH_.kd
    .uniform_work_group_size: 1
    .uses_dynamic_stack: false
    .vgpr_count:     0
    .vgpr_spill_count: 0
    .wavefront_size: 64
  - .agpr_count:     0
    .args:
      - .offset:         0
        .size:           40
        .value_kind:     by_value
    .group_segment_fixed_size: 0
    .kernarg_segment_align: 8
    .kernarg_segment_size: 40
    .language:       OpenCL C
    .language_version:
      - 2
      - 0
    .max_flat_workgroup_size: 128
    .name:           _ZN7rocprim17ROCPRIM_400000_NS6detail17trampoline_kernelINS0_14default_configENS1_38merge_sort_block_merge_config_selectorIhlEEZZNS1_27merge_sort_block_merge_implIS3_PhN6thrust23THRUST_200600_302600_NS10device_ptrIlEEjNS1_19radix_merge_compareILb0ELb0EhNS0_19identity_decomposerEEEEE10hipError_tT0_T1_T2_jT3_P12ihipStream_tbPNSt15iterator_traitsISG_E10value_typeEPNSM_ISH_E10value_typeEPSI_NS1_7vsmem_tEENKUlT_SG_SH_SI_E_clIS7_S7_SB_PlEESF_SV_SG_SH_SI_EUlSV_E_NS1_11comp_targetILNS1_3genE4ELNS1_11target_archE910ELNS1_3gpuE8ELNS1_3repE0EEENS1_48merge_mergepath_partition_config_static_selectorELNS0_4arch9wavefront6targetE1EEEvSH_
    .private_segment_fixed_size: 0
    .sgpr_count:     12
    .sgpr_spill_count: 0
    .symbol:         _ZN7rocprim17ROCPRIM_400000_NS6detail17trampoline_kernelINS0_14default_configENS1_38merge_sort_block_merge_config_selectorIhlEEZZNS1_27merge_sort_block_merge_implIS3_PhN6thrust23THRUST_200600_302600_NS10device_ptrIlEEjNS1_19radix_merge_compareILb0ELb0EhNS0_19identity_decomposerEEEEE10hipError_tT0_T1_T2_jT3_P12ihipStream_tbPNSt15iterator_traitsISG_E10value_typeEPNSM_ISH_E10value_typeEPSI_NS1_7vsmem_tEENKUlT_SG_SH_SI_E_clIS7_S7_SB_PlEESF_SV_SG_SH_SI_EUlSV_E_NS1_11comp_targetILNS1_3genE4ELNS1_11target_archE910ELNS1_3gpuE8ELNS1_3repE0EEENS1_48merge_mergepath_partition_config_static_selectorELNS0_4arch9wavefront6targetE1EEEvSH_.kd
    .uniform_work_group_size: 1
    .uses_dynamic_stack: false
    .vgpr_count:     16
    .vgpr_spill_count: 0
    .wavefront_size: 64
  - .agpr_count:     0
    .args:
      - .offset:         0
        .size:           40
        .value_kind:     by_value
    .group_segment_fixed_size: 0
    .kernarg_segment_align: 8
    .kernarg_segment_size: 40
    .language:       OpenCL C
    .language_version:
      - 2
      - 0
    .max_flat_workgroup_size: 128
    .name:           _ZN7rocprim17ROCPRIM_400000_NS6detail17trampoline_kernelINS0_14default_configENS1_38merge_sort_block_merge_config_selectorIhlEEZZNS1_27merge_sort_block_merge_implIS3_PhN6thrust23THRUST_200600_302600_NS10device_ptrIlEEjNS1_19radix_merge_compareILb0ELb0EhNS0_19identity_decomposerEEEEE10hipError_tT0_T1_T2_jT3_P12ihipStream_tbPNSt15iterator_traitsISG_E10value_typeEPNSM_ISH_E10value_typeEPSI_NS1_7vsmem_tEENKUlT_SG_SH_SI_E_clIS7_S7_SB_PlEESF_SV_SG_SH_SI_EUlSV_E_NS1_11comp_targetILNS1_3genE3ELNS1_11target_archE908ELNS1_3gpuE7ELNS1_3repE0EEENS1_48merge_mergepath_partition_config_static_selectorELNS0_4arch9wavefront6targetE1EEEvSH_
    .private_segment_fixed_size: 0
    .sgpr_count:     4
    .sgpr_spill_count: 0
    .symbol:         _ZN7rocprim17ROCPRIM_400000_NS6detail17trampoline_kernelINS0_14default_configENS1_38merge_sort_block_merge_config_selectorIhlEEZZNS1_27merge_sort_block_merge_implIS3_PhN6thrust23THRUST_200600_302600_NS10device_ptrIlEEjNS1_19radix_merge_compareILb0ELb0EhNS0_19identity_decomposerEEEEE10hipError_tT0_T1_T2_jT3_P12ihipStream_tbPNSt15iterator_traitsISG_E10value_typeEPNSM_ISH_E10value_typeEPSI_NS1_7vsmem_tEENKUlT_SG_SH_SI_E_clIS7_S7_SB_PlEESF_SV_SG_SH_SI_EUlSV_E_NS1_11comp_targetILNS1_3genE3ELNS1_11target_archE908ELNS1_3gpuE7ELNS1_3repE0EEENS1_48merge_mergepath_partition_config_static_selectorELNS0_4arch9wavefront6targetE1EEEvSH_.kd
    .uniform_work_group_size: 1
    .uses_dynamic_stack: false
    .vgpr_count:     0
    .vgpr_spill_count: 0
    .wavefront_size: 64
  - .agpr_count:     0
    .args:
      - .offset:         0
        .size:           40
        .value_kind:     by_value
    .group_segment_fixed_size: 0
    .kernarg_segment_align: 8
    .kernarg_segment_size: 40
    .language:       OpenCL C
    .language_version:
      - 2
      - 0
    .max_flat_workgroup_size: 128
    .name:           _ZN7rocprim17ROCPRIM_400000_NS6detail17trampoline_kernelINS0_14default_configENS1_38merge_sort_block_merge_config_selectorIhlEEZZNS1_27merge_sort_block_merge_implIS3_PhN6thrust23THRUST_200600_302600_NS10device_ptrIlEEjNS1_19radix_merge_compareILb0ELb0EhNS0_19identity_decomposerEEEEE10hipError_tT0_T1_T2_jT3_P12ihipStream_tbPNSt15iterator_traitsISG_E10value_typeEPNSM_ISH_E10value_typeEPSI_NS1_7vsmem_tEENKUlT_SG_SH_SI_E_clIS7_S7_SB_PlEESF_SV_SG_SH_SI_EUlSV_E_NS1_11comp_targetILNS1_3genE2ELNS1_11target_archE906ELNS1_3gpuE6ELNS1_3repE0EEENS1_48merge_mergepath_partition_config_static_selectorELNS0_4arch9wavefront6targetE1EEEvSH_
    .private_segment_fixed_size: 0
    .sgpr_count:     4
    .sgpr_spill_count: 0
    .symbol:         _ZN7rocprim17ROCPRIM_400000_NS6detail17trampoline_kernelINS0_14default_configENS1_38merge_sort_block_merge_config_selectorIhlEEZZNS1_27merge_sort_block_merge_implIS3_PhN6thrust23THRUST_200600_302600_NS10device_ptrIlEEjNS1_19radix_merge_compareILb0ELb0EhNS0_19identity_decomposerEEEEE10hipError_tT0_T1_T2_jT3_P12ihipStream_tbPNSt15iterator_traitsISG_E10value_typeEPNSM_ISH_E10value_typeEPSI_NS1_7vsmem_tEENKUlT_SG_SH_SI_E_clIS7_S7_SB_PlEESF_SV_SG_SH_SI_EUlSV_E_NS1_11comp_targetILNS1_3genE2ELNS1_11target_archE906ELNS1_3gpuE6ELNS1_3repE0EEENS1_48merge_mergepath_partition_config_static_selectorELNS0_4arch9wavefront6targetE1EEEvSH_.kd
    .uniform_work_group_size: 1
    .uses_dynamic_stack: false
    .vgpr_count:     0
    .vgpr_spill_count: 0
    .wavefront_size: 64
  - .agpr_count:     0
    .args:
      - .offset:         0
        .size:           40
        .value_kind:     by_value
    .group_segment_fixed_size: 0
    .kernarg_segment_align: 8
    .kernarg_segment_size: 40
    .language:       OpenCL C
    .language_version:
      - 2
      - 0
    .max_flat_workgroup_size: 128
    .name:           _ZN7rocprim17ROCPRIM_400000_NS6detail17trampoline_kernelINS0_14default_configENS1_38merge_sort_block_merge_config_selectorIhlEEZZNS1_27merge_sort_block_merge_implIS3_PhN6thrust23THRUST_200600_302600_NS10device_ptrIlEEjNS1_19radix_merge_compareILb0ELb0EhNS0_19identity_decomposerEEEEE10hipError_tT0_T1_T2_jT3_P12ihipStream_tbPNSt15iterator_traitsISG_E10value_typeEPNSM_ISH_E10value_typeEPSI_NS1_7vsmem_tEENKUlT_SG_SH_SI_E_clIS7_S7_SB_PlEESF_SV_SG_SH_SI_EUlSV_E_NS1_11comp_targetILNS1_3genE9ELNS1_11target_archE1100ELNS1_3gpuE3ELNS1_3repE0EEENS1_48merge_mergepath_partition_config_static_selectorELNS0_4arch9wavefront6targetE1EEEvSH_
    .private_segment_fixed_size: 0
    .sgpr_count:     4
    .sgpr_spill_count: 0
    .symbol:         _ZN7rocprim17ROCPRIM_400000_NS6detail17trampoline_kernelINS0_14default_configENS1_38merge_sort_block_merge_config_selectorIhlEEZZNS1_27merge_sort_block_merge_implIS3_PhN6thrust23THRUST_200600_302600_NS10device_ptrIlEEjNS1_19radix_merge_compareILb0ELb0EhNS0_19identity_decomposerEEEEE10hipError_tT0_T1_T2_jT3_P12ihipStream_tbPNSt15iterator_traitsISG_E10value_typeEPNSM_ISH_E10value_typeEPSI_NS1_7vsmem_tEENKUlT_SG_SH_SI_E_clIS7_S7_SB_PlEESF_SV_SG_SH_SI_EUlSV_E_NS1_11comp_targetILNS1_3genE9ELNS1_11target_archE1100ELNS1_3gpuE3ELNS1_3repE0EEENS1_48merge_mergepath_partition_config_static_selectorELNS0_4arch9wavefront6targetE1EEEvSH_.kd
    .uniform_work_group_size: 1
    .uses_dynamic_stack: false
    .vgpr_count:     0
    .vgpr_spill_count: 0
    .wavefront_size: 64
  - .agpr_count:     0
    .args:
      - .offset:         0
        .size:           40
        .value_kind:     by_value
    .group_segment_fixed_size: 0
    .kernarg_segment_align: 8
    .kernarg_segment_size: 40
    .language:       OpenCL C
    .language_version:
      - 2
      - 0
    .max_flat_workgroup_size: 128
    .name:           _ZN7rocprim17ROCPRIM_400000_NS6detail17trampoline_kernelINS0_14default_configENS1_38merge_sort_block_merge_config_selectorIhlEEZZNS1_27merge_sort_block_merge_implIS3_PhN6thrust23THRUST_200600_302600_NS10device_ptrIlEEjNS1_19radix_merge_compareILb0ELb0EhNS0_19identity_decomposerEEEEE10hipError_tT0_T1_T2_jT3_P12ihipStream_tbPNSt15iterator_traitsISG_E10value_typeEPNSM_ISH_E10value_typeEPSI_NS1_7vsmem_tEENKUlT_SG_SH_SI_E_clIS7_S7_SB_PlEESF_SV_SG_SH_SI_EUlSV_E_NS1_11comp_targetILNS1_3genE8ELNS1_11target_archE1030ELNS1_3gpuE2ELNS1_3repE0EEENS1_48merge_mergepath_partition_config_static_selectorELNS0_4arch9wavefront6targetE1EEEvSH_
    .private_segment_fixed_size: 0
    .sgpr_count:     4
    .sgpr_spill_count: 0
    .symbol:         _ZN7rocprim17ROCPRIM_400000_NS6detail17trampoline_kernelINS0_14default_configENS1_38merge_sort_block_merge_config_selectorIhlEEZZNS1_27merge_sort_block_merge_implIS3_PhN6thrust23THRUST_200600_302600_NS10device_ptrIlEEjNS1_19radix_merge_compareILb0ELb0EhNS0_19identity_decomposerEEEEE10hipError_tT0_T1_T2_jT3_P12ihipStream_tbPNSt15iterator_traitsISG_E10value_typeEPNSM_ISH_E10value_typeEPSI_NS1_7vsmem_tEENKUlT_SG_SH_SI_E_clIS7_S7_SB_PlEESF_SV_SG_SH_SI_EUlSV_E_NS1_11comp_targetILNS1_3genE8ELNS1_11target_archE1030ELNS1_3gpuE2ELNS1_3repE0EEENS1_48merge_mergepath_partition_config_static_selectorELNS0_4arch9wavefront6targetE1EEEvSH_.kd
    .uniform_work_group_size: 1
    .uses_dynamic_stack: false
    .vgpr_count:     0
    .vgpr_spill_count: 0
    .wavefront_size: 64
  - .agpr_count:     0
    .args:
      - .offset:         0
        .size:           64
        .value_kind:     by_value
    .group_segment_fixed_size: 0
    .kernarg_segment_align: 8
    .kernarg_segment_size: 64
    .language:       OpenCL C
    .language_version:
      - 2
      - 0
    .max_flat_workgroup_size: 512
    .name:           _ZN7rocprim17ROCPRIM_400000_NS6detail17trampoline_kernelINS0_14default_configENS1_38merge_sort_block_merge_config_selectorIhlEEZZNS1_27merge_sort_block_merge_implIS3_PhN6thrust23THRUST_200600_302600_NS10device_ptrIlEEjNS1_19radix_merge_compareILb0ELb0EhNS0_19identity_decomposerEEEEE10hipError_tT0_T1_T2_jT3_P12ihipStream_tbPNSt15iterator_traitsISG_E10value_typeEPNSM_ISH_E10value_typeEPSI_NS1_7vsmem_tEENKUlT_SG_SH_SI_E_clIS7_S7_SB_PlEESF_SV_SG_SH_SI_EUlSV_E0_NS1_11comp_targetILNS1_3genE0ELNS1_11target_archE4294967295ELNS1_3gpuE0ELNS1_3repE0EEENS1_38merge_mergepath_config_static_selectorELNS0_4arch9wavefront6targetE1EEEvSH_
    .private_segment_fixed_size: 0
    .sgpr_count:     4
    .sgpr_spill_count: 0
    .symbol:         _ZN7rocprim17ROCPRIM_400000_NS6detail17trampoline_kernelINS0_14default_configENS1_38merge_sort_block_merge_config_selectorIhlEEZZNS1_27merge_sort_block_merge_implIS3_PhN6thrust23THRUST_200600_302600_NS10device_ptrIlEEjNS1_19radix_merge_compareILb0ELb0EhNS0_19identity_decomposerEEEEE10hipError_tT0_T1_T2_jT3_P12ihipStream_tbPNSt15iterator_traitsISG_E10value_typeEPNSM_ISH_E10value_typeEPSI_NS1_7vsmem_tEENKUlT_SG_SH_SI_E_clIS7_S7_SB_PlEESF_SV_SG_SH_SI_EUlSV_E0_NS1_11comp_targetILNS1_3genE0ELNS1_11target_archE4294967295ELNS1_3gpuE0ELNS1_3repE0EEENS1_38merge_mergepath_config_static_selectorELNS0_4arch9wavefront6targetE1EEEvSH_.kd
    .uniform_work_group_size: 1
    .uses_dynamic_stack: false
    .vgpr_count:     0
    .vgpr_spill_count: 0
    .wavefront_size: 64
  - .agpr_count:     0
    .args:
      - .offset:         0
        .size:           64
        .value_kind:     by_value
    .group_segment_fixed_size: 0
    .kernarg_segment_align: 8
    .kernarg_segment_size: 64
    .language:       OpenCL C
    .language_version:
      - 2
      - 0
    .max_flat_workgroup_size: 128
    .name:           _ZN7rocprim17ROCPRIM_400000_NS6detail17trampoline_kernelINS0_14default_configENS1_38merge_sort_block_merge_config_selectorIhlEEZZNS1_27merge_sort_block_merge_implIS3_PhN6thrust23THRUST_200600_302600_NS10device_ptrIlEEjNS1_19radix_merge_compareILb0ELb0EhNS0_19identity_decomposerEEEEE10hipError_tT0_T1_T2_jT3_P12ihipStream_tbPNSt15iterator_traitsISG_E10value_typeEPNSM_ISH_E10value_typeEPSI_NS1_7vsmem_tEENKUlT_SG_SH_SI_E_clIS7_S7_SB_PlEESF_SV_SG_SH_SI_EUlSV_E0_NS1_11comp_targetILNS1_3genE10ELNS1_11target_archE1201ELNS1_3gpuE5ELNS1_3repE0EEENS1_38merge_mergepath_config_static_selectorELNS0_4arch9wavefront6targetE1EEEvSH_
    .private_segment_fixed_size: 0
    .sgpr_count:     4
    .sgpr_spill_count: 0
    .symbol:         _ZN7rocprim17ROCPRIM_400000_NS6detail17trampoline_kernelINS0_14default_configENS1_38merge_sort_block_merge_config_selectorIhlEEZZNS1_27merge_sort_block_merge_implIS3_PhN6thrust23THRUST_200600_302600_NS10device_ptrIlEEjNS1_19radix_merge_compareILb0ELb0EhNS0_19identity_decomposerEEEEE10hipError_tT0_T1_T2_jT3_P12ihipStream_tbPNSt15iterator_traitsISG_E10value_typeEPNSM_ISH_E10value_typeEPSI_NS1_7vsmem_tEENKUlT_SG_SH_SI_E_clIS7_S7_SB_PlEESF_SV_SG_SH_SI_EUlSV_E0_NS1_11comp_targetILNS1_3genE10ELNS1_11target_archE1201ELNS1_3gpuE5ELNS1_3repE0EEENS1_38merge_mergepath_config_static_selectorELNS0_4arch9wavefront6targetE1EEEvSH_.kd
    .uniform_work_group_size: 1
    .uses_dynamic_stack: false
    .vgpr_count:     0
    .vgpr_spill_count: 0
    .wavefront_size: 64
  - .agpr_count:     0
    .args:
      - .offset:         0
        .size:           64
        .value_kind:     by_value
    .group_segment_fixed_size: 0
    .kernarg_segment_align: 8
    .kernarg_segment_size: 64
    .language:       OpenCL C
    .language_version:
      - 2
      - 0
    .max_flat_workgroup_size: 128
    .name:           _ZN7rocprim17ROCPRIM_400000_NS6detail17trampoline_kernelINS0_14default_configENS1_38merge_sort_block_merge_config_selectorIhlEEZZNS1_27merge_sort_block_merge_implIS3_PhN6thrust23THRUST_200600_302600_NS10device_ptrIlEEjNS1_19radix_merge_compareILb0ELb0EhNS0_19identity_decomposerEEEEE10hipError_tT0_T1_T2_jT3_P12ihipStream_tbPNSt15iterator_traitsISG_E10value_typeEPNSM_ISH_E10value_typeEPSI_NS1_7vsmem_tEENKUlT_SG_SH_SI_E_clIS7_S7_SB_PlEESF_SV_SG_SH_SI_EUlSV_E0_NS1_11comp_targetILNS1_3genE5ELNS1_11target_archE942ELNS1_3gpuE9ELNS1_3repE0EEENS1_38merge_mergepath_config_static_selectorELNS0_4arch9wavefront6targetE1EEEvSH_
    .private_segment_fixed_size: 0
    .sgpr_count:     4
    .sgpr_spill_count: 0
    .symbol:         _ZN7rocprim17ROCPRIM_400000_NS6detail17trampoline_kernelINS0_14default_configENS1_38merge_sort_block_merge_config_selectorIhlEEZZNS1_27merge_sort_block_merge_implIS3_PhN6thrust23THRUST_200600_302600_NS10device_ptrIlEEjNS1_19radix_merge_compareILb0ELb0EhNS0_19identity_decomposerEEEEE10hipError_tT0_T1_T2_jT3_P12ihipStream_tbPNSt15iterator_traitsISG_E10value_typeEPNSM_ISH_E10value_typeEPSI_NS1_7vsmem_tEENKUlT_SG_SH_SI_E_clIS7_S7_SB_PlEESF_SV_SG_SH_SI_EUlSV_E0_NS1_11comp_targetILNS1_3genE5ELNS1_11target_archE942ELNS1_3gpuE9ELNS1_3repE0EEENS1_38merge_mergepath_config_static_selectorELNS0_4arch9wavefront6targetE1EEEvSH_.kd
    .uniform_work_group_size: 1
    .uses_dynamic_stack: false
    .vgpr_count:     0
    .vgpr_spill_count: 0
    .wavefront_size: 64
  - .agpr_count:     0
    .args:
      - .offset:         0
        .size:           64
        .value_kind:     by_value
      - .offset:         64
        .size:           4
        .value_kind:     hidden_block_count_x
      - .offset:         68
        .size:           4
        .value_kind:     hidden_block_count_y
      - .offset:         72
        .size:           4
        .value_kind:     hidden_block_count_z
      - .offset:         76
        .size:           2
        .value_kind:     hidden_group_size_x
      - .offset:         78
        .size:           2
        .value_kind:     hidden_group_size_y
      - .offset:         80
        .size:           2
        .value_kind:     hidden_group_size_z
      - .offset:         82
        .size:           2
        .value_kind:     hidden_remainder_x
      - .offset:         84
        .size:           2
        .value_kind:     hidden_remainder_y
      - .offset:         86
        .size:           2
        .value_kind:     hidden_remainder_z
      - .offset:         104
        .size:           8
        .value_kind:     hidden_global_offset_x
      - .offset:         112
        .size:           8
        .value_kind:     hidden_global_offset_y
      - .offset:         120
        .size:           8
        .value_kind:     hidden_global_offset_z
      - .offset:         128
        .size:           2
        .value_kind:     hidden_grid_dims
    .group_segment_fixed_size: 8448
    .kernarg_segment_align: 8
    .kernarg_segment_size: 320
    .language:       OpenCL C
    .language_version:
      - 2
      - 0
    .max_flat_workgroup_size: 256
    .name:           _ZN7rocprim17ROCPRIM_400000_NS6detail17trampoline_kernelINS0_14default_configENS1_38merge_sort_block_merge_config_selectorIhlEEZZNS1_27merge_sort_block_merge_implIS3_PhN6thrust23THRUST_200600_302600_NS10device_ptrIlEEjNS1_19radix_merge_compareILb0ELb0EhNS0_19identity_decomposerEEEEE10hipError_tT0_T1_T2_jT3_P12ihipStream_tbPNSt15iterator_traitsISG_E10value_typeEPNSM_ISH_E10value_typeEPSI_NS1_7vsmem_tEENKUlT_SG_SH_SI_E_clIS7_S7_SB_PlEESF_SV_SG_SH_SI_EUlSV_E0_NS1_11comp_targetILNS1_3genE4ELNS1_11target_archE910ELNS1_3gpuE8ELNS1_3repE0EEENS1_38merge_mergepath_config_static_selectorELNS0_4arch9wavefront6targetE1EEEvSH_
    .private_segment_fixed_size: 0
    .sgpr_count:     36
    .sgpr_spill_count: 0
    .symbol:         _ZN7rocprim17ROCPRIM_400000_NS6detail17trampoline_kernelINS0_14default_configENS1_38merge_sort_block_merge_config_selectorIhlEEZZNS1_27merge_sort_block_merge_implIS3_PhN6thrust23THRUST_200600_302600_NS10device_ptrIlEEjNS1_19radix_merge_compareILb0ELb0EhNS0_19identity_decomposerEEEEE10hipError_tT0_T1_T2_jT3_P12ihipStream_tbPNSt15iterator_traitsISG_E10value_typeEPNSM_ISH_E10value_typeEPSI_NS1_7vsmem_tEENKUlT_SG_SH_SI_E_clIS7_S7_SB_PlEESF_SV_SG_SH_SI_EUlSV_E0_NS1_11comp_targetILNS1_3genE4ELNS1_11target_archE910ELNS1_3gpuE8ELNS1_3repE0EEENS1_38merge_mergepath_config_static_selectorELNS0_4arch9wavefront6targetE1EEEvSH_.kd
    .uniform_work_group_size: 1
    .uses_dynamic_stack: false
    .vgpr_count:     36
    .vgpr_spill_count: 0
    .wavefront_size: 64
  - .agpr_count:     0
    .args:
      - .offset:         0
        .size:           64
        .value_kind:     by_value
    .group_segment_fixed_size: 0
    .kernarg_segment_align: 8
    .kernarg_segment_size: 64
    .language:       OpenCL C
    .language_version:
      - 2
      - 0
    .max_flat_workgroup_size: 512
    .name:           _ZN7rocprim17ROCPRIM_400000_NS6detail17trampoline_kernelINS0_14default_configENS1_38merge_sort_block_merge_config_selectorIhlEEZZNS1_27merge_sort_block_merge_implIS3_PhN6thrust23THRUST_200600_302600_NS10device_ptrIlEEjNS1_19radix_merge_compareILb0ELb0EhNS0_19identity_decomposerEEEEE10hipError_tT0_T1_T2_jT3_P12ihipStream_tbPNSt15iterator_traitsISG_E10value_typeEPNSM_ISH_E10value_typeEPSI_NS1_7vsmem_tEENKUlT_SG_SH_SI_E_clIS7_S7_SB_PlEESF_SV_SG_SH_SI_EUlSV_E0_NS1_11comp_targetILNS1_3genE3ELNS1_11target_archE908ELNS1_3gpuE7ELNS1_3repE0EEENS1_38merge_mergepath_config_static_selectorELNS0_4arch9wavefront6targetE1EEEvSH_
    .private_segment_fixed_size: 0
    .sgpr_count:     4
    .sgpr_spill_count: 0
    .symbol:         _ZN7rocprim17ROCPRIM_400000_NS6detail17trampoline_kernelINS0_14default_configENS1_38merge_sort_block_merge_config_selectorIhlEEZZNS1_27merge_sort_block_merge_implIS3_PhN6thrust23THRUST_200600_302600_NS10device_ptrIlEEjNS1_19radix_merge_compareILb0ELb0EhNS0_19identity_decomposerEEEEE10hipError_tT0_T1_T2_jT3_P12ihipStream_tbPNSt15iterator_traitsISG_E10value_typeEPNSM_ISH_E10value_typeEPSI_NS1_7vsmem_tEENKUlT_SG_SH_SI_E_clIS7_S7_SB_PlEESF_SV_SG_SH_SI_EUlSV_E0_NS1_11comp_targetILNS1_3genE3ELNS1_11target_archE908ELNS1_3gpuE7ELNS1_3repE0EEENS1_38merge_mergepath_config_static_selectorELNS0_4arch9wavefront6targetE1EEEvSH_.kd
    .uniform_work_group_size: 1
    .uses_dynamic_stack: false
    .vgpr_count:     0
    .vgpr_spill_count: 0
    .wavefront_size: 64
  - .agpr_count:     0
    .args:
      - .offset:         0
        .size:           64
        .value_kind:     by_value
    .group_segment_fixed_size: 0
    .kernarg_segment_align: 8
    .kernarg_segment_size: 64
    .language:       OpenCL C
    .language_version:
      - 2
      - 0
    .max_flat_workgroup_size: 256
    .name:           _ZN7rocprim17ROCPRIM_400000_NS6detail17trampoline_kernelINS0_14default_configENS1_38merge_sort_block_merge_config_selectorIhlEEZZNS1_27merge_sort_block_merge_implIS3_PhN6thrust23THRUST_200600_302600_NS10device_ptrIlEEjNS1_19radix_merge_compareILb0ELb0EhNS0_19identity_decomposerEEEEE10hipError_tT0_T1_T2_jT3_P12ihipStream_tbPNSt15iterator_traitsISG_E10value_typeEPNSM_ISH_E10value_typeEPSI_NS1_7vsmem_tEENKUlT_SG_SH_SI_E_clIS7_S7_SB_PlEESF_SV_SG_SH_SI_EUlSV_E0_NS1_11comp_targetILNS1_3genE2ELNS1_11target_archE906ELNS1_3gpuE6ELNS1_3repE0EEENS1_38merge_mergepath_config_static_selectorELNS0_4arch9wavefront6targetE1EEEvSH_
    .private_segment_fixed_size: 0
    .sgpr_count:     4
    .sgpr_spill_count: 0
    .symbol:         _ZN7rocprim17ROCPRIM_400000_NS6detail17trampoline_kernelINS0_14default_configENS1_38merge_sort_block_merge_config_selectorIhlEEZZNS1_27merge_sort_block_merge_implIS3_PhN6thrust23THRUST_200600_302600_NS10device_ptrIlEEjNS1_19radix_merge_compareILb0ELb0EhNS0_19identity_decomposerEEEEE10hipError_tT0_T1_T2_jT3_P12ihipStream_tbPNSt15iterator_traitsISG_E10value_typeEPNSM_ISH_E10value_typeEPSI_NS1_7vsmem_tEENKUlT_SG_SH_SI_E_clIS7_S7_SB_PlEESF_SV_SG_SH_SI_EUlSV_E0_NS1_11comp_targetILNS1_3genE2ELNS1_11target_archE906ELNS1_3gpuE6ELNS1_3repE0EEENS1_38merge_mergepath_config_static_selectorELNS0_4arch9wavefront6targetE1EEEvSH_.kd
    .uniform_work_group_size: 1
    .uses_dynamic_stack: false
    .vgpr_count:     0
    .vgpr_spill_count: 0
    .wavefront_size: 64
  - .agpr_count:     0
    .args:
      - .offset:         0
        .size:           64
        .value_kind:     by_value
    .group_segment_fixed_size: 0
    .kernarg_segment_align: 8
    .kernarg_segment_size: 64
    .language:       OpenCL C
    .language_version:
      - 2
      - 0
    .max_flat_workgroup_size: 512
    .name:           _ZN7rocprim17ROCPRIM_400000_NS6detail17trampoline_kernelINS0_14default_configENS1_38merge_sort_block_merge_config_selectorIhlEEZZNS1_27merge_sort_block_merge_implIS3_PhN6thrust23THRUST_200600_302600_NS10device_ptrIlEEjNS1_19radix_merge_compareILb0ELb0EhNS0_19identity_decomposerEEEEE10hipError_tT0_T1_T2_jT3_P12ihipStream_tbPNSt15iterator_traitsISG_E10value_typeEPNSM_ISH_E10value_typeEPSI_NS1_7vsmem_tEENKUlT_SG_SH_SI_E_clIS7_S7_SB_PlEESF_SV_SG_SH_SI_EUlSV_E0_NS1_11comp_targetILNS1_3genE9ELNS1_11target_archE1100ELNS1_3gpuE3ELNS1_3repE0EEENS1_38merge_mergepath_config_static_selectorELNS0_4arch9wavefront6targetE1EEEvSH_
    .private_segment_fixed_size: 0
    .sgpr_count:     4
    .sgpr_spill_count: 0
    .symbol:         _ZN7rocprim17ROCPRIM_400000_NS6detail17trampoline_kernelINS0_14default_configENS1_38merge_sort_block_merge_config_selectorIhlEEZZNS1_27merge_sort_block_merge_implIS3_PhN6thrust23THRUST_200600_302600_NS10device_ptrIlEEjNS1_19radix_merge_compareILb0ELb0EhNS0_19identity_decomposerEEEEE10hipError_tT0_T1_T2_jT3_P12ihipStream_tbPNSt15iterator_traitsISG_E10value_typeEPNSM_ISH_E10value_typeEPSI_NS1_7vsmem_tEENKUlT_SG_SH_SI_E_clIS7_S7_SB_PlEESF_SV_SG_SH_SI_EUlSV_E0_NS1_11comp_targetILNS1_3genE9ELNS1_11target_archE1100ELNS1_3gpuE3ELNS1_3repE0EEENS1_38merge_mergepath_config_static_selectorELNS0_4arch9wavefront6targetE1EEEvSH_.kd
    .uniform_work_group_size: 1
    .uses_dynamic_stack: false
    .vgpr_count:     0
    .vgpr_spill_count: 0
    .wavefront_size: 64
  - .agpr_count:     0
    .args:
      - .offset:         0
        .size:           64
        .value_kind:     by_value
    .group_segment_fixed_size: 0
    .kernarg_segment_align: 8
    .kernarg_segment_size: 64
    .language:       OpenCL C
    .language_version:
      - 2
      - 0
    .max_flat_workgroup_size: 1024
    .name:           _ZN7rocprim17ROCPRIM_400000_NS6detail17trampoline_kernelINS0_14default_configENS1_38merge_sort_block_merge_config_selectorIhlEEZZNS1_27merge_sort_block_merge_implIS3_PhN6thrust23THRUST_200600_302600_NS10device_ptrIlEEjNS1_19radix_merge_compareILb0ELb0EhNS0_19identity_decomposerEEEEE10hipError_tT0_T1_T2_jT3_P12ihipStream_tbPNSt15iterator_traitsISG_E10value_typeEPNSM_ISH_E10value_typeEPSI_NS1_7vsmem_tEENKUlT_SG_SH_SI_E_clIS7_S7_SB_PlEESF_SV_SG_SH_SI_EUlSV_E0_NS1_11comp_targetILNS1_3genE8ELNS1_11target_archE1030ELNS1_3gpuE2ELNS1_3repE0EEENS1_38merge_mergepath_config_static_selectorELNS0_4arch9wavefront6targetE1EEEvSH_
    .private_segment_fixed_size: 0
    .sgpr_count:     4
    .sgpr_spill_count: 0
    .symbol:         _ZN7rocprim17ROCPRIM_400000_NS6detail17trampoline_kernelINS0_14default_configENS1_38merge_sort_block_merge_config_selectorIhlEEZZNS1_27merge_sort_block_merge_implIS3_PhN6thrust23THRUST_200600_302600_NS10device_ptrIlEEjNS1_19radix_merge_compareILb0ELb0EhNS0_19identity_decomposerEEEEE10hipError_tT0_T1_T2_jT3_P12ihipStream_tbPNSt15iterator_traitsISG_E10value_typeEPNSM_ISH_E10value_typeEPSI_NS1_7vsmem_tEENKUlT_SG_SH_SI_E_clIS7_S7_SB_PlEESF_SV_SG_SH_SI_EUlSV_E0_NS1_11comp_targetILNS1_3genE8ELNS1_11target_archE1030ELNS1_3gpuE2ELNS1_3repE0EEENS1_38merge_mergepath_config_static_selectorELNS0_4arch9wavefront6targetE1EEEvSH_.kd
    .uniform_work_group_size: 1
    .uses_dynamic_stack: false
    .vgpr_count:     0
    .vgpr_spill_count: 0
    .wavefront_size: 64
  - .agpr_count:     0
    .args:
      - .offset:         0
        .size:           48
        .value_kind:     by_value
    .group_segment_fixed_size: 0
    .kernarg_segment_align: 8
    .kernarg_segment_size: 48
    .language:       OpenCL C
    .language_version:
      - 2
      - 0
    .max_flat_workgroup_size: 256
    .name:           _ZN7rocprim17ROCPRIM_400000_NS6detail17trampoline_kernelINS0_14default_configENS1_38merge_sort_block_merge_config_selectorIhlEEZZNS1_27merge_sort_block_merge_implIS3_PhN6thrust23THRUST_200600_302600_NS10device_ptrIlEEjNS1_19radix_merge_compareILb0ELb0EhNS0_19identity_decomposerEEEEE10hipError_tT0_T1_T2_jT3_P12ihipStream_tbPNSt15iterator_traitsISG_E10value_typeEPNSM_ISH_E10value_typeEPSI_NS1_7vsmem_tEENKUlT_SG_SH_SI_E_clIS7_S7_SB_PlEESF_SV_SG_SH_SI_EUlSV_E1_NS1_11comp_targetILNS1_3genE0ELNS1_11target_archE4294967295ELNS1_3gpuE0ELNS1_3repE0EEENS1_36merge_oddeven_config_static_selectorELNS0_4arch9wavefront6targetE1EEEvSH_
    .private_segment_fixed_size: 0
    .sgpr_count:     4
    .sgpr_spill_count: 0
    .symbol:         _ZN7rocprim17ROCPRIM_400000_NS6detail17trampoline_kernelINS0_14default_configENS1_38merge_sort_block_merge_config_selectorIhlEEZZNS1_27merge_sort_block_merge_implIS3_PhN6thrust23THRUST_200600_302600_NS10device_ptrIlEEjNS1_19radix_merge_compareILb0ELb0EhNS0_19identity_decomposerEEEEE10hipError_tT0_T1_T2_jT3_P12ihipStream_tbPNSt15iterator_traitsISG_E10value_typeEPNSM_ISH_E10value_typeEPSI_NS1_7vsmem_tEENKUlT_SG_SH_SI_E_clIS7_S7_SB_PlEESF_SV_SG_SH_SI_EUlSV_E1_NS1_11comp_targetILNS1_3genE0ELNS1_11target_archE4294967295ELNS1_3gpuE0ELNS1_3repE0EEENS1_36merge_oddeven_config_static_selectorELNS0_4arch9wavefront6targetE1EEEvSH_.kd
    .uniform_work_group_size: 1
    .uses_dynamic_stack: false
    .vgpr_count:     0
    .vgpr_spill_count: 0
    .wavefront_size: 64
  - .agpr_count:     0
    .args:
      - .offset:         0
        .size:           48
        .value_kind:     by_value
    .group_segment_fixed_size: 0
    .kernarg_segment_align: 8
    .kernarg_segment_size: 48
    .language:       OpenCL C
    .language_version:
      - 2
      - 0
    .max_flat_workgroup_size: 256
    .name:           _ZN7rocprim17ROCPRIM_400000_NS6detail17trampoline_kernelINS0_14default_configENS1_38merge_sort_block_merge_config_selectorIhlEEZZNS1_27merge_sort_block_merge_implIS3_PhN6thrust23THRUST_200600_302600_NS10device_ptrIlEEjNS1_19radix_merge_compareILb0ELb0EhNS0_19identity_decomposerEEEEE10hipError_tT0_T1_T2_jT3_P12ihipStream_tbPNSt15iterator_traitsISG_E10value_typeEPNSM_ISH_E10value_typeEPSI_NS1_7vsmem_tEENKUlT_SG_SH_SI_E_clIS7_S7_SB_PlEESF_SV_SG_SH_SI_EUlSV_E1_NS1_11comp_targetILNS1_3genE10ELNS1_11target_archE1201ELNS1_3gpuE5ELNS1_3repE0EEENS1_36merge_oddeven_config_static_selectorELNS0_4arch9wavefront6targetE1EEEvSH_
    .private_segment_fixed_size: 0
    .sgpr_count:     4
    .sgpr_spill_count: 0
    .symbol:         _ZN7rocprim17ROCPRIM_400000_NS6detail17trampoline_kernelINS0_14default_configENS1_38merge_sort_block_merge_config_selectorIhlEEZZNS1_27merge_sort_block_merge_implIS3_PhN6thrust23THRUST_200600_302600_NS10device_ptrIlEEjNS1_19radix_merge_compareILb0ELb0EhNS0_19identity_decomposerEEEEE10hipError_tT0_T1_T2_jT3_P12ihipStream_tbPNSt15iterator_traitsISG_E10value_typeEPNSM_ISH_E10value_typeEPSI_NS1_7vsmem_tEENKUlT_SG_SH_SI_E_clIS7_S7_SB_PlEESF_SV_SG_SH_SI_EUlSV_E1_NS1_11comp_targetILNS1_3genE10ELNS1_11target_archE1201ELNS1_3gpuE5ELNS1_3repE0EEENS1_36merge_oddeven_config_static_selectorELNS0_4arch9wavefront6targetE1EEEvSH_.kd
    .uniform_work_group_size: 1
    .uses_dynamic_stack: false
    .vgpr_count:     0
    .vgpr_spill_count: 0
    .wavefront_size: 64
  - .agpr_count:     0
    .args:
      - .offset:         0
        .size:           48
        .value_kind:     by_value
    .group_segment_fixed_size: 0
    .kernarg_segment_align: 8
    .kernarg_segment_size: 48
    .language:       OpenCL C
    .language_version:
      - 2
      - 0
    .max_flat_workgroup_size: 256
    .name:           _ZN7rocprim17ROCPRIM_400000_NS6detail17trampoline_kernelINS0_14default_configENS1_38merge_sort_block_merge_config_selectorIhlEEZZNS1_27merge_sort_block_merge_implIS3_PhN6thrust23THRUST_200600_302600_NS10device_ptrIlEEjNS1_19radix_merge_compareILb0ELb0EhNS0_19identity_decomposerEEEEE10hipError_tT0_T1_T2_jT3_P12ihipStream_tbPNSt15iterator_traitsISG_E10value_typeEPNSM_ISH_E10value_typeEPSI_NS1_7vsmem_tEENKUlT_SG_SH_SI_E_clIS7_S7_SB_PlEESF_SV_SG_SH_SI_EUlSV_E1_NS1_11comp_targetILNS1_3genE5ELNS1_11target_archE942ELNS1_3gpuE9ELNS1_3repE0EEENS1_36merge_oddeven_config_static_selectorELNS0_4arch9wavefront6targetE1EEEvSH_
    .private_segment_fixed_size: 0
    .sgpr_count:     4
    .sgpr_spill_count: 0
    .symbol:         _ZN7rocprim17ROCPRIM_400000_NS6detail17trampoline_kernelINS0_14default_configENS1_38merge_sort_block_merge_config_selectorIhlEEZZNS1_27merge_sort_block_merge_implIS3_PhN6thrust23THRUST_200600_302600_NS10device_ptrIlEEjNS1_19radix_merge_compareILb0ELb0EhNS0_19identity_decomposerEEEEE10hipError_tT0_T1_T2_jT3_P12ihipStream_tbPNSt15iterator_traitsISG_E10value_typeEPNSM_ISH_E10value_typeEPSI_NS1_7vsmem_tEENKUlT_SG_SH_SI_E_clIS7_S7_SB_PlEESF_SV_SG_SH_SI_EUlSV_E1_NS1_11comp_targetILNS1_3genE5ELNS1_11target_archE942ELNS1_3gpuE9ELNS1_3repE0EEENS1_36merge_oddeven_config_static_selectorELNS0_4arch9wavefront6targetE1EEEvSH_.kd
    .uniform_work_group_size: 1
    .uses_dynamic_stack: false
    .vgpr_count:     0
    .vgpr_spill_count: 0
    .wavefront_size: 64
  - .agpr_count:     0
    .args:
      - .offset:         0
        .size:           48
        .value_kind:     by_value
    .group_segment_fixed_size: 0
    .kernarg_segment_align: 8
    .kernarg_segment_size: 48
    .language:       OpenCL C
    .language_version:
      - 2
      - 0
    .max_flat_workgroup_size: 256
    .name:           _ZN7rocprim17ROCPRIM_400000_NS6detail17trampoline_kernelINS0_14default_configENS1_38merge_sort_block_merge_config_selectorIhlEEZZNS1_27merge_sort_block_merge_implIS3_PhN6thrust23THRUST_200600_302600_NS10device_ptrIlEEjNS1_19radix_merge_compareILb0ELb0EhNS0_19identity_decomposerEEEEE10hipError_tT0_T1_T2_jT3_P12ihipStream_tbPNSt15iterator_traitsISG_E10value_typeEPNSM_ISH_E10value_typeEPSI_NS1_7vsmem_tEENKUlT_SG_SH_SI_E_clIS7_S7_SB_PlEESF_SV_SG_SH_SI_EUlSV_E1_NS1_11comp_targetILNS1_3genE4ELNS1_11target_archE910ELNS1_3gpuE8ELNS1_3repE0EEENS1_36merge_oddeven_config_static_selectorELNS0_4arch9wavefront6targetE1EEEvSH_
    .private_segment_fixed_size: 0
    .sgpr_count:     28
    .sgpr_spill_count: 0
    .symbol:         _ZN7rocprim17ROCPRIM_400000_NS6detail17trampoline_kernelINS0_14default_configENS1_38merge_sort_block_merge_config_selectorIhlEEZZNS1_27merge_sort_block_merge_implIS3_PhN6thrust23THRUST_200600_302600_NS10device_ptrIlEEjNS1_19radix_merge_compareILb0ELb0EhNS0_19identity_decomposerEEEEE10hipError_tT0_T1_T2_jT3_P12ihipStream_tbPNSt15iterator_traitsISG_E10value_typeEPNSM_ISH_E10value_typeEPSI_NS1_7vsmem_tEENKUlT_SG_SH_SI_E_clIS7_S7_SB_PlEESF_SV_SG_SH_SI_EUlSV_E1_NS1_11comp_targetILNS1_3genE4ELNS1_11target_archE910ELNS1_3gpuE8ELNS1_3repE0EEENS1_36merge_oddeven_config_static_selectorELNS0_4arch9wavefront6targetE1EEEvSH_.kd
    .uniform_work_group_size: 1
    .uses_dynamic_stack: false
    .vgpr_count:     10
    .vgpr_spill_count: 0
    .wavefront_size: 64
  - .agpr_count:     0
    .args:
      - .offset:         0
        .size:           48
        .value_kind:     by_value
    .group_segment_fixed_size: 0
    .kernarg_segment_align: 8
    .kernarg_segment_size: 48
    .language:       OpenCL C
    .language_version:
      - 2
      - 0
    .max_flat_workgroup_size: 256
    .name:           _ZN7rocprim17ROCPRIM_400000_NS6detail17trampoline_kernelINS0_14default_configENS1_38merge_sort_block_merge_config_selectorIhlEEZZNS1_27merge_sort_block_merge_implIS3_PhN6thrust23THRUST_200600_302600_NS10device_ptrIlEEjNS1_19radix_merge_compareILb0ELb0EhNS0_19identity_decomposerEEEEE10hipError_tT0_T1_T2_jT3_P12ihipStream_tbPNSt15iterator_traitsISG_E10value_typeEPNSM_ISH_E10value_typeEPSI_NS1_7vsmem_tEENKUlT_SG_SH_SI_E_clIS7_S7_SB_PlEESF_SV_SG_SH_SI_EUlSV_E1_NS1_11comp_targetILNS1_3genE3ELNS1_11target_archE908ELNS1_3gpuE7ELNS1_3repE0EEENS1_36merge_oddeven_config_static_selectorELNS0_4arch9wavefront6targetE1EEEvSH_
    .private_segment_fixed_size: 0
    .sgpr_count:     4
    .sgpr_spill_count: 0
    .symbol:         _ZN7rocprim17ROCPRIM_400000_NS6detail17trampoline_kernelINS0_14default_configENS1_38merge_sort_block_merge_config_selectorIhlEEZZNS1_27merge_sort_block_merge_implIS3_PhN6thrust23THRUST_200600_302600_NS10device_ptrIlEEjNS1_19radix_merge_compareILb0ELb0EhNS0_19identity_decomposerEEEEE10hipError_tT0_T1_T2_jT3_P12ihipStream_tbPNSt15iterator_traitsISG_E10value_typeEPNSM_ISH_E10value_typeEPSI_NS1_7vsmem_tEENKUlT_SG_SH_SI_E_clIS7_S7_SB_PlEESF_SV_SG_SH_SI_EUlSV_E1_NS1_11comp_targetILNS1_3genE3ELNS1_11target_archE908ELNS1_3gpuE7ELNS1_3repE0EEENS1_36merge_oddeven_config_static_selectorELNS0_4arch9wavefront6targetE1EEEvSH_.kd
    .uniform_work_group_size: 1
    .uses_dynamic_stack: false
    .vgpr_count:     0
    .vgpr_spill_count: 0
    .wavefront_size: 64
  - .agpr_count:     0
    .args:
      - .offset:         0
        .size:           48
        .value_kind:     by_value
    .group_segment_fixed_size: 0
    .kernarg_segment_align: 8
    .kernarg_segment_size: 48
    .language:       OpenCL C
    .language_version:
      - 2
      - 0
    .max_flat_workgroup_size: 256
    .name:           _ZN7rocprim17ROCPRIM_400000_NS6detail17trampoline_kernelINS0_14default_configENS1_38merge_sort_block_merge_config_selectorIhlEEZZNS1_27merge_sort_block_merge_implIS3_PhN6thrust23THRUST_200600_302600_NS10device_ptrIlEEjNS1_19radix_merge_compareILb0ELb0EhNS0_19identity_decomposerEEEEE10hipError_tT0_T1_T2_jT3_P12ihipStream_tbPNSt15iterator_traitsISG_E10value_typeEPNSM_ISH_E10value_typeEPSI_NS1_7vsmem_tEENKUlT_SG_SH_SI_E_clIS7_S7_SB_PlEESF_SV_SG_SH_SI_EUlSV_E1_NS1_11comp_targetILNS1_3genE2ELNS1_11target_archE906ELNS1_3gpuE6ELNS1_3repE0EEENS1_36merge_oddeven_config_static_selectorELNS0_4arch9wavefront6targetE1EEEvSH_
    .private_segment_fixed_size: 0
    .sgpr_count:     4
    .sgpr_spill_count: 0
    .symbol:         _ZN7rocprim17ROCPRIM_400000_NS6detail17trampoline_kernelINS0_14default_configENS1_38merge_sort_block_merge_config_selectorIhlEEZZNS1_27merge_sort_block_merge_implIS3_PhN6thrust23THRUST_200600_302600_NS10device_ptrIlEEjNS1_19radix_merge_compareILb0ELb0EhNS0_19identity_decomposerEEEEE10hipError_tT0_T1_T2_jT3_P12ihipStream_tbPNSt15iterator_traitsISG_E10value_typeEPNSM_ISH_E10value_typeEPSI_NS1_7vsmem_tEENKUlT_SG_SH_SI_E_clIS7_S7_SB_PlEESF_SV_SG_SH_SI_EUlSV_E1_NS1_11comp_targetILNS1_3genE2ELNS1_11target_archE906ELNS1_3gpuE6ELNS1_3repE0EEENS1_36merge_oddeven_config_static_selectorELNS0_4arch9wavefront6targetE1EEEvSH_.kd
    .uniform_work_group_size: 1
    .uses_dynamic_stack: false
    .vgpr_count:     0
    .vgpr_spill_count: 0
    .wavefront_size: 64
  - .agpr_count:     0
    .args:
      - .offset:         0
        .size:           48
        .value_kind:     by_value
    .group_segment_fixed_size: 0
    .kernarg_segment_align: 8
    .kernarg_segment_size: 48
    .language:       OpenCL C
    .language_version:
      - 2
      - 0
    .max_flat_workgroup_size: 256
    .name:           _ZN7rocprim17ROCPRIM_400000_NS6detail17trampoline_kernelINS0_14default_configENS1_38merge_sort_block_merge_config_selectorIhlEEZZNS1_27merge_sort_block_merge_implIS3_PhN6thrust23THRUST_200600_302600_NS10device_ptrIlEEjNS1_19radix_merge_compareILb0ELb0EhNS0_19identity_decomposerEEEEE10hipError_tT0_T1_T2_jT3_P12ihipStream_tbPNSt15iterator_traitsISG_E10value_typeEPNSM_ISH_E10value_typeEPSI_NS1_7vsmem_tEENKUlT_SG_SH_SI_E_clIS7_S7_SB_PlEESF_SV_SG_SH_SI_EUlSV_E1_NS1_11comp_targetILNS1_3genE9ELNS1_11target_archE1100ELNS1_3gpuE3ELNS1_3repE0EEENS1_36merge_oddeven_config_static_selectorELNS0_4arch9wavefront6targetE1EEEvSH_
    .private_segment_fixed_size: 0
    .sgpr_count:     4
    .sgpr_spill_count: 0
    .symbol:         _ZN7rocprim17ROCPRIM_400000_NS6detail17trampoline_kernelINS0_14default_configENS1_38merge_sort_block_merge_config_selectorIhlEEZZNS1_27merge_sort_block_merge_implIS3_PhN6thrust23THRUST_200600_302600_NS10device_ptrIlEEjNS1_19radix_merge_compareILb0ELb0EhNS0_19identity_decomposerEEEEE10hipError_tT0_T1_T2_jT3_P12ihipStream_tbPNSt15iterator_traitsISG_E10value_typeEPNSM_ISH_E10value_typeEPSI_NS1_7vsmem_tEENKUlT_SG_SH_SI_E_clIS7_S7_SB_PlEESF_SV_SG_SH_SI_EUlSV_E1_NS1_11comp_targetILNS1_3genE9ELNS1_11target_archE1100ELNS1_3gpuE3ELNS1_3repE0EEENS1_36merge_oddeven_config_static_selectorELNS0_4arch9wavefront6targetE1EEEvSH_.kd
    .uniform_work_group_size: 1
    .uses_dynamic_stack: false
    .vgpr_count:     0
    .vgpr_spill_count: 0
    .wavefront_size: 64
  - .agpr_count:     0
    .args:
      - .offset:         0
        .size:           48
        .value_kind:     by_value
    .group_segment_fixed_size: 0
    .kernarg_segment_align: 8
    .kernarg_segment_size: 48
    .language:       OpenCL C
    .language_version:
      - 2
      - 0
    .max_flat_workgroup_size: 256
    .name:           _ZN7rocprim17ROCPRIM_400000_NS6detail17trampoline_kernelINS0_14default_configENS1_38merge_sort_block_merge_config_selectorIhlEEZZNS1_27merge_sort_block_merge_implIS3_PhN6thrust23THRUST_200600_302600_NS10device_ptrIlEEjNS1_19radix_merge_compareILb0ELb0EhNS0_19identity_decomposerEEEEE10hipError_tT0_T1_T2_jT3_P12ihipStream_tbPNSt15iterator_traitsISG_E10value_typeEPNSM_ISH_E10value_typeEPSI_NS1_7vsmem_tEENKUlT_SG_SH_SI_E_clIS7_S7_SB_PlEESF_SV_SG_SH_SI_EUlSV_E1_NS1_11comp_targetILNS1_3genE8ELNS1_11target_archE1030ELNS1_3gpuE2ELNS1_3repE0EEENS1_36merge_oddeven_config_static_selectorELNS0_4arch9wavefront6targetE1EEEvSH_
    .private_segment_fixed_size: 0
    .sgpr_count:     4
    .sgpr_spill_count: 0
    .symbol:         _ZN7rocprim17ROCPRIM_400000_NS6detail17trampoline_kernelINS0_14default_configENS1_38merge_sort_block_merge_config_selectorIhlEEZZNS1_27merge_sort_block_merge_implIS3_PhN6thrust23THRUST_200600_302600_NS10device_ptrIlEEjNS1_19radix_merge_compareILb0ELb0EhNS0_19identity_decomposerEEEEE10hipError_tT0_T1_T2_jT3_P12ihipStream_tbPNSt15iterator_traitsISG_E10value_typeEPNSM_ISH_E10value_typeEPSI_NS1_7vsmem_tEENKUlT_SG_SH_SI_E_clIS7_S7_SB_PlEESF_SV_SG_SH_SI_EUlSV_E1_NS1_11comp_targetILNS1_3genE8ELNS1_11target_archE1030ELNS1_3gpuE2ELNS1_3repE0EEENS1_36merge_oddeven_config_static_selectorELNS0_4arch9wavefront6targetE1EEEvSH_.kd
    .uniform_work_group_size: 1
    .uses_dynamic_stack: false
    .vgpr_count:     0
    .vgpr_spill_count: 0
    .wavefront_size: 64
  - .agpr_count:     0
    .args:
      - .offset:         0
        .size:           40
        .value_kind:     by_value
    .group_segment_fixed_size: 0
    .kernarg_segment_align: 8
    .kernarg_segment_size: 40
    .language:       OpenCL C
    .language_version:
      - 2
      - 0
    .max_flat_workgroup_size: 128
    .name:           _ZN7rocprim17ROCPRIM_400000_NS6detail17trampoline_kernelINS0_14default_configENS1_25transform_config_selectorIhLb1EEEZNS1_14transform_implILb1ES3_S5_PhS7_NS0_8identityIhEEEE10hipError_tT2_T3_mT4_P12ihipStream_tbEUlT_E_NS1_11comp_targetILNS1_3genE0ELNS1_11target_archE4294967295ELNS1_3gpuE0ELNS1_3repE0EEENS1_30default_config_static_selectorELNS0_4arch9wavefront6targetE1EEEvT1_
    .private_segment_fixed_size: 0
    .sgpr_count:     4
    .sgpr_spill_count: 0
    .symbol:         _ZN7rocprim17ROCPRIM_400000_NS6detail17trampoline_kernelINS0_14default_configENS1_25transform_config_selectorIhLb1EEEZNS1_14transform_implILb1ES3_S5_PhS7_NS0_8identityIhEEEE10hipError_tT2_T3_mT4_P12ihipStream_tbEUlT_E_NS1_11comp_targetILNS1_3genE0ELNS1_11target_archE4294967295ELNS1_3gpuE0ELNS1_3repE0EEENS1_30default_config_static_selectorELNS0_4arch9wavefront6targetE1EEEvT1_.kd
    .uniform_work_group_size: 1
    .uses_dynamic_stack: false
    .vgpr_count:     0
    .vgpr_spill_count: 0
    .wavefront_size: 64
  - .agpr_count:     0
    .args:
      - .offset:         0
        .size:           40
        .value_kind:     by_value
    .group_segment_fixed_size: 0
    .kernarg_segment_align: 8
    .kernarg_segment_size: 40
    .language:       OpenCL C
    .language_version:
      - 2
      - 0
    .max_flat_workgroup_size: 1024
    .name:           _ZN7rocprim17ROCPRIM_400000_NS6detail17trampoline_kernelINS0_14default_configENS1_25transform_config_selectorIhLb1EEEZNS1_14transform_implILb1ES3_S5_PhS7_NS0_8identityIhEEEE10hipError_tT2_T3_mT4_P12ihipStream_tbEUlT_E_NS1_11comp_targetILNS1_3genE10ELNS1_11target_archE1201ELNS1_3gpuE5ELNS1_3repE0EEENS1_30default_config_static_selectorELNS0_4arch9wavefront6targetE1EEEvT1_
    .private_segment_fixed_size: 0
    .sgpr_count:     4
    .sgpr_spill_count: 0
    .symbol:         _ZN7rocprim17ROCPRIM_400000_NS6detail17trampoline_kernelINS0_14default_configENS1_25transform_config_selectorIhLb1EEEZNS1_14transform_implILb1ES3_S5_PhS7_NS0_8identityIhEEEE10hipError_tT2_T3_mT4_P12ihipStream_tbEUlT_E_NS1_11comp_targetILNS1_3genE10ELNS1_11target_archE1201ELNS1_3gpuE5ELNS1_3repE0EEENS1_30default_config_static_selectorELNS0_4arch9wavefront6targetE1EEEvT1_.kd
    .uniform_work_group_size: 1
    .uses_dynamic_stack: false
    .vgpr_count:     0
    .vgpr_spill_count: 0
    .wavefront_size: 64
  - .agpr_count:     0
    .args:
      - .offset:         0
        .size:           40
        .value_kind:     by_value
    .group_segment_fixed_size: 0
    .kernarg_segment_align: 8
    .kernarg_segment_size: 40
    .language:       OpenCL C
    .language_version:
      - 2
      - 0
    .max_flat_workgroup_size: 256
    .name:           _ZN7rocprim17ROCPRIM_400000_NS6detail17trampoline_kernelINS0_14default_configENS1_25transform_config_selectorIhLb1EEEZNS1_14transform_implILb1ES3_S5_PhS7_NS0_8identityIhEEEE10hipError_tT2_T3_mT4_P12ihipStream_tbEUlT_E_NS1_11comp_targetILNS1_3genE5ELNS1_11target_archE942ELNS1_3gpuE9ELNS1_3repE0EEENS1_30default_config_static_selectorELNS0_4arch9wavefront6targetE1EEEvT1_
    .private_segment_fixed_size: 0
    .sgpr_count:     4
    .sgpr_spill_count: 0
    .symbol:         _ZN7rocprim17ROCPRIM_400000_NS6detail17trampoline_kernelINS0_14default_configENS1_25transform_config_selectorIhLb1EEEZNS1_14transform_implILb1ES3_S5_PhS7_NS0_8identityIhEEEE10hipError_tT2_T3_mT4_P12ihipStream_tbEUlT_E_NS1_11comp_targetILNS1_3genE5ELNS1_11target_archE942ELNS1_3gpuE9ELNS1_3repE0EEENS1_30default_config_static_selectorELNS0_4arch9wavefront6targetE1EEEvT1_.kd
    .uniform_work_group_size: 1
    .uses_dynamic_stack: false
    .vgpr_count:     0
    .vgpr_spill_count: 0
    .wavefront_size: 64
  - .agpr_count:     0
    .args:
      - .offset:         0
        .size:           40
        .value_kind:     by_value
      - .offset:         40
        .size:           4
        .value_kind:     hidden_block_count_x
      - .offset:         44
        .size:           4
        .value_kind:     hidden_block_count_y
      - .offset:         48
        .size:           4
        .value_kind:     hidden_block_count_z
      - .offset:         52
        .size:           2
        .value_kind:     hidden_group_size_x
      - .offset:         54
        .size:           2
        .value_kind:     hidden_group_size_y
      - .offset:         56
        .size:           2
        .value_kind:     hidden_group_size_z
      - .offset:         58
        .size:           2
        .value_kind:     hidden_remainder_x
      - .offset:         60
        .size:           2
        .value_kind:     hidden_remainder_y
      - .offset:         62
        .size:           2
        .value_kind:     hidden_remainder_z
      - .offset:         80
        .size:           8
        .value_kind:     hidden_global_offset_x
      - .offset:         88
        .size:           8
        .value_kind:     hidden_global_offset_y
      - .offset:         96
        .size:           8
        .value_kind:     hidden_global_offset_z
      - .offset:         104
        .size:           2
        .value_kind:     hidden_grid_dims
    .group_segment_fixed_size: 0
    .kernarg_segment_align: 8
    .kernarg_segment_size: 296
    .language:       OpenCL C
    .language_version:
      - 2
      - 0
    .max_flat_workgroup_size: 1024
    .name:           _ZN7rocprim17ROCPRIM_400000_NS6detail17trampoline_kernelINS0_14default_configENS1_25transform_config_selectorIhLb1EEEZNS1_14transform_implILb1ES3_S5_PhS7_NS0_8identityIhEEEE10hipError_tT2_T3_mT4_P12ihipStream_tbEUlT_E_NS1_11comp_targetILNS1_3genE4ELNS1_11target_archE910ELNS1_3gpuE8ELNS1_3repE0EEENS1_30default_config_static_selectorELNS0_4arch9wavefront6targetE1EEEvT1_
    .private_segment_fixed_size: 0
    .sgpr_count:     42
    .sgpr_spill_count: 0
    .symbol:         _ZN7rocprim17ROCPRIM_400000_NS6detail17trampoline_kernelINS0_14default_configENS1_25transform_config_selectorIhLb1EEEZNS1_14transform_implILb1ES3_S5_PhS7_NS0_8identityIhEEEE10hipError_tT2_T3_mT4_P12ihipStream_tbEUlT_E_NS1_11comp_targetILNS1_3genE4ELNS1_11target_archE910ELNS1_3gpuE8ELNS1_3repE0EEENS1_30default_config_static_selectorELNS0_4arch9wavefront6targetE1EEEvT1_.kd
    .uniform_work_group_size: 1
    .uses_dynamic_stack: false
    .vgpr_count:     18
    .vgpr_spill_count: 0
    .wavefront_size: 64
  - .agpr_count:     0
    .args:
      - .offset:         0
        .size:           40
        .value_kind:     by_value
    .group_segment_fixed_size: 0
    .kernarg_segment_align: 8
    .kernarg_segment_size: 40
    .language:       OpenCL C
    .language_version:
      - 2
      - 0
    .max_flat_workgroup_size: 128
    .name:           _ZN7rocprim17ROCPRIM_400000_NS6detail17trampoline_kernelINS0_14default_configENS1_25transform_config_selectorIhLb1EEEZNS1_14transform_implILb1ES3_S5_PhS7_NS0_8identityIhEEEE10hipError_tT2_T3_mT4_P12ihipStream_tbEUlT_E_NS1_11comp_targetILNS1_3genE3ELNS1_11target_archE908ELNS1_3gpuE7ELNS1_3repE0EEENS1_30default_config_static_selectorELNS0_4arch9wavefront6targetE1EEEvT1_
    .private_segment_fixed_size: 0
    .sgpr_count:     4
    .sgpr_spill_count: 0
    .symbol:         _ZN7rocprim17ROCPRIM_400000_NS6detail17trampoline_kernelINS0_14default_configENS1_25transform_config_selectorIhLb1EEEZNS1_14transform_implILb1ES3_S5_PhS7_NS0_8identityIhEEEE10hipError_tT2_T3_mT4_P12ihipStream_tbEUlT_E_NS1_11comp_targetILNS1_3genE3ELNS1_11target_archE908ELNS1_3gpuE7ELNS1_3repE0EEENS1_30default_config_static_selectorELNS0_4arch9wavefront6targetE1EEEvT1_.kd
    .uniform_work_group_size: 1
    .uses_dynamic_stack: false
    .vgpr_count:     0
    .vgpr_spill_count: 0
    .wavefront_size: 64
  - .agpr_count:     0
    .args:
      - .offset:         0
        .size:           40
        .value_kind:     by_value
    .group_segment_fixed_size: 0
    .kernarg_segment_align: 8
    .kernarg_segment_size: 40
    .language:       OpenCL C
    .language_version:
      - 2
      - 0
    .max_flat_workgroup_size: 512
    .name:           _ZN7rocprim17ROCPRIM_400000_NS6detail17trampoline_kernelINS0_14default_configENS1_25transform_config_selectorIhLb1EEEZNS1_14transform_implILb1ES3_S5_PhS7_NS0_8identityIhEEEE10hipError_tT2_T3_mT4_P12ihipStream_tbEUlT_E_NS1_11comp_targetILNS1_3genE2ELNS1_11target_archE906ELNS1_3gpuE6ELNS1_3repE0EEENS1_30default_config_static_selectorELNS0_4arch9wavefront6targetE1EEEvT1_
    .private_segment_fixed_size: 0
    .sgpr_count:     4
    .sgpr_spill_count: 0
    .symbol:         _ZN7rocprim17ROCPRIM_400000_NS6detail17trampoline_kernelINS0_14default_configENS1_25transform_config_selectorIhLb1EEEZNS1_14transform_implILb1ES3_S5_PhS7_NS0_8identityIhEEEE10hipError_tT2_T3_mT4_P12ihipStream_tbEUlT_E_NS1_11comp_targetILNS1_3genE2ELNS1_11target_archE906ELNS1_3gpuE6ELNS1_3repE0EEENS1_30default_config_static_selectorELNS0_4arch9wavefront6targetE1EEEvT1_.kd
    .uniform_work_group_size: 1
    .uses_dynamic_stack: false
    .vgpr_count:     0
    .vgpr_spill_count: 0
    .wavefront_size: 64
  - .agpr_count:     0
    .args:
      - .offset:         0
        .size:           40
        .value_kind:     by_value
    .group_segment_fixed_size: 0
    .kernarg_segment_align: 8
    .kernarg_segment_size: 40
    .language:       OpenCL C
    .language_version:
      - 2
      - 0
    .max_flat_workgroup_size: 1024
    .name:           _ZN7rocprim17ROCPRIM_400000_NS6detail17trampoline_kernelINS0_14default_configENS1_25transform_config_selectorIhLb1EEEZNS1_14transform_implILb1ES3_S5_PhS7_NS0_8identityIhEEEE10hipError_tT2_T3_mT4_P12ihipStream_tbEUlT_E_NS1_11comp_targetILNS1_3genE9ELNS1_11target_archE1100ELNS1_3gpuE3ELNS1_3repE0EEENS1_30default_config_static_selectorELNS0_4arch9wavefront6targetE1EEEvT1_
    .private_segment_fixed_size: 0
    .sgpr_count:     4
    .sgpr_spill_count: 0
    .symbol:         _ZN7rocprim17ROCPRIM_400000_NS6detail17trampoline_kernelINS0_14default_configENS1_25transform_config_selectorIhLb1EEEZNS1_14transform_implILb1ES3_S5_PhS7_NS0_8identityIhEEEE10hipError_tT2_T3_mT4_P12ihipStream_tbEUlT_E_NS1_11comp_targetILNS1_3genE9ELNS1_11target_archE1100ELNS1_3gpuE3ELNS1_3repE0EEENS1_30default_config_static_selectorELNS0_4arch9wavefront6targetE1EEEvT1_.kd
    .uniform_work_group_size: 1
    .uses_dynamic_stack: false
    .vgpr_count:     0
    .vgpr_spill_count: 0
    .wavefront_size: 64
  - .agpr_count:     0
    .args:
      - .offset:         0
        .size:           40
        .value_kind:     by_value
    .group_segment_fixed_size: 0
    .kernarg_segment_align: 8
    .kernarg_segment_size: 40
    .language:       OpenCL C
    .language_version:
      - 2
      - 0
    .max_flat_workgroup_size: 1024
    .name:           _ZN7rocprim17ROCPRIM_400000_NS6detail17trampoline_kernelINS0_14default_configENS1_25transform_config_selectorIhLb1EEEZNS1_14transform_implILb1ES3_S5_PhS7_NS0_8identityIhEEEE10hipError_tT2_T3_mT4_P12ihipStream_tbEUlT_E_NS1_11comp_targetILNS1_3genE8ELNS1_11target_archE1030ELNS1_3gpuE2ELNS1_3repE0EEENS1_30default_config_static_selectorELNS0_4arch9wavefront6targetE1EEEvT1_
    .private_segment_fixed_size: 0
    .sgpr_count:     4
    .sgpr_spill_count: 0
    .symbol:         _ZN7rocprim17ROCPRIM_400000_NS6detail17trampoline_kernelINS0_14default_configENS1_25transform_config_selectorIhLb1EEEZNS1_14transform_implILb1ES3_S5_PhS7_NS0_8identityIhEEEE10hipError_tT2_T3_mT4_P12ihipStream_tbEUlT_E_NS1_11comp_targetILNS1_3genE8ELNS1_11target_archE1030ELNS1_3gpuE2ELNS1_3repE0EEENS1_30default_config_static_selectorELNS0_4arch9wavefront6targetE1EEEvT1_.kd
    .uniform_work_group_size: 1
    .uses_dynamic_stack: false
    .vgpr_count:     0
    .vgpr_spill_count: 0
    .wavefront_size: 64
  - .agpr_count:     0
    .args:
      - .offset:         0
        .size:           40
        .value_kind:     by_value
    .group_segment_fixed_size: 0
    .kernarg_segment_align: 8
    .kernarg_segment_size: 40
    .language:       OpenCL C
    .language_version:
      - 2
      - 0
    .max_flat_workgroup_size: 128
    .name:           _ZN7rocprim17ROCPRIM_400000_NS6detail17trampoline_kernelINS0_14default_configENS1_25transform_config_selectorIlLb0EEEZNS1_14transform_implILb0ES3_S5_PlN6thrust23THRUST_200600_302600_NS10device_ptrIlEENS0_8identityIlEEEE10hipError_tT2_T3_mT4_P12ihipStream_tbEUlT_E_NS1_11comp_targetILNS1_3genE0ELNS1_11target_archE4294967295ELNS1_3gpuE0ELNS1_3repE0EEENS1_30default_config_static_selectorELNS0_4arch9wavefront6targetE1EEEvT1_
    .private_segment_fixed_size: 0
    .sgpr_count:     4
    .sgpr_spill_count: 0
    .symbol:         _ZN7rocprim17ROCPRIM_400000_NS6detail17trampoline_kernelINS0_14default_configENS1_25transform_config_selectorIlLb0EEEZNS1_14transform_implILb0ES3_S5_PlN6thrust23THRUST_200600_302600_NS10device_ptrIlEENS0_8identityIlEEEE10hipError_tT2_T3_mT4_P12ihipStream_tbEUlT_E_NS1_11comp_targetILNS1_3genE0ELNS1_11target_archE4294967295ELNS1_3gpuE0ELNS1_3repE0EEENS1_30default_config_static_selectorELNS0_4arch9wavefront6targetE1EEEvT1_.kd
    .uniform_work_group_size: 1
    .uses_dynamic_stack: false
    .vgpr_count:     0
    .vgpr_spill_count: 0
    .wavefront_size: 64
  - .agpr_count:     0
    .args:
      - .offset:         0
        .size:           40
        .value_kind:     by_value
    .group_segment_fixed_size: 0
    .kernarg_segment_align: 8
    .kernarg_segment_size: 40
    .language:       OpenCL C
    .language_version:
      - 2
      - 0
    .max_flat_workgroup_size: 512
    .name:           _ZN7rocprim17ROCPRIM_400000_NS6detail17trampoline_kernelINS0_14default_configENS1_25transform_config_selectorIlLb0EEEZNS1_14transform_implILb0ES3_S5_PlN6thrust23THRUST_200600_302600_NS10device_ptrIlEENS0_8identityIlEEEE10hipError_tT2_T3_mT4_P12ihipStream_tbEUlT_E_NS1_11comp_targetILNS1_3genE5ELNS1_11target_archE942ELNS1_3gpuE9ELNS1_3repE0EEENS1_30default_config_static_selectorELNS0_4arch9wavefront6targetE1EEEvT1_
    .private_segment_fixed_size: 0
    .sgpr_count:     4
    .sgpr_spill_count: 0
    .symbol:         _ZN7rocprim17ROCPRIM_400000_NS6detail17trampoline_kernelINS0_14default_configENS1_25transform_config_selectorIlLb0EEEZNS1_14transform_implILb0ES3_S5_PlN6thrust23THRUST_200600_302600_NS10device_ptrIlEENS0_8identityIlEEEE10hipError_tT2_T3_mT4_P12ihipStream_tbEUlT_E_NS1_11comp_targetILNS1_3genE5ELNS1_11target_archE942ELNS1_3gpuE9ELNS1_3repE0EEENS1_30default_config_static_selectorELNS0_4arch9wavefront6targetE1EEEvT1_.kd
    .uniform_work_group_size: 1
    .uses_dynamic_stack: false
    .vgpr_count:     0
    .vgpr_spill_count: 0
    .wavefront_size: 64
  - .agpr_count:     0
    .args:
      - .offset:         0
        .size:           40
        .value_kind:     by_value
      - .offset:         40
        .size:           4
        .value_kind:     hidden_block_count_x
      - .offset:         44
        .size:           4
        .value_kind:     hidden_block_count_y
      - .offset:         48
        .size:           4
        .value_kind:     hidden_block_count_z
      - .offset:         52
        .size:           2
        .value_kind:     hidden_group_size_x
      - .offset:         54
        .size:           2
        .value_kind:     hidden_group_size_y
      - .offset:         56
        .size:           2
        .value_kind:     hidden_group_size_z
      - .offset:         58
        .size:           2
        .value_kind:     hidden_remainder_x
      - .offset:         60
        .size:           2
        .value_kind:     hidden_remainder_y
      - .offset:         62
        .size:           2
        .value_kind:     hidden_remainder_z
      - .offset:         80
        .size:           8
        .value_kind:     hidden_global_offset_x
      - .offset:         88
        .size:           8
        .value_kind:     hidden_global_offset_y
      - .offset:         96
        .size:           8
        .value_kind:     hidden_global_offset_z
      - .offset:         104
        .size:           2
        .value_kind:     hidden_grid_dims
    .group_segment_fixed_size: 0
    .kernarg_segment_align: 8
    .kernarg_segment_size: 296
    .language:       OpenCL C
    .language_version:
      - 2
      - 0
    .max_flat_workgroup_size: 256
    .name:           _ZN7rocprim17ROCPRIM_400000_NS6detail17trampoline_kernelINS0_14default_configENS1_25transform_config_selectorIlLb0EEEZNS1_14transform_implILb0ES3_S5_PlN6thrust23THRUST_200600_302600_NS10device_ptrIlEENS0_8identityIlEEEE10hipError_tT2_T3_mT4_P12ihipStream_tbEUlT_E_NS1_11comp_targetILNS1_3genE4ELNS1_11target_archE910ELNS1_3gpuE8ELNS1_3repE0EEENS1_30default_config_static_selectorELNS0_4arch9wavefront6targetE1EEEvT1_
    .private_segment_fixed_size: 0
    .sgpr_count:     20
    .sgpr_spill_count: 0
    .symbol:         _ZN7rocprim17ROCPRIM_400000_NS6detail17trampoline_kernelINS0_14default_configENS1_25transform_config_selectorIlLb0EEEZNS1_14transform_implILb0ES3_S5_PlN6thrust23THRUST_200600_302600_NS10device_ptrIlEENS0_8identityIlEEEE10hipError_tT2_T3_mT4_P12ihipStream_tbEUlT_E_NS1_11comp_targetILNS1_3genE4ELNS1_11target_archE910ELNS1_3gpuE8ELNS1_3repE0EEENS1_30default_config_static_selectorELNS0_4arch9wavefront6targetE1EEEvT1_.kd
    .uniform_work_group_size: 1
    .uses_dynamic_stack: false
    .vgpr_count:     9
    .vgpr_spill_count: 0
    .wavefront_size: 64
  - .agpr_count:     0
    .args:
      - .offset:         0
        .size:           40
        .value_kind:     by_value
    .group_segment_fixed_size: 0
    .kernarg_segment_align: 8
    .kernarg_segment_size: 40
    .language:       OpenCL C
    .language_version:
      - 2
      - 0
    .max_flat_workgroup_size: 128
    .name:           _ZN7rocprim17ROCPRIM_400000_NS6detail17trampoline_kernelINS0_14default_configENS1_25transform_config_selectorIlLb0EEEZNS1_14transform_implILb0ES3_S5_PlN6thrust23THRUST_200600_302600_NS10device_ptrIlEENS0_8identityIlEEEE10hipError_tT2_T3_mT4_P12ihipStream_tbEUlT_E_NS1_11comp_targetILNS1_3genE3ELNS1_11target_archE908ELNS1_3gpuE7ELNS1_3repE0EEENS1_30default_config_static_selectorELNS0_4arch9wavefront6targetE1EEEvT1_
    .private_segment_fixed_size: 0
    .sgpr_count:     4
    .sgpr_spill_count: 0
    .symbol:         _ZN7rocprim17ROCPRIM_400000_NS6detail17trampoline_kernelINS0_14default_configENS1_25transform_config_selectorIlLb0EEEZNS1_14transform_implILb0ES3_S5_PlN6thrust23THRUST_200600_302600_NS10device_ptrIlEENS0_8identityIlEEEE10hipError_tT2_T3_mT4_P12ihipStream_tbEUlT_E_NS1_11comp_targetILNS1_3genE3ELNS1_11target_archE908ELNS1_3gpuE7ELNS1_3repE0EEENS1_30default_config_static_selectorELNS0_4arch9wavefront6targetE1EEEvT1_.kd
    .uniform_work_group_size: 1
    .uses_dynamic_stack: false
    .vgpr_count:     0
    .vgpr_spill_count: 0
    .wavefront_size: 64
  - .agpr_count:     0
    .args:
      - .offset:         0
        .size:           40
        .value_kind:     by_value
    .group_segment_fixed_size: 0
    .kernarg_segment_align: 8
    .kernarg_segment_size: 40
    .language:       OpenCL C
    .language_version:
      - 2
      - 0
    .max_flat_workgroup_size: 512
    .name:           _ZN7rocprim17ROCPRIM_400000_NS6detail17trampoline_kernelINS0_14default_configENS1_25transform_config_selectorIlLb0EEEZNS1_14transform_implILb0ES3_S5_PlN6thrust23THRUST_200600_302600_NS10device_ptrIlEENS0_8identityIlEEEE10hipError_tT2_T3_mT4_P12ihipStream_tbEUlT_E_NS1_11comp_targetILNS1_3genE2ELNS1_11target_archE906ELNS1_3gpuE6ELNS1_3repE0EEENS1_30default_config_static_selectorELNS0_4arch9wavefront6targetE1EEEvT1_
    .private_segment_fixed_size: 0
    .sgpr_count:     4
    .sgpr_spill_count: 0
    .symbol:         _ZN7rocprim17ROCPRIM_400000_NS6detail17trampoline_kernelINS0_14default_configENS1_25transform_config_selectorIlLb0EEEZNS1_14transform_implILb0ES3_S5_PlN6thrust23THRUST_200600_302600_NS10device_ptrIlEENS0_8identityIlEEEE10hipError_tT2_T3_mT4_P12ihipStream_tbEUlT_E_NS1_11comp_targetILNS1_3genE2ELNS1_11target_archE906ELNS1_3gpuE6ELNS1_3repE0EEENS1_30default_config_static_selectorELNS0_4arch9wavefront6targetE1EEEvT1_.kd
    .uniform_work_group_size: 1
    .uses_dynamic_stack: false
    .vgpr_count:     0
    .vgpr_spill_count: 0
    .wavefront_size: 64
  - .agpr_count:     0
    .args:
      - .offset:         0
        .size:           40
        .value_kind:     by_value
    .group_segment_fixed_size: 0
    .kernarg_segment_align: 8
    .kernarg_segment_size: 40
    .language:       OpenCL C
    .language_version:
      - 2
      - 0
    .max_flat_workgroup_size: 1024
    .name:           _ZN7rocprim17ROCPRIM_400000_NS6detail17trampoline_kernelINS0_14default_configENS1_25transform_config_selectorIlLb0EEEZNS1_14transform_implILb0ES3_S5_PlN6thrust23THRUST_200600_302600_NS10device_ptrIlEENS0_8identityIlEEEE10hipError_tT2_T3_mT4_P12ihipStream_tbEUlT_E_NS1_11comp_targetILNS1_3genE10ELNS1_11target_archE1201ELNS1_3gpuE5ELNS1_3repE0EEENS1_30default_config_static_selectorELNS0_4arch9wavefront6targetE1EEEvT1_
    .private_segment_fixed_size: 0
    .sgpr_count:     4
    .sgpr_spill_count: 0
    .symbol:         _ZN7rocprim17ROCPRIM_400000_NS6detail17trampoline_kernelINS0_14default_configENS1_25transform_config_selectorIlLb0EEEZNS1_14transform_implILb0ES3_S5_PlN6thrust23THRUST_200600_302600_NS10device_ptrIlEENS0_8identityIlEEEE10hipError_tT2_T3_mT4_P12ihipStream_tbEUlT_E_NS1_11comp_targetILNS1_3genE10ELNS1_11target_archE1201ELNS1_3gpuE5ELNS1_3repE0EEENS1_30default_config_static_selectorELNS0_4arch9wavefront6targetE1EEEvT1_.kd
    .uniform_work_group_size: 1
    .uses_dynamic_stack: false
    .vgpr_count:     0
    .vgpr_spill_count: 0
    .wavefront_size: 64
  - .agpr_count:     0
    .args:
      - .offset:         0
        .size:           40
        .value_kind:     by_value
    .group_segment_fixed_size: 0
    .kernarg_segment_align: 8
    .kernarg_segment_size: 40
    .language:       OpenCL C
    .language_version:
      - 2
      - 0
    .max_flat_workgroup_size: 512
    .name:           _ZN7rocprim17ROCPRIM_400000_NS6detail17trampoline_kernelINS0_14default_configENS1_25transform_config_selectorIlLb0EEEZNS1_14transform_implILb0ES3_S5_PlN6thrust23THRUST_200600_302600_NS10device_ptrIlEENS0_8identityIlEEEE10hipError_tT2_T3_mT4_P12ihipStream_tbEUlT_E_NS1_11comp_targetILNS1_3genE10ELNS1_11target_archE1200ELNS1_3gpuE4ELNS1_3repE0EEENS1_30default_config_static_selectorELNS0_4arch9wavefront6targetE1EEEvT1_
    .private_segment_fixed_size: 0
    .sgpr_count:     4
    .sgpr_spill_count: 0
    .symbol:         _ZN7rocprim17ROCPRIM_400000_NS6detail17trampoline_kernelINS0_14default_configENS1_25transform_config_selectorIlLb0EEEZNS1_14transform_implILb0ES3_S5_PlN6thrust23THRUST_200600_302600_NS10device_ptrIlEENS0_8identityIlEEEE10hipError_tT2_T3_mT4_P12ihipStream_tbEUlT_E_NS1_11comp_targetILNS1_3genE10ELNS1_11target_archE1200ELNS1_3gpuE4ELNS1_3repE0EEENS1_30default_config_static_selectorELNS0_4arch9wavefront6targetE1EEEvT1_.kd
    .uniform_work_group_size: 1
    .uses_dynamic_stack: false
    .vgpr_count:     0
    .vgpr_spill_count: 0
    .wavefront_size: 64
  - .agpr_count:     0
    .args:
      - .offset:         0
        .size:           40
        .value_kind:     by_value
    .group_segment_fixed_size: 0
    .kernarg_segment_align: 8
    .kernarg_segment_size: 40
    .language:       OpenCL C
    .language_version:
      - 2
      - 0
    .max_flat_workgroup_size: 512
    .name:           _ZN7rocprim17ROCPRIM_400000_NS6detail17trampoline_kernelINS0_14default_configENS1_25transform_config_selectorIlLb0EEEZNS1_14transform_implILb0ES3_S5_PlN6thrust23THRUST_200600_302600_NS10device_ptrIlEENS0_8identityIlEEEE10hipError_tT2_T3_mT4_P12ihipStream_tbEUlT_E_NS1_11comp_targetILNS1_3genE9ELNS1_11target_archE1100ELNS1_3gpuE3ELNS1_3repE0EEENS1_30default_config_static_selectorELNS0_4arch9wavefront6targetE1EEEvT1_
    .private_segment_fixed_size: 0
    .sgpr_count:     4
    .sgpr_spill_count: 0
    .symbol:         _ZN7rocprim17ROCPRIM_400000_NS6detail17trampoline_kernelINS0_14default_configENS1_25transform_config_selectorIlLb0EEEZNS1_14transform_implILb0ES3_S5_PlN6thrust23THRUST_200600_302600_NS10device_ptrIlEENS0_8identityIlEEEE10hipError_tT2_T3_mT4_P12ihipStream_tbEUlT_E_NS1_11comp_targetILNS1_3genE9ELNS1_11target_archE1100ELNS1_3gpuE3ELNS1_3repE0EEENS1_30default_config_static_selectorELNS0_4arch9wavefront6targetE1EEEvT1_.kd
    .uniform_work_group_size: 1
    .uses_dynamic_stack: false
    .vgpr_count:     0
    .vgpr_spill_count: 0
    .wavefront_size: 64
  - .agpr_count:     0
    .args:
      - .offset:         0
        .size:           40
        .value_kind:     by_value
    .group_segment_fixed_size: 0
    .kernarg_segment_align: 8
    .kernarg_segment_size: 40
    .language:       OpenCL C
    .language_version:
      - 2
      - 0
    .max_flat_workgroup_size: 512
    .name:           _ZN7rocprim17ROCPRIM_400000_NS6detail17trampoline_kernelINS0_14default_configENS1_25transform_config_selectorIlLb0EEEZNS1_14transform_implILb0ES3_S5_PlN6thrust23THRUST_200600_302600_NS10device_ptrIlEENS0_8identityIlEEEE10hipError_tT2_T3_mT4_P12ihipStream_tbEUlT_E_NS1_11comp_targetILNS1_3genE8ELNS1_11target_archE1030ELNS1_3gpuE2ELNS1_3repE0EEENS1_30default_config_static_selectorELNS0_4arch9wavefront6targetE1EEEvT1_
    .private_segment_fixed_size: 0
    .sgpr_count:     4
    .sgpr_spill_count: 0
    .symbol:         _ZN7rocprim17ROCPRIM_400000_NS6detail17trampoline_kernelINS0_14default_configENS1_25transform_config_selectorIlLb0EEEZNS1_14transform_implILb0ES3_S5_PlN6thrust23THRUST_200600_302600_NS10device_ptrIlEENS0_8identityIlEEEE10hipError_tT2_T3_mT4_P12ihipStream_tbEUlT_E_NS1_11comp_targetILNS1_3genE8ELNS1_11target_archE1030ELNS1_3gpuE2ELNS1_3repE0EEENS1_30default_config_static_selectorELNS0_4arch9wavefront6targetE1EEEvT1_.kd
    .uniform_work_group_size: 1
    .uses_dynamic_stack: false
    .vgpr_count:     0
    .vgpr_spill_count: 0
    .wavefront_size: 64
  - .agpr_count:     0
    .args:
      - .offset:         0
        .size:           40
        .value_kind:     by_value
    .group_segment_fixed_size: 0
    .kernarg_segment_align: 8
    .kernarg_segment_size: 40
    .language:       OpenCL C
    .language_version:
      - 2
      - 0
    .max_flat_workgroup_size: 128
    .name:           _ZN7rocprim17ROCPRIM_400000_NS6detail17trampoline_kernelINS0_14default_configENS1_38merge_sort_block_merge_config_selectorIhlEEZZNS1_27merge_sort_block_merge_implIS3_PhN6thrust23THRUST_200600_302600_NS10device_ptrIlEEjNS1_19radix_merge_compareILb0ELb1EhNS0_19identity_decomposerEEEEE10hipError_tT0_T1_T2_jT3_P12ihipStream_tbPNSt15iterator_traitsISG_E10value_typeEPNSM_ISH_E10value_typeEPSI_NS1_7vsmem_tEENKUlT_SG_SH_SI_E_clIS7_S7_PlSB_EESF_SV_SG_SH_SI_EUlSV_E_NS1_11comp_targetILNS1_3genE0ELNS1_11target_archE4294967295ELNS1_3gpuE0ELNS1_3repE0EEENS1_48merge_mergepath_partition_config_static_selectorELNS0_4arch9wavefront6targetE1EEEvSH_
    .private_segment_fixed_size: 0
    .sgpr_count:     4
    .sgpr_spill_count: 0
    .symbol:         _ZN7rocprim17ROCPRIM_400000_NS6detail17trampoline_kernelINS0_14default_configENS1_38merge_sort_block_merge_config_selectorIhlEEZZNS1_27merge_sort_block_merge_implIS3_PhN6thrust23THRUST_200600_302600_NS10device_ptrIlEEjNS1_19radix_merge_compareILb0ELb1EhNS0_19identity_decomposerEEEEE10hipError_tT0_T1_T2_jT3_P12ihipStream_tbPNSt15iterator_traitsISG_E10value_typeEPNSM_ISH_E10value_typeEPSI_NS1_7vsmem_tEENKUlT_SG_SH_SI_E_clIS7_S7_PlSB_EESF_SV_SG_SH_SI_EUlSV_E_NS1_11comp_targetILNS1_3genE0ELNS1_11target_archE4294967295ELNS1_3gpuE0ELNS1_3repE0EEENS1_48merge_mergepath_partition_config_static_selectorELNS0_4arch9wavefront6targetE1EEEvSH_.kd
    .uniform_work_group_size: 1
    .uses_dynamic_stack: false
    .vgpr_count:     0
    .vgpr_spill_count: 0
    .wavefront_size: 64
  - .agpr_count:     0
    .args:
      - .offset:         0
        .size:           40
        .value_kind:     by_value
    .group_segment_fixed_size: 0
    .kernarg_segment_align: 8
    .kernarg_segment_size: 40
    .language:       OpenCL C
    .language_version:
      - 2
      - 0
    .max_flat_workgroup_size: 128
    .name:           _ZN7rocprim17ROCPRIM_400000_NS6detail17trampoline_kernelINS0_14default_configENS1_38merge_sort_block_merge_config_selectorIhlEEZZNS1_27merge_sort_block_merge_implIS3_PhN6thrust23THRUST_200600_302600_NS10device_ptrIlEEjNS1_19radix_merge_compareILb0ELb1EhNS0_19identity_decomposerEEEEE10hipError_tT0_T1_T2_jT3_P12ihipStream_tbPNSt15iterator_traitsISG_E10value_typeEPNSM_ISH_E10value_typeEPSI_NS1_7vsmem_tEENKUlT_SG_SH_SI_E_clIS7_S7_PlSB_EESF_SV_SG_SH_SI_EUlSV_E_NS1_11comp_targetILNS1_3genE10ELNS1_11target_archE1201ELNS1_3gpuE5ELNS1_3repE0EEENS1_48merge_mergepath_partition_config_static_selectorELNS0_4arch9wavefront6targetE1EEEvSH_
    .private_segment_fixed_size: 0
    .sgpr_count:     4
    .sgpr_spill_count: 0
    .symbol:         _ZN7rocprim17ROCPRIM_400000_NS6detail17trampoline_kernelINS0_14default_configENS1_38merge_sort_block_merge_config_selectorIhlEEZZNS1_27merge_sort_block_merge_implIS3_PhN6thrust23THRUST_200600_302600_NS10device_ptrIlEEjNS1_19radix_merge_compareILb0ELb1EhNS0_19identity_decomposerEEEEE10hipError_tT0_T1_T2_jT3_P12ihipStream_tbPNSt15iterator_traitsISG_E10value_typeEPNSM_ISH_E10value_typeEPSI_NS1_7vsmem_tEENKUlT_SG_SH_SI_E_clIS7_S7_PlSB_EESF_SV_SG_SH_SI_EUlSV_E_NS1_11comp_targetILNS1_3genE10ELNS1_11target_archE1201ELNS1_3gpuE5ELNS1_3repE0EEENS1_48merge_mergepath_partition_config_static_selectorELNS0_4arch9wavefront6targetE1EEEvSH_.kd
    .uniform_work_group_size: 1
    .uses_dynamic_stack: false
    .vgpr_count:     0
    .vgpr_spill_count: 0
    .wavefront_size: 64
  - .agpr_count:     0
    .args:
      - .offset:         0
        .size:           40
        .value_kind:     by_value
    .group_segment_fixed_size: 0
    .kernarg_segment_align: 8
    .kernarg_segment_size: 40
    .language:       OpenCL C
    .language_version:
      - 2
      - 0
    .max_flat_workgroup_size: 128
    .name:           _ZN7rocprim17ROCPRIM_400000_NS6detail17trampoline_kernelINS0_14default_configENS1_38merge_sort_block_merge_config_selectorIhlEEZZNS1_27merge_sort_block_merge_implIS3_PhN6thrust23THRUST_200600_302600_NS10device_ptrIlEEjNS1_19radix_merge_compareILb0ELb1EhNS0_19identity_decomposerEEEEE10hipError_tT0_T1_T2_jT3_P12ihipStream_tbPNSt15iterator_traitsISG_E10value_typeEPNSM_ISH_E10value_typeEPSI_NS1_7vsmem_tEENKUlT_SG_SH_SI_E_clIS7_S7_PlSB_EESF_SV_SG_SH_SI_EUlSV_E_NS1_11comp_targetILNS1_3genE5ELNS1_11target_archE942ELNS1_3gpuE9ELNS1_3repE0EEENS1_48merge_mergepath_partition_config_static_selectorELNS0_4arch9wavefront6targetE1EEEvSH_
    .private_segment_fixed_size: 0
    .sgpr_count:     4
    .sgpr_spill_count: 0
    .symbol:         _ZN7rocprim17ROCPRIM_400000_NS6detail17trampoline_kernelINS0_14default_configENS1_38merge_sort_block_merge_config_selectorIhlEEZZNS1_27merge_sort_block_merge_implIS3_PhN6thrust23THRUST_200600_302600_NS10device_ptrIlEEjNS1_19radix_merge_compareILb0ELb1EhNS0_19identity_decomposerEEEEE10hipError_tT0_T1_T2_jT3_P12ihipStream_tbPNSt15iterator_traitsISG_E10value_typeEPNSM_ISH_E10value_typeEPSI_NS1_7vsmem_tEENKUlT_SG_SH_SI_E_clIS7_S7_PlSB_EESF_SV_SG_SH_SI_EUlSV_E_NS1_11comp_targetILNS1_3genE5ELNS1_11target_archE942ELNS1_3gpuE9ELNS1_3repE0EEENS1_48merge_mergepath_partition_config_static_selectorELNS0_4arch9wavefront6targetE1EEEvSH_.kd
    .uniform_work_group_size: 1
    .uses_dynamic_stack: false
    .vgpr_count:     0
    .vgpr_spill_count: 0
    .wavefront_size: 64
  - .agpr_count:     0
    .args:
      - .offset:         0
        .size:           40
        .value_kind:     by_value
    .group_segment_fixed_size: 0
    .kernarg_segment_align: 8
    .kernarg_segment_size: 40
    .language:       OpenCL C
    .language_version:
      - 2
      - 0
    .max_flat_workgroup_size: 128
    .name:           _ZN7rocprim17ROCPRIM_400000_NS6detail17trampoline_kernelINS0_14default_configENS1_38merge_sort_block_merge_config_selectorIhlEEZZNS1_27merge_sort_block_merge_implIS3_PhN6thrust23THRUST_200600_302600_NS10device_ptrIlEEjNS1_19radix_merge_compareILb0ELb1EhNS0_19identity_decomposerEEEEE10hipError_tT0_T1_T2_jT3_P12ihipStream_tbPNSt15iterator_traitsISG_E10value_typeEPNSM_ISH_E10value_typeEPSI_NS1_7vsmem_tEENKUlT_SG_SH_SI_E_clIS7_S7_PlSB_EESF_SV_SG_SH_SI_EUlSV_E_NS1_11comp_targetILNS1_3genE4ELNS1_11target_archE910ELNS1_3gpuE8ELNS1_3repE0EEENS1_48merge_mergepath_partition_config_static_selectorELNS0_4arch9wavefront6targetE1EEEvSH_
    .private_segment_fixed_size: 0
    .sgpr_count:     14
    .sgpr_spill_count: 0
    .symbol:         _ZN7rocprim17ROCPRIM_400000_NS6detail17trampoline_kernelINS0_14default_configENS1_38merge_sort_block_merge_config_selectorIhlEEZZNS1_27merge_sort_block_merge_implIS3_PhN6thrust23THRUST_200600_302600_NS10device_ptrIlEEjNS1_19radix_merge_compareILb0ELb1EhNS0_19identity_decomposerEEEEE10hipError_tT0_T1_T2_jT3_P12ihipStream_tbPNSt15iterator_traitsISG_E10value_typeEPNSM_ISH_E10value_typeEPSI_NS1_7vsmem_tEENKUlT_SG_SH_SI_E_clIS7_S7_PlSB_EESF_SV_SG_SH_SI_EUlSV_E_NS1_11comp_targetILNS1_3genE4ELNS1_11target_archE910ELNS1_3gpuE8ELNS1_3repE0EEENS1_48merge_mergepath_partition_config_static_selectorELNS0_4arch9wavefront6targetE1EEEvSH_.kd
    .uniform_work_group_size: 1
    .uses_dynamic_stack: false
    .vgpr_count:     16
    .vgpr_spill_count: 0
    .wavefront_size: 64
  - .agpr_count:     0
    .args:
      - .offset:         0
        .size:           40
        .value_kind:     by_value
    .group_segment_fixed_size: 0
    .kernarg_segment_align: 8
    .kernarg_segment_size: 40
    .language:       OpenCL C
    .language_version:
      - 2
      - 0
    .max_flat_workgroup_size: 128
    .name:           _ZN7rocprim17ROCPRIM_400000_NS6detail17trampoline_kernelINS0_14default_configENS1_38merge_sort_block_merge_config_selectorIhlEEZZNS1_27merge_sort_block_merge_implIS3_PhN6thrust23THRUST_200600_302600_NS10device_ptrIlEEjNS1_19radix_merge_compareILb0ELb1EhNS0_19identity_decomposerEEEEE10hipError_tT0_T1_T2_jT3_P12ihipStream_tbPNSt15iterator_traitsISG_E10value_typeEPNSM_ISH_E10value_typeEPSI_NS1_7vsmem_tEENKUlT_SG_SH_SI_E_clIS7_S7_PlSB_EESF_SV_SG_SH_SI_EUlSV_E_NS1_11comp_targetILNS1_3genE3ELNS1_11target_archE908ELNS1_3gpuE7ELNS1_3repE0EEENS1_48merge_mergepath_partition_config_static_selectorELNS0_4arch9wavefront6targetE1EEEvSH_
    .private_segment_fixed_size: 0
    .sgpr_count:     4
    .sgpr_spill_count: 0
    .symbol:         _ZN7rocprim17ROCPRIM_400000_NS6detail17trampoline_kernelINS0_14default_configENS1_38merge_sort_block_merge_config_selectorIhlEEZZNS1_27merge_sort_block_merge_implIS3_PhN6thrust23THRUST_200600_302600_NS10device_ptrIlEEjNS1_19radix_merge_compareILb0ELb1EhNS0_19identity_decomposerEEEEE10hipError_tT0_T1_T2_jT3_P12ihipStream_tbPNSt15iterator_traitsISG_E10value_typeEPNSM_ISH_E10value_typeEPSI_NS1_7vsmem_tEENKUlT_SG_SH_SI_E_clIS7_S7_PlSB_EESF_SV_SG_SH_SI_EUlSV_E_NS1_11comp_targetILNS1_3genE3ELNS1_11target_archE908ELNS1_3gpuE7ELNS1_3repE0EEENS1_48merge_mergepath_partition_config_static_selectorELNS0_4arch9wavefront6targetE1EEEvSH_.kd
    .uniform_work_group_size: 1
    .uses_dynamic_stack: false
    .vgpr_count:     0
    .vgpr_spill_count: 0
    .wavefront_size: 64
  - .agpr_count:     0
    .args:
      - .offset:         0
        .size:           40
        .value_kind:     by_value
    .group_segment_fixed_size: 0
    .kernarg_segment_align: 8
    .kernarg_segment_size: 40
    .language:       OpenCL C
    .language_version:
      - 2
      - 0
    .max_flat_workgroup_size: 128
    .name:           _ZN7rocprim17ROCPRIM_400000_NS6detail17trampoline_kernelINS0_14default_configENS1_38merge_sort_block_merge_config_selectorIhlEEZZNS1_27merge_sort_block_merge_implIS3_PhN6thrust23THRUST_200600_302600_NS10device_ptrIlEEjNS1_19radix_merge_compareILb0ELb1EhNS0_19identity_decomposerEEEEE10hipError_tT0_T1_T2_jT3_P12ihipStream_tbPNSt15iterator_traitsISG_E10value_typeEPNSM_ISH_E10value_typeEPSI_NS1_7vsmem_tEENKUlT_SG_SH_SI_E_clIS7_S7_PlSB_EESF_SV_SG_SH_SI_EUlSV_E_NS1_11comp_targetILNS1_3genE2ELNS1_11target_archE906ELNS1_3gpuE6ELNS1_3repE0EEENS1_48merge_mergepath_partition_config_static_selectorELNS0_4arch9wavefront6targetE1EEEvSH_
    .private_segment_fixed_size: 0
    .sgpr_count:     4
    .sgpr_spill_count: 0
    .symbol:         _ZN7rocprim17ROCPRIM_400000_NS6detail17trampoline_kernelINS0_14default_configENS1_38merge_sort_block_merge_config_selectorIhlEEZZNS1_27merge_sort_block_merge_implIS3_PhN6thrust23THRUST_200600_302600_NS10device_ptrIlEEjNS1_19radix_merge_compareILb0ELb1EhNS0_19identity_decomposerEEEEE10hipError_tT0_T1_T2_jT3_P12ihipStream_tbPNSt15iterator_traitsISG_E10value_typeEPNSM_ISH_E10value_typeEPSI_NS1_7vsmem_tEENKUlT_SG_SH_SI_E_clIS7_S7_PlSB_EESF_SV_SG_SH_SI_EUlSV_E_NS1_11comp_targetILNS1_3genE2ELNS1_11target_archE906ELNS1_3gpuE6ELNS1_3repE0EEENS1_48merge_mergepath_partition_config_static_selectorELNS0_4arch9wavefront6targetE1EEEvSH_.kd
    .uniform_work_group_size: 1
    .uses_dynamic_stack: false
    .vgpr_count:     0
    .vgpr_spill_count: 0
    .wavefront_size: 64
  - .agpr_count:     0
    .args:
      - .offset:         0
        .size:           40
        .value_kind:     by_value
    .group_segment_fixed_size: 0
    .kernarg_segment_align: 8
    .kernarg_segment_size: 40
    .language:       OpenCL C
    .language_version:
      - 2
      - 0
    .max_flat_workgroup_size: 128
    .name:           _ZN7rocprim17ROCPRIM_400000_NS6detail17trampoline_kernelINS0_14default_configENS1_38merge_sort_block_merge_config_selectorIhlEEZZNS1_27merge_sort_block_merge_implIS3_PhN6thrust23THRUST_200600_302600_NS10device_ptrIlEEjNS1_19radix_merge_compareILb0ELb1EhNS0_19identity_decomposerEEEEE10hipError_tT0_T1_T2_jT3_P12ihipStream_tbPNSt15iterator_traitsISG_E10value_typeEPNSM_ISH_E10value_typeEPSI_NS1_7vsmem_tEENKUlT_SG_SH_SI_E_clIS7_S7_PlSB_EESF_SV_SG_SH_SI_EUlSV_E_NS1_11comp_targetILNS1_3genE9ELNS1_11target_archE1100ELNS1_3gpuE3ELNS1_3repE0EEENS1_48merge_mergepath_partition_config_static_selectorELNS0_4arch9wavefront6targetE1EEEvSH_
    .private_segment_fixed_size: 0
    .sgpr_count:     4
    .sgpr_spill_count: 0
    .symbol:         _ZN7rocprim17ROCPRIM_400000_NS6detail17trampoline_kernelINS0_14default_configENS1_38merge_sort_block_merge_config_selectorIhlEEZZNS1_27merge_sort_block_merge_implIS3_PhN6thrust23THRUST_200600_302600_NS10device_ptrIlEEjNS1_19radix_merge_compareILb0ELb1EhNS0_19identity_decomposerEEEEE10hipError_tT0_T1_T2_jT3_P12ihipStream_tbPNSt15iterator_traitsISG_E10value_typeEPNSM_ISH_E10value_typeEPSI_NS1_7vsmem_tEENKUlT_SG_SH_SI_E_clIS7_S7_PlSB_EESF_SV_SG_SH_SI_EUlSV_E_NS1_11comp_targetILNS1_3genE9ELNS1_11target_archE1100ELNS1_3gpuE3ELNS1_3repE0EEENS1_48merge_mergepath_partition_config_static_selectorELNS0_4arch9wavefront6targetE1EEEvSH_.kd
    .uniform_work_group_size: 1
    .uses_dynamic_stack: false
    .vgpr_count:     0
    .vgpr_spill_count: 0
    .wavefront_size: 64
  - .agpr_count:     0
    .args:
      - .offset:         0
        .size:           40
        .value_kind:     by_value
    .group_segment_fixed_size: 0
    .kernarg_segment_align: 8
    .kernarg_segment_size: 40
    .language:       OpenCL C
    .language_version:
      - 2
      - 0
    .max_flat_workgroup_size: 128
    .name:           _ZN7rocprim17ROCPRIM_400000_NS6detail17trampoline_kernelINS0_14default_configENS1_38merge_sort_block_merge_config_selectorIhlEEZZNS1_27merge_sort_block_merge_implIS3_PhN6thrust23THRUST_200600_302600_NS10device_ptrIlEEjNS1_19radix_merge_compareILb0ELb1EhNS0_19identity_decomposerEEEEE10hipError_tT0_T1_T2_jT3_P12ihipStream_tbPNSt15iterator_traitsISG_E10value_typeEPNSM_ISH_E10value_typeEPSI_NS1_7vsmem_tEENKUlT_SG_SH_SI_E_clIS7_S7_PlSB_EESF_SV_SG_SH_SI_EUlSV_E_NS1_11comp_targetILNS1_3genE8ELNS1_11target_archE1030ELNS1_3gpuE2ELNS1_3repE0EEENS1_48merge_mergepath_partition_config_static_selectorELNS0_4arch9wavefront6targetE1EEEvSH_
    .private_segment_fixed_size: 0
    .sgpr_count:     4
    .sgpr_spill_count: 0
    .symbol:         _ZN7rocprim17ROCPRIM_400000_NS6detail17trampoline_kernelINS0_14default_configENS1_38merge_sort_block_merge_config_selectorIhlEEZZNS1_27merge_sort_block_merge_implIS3_PhN6thrust23THRUST_200600_302600_NS10device_ptrIlEEjNS1_19radix_merge_compareILb0ELb1EhNS0_19identity_decomposerEEEEE10hipError_tT0_T1_T2_jT3_P12ihipStream_tbPNSt15iterator_traitsISG_E10value_typeEPNSM_ISH_E10value_typeEPSI_NS1_7vsmem_tEENKUlT_SG_SH_SI_E_clIS7_S7_PlSB_EESF_SV_SG_SH_SI_EUlSV_E_NS1_11comp_targetILNS1_3genE8ELNS1_11target_archE1030ELNS1_3gpuE2ELNS1_3repE0EEENS1_48merge_mergepath_partition_config_static_selectorELNS0_4arch9wavefront6targetE1EEEvSH_.kd
    .uniform_work_group_size: 1
    .uses_dynamic_stack: false
    .vgpr_count:     0
    .vgpr_spill_count: 0
    .wavefront_size: 64
  - .agpr_count:     0
    .args:
      - .offset:         0
        .size:           64
        .value_kind:     by_value
    .group_segment_fixed_size: 0
    .kernarg_segment_align: 8
    .kernarg_segment_size: 64
    .language:       OpenCL C
    .language_version:
      - 2
      - 0
    .max_flat_workgroup_size: 512
    .name:           _ZN7rocprim17ROCPRIM_400000_NS6detail17trampoline_kernelINS0_14default_configENS1_38merge_sort_block_merge_config_selectorIhlEEZZNS1_27merge_sort_block_merge_implIS3_PhN6thrust23THRUST_200600_302600_NS10device_ptrIlEEjNS1_19radix_merge_compareILb0ELb1EhNS0_19identity_decomposerEEEEE10hipError_tT0_T1_T2_jT3_P12ihipStream_tbPNSt15iterator_traitsISG_E10value_typeEPNSM_ISH_E10value_typeEPSI_NS1_7vsmem_tEENKUlT_SG_SH_SI_E_clIS7_S7_PlSB_EESF_SV_SG_SH_SI_EUlSV_E0_NS1_11comp_targetILNS1_3genE0ELNS1_11target_archE4294967295ELNS1_3gpuE0ELNS1_3repE0EEENS1_38merge_mergepath_config_static_selectorELNS0_4arch9wavefront6targetE1EEEvSH_
    .private_segment_fixed_size: 0
    .sgpr_count:     4
    .sgpr_spill_count: 0
    .symbol:         _ZN7rocprim17ROCPRIM_400000_NS6detail17trampoline_kernelINS0_14default_configENS1_38merge_sort_block_merge_config_selectorIhlEEZZNS1_27merge_sort_block_merge_implIS3_PhN6thrust23THRUST_200600_302600_NS10device_ptrIlEEjNS1_19radix_merge_compareILb0ELb1EhNS0_19identity_decomposerEEEEE10hipError_tT0_T1_T2_jT3_P12ihipStream_tbPNSt15iterator_traitsISG_E10value_typeEPNSM_ISH_E10value_typeEPSI_NS1_7vsmem_tEENKUlT_SG_SH_SI_E_clIS7_S7_PlSB_EESF_SV_SG_SH_SI_EUlSV_E0_NS1_11comp_targetILNS1_3genE0ELNS1_11target_archE4294967295ELNS1_3gpuE0ELNS1_3repE0EEENS1_38merge_mergepath_config_static_selectorELNS0_4arch9wavefront6targetE1EEEvSH_.kd
    .uniform_work_group_size: 1
    .uses_dynamic_stack: false
    .vgpr_count:     0
    .vgpr_spill_count: 0
    .wavefront_size: 64
  - .agpr_count:     0
    .args:
      - .offset:         0
        .size:           64
        .value_kind:     by_value
    .group_segment_fixed_size: 0
    .kernarg_segment_align: 8
    .kernarg_segment_size: 64
    .language:       OpenCL C
    .language_version:
      - 2
      - 0
    .max_flat_workgroup_size: 128
    .name:           _ZN7rocprim17ROCPRIM_400000_NS6detail17trampoline_kernelINS0_14default_configENS1_38merge_sort_block_merge_config_selectorIhlEEZZNS1_27merge_sort_block_merge_implIS3_PhN6thrust23THRUST_200600_302600_NS10device_ptrIlEEjNS1_19radix_merge_compareILb0ELb1EhNS0_19identity_decomposerEEEEE10hipError_tT0_T1_T2_jT3_P12ihipStream_tbPNSt15iterator_traitsISG_E10value_typeEPNSM_ISH_E10value_typeEPSI_NS1_7vsmem_tEENKUlT_SG_SH_SI_E_clIS7_S7_PlSB_EESF_SV_SG_SH_SI_EUlSV_E0_NS1_11comp_targetILNS1_3genE10ELNS1_11target_archE1201ELNS1_3gpuE5ELNS1_3repE0EEENS1_38merge_mergepath_config_static_selectorELNS0_4arch9wavefront6targetE1EEEvSH_
    .private_segment_fixed_size: 0
    .sgpr_count:     4
    .sgpr_spill_count: 0
    .symbol:         _ZN7rocprim17ROCPRIM_400000_NS6detail17trampoline_kernelINS0_14default_configENS1_38merge_sort_block_merge_config_selectorIhlEEZZNS1_27merge_sort_block_merge_implIS3_PhN6thrust23THRUST_200600_302600_NS10device_ptrIlEEjNS1_19radix_merge_compareILb0ELb1EhNS0_19identity_decomposerEEEEE10hipError_tT0_T1_T2_jT3_P12ihipStream_tbPNSt15iterator_traitsISG_E10value_typeEPNSM_ISH_E10value_typeEPSI_NS1_7vsmem_tEENKUlT_SG_SH_SI_E_clIS7_S7_PlSB_EESF_SV_SG_SH_SI_EUlSV_E0_NS1_11comp_targetILNS1_3genE10ELNS1_11target_archE1201ELNS1_3gpuE5ELNS1_3repE0EEENS1_38merge_mergepath_config_static_selectorELNS0_4arch9wavefront6targetE1EEEvSH_.kd
    .uniform_work_group_size: 1
    .uses_dynamic_stack: false
    .vgpr_count:     0
    .vgpr_spill_count: 0
    .wavefront_size: 64
  - .agpr_count:     0
    .args:
      - .offset:         0
        .size:           64
        .value_kind:     by_value
    .group_segment_fixed_size: 0
    .kernarg_segment_align: 8
    .kernarg_segment_size: 64
    .language:       OpenCL C
    .language_version:
      - 2
      - 0
    .max_flat_workgroup_size: 128
    .name:           _ZN7rocprim17ROCPRIM_400000_NS6detail17trampoline_kernelINS0_14default_configENS1_38merge_sort_block_merge_config_selectorIhlEEZZNS1_27merge_sort_block_merge_implIS3_PhN6thrust23THRUST_200600_302600_NS10device_ptrIlEEjNS1_19radix_merge_compareILb0ELb1EhNS0_19identity_decomposerEEEEE10hipError_tT0_T1_T2_jT3_P12ihipStream_tbPNSt15iterator_traitsISG_E10value_typeEPNSM_ISH_E10value_typeEPSI_NS1_7vsmem_tEENKUlT_SG_SH_SI_E_clIS7_S7_PlSB_EESF_SV_SG_SH_SI_EUlSV_E0_NS1_11comp_targetILNS1_3genE5ELNS1_11target_archE942ELNS1_3gpuE9ELNS1_3repE0EEENS1_38merge_mergepath_config_static_selectorELNS0_4arch9wavefront6targetE1EEEvSH_
    .private_segment_fixed_size: 0
    .sgpr_count:     4
    .sgpr_spill_count: 0
    .symbol:         _ZN7rocprim17ROCPRIM_400000_NS6detail17trampoline_kernelINS0_14default_configENS1_38merge_sort_block_merge_config_selectorIhlEEZZNS1_27merge_sort_block_merge_implIS3_PhN6thrust23THRUST_200600_302600_NS10device_ptrIlEEjNS1_19radix_merge_compareILb0ELb1EhNS0_19identity_decomposerEEEEE10hipError_tT0_T1_T2_jT3_P12ihipStream_tbPNSt15iterator_traitsISG_E10value_typeEPNSM_ISH_E10value_typeEPSI_NS1_7vsmem_tEENKUlT_SG_SH_SI_E_clIS7_S7_PlSB_EESF_SV_SG_SH_SI_EUlSV_E0_NS1_11comp_targetILNS1_3genE5ELNS1_11target_archE942ELNS1_3gpuE9ELNS1_3repE0EEENS1_38merge_mergepath_config_static_selectorELNS0_4arch9wavefront6targetE1EEEvSH_.kd
    .uniform_work_group_size: 1
    .uses_dynamic_stack: false
    .vgpr_count:     0
    .vgpr_spill_count: 0
    .wavefront_size: 64
  - .agpr_count:     0
    .args:
      - .offset:         0
        .size:           64
        .value_kind:     by_value
      - .offset:         64
        .size:           4
        .value_kind:     hidden_block_count_x
      - .offset:         68
        .size:           4
        .value_kind:     hidden_block_count_y
      - .offset:         72
        .size:           4
        .value_kind:     hidden_block_count_z
      - .offset:         76
        .size:           2
        .value_kind:     hidden_group_size_x
      - .offset:         78
        .size:           2
        .value_kind:     hidden_group_size_y
      - .offset:         80
        .size:           2
        .value_kind:     hidden_group_size_z
      - .offset:         82
        .size:           2
        .value_kind:     hidden_remainder_x
      - .offset:         84
        .size:           2
        .value_kind:     hidden_remainder_y
      - .offset:         86
        .size:           2
        .value_kind:     hidden_remainder_z
      - .offset:         104
        .size:           8
        .value_kind:     hidden_global_offset_x
      - .offset:         112
        .size:           8
        .value_kind:     hidden_global_offset_y
      - .offset:         120
        .size:           8
        .value_kind:     hidden_global_offset_z
      - .offset:         128
        .size:           2
        .value_kind:     hidden_grid_dims
    .group_segment_fixed_size: 8448
    .kernarg_segment_align: 8
    .kernarg_segment_size: 320
    .language:       OpenCL C
    .language_version:
      - 2
      - 0
    .max_flat_workgroup_size: 256
    .name:           _ZN7rocprim17ROCPRIM_400000_NS6detail17trampoline_kernelINS0_14default_configENS1_38merge_sort_block_merge_config_selectorIhlEEZZNS1_27merge_sort_block_merge_implIS3_PhN6thrust23THRUST_200600_302600_NS10device_ptrIlEEjNS1_19radix_merge_compareILb0ELb1EhNS0_19identity_decomposerEEEEE10hipError_tT0_T1_T2_jT3_P12ihipStream_tbPNSt15iterator_traitsISG_E10value_typeEPNSM_ISH_E10value_typeEPSI_NS1_7vsmem_tEENKUlT_SG_SH_SI_E_clIS7_S7_PlSB_EESF_SV_SG_SH_SI_EUlSV_E0_NS1_11comp_targetILNS1_3genE4ELNS1_11target_archE910ELNS1_3gpuE8ELNS1_3repE0EEENS1_38merge_mergepath_config_static_selectorELNS0_4arch9wavefront6targetE1EEEvSH_
    .private_segment_fixed_size: 0
    .sgpr_count:     36
    .sgpr_spill_count: 0
    .symbol:         _ZN7rocprim17ROCPRIM_400000_NS6detail17trampoline_kernelINS0_14default_configENS1_38merge_sort_block_merge_config_selectorIhlEEZZNS1_27merge_sort_block_merge_implIS3_PhN6thrust23THRUST_200600_302600_NS10device_ptrIlEEjNS1_19radix_merge_compareILb0ELb1EhNS0_19identity_decomposerEEEEE10hipError_tT0_T1_T2_jT3_P12ihipStream_tbPNSt15iterator_traitsISG_E10value_typeEPNSM_ISH_E10value_typeEPSI_NS1_7vsmem_tEENKUlT_SG_SH_SI_E_clIS7_S7_PlSB_EESF_SV_SG_SH_SI_EUlSV_E0_NS1_11comp_targetILNS1_3genE4ELNS1_11target_archE910ELNS1_3gpuE8ELNS1_3repE0EEENS1_38merge_mergepath_config_static_selectorELNS0_4arch9wavefront6targetE1EEEvSH_.kd
    .uniform_work_group_size: 1
    .uses_dynamic_stack: false
    .vgpr_count:     36
    .vgpr_spill_count: 0
    .wavefront_size: 64
  - .agpr_count:     0
    .args:
      - .offset:         0
        .size:           64
        .value_kind:     by_value
    .group_segment_fixed_size: 0
    .kernarg_segment_align: 8
    .kernarg_segment_size: 64
    .language:       OpenCL C
    .language_version:
      - 2
      - 0
    .max_flat_workgroup_size: 512
    .name:           _ZN7rocprim17ROCPRIM_400000_NS6detail17trampoline_kernelINS0_14default_configENS1_38merge_sort_block_merge_config_selectorIhlEEZZNS1_27merge_sort_block_merge_implIS3_PhN6thrust23THRUST_200600_302600_NS10device_ptrIlEEjNS1_19radix_merge_compareILb0ELb1EhNS0_19identity_decomposerEEEEE10hipError_tT0_T1_T2_jT3_P12ihipStream_tbPNSt15iterator_traitsISG_E10value_typeEPNSM_ISH_E10value_typeEPSI_NS1_7vsmem_tEENKUlT_SG_SH_SI_E_clIS7_S7_PlSB_EESF_SV_SG_SH_SI_EUlSV_E0_NS1_11comp_targetILNS1_3genE3ELNS1_11target_archE908ELNS1_3gpuE7ELNS1_3repE0EEENS1_38merge_mergepath_config_static_selectorELNS0_4arch9wavefront6targetE1EEEvSH_
    .private_segment_fixed_size: 0
    .sgpr_count:     4
    .sgpr_spill_count: 0
    .symbol:         _ZN7rocprim17ROCPRIM_400000_NS6detail17trampoline_kernelINS0_14default_configENS1_38merge_sort_block_merge_config_selectorIhlEEZZNS1_27merge_sort_block_merge_implIS3_PhN6thrust23THRUST_200600_302600_NS10device_ptrIlEEjNS1_19radix_merge_compareILb0ELb1EhNS0_19identity_decomposerEEEEE10hipError_tT0_T1_T2_jT3_P12ihipStream_tbPNSt15iterator_traitsISG_E10value_typeEPNSM_ISH_E10value_typeEPSI_NS1_7vsmem_tEENKUlT_SG_SH_SI_E_clIS7_S7_PlSB_EESF_SV_SG_SH_SI_EUlSV_E0_NS1_11comp_targetILNS1_3genE3ELNS1_11target_archE908ELNS1_3gpuE7ELNS1_3repE0EEENS1_38merge_mergepath_config_static_selectorELNS0_4arch9wavefront6targetE1EEEvSH_.kd
    .uniform_work_group_size: 1
    .uses_dynamic_stack: false
    .vgpr_count:     0
    .vgpr_spill_count: 0
    .wavefront_size: 64
  - .agpr_count:     0
    .args:
      - .offset:         0
        .size:           64
        .value_kind:     by_value
    .group_segment_fixed_size: 0
    .kernarg_segment_align: 8
    .kernarg_segment_size: 64
    .language:       OpenCL C
    .language_version:
      - 2
      - 0
    .max_flat_workgroup_size: 256
    .name:           _ZN7rocprim17ROCPRIM_400000_NS6detail17trampoline_kernelINS0_14default_configENS1_38merge_sort_block_merge_config_selectorIhlEEZZNS1_27merge_sort_block_merge_implIS3_PhN6thrust23THRUST_200600_302600_NS10device_ptrIlEEjNS1_19radix_merge_compareILb0ELb1EhNS0_19identity_decomposerEEEEE10hipError_tT0_T1_T2_jT3_P12ihipStream_tbPNSt15iterator_traitsISG_E10value_typeEPNSM_ISH_E10value_typeEPSI_NS1_7vsmem_tEENKUlT_SG_SH_SI_E_clIS7_S7_PlSB_EESF_SV_SG_SH_SI_EUlSV_E0_NS1_11comp_targetILNS1_3genE2ELNS1_11target_archE906ELNS1_3gpuE6ELNS1_3repE0EEENS1_38merge_mergepath_config_static_selectorELNS0_4arch9wavefront6targetE1EEEvSH_
    .private_segment_fixed_size: 0
    .sgpr_count:     4
    .sgpr_spill_count: 0
    .symbol:         _ZN7rocprim17ROCPRIM_400000_NS6detail17trampoline_kernelINS0_14default_configENS1_38merge_sort_block_merge_config_selectorIhlEEZZNS1_27merge_sort_block_merge_implIS3_PhN6thrust23THRUST_200600_302600_NS10device_ptrIlEEjNS1_19radix_merge_compareILb0ELb1EhNS0_19identity_decomposerEEEEE10hipError_tT0_T1_T2_jT3_P12ihipStream_tbPNSt15iterator_traitsISG_E10value_typeEPNSM_ISH_E10value_typeEPSI_NS1_7vsmem_tEENKUlT_SG_SH_SI_E_clIS7_S7_PlSB_EESF_SV_SG_SH_SI_EUlSV_E0_NS1_11comp_targetILNS1_3genE2ELNS1_11target_archE906ELNS1_3gpuE6ELNS1_3repE0EEENS1_38merge_mergepath_config_static_selectorELNS0_4arch9wavefront6targetE1EEEvSH_.kd
    .uniform_work_group_size: 1
    .uses_dynamic_stack: false
    .vgpr_count:     0
    .vgpr_spill_count: 0
    .wavefront_size: 64
  - .agpr_count:     0
    .args:
      - .offset:         0
        .size:           64
        .value_kind:     by_value
    .group_segment_fixed_size: 0
    .kernarg_segment_align: 8
    .kernarg_segment_size: 64
    .language:       OpenCL C
    .language_version:
      - 2
      - 0
    .max_flat_workgroup_size: 512
    .name:           _ZN7rocprim17ROCPRIM_400000_NS6detail17trampoline_kernelINS0_14default_configENS1_38merge_sort_block_merge_config_selectorIhlEEZZNS1_27merge_sort_block_merge_implIS3_PhN6thrust23THRUST_200600_302600_NS10device_ptrIlEEjNS1_19radix_merge_compareILb0ELb1EhNS0_19identity_decomposerEEEEE10hipError_tT0_T1_T2_jT3_P12ihipStream_tbPNSt15iterator_traitsISG_E10value_typeEPNSM_ISH_E10value_typeEPSI_NS1_7vsmem_tEENKUlT_SG_SH_SI_E_clIS7_S7_PlSB_EESF_SV_SG_SH_SI_EUlSV_E0_NS1_11comp_targetILNS1_3genE9ELNS1_11target_archE1100ELNS1_3gpuE3ELNS1_3repE0EEENS1_38merge_mergepath_config_static_selectorELNS0_4arch9wavefront6targetE1EEEvSH_
    .private_segment_fixed_size: 0
    .sgpr_count:     4
    .sgpr_spill_count: 0
    .symbol:         _ZN7rocprim17ROCPRIM_400000_NS6detail17trampoline_kernelINS0_14default_configENS1_38merge_sort_block_merge_config_selectorIhlEEZZNS1_27merge_sort_block_merge_implIS3_PhN6thrust23THRUST_200600_302600_NS10device_ptrIlEEjNS1_19radix_merge_compareILb0ELb1EhNS0_19identity_decomposerEEEEE10hipError_tT0_T1_T2_jT3_P12ihipStream_tbPNSt15iterator_traitsISG_E10value_typeEPNSM_ISH_E10value_typeEPSI_NS1_7vsmem_tEENKUlT_SG_SH_SI_E_clIS7_S7_PlSB_EESF_SV_SG_SH_SI_EUlSV_E0_NS1_11comp_targetILNS1_3genE9ELNS1_11target_archE1100ELNS1_3gpuE3ELNS1_3repE0EEENS1_38merge_mergepath_config_static_selectorELNS0_4arch9wavefront6targetE1EEEvSH_.kd
    .uniform_work_group_size: 1
    .uses_dynamic_stack: false
    .vgpr_count:     0
    .vgpr_spill_count: 0
    .wavefront_size: 64
  - .agpr_count:     0
    .args:
      - .offset:         0
        .size:           64
        .value_kind:     by_value
    .group_segment_fixed_size: 0
    .kernarg_segment_align: 8
    .kernarg_segment_size: 64
    .language:       OpenCL C
    .language_version:
      - 2
      - 0
    .max_flat_workgroup_size: 1024
    .name:           _ZN7rocprim17ROCPRIM_400000_NS6detail17trampoline_kernelINS0_14default_configENS1_38merge_sort_block_merge_config_selectorIhlEEZZNS1_27merge_sort_block_merge_implIS3_PhN6thrust23THRUST_200600_302600_NS10device_ptrIlEEjNS1_19radix_merge_compareILb0ELb1EhNS0_19identity_decomposerEEEEE10hipError_tT0_T1_T2_jT3_P12ihipStream_tbPNSt15iterator_traitsISG_E10value_typeEPNSM_ISH_E10value_typeEPSI_NS1_7vsmem_tEENKUlT_SG_SH_SI_E_clIS7_S7_PlSB_EESF_SV_SG_SH_SI_EUlSV_E0_NS1_11comp_targetILNS1_3genE8ELNS1_11target_archE1030ELNS1_3gpuE2ELNS1_3repE0EEENS1_38merge_mergepath_config_static_selectorELNS0_4arch9wavefront6targetE1EEEvSH_
    .private_segment_fixed_size: 0
    .sgpr_count:     4
    .sgpr_spill_count: 0
    .symbol:         _ZN7rocprim17ROCPRIM_400000_NS6detail17trampoline_kernelINS0_14default_configENS1_38merge_sort_block_merge_config_selectorIhlEEZZNS1_27merge_sort_block_merge_implIS3_PhN6thrust23THRUST_200600_302600_NS10device_ptrIlEEjNS1_19radix_merge_compareILb0ELb1EhNS0_19identity_decomposerEEEEE10hipError_tT0_T1_T2_jT3_P12ihipStream_tbPNSt15iterator_traitsISG_E10value_typeEPNSM_ISH_E10value_typeEPSI_NS1_7vsmem_tEENKUlT_SG_SH_SI_E_clIS7_S7_PlSB_EESF_SV_SG_SH_SI_EUlSV_E0_NS1_11comp_targetILNS1_3genE8ELNS1_11target_archE1030ELNS1_3gpuE2ELNS1_3repE0EEENS1_38merge_mergepath_config_static_selectorELNS0_4arch9wavefront6targetE1EEEvSH_.kd
    .uniform_work_group_size: 1
    .uses_dynamic_stack: false
    .vgpr_count:     0
    .vgpr_spill_count: 0
    .wavefront_size: 64
  - .agpr_count:     0
    .args:
      - .offset:         0
        .size:           48
        .value_kind:     by_value
    .group_segment_fixed_size: 0
    .kernarg_segment_align: 8
    .kernarg_segment_size: 48
    .language:       OpenCL C
    .language_version:
      - 2
      - 0
    .max_flat_workgroup_size: 256
    .name:           _ZN7rocprim17ROCPRIM_400000_NS6detail17trampoline_kernelINS0_14default_configENS1_38merge_sort_block_merge_config_selectorIhlEEZZNS1_27merge_sort_block_merge_implIS3_PhN6thrust23THRUST_200600_302600_NS10device_ptrIlEEjNS1_19radix_merge_compareILb0ELb1EhNS0_19identity_decomposerEEEEE10hipError_tT0_T1_T2_jT3_P12ihipStream_tbPNSt15iterator_traitsISG_E10value_typeEPNSM_ISH_E10value_typeEPSI_NS1_7vsmem_tEENKUlT_SG_SH_SI_E_clIS7_S7_PlSB_EESF_SV_SG_SH_SI_EUlSV_E1_NS1_11comp_targetILNS1_3genE0ELNS1_11target_archE4294967295ELNS1_3gpuE0ELNS1_3repE0EEENS1_36merge_oddeven_config_static_selectorELNS0_4arch9wavefront6targetE1EEEvSH_
    .private_segment_fixed_size: 0
    .sgpr_count:     4
    .sgpr_spill_count: 0
    .symbol:         _ZN7rocprim17ROCPRIM_400000_NS6detail17trampoline_kernelINS0_14default_configENS1_38merge_sort_block_merge_config_selectorIhlEEZZNS1_27merge_sort_block_merge_implIS3_PhN6thrust23THRUST_200600_302600_NS10device_ptrIlEEjNS1_19radix_merge_compareILb0ELb1EhNS0_19identity_decomposerEEEEE10hipError_tT0_T1_T2_jT3_P12ihipStream_tbPNSt15iterator_traitsISG_E10value_typeEPNSM_ISH_E10value_typeEPSI_NS1_7vsmem_tEENKUlT_SG_SH_SI_E_clIS7_S7_PlSB_EESF_SV_SG_SH_SI_EUlSV_E1_NS1_11comp_targetILNS1_3genE0ELNS1_11target_archE4294967295ELNS1_3gpuE0ELNS1_3repE0EEENS1_36merge_oddeven_config_static_selectorELNS0_4arch9wavefront6targetE1EEEvSH_.kd
    .uniform_work_group_size: 1
    .uses_dynamic_stack: false
    .vgpr_count:     0
    .vgpr_spill_count: 0
    .wavefront_size: 64
  - .agpr_count:     0
    .args:
      - .offset:         0
        .size:           48
        .value_kind:     by_value
    .group_segment_fixed_size: 0
    .kernarg_segment_align: 8
    .kernarg_segment_size: 48
    .language:       OpenCL C
    .language_version:
      - 2
      - 0
    .max_flat_workgroup_size: 256
    .name:           _ZN7rocprim17ROCPRIM_400000_NS6detail17trampoline_kernelINS0_14default_configENS1_38merge_sort_block_merge_config_selectorIhlEEZZNS1_27merge_sort_block_merge_implIS3_PhN6thrust23THRUST_200600_302600_NS10device_ptrIlEEjNS1_19radix_merge_compareILb0ELb1EhNS0_19identity_decomposerEEEEE10hipError_tT0_T1_T2_jT3_P12ihipStream_tbPNSt15iterator_traitsISG_E10value_typeEPNSM_ISH_E10value_typeEPSI_NS1_7vsmem_tEENKUlT_SG_SH_SI_E_clIS7_S7_PlSB_EESF_SV_SG_SH_SI_EUlSV_E1_NS1_11comp_targetILNS1_3genE10ELNS1_11target_archE1201ELNS1_3gpuE5ELNS1_3repE0EEENS1_36merge_oddeven_config_static_selectorELNS0_4arch9wavefront6targetE1EEEvSH_
    .private_segment_fixed_size: 0
    .sgpr_count:     4
    .sgpr_spill_count: 0
    .symbol:         _ZN7rocprim17ROCPRIM_400000_NS6detail17trampoline_kernelINS0_14default_configENS1_38merge_sort_block_merge_config_selectorIhlEEZZNS1_27merge_sort_block_merge_implIS3_PhN6thrust23THRUST_200600_302600_NS10device_ptrIlEEjNS1_19radix_merge_compareILb0ELb1EhNS0_19identity_decomposerEEEEE10hipError_tT0_T1_T2_jT3_P12ihipStream_tbPNSt15iterator_traitsISG_E10value_typeEPNSM_ISH_E10value_typeEPSI_NS1_7vsmem_tEENKUlT_SG_SH_SI_E_clIS7_S7_PlSB_EESF_SV_SG_SH_SI_EUlSV_E1_NS1_11comp_targetILNS1_3genE10ELNS1_11target_archE1201ELNS1_3gpuE5ELNS1_3repE0EEENS1_36merge_oddeven_config_static_selectorELNS0_4arch9wavefront6targetE1EEEvSH_.kd
    .uniform_work_group_size: 1
    .uses_dynamic_stack: false
    .vgpr_count:     0
    .vgpr_spill_count: 0
    .wavefront_size: 64
  - .agpr_count:     0
    .args:
      - .offset:         0
        .size:           48
        .value_kind:     by_value
    .group_segment_fixed_size: 0
    .kernarg_segment_align: 8
    .kernarg_segment_size: 48
    .language:       OpenCL C
    .language_version:
      - 2
      - 0
    .max_flat_workgroup_size: 256
    .name:           _ZN7rocprim17ROCPRIM_400000_NS6detail17trampoline_kernelINS0_14default_configENS1_38merge_sort_block_merge_config_selectorIhlEEZZNS1_27merge_sort_block_merge_implIS3_PhN6thrust23THRUST_200600_302600_NS10device_ptrIlEEjNS1_19radix_merge_compareILb0ELb1EhNS0_19identity_decomposerEEEEE10hipError_tT0_T1_T2_jT3_P12ihipStream_tbPNSt15iterator_traitsISG_E10value_typeEPNSM_ISH_E10value_typeEPSI_NS1_7vsmem_tEENKUlT_SG_SH_SI_E_clIS7_S7_PlSB_EESF_SV_SG_SH_SI_EUlSV_E1_NS1_11comp_targetILNS1_3genE5ELNS1_11target_archE942ELNS1_3gpuE9ELNS1_3repE0EEENS1_36merge_oddeven_config_static_selectorELNS0_4arch9wavefront6targetE1EEEvSH_
    .private_segment_fixed_size: 0
    .sgpr_count:     4
    .sgpr_spill_count: 0
    .symbol:         _ZN7rocprim17ROCPRIM_400000_NS6detail17trampoline_kernelINS0_14default_configENS1_38merge_sort_block_merge_config_selectorIhlEEZZNS1_27merge_sort_block_merge_implIS3_PhN6thrust23THRUST_200600_302600_NS10device_ptrIlEEjNS1_19radix_merge_compareILb0ELb1EhNS0_19identity_decomposerEEEEE10hipError_tT0_T1_T2_jT3_P12ihipStream_tbPNSt15iterator_traitsISG_E10value_typeEPNSM_ISH_E10value_typeEPSI_NS1_7vsmem_tEENKUlT_SG_SH_SI_E_clIS7_S7_PlSB_EESF_SV_SG_SH_SI_EUlSV_E1_NS1_11comp_targetILNS1_3genE5ELNS1_11target_archE942ELNS1_3gpuE9ELNS1_3repE0EEENS1_36merge_oddeven_config_static_selectorELNS0_4arch9wavefront6targetE1EEEvSH_.kd
    .uniform_work_group_size: 1
    .uses_dynamic_stack: false
    .vgpr_count:     0
    .vgpr_spill_count: 0
    .wavefront_size: 64
  - .agpr_count:     0
    .args:
      - .offset:         0
        .size:           48
        .value_kind:     by_value
    .group_segment_fixed_size: 0
    .kernarg_segment_align: 8
    .kernarg_segment_size: 48
    .language:       OpenCL C
    .language_version:
      - 2
      - 0
    .max_flat_workgroup_size: 256
    .name:           _ZN7rocprim17ROCPRIM_400000_NS6detail17trampoline_kernelINS0_14default_configENS1_38merge_sort_block_merge_config_selectorIhlEEZZNS1_27merge_sort_block_merge_implIS3_PhN6thrust23THRUST_200600_302600_NS10device_ptrIlEEjNS1_19radix_merge_compareILb0ELb1EhNS0_19identity_decomposerEEEEE10hipError_tT0_T1_T2_jT3_P12ihipStream_tbPNSt15iterator_traitsISG_E10value_typeEPNSM_ISH_E10value_typeEPSI_NS1_7vsmem_tEENKUlT_SG_SH_SI_E_clIS7_S7_PlSB_EESF_SV_SG_SH_SI_EUlSV_E1_NS1_11comp_targetILNS1_3genE4ELNS1_11target_archE910ELNS1_3gpuE8ELNS1_3repE0EEENS1_36merge_oddeven_config_static_selectorELNS0_4arch9wavefront6targetE1EEEvSH_
    .private_segment_fixed_size: 0
    .sgpr_count:     28
    .sgpr_spill_count: 0
    .symbol:         _ZN7rocprim17ROCPRIM_400000_NS6detail17trampoline_kernelINS0_14default_configENS1_38merge_sort_block_merge_config_selectorIhlEEZZNS1_27merge_sort_block_merge_implIS3_PhN6thrust23THRUST_200600_302600_NS10device_ptrIlEEjNS1_19radix_merge_compareILb0ELb1EhNS0_19identity_decomposerEEEEE10hipError_tT0_T1_T2_jT3_P12ihipStream_tbPNSt15iterator_traitsISG_E10value_typeEPNSM_ISH_E10value_typeEPSI_NS1_7vsmem_tEENKUlT_SG_SH_SI_E_clIS7_S7_PlSB_EESF_SV_SG_SH_SI_EUlSV_E1_NS1_11comp_targetILNS1_3genE4ELNS1_11target_archE910ELNS1_3gpuE8ELNS1_3repE0EEENS1_36merge_oddeven_config_static_selectorELNS0_4arch9wavefront6targetE1EEEvSH_.kd
    .uniform_work_group_size: 1
    .uses_dynamic_stack: false
    .vgpr_count:     11
    .vgpr_spill_count: 0
    .wavefront_size: 64
  - .agpr_count:     0
    .args:
      - .offset:         0
        .size:           48
        .value_kind:     by_value
    .group_segment_fixed_size: 0
    .kernarg_segment_align: 8
    .kernarg_segment_size: 48
    .language:       OpenCL C
    .language_version:
      - 2
      - 0
    .max_flat_workgroup_size: 256
    .name:           _ZN7rocprim17ROCPRIM_400000_NS6detail17trampoline_kernelINS0_14default_configENS1_38merge_sort_block_merge_config_selectorIhlEEZZNS1_27merge_sort_block_merge_implIS3_PhN6thrust23THRUST_200600_302600_NS10device_ptrIlEEjNS1_19radix_merge_compareILb0ELb1EhNS0_19identity_decomposerEEEEE10hipError_tT0_T1_T2_jT3_P12ihipStream_tbPNSt15iterator_traitsISG_E10value_typeEPNSM_ISH_E10value_typeEPSI_NS1_7vsmem_tEENKUlT_SG_SH_SI_E_clIS7_S7_PlSB_EESF_SV_SG_SH_SI_EUlSV_E1_NS1_11comp_targetILNS1_3genE3ELNS1_11target_archE908ELNS1_3gpuE7ELNS1_3repE0EEENS1_36merge_oddeven_config_static_selectorELNS0_4arch9wavefront6targetE1EEEvSH_
    .private_segment_fixed_size: 0
    .sgpr_count:     4
    .sgpr_spill_count: 0
    .symbol:         _ZN7rocprim17ROCPRIM_400000_NS6detail17trampoline_kernelINS0_14default_configENS1_38merge_sort_block_merge_config_selectorIhlEEZZNS1_27merge_sort_block_merge_implIS3_PhN6thrust23THRUST_200600_302600_NS10device_ptrIlEEjNS1_19radix_merge_compareILb0ELb1EhNS0_19identity_decomposerEEEEE10hipError_tT0_T1_T2_jT3_P12ihipStream_tbPNSt15iterator_traitsISG_E10value_typeEPNSM_ISH_E10value_typeEPSI_NS1_7vsmem_tEENKUlT_SG_SH_SI_E_clIS7_S7_PlSB_EESF_SV_SG_SH_SI_EUlSV_E1_NS1_11comp_targetILNS1_3genE3ELNS1_11target_archE908ELNS1_3gpuE7ELNS1_3repE0EEENS1_36merge_oddeven_config_static_selectorELNS0_4arch9wavefront6targetE1EEEvSH_.kd
    .uniform_work_group_size: 1
    .uses_dynamic_stack: false
    .vgpr_count:     0
    .vgpr_spill_count: 0
    .wavefront_size: 64
  - .agpr_count:     0
    .args:
      - .offset:         0
        .size:           48
        .value_kind:     by_value
    .group_segment_fixed_size: 0
    .kernarg_segment_align: 8
    .kernarg_segment_size: 48
    .language:       OpenCL C
    .language_version:
      - 2
      - 0
    .max_flat_workgroup_size: 256
    .name:           _ZN7rocprim17ROCPRIM_400000_NS6detail17trampoline_kernelINS0_14default_configENS1_38merge_sort_block_merge_config_selectorIhlEEZZNS1_27merge_sort_block_merge_implIS3_PhN6thrust23THRUST_200600_302600_NS10device_ptrIlEEjNS1_19radix_merge_compareILb0ELb1EhNS0_19identity_decomposerEEEEE10hipError_tT0_T1_T2_jT3_P12ihipStream_tbPNSt15iterator_traitsISG_E10value_typeEPNSM_ISH_E10value_typeEPSI_NS1_7vsmem_tEENKUlT_SG_SH_SI_E_clIS7_S7_PlSB_EESF_SV_SG_SH_SI_EUlSV_E1_NS1_11comp_targetILNS1_3genE2ELNS1_11target_archE906ELNS1_3gpuE6ELNS1_3repE0EEENS1_36merge_oddeven_config_static_selectorELNS0_4arch9wavefront6targetE1EEEvSH_
    .private_segment_fixed_size: 0
    .sgpr_count:     4
    .sgpr_spill_count: 0
    .symbol:         _ZN7rocprim17ROCPRIM_400000_NS6detail17trampoline_kernelINS0_14default_configENS1_38merge_sort_block_merge_config_selectorIhlEEZZNS1_27merge_sort_block_merge_implIS3_PhN6thrust23THRUST_200600_302600_NS10device_ptrIlEEjNS1_19radix_merge_compareILb0ELb1EhNS0_19identity_decomposerEEEEE10hipError_tT0_T1_T2_jT3_P12ihipStream_tbPNSt15iterator_traitsISG_E10value_typeEPNSM_ISH_E10value_typeEPSI_NS1_7vsmem_tEENKUlT_SG_SH_SI_E_clIS7_S7_PlSB_EESF_SV_SG_SH_SI_EUlSV_E1_NS1_11comp_targetILNS1_3genE2ELNS1_11target_archE906ELNS1_3gpuE6ELNS1_3repE0EEENS1_36merge_oddeven_config_static_selectorELNS0_4arch9wavefront6targetE1EEEvSH_.kd
    .uniform_work_group_size: 1
    .uses_dynamic_stack: false
    .vgpr_count:     0
    .vgpr_spill_count: 0
    .wavefront_size: 64
  - .agpr_count:     0
    .args:
      - .offset:         0
        .size:           48
        .value_kind:     by_value
    .group_segment_fixed_size: 0
    .kernarg_segment_align: 8
    .kernarg_segment_size: 48
    .language:       OpenCL C
    .language_version:
      - 2
      - 0
    .max_flat_workgroup_size: 256
    .name:           _ZN7rocprim17ROCPRIM_400000_NS6detail17trampoline_kernelINS0_14default_configENS1_38merge_sort_block_merge_config_selectorIhlEEZZNS1_27merge_sort_block_merge_implIS3_PhN6thrust23THRUST_200600_302600_NS10device_ptrIlEEjNS1_19radix_merge_compareILb0ELb1EhNS0_19identity_decomposerEEEEE10hipError_tT0_T1_T2_jT3_P12ihipStream_tbPNSt15iterator_traitsISG_E10value_typeEPNSM_ISH_E10value_typeEPSI_NS1_7vsmem_tEENKUlT_SG_SH_SI_E_clIS7_S7_PlSB_EESF_SV_SG_SH_SI_EUlSV_E1_NS1_11comp_targetILNS1_3genE9ELNS1_11target_archE1100ELNS1_3gpuE3ELNS1_3repE0EEENS1_36merge_oddeven_config_static_selectorELNS0_4arch9wavefront6targetE1EEEvSH_
    .private_segment_fixed_size: 0
    .sgpr_count:     4
    .sgpr_spill_count: 0
    .symbol:         _ZN7rocprim17ROCPRIM_400000_NS6detail17trampoline_kernelINS0_14default_configENS1_38merge_sort_block_merge_config_selectorIhlEEZZNS1_27merge_sort_block_merge_implIS3_PhN6thrust23THRUST_200600_302600_NS10device_ptrIlEEjNS1_19radix_merge_compareILb0ELb1EhNS0_19identity_decomposerEEEEE10hipError_tT0_T1_T2_jT3_P12ihipStream_tbPNSt15iterator_traitsISG_E10value_typeEPNSM_ISH_E10value_typeEPSI_NS1_7vsmem_tEENKUlT_SG_SH_SI_E_clIS7_S7_PlSB_EESF_SV_SG_SH_SI_EUlSV_E1_NS1_11comp_targetILNS1_3genE9ELNS1_11target_archE1100ELNS1_3gpuE3ELNS1_3repE0EEENS1_36merge_oddeven_config_static_selectorELNS0_4arch9wavefront6targetE1EEEvSH_.kd
    .uniform_work_group_size: 1
    .uses_dynamic_stack: false
    .vgpr_count:     0
    .vgpr_spill_count: 0
    .wavefront_size: 64
  - .agpr_count:     0
    .args:
      - .offset:         0
        .size:           48
        .value_kind:     by_value
    .group_segment_fixed_size: 0
    .kernarg_segment_align: 8
    .kernarg_segment_size: 48
    .language:       OpenCL C
    .language_version:
      - 2
      - 0
    .max_flat_workgroup_size: 256
    .name:           _ZN7rocprim17ROCPRIM_400000_NS6detail17trampoline_kernelINS0_14default_configENS1_38merge_sort_block_merge_config_selectorIhlEEZZNS1_27merge_sort_block_merge_implIS3_PhN6thrust23THRUST_200600_302600_NS10device_ptrIlEEjNS1_19radix_merge_compareILb0ELb1EhNS0_19identity_decomposerEEEEE10hipError_tT0_T1_T2_jT3_P12ihipStream_tbPNSt15iterator_traitsISG_E10value_typeEPNSM_ISH_E10value_typeEPSI_NS1_7vsmem_tEENKUlT_SG_SH_SI_E_clIS7_S7_PlSB_EESF_SV_SG_SH_SI_EUlSV_E1_NS1_11comp_targetILNS1_3genE8ELNS1_11target_archE1030ELNS1_3gpuE2ELNS1_3repE0EEENS1_36merge_oddeven_config_static_selectorELNS0_4arch9wavefront6targetE1EEEvSH_
    .private_segment_fixed_size: 0
    .sgpr_count:     4
    .sgpr_spill_count: 0
    .symbol:         _ZN7rocprim17ROCPRIM_400000_NS6detail17trampoline_kernelINS0_14default_configENS1_38merge_sort_block_merge_config_selectorIhlEEZZNS1_27merge_sort_block_merge_implIS3_PhN6thrust23THRUST_200600_302600_NS10device_ptrIlEEjNS1_19radix_merge_compareILb0ELb1EhNS0_19identity_decomposerEEEEE10hipError_tT0_T1_T2_jT3_P12ihipStream_tbPNSt15iterator_traitsISG_E10value_typeEPNSM_ISH_E10value_typeEPSI_NS1_7vsmem_tEENKUlT_SG_SH_SI_E_clIS7_S7_PlSB_EESF_SV_SG_SH_SI_EUlSV_E1_NS1_11comp_targetILNS1_3genE8ELNS1_11target_archE1030ELNS1_3gpuE2ELNS1_3repE0EEENS1_36merge_oddeven_config_static_selectorELNS0_4arch9wavefront6targetE1EEEvSH_.kd
    .uniform_work_group_size: 1
    .uses_dynamic_stack: false
    .vgpr_count:     0
    .vgpr_spill_count: 0
    .wavefront_size: 64
  - .agpr_count:     0
    .args:
      - .offset:         0
        .size:           40
        .value_kind:     by_value
    .group_segment_fixed_size: 0
    .kernarg_segment_align: 8
    .kernarg_segment_size: 40
    .language:       OpenCL C
    .language_version:
      - 2
      - 0
    .max_flat_workgroup_size: 128
    .name:           _ZN7rocprim17ROCPRIM_400000_NS6detail17trampoline_kernelINS0_14default_configENS1_38merge_sort_block_merge_config_selectorIhlEEZZNS1_27merge_sort_block_merge_implIS3_PhN6thrust23THRUST_200600_302600_NS10device_ptrIlEEjNS1_19radix_merge_compareILb0ELb1EhNS0_19identity_decomposerEEEEE10hipError_tT0_T1_T2_jT3_P12ihipStream_tbPNSt15iterator_traitsISG_E10value_typeEPNSM_ISH_E10value_typeEPSI_NS1_7vsmem_tEENKUlT_SG_SH_SI_E_clIS7_S7_SB_PlEESF_SV_SG_SH_SI_EUlSV_E_NS1_11comp_targetILNS1_3genE0ELNS1_11target_archE4294967295ELNS1_3gpuE0ELNS1_3repE0EEENS1_48merge_mergepath_partition_config_static_selectorELNS0_4arch9wavefront6targetE1EEEvSH_
    .private_segment_fixed_size: 0
    .sgpr_count:     4
    .sgpr_spill_count: 0
    .symbol:         _ZN7rocprim17ROCPRIM_400000_NS6detail17trampoline_kernelINS0_14default_configENS1_38merge_sort_block_merge_config_selectorIhlEEZZNS1_27merge_sort_block_merge_implIS3_PhN6thrust23THRUST_200600_302600_NS10device_ptrIlEEjNS1_19radix_merge_compareILb0ELb1EhNS0_19identity_decomposerEEEEE10hipError_tT0_T1_T2_jT3_P12ihipStream_tbPNSt15iterator_traitsISG_E10value_typeEPNSM_ISH_E10value_typeEPSI_NS1_7vsmem_tEENKUlT_SG_SH_SI_E_clIS7_S7_SB_PlEESF_SV_SG_SH_SI_EUlSV_E_NS1_11comp_targetILNS1_3genE0ELNS1_11target_archE4294967295ELNS1_3gpuE0ELNS1_3repE0EEENS1_48merge_mergepath_partition_config_static_selectorELNS0_4arch9wavefront6targetE1EEEvSH_.kd
    .uniform_work_group_size: 1
    .uses_dynamic_stack: false
    .vgpr_count:     0
    .vgpr_spill_count: 0
    .wavefront_size: 64
  - .agpr_count:     0
    .args:
      - .offset:         0
        .size:           40
        .value_kind:     by_value
    .group_segment_fixed_size: 0
    .kernarg_segment_align: 8
    .kernarg_segment_size: 40
    .language:       OpenCL C
    .language_version:
      - 2
      - 0
    .max_flat_workgroup_size: 128
    .name:           _ZN7rocprim17ROCPRIM_400000_NS6detail17trampoline_kernelINS0_14default_configENS1_38merge_sort_block_merge_config_selectorIhlEEZZNS1_27merge_sort_block_merge_implIS3_PhN6thrust23THRUST_200600_302600_NS10device_ptrIlEEjNS1_19radix_merge_compareILb0ELb1EhNS0_19identity_decomposerEEEEE10hipError_tT0_T1_T2_jT3_P12ihipStream_tbPNSt15iterator_traitsISG_E10value_typeEPNSM_ISH_E10value_typeEPSI_NS1_7vsmem_tEENKUlT_SG_SH_SI_E_clIS7_S7_SB_PlEESF_SV_SG_SH_SI_EUlSV_E_NS1_11comp_targetILNS1_3genE10ELNS1_11target_archE1201ELNS1_3gpuE5ELNS1_3repE0EEENS1_48merge_mergepath_partition_config_static_selectorELNS0_4arch9wavefront6targetE1EEEvSH_
    .private_segment_fixed_size: 0
    .sgpr_count:     4
    .sgpr_spill_count: 0
    .symbol:         _ZN7rocprim17ROCPRIM_400000_NS6detail17trampoline_kernelINS0_14default_configENS1_38merge_sort_block_merge_config_selectorIhlEEZZNS1_27merge_sort_block_merge_implIS3_PhN6thrust23THRUST_200600_302600_NS10device_ptrIlEEjNS1_19radix_merge_compareILb0ELb1EhNS0_19identity_decomposerEEEEE10hipError_tT0_T1_T2_jT3_P12ihipStream_tbPNSt15iterator_traitsISG_E10value_typeEPNSM_ISH_E10value_typeEPSI_NS1_7vsmem_tEENKUlT_SG_SH_SI_E_clIS7_S7_SB_PlEESF_SV_SG_SH_SI_EUlSV_E_NS1_11comp_targetILNS1_3genE10ELNS1_11target_archE1201ELNS1_3gpuE5ELNS1_3repE0EEENS1_48merge_mergepath_partition_config_static_selectorELNS0_4arch9wavefront6targetE1EEEvSH_.kd
    .uniform_work_group_size: 1
    .uses_dynamic_stack: false
    .vgpr_count:     0
    .vgpr_spill_count: 0
    .wavefront_size: 64
  - .agpr_count:     0
    .args:
      - .offset:         0
        .size:           40
        .value_kind:     by_value
    .group_segment_fixed_size: 0
    .kernarg_segment_align: 8
    .kernarg_segment_size: 40
    .language:       OpenCL C
    .language_version:
      - 2
      - 0
    .max_flat_workgroup_size: 128
    .name:           _ZN7rocprim17ROCPRIM_400000_NS6detail17trampoline_kernelINS0_14default_configENS1_38merge_sort_block_merge_config_selectorIhlEEZZNS1_27merge_sort_block_merge_implIS3_PhN6thrust23THRUST_200600_302600_NS10device_ptrIlEEjNS1_19radix_merge_compareILb0ELb1EhNS0_19identity_decomposerEEEEE10hipError_tT0_T1_T2_jT3_P12ihipStream_tbPNSt15iterator_traitsISG_E10value_typeEPNSM_ISH_E10value_typeEPSI_NS1_7vsmem_tEENKUlT_SG_SH_SI_E_clIS7_S7_SB_PlEESF_SV_SG_SH_SI_EUlSV_E_NS1_11comp_targetILNS1_3genE5ELNS1_11target_archE942ELNS1_3gpuE9ELNS1_3repE0EEENS1_48merge_mergepath_partition_config_static_selectorELNS0_4arch9wavefront6targetE1EEEvSH_
    .private_segment_fixed_size: 0
    .sgpr_count:     4
    .sgpr_spill_count: 0
    .symbol:         _ZN7rocprim17ROCPRIM_400000_NS6detail17trampoline_kernelINS0_14default_configENS1_38merge_sort_block_merge_config_selectorIhlEEZZNS1_27merge_sort_block_merge_implIS3_PhN6thrust23THRUST_200600_302600_NS10device_ptrIlEEjNS1_19radix_merge_compareILb0ELb1EhNS0_19identity_decomposerEEEEE10hipError_tT0_T1_T2_jT3_P12ihipStream_tbPNSt15iterator_traitsISG_E10value_typeEPNSM_ISH_E10value_typeEPSI_NS1_7vsmem_tEENKUlT_SG_SH_SI_E_clIS7_S7_SB_PlEESF_SV_SG_SH_SI_EUlSV_E_NS1_11comp_targetILNS1_3genE5ELNS1_11target_archE942ELNS1_3gpuE9ELNS1_3repE0EEENS1_48merge_mergepath_partition_config_static_selectorELNS0_4arch9wavefront6targetE1EEEvSH_.kd
    .uniform_work_group_size: 1
    .uses_dynamic_stack: false
    .vgpr_count:     0
    .vgpr_spill_count: 0
    .wavefront_size: 64
  - .agpr_count:     0
    .args:
      - .offset:         0
        .size:           40
        .value_kind:     by_value
    .group_segment_fixed_size: 0
    .kernarg_segment_align: 8
    .kernarg_segment_size: 40
    .language:       OpenCL C
    .language_version:
      - 2
      - 0
    .max_flat_workgroup_size: 128
    .name:           _ZN7rocprim17ROCPRIM_400000_NS6detail17trampoline_kernelINS0_14default_configENS1_38merge_sort_block_merge_config_selectorIhlEEZZNS1_27merge_sort_block_merge_implIS3_PhN6thrust23THRUST_200600_302600_NS10device_ptrIlEEjNS1_19radix_merge_compareILb0ELb1EhNS0_19identity_decomposerEEEEE10hipError_tT0_T1_T2_jT3_P12ihipStream_tbPNSt15iterator_traitsISG_E10value_typeEPNSM_ISH_E10value_typeEPSI_NS1_7vsmem_tEENKUlT_SG_SH_SI_E_clIS7_S7_SB_PlEESF_SV_SG_SH_SI_EUlSV_E_NS1_11comp_targetILNS1_3genE4ELNS1_11target_archE910ELNS1_3gpuE8ELNS1_3repE0EEENS1_48merge_mergepath_partition_config_static_selectorELNS0_4arch9wavefront6targetE1EEEvSH_
    .private_segment_fixed_size: 0
    .sgpr_count:     14
    .sgpr_spill_count: 0
    .symbol:         _ZN7rocprim17ROCPRIM_400000_NS6detail17trampoline_kernelINS0_14default_configENS1_38merge_sort_block_merge_config_selectorIhlEEZZNS1_27merge_sort_block_merge_implIS3_PhN6thrust23THRUST_200600_302600_NS10device_ptrIlEEjNS1_19radix_merge_compareILb0ELb1EhNS0_19identity_decomposerEEEEE10hipError_tT0_T1_T2_jT3_P12ihipStream_tbPNSt15iterator_traitsISG_E10value_typeEPNSM_ISH_E10value_typeEPSI_NS1_7vsmem_tEENKUlT_SG_SH_SI_E_clIS7_S7_SB_PlEESF_SV_SG_SH_SI_EUlSV_E_NS1_11comp_targetILNS1_3genE4ELNS1_11target_archE910ELNS1_3gpuE8ELNS1_3repE0EEENS1_48merge_mergepath_partition_config_static_selectorELNS0_4arch9wavefront6targetE1EEEvSH_.kd
    .uniform_work_group_size: 1
    .uses_dynamic_stack: false
    .vgpr_count:     16
    .vgpr_spill_count: 0
    .wavefront_size: 64
  - .agpr_count:     0
    .args:
      - .offset:         0
        .size:           40
        .value_kind:     by_value
    .group_segment_fixed_size: 0
    .kernarg_segment_align: 8
    .kernarg_segment_size: 40
    .language:       OpenCL C
    .language_version:
      - 2
      - 0
    .max_flat_workgroup_size: 128
    .name:           _ZN7rocprim17ROCPRIM_400000_NS6detail17trampoline_kernelINS0_14default_configENS1_38merge_sort_block_merge_config_selectorIhlEEZZNS1_27merge_sort_block_merge_implIS3_PhN6thrust23THRUST_200600_302600_NS10device_ptrIlEEjNS1_19radix_merge_compareILb0ELb1EhNS0_19identity_decomposerEEEEE10hipError_tT0_T1_T2_jT3_P12ihipStream_tbPNSt15iterator_traitsISG_E10value_typeEPNSM_ISH_E10value_typeEPSI_NS1_7vsmem_tEENKUlT_SG_SH_SI_E_clIS7_S7_SB_PlEESF_SV_SG_SH_SI_EUlSV_E_NS1_11comp_targetILNS1_3genE3ELNS1_11target_archE908ELNS1_3gpuE7ELNS1_3repE0EEENS1_48merge_mergepath_partition_config_static_selectorELNS0_4arch9wavefront6targetE1EEEvSH_
    .private_segment_fixed_size: 0
    .sgpr_count:     4
    .sgpr_spill_count: 0
    .symbol:         _ZN7rocprim17ROCPRIM_400000_NS6detail17trampoline_kernelINS0_14default_configENS1_38merge_sort_block_merge_config_selectorIhlEEZZNS1_27merge_sort_block_merge_implIS3_PhN6thrust23THRUST_200600_302600_NS10device_ptrIlEEjNS1_19radix_merge_compareILb0ELb1EhNS0_19identity_decomposerEEEEE10hipError_tT0_T1_T2_jT3_P12ihipStream_tbPNSt15iterator_traitsISG_E10value_typeEPNSM_ISH_E10value_typeEPSI_NS1_7vsmem_tEENKUlT_SG_SH_SI_E_clIS7_S7_SB_PlEESF_SV_SG_SH_SI_EUlSV_E_NS1_11comp_targetILNS1_3genE3ELNS1_11target_archE908ELNS1_3gpuE7ELNS1_3repE0EEENS1_48merge_mergepath_partition_config_static_selectorELNS0_4arch9wavefront6targetE1EEEvSH_.kd
    .uniform_work_group_size: 1
    .uses_dynamic_stack: false
    .vgpr_count:     0
    .vgpr_spill_count: 0
    .wavefront_size: 64
  - .agpr_count:     0
    .args:
      - .offset:         0
        .size:           40
        .value_kind:     by_value
    .group_segment_fixed_size: 0
    .kernarg_segment_align: 8
    .kernarg_segment_size: 40
    .language:       OpenCL C
    .language_version:
      - 2
      - 0
    .max_flat_workgroup_size: 128
    .name:           _ZN7rocprim17ROCPRIM_400000_NS6detail17trampoline_kernelINS0_14default_configENS1_38merge_sort_block_merge_config_selectorIhlEEZZNS1_27merge_sort_block_merge_implIS3_PhN6thrust23THRUST_200600_302600_NS10device_ptrIlEEjNS1_19radix_merge_compareILb0ELb1EhNS0_19identity_decomposerEEEEE10hipError_tT0_T1_T2_jT3_P12ihipStream_tbPNSt15iterator_traitsISG_E10value_typeEPNSM_ISH_E10value_typeEPSI_NS1_7vsmem_tEENKUlT_SG_SH_SI_E_clIS7_S7_SB_PlEESF_SV_SG_SH_SI_EUlSV_E_NS1_11comp_targetILNS1_3genE2ELNS1_11target_archE906ELNS1_3gpuE6ELNS1_3repE0EEENS1_48merge_mergepath_partition_config_static_selectorELNS0_4arch9wavefront6targetE1EEEvSH_
    .private_segment_fixed_size: 0
    .sgpr_count:     4
    .sgpr_spill_count: 0
    .symbol:         _ZN7rocprim17ROCPRIM_400000_NS6detail17trampoline_kernelINS0_14default_configENS1_38merge_sort_block_merge_config_selectorIhlEEZZNS1_27merge_sort_block_merge_implIS3_PhN6thrust23THRUST_200600_302600_NS10device_ptrIlEEjNS1_19radix_merge_compareILb0ELb1EhNS0_19identity_decomposerEEEEE10hipError_tT0_T1_T2_jT3_P12ihipStream_tbPNSt15iterator_traitsISG_E10value_typeEPNSM_ISH_E10value_typeEPSI_NS1_7vsmem_tEENKUlT_SG_SH_SI_E_clIS7_S7_SB_PlEESF_SV_SG_SH_SI_EUlSV_E_NS1_11comp_targetILNS1_3genE2ELNS1_11target_archE906ELNS1_3gpuE6ELNS1_3repE0EEENS1_48merge_mergepath_partition_config_static_selectorELNS0_4arch9wavefront6targetE1EEEvSH_.kd
    .uniform_work_group_size: 1
    .uses_dynamic_stack: false
    .vgpr_count:     0
    .vgpr_spill_count: 0
    .wavefront_size: 64
  - .agpr_count:     0
    .args:
      - .offset:         0
        .size:           40
        .value_kind:     by_value
    .group_segment_fixed_size: 0
    .kernarg_segment_align: 8
    .kernarg_segment_size: 40
    .language:       OpenCL C
    .language_version:
      - 2
      - 0
    .max_flat_workgroup_size: 128
    .name:           _ZN7rocprim17ROCPRIM_400000_NS6detail17trampoline_kernelINS0_14default_configENS1_38merge_sort_block_merge_config_selectorIhlEEZZNS1_27merge_sort_block_merge_implIS3_PhN6thrust23THRUST_200600_302600_NS10device_ptrIlEEjNS1_19radix_merge_compareILb0ELb1EhNS0_19identity_decomposerEEEEE10hipError_tT0_T1_T2_jT3_P12ihipStream_tbPNSt15iterator_traitsISG_E10value_typeEPNSM_ISH_E10value_typeEPSI_NS1_7vsmem_tEENKUlT_SG_SH_SI_E_clIS7_S7_SB_PlEESF_SV_SG_SH_SI_EUlSV_E_NS1_11comp_targetILNS1_3genE9ELNS1_11target_archE1100ELNS1_3gpuE3ELNS1_3repE0EEENS1_48merge_mergepath_partition_config_static_selectorELNS0_4arch9wavefront6targetE1EEEvSH_
    .private_segment_fixed_size: 0
    .sgpr_count:     4
    .sgpr_spill_count: 0
    .symbol:         _ZN7rocprim17ROCPRIM_400000_NS6detail17trampoline_kernelINS0_14default_configENS1_38merge_sort_block_merge_config_selectorIhlEEZZNS1_27merge_sort_block_merge_implIS3_PhN6thrust23THRUST_200600_302600_NS10device_ptrIlEEjNS1_19radix_merge_compareILb0ELb1EhNS0_19identity_decomposerEEEEE10hipError_tT0_T1_T2_jT3_P12ihipStream_tbPNSt15iterator_traitsISG_E10value_typeEPNSM_ISH_E10value_typeEPSI_NS1_7vsmem_tEENKUlT_SG_SH_SI_E_clIS7_S7_SB_PlEESF_SV_SG_SH_SI_EUlSV_E_NS1_11comp_targetILNS1_3genE9ELNS1_11target_archE1100ELNS1_3gpuE3ELNS1_3repE0EEENS1_48merge_mergepath_partition_config_static_selectorELNS0_4arch9wavefront6targetE1EEEvSH_.kd
    .uniform_work_group_size: 1
    .uses_dynamic_stack: false
    .vgpr_count:     0
    .vgpr_spill_count: 0
    .wavefront_size: 64
  - .agpr_count:     0
    .args:
      - .offset:         0
        .size:           40
        .value_kind:     by_value
    .group_segment_fixed_size: 0
    .kernarg_segment_align: 8
    .kernarg_segment_size: 40
    .language:       OpenCL C
    .language_version:
      - 2
      - 0
    .max_flat_workgroup_size: 128
    .name:           _ZN7rocprim17ROCPRIM_400000_NS6detail17trampoline_kernelINS0_14default_configENS1_38merge_sort_block_merge_config_selectorIhlEEZZNS1_27merge_sort_block_merge_implIS3_PhN6thrust23THRUST_200600_302600_NS10device_ptrIlEEjNS1_19radix_merge_compareILb0ELb1EhNS0_19identity_decomposerEEEEE10hipError_tT0_T1_T2_jT3_P12ihipStream_tbPNSt15iterator_traitsISG_E10value_typeEPNSM_ISH_E10value_typeEPSI_NS1_7vsmem_tEENKUlT_SG_SH_SI_E_clIS7_S7_SB_PlEESF_SV_SG_SH_SI_EUlSV_E_NS1_11comp_targetILNS1_3genE8ELNS1_11target_archE1030ELNS1_3gpuE2ELNS1_3repE0EEENS1_48merge_mergepath_partition_config_static_selectorELNS0_4arch9wavefront6targetE1EEEvSH_
    .private_segment_fixed_size: 0
    .sgpr_count:     4
    .sgpr_spill_count: 0
    .symbol:         _ZN7rocprim17ROCPRIM_400000_NS6detail17trampoline_kernelINS0_14default_configENS1_38merge_sort_block_merge_config_selectorIhlEEZZNS1_27merge_sort_block_merge_implIS3_PhN6thrust23THRUST_200600_302600_NS10device_ptrIlEEjNS1_19radix_merge_compareILb0ELb1EhNS0_19identity_decomposerEEEEE10hipError_tT0_T1_T2_jT3_P12ihipStream_tbPNSt15iterator_traitsISG_E10value_typeEPNSM_ISH_E10value_typeEPSI_NS1_7vsmem_tEENKUlT_SG_SH_SI_E_clIS7_S7_SB_PlEESF_SV_SG_SH_SI_EUlSV_E_NS1_11comp_targetILNS1_3genE8ELNS1_11target_archE1030ELNS1_3gpuE2ELNS1_3repE0EEENS1_48merge_mergepath_partition_config_static_selectorELNS0_4arch9wavefront6targetE1EEEvSH_.kd
    .uniform_work_group_size: 1
    .uses_dynamic_stack: false
    .vgpr_count:     0
    .vgpr_spill_count: 0
    .wavefront_size: 64
  - .agpr_count:     0
    .args:
      - .offset:         0
        .size:           64
        .value_kind:     by_value
    .group_segment_fixed_size: 0
    .kernarg_segment_align: 8
    .kernarg_segment_size: 64
    .language:       OpenCL C
    .language_version:
      - 2
      - 0
    .max_flat_workgroup_size: 512
    .name:           _ZN7rocprim17ROCPRIM_400000_NS6detail17trampoline_kernelINS0_14default_configENS1_38merge_sort_block_merge_config_selectorIhlEEZZNS1_27merge_sort_block_merge_implIS3_PhN6thrust23THRUST_200600_302600_NS10device_ptrIlEEjNS1_19radix_merge_compareILb0ELb1EhNS0_19identity_decomposerEEEEE10hipError_tT0_T1_T2_jT3_P12ihipStream_tbPNSt15iterator_traitsISG_E10value_typeEPNSM_ISH_E10value_typeEPSI_NS1_7vsmem_tEENKUlT_SG_SH_SI_E_clIS7_S7_SB_PlEESF_SV_SG_SH_SI_EUlSV_E0_NS1_11comp_targetILNS1_3genE0ELNS1_11target_archE4294967295ELNS1_3gpuE0ELNS1_3repE0EEENS1_38merge_mergepath_config_static_selectorELNS0_4arch9wavefront6targetE1EEEvSH_
    .private_segment_fixed_size: 0
    .sgpr_count:     4
    .sgpr_spill_count: 0
    .symbol:         _ZN7rocprim17ROCPRIM_400000_NS6detail17trampoline_kernelINS0_14default_configENS1_38merge_sort_block_merge_config_selectorIhlEEZZNS1_27merge_sort_block_merge_implIS3_PhN6thrust23THRUST_200600_302600_NS10device_ptrIlEEjNS1_19radix_merge_compareILb0ELb1EhNS0_19identity_decomposerEEEEE10hipError_tT0_T1_T2_jT3_P12ihipStream_tbPNSt15iterator_traitsISG_E10value_typeEPNSM_ISH_E10value_typeEPSI_NS1_7vsmem_tEENKUlT_SG_SH_SI_E_clIS7_S7_SB_PlEESF_SV_SG_SH_SI_EUlSV_E0_NS1_11comp_targetILNS1_3genE0ELNS1_11target_archE4294967295ELNS1_3gpuE0ELNS1_3repE0EEENS1_38merge_mergepath_config_static_selectorELNS0_4arch9wavefront6targetE1EEEvSH_.kd
    .uniform_work_group_size: 1
    .uses_dynamic_stack: false
    .vgpr_count:     0
    .vgpr_spill_count: 0
    .wavefront_size: 64
  - .agpr_count:     0
    .args:
      - .offset:         0
        .size:           64
        .value_kind:     by_value
    .group_segment_fixed_size: 0
    .kernarg_segment_align: 8
    .kernarg_segment_size: 64
    .language:       OpenCL C
    .language_version:
      - 2
      - 0
    .max_flat_workgroup_size: 128
    .name:           _ZN7rocprim17ROCPRIM_400000_NS6detail17trampoline_kernelINS0_14default_configENS1_38merge_sort_block_merge_config_selectorIhlEEZZNS1_27merge_sort_block_merge_implIS3_PhN6thrust23THRUST_200600_302600_NS10device_ptrIlEEjNS1_19radix_merge_compareILb0ELb1EhNS0_19identity_decomposerEEEEE10hipError_tT0_T1_T2_jT3_P12ihipStream_tbPNSt15iterator_traitsISG_E10value_typeEPNSM_ISH_E10value_typeEPSI_NS1_7vsmem_tEENKUlT_SG_SH_SI_E_clIS7_S7_SB_PlEESF_SV_SG_SH_SI_EUlSV_E0_NS1_11comp_targetILNS1_3genE10ELNS1_11target_archE1201ELNS1_3gpuE5ELNS1_3repE0EEENS1_38merge_mergepath_config_static_selectorELNS0_4arch9wavefront6targetE1EEEvSH_
    .private_segment_fixed_size: 0
    .sgpr_count:     4
    .sgpr_spill_count: 0
    .symbol:         _ZN7rocprim17ROCPRIM_400000_NS6detail17trampoline_kernelINS0_14default_configENS1_38merge_sort_block_merge_config_selectorIhlEEZZNS1_27merge_sort_block_merge_implIS3_PhN6thrust23THRUST_200600_302600_NS10device_ptrIlEEjNS1_19radix_merge_compareILb0ELb1EhNS0_19identity_decomposerEEEEE10hipError_tT0_T1_T2_jT3_P12ihipStream_tbPNSt15iterator_traitsISG_E10value_typeEPNSM_ISH_E10value_typeEPSI_NS1_7vsmem_tEENKUlT_SG_SH_SI_E_clIS7_S7_SB_PlEESF_SV_SG_SH_SI_EUlSV_E0_NS1_11comp_targetILNS1_3genE10ELNS1_11target_archE1201ELNS1_3gpuE5ELNS1_3repE0EEENS1_38merge_mergepath_config_static_selectorELNS0_4arch9wavefront6targetE1EEEvSH_.kd
    .uniform_work_group_size: 1
    .uses_dynamic_stack: false
    .vgpr_count:     0
    .vgpr_spill_count: 0
    .wavefront_size: 64
  - .agpr_count:     0
    .args:
      - .offset:         0
        .size:           64
        .value_kind:     by_value
    .group_segment_fixed_size: 0
    .kernarg_segment_align: 8
    .kernarg_segment_size: 64
    .language:       OpenCL C
    .language_version:
      - 2
      - 0
    .max_flat_workgroup_size: 128
    .name:           _ZN7rocprim17ROCPRIM_400000_NS6detail17trampoline_kernelINS0_14default_configENS1_38merge_sort_block_merge_config_selectorIhlEEZZNS1_27merge_sort_block_merge_implIS3_PhN6thrust23THRUST_200600_302600_NS10device_ptrIlEEjNS1_19radix_merge_compareILb0ELb1EhNS0_19identity_decomposerEEEEE10hipError_tT0_T1_T2_jT3_P12ihipStream_tbPNSt15iterator_traitsISG_E10value_typeEPNSM_ISH_E10value_typeEPSI_NS1_7vsmem_tEENKUlT_SG_SH_SI_E_clIS7_S7_SB_PlEESF_SV_SG_SH_SI_EUlSV_E0_NS1_11comp_targetILNS1_3genE5ELNS1_11target_archE942ELNS1_3gpuE9ELNS1_3repE0EEENS1_38merge_mergepath_config_static_selectorELNS0_4arch9wavefront6targetE1EEEvSH_
    .private_segment_fixed_size: 0
    .sgpr_count:     4
    .sgpr_spill_count: 0
    .symbol:         _ZN7rocprim17ROCPRIM_400000_NS6detail17trampoline_kernelINS0_14default_configENS1_38merge_sort_block_merge_config_selectorIhlEEZZNS1_27merge_sort_block_merge_implIS3_PhN6thrust23THRUST_200600_302600_NS10device_ptrIlEEjNS1_19radix_merge_compareILb0ELb1EhNS0_19identity_decomposerEEEEE10hipError_tT0_T1_T2_jT3_P12ihipStream_tbPNSt15iterator_traitsISG_E10value_typeEPNSM_ISH_E10value_typeEPSI_NS1_7vsmem_tEENKUlT_SG_SH_SI_E_clIS7_S7_SB_PlEESF_SV_SG_SH_SI_EUlSV_E0_NS1_11comp_targetILNS1_3genE5ELNS1_11target_archE942ELNS1_3gpuE9ELNS1_3repE0EEENS1_38merge_mergepath_config_static_selectorELNS0_4arch9wavefront6targetE1EEEvSH_.kd
    .uniform_work_group_size: 1
    .uses_dynamic_stack: false
    .vgpr_count:     0
    .vgpr_spill_count: 0
    .wavefront_size: 64
  - .agpr_count:     0
    .args:
      - .offset:         0
        .size:           64
        .value_kind:     by_value
      - .offset:         64
        .size:           4
        .value_kind:     hidden_block_count_x
      - .offset:         68
        .size:           4
        .value_kind:     hidden_block_count_y
      - .offset:         72
        .size:           4
        .value_kind:     hidden_block_count_z
      - .offset:         76
        .size:           2
        .value_kind:     hidden_group_size_x
      - .offset:         78
        .size:           2
        .value_kind:     hidden_group_size_y
      - .offset:         80
        .size:           2
        .value_kind:     hidden_group_size_z
      - .offset:         82
        .size:           2
        .value_kind:     hidden_remainder_x
      - .offset:         84
        .size:           2
        .value_kind:     hidden_remainder_y
      - .offset:         86
        .size:           2
        .value_kind:     hidden_remainder_z
      - .offset:         104
        .size:           8
        .value_kind:     hidden_global_offset_x
      - .offset:         112
        .size:           8
        .value_kind:     hidden_global_offset_y
      - .offset:         120
        .size:           8
        .value_kind:     hidden_global_offset_z
      - .offset:         128
        .size:           2
        .value_kind:     hidden_grid_dims
    .group_segment_fixed_size: 8448
    .kernarg_segment_align: 8
    .kernarg_segment_size: 320
    .language:       OpenCL C
    .language_version:
      - 2
      - 0
    .max_flat_workgroup_size: 256
    .name:           _ZN7rocprim17ROCPRIM_400000_NS6detail17trampoline_kernelINS0_14default_configENS1_38merge_sort_block_merge_config_selectorIhlEEZZNS1_27merge_sort_block_merge_implIS3_PhN6thrust23THRUST_200600_302600_NS10device_ptrIlEEjNS1_19radix_merge_compareILb0ELb1EhNS0_19identity_decomposerEEEEE10hipError_tT0_T1_T2_jT3_P12ihipStream_tbPNSt15iterator_traitsISG_E10value_typeEPNSM_ISH_E10value_typeEPSI_NS1_7vsmem_tEENKUlT_SG_SH_SI_E_clIS7_S7_SB_PlEESF_SV_SG_SH_SI_EUlSV_E0_NS1_11comp_targetILNS1_3genE4ELNS1_11target_archE910ELNS1_3gpuE8ELNS1_3repE0EEENS1_38merge_mergepath_config_static_selectorELNS0_4arch9wavefront6targetE1EEEvSH_
    .private_segment_fixed_size: 0
    .sgpr_count:     36
    .sgpr_spill_count: 0
    .symbol:         _ZN7rocprim17ROCPRIM_400000_NS6detail17trampoline_kernelINS0_14default_configENS1_38merge_sort_block_merge_config_selectorIhlEEZZNS1_27merge_sort_block_merge_implIS3_PhN6thrust23THRUST_200600_302600_NS10device_ptrIlEEjNS1_19radix_merge_compareILb0ELb1EhNS0_19identity_decomposerEEEEE10hipError_tT0_T1_T2_jT3_P12ihipStream_tbPNSt15iterator_traitsISG_E10value_typeEPNSM_ISH_E10value_typeEPSI_NS1_7vsmem_tEENKUlT_SG_SH_SI_E_clIS7_S7_SB_PlEESF_SV_SG_SH_SI_EUlSV_E0_NS1_11comp_targetILNS1_3genE4ELNS1_11target_archE910ELNS1_3gpuE8ELNS1_3repE0EEENS1_38merge_mergepath_config_static_selectorELNS0_4arch9wavefront6targetE1EEEvSH_.kd
    .uniform_work_group_size: 1
    .uses_dynamic_stack: false
    .vgpr_count:     36
    .vgpr_spill_count: 0
    .wavefront_size: 64
  - .agpr_count:     0
    .args:
      - .offset:         0
        .size:           64
        .value_kind:     by_value
    .group_segment_fixed_size: 0
    .kernarg_segment_align: 8
    .kernarg_segment_size: 64
    .language:       OpenCL C
    .language_version:
      - 2
      - 0
    .max_flat_workgroup_size: 512
    .name:           _ZN7rocprim17ROCPRIM_400000_NS6detail17trampoline_kernelINS0_14default_configENS1_38merge_sort_block_merge_config_selectorIhlEEZZNS1_27merge_sort_block_merge_implIS3_PhN6thrust23THRUST_200600_302600_NS10device_ptrIlEEjNS1_19radix_merge_compareILb0ELb1EhNS0_19identity_decomposerEEEEE10hipError_tT0_T1_T2_jT3_P12ihipStream_tbPNSt15iterator_traitsISG_E10value_typeEPNSM_ISH_E10value_typeEPSI_NS1_7vsmem_tEENKUlT_SG_SH_SI_E_clIS7_S7_SB_PlEESF_SV_SG_SH_SI_EUlSV_E0_NS1_11comp_targetILNS1_3genE3ELNS1_11target_archE908ELNS1_3gpuE7ELNS1_3repE0EEENS1_38merge_mergepath_config_static_selectorELNS0_4arch9wavefront6targetE1EEEvSH_
    .private_segment_fixed_size: 0
    .sgpr_count:     4
    .sgpr_spill_count: 0
    .symbol:         _ZN7rocprim17ROCPRIM_400000_NS6detail17trampoline_kernelINS0_14default_configENS1_38merge_sort_block_merge_config_selectorIhlEEZZNS1_27merge_sort_block_merge_implIS3_PhN6thrust23THRUST_200600_302600_NS10device_ptrIlEEjNS1_19radix_merge_compareILb0ELb1EhNS0_19identity_decomposerEEEEE10hipError_tT0_T1_T2_jT3_P12ihipStream_tbPNSt15iterator_traitsISG_E10value_typeEPNSM_ISH_E10value_typeEPSI_NS1_7vsmem_tEENKUlT_SG_SH_SI_E_clIS7_S7_SB_PlEESF_SV_SG_SH_SI_EUlSV_E0_NS1_11comp_targetILNS1_3genE3ELNS1_11target_archE908ELNS1_3gpuE7ELNS1_3repE0EEENS1_38merge_mergepath_config_static_selectorELNS0_4arch9wavefront6targetE1EEEvSH_.kd
    .uniform_work_group_size: 1
    .uses_dynamic_stack: false
    .vgpr_count:     0
    .vgpr_spill_count: 0
    .wavefront_size: 64
  - .agpr_count:     0
    .args:
      - .offset:         0
        .size:           64
        .value_kind:     by_value
    .group_segment_fixed_size: 0
    .kernarg_segment_align: 8
    .kernarg_segment_size: 64
    .language:       OpenCL C
    .language_version:
      - 2
      - 0
    .max_flat_workgroup_size: 256
    .name:           _ZN7rocprim17ROCPRIM_400000_NS6detail17trampoline_kernelINS0_14default_configENS1_38merge_sort_block_merge_config_selectorIhlEEZZNS1_27merge_sort_block_merge_implIS3_PhN6thrust23THRUST_200600_302600_NS10device_ptrIlEEjNS1_19radix_merge_compareILb0ELb1EhNS0_19identity_decomposerEEEEE10hipError_tT0_T1_T2_jT3_P12ihipStream_tbPNSt15iterator_traitsISG_E10value_typeEPNSM_ISH_E10value_typeEPSI_NS1_7vsmem_tEENKUlT_SG_SH_SI_E_clIS7_S7_SB_PlEESF_SV_SG_SH_SI_EUlSV_E0_NS1_11comp_targetILNS1_3genE2ELNS1_11target_archE906ELNS1_3gpuE6ELNS1_3repE0EEENS1_38merge_mergepath_config_static_selectorELNS0_4arch9wavefront6targetE1EEEvSH_
    .private_segment_fixed_size: 0
    .sgpr_count:     4
    .sgpr_spill_count: 0
    .symbol:         _ZN7rocprim17ROCPRIM_400000_NS6detail17trampoline_kernelINS0_14default_configENS1_38merge_sort_block_merge_config_selectorIhlEEZZNS1_27merge_sort_block_merge_implIS3_PhN6thrust23THRUST_200600_302600_NS10device_ptrIlEEjNS1_19radix_merge_compareILb0ELb1EhNS0_19identity_decomposerEEEEE10hipError_tT0_T1_T2_jT3_P12ihipStream_tbPNSt15iterator_traitsISG_E10value_typeEPNSM_ISH_E10value_typeEPSI_NS1_7vsmem_tEENKUlT_SG_SH_SI_E_clIS7_S7_SB_PlEESF_SV_SG_SH_SI_EUlSV_E0_NS1_11comp_targetILNS1_3genE2ELNS1_11target_archE906ELNS1_3gpuE6ELNS1_3repE0EEENS1_38merge_mergepath_config_static_selectorELNS0_4arch9wavefront6targetE1EEEvSH_.kd
    .uniform_work_group_size: 1
    .uses_dynamic_stack: false
    .vgpr_count:     0
    .vgpr_spill_count: 0
    .wavefront_size: 64
  - .agpr_count:     0
    .args:
      - .offset:         0
        .size:           64
        .value_kind:     by_value
    .group_segment_fixed_size: 0
    .kernarg_segment_align: 8
    .kernarg_segment_size: 64
    .language:       OpenCL C
    .language_version:
      - 2
      - 0
    .max_flat_workgroup_size: 512
    .name:           _ZN7rocprim17ROCPRIM_400000_NS6detail17trampoline_kernelINS0_14default_configENS1_38merge_sort_block_merge_config_selectorIhlEEZZNS1_27merge_sort_block_merge_implIS3_PhN6thrust23THRUST_200600_302600_NS10device_ptrIlEEjNS1_19radix_merge_compareILb0ELb1EhNS0_19identity_decomposerEEEEE10hipError_tT0_T1_T2_jT3_P12ihipStream_tbPNSt15iterator_traitsISG_E10value_typeEPNSM_ISH_E10value_typeEPSI_NS1_7vsmem_tEENKUlT_SG_SH_SI_E_clIS7_S7_SB_PlEESF_SV_SG_SH_SI_EUlSV_E0_NS1_11comp_targetILNS1_3genE9ELNS1_11target_archE1100ELNS1_3gpuE3ELNS1_3repE0EEENS1_38merge_mergepath_config_static_selectorELNS0_4arch9wavefront6targetE1EEEvSH_
    .private_segment_fixed_size: 0
    .sgpr_count:     4
    .sgpr_spill_count: 0
    .symbol:         _ZN7rocprim17ROCPRIM_400000_NS6detail17trampoline_kernelINS0_14default_configENS1_38merge_sort_block_merge_config_selectorIhlEEZZNS1_27merge_sort_block_merge_implIS3_PhN6thrust23THRUST_200600_302600_NS10device_ptrIlEEjNS1_19radix_merge_compareILb0ELb1EhNS0_19identity_decomposerEEEEE10hipError_tT0_T1_T2_jT3_P12ihipStream_tbPNSt15iterator_traitsISG_E10value_typeEPNSM_ISH_E10value_typeEPSI_NS1_7vsmem_tEENKUlT_SG_SH_SI_E_clIS7_S7_SB_PlEESF_SV_SG_SH_SI_EUlSV_E0_NS1_11comp_targetILNS1_3genE9ELNS1_11target_archE1100ELNS1_3gpuE3ELNS1_3repE0EEENS1_38merge_mergepath_config_static_selectorELNS0_4arch9wavefront6targetE1EEEvSH_.kd
    .uniform_work_group_size: 1
    .uses_dynamic_stack: false
    .vgpr_count:     0
    .vgpr_spill_count: 0
    .wavefront_size: 64
  - .agpr_count:     0
    .args:
      - .offset:         0
        .size:           64
        .value_kind:     by_value
    .group_segment_fixed_size: 0
    .kernarg_segment_align: 8
    .kernarg_segment_size: 64
    .language:       OpenCL C
    .language_version:
      - 2
      - 0
    .max_flat_workgroup_size: 1024
    .name:           _ZN7rocprim17ROCPRIM_400000_NS6detail17trampoline_kernelINS0_14default_configENS1_38merge_sort_block_merge_config_selectorIhlEEZZNS1_27merge_sort_block_merge_implIS3_PhN6thrust23THRUST_200600_302600_NS10device_ptrIlEEjNS1_19radix_merge_compareILb0ELb1EhNS0_19identity_decomposerEEEEE10hipError_tT0_T1_T2_jT3_P12ihipStream_tbPNSt15iterator_traitsISG_E10value_typeEPNSM_ISH_E10value_typeEPSI_NS1_7vsmem_tEENKUlT_SG_SH_SI_E_clIS7_S7_SB_PlEESF_SV_SG_SH_SI_EUlSV_E0_NS1_11comp_targetILNS1_3genE8ELNS1_11target_archE1030ELNS1_3gpuE2ELNS1_3repE0EEENS1_38merge_mergepath_config_static_selectorELNS0_4arch9wavefront6targetE1EEEvSH_
    .private_segment_fixed_size: 0
    .sgpr_count:     4
    .sgpr_spill_count: 0
    .symbol:         _ZN7rocprim17ROCPRIM_400000_NS6detail17trampoline_kernelINS0_14default_configENS1_38merge_sort_block_merge_config_selectorIhlEEZZNS1_27merge_sort_block_merge_implIS3_PhN6thrust23THRUST_200600_302600_NS10device_ptrIlEEjNS1_19radix_merge_compareILb0ELb1EhNS0_19identity_decomposerEEEEE10hipError_tT0_T1_T2_jT3_P12ihipStream_tbPNSt15iterator_traitsISG_E10value_typeEPNSM_ISH_E10value_typeEPSI_NS1_7vsmem_tEENKUlT_SG_SH_SI_E_clIS7_S7_SB_PlEESF_SV_SG_SH_SI_EUlSV_E0_NS1_11comp_targetILNS1_3genE8ELNS1_11target_archE1030ELNS1_3gpuE2ELNS1_3repE0EEENS1_38merge_mergepath_config_static_selectorELNS0_4arch9wavefront6targetE1EEEvSH_.kd
    .uniform_work_group_size: 1
    .uses_dynamic_stack: false
    .vgpr_count:     0
    .vgpr_spill_count: 0
    .wavefront_size: 64
  - .agpr_count:     0
    .args:
      - .offset:         0
        .size:           48
        .value_kind:     by_value
    .group_segment_fixed_size: 0
    .kernarg_segment_align: 8
    .kernarg_segment_size: 48
    .language:       OpenCL C
    .language_version:
      - 2
      - 0
    .max_flat_workgroup_size: 256
    .name:           _ZN7rocprim17ROCPRIM_400000_NS6detail17trampoline_kernelINS0_14default_configENS1_38merge_sort_block_merge_config_selectorIhlEEZZNS1_27merge_sort_block_merge_implIS3_PhN6thrust23THRUST_200600_302600_NS10device_ptrIlEEjNS1_19radix_merge_compareILb0ELb1EhNS0_19identity_decomposerEEEEE10hipError_tT0_T1_T2_jT3_P12ihipStream_tbPNSt15iterator_traitsISG_E10value_typeEPNSM_ISH_E10value_typeEPSI_NS1_7vsmem_tEENKUlT_SG_SH_SI_E_clIS7_S7_SB_PlEESF_SV_SG_SH_SI_EUlSV_E1_NS1_11comp_targetILNS1_3genE0ELNS1_11target_archE4294967295ELNS1_3gpuE0ELNS1_3repE0EEENS1_36merge_oddeven_config_static_selectorELNS0_4arch9wavefront6targetE1EEEvSH_
    .private_segment_fixed_size: 0
    .sgpr_count:     4
    .sgpr_spill_count: 0
    .symbol:         _ZN7rocprim17ROCPRIM_400000_NS6detail17trampoline_kernelINS0_14default_configENS1_38merge_sort_block_merge_config_selectorIhlEEZZNS1_27merge_sort_block_merge_implIS3_PhN6thrust23THRUST_200600_302600_NS10device_ptrIlEEjNS1_19radix_merge_compareILb0ELb1EhNS0_19identity_decomposerEEEEE10hipError_tT0_T1_T2_jT3_P12ihipStream_tbPNSt15iterator_traitsISG_E10value_typeEPNSM_ISH_E10value_typeEPSI_NS1_7vsmem_tEENKUlT_SG_SH_SI_E_clIS7_S7_SB_PlEESF_SV_SG_SH_SI_EUlSV_E1_NS1_11comp_targetILNS1_3genE0ELNS1_11target_archE4294967295ELNS1_3gpuE0ELNS1_3repE0EEENS1_36merge_oddeven_config_static_selectorELNS0_4arch9wavefront6targetE1EEEvSH_.kd
    .uniform_work_group_size: 1
    .uses_dynamic_stack: false
    .vgpr_count:     0
    .vgpr_spill_count: 0
    .wavefront_size: 64
  - .agpr_count:     0
    .args:
      - .offset:         0
        .size:           48
        .value_kind:     by_value
    .group_segment_fixed_size: 0
    .kernarg_segment_align: 8
    .kernarg_segment_size: 48
    .language:       OpenCL C
    .language_version:
      - 2
      - 0
    .max_flat_workgroup_size: 256
    .name:           _ZN7rocprim17ROCPRIM_400000_NS6detail17trampoline_kernelINS0_14default_configENS1_38merge_sort_block_merge_config_selectorIhlEEZZNS1_27merge_sort_block_merge_implIS3_PhN6thrust23THRUST_200600_302600_NS10device_ptrIlEEjNS1_19radix_merge_compareILb0ELb1EhNS0_19identity_decomposerEEEEE10hipError_tT0_T1_T2_jT3_P12ihipStream_tbPNSt15iterator_traitsISG_E10value_typeEPNSM_ISH_E10value_typeEPSI_NS1_7vsmem_tEENKUlT_SG_SH_SI_E_clIS7_S7_SB_PlEESF_SV_SG_SH_SI_EUlSV_E1_NS1_11comp_targetILNS1_3genE10ELNS1_11target_archE1201ELNS1_3gpuE5ELNS1_3repE0EEENS1_36merge_oddeven_config_static_selectorELNS0_4arch9wavefront6targetE1EEEvSH_
    .private_segment_fixed_size: 0
    .sgpr_count:     4
    .sgpr_spill_count: 0
    .symbol:         _ZN7rocprim17ROCPRIM_400000_NS6detail17trampoline_kernelINS0_14default_configENS1_38merge_sort_block_merge_config_selectorIhlEEZZNS1_27merge_sort_block_merge_implIS3_PhN6thrust23THRUST_200600_302600_NS10device_ptrIlEEjNS1_19radix_merge_compareILb0ELb1EhNS0_19identity_decomposerEEEEE10hipError_tT0_T1_T2_jT3_P12ihipStream_tbPNSt15iterator_traitsISG_E10value_typeEPNSM_ISH_E10value_typeEPSI_NS1_7vsmem_tEENKUlT_SG_SH_SI_E_clIS7_S7_SB_PlEESF_SV_SG_SH_SI_EUlSV_E1_NS1_11comp_targetILNS1_3genE10ELNS1_11target_archE1201ELNS1_3gpuE5ELNS1_3repE0EEENS1_36merge_oddeven_config_static_selectorELNS0_4arch9wavefront6targetE1EEEvSH_.kd
    .uniform_work_group_size: 1
    .uses_dynamic_stack: false
    .vgpr_count:     0
    .vgpr_spill_count: 0
    .wavefront_size: 64
  - .agpr_count:     0
    .args:
      - .offset:         0
        .size:           48
        .value_kind:     by_value
    .group_segment_fixed_size: 0
    .kernarg_segment_align: 8
    .kernarg_segment_size: 48
    .language:       OpenCL C
    .language_version:
      - 2
      - 0
    .max_flat_workgroup_size: 256
    .name:           _ZN7rocprim17ROCPRIM_400000_NS6detail17trampoline_kernelINS0_14default_configENS1_38merge_sort_block_merge_config_selectorIhlEEZZNS1_27merge_sort_block_merge_implIS3_PhN6thrust23THRUST_200600_302600_NS10device_ptrIlEEjNS1_19radix_merge_compareILb0ELb1EhNS0_19identity_decomposerEEEEE10hipError_tT0_T1_T2_jT3_P12ihipStream_tbPNSt15iterator_traitsISG_E10value_typeEPNSM_ISH_E10value_typeEPSI_NS1_7vsmem_tEENKUlT_SG_SH_SI_E_clIS7_S7_SB_PlEESF_SV_SG_SH_SI_EUlSV_E1_NS1_11comp_targetILNS1_3genE5ELNS1_11target_archE942ELNS1_3gpuE9ELNS1_3repE0EEENS1_36merge_oddeven_config_static_selectorELNS0_4arch9wavefront6targetE1EEEvSH_
    .private_segment_fixed_size: 0
    .sgpr_count:     4
    .sgpr_spill_count: 0
    .symbol:         _ZN7rocprim17ROCPRIM_400000_NS6detail17trampoline_kernelINS0_14default_configENS1_38merge_sort_block_merge_config_selectorIhlEEZZNS1_27merge_sort_block_merge_implIS3_PhN6thrust23THRUST_200600_302600_NS10device_ptrIlEEjNS1_19radix_merge_compareILb0ELb1EhNS0_19identity_decomposerEEEEE10hipError_tT0_T1_T2_jT3_P12ihipStream_tbPNSt15iterator_traitsISG_E10value_typeEPNSM_ISH_E10value_typeEPSI_NS1_7vsmem_tEENKUlT_SG_SH_SI_E_clIS7_S7_SB_PlEESF_SV_SG_SH_SI_EUlSV_E1_NS1_11comp_targetILNS1_3genE5ELNS1_11target_archE942ELNS1_3gpuE9ELNS1_3repE0EEENS1_36merge_oddeven_config_static_selectorELNS0_4arch9wavefront6targetE1EEEvSH_.kd
    .uniform_work_group_size: 1
    .uses_dynamic_stack: false
    .vgpr_count:     0
    .vgpr_spill_count: 0
    .wavefront_size: 64
  - .agpr_count:     0
    .args:
      - .offset:         0
        .size:           48
        .value_kind:     by_value
    .group_segment_fixed_size: 0
    .kernarg_segment_align: 8
    .kernarg_segment_size: 48
    .language:       OpenCL C
    .language_version:
      - 2
      - 0
    .max_flat_workgroup_size: 256
    .name:           _ZN7rocprim17ROCPRIM_400000_NS6detail17trampoline_kernelINS0_14default_configENS1_38merge_sort_block_merge_config_selectorIhlEEZZNS1_27merge_sort_block_merge_implIS3_PhN6thrust23THRUST_200600_302600_NS10device_ptrIlEEjNS1_19radix_merge_compareILb0ELb1EhNS0_19identity_decomposerEEEEE10hipError_tT0_T1_T2_jT3_P12ihipStream_tbPNSt15iterator_traitsISG_E10value_typeEPNSM_ISH_E10value_typeEPSI_NS1_7vsmem_tEENKUlT_SG_SH_SI_E_clIS7_S7_SB_PlEESF_SV_SG_SH_SI_EUlSV_E1_NS1_11comp_targetILNS1_3genE4ELNS1_11target_archE910ELNS1_3gpuE8ELNS1_3repE0EEENS1_36merge_oddeven_config_static_selectorELNS0_4arch9wavefront6targetE1EEEvSH_
    .private_segment_fixed_size: 0
    .sgpr_count:     28
    .sgpr_spill_count: 0
    .symbol:         _ZN7rocprim17ROCPRIM_400000_NS6detail17trampoline_kernelINS0_14default_configENS1_38merge_sort_block_merge_config_selectorIhlEEZZNS1_27merge_sort_block_merge_implIS3_PhN6thrust23THRUST_200600_302600_NS10device_ptrIlEEjNS1_19radix_merge_compareILb0ELb1EhNS0_19identity_decomposerEEEEE10hipError_tT0_T1_T2_jT3_P12ihipStream_tbPNSt15iterator_traitsISG_E10value_typeEPNSM_ISH_E10value_typeEPSI_NS1_7vsmem_tEENKUlT_SG_SH_SI_E_clIS7_S7_SB_PlEESF_SV_SG_SH_SI_EUlSV_E1_NS1_11comp_targetILNS1_3genE4ELNS1_11target_archE910ELNS1_3gpuE8ELNS1_3repE0EEENS1_36merge_oddeven_config_static_selectorELNS0_4arch9wavefront6targetE1EEEvSH_.kd
    .uniform_work_group_size: 1
    .uses_dynamic_stack: false
    .vgpr_count:     11
    .vgpr_spill_count: 0
    .wavefront_size: 64
  - .agpr_count:     0
    .args:
      - .offset:         0
        .size:           48
        .value_kind:     by_value
    .group_segment_fixed_size: 0
    .kernarg_segment_align: 8
    .kernarg_segment_size: 48
    .language:       OpenCL C
    .language_version:
      - 2
      - 0
    .max_flat_workgroup_size: 256
    .name:           _ZN7rocprim17ROCPRIM_400000_NS6detail17trampoline_kernelINS0_14default_configENS1_38merge_sort_block_merge_config_selectorIhlEEZZNS1_27merge_sort_block_merge_implIS3_PhN6thrust23THRUST_200600_302600_NS10device_ptrIlEEjNS1_19radix_merge_compareILb0ELb1EhNS0_19identity_decomposerEEEEE10hipError_tT0_T1_T2_jT3_P12ihipStream_tbPNSt15iterator_traitsISG_E10value_typeEPNSM_ISH_E10value_typeEPSI_NS1_7vsmem_tEENKUlT_SG_SH_SI_E_clIS7_S7_SB_PlEESF_SV_SG_SH_SI_EUlSV_E1_NS1_11comp_targetILNS1_3genE3ELNS1_11target_archE908ELNS1_3gpuE7ELNS1_3repE0EEENS1_36merge_oddeven_config_static_selectorELNS0_4arch9wavefront6targetE1EEEvSH_
    .private_segment_fixed_size: 0
    .sgpr_count:     4
    .sgpr_spill_count: 0
    .symbol:         _ZN7rocprim17ROCPRIM_400000_NS6detail17trampoline_kernelINS0_14default_configENS1_38merge_sort_block_merge_config_selectorIhlEEZZNS1_27merge_sort_block_merge_implIS3_PhN6thrust23THRUST_200600_302600_NS10device_ptrIlEEjNS1_19radix_merge_compareILb0ELb1EhNS0_19identity_decomposerEEEEE10hipError_tT0_T1_T2_jT3_P12ihipStream_tbPNSt15iterator_traitsISG_E10value_typeEPNSM_ISH_E10value_typeEPSI_NS1_7vsmem_tEENKUlT_SG_SH_SI_E_clIS7_S7_SB_PlEESF_SV_SG_SH_SI_EUlSV_E1_NS1_11comp_targetILNS1_3genE3ELNS1_11target_archE908ELNS1_3gpuE7ELNS1_3repE0EEENS1_36merge_oddeven_config_static_selectorELNS0_4arch9wavefront6targetE1EEEvSH_.kd
    .uniform_work_group_size: 1
    .uses_dynamic_stack: false
    .vgpr_count:     0
    .vgpr_spill_count: 0
    .wavefront_size: 64
  - .agpr_count:     0
    .args:
      - .offset:         0
        .size:           48
        .value_kind:     by_value
    .group_segment_fixed_size: 0
    .kernarg_segment_align: 8
    .kernarg_segment_size: 48
    .language:       OpenCL C
    .language_version:
      - 2
      - 0
    .max_flat_workgroup_size: 256
    .name:           _ZN7rocprim17ROCPRIM_400000_NS6detail17trampoline_kernelINS0_14default_configENS1_38merge_sort_block_merge_config_selectorIhlEEZZNS1_27merge_sort_block_merge_implIS3_PhN6thrust23THRUST_200600_302600_NS10device_ptrIlEEjNS1_19radix_merge_compareILb0ELb1EhNS0_19identity_decomposerEEEEE10hipError_tT0_T1_T2_jT3_P12ihipStream_tbPNSt15iterator_traitsISG_E10value_typeEPNSM_ISH_E10value_typeEPSI_NS1_7vsmem_tEENKUlT_SG_SH_SI_E_clIS7_S7_SB_PlEESF_SV_SG_SH_SI_EUlSV_E1_NS1_11comp_targetILNS1_3genE2ELNS1_11target_archE906ELNS1_3gpuE6ELNS1_3repE0EEENS1_36merge_oddeven_config_static_selectorELNS0_4arch9wavefront6targetE1EEEvSH_
    .private_segment_fixed_size: 0
    .sgpr_count:     4
    .sgpr_spill_count: 0
    .symbol:         _ZN7rocprim17ROCPRIM_400000_NS6detail17trampoline_kernelINS0_14default_configENS1_38merge_sort_block_merge_config_selectorIhlEEZZNS1_27merge_sort_block_merge_implIS3_PhN6thrust23THRUST_200600_302600_NS10device_ptrIlEEjNS1_19radix_merge_compareILb0ELb1EhNS0_19identity_decomposerEEEEE10hipError_tT0_T1_T2_jT3_P12ihipStream_tbPNSt15iterator_traitsISG_E10value_typeEPNSM_ISH_E10value_typeEPSI_NS1_7vsmem_tEENKUlT_SG_SH_SI_E_clIS7_S7_SB_PlEESF_SV_SG_SH_SI_EUlSV_E1_NS1_11comp_targetILNS1_3genE2ELNS1_11target_archE906ELNS1_3gpuE6ELNS1_3repE0EEENS1_36merge_oddeven_config_static_selectorELNS0_4arch9wavefront6targetE1EEEvSH_.kd
    .uniform_work_group_size: 1
    .uses_dynamic_stack: false
    .vgpr_count:     0
    .vgpr_spill_count: 0
    .wavefront_size: 64
  - .agpr_count:     0
    .args:
      - .offset:         0
        .size:           48
        .value_kind:     by_value
    .group_segment_fixed_size: 0
    .kernarg_segment_align: 8
    .kernarg_segment_size: 48
    .language:       OpenCL C
    .language_version:
      - 2
      - 0
    .max_flat_workgroup_size: 256
    .name:           _ZN7rocprim17ROCPRIM_400000_NS6detail17trampoline_kernelINS0_14default_configENS1_38merge_sort_block_merge_config_selectorIhlEEZZNS1_27merge_sort_block_merge_implIS3_PhN6thrust23THRUST_200600_302600_NS10device_ptrIlEEjNS1_19radix_merge_compareILb0ELb1EhNS0_19identity_decomposerEEEEE10hipError_tT0_T1_T2_jT3_P12ihipStream_tbPNSt15iterator_traitsISG_E10value_typeEPNSM_ISH_E10value_typeEPSI_NS1_7vsmem_tEENKUlT_SG_SH_SI_E_clIS7_S7_SB_PlEESF_SV_SG_SH_SI_EUlSV_E1_NS1_11comp_targetILNS1_3genE9ELNS1_11target_archE1100ELNS1_3gpuE3ELNS1_3repE0EEENS1_36merge_oddeven_config_static_selectorELNS0_4arch9wavefront6targetE1EEEvSH_
    .private_segment_fixed_size: 0
    .sgpr_count:     4
    .sgpr_spill_count: 0
    .symbol:         _ZN7rocprim17ROCPRIM_400000_NS6detail17trampoline_kernelINS0_14default_configENS1_38merge_sort_block_merge_config_selectorIhlEEZZNS1_27merge_sort_block_merge_implIS3_PhN6thrust23THRUST_200600_302600_NS10device_ptrIlEEjNS1_19radix_merge_compareILb0ELb1EhNS0_19identity_decomposerEEEEE10hipError_tT0_T1_T2_jT3_P12ihipStream_tbPNSt15iterator_traitsISG_E10value_typeEPNSM_ISH_E10value_typeEPSI_NS1_7vsmem_tEENKUlT_SG_SH_SI_E_clIS7_S7_SB_PlEESF_SV_SG_SH_SI_EUlSV_E1_NS1_11comp_targetILNS1_3genE9ELNS1_11target_archE1100ELNS1_3gpuE3ELNS1_3repE0EEENS1_36merge_oddeven_config_static_selectorELNS0_4arch9wavefront6targetE1EEEvSH_.kd
    .uniform_work_group_size: 1
    .uses_dynamic_stack: false
    .vgpr_count:     0
    .vgpr_spill_count: 0
    .wavefront_size: 64
  - .agpr_count:     0
    .args:
      - .offset:         0
        .size:           48
        .value_kind:     by_value
    .group_segment_fixed_size: 0
    .kernarg_segment_align: 8
    .kernarg_segment_size: 48
    .language:       OpenCL C
    .language_version:
      - 2
      - 0
    .max_flat_workgroup_size: 256
    .name:           _ZN7rocprim17ROCPRIM_400000_NS6detail17trampoline_kernelINS0_14default_configENS1_38merge_sort_block_merge_config_selectorIhlEEZZNS1_27merge_sort_block_merge_implIS3_PhN6thrust23THRUST_200600_302600_NS10device_ptrIlEEjNS1_19radix_merge_compareILb0ELb1EhNS0_19identity_decomposerEEEEE10hipError_tT0_T1_T2_jT3_P12ihipStream_tbPNSt15iterator_traitsISG_E10value_typeEPNSM_ISH_E10value_typeEPSI_NS1_7vsmem_tEENKUlT_SG_SH_SI_E_clIS7_S7_SB_PlEESF_SV_SG_SH_SI_EUlSV_E1_NS1_11comp_targetILNS1_3genE8ELNS1_11target_archE1030ELNS1_3gpuE2ELNS1_3repE0EEENS1_36merge_oddeven_config_static_selectorELNS0_4arch9wavefront6targetE1EEEvSH_
    .private_segment_fixed_size: 0
    .sgpr_count:     4
    .sgpr_spill_count: 0
    .symbol:         _ZN7rocprim17ROCPRIM_400000_NS6detail17trampoline_kernelINS0_14default_configENS1_38merge_sort_block_merge_config_selectorIhlEEZZNS1_27merge_sort_block_merge_implIS3_PhN6thrust23THRUST_200600_302600_NS10device_ptrIlEEjNS1_19radix_merge_compareILb0ELb1EhNS0_19identity_decomposerEEEEE10hipError_tT0_T1_T2_jT3_P12ihipStream_tbPNSt15iterator_traitsISG_E10value_typeEPNSM_ISH_E10value_typeEPSI_NS1_7vsmem_tEENKUlT_SG_SH_SI_E_clIS7_S7_SB_PlEESF_SV_SG_SH_SI_EUlSV_E1_NS1_11comp_targetILNS1_3genE8ELNS1_11target_archE1030ELNS1_3gpuE2ELNS1_3repE0EEENS1_36merge_oddeven_config_static_selectorELNS0_4arch9wavefront6targetE1EEEvSH_.kd
    .uniform_work_group_size: 1
    .uses_dynamic_stack: false
    .vgpr_count:     0
    .vgpr_spill_count: 0
    .wavefront_size: 64
  - .agpr_count:     0
    .args:
      - .offset:         0
        .size:           40
        .value_kind:     by_value
    .group_segment_fixed_size: 0
    .kernarg_segment_align: 8
    .kernarg_segment_size: 40
    .language:       OpenCL C
    .language_version:
      - 2
      - 0
    .max_flat_workgroup_size: 1024
    .name:           _ZN7rocprim17ROCPRIM_400000_NS6detail17trampoline_kernelINS0_14default_configENS1_35radix_sort_onesweep_config_selectorIhlEEZNS1_34radix_sort_onesweep_global_offsetsIS3_Lb0EPhN6thrust23THRUST_200600_302600_NS10device_ptrIlEEjNS0_19identity_decomposerEEE10hipError_tT1_T2_PT3_SG_jT4_jjP12ihipStream_tbEUlT_E_NS1_11comp_targetILNS1_3genE0ELNS1_11target_archE4294967295ELNS1_3gpuE0ELNS1_3repE0EEENS1_52radix_sort_onesweep_histogram_config_static_selectorELNS0_4arch9wavefront6targetE1EEEvSE_
    .private_segment_fixed_size: 0
    .sgpr_count:     4
    .sgpr_spill_count: 0
    .symbol:         _ZN7rocprim17ROCPRIM_400000_NS6detail17trampoline_kernelINS0_14default_configENS1_35radix_sort_onesweep_config_selectorIhlEEZNS1_34radix_sort_onesweep_global_offsetsIS3_Lb0EPhN6thrust23THRUST_200600_302600_NS10device_ptrIlEEjNS0_19identity_decomposerEEE10hipError_tT1_T2_PT3_SG_jT4_jjP12ihipStream_tbEUlT_E_NS1_11comp_targetILNS1_3genE0ELNS1_11target_archE4294967295ELNS1_3gpuE0ELNS1_3repE0EEENS1_52radix_sort_onesweep_histogram_config_static_selectorELNS0_4arch9wavefront6targetE1EEEvSE_.kd
    .uniform_work_group_size: 1
    .uses_dynamic_stack: false
    .vgpr_count:     0
    .vgpr_spill_count: 0
    .wavefront_size: 64
  - .agpr_count:     0
    .args:
      - .offset:         0
        .size:           40
        .value_kind:     by_value
    .group_segment_fixed_size: 0
    .kernarg_segment_align: 8
    .kernarg_segment_size: 40
    .language:       OpenCL C
    .language_version:
      - 2
      - 0
    .max_flat_workgroup_size: 1024
    .name:           _ZN7rocprim17ROCPRIM_400000_NS6detail17trampoline_kernelINS0_14default_configENS1_35radix_sort_onesweep_config_selectorIhlEEZNS1_34radix_sort_onesweep_global_offsetsIS3_Lb0EPhN6thrust23THRUST_200600_302600_NS10device_ptrIlEEjNS0_19identity_decomposerEEE10hipError_tT1_T2_PT3_SG_jT4_jjP12ihipStream_tbEUlT_E_NS1_11comp_targetILNS1_3genE6ELNS1_11target_archE950ELNS1_3gpuE13ELNS1_3repE0EEENS1_52radix_sort_onesweep_histogram_config_static_selectorELNS0_4arch9wavefront6targetE1EEEvSE_
    .private_segment_fixed_size: 0
    .sgpr_count:     4
    .sgpr_spill_count: 0
    .symbol:         _ZN7rocprim17ROCPRIM_400000_NS6detail17trampoline_kernelINS0_14default_configENS1_35radix_sort_onesweep_config_selectorIhlEEZNS1_34radix_sort_onesweep_global_offsetsIS3_Lb0EPhN6thrust23THRUST_200600_302600_NS10device_ptrIlEEjNS0_19identity_decomposerEEE10hipError_tT1_T2_PT3_SG_jT4_jjP12ihipStream_tbEUlT_E_NS1_11comp_targetILNS1_3genE6ELNS1_11target_archE950ELNS1_3gpuE13ELNS1_3repE0EEENS1_52radix_sort_onesweep_histogram_config_static_selectorELNS0_4arch9wavefront6targetE1EEEvSE_.kd
    .uniform_work_group_size: 1
    .uses_dynamic_stack: false
    .vgpr_count:     0
    .vgpr_spill_count: 0
    .wavefront_size: 64
  - .agpr_count:     0
    .args:
      - .offset:         0
        .size:           40
        .value_kind:     by_value
    .group_segment_fixed_size: 0
    .kernarg_segment_align: 8
    .kernarg_segment_size: 40
    .language:       OpenCL C
    .language_version:
      - 2
      - 0
    .max_flat_workgroup_size: 1024
    .name:           _ZN7rocprim17ROCPRIM_400000_NS6detail17trampoline_kernelINS0_14default_configENS1_35radix_sort_onesweep_config_selectorIhlEEZNS1_34radix_sort_onesweep_global_offsetsIS3_Lb0EPhN6thrust23THRUST_200600_302600_NS10device_ptrIlEEjNS0_19identity_decomposerEEE10hipError_tT1_T2_PT3_SG_jT4_jjP12ihipStream_tbEUlT_E_NS1_11comp_targetILNS1_3genE5ELNS1_11target_archE942ELNS1_3gpuE9ELNS1_3repE0EEENS1_52radix_sort_onesweep_histogram_config_static_selectorELNS0_4arch9wavefront6targetE1EEEvSE_
    .private_segment_fixed_size: 0
    .sgpr_count:     4
    .sgpr_spill_count: 0
    .symbol:         _ZN7rocprim17ROCPRIM_400000_NS6detail17trampoline_kernelINS0_14default_configENS1_35radix_sort_onesweep_config_selectorIhlEEZNS1_34radix_sort_onesweep_global_offsetsIS3_Lb0EPhN6thrust23THRUST_200600_302600_NS10device_ptrIlEEjNS0_19identity_decomposerEEE10hipError_tT1_T2_PT3_SG_jT4_jjP12ihipStream_tbEUlT_E_NS1_11comp_targetILNS1_3genE5ELNS1_11target_archE942ELNS1_3gpuE9ELNS1_3repE0EEENS1_52radix_sort_onesweep_histogram_config_static_selectorELNS0_4arch9wavefront6targetE1EEEvSE_.kd
    .uniform_work_group_size: 1
    .uses_dynamic_stack: false
    .vgpr_count:     0
    .vgpr_spill_count: 0
    .wavefront_size: 64
  - .agpr_count:     0
    .args:
      - .offset:         0
        .size:           40
        .value_kind:     by_value
    .group_segment_fixed_size: 0
    .kernarg_segment_align: 8
    .kernarg_segment_size: 40
    .language:       OpenCL C
    .language_version:
      - 2
      - 0
    .max_flat_workgroup_size: 512
    .name:           _ZN7rocprim17ROCPRIM_400000_NS6detail17trampoline_kernelINS0_14default_configENS1_35radix_sort_onesweep_config_selectorIhlEEZNS1_34radix_sort_onesweep_global_offsetsIS3_Lb0EPhN6thrust23THRUST_200600_302600_NS10device_ptrIlEEjNS0_19identity_decomposerEEE10hipError_tT1_T2_PT3_SG_jT4_jjP12ihipStream_tbEUlT_E_NS1_11comp_targetILNS1_3genE2ELNS1_11target_archE906ELNS1_3gpuE6ELNS1_3repE0EEENS1_52radix_sort_onesweep_histogram_config_static_selectorELNS0_4arch9wavefront6targetE1EEEvSE_
    .private_segment_fixed_size: 0
    .sgpr_count:     4
    .sgpr_spill_count: 0
    .symbol:         _ZN7rocprim17ROCPRIM_400000_NS6detail17trampoline_kernelINS0_14default_configENS1_35radix_sort_onesweep_config_selectorIhlEEZNS1_34radix_sort_onesweep_global_offsetsIS3_Lb0EPhN6thrust23THRUST_200600_302600_NS10device_ptrIlEEjNS0_19identity_decomposerEEE10hipError_tT1_T2_PT3_SG_jT4_jjP12ihipStream_tbEUlT_E_NS1_11comp_targetILNS1_3genE2ELNS1_11target_archE906ELNS1_3gpuE6ELNS1_3repE0EEENS1_52radix_sort_onesweep_histogram_config_static_selectorELNS0_4arch9wavefront6targetE1EEEvSE_.kd
    .uniform_work_group_size: 1
    .uses_dynamic_stack: false
    .vgpr_count:     0
    .vgpr_spill_count: 0
    .wavefront_size: 64
  - .agpr_count:     0
    .args:
      - .offset:         0
        .size:           40
        .value_kind:     by_value
    .group_segment_fixed_size: 4096
    .kernarg_segment_align: 8
    .kernarg_segment_size: 40
    .language:       OpenCL C
    .language_version:
      - 2
      - 0
    .max_flat_workgroup_size: 1024
    .name:           _ZN7rocprim17ROCPRIM_400000_NS6detail17trampoline_kernelINS0_14default_configENS1_35radix_sort_onesweep_config_selectorIhlEEZNS1_34radix_sort_onesweep_global_offsetsIS3_Lb0EPhN6thrust23THRUST_200600_302600_NS10device_ptrIlEEjNS0_19identity_decomposerEEE10hipError_tT1_T2_PT3_SG_jT4_jjP12ihipStream_tbEUlT_E_NS1_11comp_targetILNS1_3genE4ELNS1_11target_archE910ELNS1_3gpuE8ELNS1_3repE0EEENS1_52radix_sort_onesweep_histogram_config_static_selectorELNS0_4arch9wavefront6targetE1EEEvSE_
    .private_segment_fixed_size: 0
    .sgpr_count:     34
    .sgpr_spill_count: 0
    .symbol:         _ZN7rocprim17ROCPRIM_400000_NS6detail17trampoline_kernelINS0_14default_configENS1_35radix_sort_onesweep_config_selectorIhlEEZNS1_34radix_sort_onesweep_global_offsetsIS3_Lb0EPhN6thrust23THRUST_200600_302600_NS10device_ptrIlEEjNS0_19identity_decomposerEEE10hipError_tT1_T2_PT3_SG_jT4_jjP12ihipStream_tbEUlT_E_NS1_11comp_targetILNS1_3genE4ELNS1_11target_archE910ELNS1_3gpuE8ELNS1_3repE0EEENS1_52radix_sort_onesweep_histogram_config_static_selectorELNS0_4arch9wavefront6targetE1EEEvSE_.kd
    .uniform_work_group_size: 1
    .uses_dynamic_stack: false
    .vgpr_count:     20
    .vgpr_spill_count: 0
    .wavefront_size: 64
  - .agpr_count:     0
    .args:
      - .offset:         0
        .size:           40
        .value_kind:     by_value
    .group_segment_fixed_size: 0
    .kernarg_segment_align: 8
    .kernarg_segment_size: 40
    .language:       OpenCL C
    .language_version:
      - 2
      - 0
    .max_flat_workgroup_size: 1024
    .name:           _ZN7rocprim17ROCPRIM_400000_NS6detail17trampoline_kernelINS0_14default_configENS1_35radix_sort_onesweep_config_selectorIhlEEZNS1_34radix_sort_onesweep_global_offsetsIS3_Lb0EPhN6thrust23THRUST_200600_302600_NS10device_ptrIlEEjNS0_19identity_decomposerEEE10hipError_tT1_T2_PT3_SG_jT4_jjP12ihipStream_tbEUlT_E_NS1_11comp_targetILNS1_3genE3ELNS1_11target_archE908ELNS1_3gpuE7ELNS1_3repE0EEENS1_52radix_sort_onesweep_histogram_config_static_selectorELNS0_4arch9wavefront6targetE1EEEvSE_
    .private_segment_fixed_size: 0
    .sgpr_count:     4
    .sgpr_spill_count: 0
    .symbol:         _ZN7rocprim17ROCPRIM_400000_NS6detail17trampoline_kernelINS0_14default_configENS1_35radix_sort_onesweep_config_selectorIhlEEZNS1_34radix_sort_onesweep_global_offsetsIS3_Lb0EPhN6thrust23THRUST_200600_302600_NS10device_ptrIlEEjNS0_19identity_decomposerEEE10hipError_tT1_T2_PT3_SG_jT4_jjP12ihipStream_tbEUlT_E_NS1_11comp_targetILNS1_3genE3ELNS1_11target_archE908ELNS1_3gpuE7ELNS1_3repE0EEENS1_52radix_sort_onesweep_histogram_config_static_selectorELNS0_4arch9wavefront6targetE1EEEvSE_.kd
    .uniform_work_group_size: 1
    .uses_dynamic_stack: false
    .vgpr_count:     0
    .vgpr_spill_count: 0
    .wavefront_size: 64
  - .agpr_count:     0
    .args:
      - .offset:         0
        .size:           40
        .value_kind:     by_value
    .group_segment_fixed_size: 0
    .kernarg_segment_align: 8
    .kernarg_segment_size: 40
    .language:       OpenCL C
    .language_version:
      - 2
      - 0
    .max_flat_workgroup_size: 1024
    .name:           _ZN7rocprim17ROCPRIM_400000_NS6detail17trampoline_kernelINS0_14default_configENS1_35radix_sort_onesweep_config_selectorIhlEEZNS1_34radix_sort_onesweep_global_offsetsIS3_Lb0EPhN6thrust23THRUST_200600_302600_NS10device_ptrIlEEjNS0_19identity_decomposerEEE10hipError_tT1_T2_PT3_SG_jT4_jjP12ihipStream_tbEUlT_E_NS1_11comp_targetILNS1_3genE10ELNS1_11target_archE1201ELNS1_3gpuE5ELNS1_3repE0EEENS1_52radix_sort_onesweep_histogram_config_static_selectorELNS0_4arch9wavefront6targetE1EEEvSE_
    .private_segment_fixed_size: 0
    .sgpr_count:     4
    .sgpr_spill_count: 0
    .symbol:         _ZN7rocprim17ROCPRIM_400000_NS6detail17trampoline_kernelINS0_14default_configENS1_35radix_sort_onesweep_config_selectorIhlEEZNS1_34radix_sort_onesweep_global_offsetsIS3_Lb0EPhN6thrust23THRUST_200600_302600_NS10device_ptrIlEEjNS0_19identity_decomposerEEE10hipError_tT1_T2_PT3_SG_jT4_jjP12ihipStream_tbEUlT_E_NS1_11comp_targetILNS1_3genE10ELNS1_11target_archE1201ELNS1_3gpuE5ELNS1_3repE0EEENS1_52radix_sort_onesweep_histogram_config_static_selectorELNS0_4arch9wavefront6targetE1EEEvSE_.kd
    .uniform_work_group_size: 1
    .uses_dynamic_stack: false
    .vgpr_count:     0
    .vgpr_spill_count: 0
    .wavefront_size: 64
  - .agpr_count:     0
    .args:
      - .offset:         0
        .size:           40
        .value_kind:     by_value
    .group_segment_fixed_size: 0
    .kernarg_segment_align: 8
    .kernarg_segment_size: 40
    .language:       OpenCL C
    .language_version:
      - 2
      - 0
    .max_flat_workgroup_size: 1024
    .name:           _ZN7rocprim17ROCPRIM_400000_NS6detail17trampoline_kernelINS0_14default_configENS1_35radix_sort_onesweep_config_selectorIhlEEZNS1_34radix_sort_onesweep_global_offsetsIS3_Lb0EPhN6thrust23THRUST_200600_302600_NS10device_ptrIlEEjNS0_19identity_decomposerEEE10hipError_tT1_T2_PT3_SG_jT4_jjP12ihipStream_tbEUlT_E_NS1_11comp_targetILNS1_3genE9ELNS1_11target_archE1100ELNS1_3gpuE3ELNS1_3repE0EEENS1_52radix_sort_onesweep_histogram_config_static_selectorELNS0_4arch9wavefront6targetE1EEEvSE_
    .private_segment_fixed_size: 0
    .sgpr_count:     4
    .sgpr_spill_count: 0
    .symbol:         _ZN7rocprim17ROCPRIM_400000_NS6detail17trampoline_kernelINS0_14default_configENS1_35radix_sort_onesweep_config_selectorIhlEEZNS1_34radix_sort_onesweep_global_offsetsIS3_Lb0EPhN6thrust23THRUST_200600_302600_NS10device_ptrIlEEjNS0_19identity_decomposerEEE10hipError_tT1_T2_PT3_SG_jT4_jjP12ihipStream_tbEUlT_E_NS1_11comp_targetILNS1_3genE9ELNS1_11target_archE1100ELNS1_3gpuE3ELNS1_3repE0EEENS1_52radix_sort_onesweep_histogram_config_static_selectorELNS0_4arch9wavefront6targetE1EEEvSE_.kd
    .uniform_work_group_size: 1
    .uses_dynamic_stack: false
    .vgpr_count:     0
    .vgpr_spill_count: 0
    .wavefront_size: 64
  - .agpr_count:     0
    .args:
      - .offset:         0
        .size:           40
        .value_kind:     by_value
    .group_segment_fixed_size: 0
    .kernarg_segment_align: 8
    .kernarg_segment_size: 40
    .language:       OpenCL C
    .language_version:
      - 2
      - 0
    .max_flat_workgroup_size: 1024
    .name:           _ZN7rocprim17ROCPRIM_400000_NS6detail17trampoline_kernelINS0_14default_configENS1_35radix_sort_onesweep_config_selectorIhlEEZNS1_34radix_sort_onesweep_global_offsetsIS3_Lb0EPhN6thrust23THRUST_200600_302600_NS10device_ptrIlEEjNS0_19identity_decomposerEEE10hipError_tT1_T2_PT3_SG_jT4_jjP12ihipStream_tbEUlT_E_NS1_11comp_targetILNS1_3genE8ELNS1_11target_archE1030ELNS1_3gpuE2ELNS1_3repE0EEENS1_52radix_sort_onesweep_histogram_config_static_selectorELNS0_4arch9wavefront6targetE1EEEvSE_
    .private_segment_fixed_size: 0
    .sgpr_count:     4
    .sgpr_spill_count: 0
    .symbol:         _ZN7rocprim17ROCPRIM_400000_NS6detail17trampoline_kernelINS0_14default_configENS1_35radix_sort_onesweep_config_selectorIhlEEZNS1_34radix_sort_onesweep_global_offsetsIS3_Lb0EPhN6thrust23THRUST_200600_302600_NS10device_ptrIlEEjNS0_19identity_decomposerEEE10hipError_tT1_T2_PT3_SG_jT4_jjP12ihipStream_tbEUlT_E_NS1_11comp_targetILNS1_3genE8ELNS1_11target_archE1030ELNS1_3gpuE2ELNS1_3repE0EEENS1_52radix_sort_onesweep_histogram_config_static_selectorELNS0_4arch9wavefront6targetE1EEEvSE_.kd
    .uniform_work_group_size: 1
    .uses_dynamic_stack: false
    .vgpr_count:     0
    .vgpr_spill_count: 0
    .wavefront_size: 64
  - .agpr_count:     0
    .args:
      - .address_space:  global
        .offset:         0
        .size:           8
        .value_kind:     global_buffer
    .group_segment_fixed_size: 0
    .kernarg_segment_align: 8
    .kernarg_segment_size: 8
    .language:       OpenCL C
    .language_version:
      - 2
      - 0
    .max_flat_workgroup_size: 1024
    .name:           _ZN7rocprim17ROCPRIM_400000_NS6detail17trampoline_kernelINS0_14default_configENS1_35radix_sort_onesweep_config_selectorIhlEEZNS1_34radix_sort_onesweep_global_offsetsIS3_Lb0EPhN6thrust23THRUST_200600_302600_NS10device_ptrIlEEjNS0_19identity_decomposerEEE10hipError_tT1_T2_PT3_SG_jT4_jjP12ihipStream_tbEUlT_E0_NS1_11comp_targetILNS1_3genE0ELNS1_11target_archE4294967295ELNS1_3gpuE0ELNS1_3repE0EEENS1_52radix_sort_onesweep_histogram_config_static_selectorELNS0_4arch9wavefront6targetE1EEEvSE_
    .private_segment_fixed_size: 0
    .sgpr_count:     4
    .sgpr_spill_count: 0
    .symbol:         _ZN7rocprim17ROCPRIM_400000_NS6detail17trampoline_kernelINS0_14default_configENS1_35radix_sort_onesweep_config_selectorIhlEEZNS1_34radix_sort_onesweep_global_offsetsIS3_Lb0EPhN6thrust23THRUST_200600_302600_NS10device_ptrIlEEjNS0_19identity_decomposerEEE10hipError_tT1_T2_PT3_SG_jT4_jjP12ihipStream_tbEUlT_E0_NS1_11comp_targetILNS1_3genE0ELNS1_11target_archE4294967295ELNS1_3gpuE0ELNS1_3repE0EEENS1_52radix_sort_onesweep_histogram_config_static_selectorELNS0_4arch9wavefront6targetE1EEEvSE_.kd
    .uniform_work_group_size: 1
    .uses_dynamic_stack: false
    .vgpr_count:     0
    .vgpr_spill_count: 0
    .wavefront_size: 64
  - .agpr_count:     0
    .args:
      - .address_space:  global
        .offset:         0
        .size:           8
        .value_kind:     global_buffer
    .group_segment_fixed_size: 0
    .kernarg_segment_align: 8
    .kernarg_segment_size: 8
    .language:       OpenCL C
    .language_version:
      - 2
      - 0
    .max_flat_workgroup_size: 1024
    .name:           _ZN7rocprim17ROCPRIM_400000_NS6detail17trampoline_kernelINS0_14default_configENS1_35radix_sort_onesweep_config_selectorIhlEEZNS1_34radix_sort_onesweep_global_offsetsIS3_Lb0EPhN6thrust23THRUST_200600_302600_NS10device_ptrIlEEjNS0_19identity_decomposerEEE10hipError_tT1_T2_PT3_SG_jT4_jjP12ihipStream_tbEUlT_E0_NS1_11comp_targetILNS1_3genE6ELNS1_11target_archE950ELNS1_3gpuE13ELNS1_3repE0EEENS1_52radix_sort_onesweep_histogram_config_static_selectorELNS0_4arch9wavefront6targetE1EEEvSE_
    .private_segment_fixed_size: 0
    .sgpr_count:     4
    .sgpr_spill_count: 0
    .symbol:         _ZN7rocprim17ROCPRIM_400000_NS6detail17trampoline_kernelINS0_14default_configENS1_35radix_sort_onesweep_config_selectorIhlEEZNS1_34radix_sort_onesweep_global_offsetsIS3_Lb0EPhN6thrust23THRUST_200600_302600_NS10device_ptrIlEEjNS0_19identity_decomposerEEE10hipError_tT1_T2_PT3_SG_jT4_jjP12ihipStream_tbEUlT_E0_NS1_11comp_targetILNS1_3genE6ELNS1_11target_archE950ELNS1_3gpuE13ELNS1_3repE0EEENS1_52radix_sort_onesweep_histogram_config_static_selectorELNS0_4arch9wavefront6targetE1EEEvSE_.kd
    .uniform_work_group_size: 1
    .uses_dynamic_stack: false
    .vgpr_count:     0
    .vgpr_spill_count: 0
    .wavefront_size: 64
  - .agpr_count:     0
    .args:
      - .address_space:  global
        .offset:         0
        .size:           8
        .value_kind:     global_buffer
    .group_segment_fixed_size: 0
    .kernarg_segment_align: 8
    .kernarg_segment_size: 8
    .language:       OpenCL C
    .language_version:
      - 2
      - 0
    .max_flat_workgroup_size: 1024
    .name:           _ZN7rocprim17ROCPRIM_400000_NS6detail17trampoline_kernelINS0_14default_configENS1_35radix_sort_onesweep_config_selectorIhlEEZNS1_34radix_sort_onesweep_global_offsetsIS3_Lb0EPhN6thrust23THRUST_200600_302600_NS10device_ptrIlEEjNS0_19identity_decomposerEEE10hipError_tT1_T2_PT3_SG_jT4_jjP12ihipStream_tbEUlT_E0_NS1_11comp_targetILNS1_3genE5ELNS1_11target_archE942ELNS1_3gpuE9ELNS1_3repE0EEENS1_52radix_sort_onesweep_histogram_config_static_selectorELNS0_4arch9wavefront6targetE1EEEvSE_
    .private_segment_fixed_size: 0
    .sgpr_count:     4
    .sgpr_spill_count: 0
    .symbol:         _ZN7rocprim17ROCPRIM_400000_NS6detail17trampoline_kernelINS0_14default_configENS1_35radix_sort_onesweep_config_selectorIhlEEZNS1_34radix_sort_onesweep_global_offsetsIS3_Lb0EPhN6thrust23THRUST_200600_302600_NS10device_ptrIlEEjNS0_19identity_decomposerEEE10hipError_tT1_T2_PT3_SG_jT4_jjP12ihipStream_tbEUlT_E0_NS1_11comp_targetILNS1_3genE5ELNS1_11target_archE942ELNS1_3gpuE9ELNS1_3repE0EEENS1_52radix_sort_onesweep_histogram_config_static_selectorELNS0_4arch9wavefront6targetE1EEEvSE_.kd
    .uniform_work_group_size: 1
    .uses_dynamic_stack: false
    .vgpr_count:     0
    .vgpr_spill_count: 0
    .wavefront_size: 64
  - .agpr_count:     0
    .args:
      - .address_space:  global
        .offset:         0
        .size:           8
        .value_kind:     global_buffer
    .group_segment_fixed_size: 0
    .kernarg_segment_align: 8
    .kernarg_segment_size: 8
    .language:       OpenCL C
    .language_version:
      - 2
      - 0
    .max_flat_workgroup_size: 512
    .name:           _ZN7rocprim17ROCPRIM_400000_NS6detail17trampoline_kernelINS0_14default_configENS1_35radix_sort_onesweep_config_selectorIhlEEZNS1_34radix_sort_onesweep_global_offsetsIS3_Lb0EPhN6thrust23THRUST_200600_302600_NS10device_ptrIlEEjNS0_19identity_decomposerEEE10hipError_tT1_T2_PT3_SG_jT4_jjP12ihipStream_tbEUlT_E0_NS1_11comp_targetILNS1_3genE2ELNS1_11target_archE906ELNS1_3gpuE6ELNS1_3repE0EEENS1_52radix_sort_onesweep_histogram_config_static_selectorELNS0_4arch9wavefront6targetE1EEEvSE_
    .private_segment_fixed_size: 0
    .sgpr_count:     4
    .sgpr_spill_count: 0
    .symbol:         _ZN7rocprim17ROCPRIM_400000_NS6detail17trampoline_kernelINS0_14default_configENS1_35radix_sort_onesweep_config_selectorIhlEEZNS1_34radix_sort_onesweep_global_offsetsIS3_Lb0EPhN6thrust23THRUST_200600_302600_NS10device_ptrIlEEjNS0_19identity_decomposerEEE10hipError_tT1_T2_PT3_SG_jT4_jjP12ihipStream_tbEUlT_E0_NS1_11comp_targetILNS1_3genE2ELNS1_11target_archE906ELNS1_3gpuE6ELNS1_3repE0EEENS1_52radix_sort_onesweep_histogram_config_static_selectorELNS0_4arch9wavefront6targetE1EEEvSE_.kd
    .uniform_work_group_size: 1
    .uses_dynamic_stack: false
    .vgpr_count:     0
    .vgpr_spill_count: 0
    .wavefront_size: 64
  - .agpr_count:     0
    .args:
      - .address_space:  global
        .offset:         0
        .size:           8
        .value_kind:     global_buffer
    .group_segment_fixed_size: 64
    .kernarg_segment_align: 8
    .kernarg_segment_size: 8
    .language:       OpenCL C
    .language_version:
      - 2
      - 0
    .max_flat_workgroup_size: 1024
    .name:           _ZN7rocprim17ROCPRIM_400000_NS6detail17trampoline_kernelINS0_14default_configENS1_35radix_sort_onesweep_config_selectorIhlEEZNS1_34radix_sort_onesweep_global_offsetsIS3_Lb0EPhN6thrust23THRUST_200600_302600_NS10device_ptrIlEEjNS0_19identity_decomposerEEE10hipError_tT1_T2_PT3_SG_jT4_jjP12ihipStream_tbEUlT_E0_NS1_11comp_targetILNS1_3genE4ELNS1_11target_archE910ELNS1_3gpuE8ELNS1_3repE0EEENS1_52radix_sort_onesweep_histogram_config_static_selectorELNS0_4arch9wavefront6targetE1EEEvSE_
    .private_segment_fixed_size: 0
    .sgpr_count:     18
    .sgpr_spill_count: 0
    .symbol:         _ZN7rocprim17ROCPRIM_400000_NS6detail17trampoline_kernelINS0_14default_configENS1_35radix_sort_onesweep_config_selectorIhlEEZNS1_34radix_sort_onesweep_global_offsetsIS3_Lb0EPhN6thrust23THRUST_200600_302600_NS10device_ptrIlEEjNS0_19identity_decomposerEEE10hipError_tT1_T2_PT3_SG_jT4_jjP12ihipStream_tbEUlT_E0_NS1_11comp_targetILNS1_3genE4ELNS1_11target_archE910ELNS1_3gpuE8ELNS1_3repE0EEENS1_52radix_sort_onesweep_histogram_config_static_selectorELNS0_4arch9wavefront6targetE1EEEvSE_.kd
    .uniform_work_group_size: 1
    .uses_dynamic_stack: false
    .vgpr_count:     7
    .vgpr_spill_count: 0
    .wavefront_size: 64
  - .agpr_count:     0
    .args:
      - .address_space:  global
        .offset:         0
        .size:           8
        .value_kind:     global_buffer
    .group_segment_fixed_size: 0
    .kernarg_segment_align: 8
    .kernarg_segment_size: 8
    .language:       OpenCL C
    .language_version:
      - 2
      - 0
    .max_flat_workgroup_size: 1024
    .name:           _ZN7rocprim17ROCPRIM_400000_NS6detail17trampoline_kernelINS0_14default_configENS1_35radix_sort_onesweep_config_selectorIhlEEZNS1_34radix_sort_onesweep_global_offsetsIS3_Lb0EPhN6thrust23THRUST_200600_302600_NS10device_ptrIlEEjNS0_19identity_decomposerEEE10hipError_tT1_T2_PT3_SG_jT4_jjP12ihipStream_tbEUlT_E0_NS1_11comp_targetILNS1_3genE3ELNS1_11target_archE908ELNS1_3gpuE7ELNS1_3repE0EEENS1_52radix_sort_onesweep_histogram_config_static_selectorELNS0_4arch9wavefront6targetE1EEEvSE_
    .private_segment_fixed_size: 0
    .sgpr_count:     4
    .sgpr_spill_count: 0
    .symbol:         _ZN7rocprim17ROCPRIM_400000_NS6detail17trampoline_kernelINS0_14default_configENS1_35radix_sort_onesweep_config_selectorIhlEEZNS1_34radix_sort_onesweep_global_offsetsIS3_Lb0EPhN6thrust23THRUST_200600_302600_NS10device_ptrIlEEjNS0_19identity_decomposerEEE10hipError_tT1_T2_PT3_SG_jT4_jjP12ihipStream_tbEUlT_E0_NS1_11comp_targetILNS1_3genE3ELNS1_11target_archE908ELNS1_3gpuE7ELNS1_3repE0EEENS1_52radix_sort_onesweep_histogram_config_static_selectorELNS0_4arch9wavefront6targetE1EEEvSE_.kd
    .uniform_work_group_size: 1
    .uses_dynamic_stack: false
    .vgpr_count:     0
    .vgpr_spill_count: 0
    .wavefront_size: 64
  - .agpr_count:     0
    .args:
      - .address_space:  global
        .offset:         0
        .size:           8
        .value_kind:     global_buffer
    .group_segment_fixed_size: 0
    .kernarg_segment_align: 8
    .kernarg_segment_size: 8
    .language:       OpenCL C
    .language_version:
      - 2
      - 0
    .max_flat_workgroup_size: 1024
    .name:           _ZN7rocprim17ROCPRIM_400000_NS6detail17trampoline_kernelINS0_14default_configENS1_35radix_sort_onesweep_config_selectorIhlEEZNS1_34radix_sort_onesweep_global_offsetsIS3_Lb0EPhN6thrust23THRUST_200600_302600_NS10device_ptrIlEEjNS0_19identity_decomposerEEE10hipError_tT1_T2_PT3_SG_jT4_jjP12ihipStream_tbEUlT_E0_NS1_11comp_targetILNS1_3genE10ELNS1_11target_archE1201ELNS1_3gpuE5ELNS1_3repE0EEENS1_52radix_sort_onesweep_histogram_config_static_selectorELNS0_4arch9wavefront6targetE1EEEvSE_
    .private_segment_fixed_size: 0
    .sgpr_count:     4
    .sgpr_spill_count: 0
    .symbol:         _ZN7rocprim17ROCPRIM_400000_NS6detail17trampoline_kernelINS0_14default_configENS1_35radix_sort_onesweep_config_selectorIhlEEZNS1_34radix_sort_onesweep_global_offsetsIS3_Lb0EPhN6thrust23THRUST_200600_302600_NS10device_ptrIlEEjNS0_19identity_decomposerEEE10hipError_tT1_T2_PT3_SG_jT4_jjP12ihipStream_tbEUlT_E0_NS1_11comp_targetILNS1_3genE10ELNS1_11target_archE1201ELNS1_3gpuE5ELNS1_3repE0EEENS1_52radix_sort_onesweep_histogram_config_static_selectorELNS0_4arch9wavefront6targetE1EEEvSE_.kd
    .uniform_work_group_size: 1
    .uses_dynamic_stack: false
    .vgpr_count:     0
    .vgpr_spill_count: 0
    .wavefront_size: 64
  - .agpr_count:     0
    .args:
      - .address_space:  global
        .offset:         0
        .size:           8
        .value_kind:     global_buffer
    .group_segment_fixed_size: 0
    .kernarg_segment_align: 8
    .kernarg_segment_size: 8
    .language:       OpenCL C
    .language_version:
      - 2
      - 0
    .max_flat_workgroup_size: 1024
    .name:           _ZN7rocprim17ROCPRIM_400000_NS6detail17trampoline_kernelINS0_14default_configENS1_35radix_sort_onesweep_config_selectorIhlEEZNS1_34radix_sort_onesweep_global_offsetsIS3_Lb0EPhN6thrust23THRUST_200600_302600_NS10device_ptrIlEEjNS0_19identity_decomposerEEE10hipError_tT1_T2_PT3_SG_jT4_jjP12ihipStream_tbEUlT_E0_NS1_11comp_targetILNS1_3genE9ELNS1_11target_archE1100ELNS1_3gpuE3ELNS1_3repE0EEENS1_52radix_sort_onesweep_histogram_config_static_selectorELNS0_4arch9wavefront6targetE1EEEvSE_
    .private_segment_fixed_size: 0
    .sgpr_count:     4
    .sgpr_spill_count: 0
    .symbol:         _ZN7rocprim17ROCPRIM_400000_NS6detail17trampoline_kernelINS0_14default_configENS1_35radix_sort_onesweep_config_selectorIhlEEZNS1_34radix_sort_onesweep_global_offsetsIS3_Lb0EPhN6thrust23THRUST_200600_302600_NS10device_ptrIlEEjNS0_19identity_decomposerEEE10hipError_tT1_T2_PT3_SG_jT4_jjP12ihipStream_tbEUlT_E0_NS1_11comp_targetILNS1_3genE9ELNS1_11target_archE1100ELNS1_3gpuE3ELNS1_3repE0EEENS1_52radix_sort_onesweep_histogram_config_static_selectorELNS0_4arch9wavefront6targetE1EEEvSE_.kd
    .uniform_work_group_size: 1
    .uses_dynamic_stack: false
    .vgpr_count:     0
    .vgpr_spill_count: 0
    .wavefront_size: 64
  - .agpr_count:     0
    .args:
      - .address_space:  global
        .offset:         0
        .size:           8
        .value_kind:     global_buffer
    .group_segment_fixed_size: 0
    .kernarg_segment_align: 8
    .kernarg_segment_size: 8
    .language:       OpenCL C
    .language_version:
      - 2
      - 0
    .max_flat_workgroup_size: 1024
    .name:           _ZN7rocprim17ROCPRIM_400000_NS6detail17trampoline_kernelINS0_14default_configENS1_35radix_sort_onesweep_config_selectorIhlEEZNS1_34radix_sort_onesweep_global_offsetsIS3_Lb0EPhN6thrust23THRUST_200600_302600_NS10device_ptrIlEEjNS0_19identity_decomposerEEE10hipError_tT1_T2_PT3_SG_jT4_jjP12ihipStream_tbEUlT_E0_NS1_11comp_targetILNS1_3genE8ELNS1_11target_archE1030ELNS1_3gpuE2ELNS1_3repE0EEENS1_52radix_sort_onesweep_histogram_config_static_selectorELNS0_4arch9wavefront6targetE1EEEvSE_
    .private_segment_fixed_size: 0
    .sgpr_count:     4
    .sgpr_spill_count: 0
    .symbol:         _ZN7rocprim17ROCPRIM_400000_NS6detail17trampoline_kernelINS0_14default_configENS1_35radix_sort_onesweep_config_selectorIhlEEZNS1_34radix_sort_onesweep_global_offsetsIS3_Lb0EPhN6thrust23THRUST_200600_302600_NS10device_ptrIlEEjNS0_19identity_decomposerEEE10hipError_tT1_T2_PT3_SG_jT4_jjP12ihipStream_tbEUlT_E0_NS1_11comp_targetILNS1_3genE8ELNS1_11target_archE1030ELNS1_3gpuE2ELNS1_3repE0EEENS1_52radix_sort_onesweep_histogram_config_static_selectorELNS0_4arch9wavefront6targetE1EEEvSE_.kd
    .uniform_work_group_size: 1
    .uses_dynamic_stack: false
    .vgpr_count:     0
    .vgpr_spill_count: 0
    .wavefront_size: 64
  - .agpr_count:     0
    .args:
      - .offset:         0
        .size:           40
        .value_kind:     by_value
    .group_segment_fixed_size: 0
    .kernarg_segment_align: 8
    .kernarg_segment_size: 40
    .language:       OpenCL C
    .language_version:
      - 2
      - 0
    .max_flat_workgroup_size: 128
    .name:           _ZN7rocprim17ROCPRIM_400000_NS6detail17trampoline_kernelINS0_14default_configENS1_25transform_config_selectorIlLb0EEEZNS1_14transform_implILb0ES3_S5_N6thrust23THRUST_200600_302600_NS10device_ptrIlEEPlNS0_8identityIlEEEE10hipError_tT2_T3_mT4_P12ihipStream_tbEUlT_E_NS1_11comp_targetILNS1_3genE0ELNS1_11target_archE4294967295ELNS1_3gpuE0ELNS1_3repE0EEENS1_30default_config_static_selectorELNS0_4arch9wavefront6targetE1EEEvT1_
    .private_segment_fixed_size: 0
    .sgpr_count:     4
    .sgpr_spill_count: 0
    .symbol:         _ZN7rocprim17ROCPRIM_400000_NS6detail17trampoline_kernelINS0_14default_configENS1_25transform_config_selectorIlLb0EEEZNS1_14transform_implILb0ES3_S5_N6thrust23THRUST_200600_302600_NS10device_ptrIlEEPlNS0_8identityIlEEEE10hipError_tT2_T3_mT4_P12ihipStream_tbEUlT_E_NS1_11comp_targetILNS1_3genE0ELNS1_11target_archE4294967295ELNS1_3gpuE0ELNS1_3repE0EEENS1_30default_config_static_selectorELNS0_4arch9wavefront6targetE1EEEvT1_.kd
    .uniform_work_group_size: 1
    .uses_dynamic_stack: false
    .vgpr_count:     0
    .vgpr_spill_count: 0
    .wavefront_size: 64
  - .agpr_count:     0
    .args:
      - .offset:         0
        .size:           40
        .value_kind:     by_value
    .group_segment_fixed_size: 0
    .kernarg_segment_align: 8
    .kernarg_segment_size: 40
    .language:       OpenCL C
    .language_version:
      - 2
      - 0
    .max_flat_workgroup_size: 512
    .name:           _ZN7rocprim17ROCPRIM_400000_NS6detail17trampoline_kernelINS0_14default_configENS1_25transform_config_selectorIlLb0EEEZNS1_14transform_implILb0ES3_S5_N6thrust23THRUST_200600_302600_NS10device_ptrIlEEPlNS0_8identityIlEEEE10hipError_tT2_T3_mT4_P12ihipStream_tbEUlT_E_NS1_11comp_targetILNS1_3genE5ELNS1_11target_archE942ELNS1_3gpuE9ELNS1_3repE0EEENS1_30default_config_static_selectorELNS0_4arch9wavefront6targetE1EEEvT1_
    .private_segment_fixed_size: 0
    .sgpr_count:     4
    .sgpr_spill_count: 0
    .symbol:         _ZN7rocprim17ROCPRIM_400000_NS6detail17trampoline_kernelINS0_14default_configENS1_25transform_config_selectorIlLb0EEEZNS1_14transform_implILb0ES3_S5_N6thrust23THRUST_200600_302600_NS10device_ptrIlEEPlNS0_8identityIlEEEE10hipError_tT2_T3_mT4_P12ihipStream_tbEUlT_E_NS1_11comp_targetILNS1_3genE5ELNS1_11target_archE942ELNS1_3gpuE9ELNS1_3repE0EEENS1_30default_config_static_selectorELNS0_4arch9wavefront6targetE1EEEvT1_.kd
    .uniform_work_group_size: 1
    .uses_dynamic_stack: false
    .vgpr_count:     0
    .vgpr_spill_count: 0
    .wavefront_size: 64
  - .agpr_count:     0
    .args:
      - .offset:         0
        .size:           40
        .value_kind:     by_value
      - .offset:         40
        .size:           4
        .value_kind:     hidden_block_count_x
      - .offset:         44
        .size:           4
        .value_kind:     hidden_block_count_y
      - .offset:         48
        .size:           4
        .value_kind:     hidden_block_count_z
      - .offset:         52
        .size:           2
        .value_kind:     hidden_group_size_x
      - .offset:         54
        .size:           2
        .value_kind:     hidden_group_size_y
      - .offset:         56
        .size:           2
        .value_kind:     hidden_group_size_z
      - .offset:         58
        .size:           2
        .value_kind:     hidden_remainder_x
      - .offset:         60
        .size:           2
        .value_kind:     hidden_remainder_y
      - .offset:         62
        .size:           2
        .value_kind:     hidden_remainder_z
      - .offset:         80
        .size:           8
        .value_kind:     hidden_global_offset_x
      - .offset:         88
        .size:           8
        .value_kind:     hidden_global_offset_y
      - .offset:         96
        .size:           8
        .value_kind:     hidden_global_offset_z
      - .offset:         104
        .size:           2
        .value_kind:     hidden_grid_dims
    .group_segment_fixed_size: 0
    .kernarg_segment_align: 8
    .kernarg_segment_size: 296
    .language:       OpenCL C
    .language_version:
      - 2
      - 0
    .max_flat_workgroup_size: 256
    .name:           _ZN7rocprim17ROCPRIM_400000_NS6detail17trampoline_kernelINS0_14default_configENS1_25transform_config_selectorIlLb0EEEZNS1_14transform_implILb0ES3_S5_N6thrust23THRUST_200600_302600_NS10device_ptrIlEEPlNS0_8identityIlEEEE10hipError_tT2_T3_mT4_P12ihipStream_tbEUlT_E_NS1_11comp_targetILNS1_3genE4ELNS1_11target_archE910ELNS1_3gpuE8ELNS1_3repE0EEENS1_30default_config_static_selectorELNS0_4arch9wavefront6targetE1EEEvT1_
    .private_segment_fixed_size: 0
    .sgpr_count:     20
    .sgpr_spill_count: 0
    .symbol:         _ZN7rocprim17ROCPRIM_400000_NS6detail17trampoline_kernelINS0_14default_configENS1_25transform_config_selectorIlLb0EEEZNS1_14transform_implILb0ES3_S5_N6thrust23THRUST_200600_302600_NS10device_ptrIlEEPlNS0_8identityIlEEEE10hipError_tT2_T3_mT4_P12ihipStream_tbEUlT_E_NS1_11comp_targetILNS1_3genE4ELNS1_11target_archE910ELNS1_3gpuE8ELNS1_3repE0EEENS1_30default_config_static_selectorELNS0_4arch9wavefront6targetE1EEEvT1_.kd
    .uniform_work_group_size: 1
    .uses_dynamic_stack: false
    .vgpr_count:     12
    .vgpr_spill_count: 0
    .wavefront_size: 64
  - .agpr_count:     0
    .args:
      - .offset:         0
        .size:           40
        .value_kind:     by_value
    .group_segment_fixed_size: 0
    .kernarg_segment_align: 8
    .kernarg_segment_size: 40
    .language:       OpenCL C
    .language_version:
      - 2
      - 0
    .max_flat_workgroup_size: 128
    .name:           _ZN7rocprim17ROCPRIM_400000_NS6detail17trampoline_kernelINS0_14default_configENS1_25transform_config_selectorIlLb0EEEZNS1_14transform_implILb0ES3_S5_N6thrust23THRUST_200600_302600_NS10device_ptrIlEEPlNS0_8identityIlEEEE10hipError_tT2_T3_mT4_P12ihipStream_tbEUlT_E_NS1_11comp_targetILNS1_3genE3ELNS1_11target_archE908ELNS1_3gpuE7ELNS1_3repE0EEENS1_30default_config_static_selectorELNS0_4arch9wavefront6targetE1EEEvT1_
    .private_segment_fixed_size: 0
    .sgpr_count:     4
    .sgpr_spill_count: 0
    .symbol:         _ZN7rocprim17ROCPRIM_400000_NS6detail17trampoline_kernelINS0_14default_configENS1_25transform_config_selectorIlLb0EEEZNS1_14transform_implILb0ES3_S5_N6thrust23THRUST_200600_302600_NS10device_ptrIlEEPlNS0_8identityIlEEEE10hipError_tT2_T3_mT4_P12ihipStream_tbEUlT_E_NS1_11comp_targetILNS1_3genE3ELNS1_11target_archE908ELNS1_3gpuE7ELNS1_3repE0EEENS1_30default_config_static_selectorELNS0_4arch9wavefront6targetE1EEEvT1_.kd
    .uniform_work_group_size: 1
    .uses_dynamic_stack: false
    .vgpr_count:     0
    .vgpr_spill_count: 0
    .wavefront_size: 64
  - .agpr_count:     0
    .args:
      - .offset:         0
        .size:           40
        .value_kind:     by_value
    .group_segment_fixed_size: 0
    .kernarg_segment_align: 8
    .kernarg_segment_size: 40
    .language:       OpenCL C
    .language_version:
      - 2
      - 0
    .max_flat_workgroup_size: 512
    .name:           _ZN7rocprim17ROCPRIM_400000_NS6detail17trampoline_kernelINS0_14default_configENS1_25transform_config_selectorIlLb0EEEZNS1_14transform_implILb0ES3_S5_N6thrust23THRUST_200600_302600_NS10device_ptrIlEEPlNS0_8identityIlEEEE10hipError_tT2_T3_mT4_P12ihipStream_tbEUlT_E_NS1_11comp_targetILNS1_3genE2ELNS1_11target_archE906ELNS1_3gpuE6ELNS1_3repE0EEENS1_30default_config_static_selectorELNS0_4arch9wavefront6targetE1EEEvT1_
    .private_segment_fixed_size: 0
    .sgpr_count:     4
    .sgpr_spill_count: 0
    .symbol:         _ZN7rocprim17ROCPRIM_400000_NS6detail17trampoline_kernelINS0_14default_configENS1_25transform_config_selectorIlLb0EEEZNS1_14transform_implILb0ES3_S5_N6thrust23THRUST_200600_302600_NS10device_ptrIlEEPlNS0_8identityIlEEEE10hipError_tT2_T3_mT4_P12ihipStream_tbEUlT_E_NS1_11comp_targetILNS1_3genE2ELNS1_11target_archE906ELNS1_3gpuE6ELNS1_3repE0EEENS1_30default_config_static_selectorELNS0_4arch9wavefront6targetE1EEEvT1_.kd
    .uniform_work_group_size: 1
    .uses_dynamic_stack: false
    .vgpr_count:     0
    .vgpr_spill_count: 0
    .wavefront_size: 64
  - .agpr_count:     0
    .args:
      - .offset:         0
        .size:           40
        .value_kind:     by_value
    .group_segment_fixed_size: 0
    .kernarg_segment_align: 8
    .kernarg_segment_size: 40
    .language:       OpenCL C
    .language_version:
      - 2
      - 0
    .max_flat_workgroup_size: 1024
    .name:           _ZN7rocprim17ROCPRIM_400000_NS6detail17trampoline_kernelINS0_14default_configENS1_25transform_config_selectorIlLb0EEEZNS1_14transform_implILb0ES3_S5_N6thrust23THRUST_200600_302600_NS10device_ptrIlEEPlNS0_8identityIlEEEE10hipError_tT2_T3_mT4_P12ihipStream_tbEUlT_E_NS1_11comp_targetILNS1_3genE10ELNS1_11target_archE1201ELNS1_3gpuE5ELNS1_3repE0EEENS1_30default_config_static_selectorELNS0_4arch9wavefront6targetE1EEEvT1_
    .private_segment_fixed_size: 0
    .sgpr_count:     4
    .sgpr_spill_count: 0
    .symbol:         _ZN7rocprim17ROCPRIM_400000_NS6detail17trampoline_kernelINS0_14default_configENS1_25transform_config_selectorIlLb0EEEZNS1_14transform_implILb0ES3_S5_N6thrust23THRUST_200600_302600_NS10device_ptrIlEEPlNS0_8identityIlEEEE10hipError_tT2_T3_mT4_P12ihipStream_tbEUlT_E_NS1_11comp_targetILNS1_3genE10ELNS1_11target_archE1201ELNS1_3gpuE5ELNS1_3repE0EEENS1_30default_config_static_selectorELNS0_4arch9wavefront6targetE1EEEvT1_.kd
    .uniform_work_group_size: 1
    .uses_dynamic_stack: false
    .vgpr_count:     0
    .vgpr_spill_count: 0
    .wavefront_size: 64
  - .agpr_count:     0
    .args:
      - .offset:         0
        .size:           40
        .value_kind:     by_value
    .group_segment_fixed_size: 0
    .kernarg_segment_align: 8
    .kernarg_segment_size: 40
    .language:       OpenCL C
    .language_version:
      - 2
      - 0
    .max_flat_workgroup_size: 512
    .name:           _ZN7rocprim17ROCPRIM_400000_NS6detail17trampoline_kernelINS0_14default_configENS1_25transform_config_selectorIlLb0EEEZNS1_14transform_implILb0ES3_S5_N6thrust23THRUST_200600_302600_NS10device_ptrIlEEPlNS0_8identityIlEEEE10hipError_tT2_T3_mT4_P12ihipStream_tbEUlT_E_NS1_11comp_targetILNS1_3genE10ELNS1_11target_archE1200ELNS1_3gpuE4ELNS1_3repE0EEENS1_30default_config_static_selectorELNS0_4arch9wavefront6targetE1EEEvT1_
    .private_segment_fixed_size: 0
    .sgpr_count:     4
    .sgpr_spill_count: 0
    .symbol:         _ZN7rocprim17ROCPRIM_400000_NS6detail17trampoline_kernelINS0_14default_configENS1_25transform_config_selectorIlLb0EEEZNS1_14transform_implILb0ES3_S5_N6thrust23THRUST_200600_302600_NS10device_ptrIlEEPlNS0_8identityIlEEEE10hipError_tT2_T3_mT4_P12ihipStream_tbEUlT_E_NS1_11comp_targetILNS1_3genE10ELNS1_11target_archE1200ELNS1_3gpuE4ELNS1_3repE0EEENS1_30default_config_static_selectorELNS0_4arch9wavefront6targetE1EEEvT1_.kd
    .uniform_work_group_size: 1
    .uses_dynamic_stack: false
    .vgpr_count:     0
    .vgpr_spill_count: 0
    .wavefront_size: 64
  - .agpr_count:     0
    .args:
      - .offset:         0
        .size:           40
        .value_kind:     by_value
    .group_segment_fixed_size: 0
    .kernarg_segment_align: 8
    .kernarg_segment_size: 40
    .language:       OpenCL C
    .language_version:
      - 2
      - 0
    .max_flat_workgroup_size: 512
    .name:           _ZN7rocprim17ROCPRIM_400000_NS6detail17trampoline_kernelINS0_14default_configENS1_25transform_config_selectorIlLb0EEEZNS1_14transform_implILb0ES3_S5_N6thrust23THRUST_200600_302600_NS10device_ptrIlEEPlNS0_8identityIlEEEE10hipError_tT2_T3_mT4_P12ihipStream_tbEUlT_E_NS1_11comp_targetILNS1_3genE9ELNS1_11target_archE1100ELNS1_3gpuE3ELNS1_3repE0EEENS1_30default_config_static_selectorELNS0_4arch9wavefront6targetE1EEEvT1_
    .private_segment_fixed_size: 0
    .sgpr_count:     4
    .sgpr_spill_count: 0
    .symbol:         _ZN7rocprim17ROCPRIM_400000_NS6detail17trampoline_kernelINS0_14default_configENS1_25transform_config_selectorIlLb0EEEZNS1_14transform_implILb0ES3_S5_N6thrust23THRUST_200600_302600_NS10device_ptrIlEEPlNS0_8identityIlEEEE10hipError_tT2_T3_mT4_P12ihipStream_tbEUlT_E_NS1_11comp_targetILNS1_3genE9ELNS1_11target_archE1100ELNS1_3gpuE3ELNS1_3repE0EEENS1_30default_config_static_selectorELNS0_4arch9wavefront6targetE1EEEvT1_.kd
    .uniform_work_group_size: 1
    .uses_dynamic_stack: false
    .vgpr_count:     0
    .vgpr_spill_count: 0
    .wavefront_size: 64
  - .agpr_count:     0
    .args:
      - .offset:         0
        .size:           40
        .value_kind:     by_value
    .group_segment_fixed_size: 0
    .kernarg_segment_align: 8
    .kernarg_segment_size: 40
    .language:       OpenCL C
    .language_version:
      - 2
      - 0
    .max_flat_workgroup_size: 512
    .name:           _ZN7rocprim17ROCPRIM_400000_NS6detail17trampoline_kernelINS0_14default_configENS1_25transform_config_selectorIlLb0EEEZNS1_14transform_implILb0ES3_S5_N6thrust23THRUST_200600_302600_NS10device_ptrIlEEPlNS0_8identityIlEEEE10hipError_tT2_T3_mT4_P12ihipStream_tbEUlT_E_NS1_11comp_targetILNS1_3genE8ELNS1_11target_archE1030ELNS1_3gpuE2ELNS1_3repE0EEENS1_30default_config_static_selectorELNS0_4arch9wavefront6targetE1EEEvT1_
    .private_segment_fixed_size: 0
    .sgpr_count:     4
    .sgpr_spill_count: 0
    .symbol:         _ZN7rocprim17ROCPRIM_400000_NS6detail17trampoline_kernelINS0_14default_configENS1_25transform_config_selectorIlLb0EEEZNS1_14transform_implILb0ES3_S5_N6thrust23THRUST_200600_302600_NS10device_ptrIlEEPlNS0_8identityIlEEEE10hipError_tT2_T3_mT4_P12ihipStream_tbEUlT_E_NS1_11comp_targetILNS1_3genE8ELNS1_11target_archE1030ELNS1_3gpuE2ELNS1_3repE0EEENS1_30default_config_static_selectorELNS0_4arch9wavefront6targetE1EEEvT1_.kd
    .uniform_work_group_size: 1
    .uses_dynamic_stack: false
    .vgpr_count:     0
    .vgpr_spill_count: 0
    .wavefront_size: 64
  - .agpr_count:     0
    .args:
      - .offset:         0
        .size:           88
        .value_kind:     by_value
    .group_segment_fixed_size: 0
    .kernarg_segment_align: 8
    .kernarg_segment_size: 88
    .language:       OpenCL C
    .language_version:
      - 2
      - 0
    .max_flat_workgroup_size: 1024
    .name:           _ZN7rocprim17ROCPRIM_400000_NS6detail17trampoline_kernelINS0_14default_configENS1_35radix_sort_onesweep_config_selectorIhlEEZZNS1_29radix_sort_onesweep_iterationIS3_Lb0EPhS7_N6thrust23THRUST_200600_302600_NS10device_ptrIlEESB_jNS0_19identity_decomposerENS1_16block_id_wrapperIjLb1EEEEE10hipError_tT1_PNSt15iterator_traitsISG_E10value_typeET2_T3_PNSH_ISM_E10value_typeET4_T5_PSR_SS_PNS1_23onesweep_lookback_stateEbbT6_jjT7_P12ihipStream_tbENKUlT_T0_SG_SL_E_clIS7_S7_SB_SB_EEDaSZ_S10_SG_SL_EUlSZ_E_NS1_11comp_targetILNS1_3genE0ELNS1_11target_archE4294967295ELNS1_3gpuE0ELNS1_3repE0EEENS1_47radix_sort_onesweep_sort_config_static_selectorELNS0_4arch9wavefront6targetE1EEEvSG_
    .private_segment_fixed_size: 0
    .sgpr_count:     4
    .sgpr_spill_count: 0
    .symbol:         _ZN7rocprim17ROCPRIM_400000_NS6detail17trampoline_kernelINS0_14default_configENS1_35radix_sort_onesweep_config_selectorIhlEEZZNS1_29radix_sort_onesweep_iterationIS3_Lb0EPhS7_N6thrust23THRUST_200600_302600_NS10device_ptrIlEESB_jNS0_19identity_decomposerENS1_16block_id_wrapperIjLb1EEEEE10hipError_tT1_PNSt15iterator_traitsISG_E10value_typeET2_T3_PNSH_ISM_E10value_typeET4_T5_PSR_SS_PNS1_23onesweep_lookback_stateEbbT6_jjT7_P12ihipStream_tbENKUlT_T0_SG_SL_E_clIS7_S7_SB_SB_EEDaSZ_S10_SG_SL_EUlSZ_E_NS1_11comp_targetILNS1_3genE0ELNS1_11target_archE4294967295ELNS1_3gpuE0ELNS1_3repE0EEENS1_47radix_sort_onesweep_sort_config_static_selectorELNS0_4arch9wavefront6targetE1EEEvSG_.kd
    .uniform_work_group_size: 1
    .uses_dynamic_stack: false
    .vgpr_count:     0
    .vgpr_spill_count: 0
    .wavefront_size: 64
  - .agpr_count:     0
    .args:
      - .offset:         0
        .size:           88
        .value_kind:     by_value
    .group_segment_fixed_size: 0
    .kernarg_segment_align: 8
    .kernarg_segment_size: 88
    .language:       OpenCL C
    .language_version:
      - 2
      - 0
    .max_flat_workgroup_size: 1024
    .name:           _ZN7rocprim17ROCPRIM_400000_NS6detail17trampoline_kernelINS0_14default_configENS1_35radix_sort_onesweep_config_selectorIhlEEZZNS1_29radix_sort_onesweep_iterationIS3_Lb0EPhS7_N6thrust23THRUST_200600_302600_NS10device_ptrIlEESB_jNS0_19identity_decomposerENS1_16block_id_wrapperIjLb1EEEEE10hipError_tT1_PNSt15iterator_traitsISG_E10value_typeET2_T3_PNSH_ISM_E10value_typeET4_T5_PSR_SS_PNS1_23onesweep_lookback_stateEbbT6_jjT7_P12ihipStream_tbENKUlT_T0_SG_SL_E_clIS7_S7_SB_SB_EEDaSZ_S10_SG_SL_EUlSZ_E_NS1_11comp_targetILNS1_3genE6ELNS1_11target_archE950ELNS1_3gpuE13ELNS1_3repE0EEENS1_47radix_sort_onesweep_sort_config_static_selectorELNS0_4arch9wavefront6targetE1EEEvSG_
    .private_segment_fixed_size: 0
    .sgpr_count:     4
    .sgpr_spill_count: 0
    .symbol:         _ZN7rocprim17ROCPRIM_400000_NS6detail17trampoline_kernelINS0_14default_configENS1_35radix_sort_onesweep_config_selectorIhlEEZZNS1_29radix_sort_onesweep_iterationIS3_Lb0EPhS7_N6thrust23THRUST_200600_302600_NS10device_ptrIlEESB_jNS0_19identity_decomposerENS1_16block_id_wrapperIjLb1EEEEE10hipError_tT1_PNSt15iterator_traitsISG_E10value_typeET2_T3_PNSH_ISM_E10value_typeET4_T5_PSR_SS_PNS1_23onesweep_lookback_stateEbbT6_jjT7_P12ihipStream_tbENKUlT_T0_SG_SL_E_clIS7_S7_SB_SB_EEDaSZ_S10_SG_SL_EUlSZ_E_NS1_11comp_targetILNS1_3genE6ELNS1_11target_archE950ELNS1_3gpuE13ELNS1_3repE0EEENS1_47radix_sort_onesweep_sort_config_static_selectorELNS0_4arch9wavefront6targetE1EEEvSG_.kd
    .uniform_work_group_size: 1
    .uses_dynamic_stack: false
    .vgpr_count:     0
    .vgpr_spill_count: 0
    .wavefront_size: 64
  - .agpr_count:     0
    .args:
      - .offset:         0
        .size:           88
        .value_kind:     by_value
    .group_segment_fixed_size: 0
    .kernarg_segment_align: 8
    .kernarg_segment_size: 88
    .language:       OpenCL C
    .language_version:
      - 2
      - 0
    .max_flat_workgroup_size: 1024
    .name:           _ZN7rocprim17ROCPRIM_400000_NS6detail17trampoline_kernelINS0_14default_configENS1_35radix_sort_onesweep_config_selectorIhlEEZZNS1_29radix_sort_onesweep_iterationIS3_Lb0EPhS7_N6thrust23THRUST_200600_302600_NS10device_ptrIlEESB_jNS0_19identity_decomposerENS1_16block_id_wrapperIjLb1EEEEE10hipError_tT1_PNSt15iterator_traitsISG_E10value_typeET2_T3_PNSH_ISM_E10value_typeET4_T5_PSR_SS_PNS1_23onesweep_lookback_stateEbbT6_jjT7_P12ihipStream_tbENKUlT_T0_SG_SL_E_clIS7_S7_SB_SB_EEDaSZ_S10_SG_SL_EUlSZ_E_NS1_11comp_targetILNS1_3genE5ELNS1_11target_archE942ELNS1_3gpuE9ELNS1_3repE0EEENS1_47radix_sort_onesweep_sort_config_static_selectorELNS0_4arch9wavefront6targetE1EEEvSG_
    .private_segment_fixed_size: 0
    .sgpr_count:     4
    .sgpr_spill_count: 0
    .symbol:         _ZN7rocprim17ROCPRIM_400000_NS6detail17trampoline_kernelINS0_14default_configENS1_35radix_sort_onesweep_config_selectorIhlEEZZNS1_29radix_sort_onesweep_iterationIS3_Lb0EPhS7_N6thrust23THRUST_200600_302600_NS10device_ptrIlEESB_jNS0_19identity_decomposerENS1_16block_id_wrapperIjLb1EEEEE10hipError_tT1_PNSt15iterator_traitsISG_E10value_typeET2_T3_PNSH_ISM_E10value_typeET4_T5_PSR_SS_PNS1_23onesweep_lookback_stateEbbT6_jjT7_P12ihipStream_tbENKUlT_T0_SG_SL_E_clIS7_S7_SB_SB_EEDaSZ_S10_SG_SL_EUlSZ_E_NS1_11comp_targetILNS1_3genE5ELNS1_11target_archE942ELNS1_3gpuE9ELNS1_3repE0EEENS1_47radix_sort_onesweep_sort_config_static_selectorELNS0_4arch9wavefront6targetE1EEEvSG_.kd
    .uniform_work_group_size: 1
    .uses_dynamic_stack: false
    .vgpr_count:     0
    .vgpr_spill_count: 0
    .wavefront_size: 64
  - .agpr_count:     0
    .args:
      - .offset:         0
        .size:           88
        .value_kind:     by_value
    .group_segment_fixed_size: 0
    .kernarg_segment_align: 8
    .kernarg_segment_size: 88
    .language:       OpenCL C
    .language_version:
      - 2
      - 0
    .max_flat_workgroup_size: 512
    .name:           _ZN7rocprim17ROCPRIM_400000_NS6detail17trampoline_kernelINS0_14default_configENS1_35radix_sort_onesweep_config_selectorIhlEEZZNS1_29radix_sort_onesweep_iterationIS3_Lb0EPhS7_N6thrust23THRUST_200600_302600_NS10device_ptrIlEESB_jNS0_19identity_decomposerENS1_16block_id_wrapperIjLb1EEEEE10hipError_tT1_PNSt15iterator_traitsISG_E10value_typeET2_T3_PNSH_ISM_E10value_typeET4_T5_PSR_SS_PNS1_23onesweep_lookback_stateEbbT6_jjT7_P12ihipStream_tbENKUlT_T0_SG_SL_E_clIS7_S7_SB_SB_EEDaSZ_S10_SG_SL_EUlSZ_E_NS1_11comp_targetILNS1_3genE2ELNS1_11target_archE906ELNS1_3gpuE6ELNS1_3repE0EEENS1_47radix_sort_onesweep_sort_config_static_selectorELNS0_4arch9wavefront6targetE1EEEvSG_
    .private_segment_fixed_size: 0
    .sgpr_count:     4
    .sgpr_spill_count: 0
    .symbol:         _ZN7rocprim17ROCPRIM_400000_NS6detail17trampoline_kernelINS0_14default_configENS1_35radix_sort_onesweep_config_selectorIhlEEZZNS1_29radix_sort_onesweep_iterationIS3_Lb0EPhS7_N6thrust23THRUST_200600_302600_NS10device_ptrIlEESB_jNS0_19identity_decomposerENS1_16block_id_wrapperIjLb1EEEEE10hipError_tT1_PNSt15iterator_traitsISG_E10value_typeET2_T3_PNSH_ISM_E10value_typeET4_T5_PSR_SS_PNS1_23onesweep_lookback_stateEbbT6_jjT7_P12ihipStream_tbENKUlT_T0_SG_SL_E_clIS7_S7_SB_SB_EEDaSZ_S10_SG_SL_EUlSZ_E_NS1_11comp_targetILNS1_3genE2ELNS1_11target_archE906ELNS1_3gpuE6ELNS1_3repE0EEENS1_47radix_sort_onesweep_sort_config_static_selectorELNS0_4arch9wavefront6targetE1EEEvSG_.kd
    .uniform_work_group_size: 1
    .uses_dynamic_stack: false
    .vgpr_count:     0
    .vgpr_spill_count: 0
    .wavefront_size: 64
  - .agpr_count:     0
    .args:
      - .offset:         0
        .size:           88
        .value_kind:     by_value
      - .offset:         88
        .size:           4
        .value_kind:     hidden_block_count_x
      - .offset:         92
        .size:           4
        .value_kind:     hidden_block_count_y
      - .offset:         96
        .size:           4
        .value_kind:     hidden_block_count_z
      - .offset:         100
        .size:           2
        .value_kind:     hidden_group_size_x
      - .offset:         102
        .size:           2
        .value_kind:     hidden_group_size_y
      - .offset:         104
        .size:           2
        .value_kind:     hidden_group_size_z
      - .offset:         106
        .size:           2
        .value_kind:     hidden_remainder_x
      - .offset:         108
        .size:           2
        .value_kind:     hidden_remainder_y
      - .offset:         110
        .size:           2
        .value_kind:     hidden_remainder_z
      - .offset:         128
        .size:           8
        .value_kind:     hidden_global_offset_x
      - .offset:         136
        .size:           8
        .value_kind:     hidden_global_offset_y
      - .offset:         144
        .size:           8
        .value_kind:     hidden_global_offset_z
      - .offset:         152
        .size:           2
        .value_kind:     hidden_grid_dims
    .group_segment_fixed_size: 20552
    .kernarg_segment_align: 8
    .kernarg_segment_size: 344
    .language:       OpenCL C
    .language_version:
      - 2
      - 0
    .max_flat_workgroup_size: 1024
    .name:           _ZN7rocprim17ROCPRIM_400000_NS6detail17trampoline_kernelINS0_14default_configENS1_35radix_sort_onesweep_config_selectorIhlEEZZNS1_29radix_sort_onesweep_iterationIS3_Lb0EPhS7_N6thrust23THRUST_200600_302600_NS10device_ptrIlEESB_jNS0_19identity_decomposerENS1_16block_id_wrapperIjLb1EEEEE10hipError_tT1_PNSt15iterator_traitsISG_E10value_typeET2_T3_PNSH_ISM_E10value_typeET4_T5_PSR_SS_PNS1_23onesweep_lookback_stateEbbT6_jjT7_P12ihipStream_tbENKUlT_T0_SG_SL_E_clIS7_S7_SB_SB_EEDaSZ_S10_SG_SL_EUlSZ_E_NS1_11comp_targetILNS1_3genE4ELNS1_11target_archE910ELNS1_3gpuE8ELNS1_3repE0EEENS1_47radix_sort_onesweep_sort_config_static_selectorELNS0_4arch9wavefront6targetE1EEEvSG_
    .private_segment_fixed_size: 0
    .sgpr_count:     60
    .sgpr_spill_count: 0
    .symbol:         _ZN7rocprim17ROCPRIM_400000_NS6detail17trampoline_kernelINS0_14default_configENS1_35radix_sort_onesweep_config_selectorIhlEEZZNS1_29radix_sort_onesweep_iterationIS3_Lb0EPhS7_N6thrust23THRUST_200600_302600_NS10device_ptrIlEESB_jNS0_19identity_decomposerENS1_16block_id_wrapperIjLb1EEEEE10hipError_tT1_PNSt15iterator_traitsISG_E10value_typeET2_T3_PNSH_ISM_E10value_typeET4_T5_PSR_SS_PNS1_23onesweep_lookback_stateEbbT6_jjT7_P12ihipStream_tbENKUlT_T0_SG_SL_E_clIS7_S7_SB_SB_EEDaSZ_S10_SG_SL_EUlSZ_E_NS1_11comp_targetILNS1_3genE4ELNS1_11target_archE910ELNS1_3gpuE8ELNS1_3repE0EEENS1_47radix_sort_onesweep_sort_config_static_selectorELNS0_4arch9wavefront6targetE1EEEvSG_.kd
    .uniform_work_group_size: 1
    .uses_dynamic_stack: false
    .vgpr_count:     55
    .vgpr_spill_count: 0
    .wavefront_size: 64
  - .agpr_count:     0
    .args:
      - .offset:         0
        .size:           88
        .value_kind:     by_value
    .group_segment_fixed_size: 0
    .kernarg_segment_align: 8
    .kernarg_segment_size: 88
    .language:       OpenCL C
    .language_version:
      - 2
      - 0
    .max_flat_workgroup_size: 1024
    .name:           _ZN7rocprim17ROCPRIM_400000_NS6detail17trampoline_kernelINS0_14default_configENS1_35radix_sort_onesweep_config_selectorIhlEEZZNS1_29radix_sort_onesweep_iterationIS3_Lb0EPhS7_N6thrust23THRUST_200600_302600_NS10device_ptrIlEESB_jNS0_19identity_decomposerENS1_16block_id_wrapperIjLb1EEEEE10hipError_tT1_PNSt15iterator_traitsISG_E10value_typeET2_T3_PNSH_ISM_E10value_typeET4_T5_PSR_SS_PNS1_23onesweep_lookback_stateEbbT6_jjT7_P12ihipStream_tbENKUlT_T0_SG_SL_E_clIS7_S7_SB_SB_EEDaSZ_S10_SG_SL_EUlSZ_E_NS1_11comp_targetILNS1_3genE3ELNS1_11target_archE908ELNS1_3gpuE7ELNS1_3repE0EEENS1_47radix_sort_onesweep_sort_config_static_selectorELNS0_4arch9wavefront6targetE1EEEvSG_
    .private_segment_fixed_size: 0
    .sgpr_count:     4
    .sgpr_spill_count: 0
    .symbol:         _ZN7rocprim17ROCPRIM_400000_NS6detail17trampoline_kernelINS0_14default_configENS1_35radix_sort_onesweep_config_selectorIhlEEZZNS1_29radix_sort_onesweep_iterationIS3_Lb0EPhS7_N6thrust23THRUST_200600_302600_NS10device_ptrIlEESB_jNS0_19identity_decomposerENS1_16block_id_wrapperIjLb1EEEEE10hipError_tT1_PNSt15iterator_traitsISG_E10value_typeET2_T3_PNSH_ISM_E10value_typeET4_T5_PSR_SS_PNS1_23onesweep_lookback_stateEbbT6_jjT7_P12ihipStream_tbENKUlT_T0_SG_SL_E_clIS7_S7_SB_SB_EEDaSZ_S10_SG_SL_EUlSZ_E_NS1_11comp_targetILNS1_3genE3ELNS1_11target_archE908ELNS1_3gpuE7ELNS1_3repE0EEENS1_47radix_sort_onesweep_sort_config_static_selectorELNS0_4arch9wavefront6targetE1EEEvSG_.kd
    .uniform_work_group_size: 1
    .uses_dynamic_stack: false
    .vgpr_count:     0
    .vgpr_spill_count: 0
    .wavefront_size: 64
  - .agpr_count:     0
    .args:
      - .offset:         0
        .size:           88
        .value_kind:     by_value
    .group_segment_fixed_size: 0
    .kernarg_segment_align: 8
    .kernarg_segment_size: 88
    .language:       OpenCL C
    .language_version:
      - 2
      - 0
    .max_flat_workgroup_size: 1024
    .name:           _ZN7rocprim17ROCPRIM_400000_NS6detail17trampoline_kernelINS0_14default_configENS1_35radix_sort_onesweep_config_selectorIhlEEZZNS1_29radix_sort_onesweep_iterationIS3_Lb0EPhS7_N6thrust23THRUST_200600_302600_NS10device_ptrIlEESB_jNS0_19identity_decomposerENS1_16block_id_wrapperIjLb1EEEEE10hipError_tT1_PNSt15iterator_traitsISG_E10value_typeET2_T3_PNSH_ISM_E10value_typeET4_T5_PSR_SS_PNS1_23onesweep_lookback_stateEbbT6_jjT7_P12ihipStream_tbENKUlT_T0_SG_SL_E_clIS7_S7_SB_SB_EEDaSZ_S10_SG_SL_EUlSZ_E_NS1_11comp_targetILNS1_3genE10ELNS1_11target_archE1201ELNS1_3gpuE5ELNS1_3repE0EEENS1_47radix_sort_onesweep_sort_config_static_selectorELNS0_4arch9wavefront6targetE1EEEvSG_
    .private_segment_fixed_size: 0
    .sgpr_count:     4
    .sgpr_spill_count: 0
    .symbol:         _ZN7rocprim17ROCPRIM_400000_NS6detail17trampoline_kernelINS0_14default_configENS1_35radix_sort_onesweep_config_selectorIhlEEZZNS1_29radix_sort_onesweep_iterationIS3_Lb0EPhS7_N6thrust23THRUST_200600_302600_NS10device_ptrIlEESB_jNS0_19identity_decomposerENS1_16block_id_wrapperIjLb1EEEEE10hipError_tT1_PNSt15iterator_traitsISG_E10value_typeET2_T3_PNSH_ISM_E10value_typeET4_T5_PSR_SS_PNS1_23onesweep_lookback_stateEbbT6_jjT7_P12ihipStream_tbENKUlT_T0_SG_SL_E_clIS7_S7_SB_SB_EEDaSZ_S10_SG_SL_EUlSZ_E_NS1_11comp_targetILNS1_3genE10ELNS1_11target_archE1201ELNS1_3gpuE5ELNS1_3repE0EEENS1_47radix_sort_onesweep_sort_config_static_selectorELNS0_4arch9wavefront6targetE1EEEvSG_.kd
    .uniform_work_group_size: 1
    .uses_dynamic_stack: false
    .vgpr_count:     0
    .vgpr_spill_count: 0
    .wavefront_size: 64
  - .agpr_count:     0
    .args:
      - .offset:         0
        .size:           88
        .value_kind:     by_value
    .group_segment_fixed_size: 0
    .kernarg_segment_align: 8
    .kernarg_segment_size: 88
    .language:       OpenCL C
    .language_version:
      - 2
      - 0
    .max_flat_workgroup_size: 1024
    .name:           _ZN7rocprim17ROCPRIM_400000_NS6detail17trampoline_kernelINS0_14default_configENS1_35radix_sort_onesweep_config_selectorIhlEEZZNS1_29radix_sort_onesweep_iterationIS3_Lb0EPhS7_N6thrust23THRUST_200600_302600_NS10device_ptrIlEESB_jNS0_19identity_decomposerENS1_16block_id_wrapperIjLb1EEEEE10hipError_tT1_PNSt15iterator_traitsISG_E10value_typeET2_T3_PNSH_ISM_E10value_typeET4_T5_PSR_SS_PNS1_23onesweep_lookback_stateEbbT6_jjT7_P12ihipStream_tbENKUlT_T0_SG_SL_E_clIS7_S7_SB_SB_EEDaSZ_S10_SG_SL_EUlSZ_E_NS1_11comp_targetILNS1_3genE9ELNS1_11target_archE1100ELNS1_3gpuE3ELNS1_3repE0EEENS1_47radix_sort_onesweep_sort_config_static_selectorELNS0_4arch9wavefront6targetE1EEEvSG_
    .private_segment_fixed_size: 0
    .sgpr_count:     4
    .sgpr_spill_count: 0
    .symbol:         _ZN7rocprim17ROCPRIM_400000_NS6detail17trampoline_kernelINS0_14default_configENS1_35radix_sort_onesweep_config_selectorIhlEEZZNS1_29radix_sort_onesweep_iterationIS3_Lb0EPhS7_N6thrust23THRUST_200600_302600_NS10device_ptrIlEESB_jNS0_19identity_decomposerENS1_16block_id_wrapperIjLb1EEEEE10hipError_tT1_PNSt15iterator_traitsISG_E10value_typeET2_T3_PNSH_ISM_E10value_typeET4_T5_PSR_SS_PNS1_23onesweep_lookback_stateEbbT6_jjT7_P12ihipStream_tbENKUlT_T0_SG_SL_E_clIS7_S7_SB_SB_EEDaSZ_S10_SG_SL_EUlSZ_E_NS1_11comp_targetILNS1_3genE9ELNS1_11target_archE1100ELNS1_3gpuE3ELNS1_3repE0EEENS1_47radix_sort_onesweep_sort_config_static_selectorELNS0_4arch9wavefront6targetE1EEEvSG_.kd
    .uniform_work_group_size: 1
    .uses_dynamic_stack: false
    .vgpr_count:     0
    .vgpr_spill_count: 0
    .wavefront_size: 64
  - .agpr_count:     0
    .args:
      - .offset:         0
        .size:           88
        .value_kind:     by_value
    .group_segment_fixed_size: 0
    .kernarg_segment_align: 8
    .kernarg_segment_size: 88
    .language:       OpenCL C
    .language_version:
      - 2
      - 0
    .max_flat_workgroup_size: 1024
    .name:           _ZN7rocprim17ROCPRIM_400000_NS6detail17trampoline_kernelINS0_14default_configENS1_35radix_sort_onesweep_config_selectorIhlEEZZNS1_29radix_sort_onesweep_iterationIS3_Lb0EPhS7_N6thrust23THRUST_200600_302600_NS10device_ptrIlEESB_jNS0_19identity_decomposerENS1_16block_id_wrapperIjLb1EEEEE10hipError_tT1_PNSt15iterator_traitsISG_E10value_typeET2_T3_PNSH_ISM_E10value_typeET4_T5_PSR_SS_PNS1_23onesweep_lookback_stateEbbT6_jjT7_P12ihipStream_tbENKUlT_T0_SG_SL_E_clIS7_S7_SB_SB_EEDaSZ_S10_SG_SL_EUlSZ_E_NS1_11comp_targetILNS1_3genE8ELNS1_11target_archE1030ELNS1_3gpuE2ELNS1_3repE0EEENS1_47radix_sort_onesweep_sort_config_static_selectorELNS0_4arch9wavefront6targetE1EEEvSG_
    .private_segment_fixed_size: 0
    .sgpr_count:     4
    .sgpr_spill_count: 0
    .symbol:         _ZN7rocprim17ROCPRIM_400000_NS6detail17trampoline_kernelINS0_14default_configENS1_35radix_sort_onesweep_config_selectorIhlEEZZNS1_29radix_sort_onesweep_iterationIS3_Lb0EPhS7_N6thrust23THRUST_200600_302600_NS10device_ptrIlEESB_jNS0_19identity_decomposerENS1_16block_id_wrapperIjLb1EEEEE10hipError_tT1_PNSt15iterator_traitsISG_E10value_typeET2_T3_PNSH_ISM_E10value_typeET4_T5_PSR_SS_PNS1_23onesweep_lookback_stateEbbT6_jjT7_P12ihipStream_tbENKUlT_T0_SG_SL_E_clIS7_S7_SB_SB_EEDaSZ_S10_SG_SL_EUlSZ_E_NS1_11comp_targetILNS1_3genE8ELNS1_11target_archE1030ELNS1_3gpuE2ELNS1_3repE0EEENS1_47radix_sort_onesweep_sort_config_static_selectorELNS0_4arch9wavefront6targetE1EEEvSG_.kd
    .uniform_work_group_size: 1
    .uses_dynamic_stack: false
    .vgpr_count:     0
    .vgpr_spill_count: 0
    .wavefront_size: 64
  - .agpr_count:     0
    .args:
      - .offset:         0
        .size:           88
        .value_kind:     by_value
    .group_segment_fixed_size: 0
    .kernarg_segment_align: 8
    .kernarg_segment_size: 88
    .language:       OpenCL C
    .language_version:
      - 2
      - 0
    .max_flat_workgroup_size: 1024
    .name:           _ZN7rocprim17ROCPRIM_400000_NS6detail17trampoline_kernelINS0_14default_configENS1_35radix_sort_onesweep_config_selectorIhlEEZZNS1_29radix_sort_onesweep_iterationIS3_Lb0EPhS7_N6thrust23THRUST_200600_302600_NS10device_ptrIlEESB_jNS0_19identity_decomposerENS1_16block_id_wrapperIjLb1EEEEE10hipError_tT1_PNSt15iterator_traitsISG_E10value_typeET2_T3_PNSH_ISM_E10value_typeET4_T5_PSR_SS_PNS1_23onesweep_lookback_stateEbbT6_jjT7_P12ihipStream_tbENKUlT_T0_SG_SL_E_clIS7_S7_SB_PlEEDaSZ_S10_SG_SL_EUlSZ_E_NS1_11comp_targetILNS1_3genE0ELNS1_11target_archE4294967295ELNS1_3gpuE0ELNS1_3repE0EEENS1_47radix_sort_onesweep_sort_config_static_selectorELNS0_4arch9wavefront6targetE1EEEvSG_
    .private_segment_fixed_size: 0
    .sgpr_count:     4
    .sgpr_spill_count: 0
    .symbol:         _ZN7rocprim17ROCPRIM_400000_NS6detail17trampoline_kernelINS0_14default_configENS1_35radix_sort_onesweep_config_selectorIhlEEZZNS1_29radix_sort_onesweep_iterationIS3_Lb0EPhS7_N6thrust23THRUST_200600_302600_NS10device_ptrIlEESB_jNS0_19identity_decomposerENS1_16block_id_wrapperIjLb1EEEEE10hipError_tT1_PNSt15iterator_traitsISG_E10value_typeET2_T3_PNSH_ISM_E10value_typeET4_T5_PSR_SS_PNS1_23onesweep_lookback_stateEbbT6_jjT7_P12ihipStream_tbENKUlT_T0_SG_SL_E_clIS7_S7_SB_PlEEDaSZ_S10_SG_SL_EUlSZ_E_NS1_11comp_targetILNS1_3genE0ELNS1_11target_archE4294967295ELNS1_3gpuE0ELNS1_3repE0EEENS1_47radix_sort_onesweep_sort_config_static_selectorELNS0_4arch9wavefront6targetE1EEEvSG_.kd
    .uniform_work_group_size: 1
    .uses_dynamic_stack: false
    .vgpr_count:     0
    .vgpr_spill_count: 0
    .wavefront_size: 64
  - .agpr_count:     0
    .args:
      - .offset:         0
        .size:           88
        .value_kind:     by_value
    .group_segment_fixed_size: 0
    .kernarg_segment_align: 8
    .kernarg_segment_size: 88
    .language:       OpenCL C
    .language_version:
      - 2
      - 0
    .max_flat_workgroup_size: 1024
    .name:           _ZN7rocprim17ROCPRIM_400000_NS6detail17trampoline_kernelINS0_14default_configENS1_35radix_sort_onesweep_config_selectorIhlEEZZNS1_29radix_sort_onesweep_iterationIS3_Lb0EPhS7_N6thrust23THRUST_200600_302600_NS10device_ptrIlEESB_jNS0_19identity_decomposerENS1_16block_id_wrapperIjLb1EEEEE10hipError_tT1_PNSt15iterator_traitsISG_E10value_typeET2_T3_PNSH_ISM_E10value_typeET4_T5_PSR_SS_PNS1_23onesweep_lookback_stateEbbT6_jjT7_P12ihipStream_tbENKUlT_T0_SG_SL_E_clIS7_S7_SB_PlEEDaSZ_S10_SG_SL_EUlSZ_E_NS1_11comp_targetILNS1_3genE6ELNS1_11target_archE950ELNS1_3gpuE13ELNS1_3repE0EEENS1_47radix_sort_onesweep_sort_config_static_selectorELNS0_4arch9wavefront6targetE1EEEvSG_
    .private_segment_fixed_size: 0
    .sgpr_count:     4
    .sgpr_spill_count: 0
    .symbol:         _ZN7rocprim17ROCPRIM_400000_NS6detail17trampoline_kernelINS0_14default_configENS1_35radix_sort_onesweep_config_selectorIhlEEZZNS1_29radix_sort_onesweep_iterationIS3_Lb0EPhS7_N6thrust23THRUST_200600_302600_NS10device_ptrIlEESB_jNS0_19identity_decomposerENS1_16block_id_wrapperIjLb1EEEEE10hipError_tT1_PNSt15iterator_traitsISG_E10value_typeET2_T3_PNSH_ISM_E10value_typeET4_T5_PSR_SS_PNS1_23onesweep_lookback_stateEbbT6_jjT7_P12ihipStream_tbENKUlT_T0_SG_SL_E_clIS7_S7_SB_PlEEDaSZ_S10_SG_SL_EUlSZ_E_NS1_11comp_targetILNS1_3genE6ELNS1_11target_archE950ELNS1_3gpuE13ELNS1_3repE0EEENS1_47radix_sort_onesweep_sort_config_static_selectorELNS0_4arch9wavefront6targetE1EEEvSG_.kd
    .uniform_work_group_size: 1
    .uses_dynamic_stack: false
    .vgpr_count:     0
    .vgpr_spill_count: 0
    .wavefront_size: 64
  - .agpr_count:     0
    .args:
      - .offset:         0
        .size:           88
        .value_kind:     by_value
    .group_segment_fixed_size: 0
    .kernarg_segment_align: 8
    .kernarg_segment_size: 88
    .language:       OpenCL C
    .language_version:
      - 2
      - 0
    .max_flat_workgroup_size: 1024
    .name:           _ZN7rocprim17ROCPRIM_400000_NS6detail17trampoline_kernelINS0_14default_configENS1_35radix_sort_onesweep_config_selectorIhlEEZZNS1_29radix_sort_onesweep_iterationIS3_Lb0EPhS7_N6thrust23THRUST_200600_302600_NS10device_ptrIlEESB_jNS0_19identity_decomposerENS1_16block_id_wrapperIjLb1EEEEE10hipError_tT1_PNSt15iterator_traitsISG_E10value_typeET2_T3_PNSH_ISM_E10value_typeET4_T5_PSR_SS_PNS1_23onesweep_lookback_stateEbbT6_jjT7_P12ihipStream_tbENKUlT_T0_SG_SL_E_clIS7_S7_SB_PlEEDaSZ_S10_SG_SL_EUlSZ_E_NS1_11comp_targetILNS1_3genE5ELNS1_11target_archE942ELNS1_3gpuE9ELNS1_3repE0EEENS1_47radix_sort_onesweep_sort_config_static_selectorELNS0_4arch9wavefront6targetE1EEEvSG_
    .private_segment_fixed_size: 0
    .sgpr_count:     4
    .sgpr_spill_count: 0
    .symbol:         _ZN7rocprim17ROCPRIM_400000_NS6detail17trampoline_kernelINS0_14default_configENS1_35radix_sort_onesweep_config_selectorIhlEEZZNS1_29radix_sort_onesweep_iterationIS3_Lb0EPhS7_N6thrust23THRUST_200600_302600_NS10device_ptrIlEESB_jNS0_19identity_decomposerENS1_16block_id_wrapperIjLb1EEEEE10hipError_tT1_PNSt15iterator_traitsISG_E10value_typeET2_T3_PNSH_ISM_E10value_typeET4_T5_PSR_SS_PNS1_23onesweep_lookback_stateEbbT6_jjT7_P12ihipStream_tbENKUlT_T0_SG_SL_E_clIS7_S7_SB_PlEEDaSZ_S10_SG_SL_EUlSZ_E_NS1_11comp_targetILNS1_3genE5ELNS1_11target_archE942ELNS1_3gpuE9ELNS1_3repE0EEENS1_47radix_sort_onesweep_sort_config_static_selectorELNS0_4arch9wavefront6targetE1EEEvSG_.kd
    .uniform_work_group_size: 1
    .uses_dynamic_stack: false
    .vgpr_count:     0
    .vgpr_spill_count: 0
    .wavefront_size: 64
  - .agpr_count:     0
    .args:
      - .offset:         0
        .size:           88
        .value_kind:     by_value
    .group_segment_fixed_size: 0
    .kernarg_segment_align: 8
    .kernarg_segment_size: 88
    .language:       OpenCL C
    .language_version:
      - 2
      - 0
    .max_flat_workgroup_size: 512
    .name:           _ZN7rocprim17ROCPRIM_400000_NS6detail17trampoline_kernelINS0_14default_configENS1_35radix_sort_onesweep_config_selectorIhlEEZZNS1_29radix_sort_onesweep_iterationIS3_Lb0EPhS7_N6thrust23THRUST_200600_302600_NS10device_ptrIlEESB_jNS0_19identity_decomposerENS1_16block_id_wrapperIjLb1EEEEE10hipError_tT1_PNSt15iterator_traitsISG_E10value_typeET2_T3_PNSH_ISM_E10value_typeET4_T5_PSR_SS_PNS1_23onesweep_lookback_stateEbbT6_jjT7_P12ihipStream_tbENKUlT_T0_SG_SL_E_clIS7_S7_SB_PlEEDaSZ_S10_SG_SL_EUlSZ_E_NS1_11comp_targetILNS1_3genE2ELNS1_11target_archE906ELNS1_3gpuE6ELNS1_3repE0EEENS1_47radix_sort_onesweep_sort_config_static_selectorELNS0_4arch9wavefront6targetE1EEEvSG_
    .private_segment_fixed_size: 0
    .sgpr_count:     4
    .sgpr_spill_count: 0
    .symbol:         _ZN7rocprim17ROCPRIM_400000_NS6detail17trampoline_kernelINS0_14default_configENS1_35radix_sort_onesweep_config_selectorIhlEEZZNS1_29radix_sort_onesweep_iterationIS3_Lb0EPhS7_N6thrust23THRUST_200600_302600_NS10device_ptrIlEESB_jNS0_19identity_decomposerENS1_16block_id_wrapperIjLb1EEEEE10hipError_tT1_PNSt15iterator_traitsISG_E10value_typeET2_T3_PNSH_ISM_E10value_typeET4_T5_PSR_SS_PNS1_23onesweep_lookback_stateEbbT6_jjT7_P12ihipStream_tbENKUlT_T0_SG_SL_E_clIS7_S7_SB_PlEEDaSZ_S10_SG_SL_EUlSZ_E_NS1_11comp_targetILNS1_3genE2ELNS1_11target_archE906ELNS1_3gpuE6ELNS1_3repE0EEENS1_47radix_sort_onesweep_sort_config_static_selectorELNS0_4arch9wavefront6targetE1EEEvSG_.kd
    .uniform_work_group_size: 1
    .uses_dynamic_stack: false
    .vgpr_count:     0
    .vgpr_spill_count: 0
    .wavefront_size: 64
  - .agpr_count:     0
    .args:
      - .offset:         0
        .size:           88
        .value_kind:     by_value
      - .offset:         88
        .size:           4
        .value_kind:     hidden_block_count_x
      - .offset:         92
        .size:           4
        .value_kind:     hidden_block_count_y
      - .offset:         96
        .size:           4
        .value_kind:     hidden_block_count_z
      - .offset:         100
        .size:           2
        .value_kind:     hidden_group_size_x
      - .offset:         102
        .size:           2
        .value_kind:     hidden_group_size_y
      - .offset:         104
        .size:           2
        .value_kind:     hidden_group_size_z
      - .offset:         106
        .size:           2
        .value_kind:     hidden_remainder_x
      - .offset:         108
        .size:           2
        .value_kind:     hidden_remainder_y
      - .offset:         110
        .size:           2
        .value_kind:     hidden_remainder_z
      - .offset:         128
        .size:           8
        .value_kind:     hidden_global_offset_x
      - .offset:         136
        .size:           8
        .value_kind:     hidden_global_offset_y
      - .offset:         144
        .size:           8
        .value_kind:     hidden_global_offset_z
      - .offset:         152
        .size:           2
        .value_kind:     hidden_grid_dims
    .group_segment_fixed_size: 20552
    .kernarg_segment_align: 8
    .kernarg_segment_size: 344
    .language:       OpenCL C
    .language_version:
      - 2
      - 0
    .max_flat_workgroup_size: 1024
    .name:           _ZN7rocprim17ROCPRIM_400000_NS6detail17trampoline_kernelINS0_14default_configENS1_35radix_sort_onesweep_config_selectorIhlEEZZNS1_29radix_sort_onesweep_iterationIS3_Lb0EPhS7_N6thrust23THRUST_200600_302600_NS10device_ptrIlEESB_jNS0_19identity_decomposerENS1_16block_id_wrapperIjLb1EEEEE10hipError_tT1_PNSt15iterator_traitsISG_E10value_typeET2_T3_PNSH_ISM_E10value_typeET4_T5_PSR_SS_PNS1_23onesweep_lookback_stateEbbT6_jjT7_P12ihipStream_tbENKUlT_T0_SG_SL_E_clIS7_S7_SB_PlEEDaSZ_S10_SG_SL_EUlSZ_E_NS1_11comp_targetILNS1_3genE4ELNS1_11target_archE910ELNS1_3gpuE8ELNS1_3repE0EEENS1_47radix_sort_onesweep_sort_config_static_selectorELNS0_4arch9wavefront6targetE1EEEvSG_
    .private_segment_fixed_size: 0
    .sgpr_count:     60
    .sgpr_spill_count: 0
    .symbol:         _ZN7rocprim17ROCPRIM_400000_NS6detail17trampoline_kernelINS0_14default_configENS1_35radix_sort_onesweep_config_selectorIhlEEZZNS1_29radix_sort_onesweep_iterationIS3_Lb0EPhS7_N6thrust23THRUST_200600_302600_NS10device_ptrIlEESB_jNS0_19identity_decomposerENS1_16block_id_wrapperIjLb1EEEEE10hipError_tT1_PNSt15iterator_traitsISG_E10value_typeET2_T3_PNSH_ISM_E10value_typeET4_T5_PSR_SS_PNS1_23onesweep_lookback_stateEbbT6_jjT7_P12ihipStream_tbENKUlT_T0_SG_SL_E_clIS7_S7_SB_PlEEDaSZ_S10_SG_SL_EUlSZ_E_NS1_11comp_targetILNS1_3genE4ELNS1_11target_archE910ELNS1_3gpuE8ELNS1_3repE0EEENS1_47radix_sort_onesweep_sort_config_static_selectorELNS0_4arch9wavefront6targetE1EEEvSG_.kd
    .uniform_work_group_size: 1
    .uses_dynamic_stack: false
    .vgpr_count:     55
    .vgpr_spill_count: 0
    .wavefront_size: 64
  - .agpr_count:     0
    .args:
      - .offset:         0
        .size:           88
        .value_kind:     by_value
    .group_segment_fixed_size: 0
    .kernarg_segment_align: 8
    .kernarg_segment_size: 88
    .language:       OpenCL C
    .language_version:
      - 2
      - 0
    .max_flat_workgroup_size: 1024
    .name:           _ZN7rocprim17ROCPRIM_400000_NS6detail17trampoline_kernelINS0_14default_configENS1_35radix_sort_onesweep_config_selectorIhlEEZZNS1_29radix_sort_onesweep_iterationIS3_Lb0EPhS7_N6thrust23THRUST_200600_302600_NS10device_ptrIlEESB_jNS0_19identity_decomposerENS1_16block_id_wrapperIjLb1EEEEE10hipError_tT1_PNSt15iterator_traitsISG_E10value_typeET2_T3_PNSH_ISM_E10value_typeET4_T5_PSR_SS_PNS1_23onesweep_lookback_stateEbbT6_jjT7_P12ihipStream_tbENKUlT_T0_SG_SL_E_clIS7_S7_SB_PlEEDaSZ_S10_SG_SL_EUlSZ_E_NS1_11comp_targetILNS1_3genE3ELNS1_11target_archE908ELNS1_3gpuE7ELNS1_3repE0EEENS1_47radix_sort_onesweep_sort_config_static_selectorELNS0_4arch9wavefront6targetE1EEEvSG_
    .private_segment_fixed_size: 0
    .sgpr_count:     4
    .sgpr_spill_count: 0
    .symbol:         _ZN7rocprim17ROCPRIM_400000_NS6detail17trampoline_kernelINS0_14default_configENS1_35radix_sort_onesweep_config_selectorIhlEEZZNS1_29radix_sort_onesweep_iterationIS3_Lb0EPhS7_N6thrust23THRUST_200600_302600_NS10device_ptrIlEESB_jNS0_19identity_decomposerENS1_16block_id_wrapperIjLb1EEEEE10hipError_tT1_PNSt15iterator_traitsISG_E10value_typeET2_T3_PNSH_ISM_E10value_typeET4_T5_PSR_SS_PNS1_23onesweep_lookback_stateEbbT6_jjT7_P12ihipStream_tbENKUlT_T0_SG_SL_E_clIS7_S7_SB_PlEEDaSZ_S10_SG_SL_EUlSZ_E_NS1_11comp_targetILNS1_3genE3ELNS1_11target_archE908ELNS1_3gpuE7ELNS1_3repE0EEENS1_47radix_sort_onesweep_sort_config_static_selectorELNS0_4arch9wavefront6targetE1EEEvSG_.kd
    .uniform_work_group_size: 1
    .uses_dynamic_stack: false
    .vgpr_count:     0
    .vgpr_spill_count: 0
    .wavefront_size: 64
  - .agpr_count:     0
    .args:
      - .offset:         0
        .size:           88
        .value_kind:     by_value
    .group_segment_fixed_size: 0
    .kernarg_segment_align: 8
    .kernarg_segment_size: 88
    .language:       OpenCL C
    .language_version:
      - 2
      - 0
    .max_flat_workgroup_size: 1024
    .name:           _ZN7rocprim17ROCPRIM_400000_NS6detail17trampoline_kernelINS0_14default_configENS1_35radix_sort_onesweep_config_selectorIhlEEZZNS1_29radix_sort_onesweep_iterationIS3_Lb0EPhS7_N6thrust23THRUST_200600_302600_NS10device_ptrIlEESB_jNS0_19identity_decomposerENS1_16block_id_wrapperIjLb1EEEEE10hipError_tT1_PNSt15iterator_traitsISG_E10value_typeET2_T3_PNSH_ISM_E10value_typeET4_T5_PSR_SS_PNS1_23onesweep_lookback_stateEbbT6_jjT7_P12ihipStream_tbENKUlT_T0_SG_SL_E_clIS7_S7_SB_PlEEDaSZ_S10_SG_SL_EUlSZ_E_NS1_11comp_targetILNS1_3genE10ELNS1_11target_archE1201ELNS1_3gpuE5ELNS1_3repE0EEENS1_47radix_sort_onesweep_sort_config_static_selectorELNS0_4arch9wavefront6targetE1EEEvSG_
    .private_segment_fixed_size: 0
    .sgpr_count:     4
    .sgpr_spill_count: 0
    .symbol:         _ZN7rocprim17ROCPRIM_400000_NS6detail17trampoline_kernelINS0_14default_configENS1_35radix_sort_onesweep_config_selectorIhlEEZZNS1_29radix_sort_onesweep_iterationIS3_Lb0EPhS7_N6thrust23THRUST_200600_302600_NS10device_ptrIlEESB_jNS0_19identity_decomposerENS1_16block_id_wrapperIjLb1EEEEE10hipError_tT1_PNSt15iterator_traitsISG_E10value_typeET2_T3_PNSH_ISM_E10value_typeET4_T5_PSR_SS_PNS1_23onesweep_lookback_stateEbbT6_jjT7_P12ihipStream_tbENKUlT_T0_SG_SL_E_clIS7_S7_SB_PlEEDaSZ_S10_SG_SL_EUlSZ_E_NS1_11comp_targetILNS1_3genE10ELNS1_11target_archE1201ELNS1_3gpuE5ELNS1_3repE0EEENS1_47radix_sort_onesweep_sort_config_static_selectorELNS0_4arch9wavefront6targetE1EEEvSG_.kd
    .uniform_work_group_size: 1
    .uses_dynamic_stack: false
    .vgpr_count:     0
    .vgpr_spill_count: 0
    .wavefront_size: 64
  - .agpr_count:     0
    .args:
      - .offset:         0
        .size:           88
        .value_kind:     by_value
    .group_segment_fixed_size: 0
    .kernarg_segment_align: 8
    .kernarg_segment_size: 88
    .language:       OpenCL C
    .language_version:
      - 2
      - 0
    .max_flat_workgroup_size: 1024
    .name:           _ZN7rocprim17ROCPRIM_400000_NS6detail17trampoline_kernelINS0_14default_configENS1_35radix_sort_onesweep_config_selectorIhlEEZZNS1_29radix_sort_onesweep_iterationIS3_Lb0EPhS7_N6thrust23THRUST_200600_302600_NS10device_ptrIlEESB_jNS0_19identity_decomposerENS1_16block_id_wrapperIjLb1EEEEE10hipError_tT1_PNSt15iterator_traitsISG_E10value_typeET2_T3_PNSH_ISM_E10value_typeET4_T5_PSR_SS_PNS1_23onesweep_lookback_stateEbbT6_jjT7_P12ihipStream_tbENKUlT_T0_SG_SL_E_clIS7_S7_SB_PlEEDaSZ_S10_SG_SL_EUlSZ_E_NS1_11comp_targetILNS1_3genE9ELNS1_11target_archE1100ELNS1_3gpuE3ELNS1_3repE0EEENS1_47radix_sort_onesweep_sort_config_static_selectorELNS0_4arch9wavefront6targetE1EEEvSG_
    .private_segment_fixed_size: 0
    .sgpr_count:     4
    .sgpr_spill_count: 0
    .symbol:         _ZN7rocprim17ROCPRIM_400000_NS6detail17trampoline_kernelINS0_14default_configENS1_35radix_sort_onesweep_config_selectorIhlEEZZNS1_29radix_sort_onesweep_iterationIS3_Lb0EPhS7_N6thrust23THRUST_200600_302600_NS10device_ptrIlEESB_jNS0_19identity_decomposerENS1_16block_id_wrapperIjLb1EEEEE10hipError_tT1_PNSt15iterator_traitsISG_E10value_typeET2_T3_PNSH_ISM_E10value_typeET4_T5_PSR_SS_PNS1_23onesweep_lookback_stateEbbT6_jjT7_P12ihipStream_tbENKUlT_T0_SG_SL_E_clIS7_S7_SB_PlEEDaSZ_S10_SG_SL_EUlSZ_E_NS1_11comp_targetILNS1_3genE9ELNS1_11target_archE1100ELNS1_3gpuE3ELNS1_3repE0EEENS1_47radix_sort_onesweep_sort_config_static_selectorELNS0_4arch9wavefront6targetE1EEEvSG_.kd
    .uniform_work_group_size: 1
    .uses_dynamic_stack: false
    .vgpr_count:     0
    .vgpr_spill_count: 0
    .wavefront_size: 64
  - .agpr_count:     0
    .args:
      - .offset:         0
        .size:           88
        .value_kind:     by_value
    .group_segment_fixed_size: 0
    .kernarg_segment_align: 8
    .kernarg_segment_size: 88
    .language:       OpenCL C
    .language_version:
      - 2
      - 0
    .max_flat_workgroup_size: 1024
    .name:           _ZN7rocprim17ROCPRIM_400000_NS6detail17trampoline_kernelINS0_14default_configENS1_35radix_sort_onesweep_config_selectorIhlEEZZNS1_29radix_sort_onesweep_iterationIS3_Lb0EPhS7_N6thrust23THRUST_200600_302600_NS10device_ptrIlEESB_jNS0_19identity_decomposerENS1_16block_id_wrapperIjLb1EEEEE10hipError_tT1_PNSt15iterator_traitsISG_E10value_typeET2_T3_PNSH_ISM_E10value_typeET4_T5_PSR_SS_PNS1_23onesweep_lookback_stateEbbT6_jjT7_P12ihipStream_tbENKUlT_T0_SG_SL_E_clIS7_S7_SB_PlEEDaSZ_S10_SG_SL_EUlSZ_E_NS1_11comp_targetILNS1_3genE8ELNS1_11target_archE1030ELNS1_3gpuE2ELNS1_3repE0EEENS1_47radix_sort_onesweep_sort_config_static_selectorELNS0_4arch9wavefront6targetE1EEEvSG_
    .private_segment_fixed_size: 0
    .sgpr_count:     4
    .sgpr_spill_count: 0
    .symbol:         _ZN7rocprim17ROCPRIM_400000_NS6detail17trampoline_kernelINS0_14default_configENS1_35radix_sort_onesweep_config_selectorIhlEEZZNS1_29radix_sort_onesweep_iterationIS3_Lb0EPhS7_N6thrust23THRUST_200600_302600_NS10device_ptrIlEESB_jNS0_19identity_decomposerENS1_16block_id_wrapperIjLb1EEEEE10hipError_tT1_PNSt15iterator_traitsISG_E10value_typeET2_T3_PNSH_ISM_E10value_typeET4_T5_PSR_SS_PNS1_23onesweep_lookback_stateEbbT6_jjT7_P12ihipStream_tbENKUlT_T0_SG_SL_E_clIS7_S7_SB_PlEEDaSZ_S10_SG_SL_EUlSZ_E_NS1_11comp_targetILNS1_3genE8ELNS1_11target_archE1030ELNS1_3gpuE2ELNS1_3repE0EEENS1_47radix_sort_onesweep_sort_config_static_selectorELNS0_4arch9wavefront6targetE1EEEvSG_.kd
    .uniform_work_group_size: 1
    .uses_dynamic_stack: false
    .vgpr_count:     0
    .vgpr_spill_count: 0
    .wavefront_size: 64
  - .agpr_count:     0
    .args:
      - .offset:         0
        .size:           88
        .value_kind:     by_value
    .group_segment_fixed_size: 0
    .kernarg_segment_align: 8
    .kernarg_segment_size: 88
    .language:       OpenCL C
    .language_version:
      - 2
      - 0
    .max_flat_workgroup_size: 1024
    .name:           _ZN7rocprim17ROCPRIM_400000_NS6detail17trampoline_kernelINS0_14default_configENS1_35radix_sort_onesweep_config_selectorIhlEEZZNS1_29radix_sort_onesweep_iterationIS3_Lb0EPhS7_N6thrust23THRUST_200600_302600_NS10device_ptrIlEESB_jNS0_19identity_decomposerENS1_16block_id_wrapperIjLb1EEEEE10hipError_tT1_PNSt15iterator_traitsISG_E10value_typeET2_T3_PNSH_ISM_E10value_typeET4_T5_PSR_SS_PNS1_23onesweep_lookback_stateEbbT6_jjT7_P12ihipStream_tbENKUlT_T0_SG_SL_E_clIS7_S7_PlSB_EEDaSZ_S10_SG_SL_EUlSZ_E_NS1_11comp_targetILNS1_3genE0ELNS1_11target_archE4294967295ELNS1_3gpuE0ELNS1_3repE0EEENS1_47radix_sort_onesweep_sort_config_static_selectorELNS0_4arch9wavefront6targetE1EEEvSG_
    .private_segment_fixed_size: 0
    .sgpr_count:     4
    .sgpr_spill_count: 0
    .symbol:         _ZN7rocprim17ROCPRIM_400000_NS6detail17trampoline_kernelINS0_14default_configENS1_35radix_sort_onesweep_config_selectorIhlEEZZNS1_29radix_sort_onesweep_iterationIS3_Lb0EPhS7_N6thrust23THRUST_200600_302600_NS10device_ptrIlEESB_jNS0_19identity_decomposerENS1_16block_id_wrapperIjLb1EEEEE10hipError_tT1_PNSt15iterator_traitsISG_E10value_typeET2_T3_PNSH_ISM_E10value_typeET4_T5_PSR_SS_PNS1_23onesweep_lookback_stateEbbT6_jjT7_P12ihipStream_tbENKUlT_T0_SG_SL_E_clIS7_S7_PlSB_EEDaSZ_S10_SG_SL_EUlSZ_E_NS1_11comp_targetILNS1_3genE0ELNS1_11target_archE4294967295ELNS1_3gpuE0ELNS1_3repE0EEENS1_47radix_sort_onesweep_sort_config_static_selectorELNS0_4arch9wavefront6targetE1EEEvSG_.kd
    .uniform_work_group_size: 1
    .uses_dynamic_stack: false
    .vgpr_count:     0
    .vgpr_spill_count: 0
    .wavefront_size: 64
  - .agpr_count:     0
    .args:
      - .offset:         0
        .size:           88
        .value_kind:     by_value
    .group_segment_fixed_size: 0
    .kernarg_segment_align: 8
    .kernarg_segment_size: 88
    .language:       OpenCL C
    .language_version:
      - 2
      - 0
    .max_flat_workgroup_size: 1024
    .name:           _ZN7rocprim17ROCPRIM_400000_NS6detail17trampoline_kernelINS0_14default_configENS1_35radix_sort_onesweep_config_selectorIhlEEZZNS1_29radix_sort_onesweep_iterationIS3_Lb0EPhS7_N6thrust23THRUST_200600_302600_NS10device_ptrIlEESB_jNS0_19identity_decomposerENS1_16block_id_wrapperIjLb1EEEEE10hipError_tT1_PNSt15iterator_traitsISG_E10value_typeET2_T3_PNSH_ISM_E10value_typeET4_T5_PSR_SS_PNS1_23onesweep_lookback_stateEbbT6_jjT7_P12ihipStream_tbENKUlT_T0_SG_SL_E_clIS7_S7_PlSB_EEDaSZ_S10_SG_SL_EUlSZ_E_NS1_11comp_targetILNS1_3genE6ELNS1_11target_archE950ELNS1_3gpuE13ELNS1_3repE0EEENS1_47radix_sort_onesweep_sort_config_static_selectorELNS0_4arch9wavefront6targetE1EEEvSG_
    .private_segment_fixed_size: 0
    .sgpr_count:     4
    .sgpr_spill_count: 0
    .symbol:         _ZN7rocprim17ROCPRIM_400000_NS6detail17trampoline_kernelINS0_14default_configENS1_35radix_sort_onesweep_config_selectorIhlEEZZNS1_29radix_sort_onesweep_iterationIS3_Lb0EPhS7_N6thrust23THRUST_200600_302600_NS10device_ptrIlEESB_jNS0_19identity_decomposerENS1_16block_id_wrapperIjLb1EEEEE10hipError_tT1_PNSt15iterator_traitsISG_E10value_typeET2_T3_PNSH_ISM_E10value_typeET4_T5_PSR_SS_PNS1_23onesweep_lookback_stateEbbT6_jjT7_P12ihipStream_tbENKUlT_T0_SG_SL_E_clIS7_S7_PlSB_EEDaSZ_S10_SG_SL_EUlSZ_E_NS1_11comp_targetILNS1_3genE6ELNS1_11target_archE950ELNS1_3gpuE13ELNS1_3repE0EEENS1_47radix_sort_onesweep_sort_config_static_selectorELNS0_4arch9wavefront6targetE1EEEvSG_.kd
    .uniform_work_group_size: 1
    .uses_dynamic_stack: false
    .vgpr_count:     0
    .vgpr_spill_count: 0
    .wavefront_size: 64
  - .agpr_count:     0
    .args:
      - .offset:         0
        .size:           88
        .value_kind:     by_value
    .group_segment_fixed_size: 0
    .kernarg_segment_align: 8
    .kernarg_segment_size: 88
    .language:       OpenCL C
    .language_version:
      - 2
      - 0
    .max_flat_workgroup_size: 1024
    .name:           _ZN7rocprim17ROCPRIM_400000_NS6detail17trampoline_kernelINS0_14default_configENS1_35radix_sort_onesweep_config_selectorIhlEEZZNS1_29radix_sort_onesweep_iterationIS3_Lb0EPhS7_N6thrust23THRUST_200600_302600_NS10device_ptrIlEESB_jNS0_19identity_decomposerENS1_16block_id_wrapperIjLb1EEEEE10hipError_tT1_PNSt15iterator_traitsISG_E10value_typeET2_T3_PNSH_ISM_E10value_typeET4_T5_PSR_SS_PNS1_23onesweep_lookback_stateEbbT6_jjT7_P12ihipStream_tbENKUlT_T0_SG_SL_E_clIS7_S7_PlSB_EEDaSZ_S10_SG_SL_EUlSZ_E_NS1_11comp_targetILNS1_3genE5ELNS1_11target_archE942ELNS1_3gpuE9ELNS1_3repE0EEENS1_47radix_sort_onesweep_sort_config_static_selectorELNS0_4arch9wavefront6targetE1EEEvSG_
    .private_segment_fixed_size: 0
    .sgpr_count:     4
    .sgpr_spill_count: 0
    .symbol:         _ZN7rocprim17ROCPRIM_400000_NS6detail17trampoline_kernelINS0_14default_configENS1_35radix_sort_onesweep_config_selectorIhlEEZZNS1_29radix_sort_onesweep_iterationIS3_Lb0EPhS7_N6thrust23THRUST_200600_302600_NS10device_ptrIlEESB_jNS0_19identity_decomposerENS1_16block_id_wrapperIjLb1EEEEE10hipError_tT1_PNSt15iterator_traitsISG_E10value_typeET2_T3_PNSH_ISM_E10value_typeET4_T5_PSR_SS_PNS1_23onesweep_lookback_stateEbbT6_jjT7_P12ihipStream_tbENKUlT_T0_SG_SL_E_clIS7_S7_PlSB_EEDaSZ_S10_SG_SL_EUlSZ_E_NS1_11comp_targetILNS1_3genE5ELNS1_11target_archE942ELNS1_3gpuE9ELNS1_3repE0EEENS1_47radix_sort_onesweep_sort_config_static_selectorELNS0_4arch9wavefront6targetE1EEEvSG_.kd
    .uniform_work_group_size: 1
    .uses_dynamic_stack: false
    .vgpr_count:     0
    .vgpr_spill_count: 0
    .wavefront_size: 64
  - .agpr_count:     0
    .args:
      - .offset:         0
        .size:           88
        .value_kind:     by_value
    .group_segment_fixed_size: 0
    .kernarg_segment_align: 8
    .kernarg_segment_size: 88
    .language:       OpenCL C
    .language_version:
      - 2
      - 0
    .max_flat_workgroup_size: 512
    .name:           _ZN7rocprim17ROCPRIM_400000_NS6detail17trampoline_kernelINS0_14default_configENS1_35radix_sort_onesweep_config_selectorIhlEEZZNS1_29radix_sort_onesweep_iterationIS3_Lb0EPhS7_N6thrust23THRUST_200600_302600_NS10device_ptrIlEESB_jNS0_19identity_decomposerENS1_16block_id_wrapperIjLb1EEEEE10hipError_tT1_PNSt15iterator_traitsISG_E10value_typeET2_T3_PNSH_ISM_E10value_typeET4_T5_PSR_SS_PNS1_23onesweep_lookback_stateEbbT6_jjT7_P12ihipStream_tbENKUlT_T0_SG_SL_E_clIS7_S7_PlSB_EEDaSZ_S10_SG_SL_EUlSZ_E_NS1_11comp_targetILNS1_3genE2ELNS1_11target_archE906ELNS1_3gpuE6ELNS1_3repE0EEENS1_47radix_sort_onesweep_sort_config_static_selectorELNS0_4arch9wavefront6targetE1EEEvSG_
    .private_segment_fixed_size: 0
    .sgpr_count:     4
    .sgpr_spill_count: 0
    .symbol:         _ZN7rocprim17ROCPRIM_400000_NS6detail17trampoline_kernelINS0_14default_configENS1_35radix_sort_onesweep_config_selectorIhlEEZZNS1_29radix_sort_onesweep_iterationIS3_Lb0EPhS7_N6thrust23THRUST_200600_302600_NS10device_ptrIlEESB_jNS0_19identity_decomposerENS1_16block_id_wrapperIjLb1EEEEE10hipError_tT1_PNSt15iterator_traitsISG_E10value_typeET2_T3_PNSH_ISM_E10value_typeET4_T5_PSR_SS_PNS1_23onesweep_lookback_stateEbbT6_jjT7_P12ihipStream_tbENKUlT_T0_SG_SL_E_clIS7_S7_PlSB_EEDaSZ_S10_SG_SL_EUlSZ_E_NS1_11comp_targetILNS1_3genE2ELNS1_11target_archE906ELNS1_3gpuE6ELNS1_3repE0EEENS1_47radix_sort_onesweep_sort_config_static_selectorELNS0_4arch9wavefront6targetE1EEEvSG_.kd
    .uniform_work_group_size: 1
    .uses_dynamic_stack: false
    .vgpr_count:     0
    .vgpr_spill_count: 0
    .wavefront_size: 64
  - .agpr_count:     0
    .args:
      - .offset:         0
        .size:           88
        .value_kind:     by_value
      - .offset:         88
        .size:           4
        .value_kind:     hidden_block_count_x
      - .offset:         92
        .size:           4
        .value_kind:     hidden_block_count_y
      - .offset:         96
        .size:           4
        .value_kind:     hidden_block_count_z
      - .offset:         100
        .size:           2
        .value_kind:     hidden_group_size_x
      - .offset:         102
        .size:           2
        .value_kind:     hidden_group_size_y
      - .offset:         104
        .size:           2
        .value_kind:     hidden_group_size_z
      - .offset:         106
        .size:           2
        .value_kind:     hidden_remainder_x
      - .offset:         108
        .size:           2
        .value_kind:     hidden_remainder_y
      - .offset:         110
        .size:           2
        .value_kind:     hidden_remainder_z
      - .offset:         128
        .size:           8
        .value_kind:     hidden_global_offset_x
      - .offset:         136
        .size:           8
        .value_kind:     hidden_global_offset_y
      - .offset:         144
        .size:           8
        .value_kind:     hidden_global_offset_z
      - .offset:         152
        .size:           2
        .value_kind:     hidden_grid_dims
    .group_segment_fixed_size: 20552
    .kernarg_segment_align: 8
    .kernarg_segment_size: 344
    .language:       OpenCL C
    .language_version:
      - 2
      - 0
    .max_flat_workgroup_size: 1024
    .name:           _ZN7rocprim17ROCPRIM_400000_NS6detail17trampoline_kernelINS0_14default_configENS1_35radix_sort_onesweep_config_selectorIhlEEZZNS1_29radix_sort_onesweep_iterationIS3_Lb0EPhS7_N6thrust23THRUST_200600_302600_NS10device_ptrIlEESB_jNS0_19identity_decomposerENS1_16block_id_wrapperIjLb1EEEEE10hipError_tT1_PNSt15iterator_traitsISG_E10value_typeET2_T3_PNSH_ISM_E10value_typeET4_T5_PSR_SS_PNS1_23onesweep_lookback_stateEbbT6_jjT7_P12ihipStream_tbENKUlT_T0_SG_SL_E_clIS7_S7_PlSB_EEDaSZ_S10_SG_SL_EUlSZ_E_NS1_11comp_targetILNS1_3genE4ELNS1_11target_archE910ELNS1_3gpuE8ELNS1_3repE0EEENS1_47radix_sort_onesweep_sort_config_static_selectorELNS0_4arch9wavefront6targetE1EEEvSG_
    .private_segment_fixed_size: 0
    .sgpr_count:     60
    .sgpr_spill_count: 0
    .symbol:         _ZN7rocprim17ROCPRIM_400000_NS6detail17trampoline_kernelINS0_14default_configENS1_35radix_sort_onesweep_config_selectorIhlEEZZNS1_29radix_sort_onesweep_iterationIS3_Lb0EPhS7_N6thrust23THRUST_200600_302600_NS10device_ptrIlEESB_jNS0_19identity_decomposerENS1_16block_id_wrapperIjLb1EEEEE10hipError_tT1_PNSt15iterator_traitsISG_E10value_typeET2_T3_PNSH_ISM_E10value_typeET4_T5_PSR_SS_PNS1_23onesweep_lookback_stateEbbT6_jjT7_P12ihipStream_tbENKUlT_T0_SG_SL_E_clIS7_S7_PlSB_EEDaSZ_S10_SG_SL_EUlSZ_E_NS1_11comp_targetILNS1_3genE4ELNS1_11target_archE910ELNS1_3gpuE8ELNS1_3repE0EEENS1_47radix_sort_onesweep_sort_config_static_selectorELNS0_4arch9wavefront6targetE1EEEvSG_.kd
    .uniform_work_group_size: 1
    .uses_dynamic_stack: false
    .vgpr_count:     55
    .vgpr_spill_count: 0
    .wavefront_size: 64
  - .agpr_count:     0
    .args:
      - .offset:         0
        .size:           88
        .value_kind:     by_value
    .group_segment_fixed_size: 0
    .kernarg_segment_align: 8
    .kernarg_segment_size: 88
    .language:       OpenCL C
    .language_version:
      - 2
      - 0
    .max_flat_workgroup_size: 1024
    .name:           _ZN7rocprim17ROCPRIM_400000_NS6detail17trampoline_kernelINS0_14default_configENS1_35radix_sort_onesweep_config_selectorIhlEEZZNS1_29radix_sort_onesweep_iterationIS3_Lb0EPhS7_N6thrust23THRUST_200600_302600_NS10device_ptrIlEESB_jNS0_19identity_decomposerENS1_16block_id_wrapperIjLb1EEEEE10hipError_tT1_PNSt15iterator_traitsISG_E10value_typeET2_T3_PNSH_ISM_E10value_typeET4_T5_PSR_SS_PNS1_23onesweep_lookback_stateEbbT6_jjT7_P12ihipStream_tbENKUlT_T0_SG_SL_E_clIS7_S7_PlSB_EEDaSZ_S10_SG_SL_EUlSZ_E_NS1_11comp_targetILNS1_3genE3ELNS1_11target_archE908ELNS1_3gpuE7ELNS1_3repE0EEENS1_47radix_sort_onesweep_sort_config_static_selectorELNS0_4arch9wavefront6targetE1EEEvSG_
    .private_segment_fixed_size: 0
    .sgpr_count:     4
    .sgpr_spill_count: 0
    .symbol:         _ZN7rocprim17ROCPRIM_400000_NS6detail17trampoline_kernelINS0_14default_configENS1_35radix_sort_onesweep_config_selectorIhlEEZZNS1_29radix_sort_onesweep_iterationIS3_Lb0EPhS7_N6thrust23THRUST_200600_302600_NS10device_ptrIlEESB_jNS0_19identity_decomposerENS1_16block_id_wrapperIjLb1EEEEE10hipError_tT1_PNSt15iterator_traitsISG_E10value_typeET2_T3_PNSH_ISM_E10value_typeET4_T5_PSR_SS_PNS1_23onesweep_lookback_stateEbbT6_jjT7_P12ihipStream_tbENKUlT_T0_SG_SL_E_clIS7_S7_PlSB_EEDaSZ_S10_SG_SL_EUlSZ_E_NS1_11comp_targetILNS1_3genE3ELNS1_11target_archE908ELNS1_3gpuE7ELNS1_3repE0EEENS1_47radix_sort_onesweep_sort_config_static_selectorELNS0_4arch9wavefront6targetE1EEEvSG_.kd
    .uniform_work_group_size: 1
    .uses_dynamic_stack: false
    .vgpr_count:     0
    .vgpr_spill_count: 0
    .wavefront_size: 64
  - .agpr_count:     0
    .args:
      - .offset:         0
        .size:           88
        .value_kind:     by_value
    .group_segment_fixed_size: 0
    .kernarg_segment_align: 8
    .kernarg_segment_size: 88
    .language:       OpenCL C
    .language_version:
      - 2
      - 0
    .max_flat_workgroup_size: 1024
    .name:           _ZN7rocprim17ROCPRIM_400000_NS6detail17trampoline_kernelINS0_14default_configENS1_35radix_sort_onesweep_config_selectorIhlEEZZNS1_29radix_sort_onesweep_iterationIS3_Lb0EPhS7_N6thrust23THRUST_200600_302600_NS10device_ptrIlEESB_jNS0_19identity_decomposerENS1_16block_id_wrapperIjLb1EEEEE10hipError_tT1_PNSt15iterator_traitsISG_E10value_typeET2_T3_PNSH_ISM_E10value_typeET4_T5_PSR_SS_PNS1_23onesweep_lookback_stateEbbT6_jjT7_P12ihipStream_tbENKUlT_T0_SG_SL_E_clIS7_S7_PlSB_EEDaSZ_S10_SG_SL_EUlSZ_E_NS1_11comp_targetILNS1_3genE10ELNS1_11target_archE1201ELNS1_3gpuE5ELNS1_3repE0EEENS1_47radix_sort_onesweep_sort_config_static_selectorELNS0_4arch9wavefront6targetE1EEEvSG_
    .private_segment_fixed_size: 0
    .sgpr_count:     4
    .sgpr_spill_count: 0
    .symbol:         _ZN7rocprim17ROCPRIM_400000_NS6detail17trampoline_kernelINS0_14default_configENS1_35radix_sort_onesweep_config_selectorIhlEEZZNS1_29radix_sort_onesweep_iterationIS3_Lb0EPhS7_N6thrust23THRUST_200600_302600_NS10device_ptrIlEESB_jNS0_19identity_decomposerENS1_16block_id_wrapperIjLb1EEEEE10hipError_tT1_PNSt15iterator_traitsISG_E10value_typeET2_T3_PNSH_ISM_E10value_typeET4_T5_PSR_SS_PNS1_23onesweep_lookback_stateEbbT6_jjT7_P12ihipStream_tbENKUlT_T0_SG_SL_E_clIS7_S7_PlSB_EEDaSZ_S10_SG_SL_EUlSZ_E_NS1_11comp_targetILNS1_3genE10ELNS1_11target_archE1201ELNS1_3gpuE5ELNS1_3repE0EEENS1_47radix_sort_onesweep_sort_config_static_selectorELNS0_4arch9wavefront6targetE1EEEvSG_.kd
    .uniform_work_group_size: 1
    .uses_dynamic_stack: false
    .vgpr_count:     0
    .vgpr_spill_count: 0
    .wavefront_size: 64
  - .agpr_count:     0
    .args:
      - .offset:         0
        .size:           88
        .value_kind:     by_value
    .group_segment_fixed_size: 0
    .kernarg_segment_align: 8
    .kernarg_segment_size: 88
    .language:       OpenCL C
    .language_version:
      - 2
      - 0
    .max_flat_workgroup_size: 1024
    .name:           _ZN7rocprim17ROCPRIM_400000_NS6detail17trampoline_kernelINS0_14default_configENS1_35radix_sort_onesweep_config_selectorIhlEEZZNS1_29radix_sort_onesweep_iterationIS3_Lb0EPhS7_N6thrust23THRUST_200600_302600_NS10device_ptrIlEESB_jNS0_19identity_decomposerENS1_16block_id_wrapperIjLb1EEEEE10hipError_tT1_PNSt15iterator_traitsISG_E10value_typeET2_T3_PNSH_ISM_E10value_typeET4_T5_PSR_SS_PNS1_23onesweep_lookback_stateEbbT6_jjT7_P12ihipStream_tbENKUlT_T0_SG_SL_E_clIS7_S7_PlSB_EEDaSZ_S10_SG_SL_EUlSZ_E_NS1_11comp_targetILNS1_3genE9ELNS1_11target_archE1100ELNS1_3gpuE3ELNS1_3repE0EEENS1_47radix_sort_onesweep_sort_config_static_selectorELNS0_4arch9wavefront6targetE1EEEvSG_
    .private_segment_fixed_size: 0
    .sgpr_count:     4
    .sgpr_spill_count: 0
    .symbol:         _ZN7rocprim17ROCPRIM_400000_NS6detail17trampoline_kernelINS0_14default_configENS1_35radix_sort_onesweep_config_selectorIhlEEZZNS1_29radix_sort_onesweep_iterationIS3_Lb0EPhS7_N6thrust23THRUST_200600_302600_NS10device_ptrIlEESB_jNS0_19identity_decomposerENS1_16block_id_wrapperIjLb1EEEEE10hipError_tT1_PNSt15iterator_traitsISG_E10value_typeET2_T3_PNSH_ISM_E10value_typeET4_T5_PSR_SS_PNS1_23onesweep_lookback_stateEbbT6_jjT7_P12ihipStream_tbENKUlT_T0_SG_SL_E_clIS7_S7_PlSB_EEDaSZ_S10_SG_SL_EUlSZ_E_NS1_11comp_targetILNS1_3genE9ELNS1_11target_archE1100ELNS1_3gpuE3ELNS1_3repE0EEENS1_47radix_sort_onesweep_sort_config_static_selectorELNS0_4arch9wavefront6targetE1EEEvSG_.kd
    .uniform_work_group_size: 1
    .uses_dynamic_stack: false
    .vgpr_count:     0
    .vgpr_spill_count: 0
    .wavefront_size: 64
  - .agpr_count:     0
    .args:
      - .offset:         0
        .size:           88
        .value_kind:     by_value
    .group_segment_fixed_size: 0
    .kernarg_segment_align: 8
    .kernarg_segment_size: 88
    .language:       OpenCL C
    .language_version:
      - 2
      - 0
    .max_flat_workgroup_size: 1024
    .name:           _ZN7rocprim17ROCPRIM_400000_NS6detail17trampoline_kernelINS0_14default_configENS1_35radix_sort_onesweep_config_selectorIhlEEZZNS1_29radix_sort_onesweep_iterationIS3_Lb0EPhS7_N6thrust23THRUST_200600_302600_NS10device_ptrIlEESB_jNS0_19identity_decomposerENS1_16block_id_wrapperIjLb1EEEEE10hipError_tT1_PNSt15iterator_traitsISG_E10value_typeET2_T3_PNSH_ISM_E10value_typeET4_T5_PSR_SS_PNS1_23onesweep_lookback_stateEbbT6_jjT7_P12ihipStream_tbENKUlT_T0_SG_SL_E_clIS7_S7_PlSB_EEDaSZ_S10_SG_SL_EUlSZ_E_NS1_11comp_targetILNS1_3genE8ELNS1_11target_archE1030ELNS1_3gpuE2ELNS1_3repE0EEENS1_47radix_sort_onesweep_sort_config_static_selectorELNS0_4arch9wavefront6targetE1EEEvSG_
    .private_segment_fixed_size: 0
    .sgpr_count:     4
    .sgpr_spill_count: 0
    .symbol:         _ZN7rocprim17ROCPRIM_400000_NS6detail17trampoline_kernelINS0_14default_configENS1_35radix_sort_onesweep_config_selectorIhlEEZZNS1_29radix_sort_onesweep_iterationIS3_Lb0EPhS7_N6thrust23THRUST_200600_302600_NS10device_ptrIlEESB_jNS0_19identity_decomposerENS1_16block_id_wrapperIjLb1EEEEE10hipError_tT1_PNSt15iterator_traitsISG_E10value_typeET2_T3_PNSH_ISM_E10value_typeET4_T5_PSR_SS_PNS1_23onesweep_lookback_stateEbbT6_jjT7_P12ihipStream_tbENKUlT_T0_SG_SL_E_clIS7_S7_PlSB_EEDaSZ_S10_SG_SL_EUlSZ_E_NS1_11comp_targetILNS1_3genE8ELNS1_11target_archE1030ELNS1_3gpuE2ELNS1_3repE0EEENS1_47radix_sort_onesweep_sort_config_static_selectorELNS0_4arch9wavefront6targetE1EEEvSG_.kd
    .uniform_work_group_size: 1
    .uses_dynamic_stack: false
    .vgpr_count:     0
    .vgpr_spill_count: 0
    .wavefront_size: 64
  - .agpr_count:     0
    .args:
      - .offset:         0
        .size:           88
        .value_kind:     by_value
    .group_segment_fixed_size: 0
    .kernarg_segment_align: 8
    .kernarg_segment_size: 88
    .language:       OpenCL C
    .language_version:
      - 2
      - 0
    .max_flat_workgroup_size: 1024
    .name:           _ZN7rocprim17ROCPRIM_400000_NS6detail17trampoline_kernelINS0_14default_configENS1_35radix_sort_onesweep_config_selectorIhlEEZZNS1_29radix_sort_onesweep_iterationIS3_Lb0EPhS7_N6thrust23THRUST_200600_302600_NS10device_ptrIlEESB_jNS0_19identity_decomposerENS1_16block_id_wrapperIjLb0EEEEE10hipError_tT1_PNSt15iterator_traitsISG_E10value_typeET2_T3_PNSH_ISM_E10value_typeET4_T5_PSR_SS_PNS1_23onesweep_lookback_stateEbbT6_jjT7_P12ihipStream_tbENKUlT_T0_SG_SL_E_clIS7_S7_SB_SB_EEDaSZ_S10_SG_SL_EUlSZ_E_NS1_11comp_targetILNS1_3genE0ELNS1_11target_archE4294967295ELNS1_3gpuE0ELNS1_3repE0EEENS1_47radix_sort_onesweep_sort_config_static_selectorELNS0_4arch9wavefront6targetE1EEEvSG_
    .private_segment_fixed_size: 0
    .sgpr_count:     4
    .sgpr_spill_count: 0
    .symbol:         _ZN7rocprim17ROCPRIM_400000_NS6detail17trampoline_kernelINS0_14default_configENS1_35radix_sort_onesweep_config_selectorIhlEEZZNS1_29radix_sort_onesweep_iterationIS3_Lb0EPhS7_N6thrust23THRUST_200600_302600_NS10device_ptrIlEESB_jNS0_19identity_decomposerENS1_16block_id_wrapperIjLb0EEEEE10hipError_tT1_PNSt15iterator_traitsISG_E10value_typeET2_T3_PNSH_ISM_E10value_typeET4_T5_PSR_SS_PNS1_23onesweep_lookback_stateEbbT6_jjT7_P12ihipStream_tbENKUlT_T0_SG_SL_E_clIS7_S7_SB_SB_EEDaSZ_S10_SG_SL_EUlSZ_E_NS1_11comp_targetILNS1_3genE0ELNS1_11target_archE4294967295ELNS1_3gpuE0ELNS1_3repE0EEENS1_47radix_sort_onesweep_sort_config_static_selectorELNS0_4arch9wavefront6targetE1EEEvSG_.kd
    .uniform_work_group_size: 1
    .uses_dynamic_stack: false
    .vgpr_count:     0
    .vgpr_spill_count: 0
    .wavefront_size: 64
  - .agpr_count:     0
    .args:
      - .offset:         0
        .size:           88
        .value_kind:     by_value
    .group_segment_fixed_size: 0
    .kernarg_segment_align: 8
    .kernarg_segment_size: 88
    .language:       OpenCL C
    .language_version:
      - 2
      - 0
    .max_flat_workgroup_size: 1024
    .name:           _ZN7rocprim17ROCPRIM_400000_NS6detail17trampoline_kernelINS0_14default_configENS1_35radix_sort_onesweep_config_selectorIhlEEZZNS1_29radix_sort_onesweep_iterationIS3_Lb0EPhS7_N6thrust23THRUST_200600_302600_NS10device_ptrIlEESB_jNS0_19identity_decomposerENS1_16block_id_wrapperIjLb0EEEEE10hipError_tT1_PNSt15iterator_traitsISG_E10value_typeET2_T3_PNSH_ISM_E10value_typeET4_T5_PSR_SS_PNS1_23onesweep_lookback_stateEbbT6_jjT7_P12ihipStream_tbENKUlT_T0_SG_SL_E_clIS7_S7_SB_SB_EEDaSZ_S10_SG_SL_EUlSZ_E_NS1_11comp_targetILNS1_3genE6ELNS1_11target_archE950ELNS1_3gpuE13ELNS1_3repE0EEENS1_47radix_sort_onesweep_sort_config_static_selectorELNS0_4arch9wavefront6targetE1EEEvSG_
    .private_segment_fixed_size: 0
    .sgpr_count:     4
    .sgpr_spill_count: 0
    .symbol:         _ZN7rocprim17ROCPRIM_400000_NS6detail17trampoline_kernelINS0_14default_configENS1_35radix_sort_onesweep_config_selectorIhlEEZZNS1_29radix_sort_onesweep_iterationIS3_Lb0EPhS7_N6thrust23THRUST_200600_302600_NS10device_ptrIlEESB_jNS0_19identity_decomposerENS1_16block_id_wrapperIjLb0EEEEE10hipError_tT1_PNSt15iterator_traitsISG_E10value_typeET2_T3_PNSH_ISM_E10value_typeET4_T5_PSR_SS_PNS1_23onesweep_lookback_stateEbbT6_jjT7_P12ihipStream_tbENKUlT_T0_SG_SL_E_clIS7_S7_SB_SB_EEDaSZ_S10_SG_SL_EUlSZ_E_NS1_11comp_targetILNS1_3genE6ELNS1_11target_archE950ELNS1_3gpuE13ELNS1_3repE0EEENS1_47radix_sort_onesweep_sort_config_static_selectorELNS0_4arch9wavefront6targetE1EEEvSG_.kd
    .uniform_work_group_size: 1
    .uses_dynamic_stack: false
    .vgpr_count:     0
    .vgpr_spill_count: 0
    .wavefront_size: 64
  - .agpr_count:     0
    .args:
      - .offset:         0
        .size:           88
        .value_kind:     by_value
    .group_segment_fixed_size: 0
    .kernarg_segment_align: 8
    .kernarg_segment_size: 88
    .language:       OpenCL C
    .language_version:
      - 2
      - 0
    .max_flat_workgroup_size: 1024
    .name:           _ZN7rocprim17ROCPRIM_400000_NS6detail17trampoline_kernelINS0_14default_configENS1_35radix_sort_onesweep_config_selectorIhlEEZZNS1_29radix_sort_onesweep_iterationIS3_Lb0EPhS7_N6thrust23THRUST_200600_302600_NS10device_ptrIlEESB_jNS0_19identity_decomposerENS1_16block_id_wrapperIjLb0EEEEE10hipError_tT1_PNSt15iterator_traitsISG_E10value_typeET2_T3_PNSH_ISM_E10value_typeET4_T5_PSR_SS_PNS1_23onesweep_lookback_stateEbbT6_jjT7_P12ihipStream_tbENKUlT_T0_SG_SL_E_clIS7_S7_SB_SB_EEDaSZ_S10_SG_SL_EUlSZ_E_NS1_11comp_targetILNS1_3genE5ELNS1_11target_archE942ELNS1_3gpuE9ELNS1_3repE0EEENS1_47radix_sort_onesweep_sort_config_static_selectorELNS0_4arch9wavefront6targetE1EEEvSG_
    .private_segment_fixed_size: 0
    .sgpr_count:     4
    .sgpr_spill_count: 0
    .symbol:         _ZN7rocprim17ROCPRIM_400000_NS6detail17trampoline_kernelINS0_14default_configENS1_35radix_sort_onesweep_config_selectorIhlEEZZNS1_29radix_sort_onesweep_iterationIS3_Lb0EPhS7_N6thrust23THRUST_200600_302600_NS10device_ptrIlEESB_jNS0_19identity_decomposerENS1_16block_id_wrapperIjLb0EEEEE10hipError_tT1_PNSt15iterator_traitsISG_E10value_typeET2_T3_PNSH_ISM_E10value_typeET4_T5_PSR_SS_PNS1_23onesweep_lookback_stateEbbT6_jjT7_P12ihipStream_tbENKUlT_T0_SG_SL_E_clIS7_S7_SB_SB_EEDaSZ_S10_SG_SL_EUlSZ_E_NS1_11comp_targetILNS1_3genE5ELNS1_11target_archE942ELNS1_3gpuE9ELNS1_3repE0EEENS1_47radix_sort_onesweep_sort_config_static_selectorELNS0_4arch9wavefront6targetE1EEEvSG_.kd
    .uniform_work_group_size: 1
    .uses_dynamic_stack: false
    .vgpr_count:     0
    .vgpr_spill_count: 0
    .wavefront_size: 64
  - .agpr_count:     0
    .args:
      - .offset:         0
        .size:           88
        .value_kind:     by_value
    .group_segment_fixed_size: 0
    .kernarg_segment_align: 8
    .kernarg_segment_size: 88
    .language:       OpenCL C
    .language_version:
      - 2
      - 0
    .max_flat_workgroup_size: 512
    .name:           _ZN7rocprim17ROCPRIM_400000_NS6detail17trampoline_kernelINS0_14default_configENS1_35radix_sort_onesweep_config_selectorIhlEEZZNS1_29radix_sort_onesweep_iterationIS3_Lb0EPhS7_N6thrust23THRUST_200600_302600_NS10device_ptrIlEESB_jNS0_19identity_decomposerENS1_16block_id_wrapperIjLb0EEEEE10hipError_tT1_PNSt15iterator_traitsISG_E10value_typeET2_T3_PNSH_ISM_E10value_typeET4_T5_PSR_SS_PNS1_23onesweep_lookback_stateEbbT6_jjT7_P12ihipStream_tbENKUlT_T0_SG_SL_E_clIS7_S7_SB_SB_EEDaSZ_S10_SG_SL_EUlSZ_E_NS1_11comp_targetILNS1_3genE2ELNS1_11target_archE906ELNS1_3gpuE6ELNS1_3repE0EEENS1_47radix_sort_onesweep_sort_config_static_selectorELNS0_4arch9wavefront6targetE1EEEvSG_
    .private_segment_fixed_size: 0
    .sgpr_count:     4
    .sgpr_spill_count: 0
    .symbol:         _ZN7rocprim17ROCPRIM_400000_NS6detail17trampoline_kernelINS0_14default_configENS1_35radix_sort_onesweep_config_selectorIhlEEZZNS1_29radix_sort_onesweep_iterationIS3_Lb0EPhS7_N6thrust23THRUST_200600_302600_NS10device_ptrIlEESB_jNS0_19identity_decomposerENS1_16block_id_wrapperIjLb0EEEEE10hipError_tT1_PNSt15iterator_traitsISG_E10value_typeET2_T3_PNSH_ISM_E10value_typeET4_T5_PSR_SS_PNS1_23onesweep_lookback_stateEbbT6_jjT7_P12ihipStream_tbENKUlT_T0_SG_SL_E_clIS7_S7_SB_SB_EEDaSZ_S10_SG_SL_EUlSZ_E_NS1_11comp_targetILNS1_3genE2ELNS1_11target_archE906ELNS1_3gpuE6ELNS1_3repE0EEENS1_47radix_sort_onesweep_sort_config_static_selectorELNS0_4arch9wavefront6targetE1EEEvSG_.kd
    .uniform_work_group_size: 1
    .uses_dynamic_stack: false
    .vgpr_count:     0
    .vgpr_spill_count: 0
    .wavefront_size: 64
  - .agpr_count:     0
    .args:
      - .offset:         0
        .size:           88
        .value_kind:     by_value
      - .offset:         88
        .size:           4
        .value_kind:     hidden_block_count_x
      - .offset:         92
        .size:           4
        .value_kind:     hidden_block_count_y
      - .offset:         96
        .size:           4
        .value_kind:     hidden_block_count_z
      - .offset:         100
        .size:           2
        .value_kind:     hidden_group_size_x
      - .offset:         102
        .size:           2
        .value_kind:     hidden_group_size_y
      - .offset:         104
        .size:           2
        .value_kind:     hidden_group_size_z
      - .offset:         106
        .size:           2
        .value_kind:     hidden_remainder_x
      - .offset:         108
        .size:           2
        .value_kind:     hidden_remainder_y
      - .offset:         110
        .size:           2
        .value_kind:     hidden_remainder_z
      - .offset:         128
        .size:           8
        .value_kind:     hidden_global_offset_x
      - .offset:         136
        .size:           8
        .value_kind:     hidden_global_offset_y
      - .offset:         144
        .size:           8
        .value_kind:     hidden_global_offset_z
      - .offset:         152
        .size:           2
        .value_kind:     hidden_grid_dims
    .group_segment_fixed_size: 20552
    .kernarg_segment_align: 8
    .kernarg_segment_size: 344
    .language:       OpenCL C
    .language_version:
      - 2
      - 0
    .max_flat_workgroup_size: 1024
    .name:           _ZN7rocprim17ROCPRIM_400000_NS6detail17trampoline_kernelINS0_14default_configENS1_35radix_sort_onesweep_config_selectorIhlEEZZNS1_29radix_sort_onesweep_iterationIS3_Lb0EPhS7_N6thrust23THRUST_200600_302600_NS10device_ptrIlEESB_jNS0_19identity_decomposerENS1_16block_id_wrapperIjLb0EEEEE10hipError_tT1_PNSt15iterator_traitsISG_E10value_typeET2_T3_PNSH_ISM_E10value_typeET4_T5_PSR_SS_PNS1_23onesweep_lookback_stateEbbT6_jjT7_P12ihipStream_tbENKUlT_T0_SG_SL_E_clIS7_S7_SB_SB_EEDaSZ_S10_SG_SL_EUlSZ_E_NS1_11comp_targetILNS1_3genE4ELNS1_11target_archE910ELNS1_3gpuE8ELNS1_3repE0EEENS1_47radix_sort_onesweep_sort_config_static_selectorELNS0_4arch9wavefront6targetE1EEEvSG_
    .private_segment_fixed_size: 0
    .sgpr_count:     57
    .sgpr_spill_count: 0
    .symbol:         _ZN7rocprim17ROCPRIM_400000_NS6detail17trampoline_kernelINS0_14default_configENS1_35radix_sort_onesweep_config_selectorIhlEEZZNS1_29radix_sort_onesweep_iterationIS3_Lb0EPhS7_N6thrust23THRUST_200600_302600_NS10device_ptrIlEESB_jNS0_19identity_decomposerENS1_16block_id_wrapperIjLb0EEEEE10hipError_tT1_PNSt15iterator_traitsISG_E10value_typeET2_T3_PNSH_ISM_E10value_typeET4_T5_PSR_SS_PNS1_23onesweep_lookback_stateEbbT6_jjT7_P12ihipStream_tbENKUlT_T0_SG_SL_E_clIS7_S7_SB_SB_EEDaSZ_S10_SG_SL_EUlSZ_E_NS1_11comp_targetILNS1_3genE4ELNS1_11target_archE910ELNS1_3gpuE8ELNS1_3repE0EEENS1_47radix_sort_onesweep_sort_config_static_selectorELNS0_4arch9wavefront6targetE1EEEvSG_.kd
    .uniform_work_group_size: 1
    .uses_dynamic_stack: false
    .vgpr_count:     55
    .vgpr_spill_count: 0
    .wavefront_size: 64
  - .agpr_count:     0
    .args:
      - .offset:         0
        .size:           88
        .value_kind:     by_value
    .group_segment_fixed_size: 0
    .kernarg_segment_align: 8
    .kernarg_segment_size: 88
    .language:       OpenCL C
    .language_version:
      - 2
      - 0
    .max_flat_workgroup_size: 1024
    .name:           _ZN7rocprim17ROCPRIM_400000_NS6detail17trampoline_kernelINS0_14default_configENS1_35radix_sort_onesweep_config_selectorIhlEEZZNS1_29radix_sort_onesweep_iterationIS3_Lb0EPhS7_N6thrust23THRUST_200600_302600_NS10device_ptrIlEESB_jNS0_19identity_decomposerENS1_16block_id_wrapperIjLb0EEEEE10hipError_tT1_PNSt15iterator_traitsISG_E10value_typeET2_T3_PNSH_ISM_E10value_typeET4_T5_PSR_SS_PNS1_23onesweep_lookback_stateEbbT6_jjT7_P12ihipStream_tbENKUlT_T0_SG_SL_E_clIS7_S7_SB_SB_EEDaSZ_S10_SG_SL_EUlSZ_E_NS1_11comp_targetILNS1_3genE3ELNS1_11target_archE908ELNS1_3gpuE7ELNS1_3repE0EEENS1_47radix_sort_onesweep_sort_config_static_selectorELNS0_4arch9wavefront6targetE1EEEvSG_
    .private_segment_fixed_size: 0
    .sgpr_count:     4
    .sgpr_spill_count: 0
    .symbol:         _ZN7rocprim17ROCPRIM_400000_NS6detail17trampoline_kernelINS0_14default_configENS1_35radix_sort_onesweep_config_selectorIhlEEZZNS1_29radix_sort_onesweep_iterationIS3_Lb0EPhS7_N6thrust23THRUST_200600_302600_NS10device_ptrIlEESB_jNS0_19identity_decomposerENS1_16block_id_wrapperIjLb0EEEEE10hipError_tT1_PNSt15iterator_traitsISG_E10value_typeET2_T3_PNSH_ISM_E10value_typeET4_T5_PSR_SS_PNS1_23onesweep_lookback_stateEbbT6_jjT7_P12ihipStream_tbENKUlT_T0_SG_SL_E_clIS7_S7_SB_SB_EEDaSZ_S10_SG_SL_EUlSZ_E_NS1_11comp_targetILNS1_3genE3ELNS1_11target_archE908ELNS1_3gpuE7ELNS1_3repE0EEENS1_47radix_sort_onesweep_sort_config_static_selectorELNS0_4arch9wavefront6targetE1EEEvSG_.kd
    .uniform_work_group_size: 1
    .uses_dynamic_stack: false
    .vgpr_count:     0
    .vgpr_spill_count: 0
    .wavefront_size: 64
  - .agpr_count:     0
    .args:
      - .offset:         0
        .size:           88
        .value_kind:     by_value
    .group_segment_fixed_size: 0
    .kernarg_segment_align: 8
    .kernarg_segment_size: 88
    .language:       OpenCL C
    .language_version:
      - 2
      - 0
    .max_flat_workgroup_size: 1024
    .name:           _ZN7rocprim17ROCPRIM_400000_NS6detail17trampoline_kernelINS0_14default_configENS1_35radix_sort_onesweep_config_selectorIhlEEZZNS1_29radix_sort_onesweep_iterationIS3_Lb0EPhS7_N6thrust23THRUST_200600_302600_NS10device_ptrIlEESB_jNS0_19identity_decomposerENS1_16block_id_wrapperIjLb0EEEEE10hipError_tT1_PNSt15iterator_traitsISG_E10value_typeET2_T3_PNSH_ISM_E10value_typeET4_T5_PSR_SS_PNS1_23onesweep_lookback_stateEbbT6_jjT7_P12ihipStream_tbENKUlT_T0_SG_SL_E_clIS7_S7_SB_SB_EEDaSZ_S10_SG_SL_EUlSZ_E_NS1_11comp_targetILNS1_3genE10ELNS1_11target_archE1201ELNS1_3gpuE5ELNS1_3repE0EEENS1_47radix_sort_onesweep_sort_config_static_selectorELNS0_4arch9wavefront6targetE1EEEvSG_
    .private_segment_fixed_size: 0
    .sgpr_count:     4
    .sgpr_spill_count: 0
    .symbol:         _ZN7rocprim17ROCPRIM_400000_NS6detail17trampoline_kernelINS0_14default_configENS1_35radix_sort_onesweep_config_selectorIhlEEZZNS1_29radix_sort_onesweep_iterationIS3_Lb0EPhS7_N6thrust23THRUST_200600_302600_NS10device_ptrIlEESB_jNS0_19identity_decomposerENS1_16block_id_wrapperIjLb0EEEEE10hipError_tT1_PNSt15iterator_traitsISG_E10value_typeET2_T3_PNSH_ISM_E10value_typeET4_T5_PSR_SS_PNS1_23onesweep_lookback_stateEbbT6_jjT7_P12ihipStream_tbENKUlT_T0_SG_SL_E_clIS7_S7_SB_SB_EEDaSZ_S10_SG_SL_EUlSZ_E_NS1_11comp_targetILNS1_3genE10ELNS1_11target_archE1201ELNS1_3gpuE5ELNS1_3repE0EEENS1_47radix_sort_onesweep_sort_config_static_selectorELNS0_4arch9wavefront6targetE1EEEvSG_.kd
    .uniform_work_group_size: 1
    .uses_dynamic_stack: false
    .vgpr_count:     0
    .vgpr_spill_count: 0
    .wavefront_size: 64
  - .agpr_count:     0
    .args:
      - .offset:         0
        .size:           88
        .value_kind:     by_value
    .group_segment_fixed_size: 0
    .kernarg_segment_align: 8
    .kernarg_segment_size: 88
    .language:       OpenCL C
    .language_version:
      - 2
      - 0
    .max_flat_workgroup_size: 1024
    .name:           _ZN7rocprim17ROCPRIM_400000_NS6detail17trampoline_kernelINS0_14default_configENS1_35radix_sort_onesweep_config_selectorIhlEEZZNS1_29radix_sort_onesweep_iterationIS3_Lb0EPhS7_N6thrust23THRUST_200600_302600_NS10device_ptrIlEESB_jNS0_19identity_decomposerENS1_16block_id_wrapperIjLb0EEEEE10hipError_tT1_PNSt15iterator_traitsISG_E10value_typeET2_T3_PNSH_ISM_E10value_typeET4_T5_PSR_SS_PNS1_23onesweep_lookback_stateEbbT6_jjT7_P12ihipStream_tbENKUlT_T0_SG_SL_E_clIS7_S7_SB_SB_EEDaSZ_S10_SG_SL_EUlSZ_E_NS1_11comp_targetILNS1_3genE9ELNS1_11target_archE1100ELNS1_3gpuE3ELNS1_3repE0EEENS1_47radix_sort_onesweep_sort_config_static_selectorELNS0_4arch9wavefront6targetE1EEEvSG_
    .private_segment_fixed_size: 0
    .sgpr_count:     4
    .sgpr_spill_count: 0
    .symbol:         _ZN7rocprim17ROCPRIM_400000_NS6detail17trampoline_kernelINS0_14default_configENS1_35radix_sort_onesweep_config_selectorIhlEEZZNS1_29radix_sort_onesweep_iterationIS3_Lb0EPhS7_N6thrust23THRUST_200600_302600_NS10device_ptrIlEESB_jNS0_19identity_decomposerENS1_16block_id_wrapperIjLb0EEEEE10hipError_tT1_PNSt15iterator_traitsISG_E10value_typeET2_T3_PNSH_ISM_E10value_typeET4_T5_PSR_SS_PNS1_23onesweep_lookback_stateEbbT6_jjT7_P12ihipStream_tbENKUlT_T0_SG_SL_E_clIS7_S7_SB_SB_EEDaSZ_S10_SG_SL_EUlSZ_E_NS1_11comp_targetILNS1_3genE9ELNS1_11target_archE1100ELNS1_3gpuE3ELNS1_3repE0EEENS1_47radix_sort_onesweep_sort_config_static_selectorELNS0_4arch9wavefront6targetE1EEEvSG_.kd
    .uniform_work_group_size: 1
    .uses_dynamic_stack: false
    .vgpr_count:     0
    .vgpr_spill_count: 0
    .wavefront_size: 64
  - .agpr_count:     0
    .args:
      - .offset:         0
        .size:           88
        .value_kind:     by_value
    .group_segment_fixed_size: 0
    .kernarg_segment_align: 8
    .kernarg_segment_size: 88
    .language:       OpenCL C
    .language_version:
      - 2
      - 0
    .max_flat_workgroup_size: 1024
    .name:           _ZN7rocprim17ROCPRIM_400000_NS6detail17trampoline_kernelINS0_14default_configENS1_35radix_sort_onesweep_config_selectorIhlEEZZNS1_29radix_sort_onesweep_iterationIS3_Lb0EPhS7_N6thrust23THRUST_200600_302600_NS10device_ptrIlEESB_jNS0_19identity_decomposerENS1_16block_id_wrapperIjLb0EEEEE10hipError_tT1_PNSt15iterator_traitsISG_E10value_typeET2_T3_PNSH_ISM_E10value_typeET4_T5_PSR_SS_PNS1_23onesweep_lookback_stateEbbT6_jjT7_P12ihipStream_tbENKUlT_T0_SG_SL_E_clIS7_S7_SB_SB_EEDaSZ_S10_SG_SL_EUlSZ_E_NS1_11comp_targetILNS1_3genE8ELNS1_11target_archE1030ELNS1_3gpuE2ELNS1_3repE0EEENS1_47radix_sort_onesweep_sort_config_static_selectorELNS0_4arch9wavefront6targetE1EEEvSG_
    .private_segment_fixed_size: 0
    .sgpr_count:     4
    .sgpr_spill_count: 0
    .symbol:         _ZN7rocprim17ROCPRIM_400000_NS6detail17trampoline_kernelINS0_14default_configENS1_35radix_sort_onesweep_config_selectorIhlEEZZNS1_29radix_sort_onesweep_iterationIS3_Lb0EPhS7_N6thrust23THRUST_200600_302600_NS10device_ptrIlEESB_jNS0_19identity_decomposerENS1_16block_id_wrapperIjLb0EEEEE10hipError_tT1_PNSt15iterator_traitsISG_E10value_typeET2_T3_PNSH_ISM_E10value_typeET4_T5_PSR_SS_PNS1_23onesweep_lookback_stateEbbT6_jjT7_P12ihipStream_tbENKUlT_T0_SG_SL_E_clIS7_S7_SB_SB_EEDaSZ_S10_SG_SL_EUlSZ_E_NS1_11comp_targetILNS1_3genE8ELNS1_11target_archE1030ELNS1_3gpuE2ELNS1_3repE0EEENS1_47radix_sort_onesweep_sort_config_static_selectorELNS0_4arch9wavefront6targetE1EEEvSG_.kd
    .uniform_work_group_size: 1
    .uses_dynamic_stack: false
    .vgpr_count:     0
    .vgpr_spill_count: 0
    .wavefront_size: 64
  - .agpr_count:     0
    .args:
      - .offset:         0
        .size:           88
        .value_kind:     by_value
    .group_segment_fixed_size: 0
    .kernarg_segment_align: 8
    .kernarg_segment_size: 88
    .language:       OpenCL C
    .language_version:
      - 2
      - 0
    .max_flat_workgroup_size: 1024
    .name:           _ZN7rocprim17ROCPRIM_400000_NS6detail17trampoline_kernelINS0_14default_configENS1_35radix_sort_onesweep_config_selectorIhlEEZZNS1_29radix_sort_onesweep_iterationIS3_Lb0EPhS7_N6thrust23THRUST_200600_302600_NS10device_ptrIlEESB_jNS0_19identity_decomposerENS1_16block_id_wrapperIjLb0EEEEE10hipError_tT1_PNSt15iterator_traitsISG_E10value_typeET2_T3_PNSH_ISM_E10value_typeET4_T5_PSR_SS_PNS1_23onesweep_lookback_stateEbbT6_jjT7_P12ihipStream_tbENKUlT_T0_SG_SL_E_clIS7_S7_SB_PlEEDaSZ_S10_SG_SL_EUlSZ_E_NS1_11comp_targetILNS1_3genE0ELNS1_11target_archE4294967295ELNS1_3gpuE0ELNS1_3repE0EEENS1_47radix_sort_onesweep_sort_config_static_selectorELNS0_4arch9wavefront6targetE1EEEvSG_
    .private_segment_fixed_size: 0
    .sgpr_count:     4
    .sgpr_spill_count: 0
    .symbol:         _ZN7rocprim17ROCPRIM_400000_NS6detail17trampoline_kernelINS0_14default_configENS1_35radix_sort_onesweep_config_selectorIhlEEZZNS1_29radix_sort_onesweep_iterationIS3_Lb0EPhS7_N6thrust23THRUST_200600_302600_NS10device_ptrIlEESB_jNS0_19identity_decomposerENS1_16block_id_wrapperIjLb0EEEEE10hipError_tT1_PNSt15iterator_traitsISG_E10value_typeET2_T3_PNSH_ISM_E10value_typeET4_T5_PSR_SS_PNS1_23onesweep_lookback_stateEbbT6_jjT7_P12ihipStream_tbENKUlT_T0_SG_SL_E_clIS7_S7_SB_PlEEDaSZ_S10_SG_SL_EUlSZ_E_NS1_11comp_targetILNS1_3genE0ELNS1_11target_archE4294967295ELNS1_3gpuE0ELNS1_3repE0EEENS1_47radix_sort_onesweep_sort_config_static_selectorELNS0_4arch9wavefront6targetE1EEEvSG_.kd
    .uniform_work_group_size: 1
    .uses_dynamic_stack: false
    .vgpr_count:     0
    .vgpr_spill_count: 0
    .wavefront_size: 64
  - .agpr_count:     0
    .args:
      - .offset:         0
        .size:           88
        .value_kind:     by_value
    .group_segment_fixed_size: 0
    .kernarg_segment_align: 8
    .kernarg_segment_size: 88
    .language:       OpenCL C
    .language_version:
      - 2
      - 0
    .max_flat_workgroup_size: 1024
    .name:           _ZN7rocprim17ROCPRIM_400000_NS6detail17trampoline_kernelINS0_14default_configENS1_35radix_sort_onesweep_config_selectorIhlEEZZNS1_29radix_sort_onesweep_iterationIS3_Lb0EPhS7_N6thrust23THRUST_200600_302600_NS10device_ptrIlEESB_jNS0_19identity_decomposerENS1_16block_id_wrapperIjLb0EEEEE10hipError_tT1_PNSt15iterator_traitsISG_E10value_typeET2_T3_PNSH_ISM_E10value_typeET4_T5_PSR_SS_PNS1_23onesweep_lookback_stateEbbT6_jjT7_P12ihipStream_tbENKUlT_T0_SG_SL_E_clIS7_S7_SB_PlEEDaSZ_S10_SG_SL_EUlSZ_E_NS1_11comp_targetILNS1_3genE6ELNS1_11target_archE950ELNS1_3gpuE13ELNS1_3repE0EEENS1_47radix_sort_onesweep_sort_config_static_selectorELNS0_4arch9wavefront6targetE1EEEvSG_
    .private_segment_fixed_size: 0
    .sgpr_count:     4
    .sgpr_spill_count: 0
    .symbol:         _ZN7rocprim17ROCPRIM_400000_NS6detail17trampoline_kernelINS0_14default_configENS1_35radix_sort_onesweep_config_selectorIhlEEZZNS1_29radix_sort_onesweep_iterationIS3_Lb0EPhS7_N6thrust23THRUST_200600_302600_NS10device_ptrIlEESB_jNS0_19identity_decomposerENS1_16block_id_wrapperIjLb0EEEEE10hipError_tT1_PNSt15iterator_traitsISG_E10value_typeET2_T3_PNSH_ISM_E10value_typeET4_T5_PSR_SS_PNS1_23onesweep_lookback_stateEbbT6_jjT7_P12ihipStream_tbENKUlT_T0_SG_SL_E_clIS7_S7_SB_PlEEDaSZ_S10_SG_SL_EUlSZ_E_NS1_11comp_targetILNS1_3genE6ELNS1_11target_archE950ELNS1_3gpuE13ELNS1_3repE0EEENS1_47radix_sort_onesweep_sort_config_static_selectorELNS0_4arch9wavefront6targetE1EEEvSG_.kd
    .uniform_work_group_size: 1
    .uses_dynamic_stack: false
    .vgpr_count:     0
    .vgpr_spill_count: 0
    .wavefront_size: 64
  - .agpr_count:     0
    .args:
      - .offset:         0
        .size:           88
        .value_kind:     by_value
    .group_segment_fixed_size: 0
    .kernarg_segment_align: 8
    .kernarg_segment_size: 88
    .language:       OpenCL C
    .language_version:
      - 2
      - 0
    .max_flat_workgroup_size: 1024
    .name:           _ZN7rocprim17ROCPRIM_400000_NS6detail17trampoline_kernelINS0_14default_configENS1_35radix_sort_onesweep_config_selectorIhlEEZZNS1_29radix_sort_onesweep_iterationIS3_Lb0EPhS7_N6thrust23THRUST_200600_302600_NS10device_ptrIlEESB_jNS0_19identity_decomposerENS1_16block_id_wrapperIjLb0EEEEE10hipError_tT1_PNSt15iterator_traitsISG_E10value_typeET2_T3_PNSH_ISM_E10value_typeET4_T5_PSR_SS_PNS1_23onesweep_lookback_stateEbbT6_jjT7_P12ihipStream_tbENKUlT_T0_SG_SL_E_clIS7_S7_SB_PlEEDaSZ_S10_SG_SL_EUlSZ_E_NS1_11comp_targetILNS1_3genE5ELNS1_11target_archE942ELNS1_3gpuE9ELNS1_3repE0EEENS1_47radix_sort_onesweep_sort_config_static_selectorELNS0_4arch9wavefront6targetE1EEEvSG_
    .private_segment_fixed_size: 0
    .sgpr_count:     4
    .sgpr_spill_count: 0
    .symbol:         _ZN7rocprim17ROCPRIM_400000_NS6detail17trampoline_kernelINS0_14default_configENS1_35radix_sort_onesweep_config_selectorIhlEEZZNS1_29radix_sort_onesweep_iterationIS3_Lb0EPhS7_N6thrust23THRUST_200600_302600_NS10device_ptrIlEESB_jNS0_19identity_decomposerENS1_16block_id_wrapperIjLb0EEEEE10hipError_tT1_PNSt15iterator_traitsISG_E10value_typeET2_T3_PNSH_ISM_E10value_typeET4_T5_PSR_SS_PNS1_23onesweep_lookback_stateEbbT6_jjT7_P12ihipStream_tbENKUlT_T0_SG_SL_E_clIS7_S7_SB_PlEEDaSZ_S10_SG_SL_EUlSZ_E_NS1_11comp_targetILNS1_3genE5ELNS1_11target_archE942ELNS1_3gpuE9ELNS1_3repE0EEENS1_47radix_sort_onesweep_sort_config_static_selectorELNS0_4arch9wavefront6targetE1EEEvSG_.kd
    .uniform_work_group_size: 1
    .uses_dynamic_stack: false
    .vgpr_count:     0
    .vgpr_spill_count: 0
    .wavefront_size: 64
  - .agpr_count:     0
    .args:
      - .offset:         0
        .size:           88
        .value_kind:     by_value
    .group_segment_fixed_size: 0
    .kernarg_segment_align: 8
    .kernarg_segment_size: 88
    .language:       OpenCL C
    .language_version:
      - 2
      - 0
    .max_flat_workgroup_size: 512
    .name:           _ZN7rocprim17ROCPRIM_400000_NS6detail17trampoline_kernelINS0_14default_configENS1_35radix_sort_onesweep_config_selectorIhlEEZZNS1_29radix_sort_onesweep_iterationIS3_Lb0EPhS7_N6thrust23THRUST_200600_302600_NS10device_ptrIlEESB_jNS0_19identity_decomposerENS1_16block_id_wrapperIjLb0EEEEE10hipError_tT1_PNSt15iterator_traitsISG_E10value_typeET2_T3_PNSH_ISM_E10value_typeET4_T5_PSR_SS_PNS1_23onesweep_lookback_stateEbbT6_jjT7_P12ihipStream_tbENKUlT_T0_SG_SL_E_clIS7_S7_SB_PlEEDaSZ_S10_SG_SL_EUlSZ_E_NS1_11comp_targetILNS1_3genE2ELNS1_11target_archE906ELNS1_3gpuE6ELNS1_3repE0EEENS1_47radix_sort_onesweep_sort_config_static_selectorELNS0_4arch9wavefront6targetE1EEEvSG_
    .private_segment_fixed_size: 0
    .sgpr_count:     4
    .sgpr_spill_count: 0
    .symbol:         _ZN7rocprim17ROCPRIM_400000_NS6detail17trampoline_kernelINS0_14default_configENS1_35radix_sort_onesweep_config_selectorIhlEEZZNS1_29radix_sort_onesweep_iterationIS3_Lb0EPhS7_N6thrust23THRUST_200600_302600_NS10device_ptrIlEESB_jNS0_19identity_decomposerENS1_16block_id_wrapperIjLb0EEEEE10hipError_tT1_PNSt15iterator_traitsISG_E10value_typeET2_T3_PNSH_ISM_E10value_typeET4_T5_PSR_SS_PNS1_23onesweep_lookback_stateEbbT6_jjT7_P12ihipStream_tbENKUlT_T0_SG_SL_E_clIS7_S7_SB_PlEEDaSZ_S10_SG_SL_EUlSZ_E_NS1_11comp_targetILNS1_3genE2ELNS1_11target_archE906ELNS1_3gpuE6ELNS1_3repE0EEENS1_47radix_sort_onesweep_sort_config_static_selectorELNS0_4arch9wavefront6targetE1EEEvSG_.kd
    .uniform_work_group_size: 1
    .uses_dynamic_stack: false
    .vgpr_count:     0
    .vgpr_spill_count: 0
    .wavefront_size: 64
  - .agpr_count:     0
    .args:
      - .offset:         0
        .size:           88
        .value_kind:     by_value
      - .offset:         88
        .size:           4
        .value_kind:     hidden_block_count_x
      - .offset:         92
        .size:           4
        .value_kind:     hidden_block_count_y
      - .offset:         96
        .size:           4
        .value_kind:     hidden_block_count_z
      - .offset:         100
        .size:           2
        .value_kind:     hidden_group_size_x
      - .offset:         102
        .size:           2
        .value_kind:     hidden_group_size_y
      - .offset:         104
        .size:           2
        .value_kind:     hidden_group_size_z
      - .offset:         106
        .size:           2
        .value_kind:     hidden_remainder_x
      - .offset:         108
        .size:           2
        .value_kind:     hidden_remainder_y
      - .offset:         110
        .size:           2
        .value_kind:     hidden_remainder_z
      - .offset:         128
        .size:           8
        .value_kind:     hidden_global_offset_x
      - .offset:         136
        .size:           8
        .value_kind:     hidden_global_offset_y
      - .offset:         144
        .size:           8
        .value_kind:     hidden_global_offset_z
      - .offset:         152
        .size:           2
        .value_kind:     hidden_grid_dims
    .group_segment_fixed_size: 20552
    .kernarg_segment_align: 8
    .kernarg_segment_size: 344
    .language:       OpenCL C
    .language_version:
      - 2
      - 0
    .max_flat_workgroup_size: 1024
    .name:           _ZN7rocprim17ROCPRIM_400000_NS6detail17trampoline_kernelINS0_14default_configENS1_35radix_sort_onesweep_config_selectorIhlEEZZNS1_29radix_sort_onesweep_iterationIS3_Lb0EPhS7_N6thrust23THRUST_200600_302600_NS10device_ptrIlEESB_jNS0_19identity_decomposerENS1_16block_id_wrapperIjLb0EEEEE10hipError_tT1_PNSt15iterator_traitsISG_E10value_typeET2_T3_PNSH_ISM_E10value_typeET4_T5_PSR_SS_PNS1_23onesweep_lookback_stateEbbT6_jjT7_P12ihipStream_tbENKUlT_T0_SG_SL_E_clIS7_S7_SB_PlEEDaSZ_S10_SG_SL_EUlSZ_E_NS1_11comp_targetILNS1_3genE4ELNS1_11target_archE910ELNS1_3gpuE8ELNS1_3repE0EEENS1_47radix_sort_onesweep_sort_config_static_selectorELNS0_4arch9wavefront6targetE1EEEvSG_
    .private_segment_fixed_size: 0
    .sgpr_count:     57
    .sgpr_spill_count: 0
    .symbol:         _ZN7rocprim17ROCPRIM_400000_NS6detail17trampoline_kernelINS0_14default_configENS1_35radix_sort_onesweep_config_selectorIhlEEZZNS1_29radix_sort_onesweep_iterationIS3_Lb0EPhS7_N6thrust23THRUST_200600_302600_NS10device_ptrIlEESB_jNS0_19identity_decomposerENS1_16block_id_wrapperIjLb0EEEEE10hipError_tT1_PNSt15iterator_traitsISG_E10value_typeET2_T3_PNSH_ISM_E10value_typeET4_T5_PSR_SS_PNS1_23onesweep_lookback_stateEbbT6_jjT7_P12ihipStream_tbENKUlT_T0_SG_SL_E_clIS7_S7_SB_PlEEDaSZ_S10_SG_SL_EUlSZ_E_NS1_11comp_targetILNS1_3genE4ELNS1_11target_archE910ELNS1_3gpuE8ELNS1_3repE0EEENS1_47radix_sort_onesweep_sort_config_static_selectorELNS0_4arch9wavefront6targetE1EEEvSG_.kd
    .uniform_work_group_size: 1
    .uses_dynamic_stack: false
    .vgpr_count:     55
    .vgpr_spill_count: 0
    .wavefront_size: 64
  - .agpr_count:     0
    .args:
      - .offset:         0
        .size:           88
        .value_kind:     by_value
    .group_segment_fixed_size: 0
    .kernarg_segment_align: 8
    .kernarg_segment_size: 88
    .language:       OpenCL C
    .language_version:
      - 2
      - 0
    .max_flat_workgroup_size: 1024
    .name:           _ZN7rocprim17ROCPRIM_400000_NS6detail17trampoline_kernelINS0_14default_configENS1_35radix_sort_onesweep_config_selectorIhlEEZZNS1_29radix_sort_onesweep_iterationIS3_Lb0EPhS7_N6thrust23THRUST_200600_302600_NS10device_ptrIlEESB_jNS0_19identity_decomposerENS1_16block_id_wrapperIjLb0EEEEE10hipError_tT1_PNSt15iterator_traitsISG_E10value_typeET2_T3_PNSH_ISM_E10value_typeET4_T5_PSR_SS_PNS1_23onesweep_lookback_stateEbbT6_jjT7_P12ihipStream_tbENKUlT_T0_SG_SL_E_clIS7_S7_SB_PlEEDaSZ_S10_SG_SL_EUlSZ_E_NS1_11comp_targetILNS1_3genE3ELNS1_11target_archE908ELNS1_3gpuE7ELNS1_3repE0EEENS1_47radix_sort_onesweep_sort_config_static_selectorELNS0_4arch9wavefront6targetE1EEEvSG_
    .private_segment_fixed_size: 0
    .sgpr_count:     4
    .sgpr_spill_count: 0
    .symbol:         _ZN7rocprim17ROCPRIM_400000_NS6detail17trampoline_kernelINS0_14default_configENS1_35radix_sort_onesweep_config_selectorIhlEEZZNS1_29radix_sort_onesweep_iterationIS3_Lb0EPhS7_N6thrust23THRUST_200600_302600_NS10device_ptrIlEESB_jNS0_19identity_decomposerENS1_16block_id_wrapperIjLb0EEEEE10hipError_tT1_PNSt15iterator_traitsISG_E10value_typeET2_T3_PNSH_ISM_E10value_typeET4_T5_PSR_SS_PNS1_23onesweep_lookback_stateEbbT6_jjT7_P12ihipStream_tbENKUlT_T0_SG_SL_E_clIS7_S7_SB_PlEEDaSZ_S10_SG_SL_EUlSZ_E_NS1_11comp_targetILNS1_3genE3ELNS1_11target_archE908ELNS1_3gpuE7ELNS1_3repE0EEENS1_47radix_sort_onesweep_sort_config_static_selectorELNS0_4arch9wavefront6targetE1EEEvSG_.kd
    .uniform_work_group_size: 1
    .uses_dynamic_stack: false
    .vgpr_count:     0
    .vgpr_spill_count: 0
    .wavefront_size: 64
  - .agpr_count:     0
    .args:
      - .offset:         0
        .size:           88
        .value_kind:     by_value
    .group_segment_fixed_size: 0
    .kernarg_segment_align: 8
    .kernarg_segment_size: 88
    .language:       OpenCL C
    .language_version:
      - 2
      - 0
    .max_flat_workgroup_size: 1024
    .name:           _ZN7rocprim17ROCPRIM_400000_NS6detail17trampoline_kernelINS0_14default_configENS1_35radix_sort_onesweep_config_selectorIhlEEZZNS1_29radix_sort_onesweep_iterationIS3_Lb0EPhS7_N6thrust23THRUST_200600_302600_NS10device_ptrIlEESB_jNS0_19identity_decomposerENS1_16block_id_wrapperIjLb0EEEEE10hipError_tT1_PNSt15iterator_traitsISG_E10value_typeET2_T3_PNSH_ISM_E10value_typeET4_T5_PSR_SS_PNS1_23onesweep_lookback_stateEbbT6_jjT7_P12ihipStream_tbENKUlT_T0_SG_SL_E_clIS7_S7_SB_PlEEDaSZ_S10_SG_SL_EUlSZ_E_NS1_11comp_targetILNS1_3genE10ELNS1_11target_archE1201ELNS1_3gpuE5ELNS1_3repE0EEENS1_47radix_sort_onesweep_sort_config_static_selectorELNS0_4arch9wavefront6targetE1EEEvSG_
    .private_segment_fixed_size: 0
    .sgpr_count:     4
    .sgpr_spill_count: 0
    .symbol:         _ZN7rocprim17ROCPRIM_400000_NS6detail17trampoline_kernelINS0_14default_configENS1_35radix_sort_onesweep_config_selectorIhlEEZZNS1_29radix_sort_onesweep_iterationIS3_Lb0EPhS7_N6thrust23THRUST_200600_302600_NS10device_ptrIlEESB_jNS0_19identity_decomposerENS1_16block_id_wrapperIjLb0EEEEE10hipError_tT1_PNSt15iterator_traitsISG_E10value_typeET2_T3_PNSH_ISM_E10value_typeET4_T5_PSR_SS_PNS1_23onesweep_lookback_stateEbbT6_jjT7_P12ihipStream_tbENKUlT_T0_SG_SL_E_clIS7_S7_SB_PlEEDaSZ_S10_SG_SL_EUlSZ_E_NS1_11comp_targetILNS1_3genE10ELNS1_11target_archE1201ELNS1_3gpuE5ELNS1_3repE0EEENS1_47radix_sort_onesweep_sort_config_static_selectorELNS0_4arch9wavefront6targetE1EEEvSG_.kd
    .uniform_work_group_size: 1
    .uses_dynamic_stack: false
    .vgpr_count:     0
    .vgpr_spill_count: 0
    .wavefront_size: 64
  - .agpr_count:     0
    .args:
      - .offset:         0
        .size:           88
        .value_kind:     by_value
    .group_segment_fixed_size: 0
    .kernarg_segment_align: 8
    .kernarg_segment_size: 88
    .language:       OpenCL C
    .language_version:
      - 2
      - 0
    .max_flat_workgroup_size: 1024
    .name:           _ZN7rocprim17ROCPRIM_400000_NS6detail17trampoline_kernelINS0_14default_configENS1_35radix_sort_onesweep_config_selectorIhlEEZZNS1_29radix_sort_onesweep_iterationIS3_Lb0EPhS7_N6thrust23THRUST_200600_302600_NS10device_ptrIlEESB_jNS0_19identity_decomposerENS1_16block_id_wrapperIjLb0EEEEE10hipError_tT1_PNSt15iterator_traitsISG_E10value_typeET2_T3_PNSH_ISM_E10value_typeET4_T5_PSR_SS_PNS1_23onesweep_lookback_stateEbbT6_jjT7_P12ihipStream_tbENKUlT_T0_SG_SL_E_clIS7_S7_SB_PlEEDaSZ_S10_SG_SL_EUlSZ_E_NS1_11comp_targetILNS1_3genE9ELNS1_11target_archE1100ELNS1_3gpuE3ELNS1_3repE0EEENS1_47radix_sort_onesweep_sort_config_static_selectorELNS0_4arch9wavefront6targetE1EEEvSG_
    .private_segment_fixed_size: 0
    .sgpr_count:     4
    .sgpr_spill_count: 0
    .symbol:         _ZN7rocprim17ROCPRIM_400000_NS6detail17trampoline_kernelINS0_14default_configENS1_35radix_sort_onesweep_config_selectorIhlEEZZNS1_29radix_sort_onesweep_iterationIS3_Lb0EPhS7_N6thrust23THRUST_200600_302600_NS10device_ptrIlEESB_jNS0_19identity_decomposerENS1_16block_id_wrapperIjLb0EEEEE10hipError_tT1_PNSt15iterator_traitsISG_E10value_typeET2_T3_PNSH_ISM_E10value_typeET4_T5_PSR_SS_PNS1_23onesweep_lookback_stateEbbT6_jjT7_P12ihipStream_tbENKUlT_T0_SG_SL_E_clIS7_S7_SB_PlEEDaSZ_S10_SG_SL_EUlSZ_E_NS1_11comp_targetILNS1_3genE9ELNS1_11target_archE1100ELNS1_3gpuE3ELNS1_3repE0EEENS1_47radix_sort_onesweep_sort_config_static_selectorELNS0_4arch9wavefront6targetE1EEEvSG_.kd
    .uniform_work_group_size: 1
    .uses_dynamic_stack: false
    .vgpr_count:     0
    .vgpr_spill_count: 0
    .wavefront_size: 64
  - .agpr_count:     0
    .args:
      - .offset:         0
        .size:           88
        .value_kind:     by_value
    .group_segment_fixed_size: 0
    .kernarg_segment_align: 8
    .kernarg_segment_size: 88
    .language:       OpenCL C
    .language_version:
      - 2
      - 0
    .max_flat_workgroup_size: 1024
    .name:           _ZN7rocprim17ROCPRIM_400000_NS6detail17trampoline_kernelINS0_14default_configENS1_35radix_sort_onesweep_config_selectorIhlEEZZNS1_29radix_sort_onesweep_iterationIS3_Lb0EPhS7_N6thrust23THRUST_200600_302600_NS10device_ptrIlEESB_jNS0_19identity_decomposerENS1_16block_id_wrapperIjLb0EEEEE10hipError_tT1_PNSt15iterator_traitsISG_E10value_typeET2_T3_PNSH_ISM_E10value_typeET4_T5_PSR_SS_PNS1_23onesweep_lookback_stateEbbT6_jjT7_P12ihipStream_tbENKUlT_T0_SG_SL_E_clIS7_S7_SB_PlEEDaSZ_S10_SG_SL_EUlSZ_E_NS1_11comp_targetILNS1_3genE8ELNS1_11target_archE1030ELNS1_3gpuE2ELNS1_3repE0EEENS1_47radix_sort_onesweep_sort_config_static_selectorELNS0_4arch9wavefront6targetE1EEEvSG_
    .private_segment_fixed_size: 0
    .sgpr_count:     4
    .sgpr_spill_count: 0
    .symbol:         _ZN7rocprim17ROCPRIM_400000_NS6detail17trampoline_kernelINS0_14default_configENS1_35radix_sort_onesweep_config_selectorIhlEEZZNS1_29radix_sort_onesweep_iterationIS3_Lb0EPhS7_N6thrust23THRUST_200600_302600_NS10device_ptrIlEESB_jNS0_19identity_decomposerENS1_16block_id_wrapperIjLb0EEEEE10hipError_tT1_PNSt15iterator_traitsISG_E10value_typeET2_T3_PNSH_ISM_E10value_typeET4_T5_PSR_SS_PNS1_23onesweep_lookback_stateEbbT6_jjT7_P12ihipStream_tbENKUlT_T0_SG_SL_E_clIS7_S7_SB_PlEEDaSZ_S10_SG_SL_EUlSZ_E_NS1_11comp_targetILNS1_3genE8ELNS1_11target_archE1030ELNS1_3gpuE2ELNS1_3repE0EEENS1_47radix_sort_onesweep_sort_config_static_selectorELNS0_4arch9wavefront6targetE1EEEvSG_.kd
    .uniform_work_group_size: 1
    .uses_dynamic_stack: false
    .vgpr_count:     0
    .vgpr_spill_count: 0
    .wavefront_size: 64
  - .agpr_count:     0
    .args:
      - .offset:         0
        .size:           88
        .value_kind:     by_value
    .group_segment_fixed_size: 0
    .kernarg_segment_align: 8
    .kernarg_segment_size: 88
    .language:       OpenCL C
    .language_version:
      - 2
      - 0
    .max_flat_workgroup_size: 1024
    .name:           _ZN7rocprim17ROCPRIM_400000_NS6detail17trampoline_kernelINS0_14default_configENS1_35radix_sort_onesweep_config_selectorIhlEEZZNS1_29radix_sort_onesweep_iterationIS3_Lb0EPhS7_N6thrust23THRUST_200600_302600_NS10device_ptrIlEESB_jNS0_19identity_decomposerENS1_16block_id_wrapperIjLb0EEEEE10hipError_tT1_PNSt15iterator_traitsISG_E10value_typeET2_T3_PNSH_ISM_E10value_typeET4_T5_PSR_SS_PNS1_23onesweep_lookback_stateEbbT6_jjT7_P12ihipStream_tbENKUlT_T0_SG_SL_E_clIS7_S7_PlSB_EEDaSZ_S10_SG_SL_EUlSZ_E_NS1_11comp_targetILNS1_3genE0ELNS1_11target_archE4294967295ELNS1_3gpuE0ELNS1_3repE0EEENS1_47radix_sort_onesweep_sort_config_static_selectorELNS0_4arch9wavefront6targetE1EEEvSG_
    .private_segment_fixed_size: 0
    .sgpr_count:     4
    .sgpr_spill_count: 0
    .symbol:         _ZN7rocprim17ROCPRIM_400000_NS6detail17trampoline_kernelINS0_14default_configENS1_35radix_sort_onesweep_config_selectorIhlEEZZNS1_29radix_sort_onesweep_iterationIS3_Lb0EPhS7_N6thrust23THRUST_200600_302600_NS10device_ptrIlEESB_jNS0_19identity_decomposerENS1_16block_id_wrapperIjLb0EEEEE10hipError_tT1_PNSt15iterator_traitsISG_E10value_typeET2_T3_PNSH_ISM_E10value_typeET4_T5_PSR_SS_PNS1_23onesweep_lookback_stateEbbT6_jjT7_P12ihipStream_tbENKUlT_T0_SG_SL_E_clIS7_S7_PlSB_EEDaSZ_S10_SG_SL_EUlSZ_E_NS1_11comp_targetILNS1_3genE0ELNS1_11target_archE4294967295ELNS1_3gpuE0ELNS1_3repE0EEENS1_47radix_sort_onesweep_sort_config_static_selectorELNS0_4arch9wavefront6targetE1EEEvSG_.kd
    .uniform_work_group_size: 1
    .uses_dynamic_stack: false
    .vgpr_count:     0
    .vgpr_spill_count: 0
    .wavefront_size: 64
  - .agpr_count:     0
    .args:
      - .offset:         0
        .size:           88
        .value_kind:     by_value
    .group_segment_fixed_size: 0
    .kernarg_segment_align: 8
    .kernarg_segment_size: 88
    .language:       OpenCL C
    .language_version:
      - 2
      - 0
    .max_flat_workgroup_size: 1024
    .name:           _ZN7rocprim17ROCPRIM_400000_NS6detail17trampoline_kernelINS0_14default_configENS1_35radix_sort_onesweep_config_selectorIhlEEZZNS1_29radix_sort_onesweep_iterationIS3_Lb0EPhS7_N6thrust23THRUST_200600_302600_NS10device_ptrIlEESB_jNS0_19identity_decomposerENS1_16block_id_wrapperIjLb0EEEEE10hipError_tT1_PNSt15iterator_traitsISG_E10value_typeET2_T3_PNSH_ISM_E10value_typeET4_T5_PSR_SS_PNS1_23onesweep_lookback_stateEbbT6_jjT7_P12ihipStream_tbENKUlT_T0_SG_SL_E_clIS7_S7_PlSB_EEDaSZ_S10_SG_SL_EUlSZ_E_NS1_11comp_targetILNS1_3genE6ELNS1_11target_archE950ELNS1_3gpuE13ELNS1_3repE0EEENS1_47radix_sort_onesweep_sort_config_static_selectorELNS0_4arch9wavefront6targetE1EEEvSG_
    .private_segment_fixed_size: 0
    .sgpr_count:     4
    .sgpr_spill_count: 0
    .symbol:         _ZN7rocprim17ROCPRIM_400000_NS6detail17trampoline_kernelINS0_14default_configENS1_35radix_sort_onesweep_config_selectorIhlEEZZNS1_29radix_sort_onesweep_iterationIS3_Lb0EPhS7_N6thrust23THRUST_200600_302600_NS10device_ptrIlEESB_jNS0_19identity_decomposerENS1_16block_id_wrapperIjLb0EEEEE10hipError_tT1_PNSt15iterator_traitsISG_E10value_typeET2_T3_PNSH_ISM_E10value_typeET4_T5_PSR_SS_PNS1_23onesweep_lookback_stateEbbT6_jjT7_P12ihipStream_tbENKUlT_T0_SG_SL_E_clIS7_S7_PlSB_EEDaSZ_S10_SG_SL_EUlSZ_E_NS1_11comp_targetILNS1_3genE6ELNS1_11target_archE950ELNS1_3gpuE13ELNS1_3repE0EEENS1_47radix_sort_onesweep_sort_config_static_selectorELNS0_4arch9wavefront6targetE1EEEvSG_.kd
    .uniform_work_group_size: 1
    .uses_dynamic_stack: false
    .vgpr_count:     0
    .vgpr_spill_count: 0
    .wavefront_size: 64
  - .agpr_count:     0
    .args:
      - .offset:         0
        .size:           88
        .value_kind:     by_value
    .group_segment_fixed_size: 0
    .kernarg_segment_align: 8
    .kernarg_segment_size: 88
    .language:       OpenCL C
    .language_version:
      - 2
      - 0
    .max_flat_workgroup_size: 1024
    .name:           _ZN7rocprim17ROCPRIM_400000_NS6detail17trampoline_kernelINS0_14default_configENS1_35radix_sort_onesweep_config_selectorIhlEEZZNS1_29radix_sort_onesweep_iterationIS3_Lb0EPhS7_N6thrust23THRUST_200600_302600_NS10device_ptrIlEESB_jNS0_19identity_decomposerENS1_16block_id_wrapperIjLb0EEEEE10hipError_tT1_PNSt15iterator_traitsISG_E10value_typeET2_T3_PNSH_ISM_E10value_typeET4_T5_PSR_SS_PNS1_23onesweep_lookback_stateEbbT6_jjT7_P12ihipStream_tbENKUlT_T0_SG_SL_E_clIS7_S7_PlSB_EEDaSZ_S10_SG_SL_EUlSZ_E_NS1_11comp_targetILNS1_3genE5ELNS1_11target_archE942ELNS1_3gpuE9ELNS1_3repE0EEENS1_47radix_sort_onesweep_sort_config_static_selectorELNS0_4arch9wavefront6targetE1EEEvSG_
    .private_segment_fixed_size: 0
    .sgpr_count:     4
    .sgpr_spill_count: 0
    .symbol:         _ZN7rocprim17ROCPRIM_400000_NS6detail17trampoline_kernelINS0_14default_configENS1_35radix_sort_onesweep_config_selectorIhlEEZZNS1_29radix_sort_onesweep_iterationIS3_Lb0EPhS7_N6thrust23THRUST_200600_302600_NS10device_ptrIlEESB_jNS0_19identity_decomposerENS1_16block_id_wrapperIjLb0EEEEE10hipError_tT1_PNSt15iterator_traitsISG_E10value_typeET2_T3_PNSH_ISM_E10value_typeET4_T5_PSR_SS_PNS1_23onesweep_lookback_stateEbbT6_jjT7_P12ihipStream_tbENKUlT_T0_SG_SL_E_clIS7_S7_PlSB_EEDaSZ_S10_SG_SL_EUlSZ_E_NS1_11comp_targetILNS1_3genE5ELNS1_11target_archE942ELNS1_3gpuE9ELNS1_3repE0EEENS1_47radix_sort_onesweep_sort_config_static_selectorELNS0_4arch9wavefront6targetE1EEEvSG_.kd
    .uniform_work_group_size: 1
    .uses_dynamic_stack: false
    .vgpr_count:     0
    .vgpr_spill_count: 0
    .wavefront_size: 64
  - .agpr_count:     0
    .args:
      - .offset:         0
        .size:           88
        .value_kind:     by_value
    .group_segment_fixed_size: 0
    .kernarg_segment_align: 8
    .kernarg_segment_size: 88
    .language:       OpenCL C
    .language_version:
      - 2
      - 0
    .max_flat_workgroup_size: 512
    .name:           _ZN7rocprim17ROCPRIM_400000_NS6detail17trampoline_kernelINS0_14default_configENS1_35radix_sort_onesweep_config_selectorIhlEEZZNS1_29radix_sort_onesweep_iterationIS3_Lb0EPhS7_N6thrust23THRUST_200600_302600_NS10device_ptrIlEESB_jNS0_19identity_decomposerENS1_16block_id_wrapperIjLb0EEEEE10hipError_tT1_PNSt15iterator_traitsISG_E10value_typeET2_T3_PNSH_ISM_E10value_typeET4_T5_PSR_SS_PNS1_23onesweep_lookback_stateEbbT6_jjT7_P12ihipStream_tbENKUlT_T0_SG_SL_E_clIS7_S7_PlSB_EEDaSZ_S10_SG_SL_EUlSZ_E_NS1_11comp_targetILNS1_3genE2ELNS1_11target_archE906ELNS1_3gpuE6ELNS1_3repE0EEENS1_47radix_sort_onesweep_sort_config_static_selectorELNS0_4arch9wavefront6targetE1EEEvSG_
    .private_segment_fixed_size: 0
    .sgpr_count:     4
    .sgpr_spill_count: 0
    .symbol:         _ZN7rocprim17ROCPRIM_400000_NS6detail17trampoline_kernelINS0_14default_configENS1_35radix_sort_onesweep_config_selectorIhlEEZZNS1_29radix_sort_onesweep_iterationIS3_Lb0EPhS7_N6thrust23THRUST_200600_302600_NS10device_ptrIlEESB_jNS0_19identity_decomposerENS1_16block_id_wrapperIjLb0EEEEE10hipError_tT1_PNSt15iterator_traitsISG_E10value_typeET2_T3_PNSH_ISM_E10value_typeET4_T5_PSR_SS_PNS1_23onesweep_lookback_stateEbbT6_jjT7_P12ihipStream_tbENKUlT_T0_SG_SL_E_clIS7_S7_PlSB_EEDaSZ_S10_SG_SL_EUlSZ_E_NS1_11comp_targetILNS1_3genE2ELNS1_11target_archE906ELNS1_3gpuE6ELNS1_3repE0EEENS1_47radix_sort_onesweep_sort_config_static_selectorELNS0_4arch9wavefront6targetE1EEEvSG_.kd
    .uniform_work_group_size: 1
    .uses_dynamic_stack: false
    .vgpr_count:     0
    .vgpr_spill_count: 0
    .wavefront_size: 64
  - .agpr_count:     0
    .args:
      - .offset:         0
        .size:           88
        .value_kind:     by_value
      - .offset:         88
        .size:           4
        .value_kind:     hidden_block_count_x
      - .offset:         92
        .size:           4
        .value_kind:     hidden_block_count_y
      - .offset:         96
        .size:           4
        .value_kind:     hidden_block_count_z
      - .offset:         100
        .size:           2
        .value_kind:     hidden_group_size_x
      - .offset:         102
        .size:           2
        .value_kind:     hidden_group_size_y
      - .offset:         104
        .size:           2
        .value_kind:     hidden_group_size_z
      - .offset:         106
        .size:           2
        .value_kind:     hidden_remainder_x
      - .offset:         108
        .size:           2
        .value_kind:     hidden_remainder_y
      - .offset:         110
        .size:           2
        .value_kind:     hidden_remainder_z
      - .offset:         128
        .size:           8
        .value_kind:     hidden_global_offset_x
      - .offset:         136
        .size:           8
        .value_kind:     hidden_global_offset_y
      - .offset:         144
        .size:           8
        .value_kind:     hidden_global_offset_z
      - .offset:         152
        .size:           2
        .value_kind:     hidden_grid_dims
    .group_segment_fixed_size: 20552
    .kernarg_segment_align: 8
    .kernarg_segment_size: 344
    .language:       OpenCL C
    .language_version:
      - 2
      - 0
    .max_flat_workgroup_size: 1024
    .name:           _ZN7rocprim17ROCPRIM_400000_NS6detail17trampoline_kernelINS0_14default_configENS1_35radix_sort_onesweep_config_selectorIhlEEZZNS1_29radix_sort_onesweep_iterationIS3_Lb0EPhS7_N6thrust23THRUST_200600_302600_NS10device_ptrIlEESB_jNS0_19identity_decomposerENS1_16block_id_wrapperIjLb0EEEEE10hipError_tT1_PNSt15iterator_traitsISG_E10value_typeET2_T3_PNSH_ISM_E10value_typeET4_T5_PSR_SS_PNS1_23onesweep_lookback_stateEbbT6_jjT7_P12ihipStream_tbENKUlT_T0_SG_SL_E_clIS7_S7_PlSB_EEDaSZ_S10_SG_SL_EUlSZ_E_NS1_11comp_targetILNS1_3genE4ELNS1_11target_archE910ELNS1_3gpuE8ELNS1_3repE0EEENS1_47radix_sort_onesweep_sort_config_static_selectorELNS0_4arch9wavefront6targetE1EEEvSG_
    .private_segment_fixed_size: 0
    .sgpr_count:     57
    .sgpr_spill_count: 0
    .symbol:         _ZN7rocprim17ROCPRIM_400000_NS6detail17trampoline_kernelINS0_14default_configENS1_35radix_sort_onesweep_config_selectorIhlEEZZNS1_29radix_sort_onesweep_iterationIS3_Lb0EPhS7_N6thrust23THRUST_200600_302600_NS10device_ptrIlEESB_jNS0_19identity_decomposerENS1_16block_id_wrapperIjLb0EEEEE10hipError_tT1_PNSt15iterator_traitsISG_E10value_typeET2_T3_PNSH_ISM_E10value_typeET4_T5_PSR_SS_PNS1_23onesweep_lookback_stateEbbT6_jjT7_P12ihipStream_tbENKUlT_T0_SG_SL_E_clIS7_S7_PlSB_EEDaSZ_S10_SG_SL_EUlSZ_E_NS1_11comp_targetILNS1_3genE4ELNS1_11target_archE910ELNS1_3gpuE8ELNS1_3repE0EEENS1_47radix_sort_onesweep_sort_config_static_selectorELNS0_4arch9wavefront6targetE1EEEvSG_.kd
    .uniform_work_group_size: 1
    .uses_dynamic_stack: false
    .vgpr_count:     55
    .vgpr_spill_count: 0
    .wavefront_size: 64
  - .agpr_count:     0
    .args:
      - .offset:         0
        .size:           88
        .value_kind:     by_value
    .group_segment_fixed_size: 0
    .kernarg_segment_align: 8
    .kernarg_segment_size: 88
    .language:       OpenCL C
    .language_version:
      - 2
      - 0
    .max_flat_workgroup_size: 1024
    .name:           _ZN7rocprim17ROCPRIM_400000_NS6detail17trampoline_kernelINS0_14default_configENS1_35radix_sort_onesweep_config_selectorIhlEEZZNS1_29radix_sort_onesweep_iterationIS3_Lb0EPhS7_N6thrust23THRUST_200600_302600_NS10device_ptrIlEESB_jNS0_19identity_decomposerENS1_16block_id_wrapperIjLb0EEEEE10hipError_tT1_PNSt15iterator_traitsISG_E10value_typeET2_T3_PNSH_ISM_E10value_typeET4_T5_PSR_SS_PNS1_23onesweep_lookback_stateEbbT6_jjT7_P12ihipStream_tbENKUlT_T0_SG_SL_E_clIS7_S7_PlSB_EEDaSZ_S10_SG_SL_EUlSZ_E_NS1_11comp_targetILNS1_3genE3ELNS1_11target_archE908ELNS1_3gpuE7ELNS1_3repE0EEENS1_47radix_sort_onesweep_sort_config_static_selectorELNS0_4arch9wavefront6targetE1EEEvSG_
    .private_segment_fixed_size: 0
    .sgpr_count:     4
    .sgpr_spill_count: 0
    .symbol:         _ZN7rocprim17ROCPRIM_400000_NS6detail17trampoline_kernelINS0_14default_configENS1_35radix_sort_onesweep_config_selectorIhlEEZZNS1_29radix_sort_onesweep_iterationIS3_Lb0EPhS7_N6thrust23THRUST_200600_302600_NS10device_ptrIlEESB_jNS0_19identity_decomposerENS1_16block_id_wrapperIjLb0EEEEE10hipError_tT1_PNSt15iterator_traitsISG_E10value_typeET2_T3_PNSH_ISM_E10value_typeET4_T5_PSR_SS_PNS1_23onesweep_lookback_stateEbbT6_jjT7_P12ihipStream_tbENKUlT_T0_SG_SL_E_clIS7_S7_PlSB_EEDaSZ_S10_SG_SL_EUlSZ_E_NS1_11comp_targetILNS1_3genE3ELNS1_11target_archE908ELNS1_3gpuE7ELNS1_3repE0EEENS1_47radix_sort_onesweep_sort_config_static_selectorELNS0_4arch9wavefront6targetE1EEEvSG_.kd
    .uniform_work_group_size: 1
    .uses_dynamic_stack: false
    .vgpr_count:     0
    .vgpr_spill_count: 0
    .wavefront_size: 64
  - .agpr_count:     0
    .args:
      - .offset:         0
        .size:           88
        .value_kind:     by_value
    .group_segment_fixed_size: 0
    .kernarg_segment_align: 8
    .kernarg_segment_size: 88
    .language:       OpenCL C
    .language_version:
      - 2
      - 0
    .max_flat_workgroup_size: 1024
    .name:           _ZN7rocprim17ROCPRIM_400000_NS6detail17trampoline_kernelINS0_14default_configENS1_35radix_sort_onesweep_config_selectorIhlEEZZNS1_29radix_sort_onesweep_iterationIS3_Lb0EPhS7_N6thrust23THRUST_200600_302600_NS10device_ptrIlEESB_jNS0_19identity_decomposerENS1_16block_id_wrapperIjLb0EEEEE10hipError_tT1_PNSt15iterator_traitsISG_E10value_typeET2_T3_PNSH_ISM_E10value_typeET4_T5_PSR_SS_PNS1_23onesweep_lookback_stateEbbT6_jjT7_P12ihipStream_tbENKUlT_T0_SG_SL_E_clIS7_S7_PlSB_EEDaSZ_S10_SG_SL_EUlSZ_E_NS1_11comp_targetILNS1_3genE10ELNS1_11target_archE1201ELNS1_3gpuE5ELNS1_3repE0EEENS1_47radix_sort_onesweep_sort_config_static_selectorELNS0_4arch9wavefront6targetE1EEEvSG_
    .private_segment_fixed_size: 0
    .sgpr_count:     4
    .sgpr_spill_count: 0
    .symbol:         _ZN7rocprim17ROCPRIM_400000_NS6detail17trampoline_kernelINS0_14default_configENS1_35radix_sort_onesweep_config_selectorIhlEEZZNS1_29radix_sort_onesweep_iterationIS3_Lb0EPhS7_N6thrust23THRUST_200600_302600_NS10device_ptrIlEESB_jNS0_19identity_decomposerENS1_16block_id_wrapperIjLb0EEEEE10hipError_tT1_PNSt15iterator_traitsISG_E10value_typeET2_T3_PNSH_ISM_E10value_typeET4_T5_PSR_SS_PNS1_23onesweep_lookback_stateEbbT6_jjT7_P12ihipStream_tbENKUlT_T0_SG_SL_E_clIS7_S7_PlSB_EEDaSZ_S10_SG_SL_EUlSZ_E_NS1_11comp_targetILNS1_3genE10ELNS1_11target_archE1201ELNS1_3gpuE5ELNS1_3repE0EEENS1_47radix_sort_onesweep_sort_config_static_selectorELNS0_4arch9wavefront6targetE1EEEvSG_.kd
    .uniform_work_group_size: 1
    .uses_dynamic_stack: false
    .vgpr_count:     0
    .vgpr_spill_count: 0
    .wavefront_size: 64
  - .agpr_count:     0
    .args:
      - .offset:         0
        .size:           88
        .value_kind:     by_value
    .group_segment_fixed_size: 0
    .kernarg_segment_align: 8
    .kernarg_segment_size: 88
    .language:       OpenCL C
    .language_version:
      - 2
      - 0
    .max_flat_workgroup_size: 1024
    .name:           _ZN7rocprim17ROCPRIM_400000_NS6detail17trampoline_kernelINS0_14default_configENS1_35radix_sort_onesweep_config_selectorIhlEEZZNS1_29radix_sort_onesweep_iterationIS3_Lb0EPhS7_N6thrust23THRUST_200600_302600_NS10device_ptrIlEESB_jNS0_19identity_decomposerENS1_16block_id_wrapperIjLb0EEEEE10hipError_tT1_PNSt15iterator_traitsISG_E10value_typeET2_T3_PNSH_ISM_E10value_typeET4_T5_PSR_SS_PNS1_23onesweep_lookback_stateEbbT6_jjT7_P12ihipStream_tbENKUlT_T0_SG_SL_E_clIS7_S7_PlSB_EEDaSZ_S10_SG_SL_EUlSZ_E_NS1_11comp_targetILNS1_3genE9ELNS1_11target_archE1100ELNS1_3gpuE3ELNS1_3repE0EEENS1_47radix_sort_onesweep_sort_config_static_selectorELNS0_4arch9wavefront6targetE1EEEvSG_
    .private_segment_fixed_size: 0
    .sgpr_count:     4
    .sgpr_spill_count: 0
    .symbol:         _ZN7rocprim17ROCPRIM_400000_NS6detail17trampoline_kernelINS0_14default_configENS1_35radix_sort_onesweep_config_selectorIhlEEZZNS1_29radix_sort_onesweep_iterationIS3_Lb0EPhS7_N6thrust23THRUST_200600_302600_NS10device_ptrIlEESB_jNS0_19identity_decomposerENS1_16block_id_wrapperIjLb0EEEEE10hipError_tT1_PNSt15iterator_traitsISG_E10value_typeET2_T3_PNSH_ISM_E10value_typeET4_T5_PSR_SS_PNS1_23onesweep_lookback_stateEbbT6_jjT7_P12ihipStream_tbENKUlT_T0_SG_SL_E_clIS7_S7_PlSB_EEDaSZ_S10_SG_SL_EUlSZ_E_NS1_11comp_targetILNS1_3genE9ELNS1_11target_archE1100ELNS1_3gpuE3ELNS1_3repE0EEENS1_47radix_sort_onesweep_sort_config_static_selectorELNS0_4arch9wavefront6targetE1EEEvSG_.kd
    .uniform_work_group_size: 1
    .uses_dynamic_stack: false
    .vgpr_count:     0
    .vgpr_spill_count: 0
    .wavefront_size: 64
  - .agpr_count:     0
    .args:
      - .offset:         0
        .size:           88
        .value_kind:     by_value
    .group_segment_fixed_size: 0
    .kernarg_segment_align: 8
    .kernarg_segment_size: 88
    .language:       OpenCL C
    .language_version:
      - 2
      - 0
    .max_flat_workgroup_size: 1024
    .name:           _ZN7rocprim17ROCPRIM_400000_NS6detail17trampoline_kernelINS0_14default_configENS1_35radix_sort_onesweep_config_selectorIhlEEZZNS1_29radix_sort_onesweep_iterationIS3_Lb0EPhS7_N6thrust23THRUST_200600_302600_NS10device_ptrIlEESB_jNS0_19identity_decomposerENS1_16block_id_wrapperIjLb0EEEEE10hipError_tT1_PNSt15iterator_traitsISG_E10value_typeET2_T3_PNSH_ISM_E10value_typeET4_T5_PSR_SS_PNS1_23onesweep_lookback_stateEbbT6_jjT7_P12ihipStream_tbENKUlT_T0_SG_SL_E_clIS7_S7_PlSB_EEDaSZ_S10_SG_SL_EUlSZ_E_NS1_11comp_targetILNS1_3genE8ELNS1_11target_archE1030ELNS1_3gpuE2ELNS1_3repE0EEENS1_47radix_sort_onesweep_sort_config_static_selectorELNS0_4arch9wavefront6targetE1EEEvSG_
    .private_segment_fixed_size: 0
    .sgpr_count:     4
    .sgpr_spill_count: 0
    .symbol:         _ZN7rocprim17ROCPRIM_400000_NS6detail17trampoline_kernelINS0_14default_configENS1_35radix_sort_onesweep_config_selectorIhlEEZZNS1_29radix_sort_onesweep_iterationIS3_Lb0EPhS7_N6thrust23THRUST_200600_302600_NS10device_ptrIlEESB_jNS0_19identity_decomposerENS1_16block_id_wrapperIjLb0EEEEE10hipError_tT1_PNSt15iterator_traitsISG_E10value_typeET2_T3_PNSH_ISM_E10value_typeET4_T5_PSR_SS_PNS1_23onesweep_lookback_stateEbbT6_jjT7_P12ihipStream_tbENKUlT_T0_SG_SL_E_clIS7_S7_PlSB_EEDaSZ_S10_SG_SL_EUlSZ_E_NS1_11comp_targetILNS1_3genE8ELNS1_11target_archE1030ELNS1_3gpuE2ELNS1_3repE0EEENS1_47radix_sort_onesweep_sort_config_static_selectorELNS0_4arch9wavefront6targetE1EEEvSG_.kd
    .uniform_work_group_size: 1
    .uses_dynamic_stack: false
    .vgpr_count:     0
    .vgpr_spill_count: 0
    .wavefront_size: 64
  - .agpr_count:     0
    .args:
      - .offset:         0
        .size:           56
        .value_kind:     by_value
    .group_segment_fixed_size: 0
    .kernarg_segment_align: 8
    .kernarg_segment_size: 56
    .language:       OpenCL C
    .language_version:
      - 2
      - 0
    .max_flat_workgroup_size: 256
    .name:           _ZN7rocprim17ROCPRIM_400000_NS6detail17trampoline_kernelINS0_14default_configENS1_22reduce_config_selectorIiEEZNS1_11reduce_implILb1ES3_PiS7_iN6thrust23THRUST_200600_302600_NS4plusIiEEEE10hipError_tPvRmT1_T2_T3_mT4_P12ihipStream_tbEUlT_E0_NS1_11comp_targetILNS1_3genE0ELNS1_11target_archE4294967295ELNS1_3gpuE0ELNS1_3repE0EEENS1_30default_config_static_selectorELNS0_4arch9wavefront6targetE1EEEvSF_
    .private_segment_fixed_size: 0
    .sgpr_count:     4
    .sgpr_spill_count: 0
    .symbol:         _ZN7rocprim17ROCPRIM_400000_NS6detail17trampoline_kernelINS0_14default_configENS1_22reduce_config_selectorIiEEZNS1_11reduce_implILb1ES3_PiS7_iN6thrust23THRUST_200600_302600_NS4plusIiEEEE10hipError_tPvRmT1_T2_T3_mT4_P12ihipStream_tbEUlT_E0_NS1_11comp_targetILNS1_3genE0ELNS1_11target_archE4294967295ELNS1_3gpuE0ELNS1_3repE0EEENS1_30default_config_static_selectorELNS0_4arch9wavefront6targetE1EEEvSF_.kd
    .uniform_work_group_size: 1
    .uses_dynamic_stack: false
    .vgpr_count:     0
    .vgpr_spill_count: 0
    .wavefront_size: 64
  - .agpr_count:     0
    .args:
      - .offset:         0
        .size:           56
        .value_kind:     by_value
    .group_segment_fixed_size: 0
    .kernarg_segment_align: 8
    .kernarg_segment_size: 56
    .language:       OpenCL C
    .language_version:
      - 2
      - 0
    .max_flat_workgroup_size: 256
    .name:           _ZN7rocprim17ROCPRIM_400000_NS6detail17trampoline_kernelINS0_14default_configENS1_22reduce_config_selectorIiEEZNS1_11reduce_implILb1ES3_PiS7_iN6thrust23THRUST_200600_302600_NS4plusIiEEEE10hipError_tPvRmT1_T2_T3_mT4_P12ihipStream_tbEUlT_E0_NS1_11comp_targetILNS1_3genE5ELNS1_11target_archE942ELNS1_3gpuE9ELNS1_3repE0EEENS1_30default_config_static_selectorELNS0_4arch9wavefront6targetE1EEEvSF_
    .private_segment_fixed_size: 0
    .sgpr_count:     4
    .sgpr_spill_count: 0
    .symbol:         _ZN7rocprim17ROCPRIM_400000_NS6detail17trampoline_kernelINS0_14default_configENS1_22reduce_config_selectorIiEEZNS1_11reduce_implILb1ES3_PiS7_iN6thrust23THRUST_200600_302600_NS4plusIiEEEE10hipError_tPvRmT1_T2_T3_mT4_P12ihipStream_tbEUlT_E0_NS1_11comp_targetILNS1_3genE5ELNS1_11target_archE942ELNS1_3gpuE9ELNS1_3repE0EEENS1_30default_config_static_selectorELNS0_4arch9wavefront6targetE1EEEvSF_.kd
    .uniform_work_group_size: 1
    .uses_dynamic_stack: false
    .vgpr_count:     0
    .vgpr_spill_count: 0
    .wavefront_size: 64
  - .agpr_count:     0
    .args:
      - .offset:         0
        .size:           56
        .value_kind:     by_value
    .group_segment_fixed_size: 16
    .kernarg_segment_align: 8
    .kernarg_segment_size: 56
    .language:       OpenCL C
    .language_version:
      - 2
      - 0
    .max_flat_workgroup_size: 128
    .name:           _ZN7rocprim17ROCPRIM_400000_NS6detail17trampoline_kernelINS0_14default_configENS1_22reduce_config_selectorIiEEZNS1_11reduce_implILb1ES3_PiS7_iN6thrust23THRUST_200600_302600_NS4plusIiEEEE10hipError_tPvRmT1_T2_T3_mT4_P12ihipStream_tbEUlT_E0_NS1_11comp_targetILNS1_3genE4ELNS1_11target_archE910ELNS1_3gpuE8ELNS1_3repE0EEENS1_30default_config_static_selectorELNS0_4arch9wavefront6targetE1EEEvSF_
    .private_segment_fixed_size: 0
    .sgpr_count:     32
    .sgpr_spill_count: 0
    .symbol:         _ZN7rocprim17ROCPRIM_400000_NS6detail17trampoline_kernelINS0_14default_configENS1_22reduce_config_selectorIiEEZNS1_11reduce_implILb1ES3_PiS7_iN6thrust23THRUST_200600_302600_NS4plusIiEEEE10hipError_tPvRmT1_T2_T3_mT4_P12ihipStream_tbEUlT_E0_NS1_11comp_targetILNS1_3genE4ELNS1_11target_archE910ELNS1_3gpuE8ELNS1_3repE0EEENS1_30default_config_static_selectorELNS0_4arch9wavefront6targetE1EEEvSF_.kd
    .uniform_work_group_size: 1
    .uses_dynamic_stack: false
    .vgpr_count:     13
    .vgpr_spill_count: 0
    .wavefront_size: 64
  - .agpr_count:     0
    .args:
      - .offset:         0
        .size:           56
        .value_kind:     by_value
    .group_segment_fixed_size: 0
    .kernarg_segment_align: 8
    .kernarg_segment_size: 56
    .language:       OpenCL C
    .language_version:
      - 2
      - 0
    .max_flat_workgroup_size: 256
    .name:           _ZN7rocprim17ROCPRIM_400000_NS6detail17trampoline_kernelINS0_14default_configENS1_22reduce_config_selectorIiEEZNS1_11reduce_implILb1ES3_PiS7_iN6thrust23THRUST_200600_302600_NS4plusIiEEEE10hipError_tPvRmT1_T2_T3_mT4_P12ihipStream_tbEUlT_E0_NS1_11comp_targetILNS1_3genE3ELNS1_11target_archE908ELNS1_3gpuE7ELNS1_3repE0EEENS1_30default_config_static_selectorELNS0_4arch9wavefront6targetE1EEEvSF_
    .private_segment_fixed_size: 0
    .sgpr_count:     4
    .sgpr_spill_count: 0
    .symbol:         _ZN7rocprim17ROCPRIM_400000_NS6detail17trampoline_kernelINS0_14default_configENS1_22reduce_config_selectorIiEEZNS1_11reduce_implILb1ES3_PiS7_iN6thrust23THRUST_200600_302600_NS4plusIiEEEE10hipError_tPvRmT1_T2_T3_mT4_P12ihipStream_tbEUlT_E0_NS1_11comp_targetILNS1_3genE3ELNS1_11target_archE908ELNS1_3gpuE7ELNS1_3repE0EEENS1_30default_config_static_selectorELNS0_4arch9wavefront6targetE1EEEvSF_.kd
    .uniform_work_group_size: 1
    .uses_dynamic_stack: false
    .vgpr_count:     0
    .vgpr_spill_count: 0
    .wavefront_size: 64
  - .agpr_count:     0
    .args:
      - .offset:         0
        .size:           56
        .value_kind:     by_value
    .group_segment_fixed_size: 0
    .kernarg_segment_align: 8
    .kernarg_segment_size: 56
    .language:       OpenCL C
    .language_version:
      - 2
      - 0
    .max_flat_workgroup_size: 256
    .name:           _ZN7rocprim17ROCPRIM_400000_NS6detail17trampoline_kernelINS0_14default_configENS1_22reduce_config_selectorIiEEZNS1_11reduce_implILb1ES3_PiS7_iN6thrust23THRUST_200600_302600_NS4plusIiEEEE10hipError_tPvRmT1_T2_T3_mT4_P12ihipStream_tbEUlT_E0_NS1_11comp_targetILNS1_3genE2ELNS1_11target_archE906ELNS1_3gpuE6ELNS1_3repE0EEENS1_30default_config_static_selectorELNS0_4arch9wavefront6targetE1EEEvSF_
    .private_segment_fixed_size: 0
    .sgpr_count:     4
    .sgpr_spill_count: 0
    .symbol:         _ZN7rocprim17ROCPRIM_400000_NS6detail17trampoline_kernelINS0_14default_configENS1_22reduce_config_selectorIiEEZNS1_11reduce_implILb1ES3_PiS7_iN6thrust23THRUST_200600_302600_NS4plusIiEEEE10hipError_tPvRmT1_T2_T3_mT4_P12ihipStream_tbEUlT_E0_NS1_11comp_targetILNS1_3genE2ELNS1_11target_archE906ELNS1_3gpuE6ELNS1_3repE0EEENS1_30default_config_static_selectorELNS0_4arch9wavefront6targetE1EEEvSF_.kd
    .uniform_work_group_size: 1
    .uses_dynamic_stack: false
    .vgpr_count:     0
    .vgpr_spill_count: 0
    .wavefront_size: 64
  - .agpr_count:     0
    .args:
      - .offset:         0
        .size:           56
        .value_kind:     by_value
    .group_segment_fixed_size: 0
    .kernarg_segment_align: 8
    .kernarg_segment_size: 56
    .language:       OpenCL C
    .language_version:
      - 2
      - 0
    .max_flat_workgroup_size: 256
    .name:           _ZN7rocprim17ROCPRIM_400000_NS6detail17trampoline_kernelINS0_14default_configENS1_22reduce_config_selectorIiEEZNS1_11reduce_implILb1ES3_PiS7_iN6thrust23THRUST_200600_302600_NS4plusIiEEEE10hipError_tPvRmT1_T2_T3_mT4_P12ihipStream_tbEUlT_E0_NS1_11comp_targetILNS1_3genE10ELNS1_11target_archE1201ELNS1_3gpuE5ELNS1_3repE0EEENS1_30default_config_static_selectorELNS0_4arch9wavefront6targetE1EEEvSF_
    .private_segment_fixed_size: 0
    .sgpr_count:     4
    .sgpr_spill_count: 0
    .symbol:         _ZN7rocprim17ROCPRIM_400000_NS6detail17trampoline_kernelINS0_14default_configENS1_22reduce_config_selectorIiEEZNS1_11reduce_implILb1ES3_PiS7_iN6thrust23THRUST_200600_302600_NS4plusIiEEEE10hipError_tPvRmT1_T2_T3_mT4_P12ihipStream_tbEUlT_E0_NS1_11comp_targetILNS1_3genE10ELNS1_11target_archE1201ELNS1_3gpuE5ELNS1_3repE0EEENS1_30default_config_static_selectorELNS0_4arch9wavefront6targetE1EEEvSF_.kd
    .uniform_work_group_size: 1
    .uses_dynamic_stack: false
    .vgpr_count:     0
    .vgpr_spill_count: 0
    .wavefront_size: 64
  - .agpr_count:     0
    .args:
      - .offset:         0
        .size:           56
        .value_kind:     by_value
    .group_segment_fixed_size: 0
    .kernarg_segment_align: 8
    .kernarg_segment_size: 56
    .language:       OpenCL C
    .language_version:
      - 2
      - 0
    .max_flat_workgroup_size: 256
    .name:           _ZN7rocprim17ROCPRIM_400000_NS6detail17trampoline_kernelINS0_14default_configENS1_22reduce_config_selectorIiEEZNS1_11reduce_implILb1ES3_PiS7_iN6thrust23THRUST_200600_302600_NS4plusIiEEEE10hipError_tPvRmT1_T2_T3_mT4_P12ihipStream_tbEUlT_E0_NS1_11comp_targetILNS1_3genE10ELNS1_11target_archE1200ELNS1_3gpuE4ELNS1_3repE0EEENS1_30default_config_static_selectorELNS0_4arch9wavefront6targetE1EEEvSF_
    .private_segment_fixed_size: 0
    .sgpr_count:     4
    .sgpr_spill_count: 0
    .symbol:         _ZN7rocprim17ROCPRIM_400000_NS6detail17trampoline_kernelINS0_14default_configENS1_22reduce_config_selectorIiEEZNS1_11reduce_implILb1ES3_PiS7_iN6thrust23THRUST_200600_302600_NS4plusIiEEEE10hipError_tPvRmT1_T2_T3_mT4_P12ihipStream_tbEUlT_E0_NS1_11comp_targetILNS1_3genE10ELNS1_11target_archE1200ELNS1_3gpuE4ELNS1_3repE0EEENS1_30default_config_static_selectorELNS0_4arch9wavefront6targetE1EEEvSF_.kd
    .uniform_work_group_size: 1
    .uses_dynamic_stack: false
    .vgpr_count:     0
    .vgpr_spill_count: 0
    .wavefront_size: 64
  - .agpr_count:     0
    .args:
      - .offset:         0
        .size:           56
        .value_kind:     by_value
    .group_segment_fixed_size: 0
    .kernarg_segment_align: 8
    .kernarg_segment_size: 56
    .language:       OpenCL C
    .language_version:
      - 2
      - 0
    .max_flat_workgroup_size: 256
    .name:           _ZN7rocprim17ROCPRIM_400000_NS6detail17trampoline_kernelINS0_14default_configENS1_22reduce_config_selectorIiEEZNS1_11reduce_implILb1ES3_PiS7_iN6thrust23THRUST_200600_302600_NS4plusIiEEEE10hipError_tPvRmT1_T2_T3_mT4_P12ihipStream_tbEUlT_E0_NS1_11comp_targetILNS1_3genE9ELNS1_11target_archE1100ELNS1_3gpuE3ELNS1_3repE0EEENS1_30default_config_static_selectorELNS0_4arch9wavefront6targetE1EEEvSF_
    .private_segment_fixed_size: 0
    .sgpr_count:     4
    .sgpr_spill_count: 0
    .symbol:         _ZN7rocprim17ROCPRIM_400000_NS6detail17trampoline_kernelINS0_14default_configENS1_22reduce_config_selectorIiEEZNS1_11reduce_implILb1ES3_PiS7_iN6thrust23THRUST_200600_302600_NS4plusIiEEEE10hipError_tPvRmT1_T2_T3_mT4_P12ihipStream_tbEUlT_E0_NS1_11comp_targetILNS1_3genE9ELNS1_11target_archE1100ELNS1_3gpuE3ELNS1_3repE0EEENS1_30default_config_static_selectorELNS0_4arch9wavefront6targetE1EEEvSF_.kd
    .uniform_work_group_size: 1
    .uses_dynamic_stack: false
    .vgpr_count:     0
    .vgpr_spill_count: 0
    .wavefront_size: 64
  - .agpr_count:     0
    .args:
      - .offset:         0
        .size:           56
        .value_kind:     by_value
    .group_segment_fixed_size: 0
    .kernarg_segment_align: 8
    .kernarg_segment_size: 56
    .language:       OpenCL C
    .language_version:
      - 2
      - 0
    .max_flat_workgroup_size: 256
    .name:           _ZN7rocprim17ROCPRIM_400000_NS6detail17trampoline_kernelINS0_14default_configENS1_22reduce_config_selectorIiEEZNS1_11reduce_implILb1ES3_PiS7_iN6thrust23THRUST_200600_302600_NS4plusIiEEEE10hipError_tPvRmT1_T2_T3_mT4_P12ihipStream_tbEUlT_E0_NS1_11comp_targetILNS1_3genE8ELNS1_11target_archE1030ELNS1_3gpuE2ELNS1_3repE0EEENS1_30default_config_static_selectorELNS0_4arch9wavefront6targetE1EEEvSF_
    .private_segment_fixed_size: 0
    .sgpr_count:     4
    .sgpr_spill_count: 0
    .symbol:         _ZN7rocprim17ROCPRIM_400000_NS6detail17trampoline_kernelINS0_14default_configENS1_22reduce_config_selectorIiEEZNS1_11reduce_implILb1ES3_PiS7_iN6thrust23THRUST_200600_302600_NS4plusIiEEEE10hipError_tPvRmT1_T2_T3_mT4_P12ihipStream_tbEUlT_E0_NS1_11comp_targetILNS1_3genE8ELNS1_11target_archE1030ELNS1_3gpuE2ELNS1_3repE0EEENS1_30default_config_static_selectorELNS0_4arch9wavefront6targetE1EEEvSF_.kd
    .uniform_work_group_size: 1
    .uses_dynamic_stack: false
    .vgpr_count:     0
    .vgpr_spill_count: 0
    .wavefront_size: 64
  - .agpr_count:     0
    .args:
      - .offset:         0
        .size:           40
        .value_kind:     by_value
    .group_segment_fixed_size: 0
    .kernarg_segment_align: 8
    .kernarg_segment_size: 40
    .language:       OpenCL C
    .language_version:
      - 2
      - 0
    .max_flat_workgroup_size: 256
    .name:           _ZN7rocprim17ROCPRIM_400000_NS6detail17trampoline_kernelINS0_14default_configENS1_22reduce_config_selectorIiEEZNS1_11reduce_implILb1ES3_PiS7_iN6thrust23THRUST_200600_302600_NS4plusIiEEEE10hipError_tPvRmT1_T2_T3_mT4_P12ihipStream_tbEUlT_E1_NS1_11comp_targetILNS1_3genE0ELNS1_11target_archE4294967295ELNS1_3gpuE0ELNS1_3repE0EEENS1_30default_config_static_selectorELNS0_4arch9wavefront6targetE1EEEvSF_
    .private_segment_fixed_size: 0
    .sgpr_count:     4
    .sgpr_spill_count: 0
    .symbol:         _ZN7rocprim17ROCPRIM_400000_NS6detail17trampoline_kernelINS0_14default_configENS1_22reduce_config_selectorIiEEZNS1_11reduce_implILb1ES3_PiS7_iN6thrust23THRUST_200600_302600_NS4plusIiEEEE10hipError_tPvRmT1_T2_T3_mT4_P12ihipStream_tbEUlT_E1_NS1_11comp_targetILNS1_3genE0ELNS1_11target_archE4294967295ELNS1_3gpuE0ELNS1_3repE0EEENS1_30default_config_static_selectorELNS0_4arch9wavefront6targetE1EEEvSF_.kd
    .uniform_work_group_size: 1
    .uses_dynamic_stack: false
    .vgpr_count:     0
    .vgpr_spill_count: 0
    .wavefront_size: 64
  - .agpr_count:     0
    .args:
      - .offset:         0
        .size:           40
        .value_kind:     by_value
    .group_segment_fixed_size: 0
    .kernarg_segment_align: 8
    .kernarg_segment_size: 40
    .language:       OpenCL C
    .language_version:
      - 2
      - 0
    .max_flat_workgroup_size: 256
    .name:           _ZN7rocprim17ROCPRIM_400000_NS6detail17trampoline_kernelINS0_14default_configENS1_22reduce_config_selectorIiEEZNS1_11reduce_implILb1ES3_PiS7_iN6thrust23THRUST_200600_302600_NS4plusIiEEEE10hipError_tPvRmT1_T2_T3_mT4_P12ihipStream_tbEUlT_E1_NS1_11comp_targetILNS1_3genE5ELNS1_11target_archE942ELNS1_3gpuE9ELNS1_3repE0EEENS1_30default_config_static_selectorELNS0_4arch9wavefront6targetE1EEEvSF_
    .private_segment_fixed_size: 0
    .sgpr_count:     4
    .sgpr_spill_count: 0
    .symbol:         _ZN7rocprim17ROCPRIM_400000_NS6detail17trampoline_kernelINS0_14default_configENS1_22reduce_config_selectorIiEEZNS1_11reduce_implILb1ES3_PiS7_iN6thrust23THRUST_200600_302600_NS4plusIiEEEE10hipError_tPvRmT1_T2_T3_mT4_P12ihipStream_tbEUlT_E1_NS1_11comp_targetILNS1_3genE5ELNS1_11target_archE942ELNS1_3gpuE9ELNS1_3repE0EEENS1_30default_config_static_selectorELNS0_4arch9wavefront6targetE1EEEvSF_.kd
    .uniform_work_group_size: 1
    .uses_dynamic_stack: false
    .vgpr_count:     0
    .vgpr_spill_count: 0
    .wavefront_size: 64
  - .agpr_count:     0
    .args:
      - .offset:         0
        .size:           40
        .value_kind:     by_value
    .group_segment_fixed_size: 56
    .kernarg_segment_align: 8
    .kernarg_segment_size: 40
    .language:       OpenCL C
    .language_version:
      - 2
      - 0
    .max_flat_workgroup_size: 128
    .name:           _ZN7rocprim17ROCPRIM_400000_NS6detail17trampoline_kernelINS0_14default_configENS1_22reduce_config_selectorIiEEZNS1_11reduce_implILb1ES3_PiS7_iN6thrust23THRUST_200600_302600_NS4plusIiEEEE10hipError_tPvRmT1_T2_T3_mT4_P12ihipStream_tbEUlT_E1_NS1_11comp_targetILNS1_3genE4ELNS1_11target_archE910ELNS1_3gpuE8ELNS1_3repE0EEENS1_30default_config_static_selectorELNS0_4arch9wavefront6targetE1EEEvSF_
    .private_segment_fixed_size: 0
    .sgpr_count:     47
    .sgpr_spill_count: 0
    .symbol:         _ZN7rocprim17ROCPRIM_400000_NS6detail17trampoline_kernelINS0_14default_configENS1_22reduce_config_selectorIiEEZNS1_11reduce_implILb1ES3_PiS7_iN6thrust23THRUST_200600_302600_NS4plusIiEEEE10hipError_tPvRmT1_T2_T3_mT4_P12ihipStream_tbEUlT_E1_NS1_11comp_targetILNS1_3genE4ELNS1_11target_archE910ELNS1_3gpuE8ELNS1_3repE0EEENS1_30default_config_static_selectorELNS0_4arch9wavefront6targetE1EEEvSF_.kd
    .uniform_work_group_size: 1
    .uses_dynamic_stack: false
    .vgpr_count:     35
    .vgpr_spill_count: 0
    .wavefront_size: 64
  - .agpr_count:     0
    .args:
      - .offset:         0
        .size:           40
        .value_kind:     by_value
    .group_segment_fixed_size: 0
    .kernarg_segment_align: 8
    .kernarg_segment_size: 40
    .language:       OpenCL C
    .language_version:
      - 2
      - 0
    .max_flat_workgroup_size: 256
    .name:           _ZN7rocprim17ROCPRIM_400000_NS6detail17trampoline_kernelINS0_14default_configENS1_22reduce_config_selectorIiEEZNS1_11reduce_implILb1ES3_PiS7_iN6thrust23THRUST_200600_302600_NS4plusIiEEEE10hipError_tPvRmT1_T2_T3_mT4_P12ihipStream_tbEUlT_E1_NS1_11comp_targetILNS1_3genE3ELNS1_11target_archE908ELNS1_3gpuE7ELNS1_3repE0EEENS1_30default_config_static_selectorELNS0_4arch9wavefront6targetE1EEEvSF_
    .private_segment_fixed_size: 0
    .sgpr_count:     4
    .sgpr_spill_count: 0
    .symbol:         _ZN7rocprim17ROCPRIM_400000_NS6detail17trampoline_kernelINS0_14default_configENS1_22reduce_config_selectorIiEEZNS1_11reduce_implILb1ES3_PiS7_iN6thrust23THRUST_200600_302600_NS4plusIiEEEE10hipError_tPvRmT1_T2_T3_mT4_P12ihipStream_tbEUlT_E1_NS1_11comp_targetILNS1_3genE3ELNS1_11target_archE908ELNS1_3gpuE7ELNS1_3repE0EEENS1_30default_config_static_selectorELNS0_4arch9wavefront6targetE1EEEvSF_.kd
    .uniform_work_group_size: 1
    .uses_dynamic_stack: false
    .vgpr_count:     0
    .vgpr_spill_count: 0
    .wavefront_size: 64
  - .agpr_count:     0
    .args:
      - .offset:         0
        .size:           40
        .value_kind:     by_value
    .group_segment_fixed_size: 0
    .kernarg_segment_align: 8
    .kernarg_segment_size: 40
    .language:       OpenCL C
    .language_version:
      - 2
      - 0
    .max_flat_workgroup_size: 256
    .name:           _ZN7rocprim17ROCPRIM_400000_NS6detail17trampoline_kernelINS0_14default_configENS1_22reduce_config_selectorIiEEZNS1_11reduce_implILb1ES3_PiS7_iN6thrust23THRUST_200600_302600_NS4plusIiEEEE10hipError_tPvRmT1_T2_T3_mT4_P12ihipStream_tbEUlT_E1_NS1_11comp_targetILNS1_3genE2ELNS1_11target_archE906ELNS1_3gpuE6ELNS1_3repE0EEENS1_30default_config_static_selectorELNS0_4arch9wavefront6targetE1EEEvSF_
    .private_segment_fixed_size: 0
    .sgpr_count:     4
    .sgpr_spill_count: 0
    .symbol:         _ZN7rocprim17ROCPRIM_400000_NS6detail17trampoline_kernelINS0_14default_configENS1_22reduce_config_selectorIiEEZNS1_11reduce_implILb1ES3_PiS7_iN6thrust23THRUST_200600_302600_NS4plusIiEEEE10hipError_tPvRmT1_T2_T3_mT4_P12ihipStream_tbEUlT_E1_NS1_11comp_targetILNS1_3genE2ELNS1_11target_archE906ELNS1_3gpuE6ELNS1_3repE0EEENS1_30default_config_static_selectorELNS0_4arch9wavefront6targetE1EEEvSF_.kd
    .uniform_work_group_size: 1
    .uses_dynamic_stack: false
    .vgpr_count:     0
    .vgpr_spill_count: 0
    .wavefront_size: 64
  - .agpr_count:     0
    .args:
      - .offset:         0
        .size:           40
        .value_kind:     by_value
    .group_segment_fixed_size: 0
    .kernarg_segment_align: 8
    .kernarg_segment_size: 40
    .language:       OpenCL C
    .language_version:
      - 2
      - 0
    .max_flat_workgroup_size: 256
    .name:           _ZN7rocprim17ROCPRIM_400000_NS6detail17trampoline_kernelINS0_14default_configENS1_22reduce_config_selectorIiEEZNS1_11reduce_implILb1ES3_PiS7_iN6thrust23THRUST_200600_302600_NS4plusIiEEEE10hipError_tPvRmT1_T2_T3_mT4_P12ihipStream_tbEUlT_E1_NS1_11comp_targetILNS1_3genE10ELNS1_11target_archE1201ELNS1_3gpuE5ELNS1_3repE0EEENS1_30default_config_static_selectorELNS0_4arch9wavefront6targetE1EEEvSF_
    .private_segment_fixed_size: 0
    .sgpr_count:     4
    .sgpr_spill_count: 0
    .symbol:         _ZN7rocprim17ROCPRIM_400000_NS6detail17trampoline_kernelINS0_14default_configENS1_22reduce_config_selectorIiEEZNS1_11reduce_implILb1ES3_PiS7_iN6thrust23THRUST_200600_302600_NS4plusIiEEEE10hipError_tPvRmT1_T2_T3_mT4_P12ihipStream_tbEUlT_E1_NS1_11comp_targetILNS1_3genE10ELNS1_11target_archE1201ELNS1_3gpuE5ELNS1_3repE0EEENS1_30default_config_static_selectorELNS0_4arch9wavefront6targetE1EEEvSF_.kd
    .uniform_work_group_size: 1
    .uses_dynamic_stack: false
    .vgpr_count:     0
    .vgpr_spill_count: 0
    .wavefront_size: 64
  - .agpr_count:     0
    .args:
      - .offset:         0
        .size:           40
        .value_kind:     by_value
    .group_segment_fixed_size: 0
    .kernarg_segment_align: 8
    .kernarg_segment_size: 40
    .language:       OpenCL C
    .language_version:
      - 2
      - 0
    .max_flat_workgroup_size: 256
    .name:           _ZN7rocprim17ROCPRIM_400000_NS6detail17trampoline_kernelINS0_14default_configENS1_22reduce_config_selectorIiEEZNS1_11reduce_implILb1ES3_PiS7_iN6thrust23THRUST_200600_302600_NS4plusIiEEEE10hipError_tPvRmT1_T2_T3_mT4_P12ihipStream_tbEUlT_E1_NS1_11comp_targetILNS1_3genE10ELNS1_11target_archE1200ELNS1_3gpuE4ELNS1_3repE0EEENS1_30default_config_static_selectorELNS0_4arch9wavefront6targetE1EEEvSF_
    .private_segment_fixed_size: 0
    .sgpr_count:     4
    .sgpr_spill_count: 0
    .symbol:         _ZN7rocprim17ROCPRIM_400000_NS6detail17trampoline_kernelINS0_14default_configENS1_22reduce_config_selectorIiEEZNS1_11reduce_implILb1ES3_PiS7_iN6thrust23THRUST_200600_302600_NS4plusIiEEEE10hipError_tPvRmT1_T2_T3_mT4_P12ihipStream_tbEUlT_E1_NS1_11comp_targetILNS1_3genE10ELNS1_11target_archE1200ELNS1_3gpuE4ELNS1_3repE0EEENS1_30default_config_static_selectorELNS0_4arch9wavefront6targetE1EEEvSF_.kd
    .uniform_work_group_size: 1
    .uses_dynamic_stack: false
    .vgpr_count:     0
    .vgpr_spill_count: 0
    .wavefront_size: 64
  - .agpr_count:     0
    .args:
      - .offset:         0
        .size:           40
        .value_kind:     by_value
    .group_segment_fixed_size: 0
    .kernarg_segment_align: 8
    .kernarg_segment_size: 40
    .language:       OpenCL C
    .language_version:
      - 2
      - 0
    .max_flat_workgroup_size: 256
    .name:           _ZN7rocprim17ROCPRIM_400000_NS6detail17trampoline_kernelINS0_14default_configENS1_22reduce_config_selectorIiEEZNS1_11reduce_implILb1ES3_PiS7_iN6thrust23THRUST_200600_302600_NS4plusIiEEEE10hipError_tPvRmT1_T2_T3_mT4_P12ihipStream_tbEUlT_E1_NS1_11comp_targetILNS1_3genE9ELNS1_11target_archE1100ELNS1_3gpuE3ELNS1_3repE0EEENS1_30default_config_static_selectorELNS0_4arch9wavefront6targetE1EEEvSF_
    .private_segment_fixed_size: 0
    .sgpr_count:     4
    .sgpr_spill_count: 0
    .symbol:         _ZN7rocprim17ROCPRIM_400000_NS6detail17trampoline_kernelINS0_14default_configENS1_22reduce_config_selectorIiEEZNS1_11reduce_implILb1ES3_PiS7_iN6thrust23THRUST_200600_302600_NS4plusIiEEEE10hipError_tPvRmT1_T2_T3_mT4_P12ihipStream_tbEUlT_E1_NS1_11comp_targetILNS1_3genE9ELNS1_11target_archE1100ELNS1_3gpuE3ELNS1_3repE0EEENS1_30default_config_static_selectorELNS0_4arch9wavefront6targetE1EEEvSF_.kd
    .uniform_work_group_size: 1
    .uses_dynamic_stack: false
    .vgpr_count:     0
    .vgpr_spill_count: 0
    .wavefront_size: 64
  - .agpr_count:     0
    .args:
      - .offset:         0
        .size:           40
        .value_kind:     by_value
    .group_segment_fixed_size: 0
    .kernarg_segment_align: 8
    .kernarg_segment_size: 40
    .language:       OpenCL C
    .language_version:
      - 2
      - 0
    .max_flat_workgroup_size: 256
    .name:           _ZN7rocprim17ROCPRIM_400000_NS6detail17trampoline_kernelINS0_14default_configENS1_22reduce_config_selectorIiEEZNS1_11reduce_implILb1ES3_PiS7_iN6thrust23THRUST_200600_302600_NS4plusIiEEEE10hipError_tPvRmT1_T2_T3_mT4_P12ihipStream_tbEUlT_E1_NS1_11comp_targetILNS1_3genE8ELNS1_11target_archE1030ELNS1_3gpuE2ELNS1_3repE0EEENS1_30default_config_static_selectorELNS0_4arch9wavefront6targetE1EEEvSF_
    .private_segment_fixed_size: 0
    .sgpr_count:     4
    .sgpr_spill_count: 0
    .symbol:         _ZN7rocprim17ROCPRIM_400000_NS6detail17trampoline_kernelINS0_14default_configENS1_22reduce_config_selectorIiEEZNS1_11reduce_implILb1ES3_PiS7_iN6thrust23THRUST_200600_302600_NS4plusIiEEEE10hipError_tPvRmT1_T2_T3_mT4_P12ihipStream_tbEUlT_E1_NS1_11comp_targetILNS1_3genE8ELNS1_11target_archE1030ELNS1_3gpuE2ELNS1_3repE0EEENS1_30default_config_static_selectorELNS0_4arch9wavefront6targetE1EEEvSF_.kd
    .uniform_work_group_size: 1
    .uses_dynamic_stack: false
    .vgpr_count:     0
    .vgpr_spill_count: 0
    .wavefront_size: 64
  - .agpr_count:     0
    .args:
      - .offset:         0
        .size:           72
        .value_kind:     by_value
    .group_segment_fixed_size: 0
    .kernarg_segment_align: 8
    .kernarg_segment_size: 72
    .language:       OpenCL C
    .language_version:
      - 2
      - 0
    .max_flat_workgroup_size: 256
    .name:           _ZN7rocprim17ROCPRIM_400000_NS6detail17trampoline_kernelINS0_14default_configENS1_22reduce_config_selectorIiEEZNS1_11reduce_implILb1ES3_N6thrust23THRUST_200600_302600_NS11hip_rocprim35transform_pair_of_input_iterators_tIiPhSB_NS8_12not_equal_toIhEEEEPiiNS8_4plusIiEEEE10hipError_tPvRmT1_T2_T3_mT4_P12ihipStream_tbEUlT_E0_NS1_11comp_targetILNS1_3genE0ELNS1_11target_archE4294967295ELNS1_3gpuE0ELNS1_3repE0EEENS1_30default_config_static_selectorELNS0_4arch9wavefront6targetE1EEEvSL_
    .private_segment_fixed_size: 0
    .sgpr_count:     4
    .sgpr_spill_count: 0
    .symbol:         _ZN7rocprim17ROCPRIM_400000_NS6detail17trampoline_kernelINS0_14default_configENS1_22reduce_config_selectorIiEEZNS1_11reduce_implILb1ES3_N6thrust23THRUST_200600_302600_NS11hip_rocprim35transform_pair_of_input_iterators_tIiPhSB_NS8_12not_equal_toIhEEEEPiiNS8_4plusIiEEEE10hipError_tPvRmT1_T2_T3_mT4_P12ihipStream_tbEUlT_E0_NS1_11comp_targetILNS1_3genE0ELNS1_11target_archE4294967295ELNS1_3gpuE0ELNS1_3repE0EEENS1_30default_config_static_selectorELNS0_4arch9wavefront6targetE1EEEvSL_.kd
    .uniform_work_group_size: 1
    .uses_dynamic_stack: false
    .vgpr_count:     0
    .vgpr_spill_count: 0
    .wavefront_size: 64
  - .agpr_count:     0
    .args:
      - .offset:         0
        .size:           72
        .value_kind:     by_value
    .group_segment_fixed_size: 0
    .kernarg_segment_align: 8
    .kernarg_segment_size: 72
    .language:       OpenCL C
    .language_version:
      - 2
      - 0
    .max_flat_workgroup_size: 256
    .name:           _ZN7rocprim17ROCPRIM_400000_NS6detail17trampoline_kernelINS0_14default_configENS1_22reduce_config_selectorIiEEZNS1_11reduce_implILb1ES3_N6thrust23THRUST_200600_302600_NS11hip_rocprim35transform_pair_of_input_iterators_tIiPhSB_NS8_12not_equal_toIhEEEEPiiNS8_4plusIiEEEE10hipError_tPvRmT1_T2_T3_mT4_P12ihipStream_tbEUlT_E0_NS1_11comp_targetILNS1_3genE5ELNS1_11target_archE942ELNS1_3gpuE9ELNS1_3repE0EEENS1_30default_config_static_selectorELNS0_4arch9wavefront6targetE1EEEvSL_
    .private_segment_fixed_size: 0
    .sgpr_count:     4
    .sgpr_spill_count: 0
    .symbol:         _ZN7rocprim17ROCPRIM_400000_NS6detail17trampoline_kernelINS0_14default_configENS1_22reduce_config_selectorIiEEZNS1_11reduce_implILb1ES3_N6thrust23THRUST_200600_302600_NS11hip_rocprim35transform_pair_of_input_iterators_tIiPhSB_NS8_12not_equal_toIhEEEEPiiNS8_4plusIiEEEE10hipError_tPvRmT1_T2_T3_mT4_P12ihipStream_tbEUlT_E0_NS1_11comp_targetILNS1_3genE5ELNS1_11target_archE942ELNS1_3gpuE9ELNS1_3repE0EEENS1_30default_config_static_selectorELNS0_4arch9wavefront6targetE1EEEvSL_.kd
    .uniform_work_group_size: 1
    .uses_dynamic_stack: false
    .vgpr_count:     0
    .vgpr_spill_count: 0
    .wavefront_size: 64
  - .agpr_count:     0
    .args:
      - .offset:         0
        .size:           72
        .value_kind:     by_value
    .group_segment_fixed_size: 16
    .kernarg_segment_align: 8
    .kernarg_segment_size: 72
    .language:       OpenCL C
    .language_version:
      - 2
      - 0
    .max_flat_workgroup_size: 128
    .name:           _ZN7rocprim17ROCPRIM_400000_NS6detail17trampoline_kernelINS0_14default_configENS1_22reduce_config_selectorIiEEZNS1_11reduce_implILb1ES3_N6thrust23THRUST_200600_302600_NS11hip_rocprim35transform_pair_of_input_iterators_tIiPhSB_NS8_12not_equal_toIhEEEEPiiNS8_4plusIiEEEE10hipError_tPvRmT1_T2_T3_mT4_P12ihipStream_tbEUlT_E0_NS1_11comp_targetILNS1_3genE4ELNS1_11target_archE910ELNS1_3gpuE8ELNS1_3repE0EEENS1_30default_config_static_selectorELNS0_4arch9wavefront6targetE1EEEvSL_
    .private_segment_fixed_size: 0
    .sgpr_count:     34
    .sgpr_spill_count: 0
    .symbol:         _ZN7rocprim17ROCPRIM_400000_NS6detail17trampoline_kernelINS0_14default_configENS1_22reduce_config_selectorIiEEZNS1_11reduce_implILb1ES3_N6thrust23THRUST_200600_302600_NS11hip_rocprim35transform_pair_of_input_iterators_tIiPhSB_NS8_12not_equal_toIhEEEEPiiNS8_4plusIiEEEE10hipError_tPvRmT1_T2_T3_mT4_P12ihipStream_tbEUlT_E0_NS1_11comp_targetILNS1_3genE4ELNS1_11target_archE910ELNS1_3gpuE8ELNS1_3repE0EEENS1_30default_config_static_selectorELNS0_4arch9wavefront6targetE1EEEvSL_.kd
    .uniform_work_group_size: 1
    .uses_dynamic_stack: false
    .vgpr_count:     20
    .vgpr_spill_count: 0
    .wavefront_size: 64
  - .agpr_count:     0
    .args:
      - .offset:         0
        .size:           72
        .value_kind:     by_value
    .group_segment_fixed_size: 0
    .kernarg_segment_align: 8
    .kernarg_segment_size: 72
    .language:       OpenCL C
    .language_version:
      - 2
      - 0
    .max_flat_workgroup_size: 256
    .name:           _ZN7rocprim17ROCPRIM_400000_NS6detail17trampoline_kernelINS0_14default_configENS1_22reduce_config_selectorIiEEZNS1_11reduce_implILb1ES3_N6thrust23THRUST_200600_302600_NS11hip_rocprim35transform_pair_of_input_iterators_tIiPhSB_NS8_12not_equal_toIhEEEEPiiNS8_4plusIiEEEE10hipError_tPvRmT1_T2_T3_mT4_P12ihipStream_tbEUlT_E0_NS1_11comp_targetILNS1_3genE3ELNS1_11target_archE908ELNS1_3gpuE7ELNS1_3repE0EEENS1_30default_config_static_selectorELNS0_4arch9wavefront6targetE1EEEvSL_
    .private_segment_fixed_size: 0
    .sgpr_count:     4
    .sgpr_spill_count: 0
    .symbol:         _ZN7rocprim17ROCPRIM_400000_NS6detail17trampoline_kernelINS0_14default_configENS1_22reduce_config_selectorIiEEZNS1_11reduce_implILb1ES3_N6thrust23THRUST_200600_302600_NS11hip_rocprim35transform_pair_of_input_iterators_tIiPhSB_NS8_12not_equal_toIhEEEEPiiNS8_4plusIiEEEE10hipError_tPvRmT1_T2_T3_mT4_P12ihipStream_tbEUlT_E0_NS1_11comp_targetILNS1_3genE3ELNS1_11target_archE908ELNS1_3gpuE7ELNS1_3repE0EEENS1_30default_config_static_selectorELNS0_4arch9wavefront6targetE1EEEvSL_.kd
    .uniform_work_group_size: 1
    .uses_dynamic_stack: false
    .vgpr_count:     0
    .vgpr_spill_count: 0
    .wavefront_size: 64
  - .agpr_count:     0
    .args:
      - .offset:         0
        .size:           72
        .value_kind:     by_value
    .group_segment_fixed_size: 0
    .kernarg_segment_align: 8
    .kernarg_segment_size: 72
    .language:       OpenCL C
    .language_version:
      - 2
      - 0
    .max_flat_workgroup_size: 256
    .name:           _ZN7rocprim17ROCPRIM_400000_NS6detail17trampoline_kernelINS0_14default_configENS1_22reduce_config_selectorIiEEZNS1_11reduce_implILb1ES3_N6thrust23THRUST_200600_302600_NS11hip_rocprim35transform_pair_of_input_iterators_tIiPhSB_NS8_12not_equal_toIhEEEEPiiNS8_4plusIiEEEE10hipError_tPvRmT1_T2_T3_mT4_P12ihipStream_tbEUlT_E0_NS1_11comp_targetILNS1_3genE2ELNS1_11target_archE906ELNS1_3gpuE6ELNS1_3repE0EEENS1_30default_config_static_selectorELNS0_4arch9wavefront6targetE1EEEvSL_
    .private_segment_fixed_size: 0
    .sgpr_count:     4
    .sgpr_spill_count: 0
    .symbol:         _ZN7rocprim17ROCPRIM_400000_NS6detail17trampoline_kernelINS0_14default_configENS1_22reduce_config_selectorIiEEZNS1_11reduce_implILb1ES3_N6thrust23THRUST_200600_302600_NS11hip_rocprim35transform_pair_of_input_iterators_tIiPhSB_NS8_12not_equal_toIhEEEEPiiNS8_4plusIiEEEE10hipError_tPvRmT1_T2_T3_mT4_P12ihipStream_tbEUlT_E0_NS1_11comp_targetILNS1_3genE2ELNS1_11target_archE906ELNS1_3gpuE6ELNS1_3repE0EEENS1_30default_config_static_selectorELNS0_4arch9wavefront6targetE1EEEvSL_.kd
    .uniform_work_group_size: 1
    .uses_dynamic_stack: false
    .vgpr_count:     0
    .vgpr_spill_count: 0
    .wavefront_size: 64
  - .agpr_count:     0
    .args:
      - .offset:         0
        .size:           72
        .value_kind:     by_value
    .group_segment_fixed_size: 0
    .kernarg_segment_align: 8
    .kernarg_segment_size: 72
    .language:       OpenCL C
    .language_version:
      - 2
      - 0
    .max_flat_workgroup_size: 256
    .name:           _ZN7rocprim17ROCPRIM_400000_NS6detail17trampoline_kernelINS0_14default_configENS1_22reduce_config_selectorIiEEZNS1_11reduce_implILb1ES3_N6thrust23THRUST_200600_302600_NS11hip_rocprim35transform_pair_of_input_iterators_tIiPhSB_NS8_12not_equal_toIhEEEEPiiNS8_4plusIiEEEE10hipError_tPvRmT1_T2_T3_mT4_P12ihipStream_tbEUlT_E0_NS1_11comp_targetILNS1_3genE10ELNS1_11target_archE1201ELNS1_3gpuE5ELNS1_3repE0EEENS1_30default_config_static_selectorELNS0_4arch9wavefront6targetE1EEEvSL_
    .private_segment_fixed_size: 0
    .sgpr_count:     4
    .sgpr_spill_count: 0
    .symbol:         _ZN7rocprim17ROCPRIM_400000_NS6detail17trampoline_kernelINS0_14default_configENS1_22reduce_config_selectorIiEEZNS1_11reduce_implILb1ES3_N6thrust23THRUST_200600_302600_NS11hip_rocprim35transform_pair_of_input_iterators_tIiPhSB_NS8_12not_equal_toIhEEEEPiiNS8_4plusIiEEEE10hipError_tPvRmT1_T2_T3_mT4_P12ihipStream_tbEUlT_E0_NS1_11comp_targetILNS1_3genE10ELNS1_11target_archE1201ELNS1_3gpuE5ELNS1_3repE0EEENS1_30default_config_static_selectorELNS0_4arch9wavefront6targetE1EEEvSL_.kd
    .uniform_work_group_size: 1
    .uses_dynamic_stack: false
    .vgpr_count:     0
    .vgpr_spill_count: 0
    .wavefront_size: 64
  - .agpr_count:     0
    .args:
      - .offset:         0
        .size:           72
        .value_kind:     by_value
    .group_segment_fixed_size: 0
    .kernarg_segment_align: 8
    .kernarg_segment_size: 72
    .language:       OpenCL C
    .language_version:
      - 2
      - 0
    .max_flat_workgroup_size: 256
    .name:           _ZN7rocprim17ROCPRIM_400000_NS6detail17trampoline_kernelINS0_14default_configENS1_22reduce_config_selectorIiEEZNS1_11reduce_implILb1ES3_N6thrust23THRUST_200600_302600_NS11hip_rocprim35transform_pair_of_input_iterators_tIiPhSB_NS8_12not_equal_toIhEEEEPiiNS8_4plusIiEEEE10hipError_tPvRmT1_T2_T3_mT4_P12ihipStream_tbEUlT_E0_NS1_11comp_targetILNS1_3genE10ELNS1_11target_archE1200ELNS1_3gpuE4ELNS1_3repE0EEENS1_30default_config_static_selectorELNS0_4arch9wavefront6targetE1EEEvSL_
    .private_segment_fixed_size: 0
    .sgpr_count:     4
    .sgpr_spill_count: 0
    .symbol:         _ZN7rocprim17ROCPRIM_400000_NS6detail17trampoline_kernelINS0_14default_configENS1_22reduce_config_selectorIiEEZNS1_11reduce_implILb1ES3_N6thrust23THRUST_200600_302600_NS11hip_rocprim35transform_pair_of_input_iterators_tIiPhSB_NS8_12not_equal_toIhEEEEPiiNS8_4plusIiEEEE10hipError_tPvRmT1_T2_T3_mT4_P12ihipStream_tbEUlT_E0_NS1_11comp_targetILNS1_3genE10ELNS1_11target_archE1200ELNS1_3gpuE4ELNS1_3repE0EEENS1_30default_config_static_selectorELNS0_4arch9wavefront6targetE1EEEvSL_.kd
    .uniform_work_group_size: 1
    .uses_dynamic_stack: false
    .vgpr_count:     0
    .vgpr_spill_count: 0
    .wavefront_size: 64
  - .agpr_count:     0
    .args:
      - .offset:         0
        .size:           72
        .value_kind:     by_value
    .group_segment_fixed_size: 0
    .kernarg_segment_align: 8
    .kernarg_segment_size: 72
    .language:       OpenCL C
    .language_version:
      - 2
      - 0
    .max_flat_workgroup_size: 256
    .name:           _ZN7rocprim17ROCPRIM_400000_NS6detail17trampoline_kernelINS0_14default_configENS1_22reduce_config_selectorIiEEZNS1_11reduce_implILb1ES3_N6thrust23THRUST_200600_302600_NS11hip_rocprim35transform_pair_of_input_iterators_tIiPhSB_NS8_12not_equal_toIhEEEEPiiNS8_4plusIiEEEE10hipError_tPvRmT1_T2_T3_mT4_P12ihipStream_tbEUlT_E0_NS1_11comp_targetILNS1_3genE9ELNS1_11target_archE1100ELNS1_3gpuE3ELNS1_3repE0EEENS1_30default_config_static_selectorELNS0_4arch9wavefront6targetE1EEEvSL_
    .private_segment_fixed_size: 0
    .sgpr_count:     4
    .sgpr_spill_count: 0
    .symbol:         _ZN7rocprim17ROCPRIM_400000_NS6detail17trampoline_kernelINS0_14default_configENS1_22reduce_config_selectorIiEEZNS1_11reduce_implILb1ES3_N6thrust23THRUST_200600_302600_NS11hip_rocprim35transform_pair_of_input_iterators_tIiPhSB_NS8_12not_equal_toIhEEEEPiiNS8_4plusIiEEEE10hipError_tPvRmT1_T2_T3_mT4_P12ihipStream_tbEUlT_E0_NS1_11comp_targetILNS1_3genE9ELNS1_11target_archE1100ELNS1_3gpuE3ELNS1_3repE0EEENS1_30default_config_static_selectorELNS0_4arch9wavefront6targetE1EEEvSL_.kd
    .uniform_work_group_size: 1
    .uses_dynamic_stack: false
    .vgpr_count:     0
    .vgpr_spill_count: 0
    .wavefront_size: 64
  - .agpr_count:     0
    .args:
      - .offset:         0
        .size:           72
        .value_kind:     by_value
    .group_segment_fixed_size: 0
    .kernarg_segment_align: 8
    .kernarg_segment_size: 72
    .language:       OpenCL C
    .language_version:
      - 2
      - 0
    .max_flat_workgroup_size: 256
    .name:           _ZN7rocprim17ROCPRIM_400000_NS6detail17trampoline_kernelINS0_14default_configENS1_22reduce_config_selectorIiEEZNS1_11reduce_implILb1ES3_N6thrust23THRUST_200600_302600_NS11hip_rocprim35transform_pair_of_input_iterators_tIiPhSB_NS8_12not_equal_toIhEEEEPiiNS8_4plusIiEEEE10hipError_tPvRmT1_T2_T3_mT4_P12ihipStream_tbEUlT_E0_NS1_11comp_targetILNS1_3genE8ELNS1_11target_archE1030ELNS1_3gpuE2ELNS1_3repE0EEENS1_30default_config_static_selectorELNS0_4arch9wavefront6targetE1EEEvSL_
    .private_segment_fixed_size: 0
    .sgpr_count:     4
    .sgpr_spill_count: 0
    .symbol:         _ZN7rocprim17ROCPRIM_400000_NS6detail17trampoline_kernelINS0_14default_configENS1_22reduce_config_selectorIiEEZNS1_11reduce_implILb1ES3_N6thrust23THRUST_200600_302600_NS11hip_rocprim35transform_pair_of_input_iterators_tIiPhSB_NS8_12not_equal_toIhEEEEPiiNS8_4plusIiEEEE10hipError_tPvRmT1_T2_T3_mT4_P12ihipStream_tbEUlT_E0_NS1_11comp_targetILNS1_3genE8ELNS1_11target_archE1030ELNS1_3gpuE2ELNS1_3repE0EEENS1_30default_config_static_selectorELNS0_4arch9wavefront6targetE1EEEvSL_.kd
    .uniform_work_group_size: 1
    .uses_dynamic_stack: false
    .vgpr_count:     0
    .vgpr_spill_count: 0
    .wavefront_size: 64
  - .agpr_count:     0
    .args:
      - .offset:         0
        .size:           56
        .value_kind:     by_value
    .group_segment_fixed_size: 0
    .kernarg_segment_align: 8
    .kernarg_segment_size: 56
    .language:       OpenCL C
    .language_version:
      - 2
      - 0
    .max_flat_workgroup_size: 256
    .name:           _ZN7rocprim17ROCPRIM_400000_NS6detail17trampoline_kernelINS0_14default_configENS1_22reduce_config_selectorIiEEZNS1_11reduce_implILb1ES3_N6thrust23THRUST_200600_302600_NS11hip_rocprim35transform_pair_of_input_iterators_tIiPhSB_NS8_12not_equal_toIhEEEEPiiNS8_4plusIiEEEE10hipError_tPvRmT1_T2_T3_mT4_P12ihipStream_tbEUlT_E1_NS1_11comp_targetILNS1_3genE0ELNS1_11target_archE4294967295ELNS1_3gpuE0ELNS1_3repE0EEENS1_30default_config_static_selectorELNS0_4arch9wavefront6targetE1EEEvSL_
    .private_segment_fixed_size: 0
    .sgpr_count:     4
    .sgpr_spill_count: 0
    .symbol:         _ZN7rocprim17ROCPRIM_400000_NS6detail17trampoline_kernelINS0_14default_configENS1_22reduce_config_selectorIiEEZNS1_11reduce_implILb1ES3_N6thrust23THRUST_200600_302600_NS11hip_rocprim35transform_pair_of_input_iterators_tIiPhSB_NS8_12not_equal_toIhEEEEPiiNS8_4plusIiEEEE10hipError_tPvRmT1_T2_T3_mT4_P12ihipStream_tbEUlT_E1_NS1_11comp_targetILNS1_3genE0ELNS1_11target_archE4294967295ELNS1_3gpuE0ELNS1_3repE0EEENS1_30default_config_static_selectorELNS0_4arch9wavefront6targetE1EEEvSL_.kd
    .uniform_work_group_size: 1
    .uses_dynamic_stack: false
    .vgpr_count:     0
    .vgpr_spill_count: 0
    .wavefront_size: 64
  - .agpr_count:     0
    .args:
      - .offset:         0
        .size:           56
        .value_kind:     by_value
    .group_segment_fixed_size: 0
    .kernarg_segment_align: 8
    .kernarg_segment_size: 56
    .language:       OpenCL C
    .language_version:
      - 2
      - 0
    .max_flat_workgroup_size: 256
    .name:           _ZN7rocprim17ROCPRIM_400000_NS6detail17trampoline_kernelINS0_14default_configENS1_22reduce_config_selectorIiEEZNS1_11reduce_implILb1ES3_N6thrust23THRUST_200600_302600_NS11hip_rocprim35transform_pair_of_input_iterators_tIiPhSB_NS8_12not_equal_toIhEEEEPiiNS8_4plusIiEEEE10hipError_tPvRmT1_T2_T3_mT4_P12ihipStream_tbEUlT_E1_NS1_11comp_targetILNS1_3genE5ELNS1_11target_archE942ELNS1_3gpuE9ELNS1_3repE0EEENS1_30default_config_static_selectorELNS0_4arch9wavefront6targetE1EEEvSL_
    .private_segment_fixed_size: 0
    .sgpr_count:     4
    .sgpr_spill_count: 0
    .symbol:         _ZN7rocprim17ROCPRIM_400000_NS6detail17trampoline_kernelINS0_14default_configENS1_22reduce_config_selectorIiEEZNS1_11reduce_implILb1ES3_N6thrust23THRUST_200600_302600_NS11hip_rocprim35transform_pair_of_input_iterators_tIiPhSB_NS8_12not_equal_toIhEEEEPiiNS8_4plusIiEEEE10hipError_tPvRmT1_T2_T3_mT4_P12ihipStream_tbEUlT_E1_NS1_11comp_targetILNS1_3genE5ELNS1_11target_archE942ELNS1_3gpuE9ELNS1_3repE0EEENS1_30default_config_static_selectorELNS0_4arch9wavefront6targetE1EEEvSL_.kd
    .uniform_work_group_size: 1
    .uses_dynamic_stack: false
    .vgpr_count:     0
    .vgpr_spill_count: 0
    .wavefront_size: 64
  - .agpr_count:     0
    .args:
      - .offset:         0
        .size:           56
        .value_kind:     by_value
    .group_segment_fixed_size: 56
    .kernarg_segment_align: 8
    .kernarg_segment_size: 56
    .language:       OpenCL C
    .language_version:
      - 2
      - 0
    .max_flat_workgroup_size: 128
    .name:           _ZN7rocprim17ROCPRIM_400000_NS6detail17trampoline_kernelINS0_14default_configENS1_22reduce_config_selectorIiEEZNS1_11reduce_implILb1ES3_N6thrust23THRUST_200600_302600_NS11hip_rocprim35transform_pair_of_input_iterators_tIiPhSB_NS8_12not_equal_toIhEEEEPiiNS8_4plusIiEEEE10hipError_tPvRmT1_T2_T3_mT4_P12ihipStream_tbEUlT_E1_NS1_11comp_targetILNS1_3genE4ELNS1_11target_archE910ELNS1_3gpuE8ELNS1_3repE0EEENS1_30default_config_static_selectorELNS0_4arch9wavefront6targetE1EEEvSL_
    .private_segment_fixed_size: 0
    .sgpr_count:     53
    .sgpr_spill_count: 0
    .symbol:         _ZN7rocprim17ROCPRIM_400000_NS6detail17trampoline_kernelINS0_14default_configENS1_22reduce_config_selectorIiEEZNS1_11reduce_implILb1ES3_N6thrust23THRUST_200600_302600_NS11hip_rocprim35transform_pair_of_input_iterators_tIiPhSB_NS8_12not_equal_toIhEEEEPiiNS8_4plusIiEEEE10hipError_tPvRmT1_T2_T3_mT4_P12ihipStream_tbEUlT_E1_NS1_11comp_targetILNS1_3genE4ELNS1_11target_archE910ELNS1_3gpuE8ELNS1_3repE0EEENS1_30default_config_static_selectorELNS0_4arch9wavefront6targetE1EEEvSL_.kd
    .uniform_work_group_size: 1
    .uses_dynamic_stack: false
    .vgpr_count:     60
    .vgpr_spill_count: 0
    .wavefront_size: 64
  - .agpr_count:     0
    .args:
      - .offset:         0
        .size:           56
        .value_kind:     by_value
    .group_segment_fixed_size: 0
    .kernarg_segment_align: 8
    .kernarg_segment_size: 56
    .language:       OpenCL C
    .language_version:
      - 2
      - 0
    .max_flat_workgroup_size: 256
    .name:           _ZN7rocprim17ROCPRIM_400000_NS6detail17trampoline_kernelINS0_14default_configENS1_22reduce_config_selectorIiEEZNS1_11reduce_implILb1ES3_N6thrust23THRUST_200600_302600_NS11hip_rocprim35transform_pair_of_input_iterators_tIiPhSB_NS8_12not_equal_toIhEEEEPiiNS8_4plusIiEEEE10hipError_tPvRmT1_T2_T3_mT4_P12ihipStream_tbEUlT_E1_NS1_11comp_targetILNS1_3genE3ELNS1_11target_archE908ELNS1_3gpuE7ELNS1_3repE0EEENS1_30default_config_static_selectorELNS0_4arch9wavefront6targetE1EEEvSL_
    .private_segment_fixed_size: 0
    .sgpr_count:     4
    .sgpr_spill_count: 0
    .symbol:         _ZN7rocprim17ROCPRIM_400000_NS6detail17trampoline_kernelINS0_14default_configENS1_22reduce_config_selectorIiEEZNS1_11reduce_implILb1ES3_N6thrust23THRUST_200600_302600_NS11hip_rocprim35transform_pair_of_input_iterators_tIiPhSB_NS8_12not_equal_toIhEEEEPiiNS8_4plusIiEEEE10hipError_tPvRmT1_T2_T3_mT4_P12ihipStream_tbEUlT_E1_NS1_11comp_targetILNS1_3genE3ELNS1_11target_archE908ELNS1_3gpuE7ELNS1_3repE0EEENS1_30default_config_static_selectorELNS0_4arch9wavefront6targetE1EEEvSL_.kd
    .uniform_work_group_size: 1
    .uses_dynamic_stack: false
    .vgpr_count:     0
    .vgpr_spill_count: 0
    .wavefront_size: 64
  - .agpr_count:     0
    .args:
      - .offset:         0
        .size:           56
        .value_kind:     by_value
    .group_segment_fixed_size: 0
    .kernarg_segment_align: 8
    .kernarg_segment_size: 56
    .language:       OpenCL C
    .language_version:
      - 2
      - 0
    .max_flat_workgroup_size: 256
    .name:           _ZN7rocprim17ROCPRIM_400000_NS6detail17trampoline_kernelINS0_14default_configENS1_22reduce_config_selectorIiEEZNS1_11reduce_implILb1ES3_N6thrust23THRUST_200600_302600_NS11hip_rocprim35transform_pair_of_input_iterators_tIiPhSB_NS8_12not_equal_toIhEEEEPiiNS8_4plusIiEEEE10hipError_tPvRmT1_T2_T3_mT4_P12ihipStream_tbEUlT_E1_NS1_11comp_targetILNS1_3genE2ELNS1_11target_archE906ELNS1_3gpuE6ELNS1_3repE0EEENS1_30default_config_static_selectorELNS0_4arch9wavefront6targetE1EEEvSL_
    .private_segment_fixed_size: 0
    .sgpr_count:     4
    .sgpr_spill_count: 0
    .symbol:         _ZN7rocprim17ROCPRIM_400000_NS6detail17trampoline_kernelINS0_14default_configENS1_22reduce_config_selectorIiEEZNS1_11reduce_implILb1ES3_N6thrust23THRUST_200600_302600_NS11hip_rocprim35transform_pair_of_input_iterators_tIiPhSB_NS8_12not_equal_toIhEEEEPiiNS8_4plusIiEEEE10hipError_tPvRmT1_T2_T3_mT4_P12ihipStream_tbEUlT_E1_NS1_11comp_targetILNS1_3genE2ELNS1_11target_archE906ELNS1_3gpuE6ELNS1_3repE0EEENS1_30default_config_static_selectorELNS0_4arch9wavefront6targetE1EEEvSL_.kd
    .uniform_work_group_size: 1
    .uses_dynamic_stack: false
    .vgpr_count:     0
    .vgpr_spill_count: 0
    .wavefront_size: 64
  - .agpr_count:     0
    .args:
      - .offset:         0
        .size:           56
        .value_kind:     by_value
    .group_segment_fixed_size: 0
    .kernarg_segment_align: 8
    .kernarg_segment_size: 56
    .language:       OpenCL C
    .language_version:
      - 2
      - 0
    .max_flat_workgroup_size: 256
    .name:           _ZN7rocprim17ROCPRIM_400000_NS6detail17trampoline_kernelINS0_14default_configENS1_22reduce_config_selectorIiEEZNS1_11reduce_implILb1ES3_N6thrust23THRUST_200600_302600_NS11hip_rocprim35transform_pair_of_input_iterators_tIiPhSB_NS8_12not_equal_toIhEEEEPiiNS8_4plusIiEEEE10hipError_tPvRmT1_T2_T3_mT4_P12ihipStream_tbEUlT_E1_NS1_11comp_targetILNS1_3genE10ELNS1_11target_archE1201ELNS1_3gpuE5ELNS1_3repE0EEENS1_30default_config_static_selectorELNS0_4arch9wavefront6targetE1EEEvSL_
    .private_segment_fixed_size: 0
    .sgpr_count:     4
    .sgpr_spill_count: 0
    .symbol:         _ZN7rocprim17ROCPRIM_400000_NS6detail17trampoline_kernelINS0_14default_configENS1_22reduce_config_selectorIiEEZNS1_11reduce_implILb1ES3_N6thrust23THRUST_200600_302600_NS11hip_rocprim35transform_pair_of_input_iterators_tIiPhSB_NS8_12not_equal_toIhEEEEPiiNS8_4plusIiEEEE10hipError_tPvRmT1_T2_T3_mT4_P12ihipStream_tbEUlT_E1_NS1_11comp_targetILNS1_3genE10ELNS1_11target_archE1201ELNS1_3gpuE5ELNS1_3repE0EEENS1_30default_config_static_selectorELNS0_4arch9wavefront6targetE1EEEvSL_.kd
    .uniform_work_group_size: 1
    .uses_dynamic_stack: false
    .vgpr_count:     0
    .vgpr_spill_count: 0
    .wavefront_size: 64
  - .agpr_count:     0
    .args:
      - .offset:         0
        .size:           56
        .value_kind:     by_value
    .group_segment_fixed_size: 0
    .kernarg_segment_align: 8
    .kernarg_segment_size: 56
    .language:       OpenCL C
    .language_version:
      - 2
      - 0
    .max_flat_workgroup_size: 256
    .name:           _ZN7rocprim17ROCPRIM_400000_NS6detail17trampoline_kernelINS0_14default_configENS1_22reduce_config_selectorIiEEZNS1_11reduce_implILb1ES3_N6thrust23THRUST_200600_302600_NS11hip_rocprim35transform_pair_of_input_iterators_tIiPhSB_NS8_12not_equal_toIhEEEEPiiNS8_4plusIiEEEE10hipError_tPvRmT1_T2_T3_mT4_P12ihipStream_tbEUlT_E1_NS1_11comp_targetILNS1_3genE10ELNS1_11target_archE1200ELNS1_3gpuE4ELNS1_3repE0EEENS1_30default_config_static_selectorELNS0_4arch9wavefront6targetE1EEEvSL_
    .private_segment_fixed_size: 0
    .sgpr_count:     4
    .sgpr_spill_count: 0
    .symbol:         _ZN7rocprim17ROCPRIM_400000_NS6detail17trampoline_kernelINS0_14default_configENS1_22reduce_config_selectorIiEEZNS1_11reduce_implILb1ES3_N6thrust23THRUST_200600_302600_NS11hip_rocprim35transform_pair_of_input_iterators_tIiPhSB_NS8_12not_equal_toIhEEEEPiiNS8_4plusIiEEEE10hipError_tPvRmT1_T2_T3_mT4_P12ihipStream_tbEUlT_E1_NS1_11comp_targetILNS1_3genE10ELNS1_11target_archE1200ELNS1_3gpuE4ELNS1_3repE0EEENS1_30default_config_static_selectorELNS0_4arch9wavefront6targetE1EEEvSL_.kd
    .uniform_work_group_size: 1
    .uses_dynamic_stack: false
    .vgpr_count:     0
    .vgpr_spill_count: 0
    .wavefront_size: 64
  - .agpr_count:     0
    .args:
      - .offset:         0
        .size:           56
        .value_kind:     by_value
    .group_segment_fixed_size: 0
    .kernarg_segment_align: 8
    .kernarg_segment_size: 56
    .language:       OpenCL C
    .language_version:
      - 2
      - 0
    .max_flat_workgroup_size: 256
    .name:           _ZN7rocprim17ROCPRIM_400000_NS6detail17trampoline_kernelINS0_14default_configENS1_22reduce_config_selectorIiEEZNS1_11reduce_implILb1ES3_N6thrust23THRUST_200600_302600_NS11hip_rocprim35transform_pair_of_input_iterators_tIiPhSB_NS8_12not_equal_toIhEEEEPiiNS8_4plusIiEEEE10hipError_tPvRmT1_T2_T3_mT4_P12ihipStream_tbEUlT_E1_NS1_11comp_targetILNS1_3genE9ELNS1_11target_archE1100ELNS1_3gpuE3ELNS1_3repE0EEENS1_30default_config_static_selectorELNS0_4arch9wavefront6targetE1EEEvSL_
    .private_segment_fixed_size: 0
    .sgpr_count:     4
    .sgpr_spill_count: 0
    .symbol:         _ZN7rocprim17ROCPRIM_400000_NS6detail17trampoline_kernelINS0_14default_configENS1_22reduce_config_selectorIiEEZNS1_11reduce_implILb1ES3_N6thrust23THRUST_200600_302600_NS11hip_rocprim35transform_pair_of_input_iterators_tIiPhSB_NS8_12not_equal_toIhEEEEPiiNS8_4plusIiEEEE10hipError_tPvRmT1_T2_T3_mT4_P12ihipStream_tbEUlT_E1_NS1_11comp_targetILNS1_3genE9ELNS1_11target_archE1100ELNS1_3gpuE3ELNS1_3repE0EEENS1_30default_config_static_selectorELNS0_4arch9wavefront6targetE1EEEvSL_.kd
    .uniform_work_group_size: 1
    .uses_dynamic_stack: false
    .vgpr_count:     0
    .vgpr_spill_count: 0
    .wavefront_size: 64
  - .agpr_count:     0
    .args:
      - .offset:         0
        .size:           56
        .value_kind:     by_value
    .group_segment_fixed_size: 0
    .kernarg_segment_align: 8
    .kernarg_segment_size: 56
    .language:       OpenCL C
    .language_version:
      - 2
      - 0
    .max_flat_workgroup_size: 256
    .name:           _ZN7rocprim17ROCPRIM_400000_NS6detail17trampoline_kernelINS0_14default_configENS1_22reduce_config_selectorIiEEZNS1_11reduce_implILb1ES3_N6thrust23THRUST_200600_302600_NS11hip_rocprim35transform_pair_of_input_iterators_tIiPhSB_NS8_12not_equal_toIhEEEEPiiNS8_4plusIiEEEE10hipError_tPvRmT1_T2_T3_mT4_P12ihipStream_tbEUlT_E1_NS1_11comp_targetILNS1_3genE8ELNS1_11target_archE1030ELNS1_3gpuE2ELNS1_3repE0EEENS1_30default_config_static_selectorELNS0_4arch9wavefront6targetE1EEEvSL_
    .private_segment_fixed_size: 0
    .sgpr_count:     4
    .sgpr_spill_count: 0
    .symbol:         _ZN7rocprim17ROCPRIM_400000_NS6detail17trampoline_kernelINS0_14default_configENS1_22reduce_config_selectorIiEEZNS1_11reduce_implILb1ES3_N6thrust23THRUST_200600_302600_NS11hip_rocprim35transform_pair_of_input_iterators_tIiPhSB_NS8_12not_equal_toIhEEEEPiiNS8_4plusIiEEEE10hipError_tPvRmT1_T2_T3_mT4_P12ihipStream_tbEUlT_E1_NS1_11comp_targetILNS1_3genE8ELNS1_11target_archE1030ELNS1_3gpuE2ELNS1_3repE0EEENS1_30default_config_static_selectorELNS0_4arch9wavefront6targetE1EEEvSL_.kd
    .uniform_work_group_size: 1
    .uses_dynamic_stack: false
    .vgpr_count:     0
    .vgpr_spill_count: 0
    .wavefront_size: 64
  - .agpr_count:     0
    .args:
      - .offset:         0
        .size:           48
        .value_kind:     by_value
    .group_segment_fixed_size: 0
    .kernarg_segment_align: 8
    .kernarg_segment_size: 48
    .language:       OpenCL C
    .language_version:
      - 2
      - 0
    .max_flat_workgroup_size: 128
    .name:           _ZN7rocprim17ROCPRIM_400000_NS6detail17trampoline_kernelINS0_14default_configENS1_25transform_config_selectorImLb0EEEZNS1_14transform_implILb0ES3_S5_NS0_17constant_iteratorImlEEPmNS0_8identityImEEEE10hipError_tT2_T3_mT4_P12ihipStream_tbEUlT_E_NS1_11comp_targetILNS1_3genE0ELNS1_11target_archE4294967295ELNS1_3gpuE0ELNS1_3repE0EEENS1_30default_config_static_selectorELNS0_4arch9wavefront6targetE1EEEvT1_
    .private_segment_fixed_size: 0
    .sgpr_count:     4
    .sgpr_spill_count: 0
    .symbol:         _ZN7rocprim17ROCPRIM_400000_NS6detail17trampoline_kernelINS0_14default_configENS1_25transform_config_selectorImLb0EEEZNS1_14transform_implILb0ES3_S5_NS0_17constant_iteratorImlEEPmNS0_8identityImEEEE10hipError_tT2_T3_mT4_P12ihipStream_tbEUlT_E_NS1_11comp_targetILNS1_3genE0ELNS1_11target_archE4294967295ELNS1_3gpuE0ELNS1_3repE0EEENS1_30default_config_static_selectorELNS0_4arch9wavefront6targetE1EEEvT1_.kd
    .uniform_work_group_size: 1
    .uses_dynamic_stack: false
    .vgpr_count:     0
    .vgpr_spill_count: 0
    .wavefront_size: 64
  - .agpr_count:     0
    .args:
      - .offset:         0
        .size:           48
        .value_kind:     by_value
    .group_segment_fixed_size: 0
    .kernarg_segment_align: 8
    .kernarg_segment_size: 48
    .language:       OpenCL C
    .language_version:
      - 2
      - 0
    .max_flat_workgroup_size: 512
    .name:           _ZN7rocprim17ROCPRIM_400000_NS6detail17trampoline_kernelINS0_14default_configENS1_25transform_config_selectorImLb0EEEZNS1_14transform_implILb0ES3_S5_NS0_17constant_iteratorImlEEPmNS0_8identityImEEEE10hipError_tT2_T3_mT4_P12ihipStream_tbEUlT_E_NS1_11comp_targetILNS1_3genE5ELNS1_11target_archE942ELNS1_3gpuE9ELNS1_3repE0EEENS1_30default_config_static_selectorELNS0_4arch9wavefront6targetE1EEEvT1_
    .private_segment_fixed_size: 0
    .sgpr_count:     4
    .sgpr_spill_count: 0
    .symbol:         _ZN7rocprim17ROCPRIM_400000_NS6detail17trampoline_kernelINS0_14default_configENS1_25transform_config_selectorImLb0EEEZNS1_14transform_implILb0ES3_S5_NS0_17constant_iteratorImlEEPmNS0_8identityImEEEE10hipError_tT2_T3_mT4_P12ihipStream_tbEUlT_E_NS1_11comp_targetILNS1_3genE5ELNS1_11target_archE942ELNS1_3gpuE9ELNS1_3repE0EEENS1_30default_config_static_selectorELNS0_4arch9wavefront6targetE1EEEvT1_.kd
    .uniform_work_group_size: 1
    .uses_dynamic_stack: false
    .vgpr_count:     0
    .vgpr_spill_count: 0
    .wavefront_size: 64
  - .agpr_count:     0
    .args:
      - .offset:         0
        .size:           48
        .value_kind:     by_value
      - .offset:         48
        .size:           4
        .value_kind:     hidden_block_count_x
      - .offset:         52
        .size:           4
        .value_kind:     hidden_block_count_y
      - .offset:         56
        .size:           4
        .value_kind:     hidden_block_count_z
      - .offset:         60
        .size:           2
        .value_kind:     hidden_group_size_x
      - .offset:         62
        .size:           2
        .value_kind:     hidden_group_size_y
      - .offset:         64
        .size:           2
        .value_kind:     hidden_group_size_z
      - .offset:         66
        .size:           2
        .value_kind:     hidden_remainder_x
      - .offset:         68
        .size:           2
        .value_kind:     hidden_remainder_y
      - .offset:         70
        .size:           2
        .value_kind:     hidden_remainder_z
      - .offset:         88
        .size:           8
        .value_kind:     hidden_global_offset_x
      - .offset:         96
        .size:           8
        .value_kind:     hidden_global_offset_y
      - .offset:         104
        .size:           8
        .value_kind:     hidden_global_offset_z
      - .offset:         112
        .size:           2
        .value_kind:     hidden_grid_dims
    .group_segment_fixed_size: 0
    .kernarg_segment_align: 8
    .kernarg_segment_size: 304
    .language:       OpenCL C
    .language_version:
      - 2
      - 0
    .max_flat_workgroup_size: 256
    .name:           _ZN7rocprim17ROCPRIM_400000_NS6detail17trampoline_kernelINS0_14default_configENS1_25transform_config_selectorImLb0EEEZNS1_14transform_implILb0ES3_S5_NS0_17constant_iteratorImlEEPmNS0_8identityImEEEE10hipError_tT2_T3_mT4_P12ihipStream_tbEUlT_E_NS1_11comp_targetILNS1_3genE4ELNS1_11target_archE910ELNS1_3gpuE8ELNS1_3repE0EEENS1_30default_config_static_selectorELNS0_4arch9wavefront6targetE1EEEvT1_
    .private_segment_fixed_size: 0
    .sgpr_count:     18
    .sgpr_spill_count: 0
    .symbol:         _ZN7rocprim17ROCPRIM_400000_NS6detail17trampoline_kernelINS0_14default_configENS1_25transform_config_selectorImLb0EEEZNS1_14transform_implILb0ES3_S5_NS0_17constant_iteratorImlEEPmNS0_8identityImEEEE10hipError_tT2_T3_mT4_P12ihipStream_tbEUlT_E_NS1_11comp_targetILNS1_3genE4ELNS1_11target_archE910ELNS1_3gpuE8ELNS1_3repE0EEENS1_30default_config_static_selectorELNS0_4arch9wavefront6targetE1EEEvT1_.kd
    .uniform_work_group_size: 1
    .uses_dynamic_stack: false
    .vgpr_count:     9
    .vgpr_spill_count: 0
    .wavefront_size: 64
  - .agpr_count:     0
    .args:
      - .offset:         0
        .size:           48
        .value_kind:     by_value
    .group_segment_fixed_size: 0
    .kernarg_segment_align: 8
    .kernarg_segment_size: 48
    .language:       OpenCL C
    .language_version:
      - 2
      - 0
    .max_flat_workgroup_size: 128
    .name:           _ZN7rocprim17ROCPRIM_400000_NS6detail17trampoline_kernelINS0_14default_configENS1_25transform_config_selectorImLb0EEEZNS1_14transform_implILb0ES3_S5_NS0_17constant_iteratorImlEEPmNS0_8identityImEEEE10hipError_tT2_T3_mT4_P12ihipStream_tbEUlT_E_NS1_11comp_targetILNS1_3genE3ELNS1_11target_archE908ELNS1_3gpuE7ELNS1_3repE0EEENS1_30default_config_static_selectorELNS0_4arch9wavefront6targetE1EEEvT1_
    .private_segment_fixed_size: 0
    .sgpr_count:     4
    .sgpr_spill_count: 0
    .symbol:         _ZN7rocprim17ROCPRIM_400000_NS6detail17trampoline_kernelINS0_14default_configENS1_25transform_config_selectorImLb0EEEZNS1_14transform_implILb0ES3_S5_NS0_17constant_iteratorImlEEPmNS0_8identityImEEEE10hipError_tT2_T3_mT4_P12ihipStream_tbEUlT_E_NS1_11comp_targetILNS1_3genE3ELNS1_11target_archE908ELNS1_3gpuE7ELNS1_3repE0EEENS1_30default_config_static_selectorELNS0_4arch9wavefront6targetE1EEEvT1_.kd
    .uniform_work_group_size: 1
    .uses_dynamic_stack: false
    .vgpr_count:     0
    .vgpr_spill_count: 0
    .wavefront_size: 64
  - .agpr_count:     0
    .args:
      - .offset:         0
        .size:           48
        .value_kind:     by_value
    .group_segment_fixed_size: 0
    .kernarg_segment_align: 8
    .kernarg_segment_size: 48
    .language:       OpenCL C
    .language_version:
      - 2
      - 0
    .max_flat_workgroup_size: 512
    .name:           _ZN7rocprim17ROCPRIM_400000_NS6detail17trampoline_kernelINS0_14default_configENS1_25transform_config_selectorImLb0EEEZNS1_14transform_implILb0ES3_S5_NS0_17constant_iteratorImlEEPmNS0_8identityImEEEE10hipError_tT2_T3_mT4_P12ihipStream_tbEUlT_E_NS1_11comp_targetILNS1_3genE2ELNS1_11target_archE906ELNS1_3gpuE6ELNS1_3repE0EEENS1_30default_config_static_selectorELNS0_4arch9wavefront6targetE1EEEvT1_
    .private_segment_fixed_size: 0
    .sgpr_count:     4
    .sgpr_spill_count: 0
    .symbol:         _ZN7rocprim17ROCPRIM_400000_NS6detail17trampoline_kernelINS0_14default_configENS1_25transform_config_selectorImLb0EEEZNS1_14transform_implILb0ES3_S5_NS0_17constant_iteratorImlEEPmNS0_8identityImEEEE10hipError_tT2_T3_mT4_P12ihipStream_tbEUlT_E_NS1_11comp_targetILNS1_3genE2ELNS1_11target_archE906ELNS1_3gpuE6ELNS1_3repE0EEENS1_30default_config_static_selectorELNS0_4arch9wavefront6targetE1EEEvT1_.kd
    .uniform_work_group_size: 1
    .uses_dynamic_stack: false
    .vgpr_count:     0
    .vgpr_spill_count: 0
    .wavefront_size: 64
  - .agpr_count:     0
    .args:
      - .offset:         0
        .size:           48
        .value_kind:     by_value
    .group_segment_fixed_size: 0
    .kernarg_segment_align: 8
    .kernarg_segment_size: 48
    .language:       OpenCL C
    .language_version:
      - 2
      - 0
    .max_flat_workgroup_size: 1024
    .name:           _ZN7rocprim17ROCPRIM_400000_NS6detail17trampoline_kernelINS0_14default_configENS1_25transform_config_selectorImLb0EEEZNS1_14transform_implILb0ES3_S5_NS0_17constant_iteratorImlEEPmNS0_8identityImEEEE10hipError_tT2_T3_mT4_P12ihipStream_tbEUlT_E_NS1_11comp_targetILNS1_3genE10ELNS1_11target_archE1201ELNS1_3gpuE5ELNS1_3repE0EEENS1_30default_config_static_selectorELNS0_4arch9wavefront6targetE1EEEvT1_
    .private_segment_fixed_size: 0
    .sgpr_count:     4
    .sgpr_spill_count: 0
    .symbol:         _ZN7rocprim17ROCPRIM_400000_NS6detail17trampoline_kernelINS0_14default_configENS1_25transform_config_selectorImLb0EEEZNS1_14transform_implILb0ES3_S5_NS0_17constant_iteratorImlEEPmNS0_8identityImEEEE10hipError_tT2_T3_mT4_P12ihipStream_tbEUlT_E_NS1_11comp_targetILNS1_3genE10ELNS1_11target_archE1201ELNS1_3gpuE5ELNS1_3repE0EEENS1_30default_config_static_selectorELNS0_4arch9wavefront6targetE1EEEvT1_.kd
    .uniform_work_group_size: 1
    .uses_dynamic_stack: false
    .vgpr_count:     0
    .vgpr_spill_count: 0
    .wavefront_size: 64
  - .agpr_count:     0
    .args:
      - .offset:         0
        .size:           48
        .value_kind:     by_value
    .group_segment_fixed_size: 0
    .kernarg_segment_align: 8
    .kernarg_segment_size: 48
    .language:       OpenCL C
    .language_version:
      - 2
      - 0
    .max_flat_workgroup_size: 512
    .name:           _ZN7rocprim17ROCPRIM_400000_NS6detail17trampoline_kernelINS0_14default_configENS1_25transform_config_selectorImLb0EEEZNS1_14transform_implILb0ES3_S5_NS0_17constant_iteratorImlEEPmNS0_8identityImEEEE10hipError_tT2_T3_mT4_P12ihipStream_tbEUlT_E_NS1_11comp_targetILNS1_3genE10ELNS1_11target_archE1200ELNS1_3gpuE4ELNS1_3repE0EEENS1_30default_config_static_selectorELNS0_4arch9wavefront6targetE1EEEvT1_
    .private_segment_fixed_size: 0
    .sgpr_count:     4
    .sgpr_spill_count: 0
    .symbol:         _ZN7rocprim17ROCPRIM_400000_NS6detail17trampoline_kernelINS0_14default_configENS1_25transform_config_selectorImLb0EEEZNS1_14transform_implILb0ES3_S5_NS0_17constant_iteratorImlEEPmNS0_8identityImEEEE10hipError_tT2_T3_mT4_P12ihipStream_tbEUlT_E_NS1_11comp_targetILNS1_3genE10ELNS1_11target_archE1200ELNS1_3gpuE4ELNS1_3repE0EEENS1_30default_config_static_selectorELNS0_4arch9wavefront6targetE1EEEvT1_.kd
    .uniform_work_group_size: 1
    .uses_dynamic_stack: false
    .vgpr_count:     0
    .vgpr_spill_count: 0
    .wavefront_size: 64
  - .agpr_count:     0
    .args:
      - .offset:         0
        .size:           48
        .value_kind:     by_value
    .group_segment_fixed_size: 0
    .kernarg_segment_align: 8
    .kernarg_segment_size: 48
    .language:       OpenCL C
    .language_version:
      - 2
      - 0
    .max_flat_workgroup_size: 512
    .name:           _ZN7rocprim17ROCPRIM_400000_NS6detail17trampoline_kernelINS0_14default_configENS1_25transform_config_selectorImLb0EEEZNS1_14transform_implILb0ES3_S5_NS0_17constant_iteratorImlEEPmNS0_8identityImEEEE10hipError_tT2_T3_mT4_P12ihipStream_tbEUlT_E_NS1_11comp_targetILNS1_3genE9ELNS1_11target_archE1100ELNS1_3gpuE3ELNS1_3repE0EEENS1_30default_config_static_selectorELNS0_4arch9wavefront6targetE1EEEvT1_
    .private_segment_fixed_size: 0
    .sgpr_count:     4
    .sgpr_spill_count: 0
    .symbol:         _ZN7rocprim17ROCPRIM_400000_NS6detail17trampoline_kernelINS0_14default_configENS1_25transform_config_selectorImLb0EEEZNS1_14transform_implILb0ES3_S5_NS0_17constant_iteratorImlEEPmNS0_8identityImEEEE10hipError_tT2_T3_mT4_P12ihipStream_tbEUlT_E_NS1_11comp_targetILNS1_3genE9ELNS1_11target_archE1100ELNS1_3gpuE3ELNS1_3repE0EEENS1_30default_config_static_selectorELNS0_4arch9wavefront6targetE1EEEvT1_.kd
    .uniform_work_group_size: 1
    .uses_dynamic_stack: false
    .vgpr_count:     0
    .vgpr_spill_count: 0
    .wavefront_size: 64
  - .agpr_count:     0
    .args:
      - .offset:         0
        .size:           48
        .value_kind:     by_value
    .group_segment_fixed_size: 0
    .kernarg_segment_align: 8
    .kernarg_segment_size: 48
    .language:       OpenCL C
    .language_version:
      - 2
      - 0
    .max_flat_workgroup_size: 512
    .name:           _ZN7rocprim17ROCPRIM_400000_NS6detail17trampoline_kernelINS0_14default_configENS1_25transform_config_selectorImLb0EEEZNS1_14transform_implILb0ES3_S5_NS0_17constant_iteratorImlEEPmNS0_8identityImEEEE10hipError_tT2_T3_mT4_P12ihipStream_tbEUlT_E_NS1_11comp_targetILNS1_3genE8ELNS1_11target_archE1030ELNS1_3gpuE2ELNS1_3repE0EEENS1_30default_config_static_selectorELNS0_4arch9wavefront6targetE1EEEvT1_
    .private_segment_fixed_size: 0
    .sgpr_count:     4
    .sgpr_spill_count: 0
    .symbol:         _ZN7rocprim17ROCPRIM_400000_NS6detail17trampoline_kernelINS0_14default_configENS1_25transform_config_selectorImLb0EEEZNS1_14transform_implILb0ES3_S5_NS0_17constant_iteratorImlEEPmNS0_8identityImEEEE10hipError_tT2_T3_mT4_P12ihipStream_tbEUlT_E_NS1_11comp_targetILNS1_3genE8ELNS1_11target_archE1030ELNS1_3gpuE2ELNS1_3repE0EEENS1_30default_config_static_selectorELNS0_4arch9wavefront6targetE1EEEvT1_.kd
    .uniform_work_group_size: 1
    .uses_dynamic_stack: false
    .vgpr_count:     0
    .vgpr_spill_count: 0
    .wavefront_size: 64
  - .agpr_count:     0
    .args:
      - .offset:         0
        .size:           24
        .value_kind:     by_value
      - .offset:         24
        .size:           4
        .value_kind:     by_value
      - .offset:         28
        .size:           1
        .value_kind:     by_value
      - .offset:         32
        .size:           4
        .value_kind:     by_value
      - .address_space:  global
        .offset:         40
        .size:           8
        .value_kind:     global_buffer
      - .address_space:  global
        .offset:         48
        .size:           8
        .value_kind:     global_buffer
      - .offset:         56
        .size:           1
        .value_kind:     by_value
      - .offset:         64
        .size:           4
        .value_kind:     hidden_block_count_x
      - .offset:         68
        .size:           4
        .value_kind:     hidden_block_count_y
      - .offset:         72
        .size:           4
        .value_kind:     hidden_block_count_z
      - .offset:         76
        .size:           2
        .value_kind:     hidden_group_size_x
      - .offset:         78
        .size:           2
        .value_kind:     hidden_group_size_y
      - .offset:         80
        .size:           2
        .value_kind:     hidden_group_size_z
      - .offset:         82
        .size:           2
        .value_kind:     hidden_remainder_x
      - .offset:         84
        .size:           2
        .value_kind:     hidden_remainder_y
      - .offset:         86
        .size:           2
        .value_kind:     hidden_remainder_z
      - .offset:         104
        .size:           8
        .value_kind:     hidden_global_offset_x
      - .offset:         112
        .size:           8
        .value_kind:     hidden_global_offset_y
      - .offset:         120
        .size:           8
        .value_kind:     hidden_global_offset_z
      - .offset:         128
        .size:           2
        .value_kind:     hidden_grid_dims
    .group_segment_fixed_size: 0
    .kernarg_segment_align: 8
    .kernarg_segment_size: 320
    .language:       OpenCL C
    .language_version:
      - 2
      - 0
    .max_flat_workgroup_size: 256
    .name:           _ZN7rocprim17ROCPRIM_400000_NS6detail25reduce_by_key_init_kernelINS1_19lookback_scan_stateINS0_5tupleIJjlEEELb0ELb0EEElNS1_16block_id_wrapperIjLb0EEEEEvT_jbjPmPT0_T1_
    .private_segment_fixed_size: 0
    .sgpr_count:     22
    .sgpr_spill_count: 0
    .symbol:         _ZN7rocprim17ROCPRIM_400000_NS6detail25reduce_by_key_init_kernelINS1_19lookback_scan_stateINS0_5tupleIJjlEEELb0ELb0EEElNS1_16block_id_wrapperIjLb0EEEEEvT_jbjPmPT0_T1_.kd
    .uniform_work_group_size: 1
    .uses_dynamic_stack: false
    .vgpr_count:     7
    .vgpr_spill_count: 0
    .wavefront_size: 64
  - .agpr_count:     0
    .args:
      - .offset:         0
        .size:           144
        .value_kind:     by_value
    .group_segment_fixed_size: 0
    .kernarg_segment_align: 8
    .kernarg_segment_size: 144
    .language:       OpenCL C
    .language_version:
      - 2
      - 0
    .max_flat_workgroup_size: 256
    .name:           _ZN7rocprim17ROCPRIM_400000_NS6detail17trampoline_kernelINS0_14default_configENS1_29reduce_by_key_config_selectorIhlN6thrust23THRUST_200600_302600_NS4plusIlEEEEZZNS1_33reduce_by_key_impl_wrapped_configILNS1_25lookback_scan_determinismE0ES3_S9_PhNS6_17constant_iteratorIiNS6_11use_defaultESE_EENS6_10device_ptrIhEENSG_IlEEPmS8_NS6_8equal_toIhEEEE10hipError_tPvRmT2_T3_mT4_T5_T6_T7_T8_P12ihipStream_tbENKUlT_T0_E_clISt17integral_constantIbLb0EES13_EEDaSY_SZ_EUlSY_E_NS1_11comp_targetILNS1_3genE0ELNS1_11target_archE4294967295ELNS1_3gpuE0ELNS1_3repE0EEENS1_30default_config_static_selectorELNS0_4arch9wavefront6targetE1EEEvT1_
    .private_segment_fixed_size: 0
    .sgpr_count:     4
    .sgpr_spill_count: 0
    .symbol:         _ZN7rocprim17ROCPRIM_400000_NS6detail17trampoline_kernelINS0_14default_configENS1_29reduce_by_key_config_selectorIhlN6thrust23THRUST_200600_302600_NS4plusIlEEEEZZNS1_33reduce_by_key_impl_wrapped_configILNS1_25lookback_scan_determinismE0ES3_S9_PhNS6_17constant_iteratorIiNS6_11use_defaultESE_EENS6_10device_ptrIhEENSG_IlEEPmS8_NS6_8equal_toIhEEEE10hipError_tPvRmT2_T3_mT4_T5_T6_T7_T8_P12ihipStream_tbENKUlT_T0_E_clISt17integral_constantIbLb0EES13_EEDaSY_SZ_EUlSY_E_NS1_11comp_targetILNS1_3genE0ELNS1_11target_archE4294967295ELNS1_3gpuE0ELNS1_3repE0EEENS1_30default_config_static_selectorELNS0_4arch9wavefront6targetE1EEEvT1_.kd
    .uniform_work_group_size: 1
    .uses_dynamic_stack: false
    .vgpr_count:     0
    .vgpr_spill_count: 0
    .wavefront_size: 64
  - .agpr_count:     0
    .args:
      - .offset:         0
        .size:           144
        .value_kind:     by_value
    .group_segment_fixed_size: 0
    .kernarg_segment_align: 8
    .kernarg_segment_size: 144
    .language:       OpenCL C
    .language_version:
      - 2
      - 0
    .max_flat_workgroup_size: 256
    .name:           _ZN7rocprim17ROCPRIM_400000_NS6detail17trampoline_kernelINS0_14default_configENS1_29reduce_by_key_config_selectorIhlN6thrust23THRUST_200600_302600_NS4plusIlEEEEZZNS1_33reduce_by_key_impl_wrapped_configILNS1_25lookback_scan_determinismE0ES3_S9_PhNS6_17constant_iteratorIiNS6_11use_defaultESE_EENS6_10device_ptrIhEENSG_IlEEPmS8_NS6_8equal_toIhEEEE10hipError_tPvRmT2_T3_mT4_T5_T6_T7_T8_P12ihipStream_tbENKUlT_T0_E_clISt17integral_constantIbLb0EES13_EEDaSY_SZ_EUlSY_E_NS1_11comp_targetILNS1_3genE5ELNS1_11target_archE942ELNS1_3gpuE9ELNS1_3repE0EEENS1_30default_config_static_selectorELNS0_4arch9wavefront6targetE1EEEvT1_
    .private_segment_fixed_size: 0
    .sgpr_count:     4
    .sgpr_spill_count: 0
    .symbol:         _ZN7rocprim17ROCPRIM_400000_NS6detail17trampoline_kernelINS0_14default_configENS1_29reduce_by_key_config_selectorIhlN6thrust23THRUST_200600_302600_NS4plusIlEEEEZZNS1_33reduce_by_key_impl_wrapped_configILNS1_25lookback_scan_determinismE0ES3_S9_PhNS6_17constant_iteratorIiNS6_11use_defaultESE_EENS6_10device_ptrIhEENSG_IlEEPmS8_NS6_8equal_toIhEEEE10hipError_tPvRmT2_T3_mT4_T5_T6_T7_T8_P12ihipStream_tbENKUlT_T0_E_clISt17integral_constantIbLb0EES13_EEDaSY_SZ_EUlSY_E_NS1_11comp_targetILNS1_3genE5ELNS1_11target_archE942ELNS1_3gpuE9ELNS1_3repE0EEENS1_30default_config_static_selectorELNS0_4arch9wavefront6targetE1EEEvT1_.kd
    .uniform_work_group_size: 1
    .uses_dynamic_stack: false
    .vgpr_count:     0
    .vgpr_spill_count: 0
    .wavefront_size: 64
  - .agpr_count:     0
    .args:
      - .offset:         0
        .size:           144
        .value_kind:     by_value
    .group_segment_fixed_size: 30720
    .kernarg_segment_align: 8
    .kernarg_segment_size: 144
    .language:       OpenCL C
    .language_version:
      - 2
      - 0
    .max_flat_workgroup_size: 256
    .name:           _ZN7rocprim17ROCPRIM_400000_NS6detail17trampoline_kernelINS0_14default_configENS1_29reduce_by_key_config_selectorIhlN6thrust23THRUST_200600_302600_NS4plusIlEEEEZZNS1_33reduce_by_key_impl_wrapped_configILNS1_25lookback_scan_determinismE0ES3_S9_PhNS6_17constant_iteratorIiNS6_11use_defaultESE_EENS6_10device_ptrIhEENSG_IlEEPmS8_NS6_8equal_toIhEEEE10hipError_tPvRmT2_T3_mT4_T5_T6_T7_T8_P12ihipStream_tbENKUlT_T0_E_clISt17integral_constantIbLb0EES13_EEDaSY_SZ_EUlSY_E_NS1_11comp_targetILNS1_3genE4ELNS1_11target_archE910ELNS1_3gpuE8ELNS1_3repE0EEENS1_30default_config_static_selectorELNS0_4arch9wavefront6targetE1EEEvT1_
    .private_segment_fixed_size: 0
    .sgpr_count:     68
    .sgpr_spill_count: 0
    .symbol:         _ZN7rocprim17ROCPRIM_400000_NS6detail17trampoline_kernelINS0_14default_configENS1_29reduce_by_key_config_selectorIhlN6thrust23THRUST_200600_302600_NS4plusIlEEEEZZNS1_33reduce_by_key_impl_wrapped_configILNS1_25lookback_scan_determinismE0ES3_S9_PhNS6_17constant_iteratorIiNS6_11use_defaultESE_EENS6_10device_ptrIhEENSG_IlEEPmS8_NS6_8equal_toIhEEEE10hipError_tPvRmT2_T3_mT4_T5_T6_T7_T8_P12ihipStream_tbENKUlT_T0_E_clISt17integral_constantIbLb0EES13_EEDaSY_SZ_EUlSY_E_NS1_11comp_targetILNS1_3genE4ELNS1_11target_archE910ELNS1_3gpuE8ELNS1_3repE0EEENS1_30default_config_static_selectorELNS0_4arch9wavefront6targetE1EEEvT1_.kd
    .uniform_work_group_size: 1
    .uses_dynamic_stack: false
    .vgpr_count:     133
    .vgpr_spill_count: 0
    .wavefront_size: 64
  - .agpr_count:     0
    .args:
      - .offset:         0
        .size:           144
        .value_kind:     by_value
    .group_segment_fixed_size: 0
    .kernarg_segment_align: 8
    .kernarg_segment_size: 144
    .language:       OpenCL C
    .language_version:
      - 2
      - 0
    .max_flat_workgroup_size: 256
    .name:           _ZN7rocprim17ROCPRIM_400000_NS6detail17trampoline_kernelINS0_14default_configENS1_29reduce_by_key_config_selectorIhlN6thrust23THRUST_200600_302600_NS4plusIlEEEEZZNS1_33reduce_by_key_impl_wrapped_configILNS1_25lookback_scan_determinismE0ES3_S9_PhNS6_17constant_iteratorIiNS6_11use_defaultESE_EENS6_10device_ptrIhEENSG_IlEEPmS8_NS6_8equal_toIhEEEE10hipError_tPvRmT2_T3_mT4_T5_T6_T7_T8_P12ihipStream_tbENKUlT_T0_E_clISt17integral_constantIbLb0EES13_EEDaSY_SZ_EUlSY_E_NS1_11comp_targetILNS1_3genE3ELNS1_11target_archE908ELNS1_3gpuE7ELNS1_3repE0EEENS1_30default_config_static_selectorELNS0_4arch9wavefront6targetE1EEEvT1_
    .private_segment_fixed_size: 0
    .sgpr_count:     4
    .sgpr_spill_count: 0
    .symbol:         _ZN7rocprim17ROCPRIM_400000_NS6detail17trampoline_kernelINS0_14default_configENS1_29reduce_by_key_config_selectorIhlN6thrust23THRUST_200600_302600_NS4plusIlEEEEZZNS1_33reduce_by_key_impl_wrapped_configILNS1_25lookback_scan_determinismE0ES3_S9_PhNS6_17constant_iteratorIiNS6_11use_defaultESE_EENS6_10device_ptrIhEENSG_IlEEPmS8_NS6_8equal_toIhEEEE10hipError_tPvRmT2_T3_mT4_T5_T6_T7_T8_P12ihipStream_tbENKUlT_T0_E_clISt17integral_constantIbLb0EES13_EEDaSY_SZ_EUlSY_E_NS1_11comp_targetILNS1_3genE3ELNS1_11target_archE908ELNS1_3gpuE7ELNS1_3repE0EEENS1_30default_config_static_selectorELNS0_4arch9wavefront6targetE1EEEvT1_.kd
    .uniform_work_group_size: 1
    .uses_dynamic_stack: false
    .vgpr_count:     0
    .vgpr_spill_count: 0
    .wavefront_size: 64
  - .agpr_count:     0
    .args:
      - .offset:         0
        .size:           144
        .value_kind:     by_value
    .group_segment_fixed_size: 0
    .kernarg_segment_align: 8
    .kernarg_segment_size: 144
    .language:       OpenCL C
    .language_version:
      - 2
      - 0
    .max_flat_workgroup_size: 256
    .name:           _ZN7rocprim17ROCPRIM_400000_NS6detail17trampoline_kernelINS0_14default_configENS1_29reduce_by_key_config_selectorIhlN6thrust23THRUST_200600_302600_NS4plusIlEEEEZZNS1_33reduce_by_key_impl_wrapped_configILNS1_25lookback_scan_determinismE0ES3_S9_PhNS6_17constant_iteratorIiNS6_11use_defaultESE_EENS6_10device_ptrIhEENSG_IlEEPmS8_NS6_8equal_toIhEEEE10hipError_tPvRmT2_T3_mT4_T5_T6_T7_T8_P12ihipStream_tbENKUlT_T0_E_clISt17integral_constantIbLb0EES13_EEDaSY_SZ_EUlSY_E_NS1_11comp_targetILNS1_3genE2ELNS1_11target_archE906ELNS1_3gpuE6ELNS1_3repE0EEENS1_30default_config_static_selectorELNS0_4arch9wavefront6targetE1EEEvT1_
    .private_segment_fixed_size: 0
    .sgpr_count:     4
    .sgpr_spill_count: 0
    .symbol:         _ZN7rocprim17ROCPRIM_400000_NS6detail17trampoline_kernelINS0_14default_configENS1_29reduce_by_key_config_selectorIhlN6thrust23THRUST_200600_302600_NS4plusIlEEEEZZNS1_33reduce_by_key_impl_wrapped_configILNS1_25lookback_scan_determinismE0ES3_S9_PhNS6_17constant_iteratorIiNS6_11use_defaultESE_EENS6_10device_ptrIhEENSG_IlEEPmS8_NS6_8equal_toIhEEEE10hipError_tPvRmT2_T3_mT4_T5_T6_T7_T8_P12ihipStream_tbENKUlT_T0_E_clISt17integral_constantIbLb0EES13_EEDaSY_SZ_EUlSY_E_NS1_11comp_targetILNS1_3genE2ELNS1_11target_archE906ELNS1_3gpuE6ELNS1_3repE0EEENS1_30default_config_static_selectorELNS0_4arch9wavefront6targetE1EEEvT1_.kd
    .uniform_work_group_size: 1
    .uses_dynamic_stack: false
    .vgpr_count:     0
    .vgpr_spill_count: 0
    .wavefront_size: 64
  - .agpr_count:     0
    .args:
      - .offset:         0
        .size:           144
        .value_kind:     by_value
    .group_segment_fixed_size: 0
    .kernarg_segment_align: 8
    .kernarg_segment_size: 144
    .language:       OpenCL C
    .language_version:
      - 2
      - 0
    .max_flat_workgroup_size: 256
    .name:           _ZN7rocprim17ROCPRIM_400000_NS6detail17trampoline_kernelINS0_14default_configENS1_29reduce_by_key_config_selectorIhlN6thrust23THRUST_200600_302600_NS4plusIlEEEEZZNS1_33reduce_by_key_impl_wrapped_configILNS1_25lookback_scan_determinismE0ES3_S9_PhNS6_17constant_iteratorIiNS6_11use_defaultESE_EENS6_10device_ptrIhEENSG_IlEEPmS8_NS6_8equal_toIhEEEE10hipError_tPvRmT2_T3_mT4_T5_T6_T7_T8_P12ihipStream_tbENKUlT_T0_E_clISt17integral_constantIbLb0EES13_EEDaSY_SZ_EUlSY_E_NS1_11comp_targetILNS1_3genE10ELNS1_11target_archE1201ELNS1_3gpuE5ELNS1_3repE0EEENS1_30default_config_static_selectorELNS0_4arch9wavefront6targetE1EEEvT1_
    .private_segment_fixed_size: 0
    .sgpr_count:     4
    .sgpr_spill_count: 0
    .symbol:         _ZN7rocprim17ROCPRIM_400000_NS6detail17trampoline_kernelINS0_14default_configENS1_29reduce_by_key_config_selectorIhlN6thrust23THRUST_200600_302600_NS4plusIlEEEEZZNS1_33reduce_by_key_impl_wrapped_configILNS1_25lookback_scan_determinismE0ES3_S9_PhNS6_17constant_iteratorIiNS6_11use_defaultESE_EENS6_10device_ptrIhEENSG_IlEEPmS8_NS6_8equal_toIhEEEE10hipError_tPvRmT2_T3_mT4_T5_T6_T7_T8_P12ihipStream_tbENKUlT_T0_E_clISt17integral_constantIbLb0EES13_EEDaSY_SZ_EUlSY_E_NS1_11comp_targetILNS1_3genE10ELNS1_11target_archE1201ELNS1_3gpuE5ELNS1_3repE0EEENS1_30default_config_static_selectorELNS0_4arch9wavefront6targetE1EEEvT1_.kd
    .uniform_work_group_size: 1
    .uses_dynamic_stack: false
    .vgpr_count:     0
    .vgpr_spill_count: 0
    .wavefront_size: 64
  - .agpr_count:     0
    .args:
      - .offset:         0
        .size:           144
        .value_kind:     by_value
    .group_segment_fixed_size: 0
    .kernarg_segment_align: 8
    .kernarg_segment_size: 144
    .language:       OpenCL C
    .language_version:
      - 2
      - 0
    .max_flat_workgroup_size: 256
    .name:           _ZN7rocprim17ROCPRIM_400000_NS6detail17trampoline_kernelINS0_14default_configENS1_29reduce_by_key_config_selectorIhlN6thrust23THRUST_200600_302600_NS4plusIlEEEEZZNS1_33reduce_by_key_impl_wrapped_configILNS1_25lookback_scan_determinismE0ES3_S9_PhNS6_17constant_iteratorIiNS6_11use_defaultESE_EENS6_10device_ptrIhEENSG_IlEEPmS8_NS6_8equal_toIhEEEE10hipError_tPvRmT2_T3_mT4_T5_T6_T7_T8_P12ihipStream_tbENKUlT_T0_E_clISt17integral_constantIbLb0EES13_EEDaSY_SZ_EUlSY_E_NS1_11comp_targetILNS1_3genE10ELNS1_11target_archE1200ELNS1_3gpuE4ELNS1_3repE0EEENS1_30default_config_static_selectorELNS0_4arch9wavefront6targetE1EEEvT1_
    .private_segment_fixed_size: 0
    .sgpr_count:     4
    .sgpr_spill_count: 0
    .symbol:         _ZN7rocprim17ROCPRIM_400000_NS6detail17trampoline_kernelINS0_14default_configENS1_29reduce_by_key_config_selectorIhlN6thrust23THRUST_200600_302600_NS4plusIlEEEEZZNS1_33reduce_by_key_impl_wrapped_configILNS1_25lookback_scan_determinismE0ES3_S9_PhNS6_17constant_iteratorIiNS6_11use_defaultESE_EENS6_10device_ptrIhEENSG_IlEEPmS8_NS6_8equal_toIhEEEE10hipError_tPvRmT2_T3_mT4_T5_T6_T7_T8_P12ihipStream_tbENKUlT_T0_E_clISt17integral_constantIbLb0EES13_EEDaSY_SZ_EUlSY_E_NS1_11comp_targetILNS1_3genE10ELNS1_11target_archE1200ELNS1_3gpuE4ELNS1_3repE0EEENS1_30default_config_static_selectorELNS0_4arch9wavefront6targetE1EEEvT1_.kd
    .uniform_work_group_size: 1
    .uses_dynamic_stack: false
    .vgpr_count:     0
    .vgpr_spill_count: 0
    .wavefront_size: 64
  - .agpr_count:     0
    .args:
      - .offset:         0
        .size:           144
        .value_kind:     by_value
    .group_segment_fixed_size: 0
    .kernarg_segment_align: 8
    .kernarg_segment_size: 144
    .language:       OpenCL C
    .language_version:
      - 2
      - 0
    .max_flat_workgroup_size: 256
    .name:           _ZN7rocprim17ROCPRIM_400000_NS6detail17trampoline_kernelINS0_14default_configENS1_29reduce_by_key_config_selectorIhlN6thrust23THRUST_200600_302600_NS4plusIlEEEEZZNS1_33reduce_by_key_impl_wrapped_configILNS1_25lookback_scan_determinismE0ES3_S9_PhNS6_17constant_iteratorIiNS6_11use_defaultESE_EENS6_10device_ptrIhEENSG_IlEEPmS8_NS6_8equal_toIhEEEE10hipError_tPvRmT2_T3_mT4_T5_T6_T7_T8_P12ihipStream_tbENKUlT_T0_E_clISt17integral_constantIbLb0EES13_EEDaSY_SZ_EUlSY_E_NS1_11comp_targetILNS1_3genE9ELNS1_11target_archE1100ELNS1_3gpuE3ELNS1_3repE0EEENS1_30default_config_static_selectorELNS0_4arch9wavefront6targetE1EEEvT1_
    .private_segment_fixed_size: 0
    .sgpr_count:     4
    .sgpr_spill_count: 0
    .symbol:         _ZN7rocprim17ROCPRIM_400000_NS6detail17trampoline_kernelINS0_14default_configENS1_29reduce_by_key_config_selectorIhlN6thrust23THRUST_200600_302600_NS4plusIlEEEEZZNS1_33reduce_by_key_impl_wrapped_configILNS1_25lookback_scan_determinismE0ES3_S9_PhNS6_17constant_iteratorIiNS6_11use_defaultESE_EENS6_10device_ptrIhEENSG_IlEEPmS8_NS6_8equal_toIhEEEE10hipError_tPvRmT2_T3_mT4_T5_T6_T7_T8_P12ihipStream_tbENKUlT_T0_E_clISt17integral_constantIbLb0EES13_EEDaSY_SZ_EUlSY_E_NS1_11comp_targetILNS1_3genE9ELNS1_11target_archE1100ELNS1_3gpuE3ELNS1_3repE0EEENS1_30default_config_static_selectorELNS0_4arch9wavefront6targetE1EEEvT1_.kd
    .uniform_work_group_size: 1
    .uses_dynamic_stack: false
    .vgpr_count:     0
    .vgpr_spill_count: 0
    .wavefront_size: 64
  - .agpr_count:     0
    .args:
      - .offset:         0
        .size:           144
        .value_kind:     by_value
    .group_segment_fixed_size: 0
    .kernarg_segment_align: 8
    .kernarg_segment_size: 144
    .language:       OpenCL C
    .language_version:
      - 2
      - 0
    .max_flat_workgroup_size: 256
    .name:           _ZN7rocprim17ROCPRIM_400000_NS6detail17trampoline_kernelINS0_14default_configENS1_29reduce_by_key_config_selectorIhlN6thrust23THRUST_200600_302600_NS4plusIlEEEEZZNS1_33reduce_by_key_impl_wrapped_configILNS1_25lookback_scan_determinismE0ES3_S9_PhNS6_17constant_iteratorIiNS6_11use_defaultESE_EENS6_10device_ptrIhEENSG_IlEEPmS8_NS6_8equal_toIhEEEE10hipError_tPvRmT2_T3_mT4_T5_T6_T7_T8_P12ihipStream_tbENKUlT_T0_E_clISt17integral_constantIbLb0EES13_EEDaSY_SZ_EUlSY_E_NS1_11comp_targetILNS1_3genE8ELNS1_11target_archE1030ELNS1_3gpuE2ELNS1_3repE0EEENS1_30default_config_static_selectorELNS0_4arch9wavefront6targetE1EEEvT1_
    .private_segment_fixed_size: 0
    .sgpr_count:     4
    .sgpr_spill_count: 0
    .symbol:         _ZN7rocprim17ROCPRIM_400000_NS6detail17trampoline_kernelINS0_14default_configENS1_29reduce_by_key_config_selectorIhlN6thrust23THRUST_200600_302600_NS4plusIlEEEEZZNS1_33reduce_by_key_impl_wrapped_configILNS1_25lookback_scan_determinismE0ES3_S9_PhNS6_17constant_iteratorIiNS6_11use_defaultESE_EENS6_10device_ptrIhEENSG_IlEEPmS8_NS6_8equal_toIhEEEE10hipError_tPvRmT2_T3_mT4_T5_T6_T7_T8_P12ihipStream_tbENKUlT_T0_E_clISt17integral_constantIbLb0EES13_EEDaSY_SZ_EUlSY_E_NS1_11comp_targetILNS1_3genE8ELNS1_11target_archE1030ELNS1_3gpuE2ELNS1_3repE0EEENS1_30default_config_static_selectorELNS0_4arch9wavefront6targetE1EEEvT1_.kd
    .uniform_work_group_size: 1
    .uses_dynamic_stack: false
    .vgpr_count:     0
    .vgpr_spill_count: 0
    .wavefront_size: 64
  - .agpr_count:     0
    .args:
      - .offset:         0
        .size:           24
        .value_kind:     by_value
      - .offset:         24
        .size:           4
        .value_kind:     by_value
      - .offset:         28
        .size:           1
        .value_kind:     by_value
      - .offset:         32
        .size:           4
        .value_kind:     by_value
      - .address_space:  global
        .offset:         40
        .size:           8
        .value_kind:     global_buffer
      - .address_space:  global
        .offset:         48
        .size:           8
        .value_kind:     global_buffer
      - .address_space:  global
        .offset:         56
        .size:           8
        .value_kind:     global_buffer
      - .offset:         64
        .size:           4
        .value_kind:     hidden_block_count_x
      - .offset:         68
        .size:           4
        .value_kind:     hidden_block_count_y
      - .offset:         72
        .size:           4
        .value_kind:     hidden_block_count_z
      - .offset:         76
        .size:           2
        .value_kind:     hidden_group_size_x
      - .offset:         78
        .size:           2
        .value_kind:     hidden_group_size_y
      - .offset:         80
        .size:           2
        .value_kind:     hidden_group_size_z
      - .offset:         82
        .size:           2
        .value_kind:     hidden_remainder_x
      - .offset:         84
        .size:           2
        .value_kind:     hidden_remainder_y
      - .offset:         86
        .size:           2
        .value_kind:     hidden_remainder_z
      - .offset:         104
        .size:           8
        .value_kind:     hidden_global_offset_x
      - .offset:         112
        .size:           8
        .value_kind:     hidden_global_offset_y
      - .offset:         120
        .size:           8
        .value_kind:     hidden_global_offset_z
      - .offset:         128
        .size:           2
        .value_kind:     hidden_grid_dims
    .group_segment_fixed_size: 0
    .kernarg_segment_align: 8
    .kernarg_segment_size: 320
    .language:       OpenCL C
    .language_version:
      - 2
      - 0
    .max_flat_workgroup_size: 256
    .name:           _ZN7rocprim17ROCPRIM_400000_NS6detail25reduce_by_key_init_kernelINS1_19lookback_scan_stateINS0_5tupleIJjlEEELb1ELb0EEElNS1_16block_id_wrapperIjLb1EEEEEvT_jbjPmPT0_T1_
    .private_segment_fixed_size: 0
    .sgpr_count:     26
    .sgpr_spill_count: 0
    .symbol:         _ZN7rocprim17ROCPRIM_400000_NS6detail25reduce_by_key_init_kernelINS1_19lookback_scan_stateINS0_5tupleIJjlEEELb1ELb0EEElNS1_16block_id_wrapperIjLb1EEEEEvT_jbjPmPT0_T1_.kd
    .uniform_work_group_size: 1
    .uses_dynamic_stack: false
    .vgpr_count:     7
    .vgpr_spill_count: 0
    .wavefront_size: 64
  - .agpr_count:     0
    .args:
      - .offset:         0
        .size:           144
        .value_kind:     by_value
    .group_segment_fixed_size: 0
    .kernarg_segment_align: 8
    .kernarg_segment_size: 144
    .language:       OpenCL C
    .language_version:
      - 2
      - 0
    .max_flat_workgroup_size: 256
    .name:           _ZN7rocprim17ROCPRIM_400000_NS6detail17trampoline_kernelINS0_14default_configENS1_29reduce_by_key_config_selectorIhlN6thrust23THRUST_200600_302600_NS4plusIlEEEEZZNS1_33reduce_by_key_impl_wrapped_configILNS1_25lookback_scan_determinismE0ES3_S9_PhNS6_17constant_iteratorIiNS6_11use_defaultESE_EENS6_10device_ptrIhEENSG_IlEEPmS8_NS6_8equal_toIhEEEE10hipError_tPvRmT2_T3_mT4_T5_T6_T7_T8_P12ihipStream_tbENKUlT_T0_E_clISt17integral_constantIbLb1EES13_EEDaSY_SZ_EUlSY_E_NS1_11comp_targetILNS1_3genE0ELNS1_11target_archE4294967295ELNS1_3gpuE0ELNS1_3repE0EEENS1_30default_config_static_selectorELNS0_4arch9wavefront6targetE1EEEvT1_
    .private_segment_fixed_size: 0
    .sgpr_count:     4
    .sgpr_spill_count: 0
    .symbol:         _ZN7rocprim17ROCPRIM_400000_NS6detail17trampoline_kernelINS0_14default_configENS1_29reduce_by_key_config_selectorIhlN6thrust23THRUST_200600_302600_NS4plusIlEEEEZZNS1_33reduce_by_key_impl_wrapped_configILNS1_25lookback_scan_determinismE0ES3_S9_PhNS6_17constant_iteratorIiNS6_11use_defaultESE_EENS6_10device_ptrIhEENSG_IlEEPmS8_NS6_8equal_toIhEEEE10hipError_tPvRmT2_T3_mT4_T5_T6_T7_T8_P12ihipStream_tbENKUlT_T0_E_clISt17integral_constantIbLb1EES13_EEDaSY_SZ_EUlSY_E_NS1_11comp_targetILNS1_3genE0ELNS1_11target_archE4294967295ELNS1_3gpuE0ELNS1_3repE0EEENS1_30default_config_static_selectorELNS0_4arch9wavefront6targetE1EEEvT1_.kd
    .uniform_work_group_size: 1
    .uses_dynamic_stack: false
    .vgpr_count:     0
    .vgpr_spill_count: 0
    .wavefront_size: 64
  - .agpr_count:     0
    .args:
      - .offset:         0
        .size:           144
        .value_kind:     by_value
    .group_segment_fixed_size: 0
    .kernarg_segment_align: 8
    .kernarg_segment_size: 144
    .language:       OpenCL C
    .language_version:
      - 2
      - 0
    .max_flat_workgroup_size: 256
    .name:           _ZN7rocprim17ROCPRIM_400000_NS6detail17trampoline_kernelINS0_14default_configENS1_29reduce_by_key_config_selectorIhlN6thrust23THRUST_200600_302600_NS4plusIlEEEEZZNS1_33reduce_by_key_impl_wrapped_configILNS1_25lookback_scan_determinismE0ES3_S9_PhNS6_17constant_iteratorIiNS6_11use_defaultESE_EENS6_10device_ptrIhEENSG_IlEEPmS8_NS6_8equal_toIhEEEE10hipError_tPvRmT2_T3_mT4_T5_T6_T7_T8_P12ihipStream_tbENKUlT_T0_E_clISt17integral_constantIbLb1EES13_EEDaSY_SZ_EUlSY_E_NS1_11comp_targetILNS1_3genE5ELNS1_11target_archE942ELNS1_3gpuE9ELNS1_3repE0EEENS1_30default_config_static_selectorELNS0_4arch9wavefront6targetE1EEEvT1_
    .private_segment_fixed_size: 0
    .sgpr_count:     4
    .sgpr_spill_count: 0
    .symbol:         _ZN7rocprim17ROCPRIM_400000_NS6detail17trampoline_kernelINS0_14default_configENS1_29reduce_by_key_config_selectorIhlN6thrust23THRUST_200600_302600_NS4plusIlEEEEZZNS1_33reduce_by_key_impl_wrapped_configILNS1_25lookback_scan_determinismE0ES3_S9_PhNS6_17constant_iteratorIiNS6_11use_defaultESE_EENS6_10device_ptrIhEENSG_IlEEPmS8_NS6_8equal_toIhEEEE10hipError_tPvRmT2_T3_mT4_T5_T6_T7_T8_P12ihipStream_tbENKUlT_T0_E_clISt17integral_constantIbLb1EES13_EEDaSY_SZ_EUlSY_E_NS1_11comp_targetILNS1_3genE5ELNS1_11target_archE942ELNS1_3gpuE9ELNS1_3repE0EEENS1_30default_config_static_selectorELNS0_4arch9wavefront6targetE1EEEvT1_.kd
    .uniform_work_group_size: 1
    .uses_dynamic_stack: false
    .vgpr_count:     0
    .vgpr_spill_count: 0
    .wavefront_size: 64
  - .agpr_count:     0
    .args:
      - .offset:         0
        .size:           144
        .value_kind:     by_value
    .group_segment_fixed_size: 30720
    .kernarg_segment_align: 8
    .kernarg_segment_size: 144
    .language:       OpenCL C
    .language_version:
      - 2
      - 0
    .max_flat_workgroup_size: 256
    .name:           _ZN7rocprim17ROCPRIM_400000_NS6detail17trampoline_kernelINS0_14default_configENS1_29reduce_by_key_config_selectorIhlN6thrust23THRUST_200600_302600_NS4plusIlEEEEZZNS1_33reduce_by_key_impl_wrapped_configILNS1_25lookback_scan_determinismE0ES3_S9_PhNS6_17constant_iteratorIiNS6_11use_defaultESE_EENS6_10device_ptrIhEENSG_IlEEPmS8_NS6_8equal_toIhEEEE10hipError_tPvRmT2_T3_mT4_T5_T6_T7_T8_P12ihipStream_tbENKUlT_T0_E_clISt17integral_constantIbLb1EES13_EEDaSY_SZ_EUlSY_E_NS1_11comp_targetILNS1_3genE4ELNS1_11target_archE910ELNS1_3gpuE8ELNS1_3repE0EEENS1_30default_config_static_selectorELNS0_4arch9wavefront6targetE1EEEvT1_
    .private_segment_fixed_size: 0
    .sgpr_count:     69
    .sgpr_spill_count: 0
    .symbol:         _ZN7rocprim17ROCPRIM_400000_NS6detail17trampoline_kernelINS0_14default_configENS1_29reduce_by_key_config_selectorIhlN6thrust23THRUST_200600_302600_NS4plusIlEEEEZZNS1_33reduce_by_key_impl_wrapped_configILNS1_25lookback_scan_determinismE0ES3_S9_PhNS6_17constant_iteratorIiNS6_11use_defaultESE_EENS6_10device_ptrIhEENSG_IlEEPmS8_NS6_8equal_toIhEEEE10hipError_tPvRmT2_T3_mT4_T5_T6_T7_T8_P12ihipStream_tbENKUlT_T0_E_clISt17integral_constantIbLb1EES13_EEDaSY_SZ_EUlSY_E_NS1_11comp_targetILNS1_3genE4ELNS1_11target_archE910ELNS1_3gpuE8ELNS1_3repE0EEENS1_30default_config_static_selectorELNS0_4arch9wavefront6targetE1EEEvT1_.kd
    .uniform_work_group_size: 1
    .uses_dynamic_stack: false
    .vgpr_count:     133
    .vgpr_spill_count: 0
    .wavefront_size: 64
  - .agpr_count:     0
    .args:
      - .offset:         0
        .size:           144
        .value_kind:     by_value
    .group_segment_fixed_size: 0
    .kernarg_segment_align: 8
    .kernarg_segment_size: 144
    .language:       OpenCL C
    .language_version:
      - 2
      - 0
    .max_flat_workgroup_size: 256
    .name:           _ZN7rocprim17ROCPRIM_400000_NS6detail17trampoline_kernelINS0_14default_configENS1_29reduce_by_key_config_selectorIhlN6thrust23THRUST_200600_302600_NS4plusIlEEEEZZNS1_33reduce_by_key_impl_wrapped_configILNS1_25lookback_scan_determinismE0ES3_S9_PhNS6_17constant_iteratorIiNS6_11use_defaultESE_EENS6_10device_ptrIhEENSG_IlEEPmS8_NS6_8equal_toIhEEEE10hipError_tPvRmT2_T3_mT4_T5_T6_T7_T8_P12ihipStream_tbENKUlT_T0_E_clISt17integral_constantIbLb1EES13_EEDaSY_SZ_EUlSY_E_NS1_11comp_targetILNS1_3genE3ELNS1_11target_archE908ELNS1_3gpuE7ELNS1_3repE0EEENS1_30default_config_static_selectorELNS0_4arch9wavefront6targetE1EEEvT1_
    .private_segment_fixed_size: 0
    .sgpr_count:     4
    .sgpr_spill_count: 0
    .symbol:         _ZN7rocprim17ROCPRIM_400000_NS6detail17trampoline_kernelINS0_14default_configENS1_29reduce_by_key_config_selectorIhlN6thrust23THRUST_200600_302600_NS4plusIlEEEEZZNS1_33reduce_by_key_impl_wrapped_configILNS1_25lookback_scan_determinismE0ES3_S9_PhNS6_17constant_iteratorIiNS6_11use_defaultESE_EENS6_10device_ptrIhEENSG_IlEEPmS8_NS6_8equal_toIhEEEE10hipError_tPvRmT2_T3_mT4_T5_T6_T7_T8_P12ihipStream_tbENKUlT_T0_E_clISt17integral_constantIbLb1EES13_EEDaSY_SZ_EUlSY_E_NS1_11comp_targetILNS1_3genE3ELNS1_11target_archE908ELNS1_3gpuE7ELNS1_3repE0EEENS1_30default_config_static_selectorELNS0_4arch9wavefront6targetE1EEEvT1_.kd
    .uniform_work_group_size: 1
    .uses_dynamic_stack: false
    .vgpr_count:     0
    .vgpr_spill_count: 0
    .wavefront_size: 64
  - .agpr_count:     0
    .args:
      - .offset:         0
        .size:           144
        .value_kind:     by_value
    .group_segment_fixed_size: 0
    .kernarg_segment_align: 8
    .kernarg_segment_size: 144
    .language:       OpenCL C
    .language_version:
      - 2
      - 0
    .max_flat_workgroup_size: 256
    .name:           _ZN7rocprim17ROCPRIM_400000_NS6detail17trampoline_kernelINS0_14default_configENS1_29reduce_by_key_config_selectorIhlN6thrust23THRUST_200600_302600_NS4plusIlEEEEZZNS1_33reduce_by_key_impl_wrapped_configILNS1_25lookback_scan_determinismE0ES3_S9_PhNS6_17constant_iteratorIiNS6_11use_defaultESE_EENS6_10device_ptrIhEENSG_IlEEPmS8_NS6_8equal_toIhEEEE10hipError_tPvRmT2_T3_mT4_T5_T6_T7_T8_P12ihipStream_tbENKUlT_T0_E_clISt17integral_constantIbLb1EES13_EEDaSY_SZ_EUlSY_E_NS1_11comp_targetILNS1_3genE2ELNS1_11target_archE906ELNS1_3gpuE6ELNS1_3repE0EEENS1_30default_config_static_selectorELNS0_4arch9wavefront6targetE1EEEvT1_
    .private_segment_fixed_size: 0
    .sgpr_count:     4
    .sgpr_spill_count: 0
    .symbol:         _ZN7rocprim17ROCPRIM_400000_NS6detail17trampoline_kernelINS0_14default_configENS1_29reduce_by_key_config_selectorIhlN6thrust23THRUST_200600_302600_NS4plusIlEEEEZZNS1_33reduce_by_key_impl_wrapped_configILNS1_25lookback_scan_determinismE0ES3_S9_PhNS6_17constant_iteratorIiNS6_11use_defaultESE_EENS6_10device_ptrIhEENSG_IlEEPmS8_NS6_8equal_toIhEEEE10hipError_tPvRmT2_T3_mT4_T5_T6_T7_T8_P12ihipStream_tbENKUlT_T0_E_clISt17integral_constantIbLb1EES13_EEDaSY_SZ_EUlSY_E_NS1_11comp_targetILNS1_3genE2ELNS1_11target_archE906ELNS1_3gpuE6ELNS1_3repE0EEENS1_30default_config_static_selectorELNS0_4arch9wavefront6targetE1EEEvT1_.kd
    .uniform_work_group_size: 1
    .uses_dynamic_stack: false
    .vgpr_count:     0
    .vgpr_spill_count: 0
    .wavefront_size: 64
  - .agpr_count:     0
    .args:
      - .offset:         0
        .size:           144
        .value_kind:     by_value
    .group_segment_fixed_size: 0
    .kernarg_segment_align: 8
    .kernarg_segment_size: 144
    .language:       OpenCL C
    .language_version:
      - 2
      - 0
    .max_flat_workgroup_size: 256
    .name:           _ZN7rocprim17ROCPRIM_400000_NS6detail17trampoline_kernelINS0_14default_configENS1_29reduce_by_key_config_selectorIhlN6thrust23THRUST_200600_302600_NS4plusIlEEEEZZNS1_33reduce_by_key_impl_wrapped_configILNS1_25lookback_scan_determinismE0ES3_S9_PhNS6_17constant_iteratorIiNS6_11use_defaultESE_EENS6_10device_ptrIhEENSG_IlEEPmS8_NS6_8equal_toIhEEEE10hipError_tPvRmT2_T3_mT4_T5_T6_T7_T8_P12ihipStream_tbENKUlT_T0_E_clISt17integral_constantIbLb1EES13_EEDaSY_SZ_EUlSY_E_NS1_11comp_targetILNS1_3genE10ELNS1_11target_archE1201ELNS1_3gpuE5ELNS1_3repE0EEENS1_30default_config_static_selectorELNS0_4arch9wavefront6targetE1EEEvT1_
    .private_segment_fixed_size: 0
    .sgpr_count:     4
    .sgpr_spill_count: 0
    .symbol:         _ZN7rocprim17ROCPRIM_400000_NS6detail17trampoline_kernelINS0_14default_configENS1_29reduce_by_key_config_selectorIhlN6thrust23THRUST_200600_302600_NS4plusIlEEEEZZNS1_33reduce_by_key_impl_wrapped_configILNS1_25lookback_scan_determinismE0ES3_S9_PhNS6_17constant_iteratorIiNS6_11use_defaultESE_EENS6_10device_ptrIhEENSG_IlEEPmS8_NS6_8equal_toIhEEEE10hipError_tPvRmT2_T3_mT4_T5_T6_T7_T8_P12ihipStream_tbENKUlT_T0_E_clISt17integral_constantIbLb1EES13_EEDaSY_SZ_EUlSY_E_NS1_11comp_targetILNS1_3genE10ELNS1_11target_archE1201ELNS1_3gpuE5ELNS1_3repE0EEENS1_30default_config_static_selectorELNS0_4arch9wavefront6targetE1EEEvT1_.kd
    .uniform_work_group_size: 1
    .uses_dynamic_stack: false
    .vgpr_count:     0
    .vgpr_spill_count: 0
    .wavefront_size: 64
  - .agpr_count:     0
    .args:
      - .offset:         0
        .size:           144
        .value_kind:     by_value
    .group_segment_fixed_size: 0
    .kernarg_segment_align: 8
    .kernarg_segment_size: 144
    .language:       OpenCL C
    .language_version:
      - 2
      - 0
    .max_flat_workgroup_size: 256
    .name:           _ZN7rocprim17ROCPRIM_400000_NS6detail17trampoline_kernelINS0_14default_configENS1_29reduce_by_key_config_selectorIhlN6thrust23THRUST_200600_302600_NS4plusIlEEEEZZNS1_33reduce_by_key_impl_wrapped_configILNS1_25lookback_scan_determinismE0ES3_S9_PhNS6_17constant_iteratorIiNS6_11use_defaultESE_EENS6_10device_ptrIhEENSG_IlEEPmS8_NS6_8equal_toIhEEEE10hipError_tPvRmT2_T3_mT4_T5_T6_T7_T8_P12ihipStream_tbENKUlT_T0_E_clISt17integral_constantIbLb1EES13_EEDaSY_SZ_EUlSY_E_NS1_11comp_targetILNS1_3genE10ELNS1_11target_archE1200ELNS1_3gpuE4ELNS1_3repE0EEENS1_30default_config_static_selectorELNS0_4arch9wavefront6targetE1EEEvT1_
    .private_segment_fixed_size: 0
    .sgpr_count:     4
    .sgpr_spill_count: 0
    .symbol:         _ZN7rocprim17ROCPRIM_400000_NS6detail17trampoline_kernelINS0_14default_configENS1_29reduce_by_key_config_selectorIhlN6thrust23THRUST_200600_302600_NS4plusIlEEEEZZNS1_33reduce_by_key_impl_wrapped_configILNS1_25lookback_scan_determinismE0ES3_S9_PhNS6_17constant_iteratorIiNS6_11use_defaultESE_EENS6_10device_ptrIhEENSG_IlEEPmS8_NS6_8equal_toIhEEEE10hipError_tPvRmT2_T3_mT4_T5_T6_T7_T8_P12ihipStream_tbENKUlT_T0_E_clISt17integral_constantIbLb1EES13_EEDaSY_SZ_EUlSY_E_NS1_11comp_targetILNS1_3genE10ELNS1_11target_archE1200ELNS1_3gpuE4ELNS1_3repE0EEENS1_30default_config_static_selectorELNS0_4arch9wavefront6targetE1EEEvT1_.kd
    .uniform_work_group_size: 1
    .uses_dynamic_stack: false
    .vgpr_count:     0
    .vgpr_spill_count: 0
    .wavefront_size: 64
  - .agpr_count:     0
    .args:
      - .offset:         0
        .size:           144
        .value_kind:     by_value
    .group_segment_fixed_size: 0
    .kernarg_segment_align: 8
    .kernarg_segment_size: 144
    .language:       OpenCL C
    .language_version:
      - 2
      - 0
    .max_flat_workgroup_size: 256
    .name:           _ZN7rocprim17ROCPRIM_400000_NS6detail17trampoline_kernelINS0_14default_configENS1_29reduce_by_key_config_selectorIhlN6thrust23THRUST_200600_302600_NS4plusIlEEEEZZNS1_33reduce_by_key_impl_wrapped_configILNS1_25lookback_scan_determinismE0ES3_S9_PhNS6_17constant_iteratorIiNS6_11use_defaultESE_EENS6_10device_ptrIhEENSG_IlEEPmS8_NS6_8equal_toIhEEEE10hipError_tPvRmT2_T3_mT4_T5_T6_T7_T8_P12ihipStream_tbENKUlT_T0_E_clISt17integral_constantIbLb1EES13_EEDaSY_SZ_EUlSY_E_NS1_11comp_targetILNS1_3genE9ELNS1_11target_archE1100ELNS1_3gpuE3ELNS1_3repE0EEENS1_30default_config_static_selectorELNS0_4arch9wavefront6targetE1EEEvT1_
    .private_segment_fixed_size: 0
    .sgpr_count:     4
    .sgpr_spill_count: 0
    .symbol:         _ZN7rocprim17ROCPRIM_400000_NS6detail17trampoline_kernelINS0_14default_configENS1_29reduce_by_key_config_selectorIhlN6thrust23THRUST_200600_302600_NS4plusIlEEEEZZNS1_33reduce_by_key_impl_wrapped_configILNS1_25lookback_scan_determinismE0ES3_S9_PhNS6_17constant_iteratorIiNS6_11use_defaultESE_EENS6_10device_ptrIhEENSG_IlEEPmS8_NS6_8equal_toIhEEEE10hipError_tPvRmT2_T3_mT4_T5_T6_T7_T8_P12ihipStream_tbENKUlT_T0_E_clISt17integral_constantIbLb1EES13_EEDaSY_SZ_EUlSY_E_NS1_11comp_targetILNS1_3genE9ELNS1_11target_archE1100ELNS1_3gpuE3ELNS1_3repE0EEENS1_30default_config_static_selectorELNS0_4arch9wavefront6targetE1EEEvT1_.kd
    .uniform_work_group_size: 1
    .uses_dynamic_stack: false
    .vgpr_count:     0
    .vgpr_spill_count: 0
    .wavefront_size: 64
  - .agpr_count:     0
    .args:
      - .offset:         0
        .size:           144
        .value_kind:     by_value
    .group_segment_fixed_size: 0
    .kernarg_segment_align: 8
    .kernarg_segment_size: 144
    .language:       OpenCL C
    .language_version:
      - 2
      - 0
    .max_flat_workgroup_size: 256
    .name:           _ZN7rocprim17ROCPRIM_400000_NS6detail17trampoline_kernelINS0_14default_configENS1_29reduce_by_key_config_selectorIhlN6thrust23THRUST_200600_302600_NS4plusIlEEEEZZNS1_33reduce_by_key_impl_wrapped_configILNS1_25lookback_scan_determinismE0ES3_S9_PhNS6_17constant_iteratorIiNS6_11use_defaultESE_EENS6_10device_ptrIhEENSG_IlEEPmS8_NS6_8equal_toIhEEEE10hipError_tPvRmT2_T3_mT4_T5_T6_T7_T8_P12ihipStream_tbENKUlT_T0_E_clISt17integral_constantIbLb1EES13_EEDaSY_SZ_EUlSY_E_NS1_11comp_targetILNS1_3genE8ELNS1_11target_archE1030ELNS1_3gpuE2ELNS1_3repE0EEENS1_30default_config_static_selectorELNS0_4arch9wavefront6targetE1EEEvT1_
    .private_segment_fixed_size: 0
    .sgpr_count:     4
    .sgpr_spill_count: 0
    .symbol:         _ZN7rocprim17ROCPRIM_400000_NS6detail17trampoline_kernelINS0_14default_configENS1_29reduce_by_key_config_selectorIhlN6thrust23THRUST_200600_302600_NS4plusIlEEEEZZNS1_33reduce_by_key_impl_wrapped_configILNS1_25lookback_scan_determinismE0ES3_S9_PhNS6_17constant_iteratorIiNS6_11use_defaultESE_EENS6_10device_ptrIhEENSG_IlEEPmS8_NS6_8equal_toIhEEEE10hipError_tPvRmT2_T3_mT4_T5_T6_T7_T8_P12ihipStream_tbENKUlT_T0_E_clISt17integral_constantIbLb1EES13_EEDaSY_SZ_EUlSY_E_NS1_11comp_targetILNS1_3genE8ELNS1_11target_archE1030ELNS1_3gpuE2ELNS1_3repE0EEENS1_30default_config_static_selectorELNS0_4arch9wavefront6targetE1EEEvT1_.kd
    .uniform_work_group_size: 1
    .uses_dynamic_stack: false
    .vgpr_count:     0
    .vgpr_spill_count: 0
    .wavefront_size: 64
  - .agpr_count:     0
    .args:
      - .offset:         0
        .size:           24
        .value_kind:     by_value
      - .offset:         24
        .size:           4
        .value_kind:     by_value
      - .offset:         28
        .size:           1
        .value_kind:     by_value
      - .offset:         32
        .size:           4
        .value_kind:     by_value
      - .address_space:  global
        .offset:         40
        .size:           8
        .value_kind:     global_buffer
      - .address_space:  global
        .offset:         48
        .size:           8
        .value_kind:     global_buffer
      - .offset:         56
        .size:           1
        .value_kind:     by_value
      - .offset:         64
        .size:           4
        .value_kind:     hidden_block_count_x
      - .offset:         68
        .size:           4
        .value_kind:     hidden_block_count_y
      - .offset:         72
        .size:           4
        .value_kind:     hidden_block_count_z
      - .offset:         76
        .size:           2
        .value_kind:     hidden_group_size_x
      - .offset:         78
        .size:           2
        .value_kind:     hidden_group_size_y
      - .offset:         80
        .size:           2
        .value_kind:     hidden_group_size_z
      - .offset:         82
        .size:           2
        .value_kind:     hidden_remainder_x
      - .offset:         84
        .size:           2
        .value_kind:     hidden_remainder_y
      - .offset:         86
        .size:           2
        .value_kind:     hidden_remainder_z
      - .offset:         104
        .size:           8
        .value_kind:     hidden_global_offset_x
      - .offset:         112
        .size:           8
        .value_kind:     hidden_global_offset_y
      - .offset:         120
        .size:           8
        .value_kind:     hidden_global_offset_z
      - .offset:         128
        .size:           2
        .value_kind:     hidden_grid_dims
    .group_segment_fixed_size: 0
    .kernarg_segment_align: 8
    .kernarg_segment_size: 320
    .language:       OpenCL C
    .language_version:
      - 2
      - 0
    .max_flat_workgroup_size: 256
    .name:           _ZN7rocprim17ROCPRIM_400000_NS6detail25reduce_by_key_init_kernelINS1_19lookback_scan_stateINS0_5tupleIJjlEEELb1ELb0EEElNS1_16block_id_wrapperIjLb0EEEEEvT_jbjPmPT0_T1_
    .private_segment_fixed_size: 0
    .sgpr_count:     24
    .sgpr_spill_count: 0
    .symbol:         _ZN7rocprim17ROCPRIM_400000_NS6detail25reduce_by_key_init_kernelINS1_19lookback_scan_stateINS0_5tupleIJjlEEELb1ELb0EEElNS1_16block_id_wrapperIjLb0EEEEEvT_jbjPmPT0_T1_.kd
    .uniform_work_group_size: 1
    .uses_dynamic_stack: false
    .vgpr_count:     7
    .vgpr_spill_count: 0
    .wavefront_size: 64
  - .agpr_count:     0
    .args:
      - .offset:         0
        .size:           144
        .value_kind:     by_value
    .group_segment_fixed_size: 0
    .kernarg_segment_align: 8
    .kernarg_segment_size: 144
    .language:       OpenCL C
    .language_version:
      - 2
      - 0
    .max_flat_workgroup_size: 256
    .name:           _ZN7rocprim17ROCPRIM_400000_NS6detail17trampoline_kernelINS0_14default_configENS1_29reduce_by_key_config_selectorIhlN6thrust23THRUST_200600_302600_NS4plusIlEEEEZZNS1_33reduce_by_key_impl_wrapped_configILNS1_25lookback_scan_determinismE0ES3_S9_PhNS6_17constant_iteratorIiNS6_11use_defaultESE_EENS6_10device_ptrIhEENSG_IlEEPmS8_NS6_8equal_toIhEEEE10hipError_tPvRmT2_T3_mT4_T5_T6_T7_T8_P12ihipStream_tbENKUlT_T0_E_clISt17integral_constantIbLb1EES12_IbLb0EEEEDaSY_SZ_EUlSY_E_NS1_11comp_targetILNS1_3genE0ELNS1_11target_archE4294967295ELNS1_3gpuE0ELNS1_3repE0EEENS1_30default_config_static_selectorELNS0_4arch9wavefront6targetE1EEEvT1_
    .private_segment_fixed_size: 0
    .sgpr_count:     4
    .sgpr_spill_count: 0
    .symbol:         _ZN7rocprim17ROCPRIM_400000_NS6detail17trampoline_kernelINS0_14default_configENS1_29reduce_by_key_config_selectorIhlN6thrust23THRUST_200600_302600_NS4plusIlEEEEZZNS1_33reduce_by_key_impl_wrapped_configILNS1_25lookback_scan_determinismE0ES3_S9_PhNS6_17constant_iteratorIiNS6_11use_defaultESE_EENS6_10device_ptrIhEENSG_IlEEPmS8_NS6_8equal_toIhEEEE10hipError_tPvRmT2_T3_mT4_T5_T6_T7_T8_P12ihipStream_tbENKUlT_T0_E_clISt17integral_constantIbLb1EES12_IbLb0EEEEDaSY_SZ_EUlSY_E_NS1_11comp_targetILNS1_3genE0ELNS1_11target_archE4294967295ELNS1_3gpuE0ELNS1_3repE0EEENS1_30default_config_static_selectorELNS0_4arch9wavefront6targetE1EEEvT1_.kd
    .uniform_work_group_size: 1
    .uses_dynamic_stack: false
    .vgpr_count:     0
    .vgpr_spill_count: 0
    .wavefront_size: 64
  - .agpr_count:     0
    .args:
      - .offset:         0
        .size:           144
        .value_kind:     by_value
    .group_segment_fixed_size: 0
    .kernarg_segment_align: 8
    .kernarg_segment_size: 144
    .language:       OpenCL C
    .language_version:
      - 2
      - 0
    .max_flat_workgroup_size: 256
    .name:           _ZN7rocprim17ROCPRIM_400000_NS6detail17trampoline_kernelINS0_14default_configENS1_29reduce_by_key_config_selectorIhlN6thrust23THRUST_200600_302600_NS4plusIlEEEEZZNS1_33reduce_by_key_impl_wrapped_configILNS1_25lookback_scan_determinismE0ES3_S9_PhNS6_17constant_iteratorIiNS6_11use_defaultESE_EENS6_10device_ptrIhEENSG_IlEEPmS8_NS6_8equal_toIhEEEE10hipError_tPvRmT2_T3_mT4_T5_T6_T7_T8_P12ihipStream_tbENKUlT_T0_E_clISt17integral_constantIbLb1EES12_IbLb0EEEEDaSY_SZ_EUlSY_E_NS1_11comp_targetILNS1_3genE5ELNS1_11target_archE942ELNS1_3gpuE9ELNS1_3repE0EEENS1_30default_config_static_selectorELNS0_4arch9wavefront6targetE1EEEvT1_
    .private_segment_fixed_size: 0
    .sgpr_count:     4
    .sgpr_spill_count: 0
    .symbol:         _ZN7rocprim17ROCPRIM_400000_NS6detail17trampoline_kernelINS0_14default_configENS1_29reduce_by_key_config_selectorIhlN6thrust23THRUST_200600_302600_NS4plusIlEEEEZZNS1_33reduce_by_key_impl_wrapped_configILNS1_25lookback_scan_determinismE0ES3_S9_PhNS6_17constant_iteratorIiNS6_11use_defaultESE_EENS6_10device_ptrIhEENSG_IlEEPmS8_NS6_8equal_toIhEEEE10hipError_tPvRmT2_T3_mT4_T5_T6_T7_T8_P12ihipStream_tbENKUlT_T0_E_clISt17integral_constantIbLb1EES12_IbLb0EEEEDaSY_SZ_EUlSY_E_NS1_11comp_targetILNS1_3genE5ELNS1_11target_archE942ELNS1_3gpuE9ELNS1_3repE0EEENS1_30default_config_static_selectorELNS0_4arch9wavefront6targetE1EEEvT1_.kd
    .uniform_work_group_size: 1
    .uses_dynamic_stack: false
    .vgpr_count:     0
    .vgpr_spill_count: 0
    .wavefront_size: 64
  - .agpr_count:     0
    .args:
      - .offset:         0
        .size:           144
        .value_kind:     by_value
    .group_segment_fixed_size: 30720
    .kernarg_segment_align: 8
    .kernarg_segment_size: 144
    .language:       OpenCL C
    .language_version:
      - 2
      - 0
    .max_flat_workgroup_size: 256
    .name:           _ZN7rocprim17ROCPRIM_400000_NS6detail17trampoline_kernelINS0_14default_configENS1_29reduce_by_key_config_selectorIhlN6thrust23THRUST_200600_302600_NS4plusIlEEEEZZNS1_33reduce_by_key_impl_wrapped_configILNS1_25lookback_scan_determinismE0ES3_S9_PhNS6_17constant_iteratorIiNS6_11use_defaultESE_EENS6_10device_ptrIhEENSG_IlEEPmS8_NS6_8equal_toIhEEEE10hipError_tPvRmT2_T3_mT4_T5_T6_T7_T8_P12ihipStream_tbENKUlT_T0_E_clISt17integral_constantIbLb1EES12_IbLb0EEEEDaSY_SZ_EUlSY_E_NS1_11comp_targetILNS1_3genE4ELNS1_11target_archE910ELNS1_3gpuE8ELNS1_3repE0EEENS1_30default_config_static_selectorELNS0_4arch9wavefront6targetE1EEEvT1_
    .private_segment_fixed_size: 0
    .sgpr_count:     68
    .sgpr_spill_count: 0
    .symbol:         _ZN7rocprim17ROCPRIM_400000_NS6detail17trampoline_kernelINS0_14default_configENS1_29reduce_by_key_config_selectorIhlN6thrust23THRUST_200600_302600_NS4plusIlEEEEZZNS1_33reduce_by_key_impl_wrapped_configILNS1_25lookback_scan_determinismE0ES3_S9_PhNS6_17constant_iteratorIiNS6_11use_defaultESE_EENS6_10device_ptrIhEENSG_IlEEPmS8_NS6_8equal_toIhEEEE10hipError_tPvRmT2_T3_mT4_T5_T6_T7_T8_P12ihipStream_tbENKUlT_T0_E_clISt17integral_constantIbLb1EES12_IbLb0EEEEDaSY_SZ_EUlSY_E_NS1_11comp_targetILNS1_3genE4ELNS1_11target_archE910ELNS1_3gpuE8ELNS1_3repE0EEENS1_30default_config_static_selectorELNS0_4arch9wavefront6targetE1EEEvT1_.kd
    .uniform_work_group_size: 1
    .uses_dynamic_stack: false
    .vgpr_count:     133
    .vgpr_spill_count: 0
    .wavefront_size: 64
  - .agpr_count:     0
    .args:
      - .offset:         0
        .size:           144
        .value_kind:     by_value
    .group_segment_fixed_size: 0
    .kernarg_segment_align: 8
    .kernarg_segment_size: 144
    .language:       OpenCL C
    .language_version:
      - 2
      - 0
    .max_flat_workgroup_size: 256
    .name:           _ZN7rocprim17ROCPRIM_400000_NS6detail17trampoline_kernelINS0_14default_configENS1_29reduce_by_key_config_selectorIhlN6thrust23THRUST_200600_302600_NS4plusIlEEEEZZNS1_33reduce_by_key_impl_wrapped_configILNS1_25lookback_scan_determinismE0ES3_S9_PhNS6_17constant_iteratorIiNS6_11use_defaultESE_EENS6_10device_ptrIhEENSG_IlEEPmS8_NS6_8equal_toIhEEEE10hipError_tPvRmT2_T3_mT4_T5_T6_T7_T8_P12ihipStream_tbENKUlT_T0_E_clISt17integral_constantIbLb1EES12_IbLb0EEEEDaSY_SZ_EUlSY_E_NS1_11comp_targetILNS1_3genE3ELNS1_11target_archE908ELNS1_3gpuE7ELNS1_3repE0EEENS1_30default_config_static_selectorELNS0_4arch9wavefront6targetE1EEEvT1_
    .private_segment_fixed_size: 0
    .sgpr_count:     4
    .sgpr_spill_count: 0
    .symbol:         _ZN7rocprim17ROCPRIM_400000_NS6detail17trampoline_kernelINS0_14default_configENS1_29reduce_by_key_config_selectorIhlN6thrust23THRUST_200600_302600_NS4plusIlEEEEZZNS1_33reduce_by_key_impl_wrapped_configILNS1_25lookback_scan_determinismE0ES3_S9_PhNS6_17constant_iteratorIiNS6_11use_defaultESE_EENS6_10device_ptrIhEENSG_IlEEPmS8_NS6_8equal_toIhEEEE10hipError_tPvRmT2_T3_mT4_T5_T6_T7_T8_P12ihipStream_tbENKUlT_T0_E_clISt17integral_constantIbLb1EES12_IbLb0EEEEDaSY_SZ_EUlSY_E_NS1_11comp_targetILNS1_3genE3ELNS1_11target_archE908ELNS1_3gpuE7ELNS1_3repE0EEENS1_30default_config_static_selectorELNS0_4arch9wavefront6targetE1EEEvT1_.kd
    .uniform_work_group_size: 1
    .uses_dynamic_stack: false
    .vgpr_count:     0
    .vgpr_spill_count: 0
    .wavefront_size: 64
  - .agpr_count:     0
    .args:
      - .offset:         0
        .size:           144
        .value_kind:     by_value
    .group_segment_fixed_size: 0
    .kernarg_segment_align: 8
    .kernarg_segment_size: 144
    .language:       OpenCL C
    .language_version:
      - 2
      - 0
    .max_flat_workgroup_size: 256
    .name:           _ZN7rocprim17ROCPRIM_400000_NS6detail17trampoline_kernelINS0_14default_configENS1_29reduce_by_key_config_selectorIhlN6thrust23THRUST_200600_302600_NS4plusIlEEEEZZNS1_33reduce_by_key_impl_wrapped_configILNS1_25lookback_scan_determinismE0ES3_S9_PhNS6_17constant_iteratorIiNS6_11use_defaultESE_EENS6_10device_ptrIhEENSG_IlEEPmS8_NS6_8equal_toIhEEEE10hipError_tPvRmT2_T3_mT4_T5_T6_T7_T8_P12ihipStream_tbENKUlT_T0_E_clISt17integral_constantIbLb1EES12_IbLb0EEEEDaSY_SZ_EUlSY_E_NS1_11comp_targetILNS1_3genE2ELNS1_11target_archE906ELNS1_3gpuE6ELNS1_3repE0EEENS1_30default_config_static_selectorELNS0_4arch9wavefront6targetE1EEEvT1_
    .private_segment_fixed_size: 0
    .sgpr_count:     4
    .sgpr_spill_count: 0
    .symbol:         _ZN7rocprim17ROCPRIM_400000_NS6detail17trampoline_kernelINS0_14default_configENS1_29reduce_by_key_config_selectorIhlN6thrust23THRUST_200600_302600_NS4plusIlEEEEZZNS1_33reduce_by_key_impl_wrapped_configILNS1_25lookback_scan_determinismE0ES3_S9_PhNS6_17constant_iteratorIiNS6_11use_defaultESE_EENS6_10device_ptrIhEENSG_IlEEPmS8_NS6_8equal_toIhEEEE10hipError_tPvRmT2_T3_mT4_T5_T6_T7_T8_P12ihipStream_tbENKUlT_T0_E_clISt17integral_constantIbLb1EES12_IbLb0EEEEDaSY_SZ_EUlSY_E_NS1_11comp_targetILNS1_3genE2ELNS1_11target_archE906ELNS1_3gpuE6ELNS1_3repE0EEENS1_30default_config_static_selectorELNS0_4arch9wavefront6targetE1EEEvT1_.kd
    .uniform_work_group_size: 1
    .uses_dynamic_stack: false
    .vgpr_count:     0
    .vgpr_spill_count: 0
    .wavefront_size: 64
  - .agpr_count:     0
    .args:
      - .offset:         0
        .size:           144
        .value_kind:     by_value
    .group_segment_fixed_size: 0
    .kernarg_segment_align: 8
    .kernarg_segment_size: 144
    .language:       OpenCL C
    .language_version:
      - 2
      - 0
    .max_flat_workgroup_size: 256
    .name:           _ZN7rocprim17ROCPRIM_400000_NS6detail17trampoline_kernelINS0_14default_configENS1_29reduce_by_key_config_selectorIhlN6thrust23THRUST_200600_302600_NS4plusIlEEEEZZNS1_33reduce_by_key_impl_wrapped_configILNS1_25lookback_scan_determinismE0ES3_S9_PhNS6_17constant_iteratorIiNS6_11use_defaultESE_EENS6_10device_ptrIhEENSG_IlEEPmS8_NS6_8equal_toIhEEEE10hipError_tPvRmT2_T3_mT4_T5_T6_T7_T8_P12ihipStream_tbENKUlT_T0_E_clISt17integral_constantIbLb1EES12_IbLb0EEEEDaSY_SZ_EUlSY_E_NS1_11comp_targetILNS1_3genE10ELNS1_11target_archE1201ELNS1_3gpuE5ELNS1_3repE0EEENS1_30default_config_static_selectorELNS0_4arch9wavefront6targetE1EEEvT1_
    .private_segment_fixed_size: 0
    .sgpr_count:     4
    .sgpr_spill_count: 0
    .symbol:         _ZN7rocprim17ROCPRIM_400000_NS6detail17trampoline_kernelINS0_14default_configENS1_29reduce_by_key_config_selectorIhlN6thrust23THRUST_200600_302600_NS4plusIlEEEEZZNS1_33reduce_by_key_impl_wrapped_configILNS1_25lookback_scan_determinismE0ES3_S9_PhNS6_17constant_iteratorIiNS6_11use_defaultESE_EENS6_10device_ptrIhEENSG_IlEEPmS8_NS6_8equal_toIhEEEE10hipError_tPvRmT2_T3_mT4_T5_T6_T7_T8_P12ihipStream_tbENKUlT_T0_E_clISt17integral_constantIbLb1EES12_IbLb0EEEEDaSY_SZ_EUlSY_E_NS1_11comp_targetILNS1_3genE10ELNS1_11target_archE1201ELNS1_3gpuE5ELNS1_3repE0EEENS1_30default_config_static_selectorELNS0_4arch9wavefront6targetE1EEEvT1_.kd
    .uniform_work_group_size: 1
    .uses_dynamic_stack: false
    .vgpr_count:     0
    .vgpr_spill_count: 0
    .wavefront_size: 64
  - .agpr_count:     0
    .args:
      - .offset:         0
        .size:           144
        .value_kind:     by_value
    .group_segment_fixed_size: 0
    .kernarg_segment_align: 8
    .kernarg_segment_size: 144
    .language:       OpenCL C
    .language_version:
      - 2
      - 0
    .max_flat_workgroup_size: 256
    .name:           _ZN7rocprim17ROCPRIM_400000_NS6detail17trampoline_kernelINS0_14default_configENS1_29reduce_by_key_config_selectorIhlN6thrust23THRUST_200600_302600_NS4plusIlEEEEZZNS1_33reduce_by_key_impl_wrapped_configILNS1_25lookback_scan_determinismE0ES3_S9_PhNS6_17constant_iteratorIiNS6_11use_defaultESE_EENS6_10device_ptrIhEENSG_IlEEPmS8_NS6_8equal_toIhEEEE10hipError_tPvRmT2_T3_mT4_T5_T6_T7_T8_P12ihipStream_tbENKUlT_T0_E_clISt17integral_constantIbLb1EES12_IbLb0EEEEDaSY_SZ_EUlSY_E_NS1_11comp_targetILNS1_3genE10ELNS1_11target_archE1200ELNS1_3gpuE4ELNS1_3repE0EEENS1_30default_config_static_selectorELNS0_4arch9wavefront6targetE1EEEvT1_
    .private_segment_fixed_size: 0
    .sgpr_count:     4
    .sgpr_spill_count: 0
    .symbol:         _ZN7rocprim17ROCPRIM_400000_NS6detail17trampoline_kernelINS0_14default_configENS1_29reduce_by_key_config_selectorIhlN6thrust23THRUST_200600_302600_NS4plusIlEEEEZZNS1_33reduce_by_key_impl_wrapped_configILNS1_25lookback_scan_determinismE0ES3_S9_PhNS6_17constant_iteratorIiNS6_11use_defaultESE_EENS6_10device_ptrIhEENSG_IlEEPmS8_NS6_8equal_toIhEEEE10hipError_tPvRmT2_T3_mT4_T5_T6_T7_T8_P12ihipStream_tbENKUlT_T0_E_clISt17integral_constantIbLb1EES12_IbLb0EEEEDaSY_SZ_EUlSY_E_NS1_11comp_targetILNS1_3genE10ELNS1_11target_archE1200ELNS1_3gpuE4ELNS1_3repE0EEENS1_30default_config_static_selectorELNS0_4arch9wavefront6targetE1EEEvT1_.kd
    .uniform_work_group_size: 1
    .uses_dynamic_stack: false
    .vgpr_count:     0
    .vgpr_spill_count: 0
    .wavefront_size: 64
  - .agpr_count:     0
    .args:
      - .offset:         0
        .size:           144
        .value_kind:     by_value
    .group_segment_fixed_size: 0
    .kernarg_segment_align: 8
    .kernarg_segment_size: 144
    .language:       OpenCL C
    .language_version:
      - 2
      - 0
    .max_flat_workgroup_size: 256
    .name:           _ZN7rocprim17ROCPRIM_400000_NS6detail17trampoline_kernelINS0_14default_configENS1_29reduce_by_key_config_selectorIhlN6thrust23THRUST_200600_302600_NS4plusIlEEEEZZNS1_33reduce_by_key_impl_wrapped_configILNS1_25lookback_scan_determinismE0ES3_S9_PhNS6_17constant_iteratorIiNS6_11use_defaultESE_EENS6_10device_ptrIhEENSG_IlEEPmS8_NS6_8equal_toIhEEEE10hipError_tPvRmT2_T3_mT4_T5_T6_T7_T8_P12ihipStream_tbENKUlT_T0_E_clISt17integral_constantIbLb1EES12_IbLb0EEEEDaSY_SZ_EUlSY_E_NS1_11comp_targetILNS1_3genE9ELNS1_11target_archE1100ELNS1_3gpuE3ELNS1_3repE0EEENS1_30default_config_static_selectorELNS0_4arch9wavefront6targetE1EEEvT1_
    .private_segment_fixed_size: 0
    .sgpr_count:     4
    .sgpr_spill_count: 0
    .symbol:         _ZN7rocprim17ROCPRIM_400000_NS6detail17trampoline_kernelINS0_14default_configENS1_29reduce_by_key_config_selectorIhlN6thrust23THRUST_200600_302600_NS4plusIlEEEEZZNS1_33reduce_by_key_impl_wrapped_configILNS1_25lookback_scan_determinismE0ES3_S9_PhNS6_17constant_iteratorIiNS6_11use_defaultESE_EENS6_10device_ptrIhEENSG_IlEEPmS8_NS6_8equal_toIhEEEE10hipError_tPvRmT2_T3_mT4_T5_T6_T7_T8_P12ihipStream_tbENKUlT_T0_E_clISt17integral_constantIbLb1EES12_IbLb0EEEEDaSY_SZ_EUlSY_E_NS1_11comp_targetILNS1_3genE9ELNS1_11target_archE1100ELNS1_3gpuE3ELNS1_3repE0EEENS1_30default_config_static_selectorELNS0_4arch9wavefront6targetE1EEEvT1_.kd
    .uniform_work_group_size: 1
    .uses_dynamic_stack: false
    .vgpr_count:     0
    .vgpr_spill_count: 0
    .wavefront_size: 64
  - .agpr_count:     0
    .args:
      - .offset:         0
        .size:           144
        .value_kind:     by_value
    .group_segment_fixed_size: 0
    .kernarg_segment_align: 8
    .kernarg_segment_size: 144
    .language:       OpenCL C
    .language_version:
      - 2
      - 0
    .max_flat_workgroup_size: 256
    .name:           _ZN7rocprim17ROCPRIM_400000_NS6detail17trampoline_kernelINS0_14default_configENS1_29reduce_by_key_config_selectorIhlN6thrust23THRUST_200600_302600_NS4plusIlEEEEZZNS1_33reduce_by_key_impl_wrapped_configILNS1_25lookback_scan_determinismE0ES3_S9_PhNS6_17constant_iteratorIiNS6_11use_defaultESE_EENS6_10device_ptrIhEENSG_IlEEPmS8_NS6_8equal_toIhEEEE10hipError_tPvRmT2_T3_mT4_T5_T6_T7_T8_P12ihipStream_tbENKUlT_T0_E_clISt17integral_constantIbLb1EES12_IbLb0EEEEDaSY_SZ_EUlSY_E_NS1_11comp_targetILNS1_3genE8ELNS1_11target_archE1030ELNS1_3gpuE2ELNS1_3repE0EEENS1_30default_config_static_selectorELNS0_4arch9wavefront6targetE1EEEvT1_
    .private_segment_fixed_size: 0
    .sgpr_count:     4
    .sgpr_spill_count: 0
    .symbol:         _ZN7rocprim17ROCPRIM_400000_NS6detail17trampoline_kernelINS0_14default_configENS1_29reduce_by_key_config_selectorIhlN6thrust23THRUST_200600_302600_NS4plusIlEEEEZZNS1_33reduce_by_key_impl_wrapped_configILNS1_25lookback_scan_determinismE0ES3_S9_PhNS6_17constant_iteratorIiNS6_11use_defaultESE_EENS6_10device_ptrIhEENSG_IlEEPmS8_NS6_8equal_toIhEEEE10hipError_tPvRmT2_T3_mT4_T5_T6_T7_T8_P12ihipStream_tbENKUlT_T0_E_clISt17integral_constantIbLb1EES12_IbLb0EEEEDaSY_SZ_EUlSY_E_NS1_11comp_targetILNS1_3genE8ELNS1_11target_archE1030ELNS1_3gpuE2ELNS1_3repE0EEENS1_30default_config_static_selectorELNS0_4arch9wavefront6targetE1EEEvT1_.kd
    .uniform_work_group_size: 1
    .uses_dynamic_stack: false
    .vgpr_count:     0
    .vgpr_spill_count: 0
    .wavefront_size: 64
  - .agpr_count:     0
    .args:
      - .offset:         0
        .size:           24
        .value_kind:     by_value
      - .offset:         24
        .size:           4
        .value_kind:     by_value
      - .offset:         28
        .size:           1
        .value_kind:     by_value
      - .offset:         32
        .size:           4
        .value_kind:     by_value
      - .address_space:  global
        .offset:         40
        .size:           8
        .value_kind:     global_buffer
      - .address_space:  global
        .offset:         48
        .size:           8
        .value_kind:     global_buffer
      - .address_space:  global
        .offset:         56
        .size:           8
        .value_kind:     global_buffer
      - .offset:         64
        .size:           4
        .value_kind:     hidden_block_count_x
      - .offset:         68
        .size:           4
        .value_kind:     hidden_block_count_y
      - .offset:         72
        .size:           4
        .value_kind:     hidden_block_count_z
      - .offset:         76
        .size:           2
        .value_kind:     hidden_group_size_x
      - .offset:         78
        .size:           2
        .value_kind:     hidden_group_size_y
      - .offset:         80
        .size:           2
        .value_kind:     hidden_group_size_z
      - .offset:         82
        .size:           2
        .value_kind:     hidden_remainder_x
      - .offset:         84
        .size:           2
        .value_kind:     hidden_remainder_y
      - .offset:         86
        .size:           2
        .value_kind:     hidden_remainder_z
      - .offset:         104
        .size:           8
        .value_kind:     hidden_global_offset_x
      - .offset:         112
        .size:           8
        .value_kind:     hidden_global_offset_y
      - .offset:         120
        .size:           8
        .value_kind:     hidden_global_offset_z
      - .offset:         128
        .size:           2
        .value_kind:     hidden_grid_dims
    .group_segment_fixed_size: 0
    .kernarg_segment_align: 8
    .kernarg_segment_size: 320
    .language:       OpenCL C
    .language_version:
      - 2
      - 0
    .max_flat_workgroup_size: 256
    .name:           _ZN7rocprim17ROCPRIM_400000_NS6detail25reduce_by_key_init_kernelINS1_19lookback_scan_stateINS0_5tupleIJjlEEELb0ELb0EEElNS1_16block_id_wrapperIjLb1EEEEEvT_jbjPmPT0_T1_
    .private_segment_fixed_size: 0
    .sgpr_count:     24
    .sgpr_spill_count: 0
    .symbol:         _ZN7rocprim17ROCPRIM_400000_NS6detail25reduce_by_key_init_kernelINS1_19lookback_scan_stateINS0_5tupleIJjlEEELb0ELb0EEElNS1_16block_id_wrapperIjLb1EEEEEvT_jbjPmPT0_T1_.kd
    .uniform_work_group_size: 1
    .uses_dynamic_stack: false
    .vgpr_count:     7
    .vgpr_spill_count: 0
    .wavefront_size: 64
  - .agpr_count:     0
    .args:
      - .offset:         0
        .size:           144
        .value_kind:     by_value
    .group_segment_fixed_size: 0
    .kernarg_segment_align: 8
    .kernarg_segment_size: 144
    .language:       OpenCL C
    .language_version:
      - 2
      - 0
    .max_flat_workgroup_size: 256
    .name:           _ZN7rocprim17ROCPRIM_400000_NS6detail17trampoline_kernelINS0_14default_configENS1_29reduce_by_key_config_selectorIhlN6thrust23THRUST_200600_302600_NS4plusIlEEEEZZNS1_33reduce_by_key_impl_wrapped_configILNS1_25lookback_scan_determinismE0ES3_S9_PhNS6_17constant_iteratorIiNS6_11use_defaultESE_EENS6_10device_ptrIhEENSG_IlEEPmS8_NS6_8equal_toIhEEEE10hipError_tPvRmT2_T3_mT4_T5_T6_T7_T8_P12ihipStream_tbENKUlT_T0_E_clISt17integral_constantIbLb0EES12_IbLb1EEEEDaSY_SZ_EUlSY_E_NS1_11comp_targetILNS1_3genE0ELNS1_11target_archE4294967295ELNS1_3gpuE0ELNS1_3repE0EEENS1_30default_config_static_selectorELNS0_4arch9wavefront6targetE1EEEvT1_
    .private_segment_fixed_size: 0
    .sgpr_count:     4
    .sgpr_spill_count: 0
    .symbol:         _ZN7rocprim17ROCPRIM_400000_NS6detail17trampoline_kernelINS0_14default_configENS1_29reduce_by_key_config_selectorIhlN6thrust23THRUST_200600_302600_NS4plusIlEEEEZZNS1_33reduce_by_key_impl_wrapped_configILNS1_25lookback_scan_determinismE0ES3_S9_PhNS6_17constant_iteratorIiNS6_11use_defaultESE_EENS6_10device_ptrIhEENSG_IlEEPmS8_NS6_8equal_toIhEEEE10hipError_tPvRmT2_T3_mT4_T5_T6_T7_T8_P12ihipStream_tbENKUlT_T0_E_clISt17integral_constantIbLb0EES12_IbLb1EEEEDaSY_SZ_EUlSY_E_NS1_11comp_targetILNS1_3genE0ELNS1_11target_archE4294967295ELNS1_3gpuE0ELNS1_3repE0EEENS1_30default_config_static_selectorELNS0_4arch9wavefront6targetE1EEEvT1_.kd
    .uniform_work_group_size: 1
    .uses_dynamic_stack: false
    .vgpr_count:     0
    .vgpr_spill_count: 0
    .wavefront_size: 64
  - .agpr_count:     0
    .args:
      - .offset:         0
        .size:           144
        .value_kind:     by_value
    .group_segment_fixed_size: 0
    .kernarg_segment_align: 8
    .kernarg_segment_size: 144
    .language:       OpenCL C
    .language_version:
      - 2
      - 0
    .max_flat_workgroup_size: 256
    .name:           _ZN7rocprim17ROCPRIM_400000_NS6detail17trampoline_kernelINS0_14default_configENS1_29reduce_by_key_config_selectorIhlN6thrust23THRUST_200600_302600_NS4plusIlEEEEZZNS1_33reduce_by_key_impl_wrapped_configILNS1_25lookback_scan_determinismE0ES3_S9_PhNS6_17constant_iteratorIiNS6_11use_defaultESE_EENS6_10device_ptrIhEENSG_IlEEPmS8_NS6_8equal_toIhEEEE10hipError_tPvRmT2_T3_mT4_T5_T6_T7_T8_P12ihipStream_tbENKUlT_T0_E_clISt17integral_constantIbLb0EES12_IbLb1EEEEDaSY_SZ_EUlSY_E_NS1_11comp_targetILNS1_3genE5ELNS1_11target_archE942ELNS1_3gpuE9ELNS1_3repE0EEENS1_30default_config_static_selectorELNS0_4arch9wavefront6targetE1EEEvT1_
    .private_segment_fixed_size: 0
    .sgpr_count:     4
    .sgpr_spill_count: 0
    .symbol:         _ZN7rocprim17ROCPRIM_400000_NS6detail17trampoline_kernelINS0_14default_configENS1_29reduce_by_key_config_selectorIhlN6thrust23THRUST_200600_302600_NS4plusIlEEEEZZNS1_33reduce_by_key_impl_wrapped_configILNS1_25lookback_scan_determinismE0ES3_S9_PhNS6_17constant_iteratorIiNS6_11use_defaultESE_EENS6_10device_ptrIhEENSG_IlEEPmS8_NS6_8equal_toIhEEEE10hipError_tPvRmT2_T3_mT4_T5_T6_T7_T8_P12ihipStream_tbENKUlT_T0_E_clISt17integral_constantIbLb0EES12_IbLb1EEEEDaSY_SZ_EUlSY_E_NS1_11comp_targetILNS1_3genE5ELNS1_11target_archE942ELNS1_3gpuE9ELNS1_3repE0EEENS1_30default_config_static_selectorELNS0_4arch9wavefront6targetE1EEEvT1_.kd
    .uniform_work_group_size: 1
    .uses_dynamic_stack: false
    .vgpr_count:     0
    .vgpr_spill_count: 0
    .wavefront_size: 64
  - .agpr_count:     0
    .args:
      - .offset:         0
        .size:           144
        .value_kind:     by_value
    .group_segment_fixed_size: 30720
    .kernarg_segment_align: 8
    .kernarg_segment_size: 144
    .language:       OpenCL C
    .language_version:
      - 2
      - 0
    .max_flat_workgroup_size: 256
    .name:           _ZN7rocprim17ROCPRIM_400000_NS6detail17trampoline_kernelINS0_14default_configENS1_29reduce_by_key_config_selectorIhlN6thrust23THRUST_200600_302600_NS4plusIlEEEEZZNS1_33reduce_by_key_impl_wrapped_configILNS1_25lookback_scan_determinismE0ES3_S9_PhNS6_17constant_iteratorIiNS6_11use_defaultESE_EENS6_10device_ptrIhEENSG_IlEEPmS8_NS6_8equal_toIhEEEE10hipError_tPvRmT2_T3_mT4_T5_T6_T7_T8_P12ihipStream_tbENKUlT_T0_E_clISt17integral_constantIbLb0EES12_IbLb1EEEEDaSY_SZ_EUlSY_E_NS1_11comp_targetILNS1_3genE4ELNS1_11target_archE910ELNS1_3gpuE8ELNS1_3repE0EEENS1_30default_config_static_selectorELNS0_4arch9wavefront6targetE1EEEvT1_
    .private_segment_fixed_size: 0
    .sgpr_count:     69
    .sgpr_spill_count: 0
    .symbol:         _ZN7rocprim17ROCPRIM_400000_NS6detail17trampoline_kernelINS0_14default_configENS1_29reduce_by_key_config_selectorIhlN6thrust23THRUST_200600_302600_NS4plusIlEEEEZZNS1_33reduce_by_key_impl_wrapped_configILNS1_25lookback_scan_determinismE0ES3_S9_PhNS6_17constant_iteratorIiNS6_11use_defaultESE_EENS6_10device_ptrIhEENSG_IlEEPmS8_NS6_8equal_toIhEEEE10hipError_tPvRmT2_T3_mT4_T5_T6_T7_T8_P12ihipStream_tbENKUlT_T0_E_clISt17integral_constantIbLb0EES12_IbLb1EEEEDaSY_SZ_EUlSY_E_NS1_11comp_targetILNS1_3genE4ELNS1_11target_archE910ELNS1_3gpuE8ELNS1_3repE0EEENS1_30default_config_static_selectorELNS0_4arch9wavefront6targetE1EEEvT1_.kd
    .uniform_work_group_size: 1
    .uses_dynamic_stack: false
    .vgpr_count:     133
    .vgpr_spill_count: 0
    .wavefront_size: 64
  - .agpr_count:     0
    .args:
      - .offset:         0
        .size:           144
        .value_kind:     by_value
    .group_segment_fixed_size: 0
    .kernarg_segment_align: 8
    .kernarg_segment_size: 144
    .language:       OpenCL C
    .language_version:
      - 2
      - 0
    .max_flat_workgroup_size: 256
    .name:           _ZN7rocprim17ROCPRIM_400000_NS6detail17trampoline_kernelINS0_14default_configENS1_29reduce_by_key_config_selectorIhlN6thrust23THRUST_200600_302600_NS4plusIlEEEEZZNS1_33reduce_by_key_impl_wrapped_configILNS1_25lookback_scan_determinismE0ES3_S9_PhNS6_17constant_iteratorIiNS6_11use_defaultESE_EENS6_10device_ptrIhEENSG_IlEEPmS8_NS6_8equal_toIhEEEE10hipError_tPvRmT2_T3_mT4_T5_T6_T7_T8_P12ihipStream_tbENKUlT_T0_E_clISt17integral_constantIbLb0EES12_IbLb1EEEEDaSY_SZ_EUlSY_E_NS1_11comp_targetILNS1_3genE3ELNS1_11target_archE908ELNS1_3gpuE7ELNS1_3repE0EEENS1_30default_config_static_selectorELNS0_4arch9wavefront6targetE1EEEvT1_
    .private_segment_fixed_size: 0
    .sgpr_count:     4
    .sgpr_spill_count: 0
    .symbol:         _ZN7rocprim17ROCPRIM_400000_NS6detail17trampoline_kernelINS0_14default_configENS1_29reduce_by_key_config_selectorIhlN6thrust23THRUST_200600_302600_NS4plusIlEEEEZZNS1_33reduce_by_key_impl_wrapped_configILNS1_25lookback_scan_determinismE0ES3_S9_PhNS6_17constant_iteratorIiNS6_11use_defaultESE_EENS6_10device_ptrIhEENSG_IlEEPmS8_NS6_8equal_toIhEEEE10hipError_tPvRmT2_T3_mT4_T5_T6_T7_T8_P12ihipStream_tbENKUlT_T0_E_clISt17integral_constantIbLb0EES12_IbLb1EEEEDaSY_SZ_EUlSY_E_NS1_11comp_targetILNS1_3genE3ELNS1_11target_archE908ELNS1_3gpuE7ELNS1_3repE0EEENS1_30default_config_static_selectorELNS0_4arch9wavefront6targetE1EEEvT1_.kd
    .uniform_work_group_size: 1
    .uses_dynamic_stack: false
    .vgpr_count:     0
    .vgpr_spill_count: 0
    .wavefront_size: 64
  - .agpr_count:     0
    .args:
      - .offset:         0
        .size:           144
        .value_kind:     by_value
    .group_segment_fixed_size: 0
    .kernarg_segment_align: 8
    .kernarg_segment_size: 144
    .language:       OpenCL C
    .language_version:
      - 2
      - 0
    .max_flat_workgroup_size: 256
    .name:           _ZN7rocprim17ROCPRIM_400000_NS6detail17trampoline_kernelINS0_14default_configENS1_29reduce_by_key_config_selectorIhlN6thrust23THRUST_200600_302600_NS4plusIlEEEEZZNS1_33reduce_by_key_impl_wrapped_configILNS1_25lookback_scan_determinismE0ES3_S9_PhNS6_17constant_iteratorIiNS6_11use_defaultESE_EENS6_10device_ptrIhEENSG_IlEEPmS8_NS6_8equal_toIhEEEE10hipError_tPvRmT2_T3_mT4_T5_T6_T7_T8_P12ihipStream_tbENKUlT_T0_E_clISt17integral_constantIbLb0EES12_IbLb1EEEEDaSY_SZ_EUlSY_E_NS1_11comp_targetILNS1_3genE2ELNS1_11target_archE906ELNS1_3gpuE6ELNS1_3repE0EEENS1_30default_config_static_selectorELNS0_4arch9wavefront6targetE1EEEvT1_
    .private_segment_fixed_size: 0
    .sgpr_count:     4
    .sgpr_spill_count: 0
    .symbol:         _ZN7rocprim17ROCPRIM_400000_NS6detail17trampoline_kernelINS0_14default_configENS1_29reduce_by_key_config_selectorIhlN6thrust23THRUST_200600_302600_NS4plusIlEEEEZZNS1_33reduce_by_key_impl_wrapped_configILNS1_25lookback_scan_determinismE0ES3_S9_PhNS6_17constant_iteratorIiNS6_11use_defaultESE_EENS6_10device_ptrIhEENSG_IlEEPmS8_NS6_8equal_toIhEEEE10hipError_tPvRmT2_T3_mT4_T5_T6_T7_T8_P12ihipStream_tbENKUlT_T0_E_clISt17integral_constantIbLb0EES12_IbLb1EEEEDaSY_SZ_EUlSY_E_NS1_11comp_targetILNS1_3genE2ELNS1_11target_archE906ELNS1_3gpuE6ELNS1_3repE0EEENS1_30default_config_static_selectorELNS0_4arch9wavefront6targetE1EEEvT1_.kd
    .uniform_work_group_size: 1
    .uses_dynamic_stack: false
    .vgpr_count:     0
    .vgpr_spill_count: 0
    .wavefront_size: 64
  - .agpr_count:     0
    .args:
      - .offset:         0
        .size:           144
        .value_kind:     by_value
    .group_segment_fixed_size: 0
    .kernarg_segment_align: 8
    .kernarg_segment_size: 144
    .language:       OpenCL C
    .language_version:
      - 2
      - 0
    .max_flat_workgroup_size: 256
    .name:           _ZN7rocprim17ROCPRIM_400000_NS6detail17trampoline_kernelINS0_14default_configENS1_29reduce_by_key_config_selectorIhlN6thrust23THRUST_200600_302600_NS4plusIlEEEEZZNS1_33reduce_by_key_impl_wrapped_configILNS1_25lookback_scan_determinismE0ES3_S9_PhNS6_17constant_iteratorIiNS6_11use_defaultESE_EENS6_10device_ptrIhEENSG_IlEEPmS8_NS6_8equal_toIhEEEE10hipError_tPvRmT2_T3_mT4_T5_T6_T7_T8_P12ihipStream_tbENKUlT_T0_E_clISt17integral_constantIbLb0EES12_IbLb1EEEEDaSY_SZ_EUlSY_E_NS1_11comp_targetILNS1_3genE10ELNS1_11target_archE1201ELNS1_3gpuE5ELNS1_3repE0EEENS1_30default_config_static_selectorELNS0_4arch9wavefront6targetE1EEEvT1_
    .private_segment_fixed_size: 0
    .sgpr_count:     4
    .sgpr_spill_count: 0
    .symbol:         _ZN7rocprim17ROCPRIM_400000_NS6detail17trampoline_kernelINS0_14default_configENS1_29reduce_by_key_config_selectorIhlN6thrust23THRUST_200600_302600_NS4plusIlEEEEZZNS1_33reduce_by_key_impl_wrapped_configILNS1_25lookback_scan_determinismE0ES3_S9_PhNS6_17constant_iteratorIiNS6_11use_defaultESE_EENS6_10device_ptrIhEENSG_IlEEPmS8_NS6_8equal_toIhEEEE10hipError_tPvRmT2_T3_mT4_T5_T6_T7_T8_P12ihipStream_tbENKUlT_T0_E_clISt17integral_constantIbLb0EES12_IbLb1EEEEDaSY_SZ_EUlSY_E_NS1_11comp_targetILNS1_3genE10ELNS1_11target_archE1201ELNS1_3gpuE5ELNS1_3repE0EEENS1_30default_config_static_selectorELNS0_4arch9wavefront6targetE1EEEvT1_.kd
    .uniform_work_group_size: 1
    .uses_dynamic_stack: false
    .vgpr_count:     0
    .vgpr_spill_count: 0
    .wavefront_size: 64
  - .agpr_count:     0
    .args:
      - .offset:         0
        .size:           144
        .value_kind:     by_value
    .group_segment_fixed_size: 0
    .kernarg_segment_align: 8
    .kernarg_segment_size: 144
    .language:       OpenCL C
    .language_version:
      - 2
      - 0
    .max_flat_workgroup_size: 256
    .name:           _ZN7rocprim17ROCPRIM_400000_NS6detail17trampoline_kernelINS0_14default_configENS1_29reduce_by_key_config_selectorIhlN6thrust23THRUST_200600_302600_NS4plusIlEEEEZZNS1_33reduce_by_key_impl_wrapped_configILNS1_25lookback_scan_determinismE0ES3_S9_PhNS6_17constant_iteratorIiNS6_11use_defaultESE_EENS6_10device_ptrIhEENSG_IlEEPmS8_NS6_8equal_toIhEEEE10hipError_tPvRmT2_T3_mT4_T5_T6_T7_T8_P12ihipStream_tbENKUlT_T0_E_clISt17integral_constantIbLb0EES12_IbLb1EEEEDaSY_SZ_EUlSY_E_NS1_11comp_targetILNS1_3genE10ELNS1_11target_archE1200ELNS1_3gpuE4ELNS1_3repE0EEENS1_30default_config_static_selectorELNS0_4arch9wavefront6targetE1EEEvT1_
    .private_segment_fixed_size: 0
    .sgpr_count:     4
    .sgpr_spill_count: 0
    .symbol:         _ZN7rocprim17ROCPRIM_400000_NS6detail17trampoline_kernelINS0_14default_configENS1_29reduce_by_key_config_selectorIhlN6thrust23THRUST_200600_302600_NS4plusIlEEEEZZNS1_33reduce_by_key_impl_wrapped_configILNS1_25lookback_scan_determinismE0ES3_S9_PhNS6_17constant_iteratorIiNS6_11use_defaultESE_EENS6_10device_ptrIhEENSG_IlEEPmS8_NS6_8equal_toIhEEEE10hipError_tPvRmT2_T3_mT4_T5_T6_T7_T8_P12ihipStream_tbENKUlT_T0_E_clISt17integral_constantIbLb0EES12_IbLb1EEEEDaSY_SZ_EUlSY_E_NS1_11comp_targetILNS1_3genE10ELNS1_11target_archE1200ELNS1_3gpuE4ELNS1_3repE0EEENS1_30default_config_static_selectorELNS0_4arch9wavefront6targetE1EEEvT1_.kd
    .uniform_work_group_size: 1
    .uses_dynamic_stack: false
    .vgpr_count:     0
    .vgpr_spill_count: 0
    .wavefront_size: 64
  - .agpr_count:     0
    .args:
      - .offset:         0
        .size:           144
        .value_kind:     by_value
    .group_segment_fixed_size: 0
    .kernarg_segment_align: 8
    .kernarg_segment_size: 144
    .language:       OpenCL C
    .language_version:
      - 2
      - 0
    .max_flat_workgroup_size: 256
    .name:           _ZN7rocprim17ROCPRIM_400000_NS6detail17trampoline_kernelINS0_14default_configENS1_29reduce_by_key_config_selectorIhlN6thrust23THRUST_200600_302600_NS4plusIlEEEEZZNS1_33reduce_by_key_impl_wrapped_configILNS1_25lookback_scan_determinismE0ES3_S9_PhNS6_17constant_iteratorIiNS6_11use_defaultESE_EENS6_10device_ptrIhEENSG_IlEEPmS8_NS6_8equal_toIhEEEE10hipError_tPvRmT2_T3_mT4_T5_T6_T7_T8_P12ihipStream_tbENKUlT_T0_E_clISt17integral_constantIbLb0EES12_IbLb1EEEEDaSY_SZ_EUlSY_E_NS1_11comp_targetILNS1_3genE9ELNS1_11target_archE1100ELNS1_3gpuE3ELNS1_3repE0EEENS1_30default_config_static_selectorELNS0_4arch9wavefront6targetE1EEEvT1_
    .private_segment_fixed_size: 0
    .sgpr_count:     4
    .sgpr_spill_count: 0
    .symbol:         _ZN7rocprim17ROCPRIM_400000_NS6detail17trampoline_kernelINS0_14default_configENS1_29reduce_by_key_config_selectorIhlN6thrust23THRUST_200600_302600_NS4plusIlEEEEZZNS1_33reduce_by_key_impl_wrapped_configILNS1_25lookback_scan_determinismE0ES3_S9_PhNS6_17constant_iteratorIiNS6_11use_defaultESE_EENS6_10device_ptrIhEENSG_IlEEPmS8_NS6_8equal_toIhEEEE10hipError_tPvRmT2_T3_mT4_T5_T6_T7_T8_P12ihipStream_tbENKUlT_T0_E_clISt17integral_constantIbLb0EES12_IbLb1EEEEDaSY_SZ_EUlSY_E_NS1_11comp_targetILNS1_3genE9ELNS1_11target_archE1100ELNS1_3gpuE3ELNS1_3repE0EEENS1_30default_config_static_selectorELNS0_4arch9wavefront6targetE1EEEvT1_.kd
    .uniform_work_group_size: 1
    .uses_dynamic_stack: false
    .vgpr_count:     0
    .vgpr_spill_count: 0
    .wavefront_size: 64
  - .agpr_count:     0
    .args:
      - .offset:         0
        .size:           144
        .value_kind:     by_value
    .group_segment_fixed_size: 0
    .kernarg_segment_align: 8
    .kernarg_segment_size: 144
    .language:       OpenCL C
    .language_version:
      - 2
      - 0
    .max_flat_workgroup_size: 256
    .name:           _ZN7rocprim17ROCPRIM_400000_NS6detail17trampoline_kernelINS0_14default_configENS1_29reduce_by_key_config_selectorIhlN6thrust23THRUST_200600_302600_NS4plusIlEEEEZZNS1_33reduce_by_key_impl_wrapped_configILNS1_25lookback_scan_determinismE0ES3_S9_PhNS6_17constant_iteratorIiNS6_11use_defaultESE_EENS6_10device_ptrIhEENSG_IlEEPmS8_NS6_8equal_toIhEEEE10hipError_tPvRmT2_T3_mT4_T5_T6_T7_T8_P12ihipStream_tbENKUlT_T0_E_clISt17integral_constantIbLb0EES12_IbLb1EEEEDaSY_SZ_EUlSY_E_NS1_11comp_targetILNS1_3genE8ELNS1_11target_archE1030ELNS1_3gpuE2ELNS1_3repE0EEENS1_30default_config_static_selectorELNS0_4arch9wavefront6targetE1EEEvT1_
    .private_segment_fixed_size: 0
    .sgpr_count:     4
    .sgpr_spill_count: 0
    .symbol:         _ZN7rocprim17ROCPRIM_400000_NS6detail17trampoline_kernelINS0_14default_configENS1_29reduce_by_key_config_selectorIhlN6thrust23THRUST_200600_302600_NS4plusIlEEEEZZNS1_33reduce_by_key_impl_wrapped_configILNS1_25lookback_scan_determinismE0ES3_S9_PhNS6_17constant_iteratorIiNS6_11use_defaultESE_EENS6_10device_ptrIhEENSG_IlEEPmS8_NS6_8equal_toIhEEEE10hipError_tPvRmT2_T3_mT4_T5_T6_T7_T8_P12ihipStream_tbENKUlT_T0_E_clISt17integral_constantIbLb0EES12_IbLb1EEEEDaSY_SZ_EUlSY_E_NS1_11comp_targetILNS1_3genE8ELNS1_11target_archE1030ELNS1_3gpuE2ELNS1_3repE0EEENS1_30default_config_static_selectorELNS0_4arch9wavefront6targetE1EEEvT1_.kd
    .uniform_work_group_size: 1
    .uses_dynamic_stack: false
    .vgpr_count:     0
    .vgpr_spill_count: 0
    .wavefront_size: 64
  - .agpr_count:     0
    .args:
      - .offset:         0
        .size:           72
        .value_kind:     by_value
    .group_segment_fixed_size: 0
    .kernarg_segment_align: 8
    .kernarg_segment_size: 72
    .language:       OpenCL C
    .language_version:
      - 2
      - 0
    .max_flat_workgroup_size: 128
    .name:           _ZN7rocprim17ROCPRIM_400000_NS6detail17trampoline_kernelINS0_14default_configENS1_22reduce_config_selectorIN6thrust23THRUST_200600_302600_NS5tupleIllNS6_9null_typeES8_S8_S8_S8_S8_S8_S8_EEEEZNS1_11reduce_implILb0ES3_PS9_SC_S9_NS6_11hip_rocprim9__extrema9arg_max_fIllNS6_4lessIlEEEEEE10hipError_tPvRmT1_T2_T3_mT4_P12ihipStream_tbEUlT_E0_NS1_11comp_targetILNS1_3genE0ELNS1_11target_archE4294967295ELNS1_3gpuE0ELNS1_3repE0EEENS1_30default_config_static_selectorELNS0_4arch9wavefront6targetE1EEEvSM_
    .private_segment_fixed_size: 0
    .sgpr_count:     4
    .sgpr_spill_count: 0
    .symbol:         _ZN7rocprim17ROCPRIM_400000_NS6detail17trampoline_kernelINS0_14default_configENS1_22reduce_config_selectorIN6thrust23THRUST_200600_302600_NS5tupleIllNS6_9null_typeES8_S8_S8_S8_S8_S8_S8_EEEEZNS1_11reduce_implILb0ES3_PS9_SC_S9_NS6_11hip_rocprim9__extrema9arg_max_fIllNS6_4lessIlEEEEEE10hipError_tPvRmT1_T2_T3_mT4_P12ihipStream_tbEUlT_E0_NS1_11comp_targetILNS1_3genE0ELNS1_11target_archE4294967295ELNS1_3gpuE0ELNS1_3repE0EEENS1_30default_config_static_selectorELNS0_4arch9wavefront6targetE1EEEvSM_.kd
    .uniform_work_group_size: 1
    .uses_dynamic_stack: false
    .vgpr_count:     0
    .vgpr_spill_count: 0
    .wavefront_size: 64
  - .agpr_count:     0
    .args:
      - .offset:         0
        .size:           72
        .value_kind:     by_value
    .group_segment_fixed_size: 0
    .kernarg_segment_align: 8
    .kernarg_segment_size: 72
    .language:       OpenCL C
    .language_version:
      - 2
      - 0
    .max_flat_workgroup_size: 256
    .name:           _ZN7rocprim17ROCPRIM_400000_NS6detail17trampoline_kernelINS0_14default_configENS1_22reduce_config_selectorIN6thrust23THRUST_200600_302600_NS5tupleIllNS6_9null_typeES8_S8_S8_S8_S8_S8_S8_EEEEZNS1_11reduce_implILb0ES3_PS9_SC_S9_NS6_11hip_rocprim9__extrema9arg_max_fIllNS6_4lessIlEEEEEE10hipError_tPvRmT1_T2_T3_mT4_P12ihipStream_tbEUlT_E0_NS1_11comp_targetILNS1_3genE5ELNS1_11target_archE942ELNS1_3gpuE9ELNS1_3repE0EEENS1_30default_config_static_selectorELNS0_4arch9wavefront6targetE1EEEvSM_
    .private_segment_fixed_size: 0
    .sgpr_count:     4
    .sgpr_spill_count: 0
    .symbol:         _ZN7rocprim17ROCPRIM_400000_NS6detail17trampoline_kernelINS0_14default_configENS1_22reduce_config_selectorIN6thrust23THRUST_200600_302600_NS5tupleIllNS6_9null_typeES8_S8_S8_S8_S8_S8_S8_EEEEZNS1_11reduce_implILb0ES3_PS9_SC_S9_NS6_11hip_rocprim9__extrema9arg_max_fIllNS6_4lessIlEEEEEE10hipError_tPvRmT1_T2_T3_mT4_P12ihipStream_tbEUlT_E0_NS1_11comp_targetILNS1_3genE5ELNS1_11target_archE942ELNS1_3gpuE9ELNS1_3repE0EEENS1_30default_config_static_selectorELNS0_4arch9wavefront6targetE1EEEvSM_.kd
    .uniform_work_group_size: 1
    .uses_dynamic_stack: false
    .vgpr_count:     0
    .vgpr_spill_count: 0
    .wavefront_size: 64
  - .agpr_count:     0
    .args:
      - .offset:         0
        .size:           72
        .value_kind:     by_value
    .group_segment_fixed_size: 128
    .kernarg_segment_align: 8
    .kernarg_segment_size: 72
    .language:       OpenCL C
    .language_version:
      - 2
      - 0
    .max_flat_workgroup_size: 256
    .name:           _ZN7rocprim17ROCPRIM_400000_NS6detail17trampoline_kernelINS0_14default_configENS1_22reduce_config_selectorIN6thrust23THRUST_200600_302600_NS5tupleIllNS6_9null_typeES8_S8_S8_S8_S8_S8_S8_EEEEZNS1_11reduce_implILb0ES3_PS9_SC_S9_NS6_11hip_rocprim9__extrema9arg_max_fIllNS6_4lessIlEEEEEE10hipError_tPvRmT1_T2_T3_mT4_P12ihipStream_tbEUlT_E0_NS1_11comp_targetILNS1_3genE4ELNS1_11target_archE910ELNS1_3gpuE8ELNS1_3repE0EEENS1_30default_config_static_selectorELNS0_4arch9wavefront6targetE1EEEvSM_
    .private_segment_fixed_size: 0
    .sgpr_count:     28
    .sgpr_spill_count: 0
    .symbol:         _ZN7rocprim17ROCPRIM_400000_NS6detail17trampoline_kernelINS0_14default_configENS1_22reduce_config_selectorIN6thrust23THRUST_200600_302600_NS5tupleIllNS6_9null_typeES8_S8_S8_S8_S8_S8_S8_EEEEZNS1_11reduce_implILb0ES3_PS9_SC_S9_NS6_11hip_rocprim9__extrema9arg_max_fIllNS6_4lessIlEEEEEE10hipError_tPvRmT1_T2_T3_mT4_P12ihipStream_tbEUlT_E0_NS1_11comp_targetILNS1_3genE4ELNS1_11target_archE910ELNS1_3gpuE8ELNS1_3repE0EEENS1_30default_config_static_selectorELNS0_4arch9wavefront6targetE1EEEvSM_.kd
    .uniform_work_group_size: 1
    .uses_dynamic_stack: false
    .vgpr_count:     14
    .vgpr_spill_count: 0
    .wavefront_size: 64
  - .agpr_count:     0
    .args:
      - .offset:         0
        .size:           72
        .value_kind:     by_value
    .group_segment_fixed_size: 0
    .kernarg_segment_align: 8
    .kernarg_segment_size: 72
    .language:       OpenCL C
    .language_version:
      - 2
      - 0
    .max_flat_workgroup_size: 128
    .name:           _ZN7rocprim17ROCPRIM_400000_NS6detail17trampoline_kernelINS0_14default_configENS1_22reduce_config_selectorIN6thrust23THRUST_200600_302600_NS5tupleIllNS6_9null_typeES8_S8_S8_S8_S8_S8_S8_EEEEZNS1_11reduce_implILb0ES3_PS9_SC_S9_NS6_11hip_rocprim9__extrema9arg_max_fIllNS6_4lessIlEEEEEE10hipError_tPvRmT1_T2_T3_mT4_P12ihipStream_tbEUlT_E0_NS1_11comp_targetILNS1_3genE3ELNS1_11target_archE908ELNS1_3gpuE7ELNS1_3repE0EEENS1_30default_config_static_selectorELNS0_4arch9wavefront6targetE1EEEvSM_
    .private_segment_fixed_size: 0
    .sgpr_count:     4
    .sgpr_spill_count: 0
    .symbol:         _ZN7rocprim17ROCPRIM_400000_NS6detail17trampoline_kernelINS0_14default_configENS1_22reduce_config_selectorIN6thrust23THRUST_200600_302600_NS5tupleIllNS6_9null_typeES8_S8_S8_S8_S8_S8_S8_EEEEZNS1_11reduce_implILb0ES3_PS9_SC_S9_NS6_11hip_rocprim9__extrema9arg_max_fIllNS6_4lessIlEEEEEE10hipError_tPvRmT1_T2_T3_mT4_P12ihipStream_tbEUlT_E0_NS1_11comp_targetILNS1_3genE3ELNS1_11target_archE908ELNS1_3gpuE7ELNS1_3repE0EEENS1_30default_config_static_selectorELNS0_4arch9wavefront6targetE1EEEvSM_.kd
    .uniform_work_group_size: 1
    .uses_dynamic_stack: false
    .vgpr_count:     0
    .vgpr_spill_count: 0
    .wavefront_size: 64
  - .agpr_count:     0
    .args:
      - .offset:         0
        .size:           72
        .value_kind:     by_value
    .group_segment_fixed_size: 0
    .kernarg_segment_align: 8
    .kernarg_segment_size: 72
    .language:       OpenCL C
    .language_version:
      - 2
      - 0
    .max_flat_workgroup_size: 128
    .name:           _ZN7rocprim17ROCPRIM_400000_NS6detail17trampoline_kernelINS0_14default_configENS1_22reduce_config_selectorIN6thrust23THRUST_200600_302600_NS5tupleIllNS6_9null_typeES8_S8_S8_S8_S8_S8_S8_EEEEZNS1_11reduce_implILb0ES3_PS9_SC_S9_NS6_11hip_rocprim9__extrema9arg_max_fIllNS6_4lessIlEEEEEE10hipError_tPvRmT1_T2_T3_mT4_P12ihipStream_tbEUlT_E0_NS1_11comp_targetILNS1_3genE2ELNS1_11target_archE906ELNS1_3gpuE6ELNS1_3repE0EEENS1_30default_config_static_selectorELNS0_4arch9wavefront6targetE1EEEvSM_
    .private_segment_fixed_size: 0
    .sgpr_count:     4
    .sgpr_spill_count: 0
    .symbol:         _ZN7rocprim17ROCPRIM_400000_NS6detail17trampoline_kernelINS0_14default_configENS1_22reduce_config_selectorIN6thrust23THRUST_200600_302600_NS5tupleIllNS6_9null_typeES8_S8_S8_S8_S8_S8_S8_EEEEZNS1_11reduce_implILb0ES3_PS9_SC_S9_NS6_11hip_rocprim9__extrema9arg_max_fIllNS6_4lessIlEEEEEE10hipError_tPvRmT1_T2_T3_mT4_P12ihipStream_tbEUlT_E0_NS1_11comp_targetILNS1_3genE2ELNS1_11target_archE906ELNS1_3gpuE6ELNS1_3repE0EEENS1_30default_config_static_selectorELNS0_4arch9wavefront6targetE1EEEvSM_.kd
    .uniform_work_group_size: 1
    .uses_dynamic_stack: false
    .vgpr_count:     0
    .vgpr_spill_count: 0
    .wavefront_size: 64
  - .agpr_count:     0
    .args:
      - .offset:         0
        .size:           72
        .value_kind:     by_value
    .group_segment_fixed_size: 0
    .kernarg_segment_align: 8
    .kernarg_segment_size: 72
    .language:       OpenCL C
    .language_version:
      - 2
      - 0
    .max_flat_workgroup_size: 256
    .name:           _ZN7rocprim17ROCPRIM_400000_NS6detail17trampoline_kernelINS0_14default_configENS1_22reduce_config_selectorIN6thrust23THRUST_200600_302600_NS5tupleIllNS6_9null_typeES8_S8_S8_S8_S8_S8_S8_EEEEZNS1_11reduce_implILb0ES3_PS9_SC_S9_NS6_11hip_rocprim9__extrema9arg_max_fIllNS6_4lessIlEEEEEE10hipError_tPvRmT1_T2_T3_mT4_P12ihipStream_tbEUlT_E0_NS1_11comp_targetILNS1_3genE10ELNS1_11target_archE1201ELNS1_3gpuE5ELNS1_3repE0EEENS1_30default_config_static_selectorELNS0_4arch9wavefront6targetE1EEEvSM_
    .private_segment_fixed_size: 0
    .sgpr_count:     4
    .sgpr_spill_count: 0
    .symbol:         _ZN7rocprim17ROCPRIM_400000_NS6detail17trampoline_kernelINS0_14default_configENS1_22reduce_config_selectorIN6thrust23THRUST_200600_302600_NS5tupleIllNS6_9null_typeES8_S8_S8_S8_S8_S8_S8_EEEEZNS1_11reduce_implILb0ES3_PS9_SC_S9_NS6_11hip_rocprim9__extrema9arg_max_fIllNS6_4lessIlEEEEEE10hipError_tPvRmT1_T2_T3_mT4_P12ihipStream_tbEUlT_E0_NS1_11comp_targetILNS1_3genE10ELNS1_11target_archE1201ELNS1_3gpuE5ELNS1_3repE0EEENS1_30default_config_static_selectorELNS0_4arch9wavefront6targetE1EEEvSM_.kd
    .uniform_work_group_size: 1
    .uses_dynamic_stack: false
    .vgpr_count:     0
    .vgpr_spill_count: 0
    .wavefront_size: 64
  - .agpr_count:     0
    .args:
      - .offset:         0
        .size:           72
        .value_kind:     by_value
    .group_segment_fixed_size: 0
    .kernarg_segment_align: 8
    .kernarg_segment_size: 72
    .language:       OpenCL C
    .language_version:
      - 2
      - 0
    .max_flat_workgroup_size: 256
    .name:           _ZN7rocprim17ROCPRIM_400000_NS6detail17trampoline_kernelINS0_14default_configENS1_22reduce_config_selectorIN6thrust23THRUST_200600_302600_NS5tupleIllNS6_9null_typeES8_S8_S8_S8_S8_S8_S8_EEEEZNS1_11reduce_implILb0ES3_PS9_SC_S9_NS6_11hip_rocprim9__extrema9arg_max_fIllNS6_4lessIlEEEEEE10hipError_tPvRmT1_T2_T3_mT4_P12ihipStream_tbEUlT_E0_NS1_11comp_targetILNS1_3genE10ELNS1_11target_archE1200ELNS1_3gpuE4ELNS1_3repE0EEENS1_30default_config_static_selectorELNS0_4arch9wavefront6targetE1EEEvSM_
    .private_segment_fixed_size: 0
    .sgpr_count:     4
    .sgpr_spill_count: 0
    .symbol:         _ZN7rocprim17ROCPRIM_400000_NS6detail17trampoline_kernelINS0_14default_configENS1_22reduce_config_selectorIN6thrust23THRUST_200600_302600_NS5tupleIllNS6_9null_typeES8_S8_S8_S8_S8_S8_S8_EEEEZNS1_11reduce_implILb0ES3_PS9_SC_S9_NS6_11hip_rocprim9__extrema9arg_max_fIllNS6_4lessIlEEEEEE10hipError_tPvRmT1_T2_T3_mT4_P12ihipStream_tbEUlT_E0_NS1_11comp_targetILNS1_3genE10ELNS1_11target_archE1200ELNS1_3gpuE4ELNS1_3repE0EEENS1_30default_config_static_selectorELNS0_4arch9wavefront6targetE1EEEvSM_.kd
    .uniform_work_group_size: 1
    .uses_dynamic_stack: false
    .vgpr_count:     0
    .vgpr_spill_count: 0
    .wavefront_size: 64
  - .agpr_count:     0
    .args:
      - .offset:         0
        .size:           72
        .value_kind:     by_value
    .group_segment_fixed_size: 0
    .kernarg_segment_align: 8
    .kernarg_segment_size: 72
    .language:       OpenCL C
    .language_version:
      - 2
      - 0
    .max_flat_workgroup_size: 256
    .name:           _ZN7rocprim17ROCPRIM_400000_NS6detail17trampoline_kernelINS0_14default_configENS1_22reduce_config_selectorIN6thrust23THRUST_200600_302600_NS5tupleIllNS6_9null_typeES8_S8_S8_S8_S8_S8_S8_EEEEZNS1_11reduce_implILb0ES3_PS9_SC_S9_NS6_11hip_rocprim9__extrema9arg_max_fIllNS6_4lessIlEEEEEE10hipError_tPvRmT1_T2_T3_mT4_P12ihipStream_tbEUlT_E0_NS1_11comp_targetILNS1_3genE9ELNS1_11target_archE1100ELNS1_3gpuE3ELNS1_3repE0EEENS1_30default_config_static_selectorELNS0_4arch9wavefront6targetE1EEEvSM_
    .private_segment_fixed_size: 0
    .sgpr_count:     4
    .sgpr_spill_count: 0
    .symbol:         _ZN7rocprim17ROCPRIM_400000_NS6detail17trampoline_kernelINS0_14default_configENS1_22reduce_config_selectorIN6thrust23THRUST_200600_302600_NS5tupleIllNS6_9null_typeES8_S8_S8_S8_S8_S8_S8_EEEEZNS1_11reduce_implILb0ES3_PS9_SC_S9_NS6_11hip_rocprim9__extrema9arg_max_fIllNS6_4lessIlEEEEEE10hipError_tPvRmT1_T2_T3_mT4_P12ihipStream_tbEUlT_E0_NS1_11comp_targetILNS1_3genE9ELNS1_11target_archE1100ELNS1_3gpuE3ELNS1_3repE0EEENS1_30default_config_static_selectorELNS0_4arch9wavefront6targetE1EEEvSM_.kd
    .uniform_work_group_size: 1
    .uses_dynamic_stack: false
    .vgpr_count:     0
    .vgpr_spill_count: 0
    .wavefront_size: 64
  - .agpr_count:     0
    .args:
      - .offset:         0
        .size:           72
        .value_kind:     by_value
    .group_segment_fixed_size: 0
    .kernarg_segment_align: 8
    .kernarg_segment_size: 72
    .language:       OpenCL C
    .language_version:
      - 2
      - 0
    .max_flat_workgroup_size: 256
    .name:           _ZN7rocprim17ROCPRIM_400000_NS6detail17trampoline_kernelINS0_14default_configENS1_22reduce_config_selectorIN6thrust23THRUST_200600_302600_NS5tupleIllNS6_9null_typeES8_S8_S8_S8_S8_S8_S8_EEEEZNS1_11reduce_implILb0ES3_PS9_SC_S9_NS6_11hip_rocprim9__extrema9arg_max_fIllNS6_4lessIlEEEEEE10hipError_tPvRmT1_T2_T3_mT4_P12ihipStream_tbEUlT_E0_NS1_11comp_targetILNS1_3genE8ELNS1_11target_archE1030ELNS1_3gpuE2ELNS1_3repE0EEENS1_30default_config_static_selectorELNS0_4arch9wavefront6targetE1EEEvSM_
    .private_segment_fixed_size: 0
    .sgpr_count:     4
    .sgpr_spill_count: 0
    .symbol:         _ZN7rocprim17ROCPRIM_400000_NS6detail17trampoline_kernelINS0_14default_configENS1_22reduce_config_selectorIN6thrust23THRUST_200600_302600_NS5tupleIllNS6_9null_typeES8_S8_S8_S8_S8_S8_S8_EEEEZNS1_11reduce_implILb0ES3_PS9_SC_S9_NS6_11hip_rocprim9__extrema9arg_max_fIllNS6_4lessIlEEEEEE10hipError_tPvRmT1_T2_T3_mT4_P12ihipStream_tbEUlT_E0_NS1_11comp_targetILNS1_3genE8ELNS1_11target_archE1030ELNS1_3gpuE2ELNS1_3repE0EEENS1_30default_config_static_selectorELNS0_4arch9wavefront6targetE1EEEvSM_.kd
    .uniform_work_group_size: 1
    .uses_dynamic_stack: false
    .vgpr_count:     0
    .vgpr_spill_count: 0
    .wavefront_size: 64
  - .agpr_count:     0
    .args:
      - .offset:         0
        .size:           56
        .value_kind:     by_value
    .group_segment_fixed_size: 0
    .kernarg_segment_align: 8
    .kernarg_segment_size: 56
    .language:       OpenCL C
    .language_version:
      - 2
      - 0
    .max_flat_workgroup_size: 128
    .name:           _ZN7rocprim17ROCPRIM_400000_NS6detail17trampoline_kernelINS0_14default_configENS1_22reduce_config_selectorIN6thrust23THRUST_200600_302600_NS5tupleIllNS6_9null_typeES8_S8_S8_S8_S8_S8_S8_EEEEZNS1_11reduce_implILb0ES3_PS9_SC_S9_NS6_11hip_rocprim9__extrema9arg_max_fIllNS6_4lessIlEEEEEE10hipError_tPvRmT1_T2_T3_mT4_P12ihipStream_tbEUlT_E1_NS1_11comp_targetILNS1_3genE0ELNS1_11target_archE4294967295ELNS1_3gpuE0ELNS1_3repE0EEENS1_30default_config_static_selectorELNS0_4arch9wavefront6targetE1EEEvSM_
    .private_segment_fixed_size: 0
    .sgpr_count:     4
    .sgpr_spill_count: 0
    .symbol:         _ZN7rocprim17ROCPRIM_400000_NS6detail17trampoline_kernelINS0_14default_configENS1_22reduce_config_selectorIN6thrust23THRUST_200600_302600_NS5tupleIllNS6_9null_typeES8_S8_S8_S8_S8_S8_S8_EEEEZNS1_11reduce_implILb0ES3_PS9_SC_S9_NS6_11hip_rocprim9__extrema9arg_max_fIllNS6_4lessIlEEEEEE10hipError_tPvRmT1_T2_T3_mT4_P12ihipStream_tbEUlT_E1_NS1_11comp_targetILNS1_3genE0ELNS1_11target_archE4294967295ELNS1_3gpuE0ELNS1_3repE0EEENS1_30default_config_static_selectorELNS0_4arch9wavefront6targetE1EEEvSM_.kd
    .uniform_work_group_size: 1
    .uses_dynamic_stack: false
    .vgpr_count:     0
    .vgpr_spill_count: 0
    .wavefront_size: 64
  - .agpr_count:     0
    .args:
      - .offset:         0
        .size:           56
        .value_kind:     by_value
    .group_segment_fixed_size: 0
    .kernarg_segment_align: 8
    .kernarg_segment_size: 56
    .language:       OpenCL C
    .language_version:
      - 2
      - 0
    .max_flat_workgroup_size: 256
    .name:           _ZN7rocprim17ROCPRIM_400000_NS6detail17trampoline_kernelINS0_14default_configENS1_22reduce_config_selectorIN6thrust23THRUST_200600_302600_NS5tupleIllNS6_9null_typeES8_S8_S8_S8_S8_S8_S8_EEEEZNS1_11reduce_implILb0ES3_PS9_SC_S9_NS6_11hip_rocprim9__extrema9arg_max_fIllNS6_4lessIlEEEEEE10hipError_tPvRmT1_T2_T3_mT4_P12ihipStream_tbEUlT_E1_NS1_11comp_targetILNS1_3genE5ELNS1_11target_archE942ELNS1_3gpuE9ELNS1_3repE0EEENS1_30default_config_static_selectorELNS0_4arch9wavefront6targetE1EEEvSM_
    .private_segment_fixed_size: 0
    .sgpr_count:     4
    .sgpr_spill_count: 0
    .symbol:         _ZN7rocprim17ROCPRIM_400000_NS6detail17trampoline_kernelINS0_14default_configENS1_22reduce_config_selectorIN6thrust23THRUST_200600_302600_NS5tupleIllNS6_9null_typeES8_S8_S8_S8_S8_S8_S8_EEEEZNS1_11reduce_implILb0ES3_PS9_SC_S9_NS6_11hip_rocprim9__extrema9arg_max_fIllNS6_4lessIlEEEEEE10hipError_tPvRmT1_T2_T3_mT4_P12ihipStream_tbEUlT_E1_NS1_11comp_targetILNS1_3genE5ELNS1_11target_archE942ELNS1_3gpuE9ELNS1_3repE0EEENS1_30default_config_static_selectorELNS0_4arch9wavefront6targetE1EEEvSM_.kd
    .uniform_work_group_size: 1
    .uses_dynamic_stack: false
    .vgpr_count:     0
    .vgpr_spill_count: 0
    .wavefront_size: 64
  - .agpr_count:     0
    .args:
      - .offset:         0
        .size:           56
        .value_kind:     by_value
    .group_segment_fixed_size: 320
    .kernarg_segment_align: 8
    .kernarg_segment_size: 56
    .language:       OpenCL C
    .language_version:
      - 2
      - 0
    .max_flat_workgroup_size: 256
    .name:           _ZN7rocprim17ROCPRIM_400000_NS6detail17trampoline_kernelINS0_14default_configENS1_22reduce_config_selectorIN6thrust23THRUST_200600_302600_NS5tupleIllNS6_9null_typeES8_S8_S8_S8_S8_S8_S8_EEEEZNS1_11reduce_implILb0ES3_PS9_SC_S9_NS6_11hip_rocprim9__extrema9arg_max_fIllNS6_4lessIlEEEEEE10hipError_tPvRmT1_T2_T3_mT4_P12ihipStream_tbEUlT_E1_NS1_11comp_targetILNS1_3genE4ELNS1_11target_archE910ELNS1_3gpuE8ELNS1_3repE0EEENS1_30default_config_static_selectorELNS0_4arch9wavefront6targetE1EEEvSM_
    .private_segment_fixed_size: 0
    .sgpr_count:     36
    .sgpr_spill_count: 0
    .symbol:         _ZN7rocprim17ROCPRIM_400000_NS6detail17trampoline_kernelINS0_14default_configENS1_22reduce_config_selectorIN6thrust23THRUST_200600_302600_NS5tupleIllNS6_9null_typeES8_S8_S8_S8_S8_S8_S8_EEEEZNS1_11reduce_implILb0ES3_PS9_SC_S9_NS6_11hip_rocprim9__extrema9arg_max_fIllNS6_4lessIlEEEEEE10hipError_tPvRmT1_T2_T3_mT4_P12ihipStream_tbEUlT_E1_NS1_11comp_targetILNS1_3genE4ELNS1_11target_archE910ELNS1_3gpuE8ELNS1_3repE0EEENS1_30default_config_static_selectorELNS0_4arch9wavefront6targetE1EEEvSM_.kd
    .uniform_work_group_size: 1
    .uses_dynamic_stack: false
    .vgpr_count:     35
    .vgpr_spill_count: 0
    .wavefront_size: 64
  - .agpr_count:     0
    .args:
      - .offset:         0
        .size:           56
        .value_kind:     by_value
    .group_segment_fixed_size: 0
    .kernarg_segment_align: 8
    .kernarg_segment_size: 56
    .language:       OpenCL C
    .language_version:
      - 2
      - 0
    .max_flat_workgroup_size: 128
    .name:           _ZN7rocprim17ROCPRIM_400000_NS6detail17trampoline_kernelINS0_14default_configENS1_22reduce_config_selectorIN6thrust23THRUST_200600_302600_NS5tupleIllNS6_9null_typeES8_S8_S8_S8_S8_S8_S8_EEEEZNS1_11reduce_implILb0ES3_PS9_SC_S9_NS6_11hip_rocprim9__extrema9arg_max_fIllNS6_4lessIlEEEEEE10hipError_tPvRmT1_T2_T3_mT4_P12ihipStream_tbEUlT_E1_NS1_11comp_targetILNS1_3genE3ELNS1_11target_archE908ELNS1_3gpuE7ELNS1_3repE0EEENS1_30default_config_static_selectorELNS0_4arch9wavefront6targetE1EEEvSM_
    .private_segment_fixed_size: 0
    .sgpr_count:     4
    .sgpr_spill_count: 0
    .symbol:         _ZN7rocprim17ROCPRIM_400000_NS6detail17trampoline_kernelINS0_14default_configENS1_22reduce_config_selectorIN6thrust23THRUST_200600_302600_NS5tupleIllNS6_9null_typeES8_S8_S8_S8_S8_S8_S8_EEEEZNS1_11reduce_implILb0ES3_PS9_SC_S9_NS6_11hip_rocprim9__extrema9arg_max_fIllNS6_4lessIlEEEEEE10hipError_tPvRmT1_T2_T3_mT4_P12ihipStream_tbEUlT_E1_NS1_11comp_targetILNS1_3genE3ELNS1_11target_archE908ELNS1_3gpuE7ELNS1_3repE0EEENS1_30default_config_static_selectorELNS0_4arch9wavefront6targetE1EEEvSM_.kd
    .uniform_work_group_size: 1
    .uses_dynamic_stack: false
    .vgpr_count:     0
    .vgpr_spill_count: 0
    .wavefront_size: 64
  - .agpr_count:     0
    .args:
      - .offset:         0
        .size:           56
        .value_kind:     by_value
    .group_segment_fixed_size: 0
    .kernarg_segment_align: 8
    .kernarg_segment_size: 56
    .language:       OpenCL C
    .language_version:
      - 2
      - 0
    .max_flat_workgroup_size: 128
    .name:           _ZN7rocprim17ROCPRIM_400000_NS6detail17trampoline_kernelINS0_14default_configENS1_22reduce_config_selectorIN6thrust23THRUST_200600_302600_NS5tupleIllNS6_9null_typeES8_S8_S8_S8_S8_S8_S8_EEEEZNS1_11reduce_implILb0ES3_PS9_SC_S9_NS6_11hip_rocprim9__extrema9arg_max_fIllNS6_4lessIlEEEEEE10hipError_tPvRmT1_T2_T3_mT4_P12ihipStream_tbEUlT_E1_NS1_11comp_targetILNS1_3genE2ELNS1_11target_archE906ELNS1_3gpuE6ELNS1_3repE0EEENS1_30default_config_static_selectorELNS0_4arch9wavefront6targetE1EEEvSM_
    .private_segment_fixed_size: 0
    .sgpr_count:     4
    .sgpr_spill_count: 0
    .symbol:         _ZN7rocprim17ROCPRIM_400000_NS6detail17trampoline_kernelINS0_14default_configENS1_22reduce_config_selectorIN6thrust23THRUST_200600_302600_NS5tupleIllNS6_9null_typeES8_S8_S8_S8_S8_S8_S8_EEEEZNS1_11reduce_implILb0ES3_PS9_SC_S9_NS6_11hip_rocprim9__extrema9arg_max_fIllNS6_4lessIlEEEEEE10hipError_tPvRmT1_T2_T3_mT4_P12ihipStream_tbEUlT_E1_NS1_11comp_targetILNS1_3genE2ELNS1_11target_archE906ELNS1_3gpuE6ELNS1_3repE0EEENS1_30default_config_static_selectorELNS0_4arch9wavefront6targetE1EEEvSM_.kd
    .uniform_work_group_size: 1
    .uses_dynamic_stack: false
    .vgpr_count:     0
    .vgpr_spill_count: 0
    .wavefront_size: 64
  - .agpr_count:     0
    .args:
      - .offset:         0
        .size:           56
        .value_kind:     by_value
    .group_segment_fixed_size: 0
    .kernarg_segment_align: 8
    .kernarg_segment_size: 56
    .language:       OpenCL C
    .language_version:
      - 2
      - 0
    .max_flat_workgroup_size: 256
    .name:           _ZN7rocprim17ROCPRIM_400000_NS6detail17trampoline_kernelINS0_14default_configENS1_22reduce_config_selectorIN6thrust23THRUST_200600_302600_NS5tupleIllNS6_9null_typeES8_S8_S8_S8_S8_S8_S8_EEEEZNS1_11reduce_implILb0ES3_PS9_SC_S9_NS6_11hip_rocprim9__extrema9arg_max_fIllNS6_4lessIlEEEEEE10hipError_tPvRmT1_T2_T3_mT4_P12ihipStream_tbEUlT_E1_NS1_11comp_targetILNS1_3genE10ELNS1_11target_archE1201ELNS1_3gpuE5ELNS1_3repE0EEENS1_30default_config_static_selectorELNS0_4arch9wavefront6targetE1EEEvSM_
    .private_segment_fixed_size: 0
    .sgpr_count:     4
    .sgpr_spill_count: 0
    .symbol:         _ZN7rocprim17ROCPRIM_400000_NS6detail17trampoline_kernelINS0_14default_configENS1_22reduce_config_selectorIN6thrust23THRUST_200600_302600_NS5tupleIllNS6_9null_typeES8_S8_S8_S8_S8_S8_S8_EEEEZNS1_11reduce_implILb0ES3_PS9_SC_S9_NS6_11hip_rocprim9__extrema9arg_max_fIllNS6_4lessIlEEEEEE10hipError_tPvRmT1_T2_T3_mT4_P12ihipStream_tbEUlT_E1_NS1_11comp_targetILNS1_3genE10ELNS1_11target_archE1201ELNS1_3gpuE5ELNS1_3repE0EEENS1_30default_config_static_selectorELNS0_4arch9wavefront6targetE1EEEvSM_.kd
    .uniform_work_group_size: 1
    .uses_dynamic_stack: false
    .vgpr_count:     0
    .vgpr_spill_count: 0
    .wavefront_size: 64
  - .agpr_count:     0
    .args:
      - .offset:         0
        .size:           56
        .value_kind:     by_value
    .group_segment_fixed_size: 0
    .kernarg_segment_align: 8
    .kernarg_segment_size: 56
    .language:       OpenCL C
    .language_version:
      - 2
      - 0
    .max_flat_workgroup_size: 256
    .name:           _ZN7rocprim17ROCPRIM_400000_NS6detail17trampoline_kernelINS0_14default_configENS1_22reduce_config_selectorIN6thrust23THRUST_200600_302600_NS5tupleIllNS6_9null_typeES8_S8_S8_S8_S8_S8_S8_EEEEZNS1_11reduce_implILb0ES3_PS9_SC_S9_NS6_11hip_rocprim9__extrema9arg_max_fIllNS6_4lessIlEEEEEE10hipError_tPvRmT1_T2_T3_mT4_P12ihipStream_tbEUlT_E1_NS1_11comp_targetILNS1_3genE10ELNS1_11target_archE1200ELNS1_3gpuE4ELNS1_3repE0EEENS1_30default_config_static_selectorELNS0_4arch9wavefront6targetE1EEEvSM_
    .private_segment_fixed_size: 0
    .sgpr_count:     4
    .sgpr_spill_count: 0
    .symbol:         _ZN7rocprim17ROCPRIM_400000_NS6detail17trampoline_kernelINS0_14default_configENS1_22reduce_config_selectorIN6thrust23THRUST_200600_302600_NS5tupleIllNS6_9null_typeES8_S8_S8_S8_S8_S8_S8_EEEEZNS1_11reduce_implILb0ES3_PS9_SC_S9_NS6_11hip_rocprim9__extrema9arg_max_fIllNS6_4lessIlEEEEEE10hipError_tPvRmT1_T2_T3_mT4_P12ihipStream_tbEUlT_E1_NS1_11comp_targetILNS1_3genE10ELNS1_11target_archE1200ELNS1_3gpuE4ELNS1_3repE0EEENS1_30default_config_static_selectorELNS0_4arch9wavefront6targetE1EEEvSM_.kd
    .uniform_work_group_size: 1
    .uses_dynamic_stack: false
    .vgpr_count:     0
    .vgpr_spill_count: 0
    .wavefront_size: 64
  - .agpr_count:     0
    .args:
      - .offset:         0
        .size:           56
        .value_kind:     by_value
    .group_segment_fixed_size: 0
    .kernarg_segment_align: 8
    .kernarg_segment_size: 56
    .language:       OpenCL C
    .language_version:
      - 2
      - 0
    .max_flat_workgroup_size: 256
    .name:           _ZN7rocprim17ROCPRIM_400000_NS6detail17trampoline_kernelINS0_14default_configENS1_22reduce_config_selectorIN6thrust23THRUST_200600_302600_NS5tupleIllNS6_9null_typeES8_S8_S8_S8_S8_S8_S8_EEEEZNS1_11reduce_implILb0ES3_PS9_SC_S9_NS6_11hip_rocprim9__extrema9arg_max_fIllNS6_4lessIlEEEEEE10hipError_tPvRmT1_T2_T3_mT4_P12ihipStream_tbEUlT_E1_NS1_11comp_targetILNS1_3genE9ELNS1_11target_archE1100ELNS1_3gpuE3ELNS1_3repE0EEENS1_30default_config_static_selectorELNS0_4arch9wavefront6targetE1EEEvSM_
    .private_segment_fixed_size: 0
    .sgpr_count:     4
    .sgpr_spill_count: 0
    .symbol:         _ZN7rocprim17ROCPRIM_400000_NS6detail17trampoline_kernelINS0_14default_configENS1_22reduce_config_selectorIN6thrust23THRUST_200600_302600_NS5tupleIllNS6_9null_typeES8_S8_S8_S8_S8_S8_S8_EEEEZNS1_11reduce_implILb0ES3_PS9_SC_S9_NS6_11hip_rocprim9__extrema9arg_max_fIllNS6_4lessIlEEEEEE10hipError_tPvRmT1_T2_T3_mT4_P12ihipStream_tbEUlT_E1_NS1_11comp_targetILNS1_3genE9ELNS1_11target_archE1100ELNS1_3gpuE3ELNS1_3repE0EEENS1_30default_config_static_selectorELNS0_4arch9wavefront6targetE1EEEvSM_.kd
    .uniform_work_group_size: 1
    .uses_dynamic_stack: false
    .vgpr_count:     0
    .vgpr_spill_count: 0
    .wavefront_size: 64
  - .agpr_count:     0
    .args:
      - .offset:         0
        .size:           56
        .value_kind:     by_value
    .group_segment_fixed_size: 0
    .kernarg_segment_align: 8
    .kernarg_segment_size: 56
    .language:       OpenCL C
    .language_version:
      - 2
      - 0
    .max_flat_workgroup_size: 256
    .name:           _ZN7rocprim17ROCPRIM_400000_NS6detail17trampoline_kernelINS0_14default_configENS1_22reduce_config_selectorIN6thrust23THRUST_200600_302600_NS5tupleIllNS6_9null_typeES8_S8_S8_S8_S8_S8_S8_EEEEZNS1_11reduce_implILb0ES3_PS9_SC_S9_NS6_11hip_rocprim9__extrema9arg_max_fIllNS6_4lessIlEEEEEE10hipError_tPvRmT1_T2_T3_mT4_P12ihipStream_tbEUlT_E1_NS1_11comp_targetILNS1_3genE8ELNS1_11target_archE1030ELNS1_3gpuE2ELNS1_3repE0EEENS1_30default_config_static_selectorELNS0_4arch9wavefront6targetE1EEEvSM_
    .private_segment_fixed_size: 0
    .sgpr_count:     4
    .sgpr_spill_count: 0
    .symbol:         _ZN7rocprim17ROCPRIM_400000_NS6detail17trampoline_kernelINS0_14default_configENS1_22reduce_config_selectorIN6thrust23THRUST_200600_302600_NS5tupleIllNS6_9null_typeES8_S8_S8_S8_S8_S8_S8_EEEEZNS1_11reduce_implILb0ES3_PS9_SC_S9_NS6_11hip_rocprim9__extrema9arg_max_fIllNS6_4lessIlEEEEEE10hipError_tPvRmT1_T2_T3_mT4_P12ihipStream_tbEUlT_E1_NS1_11comp_targetILNS1_3genE8ELNS1_11target_archE1030ELNS1_3gpuE2ELNS1_3repE0EEENS1_30default_config_static_selectorELNS0_4arch9wavefront6targetE1EEEvSM_.kd
    .uniform_work_group_size: 1
    .uses_dynamic_stack: false
    .vgpr_count:     0
    .vgpr_spill_count: 0
    .wavefront_size: 64
  - .agpr_count:     0
    .args:
      - .offset:         0
        .size:           80
        .value_kind:     by_value
    .group_segment_fixed_size: 0
    .kernarg_segment_align: 8
    .kernarg_segment_size: 80
    .language:       OpenCL C
    .language_version:
      - 2
      - 0
    .max_flat_workgroup_size: 128
    .name:           _ZN7rocprim17ROCPRIM_400000_NS6detail17trampoline_kernelINS0_14default_configENS1_22reduce_config_selectorIN6thrust23THRUST_200600_302600_NS5tupleIllNS6_9null_typeES8_S8_S8_S8_S8_S8_S8_EEEEZNS1_11reduce_implILb0ES3_NS6_12zip_iteratorINS7_INS6_10device_ptrIlEENS6_11hip_rocprim19counting_iterator_tIlEES8_S8_S8_S8_S8_S8_S8_S8_EEEEPS9_S9_NSF_9__extrema9arg_max_fIllNS6_4lessIlEEEEEE10hipError_tPvRmT1_T2_T3_mT4_P12ihipStream_tbEUlT_E0_NS1_11comp_targetILNS1_3genE0ELNS1_11target_archE4294967295ELNS1_3gpuE0ELNS1_3repE0EEENS1_30default_config_static_selectorELNS0_4arch9wavefront6targetE1EEEvST_
    .private_segment_fixed_size: 0
    .sgpr_count:     4
    .sgpr_spill_count: 0
    .symbol:         _ZN7rocprim17ROCPRIM_400000_NS6detail17trampoline_kernelINS0_14default_configENS1_22reduce_config_selectorIN6thrust23THRUST_200600_302600_NS5tupleIllNS6_9null_typeES8_S8_S8_S8_S8_S8_S8_EEEEZNS1_11reduce_implILb0ES3_NS6_12zip_iteratorINS7_INS6_10device_ptrIlEENS6_11hip_rocprim19counting_iterator_tIlEES8_S8_S8_S8_S8_S8_S8_S8_EEEEPS9_S9_NSF_9__extrema9arg_max_fIllNS6_4lessIlEEEEEE10hipError_tPvRmT1_T2_T3_mT4_P12ihipStream_tbEUlT_E0_NS1_11comp_targetILNS1_3genE0ELNS1_11target_archE4294967295ELNS1_3gpuE0ELNS1_3repE0EEENS1_30default_config_static_selectorELNS0_4arch9wavefront6targetE1EEEvST_.kd
    .uniform_work_group_size: 1
    .uses_dynamic_stack: false
    .vgpr_count:     0
    .vgpr_spill_count: 0
    .wavefront_size: 64
  - .agpr_count:     0
    .args:
      - .offset:         0
        .size:           80
        .value_kind:     by_value
    .group_segment_fixed_size: 0
    .kernarg_segment_align: 8
    .kernarg_segment_size: 80
    .language:       OpenCL C
    .language_version:
      - 2
      - 0
    .max_flat_workgroup_size: 256
    .name:           _ZN7rocprim17ROCPRIM_400000_NS6detail17trampoline_kernelINS0_14default_configENS1_22reduce_config_selectorIN6thrust23THRUST_200600_302600_NS5tupleIllNS6_9null_typeES8_S8_S8_S8_S8_S8_S8_EEEEZNS1_11reduce_implILb0ES3_NS6_12zip_iteratorINS7_INS6_10device_ptrIlEENS6_11hip_rocprim19counting_iterator_tIlEES8_S8_S8_S8_S8_S8_S8_S8_EEEEPS9_S9_NSF_9__extrema9arg_max_fIllNS6_4lessIlEEEEEE10hipError_tPvRmT1_T2_T3_mT4_P12ihipStream_tbEUlT_E0_NS1_11comp_targetILNS1_3genE5ELNS1_11target_archE942ELNS1_3gpuE9ELNS1_3repE0EEENS1_30default_config_static_selectorELNS0_4arch9wavefront6targetE1EEEvST_
    .private_segment_fixed_size: 0
    .sgpr_count:     4
    .sgpr_spill_count: 0
    .symbol:         _ZN7rocprim17ROCPRIM_400000_NS6detail17trampoline_kernelINS0_14default_configENS1_22reduce_config_selectorIN6thrust23THRUST_200600_302600_NS5tupleIllNS6_9null_typeES8_S8_S8_S8_S8_S8_S8_EEEEZNS1_11reduce_implILb0ES3_NS6_12zip_iteratorINS7_INS6_10device_ptrIlEENS6_11hip_rocprim19counting_iterator_tIlEES8_S8_S8_S8_S8_S8_S8_S8_EEEEPS9_S9_NSF_9__extrema9arg_max_fIllNS6_4lessIlEEEEEE10hipError_tPvRmT1_T2_T3_mT4_P12ihipStream_tbEUlT_E0_NS1_11comp_targetILNS1_3genE5ELNS1_11target_archE942ELNS1_3gpuE9ELNS1_3repE0EEENS1_30default_config_static_selectorELNS0_4arch9wavefront6targetE1EEEvST_.kd
    .uniform_work_group_size: 1
    .uses_dynamic_stack: false
    .vgpr_count:     0
    .vgpr_spill_count: 0
    .wavefront_size: 64
  - .agpr_count:     0
    .args:
      - .offset:         0
        .size:           80
        .value_kind:     by_value
    .group_segment_fixed_size: 128
    .kernarg_segment_align: 8
    .kernarg_segment_size: 80
    .language:       OpenCL C
    .language_version:
      - 2
      - 0
    .max_flat_workgroup_size: 256
    .name:           _ZN7rocprim17ROCPRIM_400000_NS6detail17trampoline_kernelINS0_14default_configENS1_22reduce_config_selectorIN6thrust23THRUST_200600_302600_NS5tupleIllNS6_9null_typeES8_S8_S8_S8_S8_S8_S8_EEEEZNS1_11reduce_implILb0ES3_NS6_12zip_iteratorINS7_INS6_10device_ptrIlEENS6_11hip_rocprim19counting_iterator_tIlEES8_S8_S8_S8_S8_S8_S8_S8_EEEEPS9_S9_NSF_9__extrema9arg_max_fIllNS6_4lessIlEEEEEE10hipError_tPvRmT1_T2_T3_mT4_P12ihipStream_tbEUlT_E0_NS1_11comp_targetILNS1_3genE4ELNS1_11target_archE910ELNS1_3gpuE8ELNS1_3repE0EEENS1_30default_config_static_selectorELNS0_4arch9wavefront6targetE1EEEvST_
    .private_segment_fixed_size: 0
    .sgpr_count:     30
    .sgpr_spill_count: 0
    .symbol:         _ZN7rocprim17ROCPRIM_400000_NS6detail17trampoline_kernelINS0_14default_configENS1_22reduce_config_selectorIN6thrust23THRUST_200600_302600_NS5tupleIllNS6_9null_typeES8_S8_S8_S8_S8_S8_S8_EEEEZNS1_11reduce_implILb0ES3_NS6_12zip_iteratorINS7_INS6_10device_ptrIlEENS6_11hip_rocprim19counting_iterator_tIlEES8_S8_S8_S8_S8_S8_S8_S8_EEEEPS9_S9_NSF_9__extrema9arg_max_fIllNS6_4lessIlEEEEEE10hipError_tPvRmT1_T2_T3_mT4_P12ihipStream_tbEUlT_E0_NS1_11comp_targetILNS1_3genE4ELNS1_11target_archE910ELNS1_3gpuE8ELNS1_3repE0EEENS1_30default_config_static_selectorELNS0_4arch9wavefront6targetE1EEEvST_.kd
    .uniform_work_group_size: 1
    .uses_dynamic_stack: false
    .vgpr_count:     14
    .vgpr_spill_count: 0
    .wavefront_size: 64
  - .agpr_count:     0
    .args:
      - .offset:         0
        .size:           80
        .value_kind:     by_value
    .group_segment_fixed_size: 0
    .kernarg_segment_align: 8
    .kernarg_segment_size: 80
    .language:       OpenCL C
    .language_version:
      - 2
      - 0
    .max_flat_workgroup_size: 128
    .name:           _ZN7rocprim17ROCPRIM_400000_NS6detail17trampoline_kernelINS0_14default_configENS1_22reduce_config_selectorIN6thrust23THRUST_200600_302600_NS5tupleIllNS6_9null_typeES8_S8_S8_S8_S8_S8_S8_EEEEZNS1_11reduce_implILb0ES3_NS6_12zip_iteratorINS7_INS6_10device_ptrIlEENS6_11hip_rocprim19counting_iterator_tIlEES8_S8_S8_S8_S8_S8_S8_S8_EEEEPS9_S9_NSF_9__extrema9arg_max_fIllNS6_4lessIlEEEEEE10hipError_tPvRmT1_T2_T3_mT4_P12ihipStream_tbEUlT_E0_NS1_11comp_targetILNS1_3genE3ELNS1_11target_archE908ELNS1_3gpuE7ELNS1_3repE0EEENS1_30default_config_static_selectorELNS0_4arch9wavefront6targetE1EEEvST_
    .private_segment_fixed_size: 0
    .sgpr_count:     4
    .sgpr_spill_count: 0
    .symbol:         _ZN7rocprim17ROCPRIM_400000_NS6detail17trampoline_kernelINS0_14default_configENS1_22reduce_config_selectorIN6thrust23THRUST_200600_302600_NS5tupleIllNS6_9null_typeES8_S8_S8_S8_S8_S8_S8_EEEEZNS1_11reduce_implILb0ES3_NS6_12zip_iteratorINS7_INS6_10device_ptrIlEENS6_11hip_rocprim19counting_iterator_tIlEES8_S8_S8_S8_S8_S8_S8_S8_EEEEPS9_S9_NSF_9__extrema9arg_max_fIllNS6_4lessIlEEEEEE10hipError_tPvRmT1_T2_T3_mT4_P12ihipStream_tbEUlT_E0_NS1_11comp_targetILNS1_3genE3ELNS1_11target_archE908ELNS1_3gpuE7ELNS1_3repE0EEENS1_30default_config_static_selectorELNS0_4arch9wavefront6targetE1EEEvST_.kd
    .uniform_work_group_size: 1
    .uses_dynamic_stack: false
    .vgpr_count:     0
    .vgpr_spill_count: 0
    .wavefront_size: 64
  - .agpr_count:     0
    .args:
      - .offset:         0
        .size:           80
        .value_kind:     by_value
    .group_segment_fixed_size: 0
    .kernarg_segment_align: 8
    .kernarg_segment_size: 80
    .language:       OpenCL C
    .language_version:
      - 2
      - 0
    .max_flat_workgroup_size: 128
    .name:           _ZN7rocprim17ROCPRIM_400000_NS6detail17trampoline_kernelINS0_14default_configENS1_22reduce_config_selectorIN6thrust23THRUST_200600_302600_NS5tupleIllNS6_9null_typeES8_S8_S8_S8_S8_S8_S8_EEEEZNS1_11reduce_implILb0ES3_NS6_12zip_iteratorINS7_INS6_10device_ptrIlEENS6_11hip_rocprim19counting_iterator_tIlEES8_S8_S8_S8_S8_S8_S8_S8_EEEEPS9_S9_NSF_9__extrema9arg_max_fIllNS6_4lessIlEEEEEE10hipError_tPvRmT1_T2_T3_mT4_P12ihipStream_tbEUlT_E0_NS1_11comp_targetILNS1_3genE2ELNS1_11target_archE906ELNS1_3gpuE6ELNS1_3repE0EEENS1_30default_config_static_selectorELNS0_4arch9wavefront6targetE1EEEvST_
    .private_segment_fixed_size: 0
    .sgpr_count:     4
    .sgpr_spill_count: 0
    .symbol:         _ZN7rocprim17ROCPRIM_400000_NS6detail17trampoline_kernelINS0_14default_configENS1_22reduce_config_selectorIN6thrust23THRUST_200600_302600_NS5tupleIllNS6_9null_typeES8_S8_S8_S8_S8_S8_S8_EEEEZNS1_11reduce_implILb0ES3_NS6_12zip_iteratorINS7_INS6_10device_ptrIlEENS6_11hip_rocprim19counting_iterator_tIlEES8_S8_S8_S8_S8_S8_S8_S8_EEEEPS9_S9_NSF_9__extrema9arg_max_fIllNS6_4lessIlEEEEEE10hipError_tPvRmT1_T2_T3_mT4_P12ihipStream_tbEUlT_E0_NS1_11comp_targetILNS1_3genE2ELNS1_11target_archE906ELNS1_3gpuE6ELNS1_3repE0EEENS1_30default_config_static_selectorELNS0_4arch9wavefront6targetE1EEEvST_.kd
    .uniform_work_group_size: 1
    .uses_dynamic_stack: false
    .vgpr_count:     0
    .vgpr_spill_count: 0
    .wavefront_size: 64
  - .agpr_count:     0
    .args:
      - .offset:         0
        .size:           80
        .value_kind:     by_value
    .group_segment_fixed_size: 0
    .kernarg_segment_align: 8
    .kernarg_segment_size: 80
    .language:       OpenCL C
    .language_version:
      - 2
      - 0
    .max_flat_workgroup_size: 256
    .name:           _ZN7rocprim17ROCPRIM_400000_NS6detail17trampoline_kernelINS0_14default_configENS1_22reduce_config_selectorIN6thrust23THRUST_200600_302600_NS5tupleIllNS6_9null_typeES8_S8_S8_S8_S8_S8_S8_EEEEZNS1_11reduce_implILb0ES3_NS6_12zip_iteratorINS7_INS6_10device_ptrIlEENS6_11hip_rocprim19counting_iterator_tIlEES8_S8_S8_S8_S8_S8_S8_S8_EEEEPS9_S9_NSF_9__extrema9arg_max_fIllNS6_4lessIlEEEEEE10hipError_tPvRmT1_T2_T3_mT4_P12ihipStream_tbEUlT_E0_NS1_11comp_targetILNS1_3genE10ELNS1_11target_archE1201ELNS1_3gpuE5ELNS1_3repE0EEENS1_30default_config_static_selectorELNS0_4arch9wavefront6targetE1EEEvST_
    .private_segment_fixed_size: 0
    .sgpr_count:     4
    .sgpr_spill_count: 0
    .symbol:         _ZN7rocprim17ROCPRIM_400000_NS6detail17trampoline_kernelINS0_14default_configENS1_22reduce_config_selectorIN6thrust23THRUST_200600_302600_NS5tupleIllNS6_9null_typeES8_S8_S8_S8_S8_S8_S8_EEEEZNS1_11reduce_implILb0ES3_NS6_12zip_iteratorINS7_INS6_10device_ptrIlEENS6_11hip_rocprim19counting_iterator_tIlEES8_S8_S8_S8_S8_S8_S8_S8_EEEEPS9_S9_NSF_9__extrema9arg_max_fIllNS6_4lessIlEEEEEE10hipError_tPvRmT1_T2_T3_mT4_P12ihipStream_tbEUlT_E0_NS1_11comp_targetILNS1_3genE10ELNS1_11target_archE1201ELNS1_3gpuE5ELNS1_3repE0EEENS1_30default_config_static_selectorELNS0_4arch9wavefront6targetE1EEEvST_.kd
    .uniform_work_group_size: 1
    .uses_dynamic_stack: false
    .vgpr_count:     0
    .vgpr_spill_count: 0
    .wavefront_size: 64
  - .agpr_count:     0
    .args:
      - .offset:         0
        .size:           80
        .value_kind:     by_value
    .group_segment_fixed_size: 0
    .kernarg_segment_align: 8
    .kernarg_segment_size: 80
    .language:       OpenCL C
    .language_version:
      - 2
      - 0
    .max_flat_workgroup_size: 256
    .name:           _ZN7rocprim17ROCPRIM_400000_NS6detail17trampoline_kernelINS0_14default_configENS1_22reduce_config_selectorIN6thrust23THRUST_200600_302600_NS5tupleIllNS6_9null_typeES8_S8_S8_S8_S8_S8_S8_EEEEZNS1_11reduce_implILb0ES3_NS6_12zip_iteratorINS7_INS6_10device_ptrIlEENS6_11hip_rocprim19counting_iterator_tIlEES8_S8_S8_S8_S8_S8_S8_S8_EEEEPS9_S9_NSF_9__extrema9arg_max_fIllNS6_4lessIlEEEEEE10hipError_tPvRmT1_T2_T3_mT4_P12ihipStream_tbEUlT_E0_NS1_11comp_targetILNS1_3genE10ELNS1_11target_archE1200ELNS1_3gpuE4ELNS1_3repE0EEENS1_30default_config_static_selectorELNS0_4arch9wavefront6targetE1EEEvST_
    .private_segment_fixed_size: 0
    .sgpr_count:     4
    .sgpr_spill_count: 0
    .symbol:         _ZN7rocprim17ROCPRIM_400000_NS6detail17trampoline_kernelINS0_14default_configENS1_22reduce_config_selectorIN6thrust23THRUST_200600_302600_NS5tupleIllNS6_9null_typeES8_S8_S8_S8_S8_S8_S8_EEEEZNS1_11reduce_implILb0ES3_NS6_12zip_iteratorINS7_INS6_10device_ptrIlEENS6_11hip_rocprim19counting_iterator_tIlEES8_S8_S8_S8_S8_S8_S8_S8_EEEEPS9_S9_NSF_9__extrema9arg_max_fIllNS6_4lessIlEEEEEE10hipError_tPvRmT1_T2_T3_mT4_P12ihipStream_tbEUlT_E0_NS1_11comp_targetILNS1_3genE10ELNS1_11target_archE1200ELNS1_3gpuE4ELNS1_3repE0EEENS1_30default_config_static_selectorELNS0_4arch9wavefront6targetE1EEEvST_.kd
    .uniform_work_group_size: 1
    .uses_dynamic_stack: false
    .vgpr_count:     0
    .vgpr_spill_count: 0
    .wavefront_size: 64
  - .agpr_count:     0
    .args:
      - .offset:         0
        .size:           80
        .value_kind:     by_value
    .group_segment_fixed_size: 0
    .kernarg_segment_align: 8
    .kernarg_segment_size: 80
    .language:       OpenCL C
    .language_version:
      - 2
      - 0
    .max_flat_workgroup_size: 256
    .name:           _ZN7rocprim17ROCPRIM_400000_NS6detail17trampoline_kernelINS0_14default_configENS1_22reduce_config_selectorIN6thrust23THRUST_200600_302600_NS5tupleIllNS6_9null_typeES8_S8_S8_S8_S8_S8_S8_EEEEZNS1_11reduce_implILb0ES3_NS6_12zip_iteratorINS7_INS6_10device_ptrIlEENS6_11hip_rocprim19counting_iterator_tIlEES8_S8_S8_S8_S8_S8_S8_S8_EEEEPS9_S9_NSF_9__extrema9arg_max_fIllNS6_4lessIlEEEEEE10hipError_tPvRmT1_T2_T3_mT4_P12ihipStream_tbEUlT_E0_NS1_11comp_targetILNS1_3genE9ELNS1_11target_archE1100ELNS1_3gpuE3ELNS1_3repE0EEENS1_30default_config_static_selectorELNS0_4arch9wavefront6targetE1EEEvST_
    .private_segment_fixed_size: 0
    .sgpr_count:     4
    .sgpr_spill_count: 0
    .symbol:         _ZN7rocprim17ROCPRIM_400000_NS6detail17trampoline_kernelINS0_14default_configENS1_22reduce_config_selectorIN6thrust23THRUST_200600_302600_NS5tupleIllNS6_9null_typeES8_S8_S8_S8_S8_S8_S8_EEEEZNS1_11reduce_implILb0ES3_NS6_12zip_iteratorINS7_INS6_10device_ptrIlEENS6_11hip_rocprim19counting_iterator_tIlEES8_S8_S8_S8_S8_S8_S8_S8_EEEEPS9_S9_NSF_9__extrema9arg_max_fIllNS6_4lessIlEEEEEE10hipError_tPvRmT1_T2_T3_mT4_P12ihipStream_tbEUlT_E0_NS1_11comp_targetILNS1_3genE9ELNS1_11target_archE1100ELNS1_3gpuE3ELNS1_3repE0EEENS1_30default_config_static_selectorELNS0_4arch9wavefront6targetE1EEEvST_.kd
    .uniform_work_group_size: 1
    .uses_dynamic_stack: false
    .vgpr_count:     0
    .vgpr_spill_count: 0
    .wavefront_size: 64
  - .agpr_count:     0
    .args:
      - .offset:         0
        .size:           80
        .value_kind:     by_value
    .group_segment_fixed_size: 0
    .kernarg_segment_align: 8
    .kernarg_segment_size: 80
    .language:       OpenCL C
    .language_version:
      - 2
      - 0
    .max_flat_workgroup_size: 256
    .name:           _ZN7rocprim17ROCPRIM_400000_NS6detail17trampoline_kernelINS0_14default_configENS1_22reduce_config_selectorIN6thrust23THRUST_200600_302600_NS5tupleIllNS6_9null_typeES8_S8_S8_S8_S8_S8_S8_EEEEZNS1_11reduce_implILb0ES3_NS6_12zip_iteratorINS7_INS6_10device_ptrIlEENS6_11hip_rocprim19counting_iterator_tIlEES8_S8_S8_S8_S8_S8_S8_S8_EEEEPS9_S9_NSF_9__extrema9arg_max_fIllNS6_4lessIlEEEEEE10hipError_tPvRmT1_T2_T3_mT4_P12ihipStream_tbEUlT_E0_NS1_11comp_targetILNS1_3genE8ELNS1_11target_archE1030ELNS1_3gpuE2ELNS1_3repE0EEENS1_30default_config_static_selectorELNS0_4arch9wavefront6targetE1EEEvST_
    .private_segment_fixed_size: 0
    .sgpr_count:     4
    .sgpr_spill_count: 0
    .symbol:         _ZN7rocprim17ROCPRIM_400000_NS6detail17trampoline_kernelINS0_14default_configENS1_22reduce_config_selectorIN6thrust23THRUST_200600_302600_NS5tupleIllNS6_9null_typeES8_S8_S8_S8_S8_S8_S8_EEEEZNS1_11reduce_implILb0ES3_NS6_12zip_iteratorINS7_INS6_10device_ptrIlEENS6_11hip_rocprim19counting_iterator_tIlEES8_S8_S8_S8_S8_S8_S8_S8_EEEEPS9_S9_NSF_9__extrema9arg_max_fIllNS6_4lessIlEEEEEE10hipError_tPvRmT1_T2_T3_mT4_P12ihipStream_tbEUlT_E0_NS1_11comp_targetILNS1_3genE8ELNS1_11target_archE1030ELNS1_3gpuE2ELNS1_3repE0EEENS1_30default_config_static_selectorELNS0_4arch9wavefront6targetE1EEEvST_.kd
    .uniform_work_group_size: 1
    .uses_dynamic_stack: false
    .vgpr_count:     0
    .vgpr_spill_count: 0
    .wavefront_size: 64
  - .agpr_count:     0
    .args:
      - .offset:         0
        .size:           64
        .value_kind:     by_value
    .group_segment_fixed_size: 0
    .kernarg_segment_align: 8
    .kernarg_segment_size: 64
    .language:       OpenCL C
    .language_version:
      - 2
      - 0
    .max_flat_workgroup_size: 128
    .name:           _ZN7rocprim17ROCPRIM_400000_NS6detail17trampoline_kernelINS0_14default_configENS1_22reduce_config_selectorIN6thrust23THRUST_200600_302600_NS5tupleIllNS6_9null_typeES8_S8_S8_S8_S8_S8_S8_EEEEZNS1_11reduce_implILb0ES3_NS6_12zip_iteratorINS7_INS6_10device_ptrIlEENS6_11hip_rocprim19counting_iterator_tIlEES8_S8_S8_S8_S8_S8_S8_S8_EEEEPS9_S9_NSF_9__extrema9arg_max_fIllNS6_4lessIlEEEEEE10hipError_tPvRmT1_T2_T3_mT4_P12ihipStream_tbEUlT_E1_NS1_11comp_targetILNS1_3genE0ELNS1_11target_archE4294967295ELNS1_3gpuE0ELNS1_3repE0EEENS1_30default_config_static_selectorELNS0_4arch9wavefront6targetE1EEEvST_
    .private_segment_fixed_size: 0
    .sgpr_count:     4
    .sgpr_spill_count: 0
    .symbol:         _ZN7rocprim17ROCPRIM_400000_NS6detail17trampoline_kernelINS0_14default_configENS1_22reduce_config_selectorIN6thrust23THRUST_200600_302600_NS5tupleIllNS6_9null_typeES8_S8_S8_S8_S8_S8_S8_EEEEZNS1_11reduce_implILb0ES3_NS6_12zip_iteratorINS7_INS6_10device_ptrIlEENS6_11hip_rocprim19counting_iterator_tIlEES8_S8_S8_S8_S8_S8_S8_S8_EEEEPS9_S9_NSF_9__extrema9arg_max_fIllNS6_4lessIlEEEEEE10hipError_tPvRmT1_T2_T3_mT4_P12ihipStream_tbEUlT_E1_NS1_11comp_targetILNS1_3genE0ELNS1_11target_archE4294967295ELNS1_3gpuE0ELNS1_3repE0EEENS1_30default_config_static_selectorELNS0_4arch9wavefront6targetE1EEEvST_.kd
    .uniform_work_group_size: 1
    .uses_dynamic_stack: false
    .vgpr_count:     0
    .vgpr_spill_count: 0
    .wavefront_size: 64
  - .agpr_count:     0
    .args:
      - .offset:         0
        .size:           64
        .value_kind:     by_value
    .group_segment_fixed_size: 0
    .kernarg_segment_align: 8
    .kernarg_segment_size: 64
    .language:       OpenCL C
    .language_version:
      - 2
      - 0
    .max_flat_workgroup_size: 256
    .name:           _ZN7rocprim17ROCPRIM_400000_NS6detail17trampoline_kernelINS0_14default_configENS1_22reduce_config_selectorIN6thrust23THRUST_200600_302600_NS5tupleIllNS6_9null_typeES8_S8_S8_S8_S8_S8_S8_EEEEZNS1_11reduce_implILb0ES3_NS6_12zip_iteratorINS7_INS6_10device_ptrIlEENS6_11hip_rocprim19counting_iterator_tIlEES8_S8_S8_S8_S8_S8_S8_S8_EEEEPS9_S9_NSF_9__extrema9arg_max_fIllNS6_4lessIlEEEEEE10hipError_tPvRmT1_T2_T3_mT4_P12ihipStream_tbEUlT_E1_NS1_11comp_targetILNS1_3genE5ELNS1_11target_archE942ELNS1_3gpuE9ELNS1_3repE0EEENS1_30default_config_static_selectorELNS0_4arch9wavefront6targetE1EEEvST_
    .private_segment_fixed_size: 0
    .sgpr_count:     4
    .sgpr_spill_count: 0
    .symbol:         _ZN7rocprim17ROCPRIM_400000_NS6detail17trampoline_kernelINS0_14default_configENS1_22reduce_config_selectorIN6thrust23THRUST_200600_302600_NS5tupleIllNS6_9null_typeES8_S8_S8_S8_S8_S8_S8_EEEEZNS1_11reduce_implILb0ES3_NS6_12zip_iteratorINS7_INS6_10device_ptrIlEENS6_11hip_rocprim19counting_iterator_tIlEES8_S8_S8_S8_S8_S8_S8_S8_EEEEPS9_S9_NSF_9__extrema9arg_max_fIllNS6_4lessIlEEEEEE10hipError_tPvRmT1_T2_T3_mT4_P12ihipStream_tbEUlT_E1_NS1_11comp_targetILNS1_3genE5ELNS1_11target_archE942ELNS1_3gpuE9ELNS1_3repE0EEENS1_30default_config_static_selectorELNS0_4arch9wavefront6targetE1EEEvST_.kd
    .uniform_work_group_size: 1
    .uses_dynamic_stack: false
    .vgpr_count:     0
    .vgpr_spill_count: 0
    .wavefront_size: 64
  - .agpr_count:     0
    .args:
      - .offset:         0
        .size:           64
        .value_kind:     by_value
    .group_segment_fixed_size: 320
    .kernarg_segment_align: 8
    .kernarg_segment_size: 64
    .language:       OpenCL C
    .language_version:
      - 2
      - 0
    .max_flat_workgroup_size: 256
    .name:           _ZN7rocprim17ROCPRIM_400000_NS6detail17trampoline_kernelINS0_14default_configENS1_22reduce_config_selectorIN6thrust23THRUST_200600_302600_NS5tupleIllNS6_9null_typeES8_S8_S8_S8_S8_S8_S8_EEEEZNS1_11reduce_implILb0ES3_NS6_12zip_iteratorINS7_INS6_10device_ptrIlEENS6_11hip_rocprim19counting_iterator_tIlEES8_S8_S8_S8_S8_S8_S8_S8_EEEEPS9_S9_NSF_9__extrema9arg_max_fIllNS6_4lessIlEEEEEE10hipError_tPvRmT1_T2_T3_mT4_P12ihipStream_tbEUlT_E1_NS1_11comp_targetILNS1_3genE4ELNS1_11target_archE910ELNS1_3gpuE8ELNS1_3repE0EEENS1_30default_config_static_selectorELNS0_4arch9wavefront6targetE1EEEvST_
    .private_segment_fixed_size: 0
    .sgpr_count:     39
    .sgpr_spill_count: 0
    .symbol:         _ZN7rocprim17ROCPRIM_400000_NS6detail17trampoline_kernelINS0_14default_configENS1_22reduce_config_selectorIN6thrust23THRUST_200600_302600_NS5tupleIllNS6_9null_typeES8_S8_S8_S8_S8_S8_S8_EEEEZNS1_11reduce_implILb0ES3_NS6_12zip_iteratorINS7_INS6_10device_ptrIlEENS6_11hip_rocprim19counting_iterator_tIlEES8_S8_S8_S8_S8_S8_S8_S8_EEEEPS9_S9_NSF_9__extrema9arg_max_fIllNS6_4lessIlEEEEEE10hipError_tPvRmT1_T2_T3_mT4_P12ihipStream_tbEUlT_E1_NS1_11comp_targetILNS1_3genE4ELNS1_11target_archE910ELNS1_3gpuE8ELNS1_3repE0EEENS1_30default_config_static_selectorELNS0_4arch9wavefront6targetE1EEEvST_.kd
    .uniform_work_group_size: 1
    .uses_dynamic_stack: false
    .vgpr_count:     35
    .vgpr_spill_count: 0
    .wavefront_size: 64
  - .agpr_count:     0
    .args:
      - .offset:         0
        .size:           64
        .value_kind:     by_value
    .group_segment_fixed_size: 0
    .kernarg_segment_align: 8
    .kernarg_segment_size: 64
    .language:       OpenCL C
    .language_version:
      - 2
      - 0
    .max_flat_workgroup_size: 128
    .name:           _ZN7rocprim17ROCPRIM_400000_NS6detail17trampoline_kernelINS0_14default_configENS1_22reduce_config_selectorIN6thrust23THRUST_200600_302600_NS5tupleIllNS6_9null_typeES8_S8_S8_S8_S8_S8_S8_EEEEZNS1_11reduce_implILb0ES3_NS6_12zip_iteratorINS7_INS6_10device_ptrIlEENS6_11hip_rocprim19counting_iterator_tIlEES8_S8_S8_S8_S8_S8_S8_S8_EEEEPS9_S9_NSF_9__extrema9arg_max_fIllNS6_4lessIlEEEEEE10hipError_tPvRmT1_T2_T3_mT4_P12ihipStream_tbEUlT_E1_NS1_11comp_targetILNS1_3genE3ELNS1_11target_archE908ELNS1_3gpuE7ELNS1_3repE0EEENS1_30default_config_static_selectorELNS0_4arch9wavefront6targetE1EEEvST_
    .private_segment_fixed_size: 0
    .sgpr_count:     4
    .sgpr_spill_count: 0
    .symbol:         _ZN7rocprim17ROCPRIM_400000_NS6detail17trampoline_kernelINS0_14default_configENS1_22reduce_config_selectorIN6thrust23THRUST_200600_302600_NS5tupleIllNS6_9null_typeES8_S8_S8_S8_S8_S8_S8_EEEEZNS1_11reduce_implILb0ES3_NS6_12zip_iteratorINS7_INS6_10device_ptrIlEENS6_11hip_rocprim19counting_iterator_tIlEES8_S8_S8_S8_S8_S8_S8_S8_EEEEPS9_S9_NSF_9__extrema9arg_max_fIllNS6_4lessIlEEEEEE10hipError_tPvRmT1_T2_T3_mT4_P12ihipStream_tbEUlT_E1_NS1_11comp_targetILNS1_3genE3ELNS1_11target_archE908ELNS1_3gpuE7ELNS1_3repE0EEENS1_30default_config_static_selectorELNS0_4arch9wavefront6targetE1EEEvST_.kd
    .uniform_work_group_size: 1
    .uses_dynamic_stack: false
    .vgpr_count:     0
    .vgpr_spill_count: 0
    .wavefront_size: 64
  - .agpr_count:     0
    .args:
      - .offset:         0
        .size:           64
        .value_kind:     by_value
    .group_segment_fixed_size: 0
    .kernarg_segment_align: 8
    .kernarg_segment_size: 64
    .language:       OpenCL C
    .language_version:
      - 2
      - 0
    .max_flat_workgroup_size: 128
    .name:           _ZN7rocprim17ROCPRIM_400000_NS6detail17trampoline_kernelINS0_14default_configENS1_22reduce_config_selectorIN6thrust23THRUST_200600_302600_NS5tupleIllNS6_9null_typeES8_S8_S8_S8_S8_S8_S8_EEEEZNS1_11reduce_implILb0ES3_NS6_12zip_iteratorINS7_INS6_10device_ptrIlEENS6_11hip_rocprim19counting_iterator_tIlEES8_S8_S8_S8_S8_S8_S8_S8_EEEEPS9_S9_NSF_9__extrema9arg_max_fIllNS6_4lessIlEEEEEE10hipError_tPvRmT1_T2_T3_mT4_P12ihipStream_tbEUlT_E1_NS1_11comp_targetILNS1_3genE2ELNS1_11target_archE906ELNS1_3gpuE6ELNS1_3repE0EEENS1_30default_config_static_selectorELNS0_4arch9wavefront6targetE1EEEvST_
    .private_segment_fixed_size: 0
    .sgpr_count:     4
    .sgpr_spill_count: 0
    .symbol:         _ZN7rocprim17ROCPRIM_400000_NS6detail17trampoline_kernelINS0_14default_configENS1_22reduce_config_selectorIN6thrust23THRUST_200600_302600_NS5tupleIllNS6_9null_typeES8_S8_S8_S8_S8_S8_S8_EEEEZNS1_11reduce_implILb0ES3_NS6_12zip_iteratorINS7_INS6_10device_ptrIlEENS6_11hip_rocprim19counting_iterator_tIlEES8_S8_S8_S8_S8_S8_S8_S8_EEEEPS9_S9_NSF_9__extrema9arg_max_fIllNS6_4lessIlEEEEEE10hipError_tPvRmT1_T2_T3_mT4_P12ihipStream_tbEUlT_E1_NS1_11comp_targetILNS1_3genE2ELNS1_11target_archE906ELNS1_3gpuE6ELNS1_3repE0EEENS1_30default_config_static_selectorELNS0_4arch9wavefront6targetE1EEEvST_.kd
    .uniform_work_group_size: 1
    .uses_dynamic_stack: false
    .vgpr_count:     0
    .vgpr_spill_count: 0
    .wavefront_size: 64
  - .agpr_count:     0
    .args:
      - .offset:         0
        .size:           64
        .value_kind:     by_value
    .group_segment_fixed_size: 0
    .kernarg_segment_align: 8
    .kernarg_segment_size: 64
    .language:       OpenCL C
    .language_version:
      - 2
      - 0
    .max_flat_workgroup_size: 256
    .name:           _ZN7rocprim17ROCPRIM_400000_NS6detail17trampoline_kernelINS0_14default_configENS1_22reduce_config_selectorIN6thrust23THRUST_200600_302600_NS5tupleIllNS6_9null_typeES8_S8_S8_S8_S8_S8_S8_EEEEZNS1_11reduce_implILb0ES3_NS6_12zip_iteratorINS7_INS6_10device_ptrIlEENS6_11hip_rocprim19counting_iterator_tIlEES8_S8_S8_S8_S8_S8_S8_S8_EEEEPS9_S9_NSF_9__extrema9arg_max_fIllNS6_4lessIlEEEEEE10hipError_tPvRmT1_T2_T3_mT4_P12ihipStream_tbEUlT_E1_NS1_11comp_targetILNS1_3genE10ELNS1_11target_archE1201ELNS1_3gpuE5ELNS1_3repE0EEENS1_30default_config_static_selectorELNS0_4arch9wavefront6targetE1EEEvST_
    .private_segment_fixed_size: 0
    .sgpr_count:     4
    .sgpr_spill_count: 0
    .symbol:         _ZN7rocprim17ROCPRIM_400000_NS6detail17trampoline_kernelINS0_14default_configENS1_22reduce_config_selectorIN6thrust23THRUST_200600_302600_NS5tupleIllNS6_9null_typeES8_S8_S8_S8_S8_S8_S8_EEEEZNS1_11reduce_implILb0ES3_NS6_12zip_iteratorINS7_INS6_10device_ptrIlEENS6_11hip_rocprim19counting_iterator_tIlEES8_S8_S8_S8_S8_S8_S8_S8_EEEEPS9_S9_NSF_9__extrema9arg_max_fIllNS6_4lessIlEEEEEE10hipError_tPvRmT1_T2_T3_mT4_P12ihipStream_tbEUlT_E1_NS1_11comp_targetILNS1_3genE10ELNS1_11target_archE1201ELNS1_3gpuE5ELNS1_3repE0EEENS1_30default_config_static_selectorELNS0_4arch9wavefront6targetE1EEEvST_.kd
    .uniform_work_group_size: 1
    .uses_dynamic_stack: false
    .vgpr_count:     0
    .vgpr_spill_count: 0
    .wavefront_size: 64
  - .agpr_count:     0
    .args:
      - .offset:         0
        .size:           64
        .value_kind:     by_value
    .group_segment_fixed_size: 0
    .kernarg_segment_align: 8
    .kernarg_segment_size: 64
    .language:       OpenCL C
    .language_version:
      - 2
      - 0
    .max_flat_workgroup_size: 256
    .name:           _ZN7rocprim17ROCPRIM_400000_NS6detail17trampoline_kernelINS0_14default_configENS1_22reduce_config_selectorIN6thrust23THRUST_200600_302600_NS5tupleIllNS6_9null_typeES8_S8_S8_S8_S8_S8_S8_EEEEZNS1_11reduce_implILb0ES3_NS6_12zip_iteratorINS7_INS6_10device_ptrIlEENS6_11hip_rocprim19counting_iterator_tIlEES8_S8_S8_S8_S8_S8_S8_S8_EEEEPS9_S9_NSF_9__extrema9arg_max_fIllNS6_4lessIlEEEEEE10hipError_tPvRmT1_T2_T3_mT4_P12ihipStream_tbEUlT_E1_NS1_11comp_targetILNS1_3genE10ELNS1_11target_archE1200ELNS1_3gpuE4ELNS1_3repE0EEENS1_30default_config_static_selectorELNS0_4arch9wavefront6targetE1EEEvST_
    .private_segment_fixed_size: 0
    .sgpr_count:     4
    .sgpr_spill_count: 0
    .symbol:         _ZN7rocprim17ROCPRIM_400000_NS6detail17trampoline_kernelINS0_14default_configENS1_22reduce_config_selectorIN6thrust23THRUST_200600_302600_NS5tupleIllNS6_9null_typeES8_S8_S8_S8_S8_S8_S8_EEEEZNS1_11reduce_implILb0ES3_NS6_12zip_iteratorINS7_INS6_10device_ptrIlEENS6_11hip_rocprim19counting_iterator_tIlEES8_S8_S8_S8_S8_S8_S8_S8_EEEEPS9_S9_NSF_9__extrema9arg_max_fIllNS6_4lessIlEEEEEE10hipError_tPvRmT1_T2_T3_mT4_P12ihipStream_tbEUlT_E1_NS1_11comp_targetILNS1_3genE10ELNS1_11target_archE1200ELNS1_3gpuE4ELNS1_3repE0EEENS1_30default_config_static_selectorELNS0_4arch9wavefront6targetE1EEEvST_.kd
    .uniform_work_group_size: 1
    .uses_dynamic_stack: false
    .vgpr_count:     0
    .vgpr_spill_count: 0
    .wavefront_size: 64
  - .agpr_count:     0
    .args:
      - .offset:         0
        .size:           64
        .value_kind:     by_value
    .group_segment_fixed_size: 0
    .kernarg_segment_align: 8
    .kernarg_segment_size: 64
    .language:       OpenCL C
    .language_version:
      - 2
      - 0
    .max_flat_workgroup_size: 256
    .name:           _ZN7rocprim17ROCPRIM_400000_NS6detail17trampoline_kernelINS0_14default_configENS1_22reduce_config_selectorIN6thrust23THRUST_200600_302600_NS5tupleIllNS6_9null_typeES8_S8_S8_S8_S8_S8_S8_EEEEZNS1_11reduce_implILb0ES3_NS6_12zip_iteratorINS7_INS6_10device_ptrIlEENS6_11hip_rocprim19counting_iterator_tIlEES8_S8_S8_S8_S8_S8_S8_S8_EEEEPS9_S9_NSF_9__extrema9arg_max_fIllNS6_4lessIlEEEEEE10hipError_tPvRmT1_T2_T3_mT4_P12ihipStream_tbEUlT_E1_NS1_11comp_targetILNS1_3genE9ELNS1_11target_archE1100ELNS1_3gpuE3ELNS1_3repE0EEENS1_30default_config_static_selectorELNS0_4arch9wavefront6targetE1EEEvST_
    .private_segment_fixed_size: 0
    .sgpr_count:     4
    .sgpr_spill_count: 0
    .symbol:         _ZN7rocprim17ROCPRIM_400000_NS6detail17trampoline_kernelINS0_14default_configENS1_22reduce_config_selectorIN6thrust23THRUST_200600_302600_NS5tupleIllNS6_9null_typeES8_S8_S8_S8_S8_S8_S8_EEEEZNS1_11reduce_implILb0ES3_NS6_12zip_iteratorINS7_INS6_10device_ptrIlEENS6_11hip_rocprim19counting_iterator_tIlEES8_S8_S8_S8_S8_S8_S8_S8_EEEEPS9_S9_NSF_9__extrema9arg_max_fIllNS6_4lessIlEEEEEE10hipError_tPvRmT1_T2_T3_mT4_P12ihipStream_tbEUlT_E1_NS1_11comp_targetILNS1_3genE9ELNS1_11target_archE1100ELNS1_3gpuE3ELNS1_3repE0EEENS1_30default_config_static_selectorELNS0_4arch9wavefront6targetE1EEEvST_.kd
    .uniform_work_group_size: 1
    .uses_dynamic_stack: false
    .vgpr_count:     0
    .vgpr_spill_count: 0
    .wavefront_size: 64
  - .agpr_count:     0
    .args:
      - .offset:         0
        .size:           64
        .value_kind:     by_value
    .group_segment_fixed_size: 0
    .kernarg_segment_align: 8
    .kernarg_segment_size: 64
    .language:       OpenCL C
    .language_version:
      - 2
      - 0
    .max_flat_workgroup_size: 256
    .name:           _ZN7rocprim17ROCPRIM_400000_NS6detail17trampoline_kernelINS0_14default_configENS1_22reduce_config_selectorIN6thrust23THRUST_200600_302600_NS5tupleIllNS6_9null_typeES8_S8_S8_S8_S8_S8_S8_EEEEZNS1_11reduce_implILb0ES3_NS6_12zip_iteratorINS7_INS6_10device_ptrIlEENS6_11hip_rocprim19counting_iterator_tIlEES8_S8_S8_S8_S8_S8_S8_S8_EEEEPS9_S9_NSF_9__extrema9arg_max_fIllNS6_4lessIlEEEEEE10hipError_tPvRmT1_T2_T3_mT4_P12ihipStream_tbEUlT_E1_NS1_11comp_targetILNS1_3genE8ELNS1_11target_archE1030ELNS1_3gpuE2ELNS1_3repE0EEENS1_30default_config_static_selectorELNS0_4arch9wavefront6targetE1EEEvST_
    .private_segment_fixed_size: 0
    .sgpr_count:     4
    .sgpr_spill_count: 0
    .symbol:         _ZN7rocprim17ROCPRIM_400000_NS6detail17trampoline_kernelINS0_14default_configENS1_22reduce_config_selectorIN6thrust23THRUST_200600_302600_NS5tupleIllNS6_9null_typeES8_S8_S8_S8_S8_S8_S8_EEEEZNS1_11reduce_implILb0ES3_NS6_12zip_iteratorINS7_INS6_10device_ptrIlEENS6_11hip_rocprim19counting_iterator_tIlEES8_S8_S8_S8_S8_S8_S8_S8_EEEEPS9_S9_NSF_9__extrema9arg_max_fIllNS6_4lessIlEEEEEE10hipError_tPvRmT1_T2_T3_mT4_P12ihipStream_tbEUlT_E1_NS1_11comp_targetILNS1_3genE8ELNS1_11target_archE1030ELNS1_3gpuE2ELNS1_3repE0EEENS1_30default_config_static_selectorELNS0_4arch9wavefront6targetE1EEEvST_.kd
    .uniform_work_group_size: 1
    .uses_dynamic_stack: false
    .vgpr_count:     0
    .vgpr_spill_count: 0
    .wavefront_size: 64
  - .agpr_count:     0
    .args:
      - .offset:         0
        .size:           16
        .value_kind:     by_value
      - .offset:         16
        .size:           8
        .value_kind:     by_value
      - .offset:         24
        .size:           8
        .value_kind:     by_value
    .group_segment_fixed_size: 0
    .kernarg_segment_align: 8
    .kernarg_segment_size: 32
    .language:       OpenCL C
    .language_version:
      - 2
      - 0
    .max_flat_workgroup_size: 256
    .name:           _ZN6thrust23THRUST_200600_302600_NS11hip_rocprim14__parallel_for6kernelILj256ENS1_10for_each_fINS0_7pointerINS0_5tupleIllNS0_9null_typeES7_S7_S7_S7_S7_S7_S7_EENS0_6detail22execute_with_allocatorIRN2at4cuda15ThrustAllocatorENS1_22execute_on_stream_baseEEENS0_11use_defaultESH_EENS9_16wrapped_functionINS9_23allocator_traits_detail24construct1_via_allocatorINS9_18no_throw_allocatorINS9_19temporary_allocatorIS8_SG_EEEEEEvEEEEmLj1EEEvT0_T1_SU_
    .private_segment_fixed_size: 0
    .sgpr_count:     16
    .sgpr_spill_count: 0
    .symbol:         _ZN6thrust23THRUST_200600_302600_NS11hip_rocprim14__parallel_for6kernelILj256ENS1_10for_each_fINS0_7pointerINS0_5tupleIllNS0_9null_typeES7_S7_S7_S7_S7_S7_S7_EENS0_6detail22execute_with_allocatorIRN2at4cuda15ThrustAllocatorENS1_22execute_on_stream_baseEEENS0_11use_defaultESH_EENS9_16wrapped_functionINS9_23allocator_traits_detail24construct1_via_allocatorINS9_18no_throw_allocatorINS9_19temporary_allocatorIS8_SG_EEEEEEvEEEEmLj1EEEvT0_T1_SU_.kd
    .uniform_work_group_size: 1
    .uses_dynamic_stack: false
    .vgpr_count:     8
    .vgpr_spill_count: 0
    .wavefront_size: 64
  - .agpr_count:     0
    .args:
      - .offset:         0
        .size:           16
        .value_kind:     by_value
      - .offset:         16
        .size:           8
        .value_kind:     by_value
      - .offset:         24
        .size:           8
        .value_kind:     by_value
    .group_segment_fixed_size: 0
    .kernarg_segment_align: 8
    .kernarg_segment_size: 32
    .language:       OpenCL C
    .language_version:
      - 2
      - 0
    .max_flat_workgroup_size: 256
    .name:           _ZN6thrust23THRUST_200600_302600_NS11hip_rocprim14__parallel_for6kernelILj256ENS1_10for_each_fINS0_7pointerINS0_5tupleIllNS0_9null_typeES7_S7_S7_S7_S7_S7_S7_EENS0_6detail22execute_with_allocatorIRN2at4cuda15ThrustAllocatorENS1_22execute_on_stream_baseEEENS0_11use_defaultESH_EENS9_16wrapped_functionINS9_23allocator_traits_detail5gozerEvEEEElLj1EEEvT0_T1_SP_
    .private_segment_fixed_size: 0
    .sgpr_count:     4
    .sgpr_spill_count: 0
    .symbol:         _ZN6thrust23THRUST_200600_302600_NS11hip_rocprim14__parallel_for6kernelILj256ENS1_10for_each_fINS0_7pointerINS0_5tupleIllNS0_9null_typeES7_S7_S7_S7_S7_S7_S7_EENS0_6detail22execute_with_allocatorIRN2at4cuda15ThrustAllocatorENS1_22execute_on_stream_baseEEENS0_11use_defaultESH_EENS9_16wrapped_functionINS9_23allocator_traits_detail5gozerEvEEEElLj1EEEvT0_T1_SP_.kd
    .uniform_work_group_size: 1
    .uses_dynamic_stack: false
    .vgpr_count:     0
    .vgpr_spill_count: 0
    .wavefront_size: 64
  - .agpr_count:     0
    .args:
      - .offset:         0
        .size:           16
        .value_kind:     by_value
      - .offset:         16
        .size:           8
        .value_kind:     by_value
      - .offset:         24
        .size:           8
        .value_kind:     by_value
    .group_segment_fixed_size: 0
    .kernarg_segment_align: 8
    .kernarg_segment_size: 32
    .language:       OpenCL C
    .language_version:
      - 2
      - 0
    .max_flat_workgroup_size: 256
    .name:           _ZN6thrust23THRUST_200600_302600_NS11hip_rocprim14__parallel_for6kernelILj256ENS1_20__uninitialized_copy7functorIPNS0_5tupleIllNS0_9null_typeES7_S7_S7_S7_S7_S7_S7_EENS0_7pointerIS8_NS0_6detail22execute_with_allocatorIRN2at4cuda15ThrustAllocatorENS1_22execute_on_stream_baseEEENS0_11use_defaultESJ_EEEEmLj1EEEvT0_T1_SN_
    .private_segment_fixed_size: 0
    .sgpr_count:     20
    .sgpr_spill_count: 0
    .symbol:         _ZN6thrust23THRUST_200600_302600_NS11hip_rocprim14__parallel_for6kernelILj256ENS1_20__uninitialized_copy7functorIPNS0_5tupleIllNS0_9null_typeES7_S7_S7_S7_S7_S7_S7_EENS0_7pointerIS8_NS0_6detail22execute_with_allocatorIRN2at4cuda15ThrustAllocatorENS1_22execute_on_stream_baseEEENS0_11use_defaultESJ_EEEEmLj1EEEvT0_T1_SN_.kd
    .uniform_work_group_size: 1
    .uses_dynamic_stack: false
    .vgpr_count:     8
    .vgpr_spill_count: 0
    .wavefront_size: 64
  - .agpr_count:     0
    .args:
      - .offset:         0
        .size:           88
        .value_kind:     by_value
    .group_segment_fixed_size: 0
    .kernarg_segment_align: 8
    .kernarg_segment_size: 88
    .language:       OpenCL C
    .language_version:
      - 2
      - 0
    .max_flat_workgroup_size: 128
    .name:           _ZN7rocprim17ROCPRIM_400000_NS6detail17trampoline_kernelINS0_14default_configENS1_22reduce_config_selectorIN6thrust23THRUST_200600_302600_NS5tupleIblNS6_9null_typeES8_S8_S8_S8_S8_S8_S8_EEEEZNS1_11reduce_implILb1ES3_NS6_12zip_iteratorINS7_INS6_11hip_rocprim26transform_input_iterator_tIbPhNS6_6detail10functional5actorINSH_9compositeIJNSH_27transparent_binary_operatorINS6_8equal_toIvEEEENSI_INSH_8argumentILj0EEEEENSH_5valueIhEEEEEEEEENSD_19counting_iterator_tIlEES8_S8_S8_S8_S8_S8_S8_S8_EEEEPS9_S9_NSD_9__find_if7functorIS9_EEEE10hipError_tPvRmT1_T2_T3_mT4_P12ihipStream_tbEUlT_E0_NS1_11comp_targetILNS1_3genE0ELNS1_11target_archE4294967295ELNS1_3gpuE0ELNS1_3repE0EEENS1_30default_config_static_selectorELNS0_4arch9wavefront6targetE1EEEvS17_
    .private_segment_fixed_size: 0
    .sgpr_count:     4
    .sgpr_spill_count: 0
    .symbol:         _ZN7rocprim17ROCPRIM_400000_NS6detail17trampoline_kernelINS0_14default_configENS1_22reduce_config_selectorIN6thrust23THRUST_200600_302600_NS5tupleIblNS6_9null_typeES8_S8_S8_S8_S8_S8_S8_EEEEZNS1_11reduce_implILb1ES3_NS6_12zip_iteratorINS7_INS6_11hip_rocprim26transform_input_iterator_tIbPhNS6_6detail10functional5actorINSH_9compositeIJNSH_27transparent_binary_operatorINS6_8equal_toIvEEEENSI_INSH_8argumentILj0EEEEENSH_5valueIhEEEEEEEEENSD_19counting_iterator_tIlEES8_S8_S8_S8_S8_S8_S8_S8_EEEEPS9_S9_NSD_9__find_if7functorIS9_EEEE10hipError_tPvRmT1_T2_T3_mT4_P12ihipStream_tbEUlT_E0_NS1_11comp_targetILNS1_3genE0ELNS1_11target_archE4294967295ELNS1_3gpuE0ELNS1_3repE0EEENS1_30default_config_static_selectorELNS0_4arch9wavefront6targetE1EEEvS17_.kd
    .uniform_work_group_size: 1
    .uses_dynamic_stack: false
    .vgpr_count:     0
    .vgpr_spill_count: 0
    .wavefront_size: 64
  - .agpr_count:     0
    .args:
      - .offset:         0
        .size:           88
        .value_kind:     by_value
    .group_segment_fixed_size: 0
    .kernarg_segment_align: 8
    .kernarg_segment_size: 88
    .language:       OpenCL C
    .language_version:
      - 2
      - 0
    .max_flat_workgroup_size: 256
    .name:           _ZN7rocprim17ROCPRIM_400000_NS6detail17trampoline_kernelINS0_14default_configENS1_22reduce_config_selectorIN6thrust23THRUST_200600_302600_NS5tupleIblNS6_9null_typeES8_S8_S8_S8_S8_S8_S8_EEEEZNS1_11reduce_implILb1ES3_NS6_12zip_iteratorINS7_INS6_11hip_rocprim26transform_input_iterator_tIbPhNS6_6detail10functional5actorINSH_9compositeIJNSH_27transparent_binary_operatorINS6_8equal_toIvEEEENSI_INSH_8argumentILj0EEEEENSH_5valueIhEEEEEEEEENSD_19counting_iterator_tIlEES8_S8_S8_S8_S8_S8_S8_S8_EEEEPS9_S9_NSD_9__find_if7functorIS9_EEEE10hipError_tPvRmT1_T2_T3_mT4_P12ihipStream_tbEUlT_E0_NS1_11comp_targetILNS1_3genE5ELNS1_11target_archE942ELNS1_3gpuE9ELNS1_3repE0EEENS1_30default_config_static_selectorELNS0_4arch9wavefront6targetE1EEEvS17_
    .private_segment_fixed_size: 0
    .sgpr_count:     4
    .sgpr_spill_count: 0
    .symbol:         _ZN7rocprim17ROCPRIM_400000_NS6detail17trampoline_kernelINS0_14default_configENS1_22reduce_config_selectorIN6thrust23THRUST_200600_302600_NS5tupleIblNS6_9null_typeES8_S8_S8_S8_S8_S8_S8_EEEEZNS1_11reduce_implILb1ES3_NS6_12zip_iteratorINS7_INS6_11hip_rocprim26transform_input_iterator_tIbPhNS6_6detail10functional5actorINSH_9compositeIJNSH_27transparent_binary_operatorINS6_8equal_toIvEEEENSI_INSH_8argumentILj0EEEEENSH_5valueIhEEEEEEEEENSD_19counting_iterator_tIlEES8_S8_S8_S8_S8_S8_S8_S8_EEEEPS9_S9_NSD_9__find_if7functorIS9_EEEE10hipError_tPvRmT1_T2_T3_mT4_P12ihipStream_tbEUlT_E0_NS1_11comp_targetILNS1_3genE5ELNS1_11target_archE942ELNS1_3gpuE9ELNS1_3repE0EEENS1_30default_config_static_selectorELNS0_4arch9wavefront6targetE1EEEvS17_.kd
    .uniform_work_group_size: 1
    .uses_dynamic_stack: false
    .vgpr_count:     0
    .vgpr_spill_count: 0
    .wavefront_size: 64
  - .agpr_count:     0
    .args:
      - .offset:         0
        .size:           88
        .value_kind:     by_value
    .group_segment_fixed_size: 128
    .kernarg_segment_align: 8
    .kernarg_segment_size: 88
    .language:       OpenCL C
    .language_version:
      - 2
      - 0
    .max_flat_workgroup_size: 256
    .name:           _ZN7rocprim17ROCPRIM_400000_NS6detail17trampoline_kernelINS0_14default_configENS1_22reduce_config_selectorIN6thrust23THRUST_200600_302600_NS5tupleIblNS6_9null_typeES8_S8_S8_S8_S8_S8_S8_EEEEZNS1_11reduce_implILb1ES3_NS6_12zip_iteratorINS7_INS6_11hip_rocprim26transform_input_iterator_tIbPhNS6_6detail10functional5actorINSH_9compositeIJNSH_27transparent_binary_operatorINS6_8equal_toIvEEEENSI_INSH_8argumentILj0EEEEENSH_5valueIhEEEEEEEEENSD_19counting_iterator_tIlEES8_S8_S8_S8_S8_S8_S8_S8_EEEEPS9_S9_NSD_9__find_if7functorIS9_EEEE10hipError_tPvRmT1_T2_T3_mT4_P12ihipStream_tbEUlT_E0_NS1_11comp_targetILNS1_3genE4ELNS1_11target_archE910ELNS1_3gpuE8ELNS1_3repE0EEENS1_30default_config_static_selectorELNS0_4arch9wavefront6targetE1EEEvS17_
    .private_segment_fixed_size: 0
    .sgpr_count:     28
    .sgpr_spill_count: 0
    .symbol:         _ZN7rocprim17ROCPRIM_400000_NS6detail17trampoline_kernelINS0_14default_configENS1_22reduce_config_selectorIN6thrust23THRUST_200600_302600_NS5tupleIblNS6_9null_typeES8_S8_S8_S8_S8_S8_S8_EEEEZNS1_11reduce_implILb1ES3_NS6_12zip_iteratorINS7_INS6_11hip_rocprim26transform_input_iterator_tIbPhNS6_6detail10functional5actorINSH_9compositeIJNSH_27transparent_binary_operatorINS6_8equal_toIvEEEENSI_INSH_8argumentILj0EEEEENSH_5valueIhEEEEEEEEENSD_19counting_iterator_tIlEES8_S8_S8_S8_S8_S8_S8_S8_EEEEPS9_S9_NSD_9__find_if7functorIS9_EEEE10hipError_tPvRmT1_T2_T3_mT4_P12ihipStream_tbEUlT_E0_NS1_11comp_targetILNS1_3genE4ELNS1_11target_archE910ELNS1_3gpuE8ELNS1_3repE0EEENS1_30default_config_static_selectorELNS0_4arch9wavefront6targetE1EEEvS17_.kd
    .uniform_work_group_size: 1
    .uses_dynamic_stack: false
    .vgpr_count:     12
    .vgpr_spill_count: 0
    .wavefront_size: 64
  - .agpr_count:     0
    .args:
      - .offset:         0
        .size:           88
        .value_kind:     by_value
    .group_segment_fixed_size: 0
    .kernarg_segment_align: 8
    .kernarg_segment_size: 88
    .language:       OpenCL C
    .language_version:
      - 2
      - 0
    .max_flat_workgroup_size: 128
    .name:           _ZN7rocprim17ROCPRIM_400000_NS6detail17trampoline_kernelINS0_14default_configENS1_22reduce_config_selectorIN6thrust23THRUST_200600_302600_NS5tupleIblNS6_9null_typeES8_S8_S8_S8_S8_S8_S8_EEEEZNS1_11reduce_implILb1ES3_NS6_12zip_iteratorINS7_INS6_11hip_rocprim26transform_input_iterator_tIbPhNS6_6detail10functional5actorINSH_9compositeIJNSH_27transparent_binary_operatorINS6_8equal_toIvEEEENSI_INSH_8argumentILj0EEEEENSH_5valueIhEEEEEEEEENSD_19counting_iterator_tIlEES8_S8_S8_S8_S8_S8_S8_S8_EEEEPS9_S9_NSD_9__find_if7functorIS9_EEEE10hipError_tPvRmT1_T2_T3_mT4_P12ihipStream_tbEUlT_E0_NS1_11comp_targetILNS1_3genE3ELNS1_11target_archE908ELNS1_3gpuE7ELNS1_3repE0EEENS1_30default_config_static_selectorELNS0_4arch9wavefront6targetE1EEEvS17_
    .private_segment_fixed_size: 0
    .sgpr_count:     4
    .sgpr_spill_count: 0
    .symbol:         _ZN7rocprim17ROCPRIM_400000_NS6detail17trampoline_kernelINS0_14default_configENS1_22reduce_config_selectorIN6thrust23THRUST_200600_302600_NS5tupleIblNS6_9null_typeES8_S8_S8_S8_S8_S8_S8_EEEEZNS1_11reduce_implILb1ES3_NS6_12zip_iteratorINS7_INS6_11hip_rocprim26transform_input_iterator_tIbPhNS6_6detail10functional5actorINSH_9compositeIJNSH_27transparent_binary_operatorINS6_8equal_toIvEEEENSI_INSH_8argumentILj0EEEEENSH_5valueIhEEEEEEEEENSD_19counting_iterator_tIlEES8_S8_S8_S8_S8_S8_S8_S8_EEEEPS9_S9_NSD_9__find_if7functorIS9_EEEE10hipError_tPvRmT1_T2_T3_mT4_P12ihipStream_tbEUlT_E0_NS1_11comp_targetILNS1_3genE3ELNS1_11target_archE908ELNS1_3gpuE7ELNS1_3repE0EEENS1_30default_config_static_selectorELNS0_4arch9wavefront6targetE1EEEvS17_.kd
    .uniform_work_group_size: 1
    .uses_dynamic_stack: false
    .vgpr_count:     0
    .vgpr_spill_count: 0
    .wavefront_size: 64
  - .agpr_count:     0
    .args:
      - .offset:         0
        .size:           88
        .value_kind:     by_value
    .group_segment_fixed_size: 0
    .kernarg_segment_align: 8
    .kernarg_segment_size: 88
    .language:       OpenCL C
    .language_version:
      - 2
      - 0
    .max_flat_workgroup_size: 128
    .name:           _ZN7rocprim17ROCPRIM_400000_NS6detail17trampoline_kernelINS0_14default_configENS1_22reduce_config_selectorIN6thrust23THRUST_200600_302600_NS5tupleIblNS6_9null_typeES8_S8_S8_S8_S8_S8_S8_EEEEZNS1_11reduce_implILb1ES3_NS6_12zip_iteratorINS7_INS6_11hip_rocprim26transform_input_iterator_tIbPhNS6_6detail10functional5actorINSH_9compositeIJNSH_27transparent_binary_operatorINS6_8equal_toIvEEEENSI_INSH_8argumentILj0EEEEENSH_5valueIhEEEEEEEEENSD_19counting_iterator_tIlEES8_S8_S8_S8_S8_S8_S8_S8_EEEEPS9_S9_NSD_9__find_if7functorIS9_EEEE10hipError_tPvRmT1_T2_T3_mT4_P12ihipStream_tbEUlT_E0_NS1_11comp_targetILNS1_3genE2ELNS1_11target_archE906ELNS1_3gpuE6ELNS1_3repE0EEENS1_30default_config_static_selectorELNS0_4arch9wavefront6targetE1EEEvS17_
    .private_segment_fixed_size: 0
    .sgpr_count:     4
    .sgpr_spill_count: 0
    .symbol:         _ZN7rocprim17ROCPRIM_400000_NS6detail17trampoline_kernelINS0_14default_configENS1_22reduce_config_selectorIN6thrust23THRUST_200600_302600_NS5tupleIblNS6_9null_typeES8_S8_S8_S8_S8_S8_S8_EEEEZNS1_11reduce_implILb1ES3_NS6_12zip_iteratorINS7_INS6_11hip_rocprim26transform_input_iterator_tIbPhNS6_6detail10functional5actorINSH_9compositeIJNSH_27transparent_binary_operatorINS6_8equal_toIvEEEENSI_INSH_8argumentILj0EEEEENSH_5valueIhEEEEEEEEENSD_19counting_iterator_tIlEES8_S8_S8_S8_S8_S8_S8_S8_EEEEPS9_S9_NSD_9__find_if7functorIS9_EEEE10hipError_tPvRmT1_T2_T3_mT4_P12ihipStream_tbEUlT_E0_NS1_11comp_targetILNS1_3genE2ELNS1_11target_archE906ELNS1_3gpuE6ELNS1_3repE0EEENS1_30default_config_static_selectorELNS0_4arch9wavefront6targetE1EEEvS17_.kd
    .uniform_work_group_size: 1
    .uses_dynamic_stack: false
    .vgpr_count:     0
    .vgpr_spill_count: 0
    .wavefront_size: 64
  - .agpr_count:     0
    .args:
      - .offset:         0
        .size:           88
        .value_kind:     by_value
    .group_segment_fixed_size: 0
    .kernarg_segment_align: 8
    .kernarg_segment_size: 88
    .language:       OpenCL C
    .language_version:
      - 2
      - 0
    .max_flat_workgroup_size: 256
    .name:           _ZN7rocprim17ROCPRIM_400000_NS6detail17trampoline_kernelINS0_14default_configENS1_22reduce_config_selectorIN6thrust23THRUST_200600_302600_NS5tupleIblNS6_9null_typeES8_S8_S8_S8_S8_S8_S8_EEEEZNS1_11reduce_implILb1ES3_NS6_12zip_iteratorINS7_INS6_11hip_rocprim26transform_input_iterator_tIbPhNS6_6detail10functional5actorINSH_9compositeIJNSH_27transparent_binary_operatorINS6_8equal_toIvEEEENSI_INSH_8argumentILj0EEEEENSH_5valueIhEEEEEEEEENSD_19counting_iterator_tIlEES8_S8_S8_S8_S8_S8_S8_S8_EEEEPS9_S9_NSD_9__find_if7functorIS9_EEEE10hipError_tPvRmT1_T2_T3_mT4_P12ihipStream_tbEUlT_E0_NS1_11comp_targetILNS1_3genE10ELNS1_11target_archE1201ELNS1_3gpuE5ELNS1_3repE0EEENS1_30default_config_static_selectorELNS0_4arch9wavefront6targetE1EEEvS17_
    .private_segment_fixed_size: 0
    .sgpr_count:     4
    .sgpr_spill_count: 0
    .symbol:         _ZN7rocprim17ROCPRIM_400000_NS6detail17trampoline_kernelINS0_14default_configENS1_22reduce_config_selectorIN6thrust23THRUST_200600_302600_NS5tupleIblNS6_9null_typeES8_S8_S8_S8_S8_S8_S8_EEEEZNS1_11reduce_implILb1ES3_NS6_12zip_iteratorINS7_INS6_11hip_rocprim26transform_input_iterator_tIbPhNS6_6detail10functional5actorINSH_9compositeIJNSH_27transparent_binary_operatorINS6_8equal_toIvEEEENSI_INSH_8argumentILj0EEEEENSH_5valueIhEEEEEEEEENSD_19counting_iterator_tIlEES8_S8_S8_S8_S8_S8_S8_S8_EEEEPS9_S9_NSD_9__find_if7functorIS9_EEEE10hipError_tPvRmT1_T2_T3_mT4_P12ihipStream_tbEUlT_E0_NS1_11comp_targetILNS1_3genE10ELNS1_11target_archE1201ELNS1_3gpuE5ELNS1_3repE0EEENS1_30default_config_static_selectorELNS0_4arch9wavefront6targetE1EEEvS17_.kd
    .uniform_work_group_size: 1
    .uses_dynamic_stack: false
    .vgpr_count:     0
    .vgpr_spill_count: 0
    .wavefront_size: 64
  - .agpr_count:     0
    .args:
      - .offset:         0
        .size:           88
        .value_kind:     by_value
    .group_segment_fixed_size: 0
    .kernarg_segment_align: 8
    .kernarg_segment_size: 88
    .language:       OpenCL C
    .language_version:
      - 2
      - 0
    .max_flat_workgroup_size: 256
    .name:           _ZN7rocprim17ROCPRIM_400000_NS6detail17trampoline_kernelINS0_14default_configENS1_22reduce_config_selectorIN6thrust23THRUST_200600_302600_NS5tupleIblNS6_9null_typeES8_S8_S8_S8_S8_S8_S8_EEEEZNS1_11reduce_implILb1ES3_NS6_12zip_iteratorINS7_INS6_11hip_rocprim26transform_input_iterator_tIbPhNS6_6detail10functional5actorINSH_9compositeIJNSH_27transparent_binary_operatorINS6_8equal_toIvEEEENSI_INSH_8argumentILj0EEEEENSH_5valueIhEEEEEEEEENSD_19counting_iterator_tIlEES8_S8_S8_S8_S8_S8_S8_S8_EEEEPS9_S9_NSD_9__find_if7functorIS9_EEEE10hipError_tPvRmT1_T2_T3_mT4_P12ihipStream_tbEUlT_E0_NS1_11comp_targetILNS1_3genE10ELNS1_11target_archE1200ELNS1_3gpuE4ELNS1_3repE0EEENS1_30default_config_static_selectorELNS0_4arch9wavefront6targetE1EEEvS17_
    .private_segment_fixed_size: 0
    .sgpr_count:     4
    .sgpr_spill_count: 0
    .symbol:         _ZN7rocprim17ROCPRIM_400000_NS6detail17trampoline_kernelINS0_14default_configENS1_22reduce_config_selectorIN6thrust23THRUST_200600_302600_NS5tupleIblNS6_9null_typeES8_S8_S8_S8_S8_S8_S8_EEEEZNS1_11reduce_implILb1ES3_NS6_12zip_iteratorINS7_INS6_11hip_rocprim26transform_input_iterator_tIbPhNS6_6detail10functional5actorINSH_9compositeIJNSH_27transparent_binary_operatorINS6_8equal_toIvEEEENSI_INSH_8argumentILj0EEEEENSH_5valueIhEEEEEEEEENSD_19counting_iterator_tIlEES8_S8_S8_S8_S8_S8_S8_S8_EEEEPS9_S9_NSD_9__find_if7functorIS9_EEEE10hipError_tPvRmT1_T2_T3_mT4_P12ihipStream_tbEUlT_E0_NS1_11comp_targetILNS1_3genE10ELNS1_11target_archE1200ELNS1_3gpuE4ELNS1_3repE0EEENS1_30default_config_static_selectorELNS0_4arch9wavefront6targetE1EEEvS17_.kd
    .uniform_work_group_size: 1
    .uses_dynamic_stack: false
    .vgpr_count:     0
    .vgpr_spill_count: 0
    .wavefront_size: 64
  - .agpr_count:     0
    .args:
      - .offset:         0
        .size:           88
        .value_kind:     by_value
    .group_segment_fixed_size: 0
    .kernarg_segment_align: 8
    .kernarg_segment_size: 88
    .language:       OpenCL C
    .language_version:
      - 2
      - 0
    .max_flat_workgroup_size: 256
    .name:           _ZN7rocprim17ROCPRIM_400000_NS6detail17trampoline_kernelINS0_14default_configENS1_22reduce_config_selectorIN6thrust23THRUST_200600_302600_NS5tupleIblNS6_9null_typeES8_S8_S8_S8_S8_S8_S8_EEEEZNS1_11reduce_implILb1ES3_NS6_12zip_iteratorINS7_INS6_11hip_rocprim26transform_input_iterator_tIbPhNS6_6detail10functional5actorINSH_9compositeIJNSH_27transparent_binary_operatorINS6_8equal_toIvEEEENSI_INSH_8argumentILj0EEEEENSH_5valueIhEEEEEEEEENSD_19counting_iterator_tIlEES8_S8_S8_S8_S8_S8_S8_S8_EEEEPS9_S9_NSD_9__find_if7functorIS9_EEEE10hipError_tPvRmT1_T2_T3_mT4_P12ihipStream_tbEUlT_E0_NS1_11comp_targetILNS1_3genE9ELNS1_11target_archE1100ELNS1_3gpuE3ELNS1_3repE0EEENS1_30default_config_static_selectorELNS0_4arch9wavefront6targetE1EEEvS17_
    .private_segment_fixed_size: 0
    .sgpr_count:     4
    .sgpr_spill_count: 0
    .symbol:         _ZN7rocprim17ROCPRIM_400000_NS6detail17trampoline_kernelINS0_14default_configENS1_22reduce_config_selectorIN6thrust23THRUST_200600_302600_NS5tupleIblNS6_9null_typeES8_S8_S8_S8_S8_S8_S8_EEEEZNS1_11reduce_implILb1ES3_NS6_12zip_iteratorINS7_INS6_11hip_rocprim26transform_input_iterator_tIbPhNS6_6detail10functional5actorINSH_9compositeIJNSH_27transparent_binary_operatorINS6_8equal_toIvEEEENSI_INSH_8argumentILj0EEEEENSH_5valueIhEEEEEEEEENSD_19counting_iterator_tIlEES8_S8_S8_S8_S8_S8_S8_S8_EEEEPS9_S9_NSD_9__find_if7functorIS9_EEEE10hipError_tPvRmT1_T2_T3_mT4_P12ihipStream_tbEUlT_E0_NS1_11comp_targetILNS1_3genE9ELNS1_11target_archE1100ELNS1_3gpuE3ELNS1_3repE0EEENS1_30default_config_static_selectorELNS0_4arch9wavefront6targetE1EEEvS17_.kd
    .uniform_work_group_size: 1
    .uses_dynamic_stack: false
    .vgpr_count:     0
    .vgpr_spill_count: 0
    .wavefront_size: 64
  - .agpr_count:     0
    .args:
      - .offset:         0
        .size:           88
        .value_kind:     by_value
    .group_segment_fixed_size: 0
    .kernarg_segment_align: 8
    .kernarg_segment_size: 88
    .language:       OpenCL C
    .language_version:
      - 2
      - 0
    .max_flat_workgroup_size: 256
    .name:           _ZN7rocprim17ROCPRIM_400000_NS6detail17trampoline_kernelINS0_14default_configENS1_22reduce_config_selectorIN6thrust23THRUST_200600_302600_NS5tupleIblNS6_9null_typeES8_S8_S8_S8_S8_S8_S8_EEEEZNS1_11reduce_implILb1ES3_NS6_12zip_iteratorINS7_INS6_11hip_rocprim26transform_input_iterator_tIbPhNS6_6detail10functional5actorINSH_9compositeIJNSH_27transparent_binary_operatorINS6_8equal_toIvEEEENSI_INSH_8argumentILj0EEEEENSH_5valueIhEEEEEEEEENSD_19counting_iterator_tIlEES8_S8_S8_S8_S8_S8_S8_S8_EEEEPS9_S9_NSD_9__find_if7functorIS9_EEEE10hipError_tPvRmT1_T2_T3_mT4_P12ihipStream_tbEUlT_E0_NS1_11comp_targetILNS1_3genE8ELNS1_11target_archE1030ELNS1_3gpuE2ELNS1_3repE0EEENS1_30default_config_static_selectorELNS0_4arch9wavefront6targetE1EEEvS17_
    .private_segment_fixed_size: 0
    .sgpr_count:     4
    .sgpr_spill_count: 0
    .symbol:         _ZN7rocprim17ROCPRIM_400000_NS6detail17trampoline_kernelINS0_14default_configENS1_22reduce_config_selectorIN6thrust23THRUST_200600_302600_NS5tupleIblNS6_9null_typeES8_S8_S8_S8_S8_S8_S8_EEEEZNS1_11reduce_implILb1ES3_NS6_12zip_iteratorINS7_INS6_11hip_rocprim26transform_input_iterator_tIbPhNS6_6detail10functional5actorINSH_9compositeIJNSH_27transparent_binary_operatorINS6_8equal_toIvEEEENSI_INSH_8argumentILj0EEEEENSH_5valueIhEEEEEEEEENSD_19counting_iterator_tIlEES8_S8_S8_S8_S8_S8_S8_S8_EEEEPS9_S9_NSD_9__find_if7functorIS9_EEEE10hipError_tPvRmT1_T2_T3_mT4_P12ihipStream_tbEUlT_E0_NS1_11comp_targetILNS1_3genE8ELNS1_11target_archE1030ELNS1_3gpuE2ELNS1_3repE0EEENS1_30default_config_static_selectorELNS0_4arch9wavefront6targetE1EEEvS17_.kd
    .uniform_work_group_size: 1
    .uses_dynamic_stack: false
    .vgpr_count:     0
    .vgpr_spill_count: 0
    .wavefront_size: 64
  - .agpr_count:     0
    .args:
      - .offset:         0
        .size:           72
        .value_kind:     by_value
    .group_segment_fixed_size: 0
    .kernarg_segment_align: 8
    .kernarg_segment_size: 72
    .language:       OpenCL C
    .language_version:
      - 2
      - 0
    .max_flat_workgroup_size: 128
    .name:           _ZN7rocprim17ROCPRIM_400000_NS6detail17trampoline_kernelINS0_14default_configENS1_22reduce_config_selectorIN6thrust23THRUST_200600_302600_NS5tupleIblNS6_9null_typeES8_S8_S8_S8_S8_S8_S8_EEEEZNS1_11reduce_implILb1ES3_NS6_12zip_iteratorINS7_INS6_11hip_rocprim26transform_input_iterator_tIbPhNS6_6detail10functional5actorINSH_9compositeIJNSH_27transparent_binary_operatorINS6_8equal_toIvEEEENSI_INSH_8argumentILj0EEEEENSH_5valueIhEEEEEEEEENSD_19counting_iterator_tIlEES8_S8_S8_S8_S8_S8_S8_S8_EEEEPS9_S9_NSD_9__find_if7functorIS9_EEEE10hipError_tPvRmT1_T2_T3_mT4_P12ihipStream_tbEUlT_E1_NS1_11comp_targetILNS1_3genE0ELNS1_11target_archE4294967295ELNS1_3gpuE0ELNS1_3repE0EEENS1_30default_config_static_selectorELNS0_4arch9wavefront6targetE1EEEvS17_
    .private_segment_fixed_size: 0
    .sgpr_count:     4
    .sgpr_spill_count: 0
    .symbol:         _ZN7rocprim17ROCPRIM_400000_NS6detail17trampoline_kernelINS0_14default_configENS1_22reduce_config_selectorIN6thrust23THRUST_200600_302600_NS5tupleIblNS6_9null_typeES8_S8_S8_S8_S8_S8_S8_EEEEZNS1_11reduce_implILb1ES3_NS6_12zip_iteratorINS7_INS6_11hip_rocprim26transform_input_iterator_tIbPhNS6_6detail10functional5actorINSH_9compositeIJNSH_27transparent_binary_operatorINS6_8equal_toIvEEEENSI_INSH_8argumentILj0EEEEENSH_5valueIhEEEEEEEEENSD_19counting_iterator_tIlEES8_S8_S8_S8_S8_S8_S8_S8_EEEEPS9_S9_NSD_9__find_if7functorIS9_EEEE10hipError_tPvRmT1_T2_T3_mT4_P12ihipStream_tbEUlT_E1_NS1_11comp_targetILNS1_3genE0ELNS1_11target_archE4294967295ELNS1_3gpuE0ELNS1_3repE0EEENS1_30default_config_static_selectorELNS0_4arch9wavefront6targetE1EEEvS17_.kd
    .uniform_work_group_size: 1
    .uses_dynamic_stack: false
    .vgpr_count:     0
    .vgpr_spill_count: 0
    .wavefront_size: 64
  - .agpr_count:     0
    .args:
      - .offset:         0
        .size:           72
        .value_kind:     by_value
    .group_segment_fixed_size: 0
    .kernarg_segment_align: 8
    .kernarg_segment_size: 72
    .language:       OpenCL C
    .language_version:
      - 2
      - 0
    .max_flat_workgroup_size: 256
    .name:           _ZN7rocprim17ROCPRIM_400000_NS6detail17trampoline_kernelINS0_14default_configENS1_22reduce_config_selectorIN6thrust23THRUST_200600_302600_NS5tupleIblNS6_9null_typeES8_S8_S8_S8_S8_S8_S8_EEEEZNS1_11reduce_implILb1ES3_NS6_12zip_iteratorINS7_INS6_11hip_rocprim26transform_input_iterator_tIbPhNS6_6detail10functional5actorINSH_9compositeIJNSH_27transparent_binary_operatorINS6_8equal_toIvEEEENSI_INSH_8argumentILj0EEEEENSH_5valueIhEEEEEEEEENSD_19counting_iterator_tIlEES8_S8_S8_S8_S8_S8_S8_S8_EEEEPS9_S9_NSD_9__find_if7functorIS9_EEEE10hipError_tPvRmT1_T2_T3_mT4_P12ihipStream_tbEUlT_E1_NS1_11comp_targetILNS1_3genE5ELNS1_11target_archE942ELNS1_3gpuE9ELNS1_3repE0EEENS1_30default_config_static_selectorELNS0_4arch9wavefront6targetE1EEEvS17_
    .private_segment_fixed_size: 0
    .sgpr_count:     4
    .sgpr_spill_count: 0
    .symbol:         _ZN7rocprim17ROCPRIM_400000_NS6detail17trampoline_kernelINS0_14default_configENS1_22reduce_config_selectorIN6thrust23THRUST_200600_302600_NS5tupleIblNS6_9null_typeES8_S8_S8_S8_S8_S8_S8_EEEEZNS1_11reduce_implILb1ES3_NS6_12zip_iteratorINS7_INS6_11hip_rocprim26transform_input_iterator_tIbPhNS6_6detail10functional5actorINSH_9compositeIJNSH_27transparent_binary_operatorINS6_8equal_toIvEEEENSI_INSH_8argumentILj0EEEEENSH_5valueIhEEEEEEEEENSD_19counting_iterator_tIlEES8_S8_S8_S8_S8_S8_S8_S8_EEEEPS9_S9_NSD_9__find_if7functorIS9_EEEE10hipError_tPvRmT1_T2_T3_mT4_P12ihipStream_tbEUlT_E1_NS1_11comp_targetILNS1_3genE5ELNS1_11target_archE942ELNS1_3gpuE9ELNS1_3repE0EEENS1_30default_config_static_selectorELNS0_4arch9wavefront6targetE1EEEvS17_.kd
    .uniform_work_group_size: 1
    .uses_dynamic_stack: false
    .vgpr_count:     0
    .vgpr_spill_count: 0
    .wavefront_size: 64
  - .agpr_count:     0
    .args:
      - .offset:         0
        .size:           72
        .value_kind:     by_value
    .group_segment_fixed_size: 320
    .kernarg_segment_align: 8
    .kernarg_segment_size: 72
    .language:       OpenCL C
    .language_version:
      - 2
      - 0
    .max_flat_workgroup_size: 256
    .name:           _ZN7rocprim17ROCPRIM_400000_NS6detail17trampoline_kernelINS0_14default_configENS1_22reduce_config_selectorIN6thrust23THRUST_200600_302600_NS5tupleIblNS6_9null_typeES8_S8_S8_S8_S8_S8_S8_EEEEZNS1_11reduce_implILb1ES3_NS6_12zip_iteratorINS7_INS6_11hip_rocprim26transform_input_iterator_tIbPhNS6_6detail10functional5actorINSH_9compositeIJNSH_27transparent_binary_operatorINS6_8equal_toIvEEEENSI_INSH_8argumentILj0EEEEENSH_5valueIhEEEEEEEEENSD_19counting_iterator_tIlEES8_S8_S8_S8_S8_S8_S8_S8_EEEEPS9_S9_NSD_9__find_if7functorIS9_EEEE10hipError_tPvRmT1_T2_T3_mT4_P12ihipStream_tbEUlT_E1_NS1_11comp_targetILNS1_3genE4ELNS1_11target_archE910ELNS1_3gpuE8ELNS1_3repE0EEENS1_30default_config_static_selectorELNS0_4arch9wavefront6targetE1EEEvS17_
    .private_segment_fixed_size: 0
    .sgpr_count:     44
    .sgpr_spill_count: 0
    .symbol:         _ZN7rocprim17ROCPRIM_400000_NS6detail17trampoline_kernelINS0_14default_configENS1_22reduce_config_selectorIN6thrust23THRUST_200600_302600_NS5tupleIblNS6_9null_typeES8_S8_S8_S8_S8_S8_S8_EEEEZNS1_11reduce_implILb1ES3_NS6_12zip_iteratorINS7_INS6_11hip_rocprim26transform_input_iterator_tIbPhNS6_6detail10functional5actorINSH_9compositeIJNSH_27transparent_binary_operatorINS6_8equal_toIvEEEENSI_INSH_8argumentILj0EEEEENSH_5valueIhEEEEEEEEENSD_19counting_iterator_tIlEES8_S8_S8_S8_S8_S8_S8_S8_EEEEPS9_S9_NSD_9__find_if7functorIS9_EEEE10hipError_tPvRmT1_T2_T3_mT4_P12ihipStream_tbEUlT_E1_NS1_11comp_targetILNS1_3genE4ELNS1_11target_archE910ELNS1_3gpuE8ELNS1_3repE0EEENS1_30default_config_static_selectorELNS0_4arch9wavefront6targetE1EEEvS17_.kd
    .uniform_work_group_size: 1
    .uses_dynamic_stack: false
    .vgpr_count:     27
    .vgpr_spill_count: 0
    .wavefront_size: 64
  - .agpr_count:     0
    .args:
      - .offset:         0
        .size:           72
        .value_kind:     by_value
    .group_segment_fixed_size: 0
    .kernarg_segment_align: 8
    .kernarg_segment_size: 72
    .language:       OpenCL C
    .language_version:
      - 2
      - 0
    .max_flat_workgroup_size: 128
    .name:           _ZN7rocprim17ROCPRIM_400000_NS6detail17trampoline_kernelINS0_14default_configENS1_22reduce_config_selectorIN6thrust23THRUST_200600_302600_NS5tupleIblNS6_9null_typeES8_S8_S8_S8_S8_S8_S8_EEEEZNS1_11reduce_implILb1ES3_NS6_12zip_iteratorINS7_INS6_11hip_rocprim26transform_input_iterator_tIbPhNS6_6detail10functional5actorINSH_9compositeIJNSH_27transparent_binary_operatorINS6_8equal_toIvEEEENSI_INSH_8argumentILj0EEEEENSH_5valueIhEEEEEEEEENSD_19counting_iterator_tIlEES8_S8_S8_S8_S8_S8_S8_S8_EEEEPS9_S9_NSD_9__find_if7functorIS9_EEEE10hipError_tPvRmT1_T2_T3_mT4_P12ihipStream_tbEUlT_E1_NS1_11comp_targetILNS1_3genE3ELNS1_11target_archE908ELNS1_3gpuE7ELNS1_3repE0EEENS1_30default_config_static_selectorELNS0_4arch9wavefront6targetE1EEEvS17_
    .private_segment_fixed_size: 0
    .sgpr_count:     4
    .sgpr_spill_count: 0
    .symbol:         _ZN7rocprim17ROCPRIM_400000_NS6detail17trampoline_kernelINS0_14default_configENS1_22reduce_config_selectorIN6thrust23THRUST_200600_302600_NS5tupleIblNS6_9null_typeES8_S8_S8_S8_S8_S8_S8_EEEEZNS1_11reduce_implILb1ES3_NS6_12zip_iteratorINS7_INS6_11hip_rocprim26transform_input_iterator_tIbPhNS6_6detail10functional5actorINSH_9compositeIJNSH_27transparent_binary_operatorINS6_8equal_toIvEEEENSI_INSH_8argumentILj0EEEEENSH_5valueIhEEEEEEEEENSD_19counting_iterator_tIlEES8_S8_S8_S8_S8_S8_S8_S8_EEEEPS9_S9_NSD_9__find_if7functorIS9_EEEE10hipError_tPvRmT1_T2_T3_mT4_P12ihipStream_tbEUlT_E1_NS1_11comp_targetILNS1_3genE3ELNS1_11target_archE908ELNS1_3gpuE7ELNS1_3repE0EEENS1_30default_config_static_selectorELNS0_4arch9wavefront6targetE1EEEvS17_.kd
    .uniform_work_group_size: 1
    .uses_dynamic_stack: false
    .vgpr_count:     0
    .vgpr_spill_count: 0
    .wavefront_size: 64
  - .agpr_count:     0
    .args:
      - .offset:         0
        .size:           72
        .value_kind:     by_value
    .group_segment_fixed_size: 0
    .kernarg_segment_align: 8
    .kernarg_segment_size: 72
    .language:       OpenCL C
    .language_version:
      - 2
      - 0
    .max_flat_workgroup_size: 128
    .name:           _ZN7rocprim17ROCPRIM_400000_NS6detail17trampoline_kernelINS0_14default_configENS1_22reduce_config_selectorIN6thrust23THRUST_200600_302600_NS5tupleIblNS6_9null_typeES8_S8_S8_S8_S8_S8_S8_EEEEZNS1_11reduce_implILb1ES3_NS6_12zip_iteratorINS7_INS6_11hip_rocprim26transform_input_iterator_tIbPhNS6_6detail10functional5actorINSH_9compositeIJNSH_27transparent_binary_operatorINS6_8equal_toIvEEEENSI_INSH_8argumentILj0EEEEENSH_5valueIhEEEEEEEEENSD_19counting_iterator_tIlEES8_S8_S8_S8_S8_S8_S8_S8_EEEEPS9_S9_NSD_9__find_if7functorIS9_EEEE10hipError_tPvRmT1_T2_T3_mT4_P12ihipStream_tbEUlT_E1_NS1_11comp_targetILNS1_3genE2ELNS1_11target_archE906ELNS1_3gpuE6ELNS1_3repE0EEENS1_30default_config_static_selectorELNS0_4arch9wavefront6targetE1EEEvS17_
    .private_segment_fixed_size: 0
    .sgpr_count:     4
    .sgpr_spill_count: 0
    .symbol:         _ZN7rocprim17ROCPRIM_400000_NS6detail17trampoline_kernelINS0_14default_configENS1_22reduce_config_selectorIN6thrust23THRUST_200600_302600_NS5tupleIblNS6_9null_typeES8_S8_S8_S8_S8_S8_S8_EEEEZNS1_11reduce_implILb1ES3_NS6_12zip_iteratorINS7_INS6_11hip_rocprim26transform_input_iterator_tIbPhNS6_6detail10functional5actorINSH_9compositeIJNSH_27transparent_binary_operatorINS6_8equal_toIvEEEENSI_INSH_8argumentILj0EEEEENSH_5valueIhEEEEEEEEENSD_19counting_iterator_tIlEES8_S8_S8_S8_S8_S8_S8_S8_EEEEPS9_S9_NSD_9__find_if7functorIS9_EEEE10hipError_tPvRmT1_T2_T3_mT4_P12ihipStream_tbEUlT_E1_NS1_11comp_targetILNS1_3genE2ELNS1_11target_archE906ELNS1_3gpuE6ELNS1_3repE0EEENS1_30default_config_static_selectorELNS0_4arch9wavefront6targetE1EEEvS17_.kd
    .uniform_work_group_size: 1
    .uses_dynamic_stack: false
    .vgpr_count:     0
    .vgpr_spill_count: 0
    .wavefront_size: 64
  - .agpr_count:     0
    .args:
      - .offset:         0
        .size:           72
        .value_kind:     by_value
    .group_segment_fixed_size: 0
    .kernarg_segment_align: 8
    .kernarg_segment_size: 72
    .language:       OpenCL C
    .language_version:
      - 2
      - 0
    .max_flat_workgroup_size: 256
    .name:           _ZN7rocprim17ROCPRIM_400000_NS6detail17trampoline_kernelINS0_14default_configENS1_22reduce_config_selectorIN6thrust23THRUST_200600_302600_NS5tupleIblNS6_9null_typeES8_S8_S8_S8_S8_S8_S8_EEEEZNS1_11reduce_implILb1ES3_NS6_12zip_iteratorINS7_INS6_11hip_rocprim26transform_input_iterator_tIbPhNS6_6detail10functional5actorINSH_9compositeIJNSH_27transparent_binary_operatorINS6_8equal_toIvEEEENSI_INSH_8argumentILj0EEEEENSH_5valueIhEEEEEEEEENSD_19counting_iterator_tIlEES8_S8_S8_S8_S8_S8_S8_S8_EEEEPS9_S9_NSD_9__find_if7functorIS9_EEEE10hipError_tPvRmT1_T2_T3_mT4_P12ihipStream_tbEUlT_E1_NS1_11comp_targetILNS1_3genE10ELNS1_11target_archE1201ELNS1_3gpuE5ELNS1_3repE0EEENS1_30default_config_static_selectorELNS0_4arch9wavefront6targetE1EEEvS17_
    .private_segment_fixed_size: 0
    .sgpr_count:     4
    .sgpr_spill_count: 0
    .symbol:         _ZN7rocprim17ROCPRIM_400000_NS6detail17trampoline_kernelINS0_14default_configENS1_22reduce_config_selectorIN6thrust23THRUST_200600_302600_NS5tupleIblNS6_9null_typeES8_S8_S8_S8_S8_S8_S8_EEEEZNS1_11reduce_implILb1ES3_NS6_12zip_iteratorINS7_INS6_11hip_rocprim26transform_input_iterator_tIbPhNS6_6detail10functional5actorINSH_9compositeIJNSH_27transparent_binary_operatorINS6_8equal_toIvEEEENSI_INSH_8argumentILj0EEEEENSH_5valueIhEEEEEEEEENSD_19counting_iterator_tIlEES8_S8_S8_S8_S8_S8_S8_S8_EEEEPS9_S9_NSD_9__find_if7functorIS9_EEEE10hipError_tPvRmT1_T2_T3_mT4_P12ihipStream_tbEUlT_E1_NS1_11comp_targetILNS1_3genE10ELNS1_11target_archE1201ELNS1_3gpuE5ELNS1_3repE0EEENS1_30default_config_static_selectorELNS0_4arch9wavefront6targetE1EEEvS17_.kd
    .uniform_work_group_size: 1
    .uses_dynamic_stack: false
    .vgpr_count:     0
    .vgpr_spill_count: 0
    .wavefront_size: 64
  - .agpr_count:     0
    .args:
      - .offset:         0
        .size:           72
        .value_kind:     by_value
    .group_segment_fixed_size: 0
    .kernarg_segment_align: 8
    .kernarg_segment_size: 72
    .language:       OpenCL C
    .language_version:
      - 2
      - 0
    .max_flat_workgroup_size: 256
    .name:           _ZN7rocprim17ROCPRIM_400000_NS6detail17trampoline_kernelINS0_14default_configENS1_22reduce_config_selectorIN6thrust23THRUST_200600_302600_NS5tupleIblNS6_9null_typeES8_S8_S8_S8_S8_S8_S8_EEEEZNS1_11reduce_implILb1ES3_NS6_12zip_iteratorINS7_INS6_11hip_rocprim26transform_input_iterator_tIbPhNS6_6detail10functional5actorINSH_9compositeIJNSH_27transparent_binary_operatorINS6_8equal_toIvEEEENSI_INSH_8argumentILj0EEEEENSH_5valueIhEEEEEEEEENSD_19counting_iterator_tIlEES8_S8_S8_S8_S8_S8_S8_S8_EEEEPS9_S9_NSD_9__find_if7functorIS9_EEEE10hipError_tPvRmT1_T2_T3_mT4_P12ihipStream_tbEUlT_E1_NS1_11comp_targetILNS1_3genE10ELNS1_11target_archE1200ELNS1_3gpuE4ELNS1_3repE0EEENS1_30default_config_static_selectorELNS0_4arch9wavefront6targetE1EEEvS17_
    .private_segment_fixed_size: 0
    .sgpr_count:     4
    .sgpr_spill_count: 0
    .symbol:         _ZN7rocprim17ROCPRIM_400000_NS6detail17trampoline_kernelINS0_14default_configENS1_22reduce_config_selectorIN6thrust23THRUST_200600_302600_NS5tupleIblNS6_9null_typeES8_S8_S8_S8_S8_S8_S8_EEEEZNS1_11reduce_implILb1ES3_NS6_12zip_iteratorINS7_INS6_11hip_rocprim26transform_input_iterator_tIbPhNS6_6detail10functional5actorINSH_9compositeIJNSH_27transparent_binary_operatorINS6_8equal_toIvEEEENSI_INSH_8argumentILj0EEEEENSH_5valueIhEEEEEEEEENSD_19counting_iterator_tIlEES8_S8_S8_S8_S8_S8_S8_S8_EEEEPS9_S9_NSD_9__find_if7functorIS9_EEEE10hipError_tPvRmT1_T2_T3_mT4_P12ihipStream_tbEUlT_E1_NS1_11comp_targetILNS1_3genE10ELNS1_11target_archE1200ELNS1_3gpuE4ELNS1_3repE0EEENS1_30default_config_static_selectorELNS0_4arch9wavefront6targetE1EEEvS17_.kd
    .uniform_work_group_size: 1
    .uses_dynamic_stack: false
    .vgpr_count:     0
    .vgpr_spill_count: 0
    .wavefront_size: 64
  - .agpr_count:     0
    .args:
      - .offset:         0
        .size:           72
        .value_kind:     by_value
    .group_segment_fixed_size: 0
    .kernarg_segment_align: 8
    .kernarg_segment_size: 72
    .language:       OpenCL C
    .language_version:
      - 2
      - 0
    .max_flat_workgroup_size: 256
    .name:           _ZN7rocprim17ROCPRIM_400000_NS6detail17trampoline_kernelINS0_14default_configENS1_22reduce_config_selectorIN6thrust23THRUST_200600_302600_NS5tupleIblNS6_9null_typeES8_S8_S8_S8_S8_S8_S8_EEEEZNS1_11reduce_implILb1ES3_NS6_12zip_iteratorINS7_INS6_11hip_rocprim26transform_input_iterator_tIbPhNS6_6detail10functional5actorINSH_9compositeIJNSH_27transparent_binary_operatorINS6_8equal_toIvEEEENSI_INSH_8argumentILj0EEEEENSH_5valueIhEEEEEEEEENSD_19counting_iterator_tIlEES8_S8_S8_S8_S8_S8_S8_S8_EEEEPS9_S9_NSD_9__find_if7functorIS9_EEEE10hipError_tPvRmT1_T2_T3_mT4_P12ihipStream_tbEUlT_E1_NS1_11comp_targetILNS1_3genE9ELNS1_11target_archE1100ELNS1_3gpuE3ELNS1_3repE0EEENS1_30default_config_static_selectorELNS0_4arch9wavefront6targetE1EEEvS17_
    .private_segment_fixed_size: 0
    .sgpr_count:     4
    .sgpr_spill_count: 0
    .symbol:         _ZN7rocprim17ROCPRIM_400000_NS6detail17trampoline_kernelINS0_14default_configENS1_22reduce_config_selectorIN6thrust23THRUST_200600_302600_NS5tupleIblNS6_9null_typeES8_S8_S8_S8_S8_S8_S8_EEEEZNS1_11reduce_implILb1ES3_NS6_12zip_iteratorINS7_INS6_11hip_rocprim26transform_input_iterator_tIbPhNS6_6detail10functional5actorINSH_9compositeIJNSH_27transparent_binary_operatorINS6_8equal_toIvEEEENSI_INSH_8argumentILj0EEEEENSH_5valueIhEEEEEEEEENSD_19counting_iterator_tIlEES8_S8_S8_S8_S8_S8_S8_S8_EEEEPS9_S9_NSD_9__find_if7functorIS9_EEEE10hipError_tPvRmT1_T2_T3_mT4_P12ihipStream_tbEUlT_E1_NS1_11comp_targetILNS1_3genE9ELNS1_11target_archE1100ELNS1_3gpuE3ELNS1_3repE0EEENS1_30default_config_static_selectorELNS0_4arch9wavefront6targetE1EEEvS17_.kd
    .uniform_work_group_size: 1
    .uses_dynamic_stack: false
    .vgpr_count:     0
    .vgpr_spill_count: 0
    .wavefront_size: 64
  - .agpr_count:     0
    .args:
      - .offset:         0
        .size:           72
        .value_kind:     by_value
    .group_segment_fixed_size: 0
    .kernarg_segment_align: 8
    .kernarg_segment_size: 72
    .language:       OpenCL C
    .language_version:
      - 2
      - 0
    .max_flat_workgroup_size: 256
    .name:           _ZN7rocprim17ROCPRIM_400000_NS6detail17trampoline_kernelINS0_14default_configENS1_22reduce_config_selectorIN6thrust23THRUST_200600_302600_NS5tupleIblNS6_9null_typeES8_S8_S8_S8_S8_S8_S8_EEEEZNS1_11reduce_implILb1ES3_NS6_12zip_iteratorINS7_INS6_11hip_rocprim26transform_input_iterator_tIbPhNS6_6detail10functional5actorINSH_9compositeIJNSH_27transparent_binary_operatorINS6_8equal_toIvEEEENSI_INSH_8argumentILj0EEEEENSH_5valueIhEEEEEEEEENSD_19counting_iterator_tIlEES8_S8_S8_S8_S8_S8_S8_S8_EEEEPS9_S9_NSD_9__find_if7functorIS9_EEEE10hipError_tPvRmT1_T2_T3_mT4_P12ihipStream_tbEUlT_E1_NS1_11comp_targetILNS1_3genE8ELNS1_11target_archE1030ELNS1_3gpuE2ELNS1_3repE0EEENS1_30default_config_static_selectorELNS0_4arch9wavefront6targetE1EEEvS17_
    .private_segment_fixed_size: 0
    .sgpr_count:     4
    .sgpr_spill_count: 0
    .symbol:         _ZN7rocprim17ROCPRIM_400000_NS6detail17trampoline_kernelINS0_14default_configENS1_22reduce_config_selectorIN6thrust23THRUST_200600_302600_NS5tupleIblNS6_9null_typeES8_S8_S8_S8_S8_S8_S8_EEEEZNS1_11reduce_implILb1ES3_NS6_12zip_iteratorINS7_INS6_11hip_rocprim26transform_input_iterator_tIbPhNS6_6detail10functional5actorINSH_9compositeIJNSH_27transparent_binary_operatorINS6_8equal_toIvEEEENSI_INSH_8argumentILj0EEEEENSH_5valueIhEEEEEEEEENSD_19counting_iterator_tIlEES8_S8_S8_S8_S8_S8_S8_S8_EEEEPS9_S9_NSD_9__find_if7functorIS9_EEEE10hipError_tPvRmT1_T2_T3_mT4_P12ihipStream_tbEUlT_E1_NS1_11comp_targetILNS1_3genE8ELNS1_11target_archE1030ELNS1_3gpuE2ELNS1_3repE0EEENS1_30default_config_static_selectorELNS0_4arch9wavefront6targetE1EEEvS17_.kd
    .uniform_work_group_size: 1
    .uses_dynamic_stack: false
    .vgpr_count:     0
    .vgpr_spill_count: 0
    .wavefront_size: 64
  - .agpr_count:     0
    .args:
      - .offset:         0
        .size:           48
        .value_kind:     by_value
    .group_segment_fixed_size: 0
    .kernarg_segment_align: 8
    .kernarg_segment_size: 48
    .language:       OpenCL C
    .language_version:
      - 2
      - 0
    .max_flat_workgroup_size: 256
    .name:           _ZN7rocprim17ROCPRIM_400000_NS6detail17trampoline_kernelINS0_13kernel_configILj256ELj4ELj4294967295EEENS1_37radix_sort_block_sort_config_selectorIalEEZNS1_21radix_sort_block_sortIS4_Lb0EPaS8_N6thrust23THRUST_200600_302600_NS10device_ptrIlEESC_NS0_19identity_decomposerEEE10hipError_tT1_T2_T3_T4_jRjT5_jjP12ihipStream_tbEUlT_E_NS1_11comp_targetILNS1_3genE0ELNS1_11target_archE4294967295ELNS1_3gpuE0ELNS1_3repE0EEENS1_44radix_sort_block_sort_config_static_selectorELNS0_4arch9wavefront6targetE1EEEvSF_
    .private_segment_fixed_size: 0
    .sgpr_count:     4
    .sgpr_spill_count: 0
    .symbol:         _ZN7rocprim17ROCPRIM_400000_NS6detail17trampoline_kernelINS0_13kernel_configILj256ELj4ELj4294967295EEENS1_37radix_sort_block_sort_config_selectorIalEEZNS1_21radix_sort_block_sortIS4_Lb0EPaS8_N6thrust23THRUST_200600_302600_NS10device_ptrIlEESC_NS0_19identity_decomposerEEE10hipError_tT1_T2_T3_T4_jRjT5_jjP12ihipStream_tbEUlT_E_NS1_11comp_targetILNS1_3genE0ELNS1_11target_archE4294967295ELNS1_3gpuE0ELNS1_3repE0EEENS1_44radix_sort_block_sort_config_static_selectorELNS0_4arch9wavefront6targetE1EEEvSF_.kd
    .uniform_work_group_size: 1
    .uses_dynamic_stack: false
    .vgpr_count:     0
    .vgpr_spill_count: 0
    .wavefront_size: 64
  - .agpr_count:     0
    .args:
      - .offset:         0
        .size:           48
        .value_kind:     by_value
    .group_segment_fixed_size: 0
    .kernarg_segment_align: 8
    .kernarg_segment_size: 48
    .language:       OpenCL C
    .language_version:
      - 2
      - 0
    .max_flat_workgroup_size: 256
    .name:           _ZN7rocprim17ROCPRIM_400000_NS6detail17trampoline_kernelINS0_13kernel_configILj256ELj4ELj4294967295EEENS1_37radix_sort_block_sort_config_selectorIalEEZNS1_21radix_sort_block_sortIS4_Lb0EPaS8_N6thrust23THRUST_200600_302600_NS10device_ptrIlEESC_NS0_19identity_decomposerEEE10hipError_tT1_T2_T3_T4_jRjT5_jjP12ihipStream_tbEUlT_E_NS1_11comp_targetILNS1_3genE5ELNS1_11target_archE942ELNS1_3gpuE9ELNS1_3repE0EEENS1_44radix_sort_block_sort_config_static_selectorELNS0_4arch9wavefront6targetE1EEEvSF_
    .private_segment_fixed_size: 0
    .sgpr_count:     4
    .sgpr_spill_count: 0
    .symbol:         _ZN7rocprim17ROCPRIM_400000_NS6detail17trampoline_kernelINS0_13kernel_configILj256ELj4ELj4294967295EEENS1_37radix_sort_block_sort_config_selectorIalEEZNS1_21radix_sort_block_sortIS4_Lb0EPaS8_N6thrust23THRUST_200600_302600_NS10device_ptrIlEESC_NS0_19identity_decomposerEEE10hipError_tT1_T2_T3_T4_jRjT5_jjP12ihipStream_tbEUlT_E_NS1_11comp_targetILNS1_3genE5ELNS1_11target_archE942ELNS1_3gpuE9ELNS1_3repE0EEENS1_44radix_sort_block_sort_config_static_selectorELNS0_4arch9wavefront6targetE1EEEvSF_.kd
    .uniform_work_group_size: 1
    .uses_dynamic_stack: false
    .vgpr_count:     0
    .vgpr_spill_count: 0
    .wavefront_size: 64
  - .agpr_count:     0
    .args:
      - .offset:         0
        .size:           48
        .value_kind:     by_value
      - .offset:         48
        .size:           4
        .value_kind:     hidden_block_count_x
      - .offset:         52
        .size:           4
        .value_kind:     hidden_block_count_y
      - .offset:         56
        .size:           4
        .value_kind:     hidden_block_count_z
      - .offset:         60
        .size:           2
        .value_kind:     hidden_group_size_x
      - .offset:         62
        .size:           2
        .value_kind:     hidden_group_size_y
      - .offset:         64
        .size:           2
        .value_kind:     hidden_group_size_z
      - .offset:         66
        .size:           2
        .value_kind:     hidden_remainder_x
      - .offset:         68
        .size:           2
        .value_kind:     hidden_remainder_y
      - .offset:         70
        .size:           2
        .value_kind:     hidden_remainder_z
      - .offset:         88
        .size:           8
        .value_kind:     hidden_global_offset_x
      - .offset:         96
        .size:           8
        .value_kind:     hidden_global_offset_y
      - .offset:         104
        .size:           8
        .value_kind:     hidden_global_offset_z
      - .offset:         112
        .size:           2
        .value_kind:     hidden_grid_dims
    .group_segment_fixed_size: 8192
    .kernarg_segment_align: 8
    .kernarg_segment_size: 304
    .language:       OpenCL C
    .language_version:
      - 2
      - 0
    .max_flat_workgroup_size: 256
    .name:           _ZN7rocprim17ROCPRIM_400000_NS6detail17trampoline_kernelINS0_13kernel_configILj256ELj4ELj4294967295EEENS1_37radix_sort_block_sort_config_selectorIalEEZNS1_21radix_sort_block_sortIS4_Lb0EPaS8_N6thrust23THRUST_200600_302600_NS10device_ptrIlEESC_NS0_19identity_decomposerEEE10hipError_tT1_T2_T3_T4_jRjT5_jjP12ihipStream_tbEUlT_E_NS1_11comp_targetILNS1_3genE4ELNS1_11target_archE910ELNS1_3gpuE8ELNS1_3repE0EEENS1_44radix_sort_block_sort_config_static_selectorELNS0_4arch9wavefront6targetE1EEEvSF_
    .private_segment_fixed_size: 0
    .sgpr_count:     50
    .sgpr_spill_count: 0
    .symbol:         _ZN7rocprim17ROCPRIM_400000_NS6detail17trampoline_kernelINS0_13kernel_configILj256ELj4ELj4294967295EEENS1_37radix_sort_block_sort_config_selectorIalEEZNS1_21radix_sort_block_sortIS4_Lb0EPaS8_N6thrust23THRUST_200600_302600_NS10device_ptrIlEESC_NS0_19identity_decomposerEEE10hipError_tT1_T2_T3_T4_jRjT5_jjP12ihipStream_tbEUlT_E_NS1_11comp_targetILNS1_3genE4ELNS1_11target_archE910ELNS1_3gpuE8ELNS1_3repE0EEENS1_44radix_sort_block_sort_config_static_selectorELNS0_4arch9wavefront6targetE1EEEvSF_.kd
    .uniform_work_group_size: 1
    .uses_dynamic_stack: false
    .vgpr_count:     50
    .vgpr_spill_count: 0
    .wavefront_size: 64
  - .agpr_count:     0
    .args:
      - .offset:         0
        .size:           48
        .value_kind:     by_value
    .group_segment_fixed_size: 0
    .kernarg_segment_align: 8
    .kernarg_segment_size: 48
    .language:       OpenCL C
    .language_version:
      - 2
      - 0
    .max_flat_workgroup_size: 256
    .name:           _ZN7rocprim17ROCPRIM_400000_NS6detail17trampoline_kernelINS0_13kernel_configILj256ELj4ELj4294967295EEENS1_37radix_sort_block_sort_config_selectorIalEEZNS1_21radix_sort_block_sortIS4_Lb0EPaS8_N6thrust23THRUST_200600_302600_NS10device_ptrIlEESC_NS0_19identity_decomposerEEE10hipError_tT1_T2_T3_T4_jRjT5_jjP12ihipStream_tbEUlT_E_NS1_11comp_targetILNS1_3genE3ELNS1_11target_archE908ELNS1_3gpuE7ELNS1_3repE0EEENS1_44radix_sort_block_sort_config_static_selectorELNS0_4arch9wavefront6targetE1EEEvSF_
    .private_segment_fixed_size: 0
    .sgpr_count:     4
    .sgpr_spill_count: 0
    .symbol:         _ZN7rocprim17ROCPRIM_400000_NS6detail17trampoline_kernelINS0_13kernel_configILj256ELj4ELj4294967295EEENS1_37radix_sort_block_sort_config_selectorIalEEZNS1_21radix_sort_block_sortIS4_Lb0EPaS8_N6thrust23THRUST_200600_302600_NS10device_ptrIlEESC_NS0_19identity_decomposerEEE10hipError_tT1_T2_T3_T4_jRjT5_jjP12ihipStream_tbEUlT_E_NS1_11comp_targetILNS1_3genE3ELNS1_11target_archE908ELNS1_3gpuE7ELNS1_3repE0EEENS1_44radix_sort_block_sort_config_static_selectorELNS0_4arch9wavefront6targetE1EEEvSF_.kd
    .uniform_work_group_size: 1
    .uses_dynamic_stack: false
    .vgpr_count:     0
    .vgpr_spill_count: 0
    .wavefront_size: 64
  - .agpr_count:     0
    .args:
      - .offset:         0
        .size:           48
        .value_kind:     by_value
    .group_segment_fixed_size: 0
    .kernarg_segment_align: 8
    .kernarg_segment_size: 48
    .language:       OpenCL C
    .language_version:
      - 2
      - 0
    .max_flat_workgroup_size: 256
    .name:           _ZN7rocprim17ROCPRIM_400000_NS6detail17trampoline_kernelINS0_13kernel_configILj256ELj4ELj4294967295EEENS1_37radix_sort_block_sort_config_selectorIalEEZNS1_21radix_sort_block_sortIS4_Lb0EPaS8_N6thrust23THRUST_200600_302600_NS10device_ptrIlEESC_NS0_19identity_decomposerEEE10hipError_tT1_T2_T3_T4_jRjT5_jjP12ihipStream_tbEUlT_E_NS1_11comp_targetILNS1_3genE2ELNS1_11target_archE906ELNS1_3gpuE6ELNS1_3repE0EEENS1_44radix_sort_block_sort_config_static_selectorELNS0_4arch9wavefront6targetE1EEEvSF_
    .private_segment_fixed_size: 0
    .sgpr_count:     4
    .sgpr_spill_count: 0
    .symbol:         _ZN7rocprim17ROCPRIM_400000_NS6detail17trampoline_kernelINS0_13kernel_configILj256ELj4ELj4294967295EEENS1_37radix_sort_block_sort_config_selectorIalEEZNS1_21radix_sort_block_sortIS4_Lb0EPaS8_N6thrust23THRUST_200600_302600_NS10device_ptrIlEESC_NS0_19identity_decomposerEEE10hipError_tT1_T2_T3_T4_jRjT5_jjP12ihipStream_tbEUlT_E_NS1_11comp_targetILNS1_3genE2ELNS1_11target_archE906ELNS1_3gpuE6ELNS1_3repE0EEENS1_44radix_sort_block_sort_config_static_selectorELNS0_4arch9wavefront6targetE1EEEvSF_.kd
    .uniform_work_group_size: 1
    .uses_dynamic_stack: false
    .vgpr_count:     0
    .vgpr_spill_count: 0
    .wavefront_size: 64
  - .agpr_count:     0
    .args:
      - .offset:         0
        .size:           48
        .value_kind:     by_value
    .group_segment_fixed_size: 0
    .kernarg_segment_align: 8
    .kernarg_segment_size: 48
    .language:       OpenCL C
    .language_version:
      - 2
      - 0
    .max_flat_workgroup_size: 256
    .name:           _ZN7rocprim17ROCPRIM_400000_NS6detail17trampoline_kernelINS0_13kernel_configILj256ELj4ELj4294967295EEENS1_37radix_sort_block_sort_config_selectorIalEEZNS1_21radix_sort_block_sortIS4_Lb0EPaS8_N6thrust23THRUST_200600_302600_NS10device_ptrIlEESC_NS0_19identity_decomposerEEE10hipError_tT1_T2_T3_T4_jRjT5_jjP12ihipStream_tbEUlT_E_NS1_11comp_targetILNS1_3genE10ELNS1_11target_archE1201ELNS1_3gpuE5ELNS1_3repE0EEENS1_44radix_sort_block_sort_config_static_selectorELNS0_4arch9wavefront6targetE1EEEvSF_
    .private_segment_fixed_size: 0
    .sgpr_count:     4
    .sgpr_spill_count: 0
    .symbol:         _ZN7rocprim17ROCPRIM_400000_NS6detail17trampoline_kernelINS0_13kernel_configILj256ELj4ELj4294967295EEENS1_37radix_sort_block_sort_config_selectorIalEEZNS1_21radix_sort_block_sortIS4_Lb0EPaS8_N6thrust23THRUST_200600_302600_NS10device_ptrIlEESC_NS0_19identity_decomposerEEE10hipError_tT1_T2_T3_T4_jRjT5_jjP12ihipStream_tbEUlT_E_NS1_11comp_targetILNS1_3genE10ELNS1_11target_archE1201ELNS1_3gpuE5ELNS1_3repE0EEENS1_44radix_sort_block_sort_config_static_selectorELNS0_4arch9wavefront6targetE1EEEvSF_.kd
    .uniform_work_group_size: 1
    .uses_dynamic_stack: false
    .vgpr_count:     0
    .vgpr_spill_count: 0
    .wavefront_size: 64
  - .agpr_count:     0
    .args:
      - .offset:         0
        .size:           48
        .value_kind:     by_value
    .group_segment_fixed_size: 0
    .kernarg_segment_align: 8
    .kernarg_segment_size: 48
    .language:       OpenCL C
    .language_version:
      - 2
      - 0
    .max_flat_workgroup_size: 256
    .name:           _ZN7rocprim17ROCPRIM_400000_NS6detail17trampoline_kernelINS0_13kernel_configILj256ELj4ELj4294967295EEENS1_37radix_sort_block_sort_config_selectorIalEEZNS1_21radix_sort_block_sortIS4_Lb0EPaS8_N6thrust23THRUST_200600_302600_NS10device_ptrIlEESC_NS0_19identity_decomposerEEE10hipError_tT1_T2_T3_T4_jRjT5_jjP12ihipStream_tbEUlT_E_NS1_11comp_targetILNS1_3genE10ELNS1_11target_archE1200ELNS1_3gpuE4ELNS1_3repE0EEENS1_44radix_sort_block_sort_config_static_selectorELNS0_4arch9wavefront6targetE1EEEvSF_
    .private_segment_fixed_size: 0
    .sgpr_count:     4
    .sgpr_spill_count: 0
    .symbol:         _ZN7rocprim17ROCPRIM_400000_NS6detail17trampoline_kernelINS0_13kernel_configILj256ELj4ELj4294967295EEENS1_37radix_sort_block_sort_config_selectorIalEEZNS1_21radix_sort_block_sortIS4_Lb0EPaS8_N6thrust23THRUST_200600_302600_NS10device_ptrIlEESC_NS0_19identity_decomposerEEE10hipError_tT1_T2_T3_T4_jRjT5_jjP12ihipStream_tbEUlT_E_NS1_11comp_targetILNS1_3genE10ELNS1_11target_archE1200ELNS1_3gpuE4ELNS1_3repE0EEENS1_44radix_sort_block_sort_config_static_selectorELNS0_4arch9wavefront6targetE1EEEvSF_.kd
    .uniform_work_group_size: 1
    .uses_dynamic_stack: false
    .vgpr_count:     0
    .vgpr_spill_count: 0
    .wavefront_size: 64
  - .agpr_count:     0
    .args:
      - .offset:         0
        .size:           48
        .value_kind:     by_value
    .group_segment_fixed_size: 0
    .kernarg_segment_align: 8
    .kernarg_segment_size: 48
    .language:       OpenCL C
    .language_version:
      - 2
      - 0
    .max_flat_workgroup_size: 256
    .name:           _ZN7rocprim17ROCPRIM_400000_NS6detail17trampoline_kernelINS0_13kernel_configILj256ELj4ELj4294967295EEENS1_37radix_sort_block_sort_config_selectorIalEEZNS1_21radix_sort_block_sortIS4_Lb0EPaS8_N6thrust23THRUST_200600_302600_NS10device_ptrIlEESC_NS0_19identity_decomposerEEE10hipError_tT1_T2_T3_T4_jRjT5_jjP12ihipStream_tbEUlT_E_NS1_11comp_targetILNS1_3genE9ELNS1_11target_archE1100ELNS1_3gpuE3ELNS1_3repE0EEENS1_44radix_sort_block_sort_config_static_selectorELNS0_4arch9wavefront6targetE1EEEvSF_
    .private_segment_fixed_size: 0
    .sgpr_count:     4
    .sgpr_spill_count: 0
    .symbol:         _ZN7rocprim17ROCPRIM_400000_NS6detail17trampoline_kernelINS0_13kernel_configILj256ELj4ELj4294967295EEENS1_37radix_sort_block_sort_config_selectorIalEEZNS1_21radix_sort_block_sortIS4_Lb0EPaS8_N6thrust23THRUST_200600_302600_NS10device_ptrIlEESC_NS0_19identity_decomposerEEE10hipError_tT1_T2_T3_T4_jRjT5_jjP12ihipStream_tbEUlT_E_NS1_11comp_targetILNS1_3genE9ELNS1_11target_archE1100ELNS1_3gpuE3ELNS1_3repE0EEENS1_44radix_sort_block_sort_config_static_selectorELNS0_4arch9wavefront6targetE1EEEvSF_.kd
    .uniform_work_group_size: 1
    .uses_dynamic_stack: false
    .vgpr_count:     0
    .vgpr_spill_count: 0
    .wavefront_size: 64
  - .agpr_count:     0
    .args:
      - .offset:         0
        .size:           48
        .value_kind:     by_value
    .group_segment_fixed_size: 0
    .kernarg_segment_align: 8
    .kernarg_segment_size: 48
    .language:       OpenCL C
    .language_version:
      - 2
      - 0
    .max_flat_workgroup_size: 256
    .name:           _ZN7rocprim17ROCPRIM_400000_NS6detail17trampoline_kernelINS0_13kernel_configILj256ELj4ELj4294967295EEENS1_37radix_sort_block_sort_config_selectorIalEEZNS1_21radix_sort_block_sortIS4_Lb0EPaS8_N6thrust23THRUST_200600_302600_NS10device_ptrIlEESC_NS0_19identity_decomposerEEE10hipError_tT1_T2_T3_T4_jRjT5_jjP12ihipStream_tbEUlT_E_NS1_11comp_targetILNS1_3genE8ELNS1_11target_archE1030ELNS1_3gpuE2ELNS1_3repE0EEENS1_44radix_sort_block_sort_config_static_selectorELNS0_4arch9wavefront6targetE1EEEvSF_
    .private_segment_fixed_size: 0
    .sgpr_count:     4
    .sgpr_spill_count: 0
    .symbol:         _ZN7rocprim17ROCPRIM_400000_NS6detail17trampoline_kernelINS0_13kernel_configILj256ELj4ELj4294967295EEENS1_37radix_sort_block_sort_config_selectorIalEEZNS1_21radix_sort_block_sortIS4_Lb0EPaS8_N6thrust23THRUST_200600_302600_NS10device_ptrIlEESC_NS0_19identity_decomposerEEE10hipError_tT1_T2_T3_T4_jRjT5_jjP12ihipStream_tbEUlT_E_NS1_11comp_targetILNS1_3genE8ELNS1_11target_archE1030ELNS1_3gpuE2ELNS1_3repE0EEENS1_44radix_sort_block_sort_config_static_selectorELNS0_4arch9wavefront6targetE1EEEvSF_.kd
    .uniform_work_group_size: 1
    .uses_dynamic_stack: false
    .vgpr_count:     0
    .vgpr_spill_count: 0
    .wavefront_size: 64
  - .agpr_count:     0
    .args:           []
    .group_segment_fixed_size: 0
    .kernarg_segment_align: 4
    .kernarg_segment_size: 0
    .language:       OpenCL C
    .language_version:
      - 2
      - 0
    .max_flat_workgroup_size: 1024
    .name:           _ZN7rocprim17ROCPRIM_400000_NS6detail44device_merge_sort_compile_time_verifier_archINS1_11comp_targetILNS1_3genE0ELNS1_11target_archE4294967295ELNS1_3gpuE0ELNS1_3repE0EEES8_NS1_28merge_sort_block_sort_configILj256ELj4ELNS0_20block_sort_algorithmE0EEENS0_14default_configENS1_37merge_sort_block_sort_config_selectorIalEENS1_38merge_sort_block_merge_config_selectorIalEEEEvv
    .private_segment_fixed_size: 0
    .sgpr_count:     4
    .sgpr_spill_count: 0
    .symbol:         _ZN7rocprim17ROCPRIM_400000_NS6detail44device_merge_sort_compile_time_verifier_archINS1_11comp_targetILNS1_3genE0ELNS1_11target_archE4294967295ELNS1_3gpuE0ELNS1_3repE0EEES8_NS1_28merge_sort_block_sort_configILj256ELj4ELNS0_20block_sort_algorithmE0EEENS0_14default_configENS1_37merge_sort_block_sort_config_selectorIalEENS1_38merge_sort_block_merge_config_selectorIalEEEEvv.kd
    .uniform_work_group_size: 1
    .uses_dynamic_stack: false
    .vgpr_count:     0
    .vgpr_spill_count: 0
    .wavefront_size: 64
  - .agpr_count:     0
    .args:           []
    .group_segment_fixed_size: 0
    .kernarg_segment_align: 4
    .kernarg_segment_size: 0
    .language:       OpenCL C
    .language_version:
      - 2
      - 0
    .max_flat_workgroup_size: 1024
    .name:           _ZN7rocprim17ROCPRIM_400000_NS6detail44device_merge_sort_compile_time_verifier_archINS1_11comp_targetILNS1_3genE5ELNS1_11target_archE942ELNS1_3gpuE9ELNS1_3repE0EEES8_NS1_28merge_sort_block_sort_configILj256ELj4ELNS0_20block_sort_algorithmE0EEENS0_14default_configENS1_37merge_sort_block_sort_config_selectorIalEENS1_38merge_sort_block_merge_config_selectorIalEEEEvv
    .private_segment_fixed_size: 0
    .sgpr_count:     4
    .sgpr_spill_count: 0
    .symbol:         _ZN7rocprim17ROCPRIM_400000_NS6detail44device_merge_sort_compile_time_verifier_archINS1_11comp_targetILNS1_3genE5ELNS1_11target_archE942ELNS1_3gpuE9ELNS1_3repE0EEES8_NS1_28merge_sort_block_sort_configILj256ELj4ELNS0_20block_sort_algorithmE0EEENS0_14default_configENS1_37merge_sort_block_sort_config_selectorIalEENS1_38merge_sort_block_merge_config_selectorIalEEEEvv.kd
    .uniform_work_group_size: 1
    .uses_dynamic_stack: false
    .vgpr_count:     0
    .vgpr_spill_count: 0
    .wavefront_size: 64
  - .agpr_count:     0
    .args:           []
    .group_segment_fixed_size: 0
    .kernarg_segment_align: 4
    .kernarg_segment_size: 0
    .language:       OpenCL C
    .language_version:
      - 2
      - 0
    .max_flat_workgroup_size: 1024
    .name:           _ZN7rocprim17ROCPRIM_400000_NS6detail44device_merge_sort_compile_time_verifier_archINS1_11comp_targetILNS1_3genE4ELNS1_11target_archE910ELNS1_3gpuE8ELNS1_3repE0EEES8_NS1_28merge_sort_block_sort_configILj256ELj4ELNS0_20block_sort_algorithmE0EEENS0_14default_configENS1_37merge_sort_block_sort_config_selectorIalEENS1_38merge_sort_block_merge_config_selectorIalEEEEvv
    .private_segment_fixed_size: 0
    .sgpr_count:     4
    .sgpr_spill_count: 0
    .symbol:         _ZN7rocprim17ROCPRIM_400000_NS6detail44device_merge_sort_compile_time_verifier_archINS1_11comp_targetILNS1_3genE4ELNS1_11target_archE910ELNS1_3gpuE8ELNS1_3repE0EEES8_NS1_28merge_sort_block_sort_configILj256ELj4ELNS0_20block_sort_algorithmE0EEENS0_14default_configENS1_37merge_sort_block_sort_config_selectorIalEENS1_38merge_sort_block_merge_config_selectorIalEEEEvv.kd
    .uniform_work_group_size: 1
    .uses_dynamic_stack: false
    .vgpr_count:     0
    .vgpr_spill_count: 0
    .wavefront_size: 64
  - .agpr_count:     0
    .args:           []
    .group_segment_fixed_size: 0
    .kernarg_segment_align: 4
    .kernarg_segment_size: 0
    .language:       OpenCL C
    .language_version:
      - 2
      - 0
    .max_flat_workgroup_size: 1024
    .name:           _ZN7rocprim17ROCPRIM_400000_NS6detail44device_merge_sort_compile_time_verifier_archINS1_11comp_targetILNS1_3genE3ELNS1_11target_archE908ELNS1_3gpuE7ELNS1_3repE0EEES8_NS1_28merge_sort_block_sort_configILj256ELj4ELNS0_20block_sort_algorithmE0EEENS0_14default_configENS1_37merge_sort_block_sort_config_selectorIalEENS1_38merge_sort_block_merge_config_selectorIalEEEEvv
    .private_segment_fixed_size: 0
    .sgpr_count:     4
    .sgpr_spill_count: 0
    .symbol:         _ZN7rocprim17ROCPRIM_400000_NS6detail44device_merge_sort_compile_time_verifier_archINS1_11comp_targetILNS1_3genE3ELNS1_11target_archE908ELNS1_3gpuE7ELNS1_3repE0EEES8_NS1_28merge_sort_block_sort_configILj256ELj4ELNS0_20block_sort_algorithmE0EEENS0_14default_configENS1_37merge_sort_block_sort_config_selectorIalEENS1_38merge_sort_block_merge_config_selectorIalEEEEvv.kd
    .uniform_work_group_size: 1
    .uses_dynamic_stack: false
    .vgpr_count:     0
    .vgpr_spill_count: 0
    .wavefront_size: 64
  - .agpr_count:     0
    .args:           []
    .group_segment_fixed_size: 0
    .kernarg_segment_align: 4
    .kernarg_segment_size: 0
    .language:       OpenCL C
    .language_version:
      - 2
      - 0
    .max_flat_workgroup_size: 1024
    .name:           _ZN7rocprim17ROCPRIM_400000_NS6detail44device_merge_sort_compile_time_verifier_archINS1_11comp_targetILNS1_3genE2ELNS1_11target_archE906ELNS1_3gpuE6ELNS1_3repE0EEES8_NS1_28merge_sort_block_sort_configILj256ELj4ELNS0_20block_sort_algorithmE0EEENS0_14default_configENS1_37merge_sort_block_sort_config_selectorIalEENS1_38merge_sort_block_merge_config_selectorIalEEEEvv
    .private_segment_fixed_size: 0
    .sgpr_count:     4
    .sgpr_spill_count: 0
    .symbol:         _ZN7rocprim17ROCPRIM_400000_NS6detail44device_merge_sort_compile_time_verifier_archINS1_11comp_targetILNS1_3genE2ELNS1_11target_archE906ELNS1_3gpuE6ELNS1_3repE0EEES8_NS1_28merge_sort_block_sort_configILj256ELj4ELNS0_20block_sort_algorithmE0EEENS0_14default_configENS1_37merge_sort_block_sort_config_selectorIalEENS1_38merge_sort_block_merge_config_selectorIalEEEEvv.kd
    .uniform_work_group_size: 1
    .uses_dynamic_stack: false
    .vgpr_count:     0
    .vgpr_spill_count: 0
    .wavefront_size: 64
  - .agpr_count:     0
    .args:           []
    .group_segment_fixed_size: 0
    .kernarg_segment_align: 4
    .kernarg_segment_size: 0
    .language:       OpenCL C
    .language_version:
      - 2
      - 0
    .max_flat_workgroup_size: 1024
    .name:           _ZN7rocprim17ROCPRIM_400000_NS6detail44device_merge_sort_compile_time_verifier_archINS1_11comp_targetILNS1_3genE10ELNS1_11target_archE1201ELNS1_3gpuE5ELNS1_3repE0EEES8_NS1_28merge_sort_block_sort_configILj256ELj4ELNS0_20block_sort_algorithmE0EEENS0_14default_configENS1_37merge_sort_block_sort_config_selectorIalEENS1_38merge_sort_block_merge_config_selectorIalEEEEvv
    .private_segment_fixed_size: 0
    .sgpr_count:     4
    .sgpr_spill_count: 0
    .symbol:         _ZN7rocprim17ROCPRIM_400000_NS6detail44device_merge_sort_compile_time_verifier_archINS1_11comp_targetILNS1_3genE10ELNS1_11target_archE1201ELNS1_3gpuE5ELNS1_3repE0EEES8_NS1_28merge_sort_block_sort_configILj256ELj4ELNS0_20block_sort_algorithmE0EEENS0_14default_configENS1_37merge_sort_block_sort_config_selectorIalEENS1_38merge_sort_block_merge_config_selectorIalEEEEvv.kd
    .uniform_work_group_size: 1
    .uses_dynamic_stack: false
    .vgpr_count:     0
    .vgpr_spill_count: 0
    .wavefront_size: 64
  - .agpr_count:     0
    .args:           []
    .group_segment_fixed_size: 0
    .kernarg_segment_align: 4
    .kernarg_segment_size: 0
    .language:       OpenCL C
    .language_version:
      - 2
      - 0
    .max_flat_workgroup_size: 1024
    .name:           _ZN7rocprim17ROCPRIM_400000_NS6detail44device_merge_sort_compile_time_verifier_archINS1_11comp_targetILNS1_3genE10ELNS1_11target_archE1200ELNS1_3gpuE4ELNS1_3repE0EEENS3_ILS4_10ELS5_1201ELS6_5ELS7_0EEENS1_28merge_sort_block_sort_configILj256ELj4ELNS0_20block_sort_algorithmE0EEENS0_14default_configENS1_37merge_sort_block_sort_config_selectorIalEENS1_38merge_sort_block_merge_config_selectorIalEEEEvv
    .private_segment_fixed_size: 0
    .sgpr_count:     4
    .sgpr_spill_count: 0
    .symbol:         _ZN7rocprim17ROCPRIM_400000_NS6detail44device_merge_sort_compile_time_verifier_archINS1_11comp_targetILNS1_3genE10ELNS1_11target_archE1200ELNS1_3gpuE4ELNS1_3repE0EEENS3_ILS4_10ELS5_1201ELS6_5ELS7_0EEENS1_28merge_sort_block_sort_configILj256ELj4ELNS0_20block_sort_algorithmE0EEENS0_14default_configENS1_37merge_sort_block_sort_config_selectorIalEENS1_38merge_sort_block_merge_config_selectorIalEEEEvv.kd
    .uniform_work_group_size: 1
    .uses_dynamic_stack: false
    .vgpr_count:     0
    .vgpr_spill_count: 0
    .wavefront_size: 64
  - .agpr_count:     0
    .args:           []
    .group_segment_fixed_size: 0
    .kernarg_segment_align: 4
    .kernarg_segment_size: 0
    .language:       OpenCL C
    .language_version:
      - 2
      - 0
    .max_flat_workgroup_size: 1024
    .name:           _ZN7rocprim17ROCPRIM_400000_NS6detail44device_merge_sort_compile_time_verifier_archINS1_11comp_targetILNS1_3genE9ELNS1_11target_archE1100ELNS1_3gpuE3ELNS1_3repE0EEES8_NS1_28merge_sort_block_sort_configILj256ELj4ELNS0_20block_sort_algorithmE0EEENS0_14default_configENS1_37merge_sort_block_sort_config_selectorIalEENS1_38merge_sort_block_merge_config_selectorIalEEEEvv
    .private_segment_fixed_size: 0
    .sgpr_count:     4
    .sgpr_spill_count: 0
    .symbol:         _ZN7rocprim17ROCPRIM_400000_NS6detail44device_merge_sort_compile_time_verifier_archINS1_11comp_targetILNS1_3genE9ELNS1_11target_archE1100ELNS1_3gpuE3ELNS1_3repE0EEES8_NS1_28merge_sort_block_sort_configILj256ELj4ELNS0_20block_sort_algorithmE0EEENS0_14default_configENS1_37merge_sort_block_sort_config_selectorIalEENS1_38merge_sort_block_merge_config_selectorIalEEEEvv.kd
    .uniform_work_group_size: 1
    .uses_dynamic_stack: false
    .vgpr_count:     0
    .vgpr_spill_count: 0
    .wavefront_size: 64
  - .agpr_count:     0
    .args:           []
    .group_segment_fixed_size: 0
    .kernarg_segment_align: 4
    .kernarg_segment_size: 0
    .language:       OpenCL C
    .language_version:
      - 2
      - 0
    .max_flat_workgroup_size: 1024
    .name:           _ZN7rocprim17ROCPRIM_400000_NS6detail44device_merge_sort_compile_time_verifier_archINS1_11comp_targetILNS1_3genE8ELNS1_11target_archE1030ELNS1_3gpuE2ELNS1_3repE0EEES8_NS1_28merge_sort_block_sort_configILj256ELj4ELNS0_20block_sort_algorithmE0EEENS0_14default_configENS1_37merge_sort_block_sort_config_selectorIalEENS1_38merge_sort_block_merge_config_selectorIalEEEEvv
    .private_segment_fixed_size: 0
    .sgpr_count:     4
    .sgpr_spill_count: 0
    .symbol:         _ZN7rocprim17ROCPRIM_400000_NS6detail44device_merge_sort_compile_time_verifier_archINS1_11comp_targetILNS1_3genE8ELNS1_11target_archE1030ELNS1_3gpuE2ELNS1_3repE0EEES8_NS1_28merge_sort_block_sort_configILj256ELj4ELNS0_20block_sort_algorithmE0EEENS0_14default_configENS1_37merge_sort_block_sort_config_selectorIalEENS1_38merge_sort_block_merge_config_selectorIalEEEEvv.kd
    .uniform_work_group_size: 1
    .uses_dynamic_stack: false
    .vgpr_count:     0
    .vgpr_spill_count: 0
    .wavefront_size: 64
  - .agpr_count:     0
    .args:
      - .offset:         0
        .size:           40
        .value_kind:     by_value
    .group_segment_fixed_size: 0
    .kernarg_segment_align: 8
    .kernarg_segment_size: 40
    .language:       OpenCL C
    .language_version:
      - 2
      - 0
    .max_flat_workgroup_size: 128
    .name:           _ZN7rocprim17ROCPRIM_400000_NS6detail17trampoline_kernelINS0_14default_configENS1_38merge_sort_block_merge_config_selectorIalEEZZNS1_27merge_sort_block_merge_implIS3_PaN6thrust23THRUST_200600_302600_NS10device_ptrIlEEjNS1_19radix_merge_compareILb0ELb0EaNS0_19identity_decomposerEEEEE10hipError_tT0_T1_T2_jT3_P12ihipStream_tbPNSt15iterator_traitsISG_E10value_typeEPNSM_ISH_E10value_typeEPSI_NS1_7vsmem_tEENKUlT_SG_SH_SI_E_clIS7_S7_PlSB_EESF_SV_SG_SH_SI_EUlSV_E_NS1_11comp_targetILNS1_3genE0ELNS1_11target_archE4294967295ELNS1_3gpuE0ELNS1_3repE0EEENS1_48merge_mergepath_partition_config_static_selectorELNS0_4arch9wavefront6targetE1EEEvSH_
    .private_segment_fixed_size: 0
    .sgpr_count:     4
    .sgpr_spill_count: 0
    .symbol:         _ZN7rocprim17ROCPRIM_400000_NS6detail17trampoline_kernelINS0_14default_configENS1_38merge_sort_block_merge_config_selectorIalEEZZNS1_27merge_sort_block_merge_implIS3_PaN6thrust23THRUST_200600_302600_NS10device_ptrIlEEjNS1_19radix_merge_compareILb0ELb0EaNS0_19identity_decomposerEEEEE10hipError_tT0_T1_T2_jT3_P12ihipStream_tbPNSt15iterator_traitsISG_E10value_typeEPNSM_ISH_E10value_typeEPSI_NS1_7vsmem_tEENKUlT_SG_SH_SI_E_clIS7_S7_PlSB_EESF_SV_SG_SH_SI_EUlSV_E_NS1_11comp_targetILNS1_3genE0ELNS1_11target_archE4294967295ELNS1_3gpuE0ELNS1_3repE0EEENS1_48merge_mergepath_partition_config_static_selectorELNS0_4arch9wavefront6targetE1EEEvSH_.kd
    .uniform_work_group_size: 1
    .uses_dynamic_stack: false
    .vgpr_count:     0
    .vgpr_spill_count: 0
    .wavefront_size: 64
  - .agpr_count:     0
    .args:
      - .offset:         0
        .size:           40
        .value_kind:     by_value
    .group_segment_fixed_size: 0
    .kernarg_segment_align: 8
    .kernarg_segment_size: 40
    .language:       OpenCL C
    .language_version:
      - 2
      - 0
    .max_flat_workgroup_size: 128
    .name:           _ZN7rocprim17ROCPRIM_400000_NS6detail17trampoline_kernelINS0_14default_configENS1_38merge_sort_block_merge_config_selectorIalEEZZNS1_27merge_sort_block_merge_implIS3_PaN6thrust23THRUST_200600_302600_NS10device_ptrIlEEjNS1_19radix_merge_compareILb0ELb0EaNS0_19identity_decomposerEEEEE10hipError_tT0_T1_T2_jT3_P12ihipStream_tbPNSt15iterator_traitsISG_E10value_typeEPNSM_ISH_E10value_typeEPSI_NS1_7vsmem_tEENKUlT_SG_SH_SI_E_clIS7_S7_PlSB_EESF_SV_SG_SH_SI_EUlSV_E_NS1_11comp_targetILNS1_3genE10ELNS1_11target_archE1201ELNS1_3gpuE5ELNS1_3repE0EEENS1_48merge_mergepath_partition_config_static_selectorELNS0_4arch9wavefront6targetE1EEEvSH_
    .private_segment_fixed_size: 0
    .sgpr_count:     4
    .sgpr_spill_count: 0
    .symbol:         _ZN7rocprim17ROCPRIM_400000_NS6detail17trampoline_kernelINS0_14default_configENS1_38merge_sort_block_merge_config_selectorIalEEZZNS1_27merge_sort_block_merge_implIS3_PaN6thrust23THRUST_200600_302600_NS10device_ptrIlEEjNS1_19radix_merge_compareILb0ELb0EaNS0_19identity_decomposerEEEEE10hipError_tT0_T1_T2_jT3_P12ihipStream_tbPNSt15iterator_traitsISG_E10value_typeEPNSM_ISH_E10value_typeEPSI_NS1_7vsmem_tEENKUlT_SG_SH_SI_E_clIS7_S7_PlSB_EESF_SV_SG_SH_SI_EUlSV_E_NS1_11comp_targetILNS1_3genE10ELNS1_11target_archE1201ELNS1_3gpuE5ELNS1_3repE0EEENS1_48merge_mergepath_partition_config_static_selectorELNS0_4arch9wavefront6targetE1EEEvSH_.kd
    .uniform_work_group_size: 1
    .uses_dynamic_stack: false
    .vgpr_count:     0
    .vgpr_spill_count: 0
    .wavefront_size: 64
  - .agpr_count:     0
    .args:
      - .offset:         0
        .size:           40
        .value_kind:     by_value
    .group_segment_fixed_size: 0
    .kernarg_segment_align: 8
    .kernarg_segment_size: 40
    .language:       OpenCL C
    .language_version:
      - 2
      - 0
    .max_flat_workgroup_size: 128
    .name:           _ZN7rocprim17ROCPRIM_400000_NS6detail17trampoline_kernelINS0_14default_configENS1_38merge_sort_block_merge_config_selectorIalEEZZNS1_27merge_sort_block_merge_implIS3_PaN6thrust23THRUST_200600_302600_NS10device_ptrIlEEjNS1_19radix_merge_compareILb0ELb0EaNS0_19identity_decomposerEEEEE10hipError_tT0_T1_T2_jT3_P12ihipStream_tbPNSt15iterator_traitsISG_E10value_typeEPNSM_ISH_E10value_typeEPSI_NS1_7vsmem_tEENKUlT_SG_SH_SI_E_clIS7_S7_PlSB_EESF_SV_SG_SH_SI_EUlSV_E_NS1_11comp_targetILNS1_3genE5ELNS1_11target_archE942ELNS1_3gpuE9ELNS1_3repE0EEENS1_48merge_mergepath_partition_config_static_selectorELNS0_4arch9wavefront6targetE1EEEvSH_
    .private_segment_fixed_size: 0
    .sgpr_count:     4
    .sgpr_spill_count: 0
    .symbol:         _ZN7rocprim17ROCPRIM_400000_NS6detail17trampoline_kernelINS0_14default_configENS1_38merge_sort_block_merge_config_selectorIalEEZZNS1_27merge_sort_block_merge_implIS3_PaN6thrust23THRUST_200600_302600_NS10device_ptrIlEEjNS1_19radix_merge_compareILb0ELb0EaNS0_19identity_decomposerEEEEE10hipError_tT0_T1_T2_jT3_P12ihipStream_tbPNSt15iterator_traitsISG_E10value_typeEPNSM_ISH_E10value_typeEPSI_NS1_7vsmem_tEENKUlT_SG_SH_SI_E_clIS7_S7_PlSB_EESF_SV_SG_SH_SI_EUlSV_E_NS1_11comp_targetILNS1_3genE5ELNS1_11target_archE942ELNS1_3gpuE9ELNS1_3repE0EEENS1_48merge_mergepath_partition_config_static_selectorELNS0_4arch9wavefront6targetE1EEEvSH_.kd
    .uniform_work_group_size: 1
    .uses_dynamic_stack: false
    .vgpr_count:     0
    .vgpr_spill_count: 0
    .wavefront_size: 64
  - .agpr_count:     0
    .args:
      - .offset:         0
        .size:           40
        .value_kind:     by_value
    .group_segment_fixed_size: 0
    .kernarg_segment_align: 8
    .kernarg_segment_size: 40
    .language:       OpenCL C
    .language_version:
      - 2
      - 0
    .max_flat_workgroup_size: 128
    .name:           _ZN7rocprim17ROCPRIM_400000_NS6detail17trampoline_kernelINS0_14default_configENS1_38merge_sort_block_merge_config_selectorIalEEZZNS1_27merge_sort_block_merge_implIS3_PaN6thrust23THRUST_200600_302600_NS10device_ptrIlEEjNS1_19radix_merge_compareILb0ELb0EaNS0_19identity_decomposerEEEEE10hipError_tT0_T1_T2_jT3_P12ihipStream_tbPNSt15iterator_traitsISG_E10value_typeEPNSM_ISH_E10value_typeEPSI_NS1_7vsmem_tEENKUlT_SG_SH_SI_E_clIS7_S7_PlSB_EESF_SV_SG_SH_SI_EUlSV_E_NS1_11comp_targetILNS1_3genE4ELNS1_11target_archE910ELNS1_3gpuE8ELNS1_3repE0EEENS1_48merge_mergepath_partition_config_static_selectorELNS0_4arch9wavefront6targetE1EEEvSH_
    .private_segment_fixed_size: 0
    .sgpr_count:     12
    .sgpr_spill_count: 0
    .symbol:         _ZN7rocprim17ROCPRIM_400000_NS6detail17trampoline_kernelINS0_14default_configENS1_38merge_sort_block_merge_config_selectorIalEEZZNS1_27merge_sort_block_merge_implIS3_PaN6thrust23THRUST_200600_302600_NS10device_ptrIlEEjNS1_19radix_merge_compareILb0ELb0EaNS0_19identity_decomposerEEEEE10hipError_tT0_T1_T2_jT3_P12ihipStream_tbPNSt15iterator_traitsISG_E10value_typeEPNSM_ISH_E10value_typeEPSI_NS1_7vsmem_tEENKUlT_SG_SH_SI_E_clIS7_S7_PlSB_EESF_SV_SG_SH_SI_EUlSV_E_NS1_11comp_targetILNS1_3genE4ELNS1_11target_archE910ELNS1_3gpuE8ELNS1_3repE0EEENS1_48merge_mergepath_partition_config_static_selectorELNS0_4arch9wavefront6targetE1EEEvSH_.kd
    .uniform_work_group_size: 1
    .uses_dynamic_stack: false
    .vgpr_count:     16
    .vgpr_spill_count: 0
    .wavefront_size: 64
  - .agpr_count:     0
    .args:
      - .offset:         0
        .size:           40
        .value_kind:     by_value
    .group_segment_fixed_size: 0
    .kernarg_segment_align: 8
    .kernarg_segment_size: 40
    .language:       OpenCL C
    .language_version:
      - 2
      - 0
    .max_flat_workgroup_size: 128
    .name:           _ZN7rocprim17ROCPRIM_400000_NS6detail17trampoline_kernelINS0_14default_configENS1_38merge_sort_block_merge_config_selectorIalEEZZNS1_27merge_sort_block_merge_implIS3_PaN6thrust23THRUST_200600_302600_NS10device_ptrIlEEjNS1_19radix_merge_compareILb0ELb0EaNS0_19identity_decomposerEEEEE10hipError_tT0_T1_T2_jT3_P12ihipStream_tbPNSt15iterator_traitsISG_E10value_typeEPNSM_ISH_E10value_typeEPSI_NS1_7vsmem_tEENKUlT_SG_SH_SI_E_clIS7_S7_PlSB_EESF_SV_SG_SH_SI_EUlSV_E_NS1_11comp_targetILNS1_3genE3ELNS1_11target_archE908ELNS1_3gpuE7ELNS1_3repE0EEENS1_48merge_mergepath_partition_config_static_selectorELNS0_4arch9wavefront6targetE1EEEvSH_
    .private_segment_fixed_size: 0
    .sgpr_count:     4
    .sgpr_spill_count: 0
    .symbol:         _ZN7rocprim17ROCPRIM_400000_NS6detail17trampoline_kernelINS0_14default_configENS1_38merge_sort_block_merge_config_selectorIalEEZZNS1_27merge_sort_block_merge_implIS3_PaN6thrust23THRUST_200600_302600_NS10device_ptrIlEEjNS1_19radix_merge_compareILb0ELb0EaNS0_19identity_decomposerEEEEE10hipError_tT0_T1_T2_jT3_P12ihipStream_tbPNSt15iterator_traitsISG_E10value_typeEPNSM_ISH_E10value_typeEPSI_NS1_7vsmem_tEENKUlT_SG_SH_SI_E_clIS7_S7_PlSB_EESF_SV_SG_SH_SI_EUlSV_E_NS1_11comp_targetILNS1_3genE3ELNS1_11target_archE908ELNS1_3gpuE7ELNS1_3repE0EEENS1_48merge_mergepath_partition_config_static_selectorELNS0_4arch9wavefront6targetE1EEEvSH_.kd
    .uniform_work_group_size: 1
    .uses_dynamic_stack: false
    .vgpr_count:     0
    .vgpr_spill_count: 0
    .wavefront_size: 64
  - .agpr_count:     0
    .args:
      - .offset:         0
        .size:           40
        .value_kind:     by_value
    .group_segment_fixed_size: 0
    .kernarg_segment_align: 8
    .kernarg_segment_size: 40
    .language:       OpenCL C
    .language_version:
      - 2
      - 0
    .max_flat_workgroup_size: 128
    .name:           _ZN7rocprim17ROCPRIM_400000_NS6detail17trampoline_kernelINS0_14default_configENS1_38merge_sort_block_merge_config_selectorIalEEZZNS1_27merge_sort_block_merge_implIS3_PaN6thrust23THRUST_200600_302600_NS10device_ptrIlEEjNS1_19radix_merge_compareILb0ELb0EaNS0_19identity_decomposerEEEEE10hipError_tT0_T1_T2_jT3_P12ihipStream_tbPNSt15iterator_traitsISG_E10value_typeEPNSM_ISH_E10value_typeEPSI_NS1_7vsmem_tEENKUlT_SG_SH_SI_E_clIS7_S7_PlSB_EESF_SV_SG_SH_SI_EUlSV_E_NS1_11comp_targetILNS1_3genE2ELNS1_11target_archE906ELNS1_3gpuE6ELNS1_3repE0EEENS1_48merge_mergepath_partition_config_static_selectorELNS0_4arch9wavefront6targetE1EEEvSH_
    .private_segment_fixed_size: 0
    .sgpr_count:     4
    .sgpr_spill_count: 0
    .symbol:         _ZN7rocprim17ROCPRIM_400000_NS6detail17trampoline_kernelINS0_14default_configENS1_38merge_sort_block_merge_config_selectorIalEEZZNS1_27merge_sort_block_merge_implIS3_PaN6thrust23THRUST_200600_302600_NS10device_ptrIlEEjNS1_19radix_merge_compareILb0ELb0EaNS0_19identity_decomposerEEEEE10hipError_tT0_T1_T2_jT3_P12ihipStream_tbPNSt15iterator_traitsISG_E10value_typeEPNSM_ISH_E10value_typeEPSI_NS1_7vsmem_tEENKUlT_SG_SH_SI_E_clIS7_S7_PlSB_EESF_SV_SG_SH_SI_EUlSV_E_NS1_11comp_targetILNS1_3genE2ELNS1_11target_archE906ELNS1_3gpuE6ELNS1_3repE0EEENS1_48merge_mergepath_partition_config_static_selectorELNS0_4arch9wavefront6targetE1EEEvSH_.kd
    .uniform_work_group_size: 1
    .uses_dynamic_stack: false
    .vgpr_count:     0
    .vgpr_spill_count: 0
    .wavefront_size: 64
  - .agpr_count:     0
    .args:
      - .offset:         0
        .size:           40
        .value_kind:     by_value
    .group_segment_fixed_size: 0
    .kernarg_segment_align: 8
    .kernarg_segment_size: 40
    .language:       OpenCL C
    .language_version:
      - 2
      - 0
    .max_flat_workgroup_size: 128
    .name:           _ZN7rocprim17ROCPRIM_400000_NS6detail17trampoline_kernelINS0_14default_configENS1_38merge_sort_block_merge_config_selectorIalEEZZNS1_27merge_sort_block_merge_implIS3_PaN6thrust23THRUST_200600_302600_NS10device_ptrIlEEjNS1_19radix_merge_compareILb0ELb0EaNS0_19identity_decomposerEEEEE10hipError_tT0_T1_T2_jT3_P12ihipStream_tbPNSt15iterator_traitsISG_E10value_typeEPNSM_ISH_E10value_typeEPSI_NS1_7vsmem_tEENKUlT_SG_SH_SI_E_clIS7_S7_PlSB_EESF_SV_SG_SH_SI_EUlSV_E_NS1_11comp_targetILNS1_3genE9ELNS1_11target_archE1100ELNS1_3gpuE3ELNS1_3repE0EEENS1_48merge_mergepath_partition_config_static_selectorELNS0_4arch9wavefront6targetE1EEEvSH_
    .private_segment_fixed_size: 0
    .sgpr_count:     4
    .sgpr_spill_count: 0
    .symbol:         _ZN7rocprim17ROCPRIM_400000_NS6detail17trampoline_kernelINS0_14default_configENS1_38merge_sort_block_merge_config_selectorIalEEZZNS1_27merge_sort_block_merge_implIS3_PaN6thrust23THRUST_200600_302600_NS10device_ptrIlEEjNS1_19radix_merge_compareILb0ELb0EaNS0_19identity_decomposerEEEEE10hipError_tT0_T1_T2_jT3_P12ihipStream_tbPNSt15iterator_traitsISG_E10value_typeEPNSM_ISH_E10value_typeEPSI_NS1_7vsmem_tEENKUlT_SG_SH_SI_E_clIS7_S7_PlSB_EESF_SV_SG_SH_SI_EUlSV_E_NS1_11comp_targetILNS1_3genE9ELNS1_11target_archE1100ELNS1_3gpuE3ELNS1_3repE0EEENS1_48merge_mergepath_partition_config_static_selectorELNS0_4arch9wavefront6targetE1EEEvSH_.kd
    .uniform_work_group_size: 1
    .uses_dynamic_stack: false
    .vgpr_count:     0
    .vgpr_spill_count: 0
    .wavefront_size: 64
  - .agpr_count:     0
    .args:
      - .offset:         0
        .size:           40
        .value_kind:     by_value
    .group_segment_fixed_size: 0
    .kernarg_segment_align: 8
    .kernarg_segment_size: 40
    .language:       OpenCL C
    .language_version:
      - 2
      - 0
    .max_flat_workgroup_size: 128
    .name:           _ZN7rocprim17ROCPRIM_400000_NS6detail17trampoline_kernelINS0_14default_configENS1_38merge_sort_block_merge_config_selectorIalEEZZNS1_27merge_sort_block_merge_implIS3_PaN6thrust23THRUST_200600_302600_NS10device_ptrIlEEjNS1_19radix_merge_compareILb0ELb0EaNS0_19identity_decomposerEEEEE10hipError_tT0_T1_T2_jT3_P12ihipStream_tbPNSt15iterator_traitsISG_E10value_typeEPNSM_ISH_E10value_typeEPSI_NS1_7vsmem_tEENKUlT_SG_SH_SI_E_clIS7_S7_PlSB_EESF_SV_SG_SH_SI_EUlSV_E_NS1_11comp_targetILNS1_3genE8ELNS1_11target_archE1030ELNS1_3gpuE2ELNS1_3repE0EEENS1_48merge_mergepath_partition_config_static_selectorELNS0_4arch9wavefront6targetE1EEEvSH_
    .private_segment_fixed_size: 0
    .sgpr_count:     4
    .sgpr_spill_count: 0
    .symbol:         _ZN7rocprim17ROCPRIM_400000_NS6detail17trampoline_kernelINS0_14default_configENS1_38merge_sort_block_merge_config_selectorIalEEZZNS1_27merge_sort_block_merge_implIS3_PaN6thrust23THRUST_200600_302600_NS10device_ptrIlEEjNS1_19radix_merge_compareILb0ELb0EaNS0_19identity_decomposerEEEEE10hipError_tT0_T1_T2_jT3_P12ihipStream_tbPNSt15iterator_traitsISG_E10value_typeEPNSM_ISH_E10value_typeEPSI_NS1_7vsmem_tEENKUlT_SG_SH_SI_E_clIS7_S7_PlSB_EESF_SV_SG_SH_SI_EUlSV_E_NS1_11comp_targetILNS1_3genE8ELNS1_11target_archE1030ELNS1_3gpuE2ELNS1_3repE0EEENS1_48merge_mergepath_partition_config_static_selectorELNS0_4arch9wavefront6targetE1EEEvSH_.kd
    .uniform_work_group_size: 1
    .uses_dynamic_stack: false
    .vgpr_count:     0
    .vgpr_spill_count: 0
    .wavefront_size: 64
  - .agpr_count:     0
    .args:
      - .offset:         0
        .size:           64
        .value_kind:     by_value
    .group_segment_fixed_size: 0
    .kernarg_segment_align: 8
    .kernarg_segment_size: 64
    .language:       OpenCL C
    .language_version:
      - 2
      - 0
    .max_flat_workgroup_size: 512
    .name:           _ZN7rocprim17ROCPRIM_400000_NS6detail17trampoline_kernelINS0_14default_configENS1_38merge_sort_block_merge_config_selectorIalEEZZNS1_27merge_sort_block_merge_implIS3_PaN6thrust23THRUST_200600_302600_NS10device_ptrIlEEjNS1_19radix_merge_compareILb0ELb0EaNS0_19identity_decomposerEEEEE10hipError_tT0_T1_T2_jT3_P12ihipStream_tbPNSt15iterator_traitsISG_E10value_typeEPNSM_ISH_E10value_typeEPSI_NS1_7vsmem_tEENKUlT_SG_SH_SI_E_clIS7_S7_PlSB_EESF_SV_SG_SH_SI_EUlSV_E0_NS1_11comp_targetILNS1_3genE0ELNS1_11target_archE4294967295ELNS1_3gpuE0ELNS1_3repE0EEENS1_38merge_mergepath_config_static_selectorELNS0_4arch9wavefront6targetE1EEEvSH_
    .private_segment_fixed_size: 0
    .sgpr_count:     4
    .sgpr_spill_count: 0
    .symbol:         _ZN7rocprim17ROCPRIM_400000_NS6detail17trampoline_kernelINS0_14default_configENS1_38merge_sort_block_merge_config_selectorIalEEZZNS1_27merge_sort_block_merge_implIS3_PaN6thrust23THRUST_200600_302600_NS10device_ptrIlEEjNS1_19radix_merge_compareILb0ELb0EaNS0_19identity_decomposerEEEEE10hipError_tT0_T1_T2_jT3_P12ihipStream_tbPNSt15iterator_traitsISG_E10value_typeEPNSM_ISH_E10value_typeEPSI_NS1_7vsmem_tEENKUlT_SG_SH_SI_E_clIS7_S7_PlSB_EESF_SV_SG_SH_SI_EUlSV_E0_NS1_11comp_targetILNS1_3genE0ELNS1_11target_archE4294967295ELNS1_3gpuE0ELNS1_3repE0EEENS1_38merge_mergepath_config_static_selectorELNS0_4arch9wavefront6targetE1EEEvSH_.kd
    .uniform_work_group_size: 1
    .uses_dynamic_stack: false
    .vgpr_count:     0
    .vgpr_spill_count: 0
    .wavefront_size: 64
  - .agpr_count:     0
    .args:
      - .offset:         0
        .size:           64
        .value_kind:     by_value
    .group_segment_fixed_size: 0
    .kernarg_segment_align: 8
    .kernarg_segment_size: 64
    .language:       OpenCL C
    .language_version:
      - 2
      - 0
    .max_flat_workgroup_size: 128
    .name:           _ZN7rocprim17ROCPRIM_400000_NS6detail17trampoline_kernelINS0_14default_configENS1_38merge_sort_block_merge_config_selectorIalEEZZNS1_27merge_sort_block_merge_implIS3_PaN6thrust23THRUST_200600_302600_NS10device_ptrIlEEjNS1_19radix_merge_compareILb0ELb0EaNS0_19identity_decomposerEEEEE10hipError_tT0_T1_T2_jT3_P12ihipStream_tbPNSt15iterator_traitsISG_E10value_typeEPNSM_ISH_E10value_typeEPSI_NS1_7vsmem_tEENKUlT_SG_SH_SI_E_clIS7_S7_PlSB_EESF_SV_SG_SH_SI_EUlSV_E0_NS1_11comp_targetILNS1_3genE10ELNS1_11target_archE1201ELNS1_3gpuE5ELNS1_3repE0EEENS1_38merge_mergepath_config_static_selectorELNS0_4arch9wavefront6targetE1EEEvSH_
    .private_segment_fixed_size: 0
    .sgpr_count:     4
    .sgpr_spill_count: 0
    .symbol:         _ZN7rocprim17ROCPRIM_400000_NS6detail17trampoline_kernelINS0_14default_configENS1_38merge_sort_block_merge_config_selectorIalEEZZNS1_27merge_sort_block_merge_implIS3_PaN6thrust23THRUST_200600_302600_NS10device_ptrIlEEjNS1_19radix_merge_compareILb0ELb0EaNS0_19identity_decomposerEEEEE10hipError_tT0_T1_T2_jT3_P12ihipStream_tbPNSt15iterator_traitsISG_E10value_typeEPNSM_ISH_E10value_typeEPSI_NS1_7vsmem_tEENKUlT_SG_SH_SI_E_clIS7_S7_PlSB_EESF_SV_SG_SH_SI_EUlSV_E0_NS1_11comp_targetILNS1_3genE10ELNS1_11target_archE1201ELNS1_3gpuE5ELNS1_3repE0EEENS1_38merge_mergepath_config_static_selectorELNS0_4arch9wavefront6targetE1EEEvSH_.kd
    .uniform_work_group_size: 1
    .uses_dynamic_stack: false
    .vgpr_count:     0
    .vgpr_spill_count: 0
    .wavefront_size: 64
  - .agpr_count:     0
    .args:
      - .offset:         0
        .size:           64
        .value_kind:     by_value
    .group_segment_fixed_size: 0
    .kernarg_segment_align: 8
    .kernarg_segment_size: 64
    .language:       OpenCL C
    .language_version:
      - 2
      - 0
    .max_flat_workgroup_size: 128
    .name:           _ZN7rocprim17ROCPRIM_400000_NS6detail17trampoline_kernelINS0_14default_configENS1_38merge_sort_block_merge_config_selectorIalEEZZNS1_27merge_sort_block_merge_implIS3_PaN6thrust23THRUST_200600_302600_NS10device_ptrIlEEjNS1_19radix_merge_compareILb0ELb0EaNS0_19identity_decomposerEEEEE10hipError_tT0_T1_T2_jT3_P12ihipStream_tbPNSt15iterator_traitsISG_E10value_typeEPNSM_ISH_E10value_typeEPSI_NS1_7vsmem_tEENKUlT_SG_SH_SI_E_clIS7_S7_PlSB_EESF_SV_SG_SH_SI_EUlSV_E0_NS1_11comp_targetILNS1_3genE5ELNS1_11target_archE942ELNS1_3gpuE9ELNS1_3repE0EEENS1_38merge_mergepath_config_static_selectorELNS0_4arch9wavefront6targetE1EEEvSH_
    .private_segment_fixed_size: 0
    .sgpr_count:     4
    .sgpr_spill_count: 0
    .symbol:         _ZN7rocprim17ROCPRIM_400000_NS6detail17trampoline_kernelINS0_14default_configENS1_38merge_sort_block_merge_config_selectorIalEEZZNS1_27merge_sort_block_merge_implIS3_PaN6thrust23THRUST_200600_302600_NS10device_ptrIlEEjNS1_19radix_merge_compareILb0ELb0EaNS0_19identity_decomposerEEEEE10hipError_tT0_T1_T2_jT3_P12ihipStream_tbPNSt15iterator_traitsISG_E10value_typeEPNSM_ISH_E10value_typeEPSI_NS1_7vsmem_tEENKUlT_SG_SH_SI_E_clIS7_S7_PlSB_EESF_SV_SG_SH_SI_EUlSV_E0_NS1_11comp_targetILNS1_3genE5ELNS1_11target_archE942ELNS1_3gpuE9ELNS1_3repE0EEENS1_38merge_mergepath_config_static_selectorELNS0_4arch9wavefront6targetE1EEEvSH_.kd
    .uniform_work_group_size: 1
    .uses_dynamic_stack: false
    .vgpr_count:     0
    .vgpr_spill_count: 0
    .wavefront_size: 64
  - .agpr_count:     0
    .args:
      - .offset:         0
        .size:           64
        .value_kind:     by_value
      - .offset:         64
        .size:           4
        .value_kind:     hidden_block_count_x
      - .offset:         68
        .size:           4
        .value_kind:     hidden_block_count_y
      - .offset:         72
        .size:           4
        .value_kind:     hidden_block_count_z
      - .offset:         76
        .size:           2
        .value_kind:     hidden_group_size_x
      - .offset:         78
        .size:           2
        .value_kind:     hidden_group_size_y
      - .offset:         80
        .size:           2
        .value_kind:     hidden_group_size_z
      - .offset:         82
        .size:           2
        .value_kind:     hidden_remainder_x
      - .offset:         84
        .size:           2
        .value_kind:     hidden_remainder_y
      - .offset:         86
        .size:           2
        .value_kind:     hidden_remainder_z
      - .offset:         104
        .size:           8
        .value_kind:     hidden_global_offset_x
      - .offset:         112
        .size:           8
        .value_kind:     hidden_global_offset_y
      - .offset:         120
        .size:           8
        .value_kind:     hidden_global_offset_z
      - .offset:         128
        .size:           2
        .value_kind:     hidden_grid_dims
    .group_segment_fixed_size: 8448
    .kernarg_segment_align: 8
    .kernarg_segment_size: 320
    .language:       OpenCL C
    .language_version:
      - 2
      - 0
    .max_flat_workgroup_size: 256
    .name:           _ZN7rocprim17ROCPRIM_400000_NS6detail17trampoline_kernelINS0_14default_configENS1_38merge_sort_block_merge_config_selectorIalEEZZNS1_27merge_sort_block_merge_implIS3_PaN6thrust23THRUST_200600_302600_NS10device_ptrIlEEjNS1_19radix_merge_compareILb0ELb0EaNS0_19identity_decomposerEEEEE10hipError_tT0_T1_T2_jT3_P12ihipStream_tbPNSt15iterator_traitsISG_E10value_typeEPNSM_ISH_E10value_typeEPSI_NS1_7vsmem_tEENKUlT_SG_SH_SI_E_clIS7_S7_PlSB_EESF_SV_SG_SH_SI_EUlSV_E0_NS1_11comp_targetILNS1_3genE4ELNS1_11target_archE910ELNS1_3gpuE8ELNS1_3repE0EEENS1_38merge_mergepath_config_static_selectorELNS0_4arch9wavefront6targetE1EEEvSH_
    .private_segment_fixed_size: 0
    .sgpr_count:     36
    .sgpr_spill_count: 0
    .symbol:         _ZN7rocprim17ROCPRIM_400000_NS6detail17trampoline_kernelINS0_14default_configENS1_38merge_sort_block_merge_config_selectorIalEEZZNS1_27merge_sort_block_merge_implIS3_PaN6thrust23THRUST_200600_302600_NS10device_ptrIlEEjNS1_19radix_merge_compareILb0ELb0EaNS0_19identity_decomposerEEEEE10hipError_tT0_T1_T2_jT3_P12ihipStream_tbPNSt15iterator_traitsISG_E10value_typeEPNSM_ISH_E10value_typeEPSI_NS1_7vsmem_tEENKUlT_SG_SH_SI_E_clIS7_S7_PlSB_EESF_SV_SG_SH_SI_EUlSV_E0_NS1_11comp_targetILNS1_3genE4ELNS1_11target_archE910ELNS1_3gpuE8ELNS1_3repE0EEENS1_38merge_mergepath_config_static_selectorELNS0_4arch9wavefront6targetE1EEEvSH_.kd
    .uniform_work_group_size: 1
    .uses_dynamic_stack: false
    .vgpr_count:     36
    .vgpr_spill_count: 0
    .wavefront_size: 64
  - .agpr_count:     0
    .args:
      - .offset:         0
        .size:           64
        .value_kind:     by_value
    .group_segment_fixed_size: 0
    .kernarg_segment_align: 8
    .kernarg_segment_size: 64
    .language:       OpenCL C
    .language_version:
      - 2
      - 0
    .max_flat_workgroup_size: 512
    .name:           _ZN7rocprim17ROCPRIM_400000_NS6detail17trampoline_kernelINS0_14default_configENS1_38merge_sort_block_merge_config_selectorIalEEZZNS1_27merge_sort_block_merge_implIS3_PaN6thrust23THRUST_200600_302600_NS10device_ptrIlEEjNS1_19radix_merge_compareILb0ELb0EaNS0_19identity_decomposerEEEEE10hipError_tT0_T1_T2_jT3_P12ihipStream_tbPNSt15iterator_traitsISG_E10value_typeEPNSM_ISH_E10value_typeEPSI_NS1_7vsmem_tEENKUlT_SG_SH_SI_E_clIS7_S7_PlSB_EESF_SV_SG_SH_SI_EUlSV_E0_NS1_11comp_targetILNS1_3genE3ELNS1_11target_archE908ELNS1_3gpuE7ELNS1_3repE0EEENS1_38merge_mergepath_config_static_selectorELNS0_4arch9wavefront6targetE1EEEvSH_
    .private_segment_fixed_size: 0
    .sgpr_count:     4
    .sgpr_spill_count: 0
    .symbol:         _ZN7rocprim17ROCPRIM_400000_NS6detail17trampoline_kernelINS0_14default_configENS1_38merge_sort_block_merge_config_selectorIalEEZZNS1_27merge_sort_block_merge_implIS3_PaN6thrust23THRUST_200600_302600_NS10device_ptrIlEEjNS1_19radix_merge_compareILb0ELb0EaNS0_19identity_decomposerEEEEE10hipError_tT0_T1_T2_jT3_P12ihipStream_tbPNSt15iterator_traitsISG_E10value_typeEPNSM_ISH_E10value_typeEPSI_NS1_7vsmem_tEENKUlT_SG_SH_SI_E_clIS7_S7_PlSB_EESF_SV_SG_SH_SI_EUlSV_E0_NS1_11comp_targetILNS1_3genE3ELNS1_11target_archE908ELNS1_3gpuE7ELNS1_3repE0EEENS1_38merge_mergepath_config_static_selectorELNS0_4arch9wavefront6targetE1EEEvSH_.kd
    .uniform_work_group_size: 1
    .uses_dynamic_stack: false
    .vgpr_count:     0
    .vgpr_spill_count: 0
    .wavefront_size: 64
  - .agpr_count:     0
    .args:
      - .offset:         0
        .size:           64
        .value_kind:     by_value
    .group_segment_fixed_size: 0
    .kernarg_segment_align: 8
    .kernarg_segment_size: 64
    .language:       OpenCL C
    .language_version:
      - 2
      - 0
    .max_flat_workgroup_size: 256
    .name:           _ZN7rocprim17ROCPRIM_400000_NS6detail17trampoline_kernelINS0_14default_configENS1_38merge_sort_block_merge_config_selectorIalEEZZNS1_27merge_sort_block_merge_implIS3_PaN6thrust23THRUST_200600_302600_NS10device_ptrIlEEjNS1_19radix_merge_compareILb0ELb0EaNS0_19identity_decomposerEEEEE10hipError_tT0_T1_T2_jT3_P12ihipStream_tbPNSt15iterator_traitsISG_E10value_typeEPNSM_ISH_E10value_typeEPSI_NS1_7vsmem_tEENKUlT_SG_SH_SI_E_clIS7_S7_PlSB_EESF_SV_SG_SH_SI_EUlSV_E0_NS1_11comp_targetILNS1_3genE2ELNS1_11target_archE906ELNS1_3gpuE6ELNS1_3repE0EEENS1_38merge_mergepath_config_static_selectorELNS0_4arch9wavefront6targetE1EEEvSH_
    .private_segment_fixed_size: 0
    .sgpr_count:     4
    .sgpr_spill_count: 0
    .symbol:         _ZN7rocprim17ROCPRIM_400000_NS6detail17trampoline_kernelINS0_14default_configENS1_38merge_sort_block_merge_config_selectorIalEEZZNS1_27merge_sort_block_merge_implIS3_PaN6thrust23THRUST_200600_302600_NS10device_ptrIlEEjNS1_19radix_merge_compareILb0ELb0EaNS0_19identity_decomposerEEEEE10hipError_tT0_T1_T2_jT3_P12ihipStream_tbPNSt15iterator_traitsISG_E10value_typeEPNSM_ISH_E10value_typeEPSI_NS1_7vsmem_tEENKUlT_SG_SH_SI_E_clIS7_S7_PlSB_EESF_SV_SG_SH_SI_EUlSV_E0_NS1_11comp_targetILNS1_3genE2ELNS1_11target_archE906ELNS1_3gpuE6ELNS1_3repE0EEENS1_38merge_mergepath_config_static_selectorELNS0_4arch9wavefront6targetE1EEEvSH_.kd
    .uniform_work_group_size: 1
    .uses_dynamic_stack: false
    .vgpr_count:     0
    .vgpr_spill_count: 0
    .wavefront_size: 64
  - .agpr_count:     0
    .args:
      - .offset:         0
        .size:           64
        .value_kind:     by_value
    .group_segment_fixed_size: 0
    .kernarg_segment_align: 8
    .kernarg_segment_size: 64
    .language:       OpenCL C
    .language_version:
      - 2
      - 0
    .max_flat_workgroup_size: 512
    .name:           _ZN7rocprim17ROCPRIM_400000_NS6detail17trampoline_kernelINS0_14default_configENS1_38merge_sort_block_merge_config_selectorIalEEZZNS1_27merge_sort_block_merge_implIS3_PaN6thrust23THRUST_200600_302600_NS10device_ptrIlEEjNS1_19radix_merge_compareILb0ELb0EaNS0_19identity_decomposerEEEEE10hipError_tT0_T1_T2_jT3_P12ihipStream_tbPNSt15iterator_traitsISG_E10value_typeEPNSM_ISH_E10value_typeEPSI_NS1_7vsmem_tEENKUlT_SG_SH_SI_E_clIS7_S7_PlSB_EESF_SV_SG_SH_SI_EUlSV_E0_NS1_11comp_targetILNS1_3genE9ELNS1_11target_archE1100ELNS1_3gpuE3ELNS1_3repE0EEENS1_38merge_mergepath_config_static_selectorELNS0_4arch9wavefront6targetE1EEEvSH_
    .private_segment_fixed_size: 0
    .sgpr_count:     4
    .sgpr_spill_count: 0
    .symbol:         _ZN7rocprim17ROCPRIM_400000_NS6detail17trampoline_kernelINS0_14default_configENS1_38merge_sort_block_merge_config_selectorIalEEZZNS1_27merge_sort_block_merge_implIS3_PaN6thrust23THRUST_200600_302600_NS10device_ptrIlEEjNS1_19radix_merge_compareILb0ELb0EaNS0_19identity_decomposerEEEEE10hipError_tT0_T1_T2_jT3_P12ihipStream_tbPNSt15iterator_traitsISG_E10value_typeEPNSM_ISH_E10value_typeEPSI_NS1_7vsmem_tEENKUlT_SG_SH_SI_E_clIS7_S7_PlSB_EESF_SV_SG_SH_SI_EUlSV_E0_NS1_11comp_targetILNS1_3genE9ELNS1_11target_archE1100ELNS1_3gpuE3ELNS1_3repE0EEENS1_38merge_mergepath_config_static_selectorELNS0_4arch9wavefront6targetE1EEEvSH_.kd
    .uniform_work_group_size: 1
    .uses_dynamic_stack: false
    .vgpr_count:     0
    .vgpr_spill_count: 0
    .wavefront_size: 64
  - .agpr_count:     0
    .args:
      - .offset:         0
        .size:           64
        .value_kind:     by_value
    .group_segment_fixed_size: 0
    .kernarg_segment_align: 8
    .kernarg_segment_size: 64
    .language:       OpenCL C
    .language_version:
      - 2
      - 0
    .max_flat_workgroup_size: 1024
    .name:           _ZN7rocprim17ROCPRIM_400000_NS6detail17trampoline_kernelINS0_14default_configENS1_38merge_sort_block_merge_config_selectorIalEEZZNS1_27merge_sort_block_merge_implIS3_PaN6thrust23THRUST_200600_302600_NS10device_ptrIlEEjNS1_19radix_merge_compareILb0ELb0EaNS0_19identity_decomposerEEEEE10hipError_tT0_T1_T2_jT3_P12ihipStream_tbPNSt15iterator_traitsISG_E10value_typeEPNSM_ISH_E10value_typeEPSI_NS1_7vsmem_tEENKUlT_SG_SH_SI_E_clIS7_S7_PlSB_EESF_SV_SG_SH_SI_EUlSV_E0_NS1_11comp_targetILNS1_3genE8ELNS1_11target_archE1030ELNS1_3gpuE2ELNS1_3repE0EEENS1_38merge_mergepath_config_static_selectorELNS0_4arch9wavefront6targetE1EEEvSH_
    .private_segment_fixed_size: 0
    .sgpr_count:     4
    .sgpr_spill_count: 0
    .symbol:         _ZN7rocprim17ROCPRIM_400000_NS6detail17trampoline_kernelINS0_14default_configENS1_38merge_sort_block_merge_config_selectorIalEEZZNS1_27merge_sort_block_merge_implIS3_PaN6thrust23THRUST_200600_302600_NS10device_ptrIlEEjNS1_19radix_merge_compareILb0ELb0EaNS0_19identity_decomposerEEEEE10hipError_tT0_T1_T2_jT3_P12ihipStream_tbPNSt15iterator_traitsISG_E10value_typeEPNSM_ISH_E10value_typeEPSI_NS1_7vsmem_tEENKUlT_SG_SH_SI_E_clIS7_S7_PlSB_EESF_SV_SG_SH_SI_EUlSV_E0_NS1_11comp_targetILNS1_3genE8ELNS1_11target_archE1030ELNS1_3gpuE2ELNS1_3repE0EEENS1_38merge_mergepath_config_static_selectorELNS0_4arch9wavefront6targetE1EEEvSH_.kd
    .uniform_work_group_size: 1
    .uses_dynamic_stack: false
    .vgpr_count:     0
    .vgpr_spill_count: 0
    .wavefront_size: 64
  - .agpr_count:     0
    .args:
      - .offset:         0
        .size:           48
        .value_kind:     by_value
    .group_segment_fixed_size: 0
    .kernarg_segment_align: 8
    .kernarg_segment_size: 48
    .language:       OpenCL C
    .language_version:
      - 2
      - 0
    .max_flat_workgroup_size: 256
    .name:           _ZN7rocprim17ROCPRIM_400000_NS6detail17trampoline_kernelINS0_14default_configENS1_38merge_sort_block_merge_config_selectorIalEEZZNS1_27merge_sort_block_merge_implIS3_PaN6thrust23THRUST_200600_302600_NS10device_ptrIlEEjNS1_19radix_merge_compareILb0ELb0EaNS0_19identity_decomposerEEEEE10hipError_tT0_T1_T2_jT3_P12ihipStream_tbPNSt15iterator_traitsISG_E10value_typeEPNSM_ISH_E10value_typeEPSI_NS1_7vsmem_tEENKUlT_SG_SH_SI_E_clIS7_S7_PlSB_EESF_SV_SG_SH_SI_EUlSV_E1_NS1_11comp_targetILNS1_3genE0ELNS1_11target_archE4294967295ELNS1_3gpuE0ELNS1_3repE0EEENS1_36merge_oddeven_config_static_selectorELNS0_4arch9wavefront6targetE1EEEvSH_
    .private_segment_fixed_size: 0
    .sgpr_count:     4
    .sgpr_spill_count: 0
    .symbol:         _ZN7rocprim17ROCPRIM_400000_NS6detail17trampoline_kernelINS0_14default_configENS1_38merge_sort_block_merge_config_selectorIalEEZZNS1_27merge_sort_block_merge_implIS3_PaN6thrust23THRUST_200600_302600_NS10device_ptrIlEEjNS1_19radix_merge_compareILb0ELb0EaNS0_19identity_decomposerEEEEE10hipError_tT0_T1_T2_jT3_P12ihipStream_tbPNSt15iterator_traitsISG_E10value_typeEPNSM_ISH_E10value_typeEPSI_NS1_7vsmem_tEENKUlT_SG_SH_SI_E_clIS7_S7_PlSB_EESF_SV_SG_SH_SI_EUlSV_E1_NS1_11comp_targetILNS1_3genE0ELNS1_11target_archE4294967295ELNS1_3gpuE0ELNS1_3repE0EEENS1_36merge_oddeven_config_static_selectorELNS0_4arch9wavefront6targetE1EEEvSH_.kd
    .uniform_work_group_size: 1
    .uses_dynamic_stack: false
    .vgpr_count:     0
    .vgpr_spill_count: 0
    .wavefront_size: 64
  - .agpr_count:     0
    .args:
      - .offset:         0
        .size:           48
        .value_kind:     by_value
    .group_segment_fixed_size: 0
    .kernarg_segment_align: 8
    .kernarg_segment_size: 48
    .language:       OpenCL C
    .language_version:
      - 2
      - 0
    .max_flat_workgroup_size: 256
    .name:           _ZN7rocprim17ROCPRIM_400000_NS6detail17trampoline_kernelINS0_14default_configENS1_38merge_sort_block_merge_config_selectorIalEEZZNS1_27merge_sort_block_merge_implIS3_PaN6thrust23THRUST_200600_302600_NS10device_ptrIlEEjNS1_19radix_merge_compareILb0ELb0EaNS0_19identity_decomposerEEEEE10hipError_tT0_T1_T2_jT3_P12ihipStream_tbPNSt15iterator_traitsISG_E10value_typeEPNSM_ISH_E10value_typeEPSI_NS1_7vsmem_tEENKUlT_SG_SH_SI_E_clIS7_S7_PlSB_EESF_SV_SG_SH_SI_EUlSV_E1_NS1_11comp_targetILNS1_3genE10ELNS1_11target_archE1201ELNS1_3gpuE5ELNS1_3repE0EEENS1_36merge_oddeven_config_static_selectorELNS0_4arch9wavefront6targetE1EEEvSH_
    .private_segment_fixed_size: 0
    .sgpr_count:     4
    .sgpr_spill_count: 0
    .symbol:         _ZN7rocprim17ROCPRIM_400000_NS6detail17trampoline_kernelINS0_14default_configENS1_38merge_sort_block_merge_config_selectorIalEEZZNS1_27merge_sort_block_merge_implIS3_PaN6thrust23THRUST_200600_302600_NS10device_ptrIlEEjNS1_19radix_merge_compareILb0ELb0EaNS0_19identity_decomposerEEEEE10hipError_tT0_T1_T2_jT3_P12ihipStream_tbPNSt15iterator_traitsISG_E10value_typeEPNSM_ISH_E10value_typeEPSI_NS1_7vsmem_tEENKUlT_SG_SH_SI_E_clIS7_S7_PlSB_EESF_SV_SG_SH_SI_EUlSV_E1_NS1_11comp_targetILNS1_3genE10ELNS1_11target_archE1201ELNS1_3gpuE5ELNS1_3repE0EEENS1_36merge_oddeven_config_static_selectorELNS0_4arch9wavefront6targetE1EEEvSH_.kd
    .uniform_work_group_size: 1
    .uses_dynamic_stack: false
    .vgpr_count:     0
    .vgpr_spill_count: 0
    .wavefront_size: 64
  - .agpr_count:     0
    .args:
      - .offset:         0
        .size:           48
        .value_kind:     by_value
    .group_segment_fixed_size: 0
    .kernarg_segment_align: 8
    .kernarg_segment_size: 48
    .language:       OpenCL C
    .language_version:
      - 2
      - 0
    .max_flat_workgroup_size: 256
    .name:           _ZN7rocprim17ROCPRIM_400000_NS6detail17trampoline_kernelINS0_14default_configENS1_38merge_sort_block_merge_config_selectorIalEEZZNS1_27merge_sort_block_merge_implIS3_PaN6thrust23THRUST_200600_302600_NS10device_ptrIlEEjNS1_19radix_merge_compareILb0ELb0EaNS0_19identity_decomposerEEEEE10hipError_tT0_T1_T2_jT3_P12ihipStream_tbPNSt15iterator_traitsISG_E10value_typeEPNSM_ISH_E10value_typeEPSI_NS1_7vsmem_tEENKUlT_SG_SH_SI_E_clIS7_S7_PlSB_EESF_SV_SG_SH_SI_EUlSV_E1_NS1_11comp_targetILNS1_3genE5ELNS1_11target_archE942ELNS1_3gpuE9ELNS1_3repE0EEENS1_36merge_oddeven_config_static_selectorELNS0_4arch9wavefront6targetE1EEEvSH_
    .private_segment_fixed_size: 0
    .sgpr_count:     4
    .sgpr_spill_count: 0
    .symbol:         _ZN7rocprim17ROCPRIM_400000_NS6detail17trampoline_kernelINS0_14default_configENS1_38merge_sort_block_merge_config_selectorIalEEZZNS1_27merge_sort_block_merge_implIS3_PaN6thrust23THRUST_200600_302600_NS10device_ptrIlEEjNS1_19radix_merge_compareILb0ELb0EaNS0_19identity_decomposerEEEEE10hipError_tT0_T1_T2_jT3_P12ihipStream_tbPNSt15iterator_traitsISG_E10value_typeEPNSM_ISH_E10value_typeEPSI_NS1_7vsmem_tEENKUlT_SG_SH_SI_E_clIS7_S7_PlSB_EESF_SV_SG_SH_SI_EUlSV_E1_NS1_11comp_targetILNS1_3genE5ELNS1_11target_archE942ELNS1_3gpuE9ELNS1_3repE0EEENS1_36merge_oddeven_config_static_selectorELNS0_4arch9wavefront6targetE1EEEvSH_.kd
    .uniform_work_group_size: 1
    .uses_dynamic_stack: false
    .vgpr_count:     0
    .vgpr_spill_count: 0
    .wavefront_size: 64
  - .agpr_count:     0
    .args:
      - .offset:         0
        .size:           48
        .value_kind:     by_value
    .group_segment_fixed_size: 0
    .kernarg_segment_align: 8
    .kernarg_segment_size: 48
    .language:       OpenCL C
    .language_version:
      - 2
      - 0
    .max_flat_workgroup_size: 256
    .name:           _ZN7rocprim17ROCPRIM_400000_NS6detail17trampoline_kernelINS0_14default_configENS1_38merge_sort_block_merge_config_selectorIalEEZZNS1_27merge_sort_block_merge_implIS3_PaN6thrust23THRUST_200600_302600_NS10device_ptrIlEEjNS1_19radix_merge_compareILb0ELb0EaNS0_19identity_decomposerEEEEE10hipError_tT0_T1_T2_jT3_P12ihipStream_tbPNSt15iterator_traitsISG_E10value_typeEPNSM_ISH_E10value_typeEPSI_NS1_7vsmem_tEENKUlT_SG_SH_SI_E_clIS7_S7_PlSB_EESF_SV_SG_SH_SI_EUlSV_E1_NS1_11comp_targetILNS1_3genE4ELNS1_11target_archE910ELNS1_3gpuE8ELNS1_3repE0EEENS1_36merge_oddeven_config_static_selectorELNS0_4arch9wavefront6targetE1EEEvSH_
    .private_segment_fixed_size: 0
    .sgpr_count:     28
    .sgpr_spill_count: 0
    .symbol:         _ZN7rocprim17ROCPRIM_400000_NS6detail17trampoline_kernelINS0_14default_configENS1_38merge_sort_block_merge_config_selectorIalEEZZNS1_27merge_sort_block_merge_implIS3_PaN6thrust23THRUST_200600_302600_NS10device_ptrIlEEjNS1_19radix_merge_compareILb0ELb0EaNS0_19identity_decomposerEEEEE10hipError_tT0_T1_T2_jT3_P12ihipStream_tbPNSt15iterator_traitsISG_E10value_typeEPNSM_ISH_E10value_typeEPSI_NS1_7vsmem_tEENKUlT_SG_SH_SI_E_clIS7_S7_PlSB_EESF_SV_SG_SH_SI_EUlSV_E1_NS1_11comp_targetILNS1_3genE4ELNS1_11target_archE910ELNS1_3gpuE8ELNS1_3repE0EEENS1_36merge_oddeven_config_static_selectorELNS0_4arch9wavefront6targetE1EEEvSH_.kd
    .uniform_work_group_size: 1
    .uses_dynamic_stack: false
    .vgpr_count:     10
    .vgpr_spill_count: 0
    .wavefront_size: 64
  - .agpr_count:     0
    .args:
      - .offset:         0
        .size:           48
        .value_kind:     by_value
    .group_segment_fixed_size: 0
    .kernarg_segment_align: 8
    .kernarg_segment_size: 48
    .language:       OpenCL C
    .language_version:
      - 2
      - 0
    .max_flat_workgroup_size: 256
    .name:           _ZN7rocprim17ROCPRIM_400000_NS6detail17trampoline_kernelINS0_14default_configENS1_38merge_sort_block_merge_config_selectorIalEEZZNS1_27merge_sort_block_merge_implIS3_PaN6thrust23THRUST_200600_302600_NS10device_ptrIlEEjNS1_19radix_merge_compareILb0ELb0EaNS0_19identity_decomposerEEEEE10hipError_tT0_T1_T2_jT3_P12ihipStream_tbPNSt15iterator_traitsISG_E10value_typeEPNSM_ISH_E10value_typeEPSI_NS1_7vsmem_tEENKUlT_SG_SH_SI_E_clIS7_S7_PlSB_EESF_SV_SG_SH_SI_EUlSV_E1_NS1_11comp_targetILNS1_3genE3ELNS1_11target_archE908ELNS1_3gpuE7ELNS1_3repE0EEENS1_36merge_oddeven_config_static_selectorELNS0_4arch9wavefront6targetE1EEEvSH_
    .private_segment_fixed_size: 0
    .sgpr_count:     4
    .sgpr_spill_count: 0
    .symbol:         _ZN7rocprim17ROCPRIM_400000_NS6detail17trampoline_kernelINS0_14default_configENS1_38merge_sort_block_merge_config_selectorIalEEZZNS1_27merge_sort_block_merge_implIS3_PaN6thrust23THRUST_200600_302600_NS10device_ptrIlEEjNS1_19radix_merge_compareILb0ELb0EaNS0_19identity_decomposerEEEEE10hipError_tT0_T1_T2_jT3_P12ihipStream_tbPNSt15iterator_traitsISG_E10value_typeEPNSM_ISH_E10value_typeEPSI_NS1_7vsmem_tEENKUlT_SG_SH_SI_E_clIS7_S7_PlSB_EESF_SV_SG_SH_SI_EUlSV_E1_NS1_11comp_targetILNS1_3genE3ELNS1_11target_archE908ELNS1_3gpuE7ELNS1_3repE0EEENS1_36merge_oddeven_config_static_selectorELNS0_4arch9wavefront6targetE1EEEvSH_.kd
    .uniform_work_group_size: 1
    .uses_dynamic_stack: false
    .vgpr_count:     0
    .vgpr_spill_count: 0
    .wavefront_size: 64
  - .agpr_count:     0
    .args:
      - .offset:         0
        .size:           48
        .value_kind:     by_value
    .group_segment_fixed_size: 0
    .kernarg_segment_align: 8
    .kernarg_segment_size: 48
    .language:       OpenCL C
    .language_version:
      - 2
      - 0
    .max_flat_workgroup_size: 256
    .name:           _ZN7rocprim17ROCPRIM_400000_NS6detail17trampoline_kernelINS0_14default_configENS1_38merge_sort_block_merge_config_selectorIalEEZZNS1_27merge_sort_block_merge_implIS3_PaN6thrust23THRUST_200600_302600_NS10device_ptrIlEEjNS1_19radix_merge_compareILb0ELb0EaNS0_19identity_decomposerEEEEE10hipError_tT0_T1_T2_jT3_P12ihipStream_tbPNSt15iterator_traitsISG_E10value_typeEPNSM_ISH_E10value_typeEPSI_NS1_7vsmem_tEENKUlT_SG_SH_SI_E_clIS7_S7_PlSB_EESF_SV_SG_SH_SI_EUlSV_E1_NS1_11comp_targetILNS1_3genE2ELNS1_11target_archE906ELNS1_3gpuE6ELNS1_3repE0EEENS1_36merge_oddeven_config_static_selectorELNS0_4arch9wavefront6targetE1EEEvSH_
    .private_segment_fixed_size: 0
    .sgpr_count:     4
    .sgpr_spill_count: 0
    .symbol:         _ZN7rocprim17ROCPRIM_400000_NS6detail17trampoline_kernelINS0_14default_configENS1_38merge_sort_block_merge_config_selectorIalEEZZNS1_27merge_sort_block_merge_implIS3_PaN6thrust23THRUST_200600_302600_NS10device_ptrIlEEjNS1_19radix_merge_compareILb0ELb0EaNS0_19identity_decomposerEEEEE10hipError_tT0_T1_T2_jT3_P12ihipStream_tbPNSt15iterator_traitsISG_E10value_typeEPNSM_ISH_E10value_typeEPSI_NS1_7vsmem_tEENKUlT_SG_SH_SI_E_clIS7_S7_PlSB_EESF_SV_SG_SH_SI_EUlSV_E1_NS1_11comp_targetILNS1_3genE2ELNS1_11target_archE906ELNS1_3gpuE6ELNS1_3repE0EEENS1_36merge_oddeven_config_static_selectorELNS0_4arch9wavefront6targetE1EEEvSH_.kd
    .uniform_work_group_size: 1
    .uses_dynamic_stack: false
    .vgpr_count:     0
    .vgpr_spill_count: 0
    .wavefront_size: 64
  - .agpr_count:     0
    .args:
      - .offset:         0
        .size:           48
        .value_kind:     by_value
    .group_segment_fixed_size: 0
    .kernarg_segment_align: 8
    .kernarg_segment_size: 48
    .language:       OpenCL C
    .language_version:
      - 2
      - 0
    .max_flat_workgroup_size: 256
    .name:           _ZN7rocprim17ROCPRIM_400000_NS6detail17trampoline_kernelINS0_14default_configENS1_38merge_sort_block_merge_config_selectorIalEEZZNS1_27merge_sort_block_merge_implIS3_PaN6thrust23THRUST_200600_302600_NS10device_ptrIlEEjNS1_19radix_merge_compareILb0ELb0EaNS0_19identity_decomposerEEEEE10hipError_tT0_T1_T2_jT3_P12ihipStream_tbPNSt15iterator_traitsISG_E10value_typeEPNSM_ISH_E10value_typeEPSI_NS1_7vsmem_tEENKUlT_SG_SH_SI_E_clIS7_S7_PlSB_EESF_SV_SG_SH_SI_EUlSV_E1_NS1_11comp_targetILNS1_3genE9ELNS1_11target_archE1100ELNS1_3gpuE3ELNS1_3repE0EEENS1_36merge_oddeven_config_static_selectorELNS0_4arch9wavefront6targetE1EEEvSH_
    .private_segment_fixed_size: 0
    .sgpr_count:     4
    .sgpr_spill_count: 0
    .symbol:         _ZN7rocprim17ROCPRIM_400000_NS6detail17trampoline_kernelINS0_14default_configENS1_38merge_sort_block_merge_config_selectorIalEEZZNS1_27merge_sort_block_merge_implIS3_PaN6thrust23THRUST_200600_302600_NS10device_ptrIlEEjNS1_19radix_merge_compareILb0ELb0EaNS0_19identity_decomposerEEEEE10hipError_tT0_T1_T2_jT3_P12ihipStream_tbPNSt15iterator_traitsISG_E10value_typeEPNSM_ISH_E10value_typeEPSI_NS1_7vsmem_tEENKUlT_SG_SH_SI_E_clIS7_S7_PlSB_EESF_SV_SG_SH_SI_EUlSV_E1_NS1_11comp_targetILNS1_3genE9ELNS1_11target_archE1100ELNS1_3gpuE3ELNS1_3repE0EEENS1_36merge_oddeven_config_static_selectorELNS0_4arch9wavefront6targetE1EEEvSH_.kd
    .uniform_work_group_size: 1
    .uses_dynamic_stack: false
    .vgpr_count:     0
    .vgpr_spill_count: 0
    .wavefront_size: 64
  - .agpr_count:     0
    .args:
      - .offset:         0
        .size:           48
        .value_kind:     by_value
    .group_segment_fixed_size: 0
    .kernarg_segment_align: 8
    .kernarg_segment_size: 48
    .language:       OpenCL C
    .language_version:
      - 2
      - 0
    .max_flat_workgroup_size: 256
    .name:           _ZN7rocprim17ROCPRIM_400000_NS6detail17trampoline_kernelINS0_14default_configENS1_38merge_sort_block_merge_config_selectorIalEEZZNS1_27merge_sort_block_merge_implIS3_PaN6thrust23THRUST_200600_302600_NS10device_ptrIlEEjNS1_19radix_merge_compareILb0ELb0EaNS0_19identity_decomposerEEEEE10hipError_tT0_T1_T2_jT3_P12ihipStream_tbPNSt15iterator_traitsISG_E10value_typeEPNSM_ISH_E10value_typeEPSI_NS1_7vsmem_tEENKUlT_SG_SH_SI_E_clIS7_S7_PlSB_EESF_SV_SG_SH_SI_EUlSV_E1_NS1_11comp_targetILNS1_3genE8ELNS1_11target_archE1030ELNS1_3gpuE2ELNS1_3repE0EEENS1_36merge_oddeven_config_static_selectorELNS0_4arch9wavefront6targetE1EEEvSH_
    .private_segment_fixed_size: 0
    .sgpr_count:     4
    .sgpr_spill_count: 0
    .symbol:         _ZN7rocprim17ROCPRIM_400000_NS6detail17trampoline_kernelINS0_14default_configENS1_38merge_sort_block_merge_config_selectorIalEEZZNS1_27merge_sort_block_merge_implIS3_PaN6thrust23THRUST_200600_302600_NS10device_ptrIlEEjNS1_19radix_merge_compareILb0ELb0EaNS0_19identity_decomposerEEEEE10hipError_tT0_T1_T2_jT3_P12ihipStream_tbPNSt15iterator_traitsISG_E10value_typeEPNSM_ISH_E10value_typeEPSI_NS1_7vsmem_tEENKUlT_SG_SH_SI_E_clIS7_S7_PlSB_EESF_SV_SG_SH_SI_EUlSV_E1_NS1_11comp_targetILNS1_3genE8ELNS1_11target_archE1030ELNS1_3gpuE2ELNS1_3repE0EEENS1_36merge_oddeven_config_static_selectorELNS0_4arch9wavefront6targetE1EEEvSH_.kd
    .uniform_work_group_size: 1
    .uses_dynamic_stack: false
    .vgpr_count:     0
    .vgpr_spill_count: 0
    .wavefront_size: 64
  - .agpr_count:     0
    .args:
      - .offset:         0
        .size:           40
        .value_kind:     by_value
    .group_segment_fixed_size: 0
    .kernarg_segment_align: 8
    .kernarg_segment_size: 40
    .language:       OpenCL C
    .language_version:
      - 2
      - 0
    .max_flat_workgroup_size: 128
    .name:           _ZN7rocprim17ROCPRIM_400000_NS6detail17trampoline_kernelINS0_14default_configENS1_38merge_sort_block_merge_config_selectorIalEEZZNS1_27merge_sort_block_merge_implIS3_PaN6thrust23THRUST_200600_302600_NS10device_ptrIlEEjNS1_19radix_merge_compareILb0ELb0EaNS0_19identity_decomposerEEEEE10hipError_tT0_T1_T2_jT3_P12ihipStream_tbPNSt15iterator_traitsISG_E10value_typeEPNSM_ISH_E10value_typeEPSI_NS1_7vsmem_tEENKUlT_SG_SH_SI_E_clIS7_S7_SB_PlEESF_SV_SG_SH_SI_EUlSV_E_NS1_11comp_targetILNS1_3genE0ELNS1_11target_archE4294967295ELNS1_3gpuE0ELNS1_3repE0EEENS1_48merge_mergepath_partition_config_static_selectorELNS0_4arch9wavefront6targetE1EEEvSH_
    .private_segment_fixed_size: 0
    .sgpr_count:     4
    .sgpr_spill_count: 0
    .symbol:         _ZN7rocprim17ROCPRIM_400000_NS6detail17trampoline_kernelINS0_14default_configENS1_38merge_sort_block_merge_config_selectorIalEEZZNS1_27merge_sort_block_merge_implIS3_PaN6thrust23THRUST_200600_302600_NS10device_ptrIlEEjNS1_19radix_merge_compareILb0ELb0EaNS0_19identity_decomposerEEEEE10hipError_tT0_T1_T2_jT3_P12ihipStream_tbPNSt15iterator_traitsISG_E10value_typeEPNSM_ISH_E10value_typeEPSI_NS1_7vsmem_tEENKUlT_SG_SH_SI_E_clIS7_S7_SB_PlEESF_SV_SG_SH_SI_EUlSV_E_NS1_11comp_targetILNS1_3genE0ELNS1_11target_archE4294967295ELNS1_3gpuE0ELNS1_3repE0EEENS1_48merge_mergepath_partition_config_static_selectorELNS0_4arch9wavefront6targetE1EEEvSH_.kd
    .uniform_work_group_size: 1
    .uses_dynamic_stack: false
    .vgpr_count:     0
    .vgpr_spill_count: 0
    .wavefront_size: 64
  - .agpr_count:     0
    .args:
      - .offset:         0
        .size:           40
        .value_kind:     by_value
    .group_segment_fixed_size: 0
    .kernarg_segment_align: 8
    .kernarg_segment_size: 40
    .language:       OpenCL C
    .language_version:
      - 2
      - 0
    .max_flat_workgroup_size: 128
    .name:           _ZN7rocprim17ROCPRIM_400000_NS6detail17trampoline_kernelINS0_14default_configENS1_38merge_sort_block_merge_config_selectorIalEEZZNS1_27merge_sort_block_merge_implIS3_PaN6thrust23THRUST_200600_302600_NS10device_ptrIlEEjNS1_19radix_merge_compareILb0ELb0EaNS0_19identity_decomposerEEEEE10hipError_tT0_T1_T2_jT3_P12ihipStream_tbPNSt15iterator_traitsISG_E10value_typeEPNSM_ISH_E10value_typeEPSI_NS1_7vsmem_tEENKUlT_SG_SH_SI_E_clIS7_S7_SB_PlEESF_SV_SG_SH_SI_EUlSV_E_NS1_11comp_targetILNS1_3genE10ELNS1_11target_archE1201ELNS1_3gpuE5ELNS1_3repE0EEENS1_48merge_mergepath_partition_config_static_selectorELNS0_4arch9wavefront6targetE1EEEvSH_
    .private_segment_fixed_size: 0
    .sgpr_count:     4
    .sgpr_spill_count: 0
    .symbol:         _ZN7rocprim17ROCPRIM_400000_NS6detail17trampoline_kernelINS0_14default_configENS1_38merge_sort_block_merge_config_selectorIalEEZZNS1_27merge_sort_block_merge_implIS3_PaN6thrust23THRUST_200600_302600_NS10device_ptrIlEEjNS1_19radix_merge_compareILb0ELb0EaNS0_19identity_decomposerEEEEE10hipError_tT0_T1_T2_jT3_P12ihipStream_tbPNSt15iterator_traitsISG_E10value_typeEPNSM_ISH_E10value_typeEPSI_NS1_7vsmem_tEENKUlT_SG_SH_SI_E_clIS7_S7_SB_PlEESF_SV_SG_SH_SI_EUlSV_E_NS1_11comp_targetILNS1_3genE10ELNS1_11target_archE1201ELNS1_3gpuE5ELNS1_3repE0EEENS1_48merge_mergepath_partition_config_static_selectorELNS0_4arch9wavefront6targetE1EEEvSH_.kd
    .uniform_work_group_size: 1
    .uses_dynamic_stack: false
    .vgpr_count:     0
    .vgpr_spill_count: 0
    .wavefront_size: 64
  - .agpr_count:     0
    .args:
      - .offset:         0
        .size:           40
        .value_kind:     by_value
    .group_segment_fixed_size: 0
    .kernarg_segment_align: 8
    .kernarg_segment_size: 40
    .language:       OpenCL C
    .language_version:
      - 2
      - 0
    .max_flat_workgroup_size: 128
    .name:           _ZN7rocprim17ROCPRIM_400000_NS6detail17trampoline_kernelINS0_14default_configENS1_38merge_sort_block_merge_config_selectorIalEEZZNS1_27merge_sort_block_merge_implIS3_PaN6thrust23THRUST_200600_302600_NS10device_ptrIlEEjNS1_19radix_merge_compareILb0ELb0EaNS0_19identity_decomposerEEEEE10hipError_tT0_T1_T2_jT3_P12ihipStream_tbPNSt15iterator_traitsISG_E10value_typeEPNSM_ISH_E10value_typeEPSI_NS1_7vsmem_tEENKUlT_SG_SH_SI_E_clIS7_S7_SB_PlEESF_SV_SG_SH_SI_EUlSV_E_NS1_11comp_targetILNS1_3genE5ELNS1_11target_archE942ELNS1_3gpuE9ELNS1_3repE0EEENS1_48merge_mergepath_partition_config_static_selectorELNS0_4arch9wavefront6targetE1EEEvSH_
    .private_segment_fixed_size: 0
    .sgpr_count:     4
    .sgpr_spill_count: 0
    .symbol:         _ZN7rocprim17ROCPRIM_400000_NS6detail17trampoline_kernelINS0_14default_configENS1_38merge_sort_block_merge_config_selectorIalEEZZNS1_27merge_sort_block_merge_implIS3_PaN6thrust23THRUST_200600_302600_NS10device_ptrIlEEjNS1_19radix_merge_compareILb0ELb0EaNS0_19identity_decomposerEEEEE10hipError_tT0_T1_T2_jT3_P12ihipStream_tbPNSt15iterator_traitsISG_E10value_typeEPNSM_ISH_E10value_typeEPSI_NS1_7vsmem_tEENKUlT_SG_SH_SI_E_clIS7_S7_SB_PlEESF_SV_SG_SH_SI_EUlSV_E_NS1_11comp_targetILNS1_3genE5ELNS1_11target_archE942ELNS1_3gpuE9ELNS1_3repE0EEENS1_48merge_mergepath_partition_config_static_selectorELNS0_4arch9wavefront6targetE1EEEvSH_.kd
    .uniform_work_group_size: 1
    .uses_dynamic_stack: false
    .vgpr_count:     0
    .vgpr_spill_count: 0
    .wavefront_size: 64
  - .agpr_count:     0
    .args:
      - .offset:         0
        .size:           40
        .value_kind:     by_value
    .group_segment_fixed_size: 0
    .kernarg_segment_align: 8
    .kernarg_segment_size: 40
    .language:       OpenCL C
    .language_version:
      - 2
      - 0
    .max_flat_workgroup_size: 128
    .name:           _ZN7rocprim17ROCPRIM_400000_NS6detail17trampoline_kernelINS0_14default_configENS1_38merge_sort_block_merge_config_selectorIalEEZZNS1_27merge_sort_block_merge_implIS3_PaN6thrust23THRUST_200600_302600_NS10device_ptrIlEEjNS1_19radix_merge_compareILb0ELb0EaNS0_19identity_decomposerEEEEE10hipError_tT0_T1_T2_jT3_P12ihipStream_tbPNSt15iterator_traitsISG_E10value_typeEPNSM_ISH_E10value_typeEPSI_NS1_7vsmem_tEENKUlT_SG_SH_SI_E_clIS7_S7_SB_PlEESF_SV_SG_SH_SI_EUlSV_E_NS1_11comp_targetILNS1_3genE4ELNS1_11target_archE910ELNS1_3gpuE8ELNS1_3repE0EEENS1_48merge_mergepath_partition_config_static_selectorELNS0_4arch9wavefront6targetE1EEEvSH_
    .private_segment_fixed_size: 0
    .sgpr_count:     12
    .sgpr_spill_count: 0
    .symbol:         _ZN7rocprim17ROCPRIM_400000_NS6detail17trampoline_kernelINS0_14default_configENS1_38merge_sort_block_merge_config_selectorIalEEZZNS1_27merge_sort_block_merge_implIS3_PaN6thrust23THRUST_200600_302600_NS10device_ptrIlEEjNS1_19radix_merge_compareILb0ELb0EaNS0_19identity_decomposerEEEEE10hipError_tT0_T1_T2_jT3_P12ihipStream_tbPNSt15iterator_traitsISG_E10value_typeEPNSM_ISH_E10value_typeEPSI_NS1_7vsmem_tEENKUlT_SG_SH_SI_E_clIS7_S7_SB_PlEESF_SV_SG_SH_SI_EUlSV_E_NS1_11comp_targetILNS1_3genE4ELNS1_11target_archE910ELNS1_3gpuE8ELNS1_3repE0EEENS1_48merge_mergepath_partition_config_static_selectorELNS0_4arch9wavefront6targetE1EEEvSH_.kd
    .uniform_work_group_size: 1
    .uses_dynamic_stack: false
    .vgpr_count:     16
    .vgpr_spill_count: 0
    .wavefront_size: 64
  - .agpr_count:     0
    .args:
      - .offset:         0
        .size:           40
        .value_kind:     by_value
    .group_segment_fixed_size: 0
    .kernarg_segment_align: 8
    .kernarg_segment_size: 40
    .language:       OpenCL C
    .language_version:
      - 2
      - 0
    .max_flat_workgroup_size: 128
    .name:           _ZN7rocprim17ROCPRIM_400000_NS6detail17trampoline_kernelINS0_14default_configENS1_38merge_sort_block_merge_config_selectorIalEEZZNS1_27merge_sort_block_merge_implIS3_PaN6thrust23THRUST_200600_302600_NS10device_ptrIlEEjNS1_19radix_merge_compareILb0ELb0EaNS0_19identity_decomposerEEEEE10hipError_tT0_T1_T2_jT3_P12ihipStream_tbPNSt15iterator_traitsISG_E10value_typeEPNSM_ISH_E10value_typeEPSI_NS1_7vsmem_tEENKUlT_SG_SH_SI_E_clIS7_S7_SB_PlEESF_SV_SG_SH_SI_EUlSV_E_NS1_11comp_targetILNS1_3genE3ELNS1_11target_archE908ELNS1_3gpuE7ELNS1_3repE0EEENS1_48merge_mergepath_partition_config_static_selectorELNS0_4arch9wavefront6targetE1EEEvSH_
    .private_segment_fixed_size: 0
    .sgpr_count:     4
    .sgpr_spill_count: 0
    .symbol:         _ZN7rocprim17ROCPRIM_400000_NS6detail17trampoline_kernelINS0_14default_configENS1_38merge_sort_block_merge_config_selectorIalEEZZNS1_27merge_sort_block_merge_implIS3_PaN6thrust23THRUST_200600_302600_NS10device_ptrIlEEjNS1_19radix_merge_compareILb0ELb0EaNS0_19identity_decomposerEEEEE10hipError_tT0_T1_T2_jT3_P12ihipStream_tbPNSt15iterator_traitsISG_E10value_typeEPNSM_ISH_E10value_typeEPSI_NS1_7vsmem_tEENKUlT_SG_SH_SI_E_clIS7_S7_SB_PlEESF_SV_SG_SH_SI_EUlSV_E_NS1_11comp_targetILNS1_3genE3ELNS1_11target_archE908ELNS1_3gpuE7ELNS1_3repE0EEENS1_48merge_mergepath_partition_config_static_selectorELNS0_4arch9wavefront6targetE1EEEvSH_.kd
    .uniform_work_group_size: 1
    .uses_dynamic_stack: false
    .vgpr_count:     0
    .vgpr_spill_count: 0
    .wavefront_size: 64
  - .agpr_count:     0
    .args:
      - .offset:         0
        .size:           40
        .value_kind:     by_value
    .group_segment_fixed_size: 0
    .kernarg_segment_align: 8
    .kernarg_segment_size: 40
    .language:       OpenCL C
    .language_version:
      - 2
      - 0
    .max_flat_workgroup_size: 128
    .name:           _ZN7rocprim17ROCPRIM_400000_NS6detail17trampoline_kernelINS0_14default_configENS1_38merge_sort_block_merge_config_selectorIalEEZZNS1_27merge_sort_block_merge_implIS3_PaN6thrust23THRUST_200600_302600_NS10device_ptrIlEEjNS1_19radix_merge_compareILb0ELb0EaNS0_19identity_decomposerEEEEE10hipError_tT0_T1_T2_jT3_P12ihipStream_tbPNSt15iterator_traitsISG_E10value_typeEPNSM_ISH_E10value_typeEPSI_NS1_7vsmem_tEENKUlT_SG_SH_SI_E_clIS7_S7_SB_PlEESF_SV_SG_SH_SI_EUlSV_E_NS1_11comp_targetILNS1_3genE2ELNS1_11target_archE906ELNS1_3gpuE6ELNS1_3repE0EEENS1_48merge_mergepath_partition_config_static_selectorELNS0_4arch9wavefront6targetE1EEEvSH_
    .private_segment_fixed_size: 0
    .sgpr_count:     4
    .sgpr_spill_count: 0
    .symbol:         _ZN7rocprim17ROCPRIM_400000_NS6detail17trampoline_kernelINS0_14default_configENS1_38merge_sort_block_merge_config_selectorIalEEZZNS1_27merge_sort_block_merge_implIS3_PaN6thrust23THRUST_200600_302600_NS10device_ptrIlEEjNS1_19radix_merge_compareILb0ELb0EaNS0_19identity_decomposerEEEEE10hipError_tT0_T1_T2_jT3_P12ihipStream_tbPNSt15iterator_traitsISG_E10value_typeEPNSM_ISH_E10value_typeEPSI_NS1_7vsmem_tEENKUlT_SG_SH_SI_E_clIS7_S7_SB_PlEESF_SV_SG_SH_SI_EUlSV_E_NS1_11comp_targetILNS1_3genE2ELNS1_11target_archE906ELNS1_3gpuE6ELNS1_3repE0EEENS1_48merge_mergepath_partition_config_static_selectorELNS0_4arch9wavefront6targetE1EEEvSH_.kd
    .uniform_work_group_size: 1
    .uses_dynamic_stack: false
    .vgpr_count:     0
    .vgpr_spill_count: 0
    .wavefront_size: 64
  - .agpr_count:     0
    .args:
      - .offset:         0
        .size:           40
        .value_kind:     by_value
    .group_segment_fixed_size: 0
    .kernarg_segment_align: 8
    .kernarg_segment_size: 40
    .language:       OpenCL C
    .language_version:
      - 2
      - 0
    .max_flat_workgroup_size: 128
    .name:           _ZN7rocprim17ROCPRIM_400000_NS6detail17trampoline_kernelINS0_14default_configENS1_38merge_sort_block_merge_config_selectorIalEEZZNS1_27merge_sort_block_merge_implIS3_PaN6thrust23THRUST_200600_302600_NS10device_ptrIlEEjNS1_19radix_merge_compareILb0ELb0EaNS0_19identity_decomposerEEEEE10hipError_tT0_T1_T2_jT3_P12ihipStream_tbPNSt15iterator_traitsISG_E10value_typeEPNSM_ISH_E10value_typeEPSI_NS1_7vsmem_tEENKUlT_SG_SH_SI_E_clIS7_S7_SB_PlEESF_SV_SG_SH_SI_EUlSV_E_NS1_11comp_targetILNS1_3genE9ELNS1_11target_archE1100ELNS1_3gpuE3ELNS1_3repE0EEENS1_48merge_mergepath_partition_config_static_selectorELNS0_4arch9wavefront6targetE1EEEvSH_
    .private_segment_fixed_size: 0
    .sgpr_count:     4
    .sgpr_spill_count: 0
    .symbol:         _ZN7rocprim17ROCPRIM_400000_NS6detail17trampoline_kernelINS0_14default_configENS1_38merge_sort_block_merge_config_selectorIalEEZZNS1_27merge_sort_block_merge_implIS3_PaN6thrust23THRUST_200600_302600_NS10device_ptrIlEEjNS1_19radix_merge_compareILb0ELb0EaNS0_19identity_decomposerEEEEE10hipError_tT0_T1_T2_jT3_P12ihipStream_tbPNSt15iterator_traitsISG_E10value_typeEPNSM_ISH_E10value_typeEPSI_NS1_7vsmem_tEENKUlT_SG_SH_SI_E_clIS7_S7_SB_PlEESF_SV_SG_SH_SI_EUlSV_E_NS1_11comp_targetILNS1_3genE9ELNS1_11target_archE1100ELNS1_3gpuE3ELNS1_3repE0EEENS1_48merge_mergepath_partition_config_static_selectorELNS0_4arch9wavefront6targetE1EEEvSH_.kd
    .uniform_work_group_size: 1
    .uses_dynamic_stack: false
    .vgpr_count:     0
    .vgpr_spill_count: 0
    .wavefront_size: 64
  - .agpr_count:     0
    .args:
      - .offset:         0
        .size:           40
        .value_kind:     by_value
    .group_segment_fixed_size: 0
    .kernarg_segment_align: 8
    .kernarg_segment_size: 40
    .language:       OpenCL C
    .language_version:
      - 2
      - 0
    .max_flat_workgroup_size: 128
    .name:           _ZN7rocprim17ROCPRIM_400000_NS6detail17trampoline_kernelINS0_14default_configENS1_38merge_sort_block_merge_config_selectorIalEEZZNS1_27merge_sort_block_merge_implIS3_PaN6thrust23THRUST_200600_302600_NS10device_ptrIlEEjNS1_19radix_merge_compareILb0ELb0EaNS0_19identity_decomposerEEEEE10hipError_tT0_T1_T2_jT3_P12ihipStream_tbPNSt15iterator_traitsISG_E10value_typeEPNSM_ISH_E10value_typeEPSI_NS1_7vsmem_tEENKUlT_SG_SH_SI_E_clIS7_S7_SB_PlEESF_SV_SG_SH_SI_EUlSV_E_NS1_11comp_targetILNS1_3genE8ELNS1_11target_archE1030ELNS1_3gpuE2ELNS1_3repE0EEENS1_48merge_mergepath_partition_config_static_selectorELNS0_4arch9wavefront6targetE1EEEvSH_
    .private_segment_fixed_size: 0
    .sgpr_count:     4
    .sgpr_spill_count: 0
    .symbol:         _ZN7rocprim17ROCPRIM_400000_NS6detail17trampoline_kernelINS0_14default_configENS1_38merge_sort_block_merge_config_selectorIalEEZZNS1_27merge_sort_block_merge_implIS3_PaN6thrust23THRUST_200600_302600_NS10device_ptrIlEEjNS1_19radix_merge_compareILb0ELb0EaNS0_19identity_decomposerEEEEE10hipError_tT0_T1_T2_jT3_P12ihipStream_tbPNSt15iterator_traitsISG_E10value_typeEPNSM_ISH_E10value_typeEPSI_NS1_7vsmem_tEENKUlT_SG_SH_SI_E_clIS7_S7_SB_PlEESF_SV_SG_SH_SI_EUlSV_E_NS1_11comp_targetILNS1_3genE8ELNS1_11target_archE1030ELNS1_3gpuE2ELNS1_3repE0EEENS1_48merge_mergepath_partition_config_static_selectorELNS0_4arch9wavefront6targetE1EEEvSH_.kd
    .uniform_work_group_size: 1
    .uses_dynamic_stack: false
    .vgpr_count:     0
    .vgpr_spill_count: 0
    .wavefront_size: 64
  - .agpr_count:     0
    .args:
      - .offset:         0
        .size:           64
        .value_kind:     by_value
    .group_segment_fixed_size: 0
    .kernarg_segment_align: 8
    .kernarg_segment_size: 64
    .language:       OpenCL C
    .language_version:
      - 2
      - 0
    .max_flat_workgroup_size: 512
    .name:           _ZN7rocprim17ROCPRIM_400000_NS6detail17trampoline_kernelINS0_14default_configENS1_38merge_sort_block_merge_config_selectorIalEEZZNS1_27merge_sort_block_merge_implIS3_PaN6thrust23THRUST_200600_302600_NS10device_ptrIlEEjNS1_19radix_merge_compareILb0ELb0EaNS0_19identity_decomposerEEEEE10hipError_tT0_T1_T2_jT3_P12ihipStream_tbPNSt15iterator_traitsISG_E10value_typeEPNSM_ISH_E10value_typeEPSI_NS1_7vsmem_tEENKUlT_SG_SH_SI_E_clIS7_S7_SB_PlEESF_SV_SG_SH_SI_EUlSV_E0_NS1_11comp_targetILNS1_3genE0ELNS1_11target_archE4294967295ELNS1_3gpuE0ELNS1_3repE0EEENS1_38merge_mergepath_config_static_selectorELNS0_4arch9wavefront6targetE1EEEvSH_
    .private_segment_fixed_size: 0
    .sgpr_count:     4
    .sgpr_spill_count: 0
    .symbol:         _ZN7rocprim17ROCPRIM_400000_NS6detail17trampoline_kernelINS0_14default_configENS1_38merge_sort_block_merge_config_selectorIalEEZZNS1_27merge_sort_block_merge_implIS3_PaN6thrust23THRUST_200600_302600_NS10device_ptrIlEEjNS1_19radix_merge_compareILb0ELb0EaNS0_19identity_decomposerEEEEE10hipError_tT0_T1_T2_jT3_P12ihipStream_tbPNSt15iterator_traitsISG_E10value_typeEPNSM_ISH_E10value_typeEPSI_NS1_7vsmem_tEENKUlT_SG_SH_SI_E_clIS7_S7_SB_PlEESF_SV_SG_SH_SI_EUlSV_E0_NS1_11comp_targetILNS1_3genE0ELNS1_11target_archE4294967295ELNS1_3gpuE0ELNS1_3repE0EEENS1_38merge_mergepath_config_static_selectorELNS0_4arch9wavefront6targetE1EEEvSH_.kd
    .uniform_work_group_size: 1
    .uses_dynamic_stack: false
    .vgpr_count:     0
    .vgpr_spill_count: 0
    .wavefront_size: 64
  - .agpr_count:     0
    .args:
      - .offset:         0
        .size:           64
        .value_kind:     by_value
    .group_segment_fixed_size: 0
    .kernarg_segment_align: 8
    .kernarg_segment_size: 64
    .language:       OpenCL C
    .language_version:
      - 2
      - 0
    .max_flat_workgroup_size: 128
    .name:           _ZN7rocprim17ROCPRIM_400000_NS6detail17trampoline_kernelINS0_14default_configENS1_38merge_sort_block_merge_config_selectorIalEEZZNS1_27merge_sort_block_merge_implIS3_PaN6thrust23THRUST_200600_302600_NS10device_ptrIlEEjNS1_19radix_merge_compareILb0ELb0EaNS0_19identity_decomposerEEEEE10hipError_tT0_T1_T2_jT3_P12ihipStream_tbPNSt15iterator_traitsISG_E10value_typeEPNSM_ISH_E10value_typeEPSI_NS1_7vsmem_tEENKUlT_SG_SH_SI_E_clIS7_S7_SB_PlEESF_SV_SG_SH_SI_EUlSV_E0_NS1_11comp_targetILNS1_3genE10ELNS1_11target_archE1201ELNS1_3gpuE5ELNS1_3repE0EEENS1_38merge_mergepath_config_static_selectorELNS0_4arch9wavefront6targetE1EEEvSH_
    .private_segment_fixed_size: 0
    .sgpr_count:     4
    .sgpr_spill_count: 0
    .symbol:         _ZN7rocprim17ROCPRIM_400000_NS6detail17trampoline_kernelINS0_14default_configENS1_38merge_sort_block_merge_config_selectorIalEEZZNS1_27merge_sort_block_merge_implIS3_PaN6thrust23THRUST_200600_302600_NS10device_ptrIlEEjNS1_19radix_merge_compareILb0ELb0EaNS0_19identity_decomposerEEEEE10hipError_tT0_T1_T2_jT3_P12ihipStream_tbPNSt15iterator_traitsISG_E10value_typeEPNSM_ISH_E10value_typeEPSI_NS1_7vsmem_tEENKUlT_SG_SH_SI_E_clIS7_S7_SB_PlEESF_SV_SG_SH_SI_EUlSV_E0_NS1_11comp_targetILNS1_3genE10ELNS1_11target_archE1201ELNS1_3gpuE5ELNS1_3repE0EEENS1_38merge_mergepath_config_static_selectorELNS0_4arch9wavefront6targetE1EEEvSH_.kd
    .uniform_work_group_size: 1
    .uses_dynamic_stack: false
    .vgpr_count:     0
    .vgpr_spill_count: 0
    .wavefront_size: 64
  - .agpr_count:     0
    .args:
      - .offset:         0
        .size:           64
        .value_kind:     by_value
    .group_segment_fixed_size: 0
    .kernarg_segment_align: 8
    .kernarg_segment_size: 64
    .language:       OpenCL C
    .language_version:
      - 2
      - 0
    .max_flat_workgroup_size: 128
    .name:           _ZN7rocprim17ROCPRIM_400000_NS6detail17trampoline_kernelINS0_14default_configENS1_38merge_sort_block_merge_config_selectorIalEEZZNS1_27merge_sort_block_merge_implIS3_PaN6thrust23THRUST_200600_302600_NS10device_ptrIlEEjNS1_19radix_merge_compareILb0ELb0EaNS0_19identity_decomposerEEEEE10hipError_tT0_T1_T2_jT3_P12ihipStream_tbPNSt15iterator_traitsISG_E10value_typeEPNSM_ISH_E10value_typeEPSI_NS1_7vsmem_tEENKUlT_SG_SH_SI_E_clIS7_S7_SB_PlEESF_SV_SG_SH_SI_EUlSV_E0_NS1_11comp_targetILNS1_3genE5ELNS1_11target_archE942ELNS1_3gpuE9ELNS1_3repE0EEENS1_38merge_mergepath_config_static_selectorELNS0_4arch9wavefront6targetE1EEEvSH_
    .private_segment_fixed_size: 0
    .sgpr_count:     4
    .sgpr_spill_count: 0
    .symbol:         _ZN7rocprim17ROCPRIM_400000_NS6detail17trampoline_kernelINS0_14default_configENS1_38merge_sort_block_merge_config_selectorIalEEZZNS1_27merge_sort_block_merge_implIS3_PaN6thrust23THRUST_200600_302600_NS10device_ptrIlEEjNS1_19radix_merge_compareILb0ELb0EaNS0_19identity_decomposerEEEEE10hipError_tT0_T1_T2_jT3_P12ihipStream_tbPNSt15iterator_traitsISG_E10value_typeEPNSM_ISH_E10value_typeEPSI_NS1_7vsmem_tEENKUlT_SG_SH_SI_E_clIS7_S7_SB_PlEESF_SV_SG_SH_SI_EUlSV_E0_NS1_11comp_targetILNS1_3genE5ELNS1_11target_archE942ELNS1_3gpuE9ELNS1_3repE0EEENS1_38merge_mergepath_config_static_selectorELNS0_4arch9wavefront6targetE1EEEvSH_.kd
    .uniform_work_group_size: 1
    .uses_dynamic_stack: false
    .vgpr_count:     0
    .vgpr_spill_count: 0
    .wavefront_size: 64
  - .agpr_count:     0
    .args:
      - .offset:         0
        .size:           64
        .value_kind:     by_value
      - .offset:         64
        .size:           4
        .value_kind:     hidden_block_count_x
      - .offset:         68
        .size:           4
        .value_kind:     hidden_block_count_y
      - .offset:         72
        .size:           4
        .value_kind:     hidden_block_count_z
      - .offset:         76
        .size:           2
        .value_kind:     hidden_group_size_x
      - .offset:         78
        .size:           2
        .value_kind:     hidden_group_size_y
      - .offset:         80
        .size:           2
        .value_kind:     hidden_group_size_z
      - .offset:         82
        .size:           2
        .value_kind:     hidden_remainder_x
      - .offset:         84
        .size:           2
        .value_kind:     hidden_remainder_y
      - .offset:         86
        .size:           2
        .value_kind:     hidden_remainder_z
      - .offset:         104
        .size:           8
        .value_kind:     hidden_global_offset_x
      - .offset:         112
        .size:           8
        .value_kind:     hidden_global_offset_y
      - .offset:         120
        .size:           8
        .value_kind:     hidden_global_offset_z
      - .offset:         128
        .size:           2
        .value_kind:     hidden_grid_dims
    .group_segment_fixed_size: 8448
    .kernarg_segment_align: 8
    .kernarg_segment_size: 320
    .language:       OpenCL C
    .language_version:
      - 2
      - 0
    .max_flat_workgroup_size: 256
    .name:           _ZN7rocprim17ROCPRIM_400000_NS6detail17trampoline_kernelINS0_14default_configENS1_38merge_sort_block_merge_config_selectorIalEEZZNS1_27merge_sort_block_merge_implIS3_PaN6thrust23THRUST_200600_302600_NS10device_ptrIlEEjNS1_19radix_merge_compareILb0ELb0EaNS0_19identity_decomposerEEEEE10hipError_tT0_T1_T2_jT3_P12ihipStream_tbPNSt15iterator_traitsISG_E10value_typeEPNSM_ISH_E10value_typeEPSI_NS1_7vsmem_tEENKUlT_SG_SH_SI_E_clIS7_S7_SB_PlEESF_SV_SG_SH_SI_EUlSV_E0_NS1_11comp_targetILNS1_3genE4ELNS1_11target_archE910ELNS1_3gpuE8ELNS1_3repE0EEENS1_38merge_mergepath_config_static_selectorELNS0_4arch9wavefront6targetE1EEEvSH_
    .private_segment_fixed_size: 0
    .sgpr_count:     36
    .sgpr_spill_count: 0
    .symbol:         _ZN7rocprim17ROCPRIM_400000_NS6detail17trampoline_kernelINS0_14default_configENS1_38merge_sort_block_merge_config_selectorIalEEZZNS1_27merge_sort_block_merge_implIS3_PaN6thrust23THRUST_200600_302600_NS10device_ptrIlEEjNS1_19radix_merge_compareILb0ELb0EaNS0_19identity_decomposerEEEEE10hipError_tT0_T1_T2_jT3_P12ihipStream_tbPNSt15iterator_traitsISG_E10value_typeEPNSM_ISH_E10value_typeEPSI_NS1_7vsmem_tEENKUlT_SG_SH_SI_E_clIS7_S7_SB_PlEESF_SV_SG_SH_SI_EUlSV_E0_NS1_11comp_targetILNS1_3genE4ELNS1_11target_archE910ELNS1_3gpuE8ELNS1_3repE0EEENS1_38merge_mergepath_config_static_selectorELNS0_4arch9wavefront6targetE1EEEvSH_.kd
    .uniform_work_group_size: 1
    .uses_dynamic_stack: false
    .vgpr_count:     36
    .vgpr_spill_count: 0
    .wavefront_size: 64
  - .agpr_count:     0
    .args:
      - .offset:         0
        .size:           64
        .value_kind:     by_value
    .group_segment_fixed_size: 0
    .kernarg_segment_align: 8
    .kernarg_segment_size: 64
    .language:       OpenCL C
    .language_version:
      - 2
      - 0
    .max_flat_workgroup_size: 512
    .name:           _ZN7rocprim17ROCPRIM_400000_NS6detail17trampoline_kernelINS0_14default_configENS1_38merge_sort_block_merge_config_selectorIalEEZZNS1_27merge_sort_block_merge_implIS3_PaN6thrust23THRUST_200600_302600_NS10device_ptrIlEEjNS1_19radix_merge_compareILb0ELb0EaNS0_19identity_decomposerEEEEE10hipError_tT0_T1_T2_jT3_P12ihipStream_tbPNSt15iterator_traitsISG_E10value_typeEPNSM_ISH_E10value_typeEPSI_NS1_7vsmem_tEENKUlT_SG_SH_SI_E_clIS7_S7_SB_PlEESF_SV_SG_SH_SI_EUlSV_E0_NS1_11comp_targetILNS1_3genE3ELNS1_11target_archE908ELNS1_3gpuE7ELNS1_3repE0EEENS1_38merge_mergepath_config_static_selectorELNS0_4arch9wavefront6targetE1EEEvSH_
    .private_segment_fixed_size: 0
    .sgpr_count:     4
    .sgpr_spill_count: 0
    .symbol:         _ZN7rocprim17ROCPRIM_400000_NS6detail17trampoline_kernelINS0_14default_configENS1_38merge_sort_block_merge_config_selectorIalEEZZNS1_27merge_sort_block_merge_implIS3_PaN6thrust23THRUST_200600_302600_NS10device_ptrIlEEjNS1_19radix_merge_compareILb0ELb0EaNS0_19identity_decomposerEEEEE10hipError_tT0_T1_T2_jT3_P12ihipStream_tbPNSt15iterator_traitsISG_E10value_typeEPNSM_ISH_E10value_typeEPSI_NS1_7vsmem_tEENKUlT_SG_SH_SI_E_clIS7_S7_SB_PlEESF_SV_SG_SH_SI_EUlSV_E0_NS1_11comp_targetILNS1_3genE3ELNS1_11target_archE908ELNS1_3gpuE7ELNS1_3repE0EEENS1_38merge_mergepath_config_static_selectorELNS0_4arch9wavefront6targetE1EEEvSH_.kd
    .uniform_work_group_size: 1
    .uses_dynamic_stack: false
    .vgpr_count:     0
    .vgpr_spill_count: 0
    .wavefront_size: 64
  - .agpr_count:     0
    .args:
      - .offset:         0
        .size:           64
        .value_kind:     by_value
    .group_segment_fixed_size: 0
    .kernarg_segment_align: 8
    .kernarg_segment_size: 64
    .language:       OpenCL C
    .language_version:
      - 2
      - 0
    .max_flat_workgroup_size: 256
    .name:           _ZN7rocprim17ROCPRIM_400000_NS6detail17trampoline_kernelINS0_14default_configENS1_38merge_sort_block_merge_config_selectorIalEEZZNS1_27merge_sort_block_merge_implIS3_PaN6thrust23THRUST_200600_302600_NS10device_ptrIlEEjNS1_19radix_merge_compareILb0ELb0EaNS0_19identity_decomposerEEEEE10hipError_tT0_T1_T2_jT3_P12ihipStream_tbPNSt15iterator_traitsISG_E10value_typeEPNSM_ISH_E10value_typeEPSI_NS1_7vsmem_tEENKUlT_SG_SH_SI_E_clIS7_S7_SB_PlEESF_SV_SG_SH_SI_EUlSV_E0_NS1_11comp_targetILNS1_3genE2ELNS1_11target_archE906ELNS1_3gpuE6ELNS1_3repE0EEENS1_38merge_mergepath_config_static_selectorELNS0_4arch9wavefront6targetE1EEEvSH_
    .private_segment_fixed_size: 0
    .sgpr_count:     4
    .sgpr_spill_count: 0
    .symbol:         _ZN7rocprim17ROCPRIM_400000_NS6detail17trampoline_kernelINS0_14default_configENS1_38merge_sort_block_merge_config_selectorIalEEZZNS1_27merge_sort_block_merge_implIS3_PaN6thrust23THRUST_200600_302600_NS10device_ptrIlEEjNS1_19radix_merge_compareILb0ELb0EaNS0_19identity_decomposerEEEEE10hipError_tT0_T1_T2_jT3_P12ihipStream_tbPNSt15iterator_traitsISG_E10value_typeEPNSM_ISH_E10value_typeEPSI_NS1_7vsmem_tEENKUlT_SG_SH_SI_E_clIS7_S7_SB_PlEESF_SV_SG_SH_SI_EUlSV_E0_NS1_11comp_targetILNS1_3genE2ELNS1_11target_archE906ELNS1_3gpuE6ELNS1_3repE0EEENS1_38merge_mergepath_config_static_selectorELNS0_4arch9wavefront6targetE1EEEvSH_.kd
    .uniform_work_group_size: 1
    .uses_dynamic_stack: false
    .vgpr_count:     0
    .vgpr_spill_count: 0
    .wavefront_size: 64
  - .agpr_count:     0
    .args:
      - .offset:         0
        .size:           64
        .value_kind:     by_value
    .group_segment_fixed_size: 0
    .kernarg_segment_align: 8
    .kernarg_segment_size: 64
    .language:       OpenCL C
    .language_version:
      - 2
      - 0
    .max_flat_workgroup_size: 512
    .name:           _ZN7rocprim17ROCPRIM_400000_NS6detail17trampoline_kernelINS0_14default_configENS1_38merge_sort_block_merge_config_selectorIalEEZZNS1_27merge_sort_block_merge_implIS3_PaN6thrust23THRUST_200600_302600_NS10device_ptrIlEEjNS1_19radix_merge_compareILb0ELb0EaNS0_19identity_decomposerEEEEE10hipError_tT0_T1_T2_jT3_P12ihipStream_tbPNSt15iterator_traitsISG_E10value_typeEPNSM_ISH_E10value_typeEPSI_NS1_7vsmem_tEENKUlT_SG_SH_SI_E_clIS7_S7_SB_PlEESF_SV_SG_SH_SI_EUlSV_E0_NS1_11comp_targetILNS1_3genE9ELNS1_11target_archE1100ELNS1_3gpuE3ELNS1_3repE0EEENS1_38merge_mergepath_config_static_selectorELNS0_4arch9wavefront6targetE1EEEvSH_
    .private_segment_fixed_size: 0
    .sgpr_count:     4
    .sgpr_spill_count: 0
    .symbol:         _ZN7rocprim17ROCPRIM_400000_NS6detail17trampoline_kernelINS0_14default_configENS1_38merge_sort_block_merge_config_selectorIalEEZZNS1_27merge_sort_block_merge_implIS3_PaN6thrust23THRUST_200600_302600_NS10device_ptrIlEEjNS1_19radix_merge_compareILb0ELb0EaNS0_19identity_decomposerEEEEE10hipError_tT0_T1_T2_jT3_P12ihipStream_tbPNSt15iterator_traitsISG_E10value_typeEPNSM_ISH_E10value_typeEPSI_NS1_7vsmem_tEENKUlT_SG_SH_SI_E_clIS7_S7_SB_PlEESF_SV_SG_SH_SI_EUlSV_E0_NS1_11comp_targetILNS1_3genE9ELNS1_11target_archE1100ELNS1_3gpuE3ELNS1_3repE0EEENS1_38merge_mergepath_config_static_selectorELNS0_4arch9wavefront6targetE1EEEvSH_.kd
    .uniform_work_group_size: 1
    .uses_dynamic_stack: false
    .vgpr_count:     0
    .vgpr_spill_count: 0
    .wavefront_size: 64
  - .agpr_count:     0
    .args:
      - .offset:         0
        .size:           64
        .value_kind:     by_value
    .group_segment_fixed_size: 0
    .kernarg_segment_align: 8
    .kernarg_segment_size: 64
    .language:       OpenCL C
    .language_version:
      - 2
      - 0
    .max_flat_workgroup_size: 1024
    .name:           _ZN7rocprim17ROCPRIM_400000_NS6detail17trampoline_kernelINS0_14default_configENS1_38merge_sort_block_merge_config_selectorIalEEZZNS1_27merge_sort_block_merge_implIS3_PaN6thrust23THRUST_200600_302600_NS10device_ptrIlEEjNS1_19radix_merge_compareILb0ELb0EaNS0_19identity_decomposerEEEEE10hipError_tT0_T1_T2_jT3_P12ihipStream_tbPNSt15iterator_traitsISG_E10value_typeEPNSM_ISH_E10value_typeEPSI_NS1_7vsmem_tEENKUlT_SG_SH_SI_E_clIS7_S7_SB_PlEESF_SV_SG_SH_SI_EUlSV_E0_NS1_11comp_targetILNS1_3genE8ELNS1_11target_archE1030ELNS1_3gpuE2ELNS1_3repE0EEENS1_38merge_mergepath_config_static_selectorELNS0_4arch9wavefront6targetE1EEEvSH_
    .private_segment_fixed_size: 0
    .sgpr_count:     4
    .sgpr_spill_count: 0
    .symbol:         _ZN7rocprim17ROCPRIM_400000_NS6detail17trampoline_kernelINS0_14default_configENS1_38merge_sort_block_merge_config_selectorIalEEZZNS1_27merge_sort_block_merge_implIS3_PaN6thrust23THRUST_200600_302600_NS10device_ptrIlEEjNS1_19radix_merge_compareILb0ELb0EaNS0_19identity_decomposerEEEEE10hipError_tT0_T1_T2_jT3_P12ihipStream_tbPNSt15iterator_traitsISG_E10value_typeEPNSM_ISH_E10value_typeEPSI_NS1_7vsmem_tEENKUlT_SG_SH_SI_E_clIS7_S7_SB_PlEESF_SV_SG_SH_SI_EUlSV_E0_NS1_11comp_targetILNS1_3genE8ELNS1_11target_archE1030ELNS1_3gpuE2ELNS1_3repE0EEENS1_38merge_mergepath_config_static_selectorELNS0_4arch9wavefront6targetE1EEEvSH_.kd
    .uniform_work_group_size: 1
    .uses_dynamic_stack: false
    .vgpr_count:     0
    .vgpr_spill_count: 0
    .wavefront_size: 64
  - .agpr_count:     0
    .args:
      - .offset:         0
        .size:           48
        .value_kind:     by_value
    .group_segment_fixed_size: 0
    .kernarg_segment_align: 8
    .kernarg_segment_size: 48
    .language:       OpenCL C
    .language_version:
      - 2
      - 0
    .max_flat_workgroup_size: 256
    .name:           _ZN7rocprim17ROCPRIM_400000_NS6detail17trampoline_kernelINS0_14default_configENS1_38merge_sort_block_merge_config_selectorIalEEZZNS1_27merge_sort_block_merge_implIS3_PaN6thrust23THRUST_200600_302600_NS10device_ptrIlEEjNS1_19radix_merge_compareILb0ELb0EaNS0_19identity_decomposerEEEEE10hipError_tT0_T1_T2_jT3_P12ihipStream_tbPNSt15iterator_traitsISG_E10value_typeEPNSM_ISH_E10value_typeEPSI_NS1_7vsmem_tEENKUlT_SG_SH_SI_E_clIS7_S7_SB_PlEESF_SV_SG_SH_SI_EUlSV_E1_NS1_11comp_targetILNS1_3genE0ELNS1_11target_archE4294967295ELNS1_3gpuE0ELNS1_3repE0EEENS1_36merge_oddeven_config_static_selectorELNS0_4arch9wavefront6targetE1EEEvSH_
    .private_segment_fixed_size: 0
    .sgpr_count:     4
    .sgpr_spill_count: 0
    .symbol:         _ZN7rocprim17ROCPRIM_400000_NS6detail17trampoline_kernelINS0_14default_configENS1_38merge_sort_block_merge_config_selectorIalEEZZNS1_27merge_sort_block_merge_implIS3_PaN6thrust23THRUST_200600_302600_NS10device_ptrIlEEjNS1_19radix_merge_compareILb0ELb0EaNS0_19identity_decomposerEEEEE10hipError_tT0_T1_T2_jT3_P12ihipStream_tbPNSt15iterator_traitsISG_E10value_typeEPNSM_ISH_E10value_typeEPSI_NS1_7vsmem_tEENKUlT_SG_SH_SI_E_clIS7_S7_SB_PlEESF_SV_SG_SH_SI_EUlSV_E1_NS1_11comp_targetILNS1_3genE0ELNS1_11target_archE4294967295ELNS1_3gpuE0ELNS1_3repE0EEENS1_36merge_oddeven_config_static_selectorELNS0_4arch9wavefront6targetE1EEEvSH_.kd
    .uniform_work_group_size: 1
    .uses_dynamic_stack: false
    .vgpr_count:     0
    .vgpr_spill_count: 0
    .wavefront_size: 64
  - .agpr_count:     0
    .args:
      - .offset:         0
        .size:           48
        .value_kind:     by_value
    .group_segment_fixed_size: 0
    .kernarg_segment_align: 8
    .kernarg_segment_size: 48
    .language:       OpenCL C
    .language_version:
      - 2
      - 0
    .max_flat_workgroup_size: 256
    .name:           _ZN7rocprim17ROCPRIM_400000_NS6detail17trampoline_kernelINS0_14default_configENS1_38merge_sort_block_merge_config_selectorIalEEZZNS1_27merge_sort_block_merge_implIS3_PaN6thrust23THRUST_200600_302600_NS10device_ptrIlEEjNS1_19radix_merge_compareILb0ELb0EaNS0_19identity_decomposerEEEEE10hipError_tT0_T1_T2_jT3_P12ihipStream_tbPNSt15iterator_traitsISG_E10value_typeEPNSM_ISH_E10value_typeEPSI_NS1_7vsmem_tEENKUlT_SG_SH_SI_E_clIS7_S7_SB_PlEESF_SV_SG_SH_SI_EUlSV_E1_NS1_11comp_targetILNS1_3genE10ELNS1_11target_archE1201ELNS1_3gpuE5ELNS1_3repE0EEENS1_36merge_oddeven_config_static_selectorELNS0_4arch9wavefront6targetE1EEEvSH_
    .private_segment_fixed_size: 0
    .sgpr_count:     4
    .sgpr_spill_count: 0
    .symbol:         _ZN7rocprim17ROCPRIM_400000_NS6detail17trampoline_kernelINS0_14default_configENS1_38merge_sort_block_merge_config_selectorIalEEZZNS1_27merge_sort_block_merge_implIS3_PaN6thrust23THRUST_200600_302600_NS10device_ptrIlEEjNS1_19radix_merge_compareILb0ELb0EaNS0_19identity_decomposerEEEEE10hipError_tT0_T1_T2_jT3_P12ihipStream_tbPNSt15iterator_traitsISG_E10value_typeEPNSM_ISH_E10value_typeEPSI_NS1_7vsmem_tEENKUlT_SG_SH_SI_E_clIS7_S7_SB_PlEESF_SV_SG_SH_SI_EUlSV_E1_NS1_11comp_targetILNS1_3genE10ELNS1_11target_archE1201ELNS1_3gpuE5ELNS1_3repE0EEENS1_36merge_oddeven_config_static_selectorELNS0_4arch9wavefront6targetE1EEEvSH_.kd
    .uniform_work_group_size: 1
    .uses_dynamic_stack: false
    .vgpr_count:     0
    .vgpr_spill_count: 0
    .wavefront_size: 64
  - .agpr_count:     0
    .args:
      - .offset:         0
        .size:           48
        .value_kind:     by_value
    .group_segment_fixed_size: 0
    .kernarg_segment_align: 8
    .kernarg_segment_size: 48
    .language:       OpenCL C
    .language_version:
      - 2
      - 0
    .max_flat_workgroup_size: 256
    .name:           _ZN7rocprim17ROCPRIM_400000_NS6detail17trampoline_kernelINS0_14default_configENS1_38merge_sort_block_merge_config_selectorIalEEZZNS1_27merge_sort_block_merge_implIS3_PaN6thrust23THRUST_200600_302600_NS10device_ptrIlEEjNS1_19radix_merge_compareILb0ELb0EaNS0_19identity_decomposerEEEEE10hipError_tT0_T1_T2_jT3_P12ihipStream_tbPNSt15iterator_traitsISG_E10value_typeEPNSM_ISH_E10value_typeEPSI_NS1_7vsmem_tEENKUlT_SG_SH_SI_E_clIS7_S7_SB_PlEESF_SV_SG_SH_SI_EUlSV_E1_NS1_11comp_targetILNS1_3genE5ELNS1_11target_archE942ELNS1_3gpuE9ELNS1_3repE0EEENS1_36merge_oddeven_config_static_selectorELNS0_4arch9wavefront6targetE1EEEvSH_
    .private_segment_fixed_size: 0
    .sgpr_count:     4
    .sgpr_spill_count: 0
    .symbol:         _ZN7rocprim17ROCPRIM_400000_NS6detail17trampoline_kernelINS0_14default_configENS1_38merge_sort_block_merge_config_selectorIalEEZZNS1_27merge_sort_block_merge_implIS3_PaN6thrust23THRUST_200600_302600_NS10device_ptrIlEEjNS1_19radix_merge_compareILb0ELb0EaNS0_19identity_decomposerEEEEE10hipError_tT0_T1_T2_jT3_P12ihipStream_tbPNSt15iterator_traitsISG_E10value_typeEPNSM_ISH_E10value_typeEPSI_NS1_7vsmem_tEENKUlT_SG_SH_SI_E_clIS7_S7_SB_PlEESF_SV_SG_SH_SI_EUlSV_E1_NS1_11comp_targetILNS1_3genE5ELNS1_11target_archE942ELNS1_3gpuE9ELNS1_3repE0EEENS1_36merge_oddeven_config_static_selectorELNS0_4arch9wavefront6targetE1EEEvSH_.kd
    .uniform_work_group_size: 1
    .uses_dynamic_stack: false
    .vgpr_count:     0
    .vgpr_spill_count: 0
    .wavefront_size: 64
  - .agpr_count:     0
    .args:
      - .offset:         0
        .size:           48
        .value_kind:     by_value
    .group_segment_fixed_size: 0
    .kernarg_segment_align: 8
    .kernarg_segment_size: 48
    .language:       OpenCL C
    .language_version:
      - 2
      - 0
    .max_flat_workgroup_size: 256
    .name:           _ZN7rocprim17ROCPRIM_400000_NS6detail17trampoline_kernelINS0_14default_configENS1_38merge_sort_block_merge_config_selectorIalEEZZNS1_27merge_sort_block_merge_implIS3_PaN6thrust23THRUST_200600_302600_NS10device_ptrIlEEjNS1_19radix_merge_compareILb0ELb0EaNS0_19identity_decomposerEEEEE10hipError_tT0_T1_T2_jT3_P12ihipStream_tbPNSt15iterator_traitsISG_E10value_typeEPNSM_ISH_E10value_typeEPSI_NS1_7vsmem_tEENKUlT_SG_SH_SI_E_clIS7_S7_SB_PlEESF_SV_SG_SH_SI_EUlSV_E1_NS1_11comp_targetILNS1_3genE4ELNS1_11target_archE910ELNS1_3gpuE8ELNS1_3repE0EEENS1_36merge_oddeven_config_static_selectorELNS0_4arch9wavefront6targetE1EEEvSH_
    .private_segment_fixed_size: 0
    .sgpr_count:     28
    .sgpr_spill_count: 0
    .symbol:         _ZN7rocprim17ROCPRIM_400000_NS6detail17trampoline_kernelINS0_14default_configENS1_38merge_sort_block_merge_config_selectorIalEEZZNS1_27merge_sort_block_merge_implIS3_PaN6thrust23THRUST_200600_302600_NS10device_ptrIlEEjNS1_19radix_merge_compareILb0ELb0EaNS0_19identity_decomposerEEEEE10hipError_tT0_T1_T2_jT3_P12ihipStream_tbPNSt15iterator_traitsISG_E10value_typeEPNSM_ISH_E10value_typeEPSI_NS1_7vsmem_tEENKUlT_SG_SH_SI_E_clIS7_S7_SB_PlEESF_SV_SG_SH_SI_EUlSV_E1_NS1_11comp_targetILNS1_3genE4ELNS1_11target_archE910ELNS1_3gpuE8ELNS1_3repE0EEENS1_36merge_oddeven_config_static_selectorELNS0_4arch9wavefront6targetE1EEEvSH_.kd
    .uniform_work_group_size: 1
    .uses_dynamic_stack: false
    .vgpr_count:     10
    .vgpr_spill_count: 0
    .wavefront_size: 64
  - .agpr_count:     0
    .args:
      - .offset:         0
        .size:           48
        .value_kind:     by_value
    .group_segment_fixed_size: 0
    .kernarg_segment_align: 8
    .kernarg_segment_size: 48
    .language:       OpenCL C
    .language_version:
      - 2
      - 0
    .max_flat_workgroup_size: 256
    .name:           _ZN7rocprim17ROCPRIM_400000_NS6detail17trampoline_kernelINS0_14default_configENS1_38merge_sort_block_merge_config_selectorIalEEZZNS1_27merge_sort_block_merge_implIS3_PaN6thrust23THRUST_200600_302600_NS10device_ptrIlEEjNS1_19radix_merge_compareILb0ELb0EaNS0_19identity_decomposerEEEEE10hipError_tT0_T1_T2_jT3_P12ihipStream_tbPNSt15iterator_traitsISG_E10value_typeEPNSM_ISH_E10value_typeEPSI_NS1_7vsmem_tEENKUlT_SG_SH_SI_E_clIS7_S7_SB_PlEESF_SV_SG_SH_SI_EUlSV_E1_NS1_11comp_targetILNS1_3genE3ELNS1_11target_archE908ELNS1_3gpuE7ELNS1_3repE0EEENS1_36merge_oddeven_config_static_selectorELNS0_4arch9wavefront6targetE1EEEvSH_
    .private_segment_fixed_size: 0
    .sgpr_count:     4
    .sgpr_spill_count: 0
    .symbol:         _ZN7rocprim17ROCPRIM_400000_NS6detail17trampoline_kernelINS0_14default_configENS1_38merge_sort_block_merge_config_selectorIalEEZZNS1_27merge_sort_block_merge_implIS3_PaN6thrust23THRUST_200600_302600_NS10device_ptrIlEEjNS1_19radix_merge_compareILb0ELb0EaNS0_19identity_decomposerEEEEE10hipError_tT0_T1_T2_jT3_P12ihipStream_tbPNSt15iterator_traitsISG_E10value_typeEPNSM_ISH_E10value_typeEPSI_NS1_7vsmem_tEENKUlT_SG_SH_SI_E_clIS7_S7_SB_PlEESF_SV_SG_SH_SI_EUlSV_E1_NS1_11comp_targetILNS1_3genE3ELNS1_11target_archE908ELNS1_3gpuE7ELNS1_3repE0EEENS1_36merge_oddeven_config_static_selectorELNS0_4arch9wavefront6targetE1EEEvSH_.kd
    .uniform_work_group_size: 1
    .uses_dynamic_stack: false
    .vgpr_count:     0
    .vgpr_spill_count: 0
    .wavefront_size: 64
  - .agpr_count:     0
    .args:
      - .offset:         0
        .size:           48
        .value_kind:     by_value
    .group_segment_fixed_size: 0
    .kernarg_segment_align: 8
    .kernarg_segment_size: 48
    .language:       OpenCL C
    .language_version:
      - 2
      - 0
    .max_flat_workgroup_size: 256
    .name:           _ZN7rocprim17ROCPRIM_400000_NS6detail17trampoline_kernelINS0_14default_configENS1_38merge_sort_block_merge_config_selectorIalEEZZNS1_27merge_sort_block_merge_implIS3_PaN6thrust23THRUST_200600_302600_NS10device_ptrIlEEjNS1_19radix_merge_compareILb0ELb0EaNS0_19identity_decomposerEEEEE10hipError_tT0_T1_T2_jT3_P12ihipStream_tbPNSt15iterator_traitsISG_E10value_typeEPNSM_ISH_E10value_typeEPSI_NS1_7vsmem_tEENKUlT_SG_SH_SI_E_clIS7_S7_SB_PlEESF_SV_SG_SH_SI_EUlSV_E1_NS1_11comp_targetILNS1_3genE2ELNS1_11target_archE906ELNS1_3gpuE6ELNS1_3repE0EEENS1_36merge_oddeven_config_static_selectorELNS0_4arch9wavefront6targetE1EEEvSH_
    .private_segment_fixed_size: 0
    .sgpr_count:     4
    .sgpr_spill_count: 0
    .symbol:         _ZN7rocprim17ROCPRIM_400000_NS6detail17trampoline_kernelINS0_14default_configENS1_38merge_sort_block_merge_config_selectorIalEEZZNS1_27merge_sort_block_merge_implIS3_PaN6thrust23THRUST_200600_302600_NS10device_ptrIlEEjNS1_19radix_merge_compareILb0ELb0EaNS0_19identity_decomposerEEEEE10hipError_tT0_T1_T2_jT3_P12ihipStream_tbPNSt15iterator_traitsISG_E10value_typeEPNSM_ISH_E10value_typeEPSI_NS1_7vsmem_tEENKUlT_SG_SH_SI_E_clIS7_S7_SB_PlEESF_SV_SG_SH_SI_EUlSV_E1_NS1_11comp_targetILNS1_3genE2ELNS1_11target_archE906ELNS1_3gpuE6ELNS1_3repE0EEENS1_36merge_oddeven_config_static_selectorELNS0_4arch9wavefront6targetE1EEEvSH_.kd
    .uniform_work_group_size: 1
    .uses_dynamic_stack: false
    .vgpr_count:     0
    .vgpr_spill_count: 0
    .wavefront_size: 64
  - .agpr_count:     0
    .args:
      - .offset:         0
        .size:           48
        .value_kind:     by_value
    .group_segment_fixed_size: 0
    .kernarg_segment_align: 8
    .kernarg_segment_size: 48
    .language:       OpenCL C
    .language_version:
      - 2
      - 0
    .max_flat_workgroup_size: 256
    .name:           _ZN7rocprim17ROCPRIM_400000_NS6detail17trampoline_kernelINS0_14default_configENS1_38merge_sort_block_merge_config_selectorIalEEZZNS1_27merge_sort_block_merge_implIS3_PaN6thrust23THRUST_200600_302600_NS10device_ptrIlEEjNS1_19radix_merge_compareILb0ELb0EaNS0_19identity_decomposerEEEEE10hipError_tT0_T1_T2_jT3_P12ihipStream_tbPNSt15iterator_traitsISG_E10value_typeEPNSM_ISH_E10value_typeEPSI_NS1_7vsmem_tEENKUlT_SG_SH_SI_E_clIS7_S7_SB_PlEESF_SV_SG_SH_SI_EUlSV_E1_NS1_11comp_targetILNS1_3genE9ELNS1_11target_archE1100ELNS1_3gpuE3ELNS1_3repE0EEENS1_36merge_oddeven_config_static_selectorELNS0_4arch9wavefront6targetE1EEEvSH_
    .private_segment_fixed_size: 0
    .sgpr_count:     4
    .sgpr_spill_count: 0
    .symbol:         _ZN7rocprim17ROCPRIM_400000_NS6detail17trampoline_kernelINS0_14default_configENS1_38merge_sort_block_merge_config_selectorIalEEZZNS1_27merge_sort_block_merge_implIS3_PaN6thrust23THRUST_200600_302600_NS10device_ptrIlEEjNS1_19radix_merge_compareILb0ELb0EaNS0_19identity_decomposerEEEEE10hipError_tT0_T1_T2_jT3_P12ihipStream_tbPNSt15iterator_traitsISG_E10value_typeEPNSM_ISH_E10value_typeEPSI_NS1_7vsmem_tEENKUlT_SG_SH_SI_E_clIS7_S7_SB_PlEESF_SV_SG_SH_SI_EUlSV_E1_NS1_11comp_targetILNS1_3genE9ELNS1_11target_archE1100ELNS1_3gpuE3ELNS1_3repE0EEENS1_36merge_oddeven_config_static_selectorELNS0_4arch9wavefront6targetE1EEEvSH_.kd
    .uniform_work_group_size: 1
    .uses_dynamic_stack: false
    .vgpr_count:     0
    .vgpr_spill_count: 0
    .wavefront_size: 64
  - .agpr_count:     0
    .args:
      - .offset:         0
        .size:           48
        .value_kind:     by_value
    .group_segment_fixed_size: 0
    .kernarg_segment_align: 8
    .kernarg_segment_size: 48
    .language:       OpenCL C
    .language_version:
      - 2
      - 0
    .max_flat_workgroup_size: 256
    .name:           _ZN7rocprim17ROCPRIM_400000_NS6detail17trampoline_kernelINS0_14default_configENS1_38merge_sort_block_merge_config_selectorIalEEZZNS1_27merge_sort_block_merge_implIS3_PaN6thrust23THRUST_200600_302600_NS10device_ptrIlEEjNS1_19radix_merge_compareILb0ELb0EaNS0_19identity_decomposerEEEEE10hipError_tT0_T1_T2_jT3_P12ihipStream_tbPNSt15iterator_traitsISG_E10value_typeEPNSM_ISH_E10value_typeEPSI_NS1_7vsmem_tEENKUlT_SG_SH_SI_E_clIS7_S7_SB_PlEESF_SV_SG_SH_SI_EUlSV_E1_NS1_11comp_targetILNS1_3genE8ELNS1_11target_archE1030ELNS1_3gpuE2ELNS1_3repE0EEENS1_36merge_oddeven_config_static_selectorELNS0_4arch9wavefront6targetE1EEEvSH_
    .private_segment_fixed_size: 0
    .sgpr_count:     4
    .sgpr_spill_count: 0
    .symbol:         _ZN7rocprim17ROCPRIM_400000_NS6detail17trampoline_kernelINS0_14default_configENS1_38merge_sort_block_merge_config_selectorIalEEZZNS1_27merge_sort_block_merge_implIS3_PaN6thrust23THRUST_200600_302600_NS10device_ptrIlEEjNS1_19radix_merge_compareILb0ELb0EaNS0_19identity_decomposerEEEEE10hipError_tT0_T1_T2_jT3_P12ihipStream_tbPNSt15iterator_traitsISG_E10value_typeEPNSM_ISH_E10value_typeEPSI_NS1_7vsmem_tEENKUlT_SG_SH_SI_E_clIS7_S7_SB_PlEESF_SV_SG_SH_SI_EUlSV_E1_NS1_11comp_targetILNS1_3genE8ELNS1_11target_archE1030ELNS1_3gpuE2ELNS1_3repE0EEENS1_36merge_oddeven_config_static_selectorELNS0_4arch9wavefront6targetE1EEEvSH_.kd
    .uniform_work_group_size: 1
    .uses_dynamic_stack: false
    .vgpr_count:     0
    .vgpr_spill_count: 0
    .wavefront_size: 64
  - .agpr_count:     0
    .args:
      - .offset:         0
        .size:           40
        .value_kind:     by_value
    .group_segment_fixed_size: 0
    .kernarg_segment_align: 8
    .kernarg_segment_size: 40
    .language:       OpenCL C
    .language_version:
      - 2
      - 0
    .max_flat_workgroup_size: 128
    .name:           _ZN7rocprim17ROCPRIM_400000_NS6detail17trampoline_kernelINS0_14default_configENS1_25transform_config_selectorIaLb1EEEZNS1_14transform_implILb1ES3_S5_PaS7_NS0_8identityIaEEEE10hipError_tT2_T3_mT4_P12ihipStream_tbEUlT_E_NS1_11comp_targetILNS1_3genE0ELNS1_11target_archE4294967295ELNS1_3gpuE0ELNS1_3repE0EEENS1_30default_config_static_selectorELNS0_4arch9wavefront6targetE1EEEvT1_
    .private_segment_fixed_size: 0
    .sgpr_count:     4
    .sgpr_spill_count: 0
    .symbol:         _ZN7rocprim17ROCPRIM_400000_NS6detail17trampoline_kernelINS0_14default_configENS1_25transform_config_selectorIaLb1EEEZNS1_14transform_implILb1ES3_S5_PaS7_NS0_8identityIaEEEE10hipError_tT2_T3_mT4_P12ihipStream_tbEUlT_E_NS1_11comp_targetILNS1_3genE0ELNS1_11target_archE4294967295ELNS1_3gpuE0ELNS1_3repE0EEENS1_30default_config_static_selectorELNS0_4arch9wavefront6targetE1EEEvT1_.kd
    .uniform_work_group_size: 1
    .uses_dynamic_stack: false
    .vgpr_count:     0
    .vgpr_spill_count: 0
    .wavefront_size: 64
  - .agpr_count:     0
    .args:
      - .offset:         0
        .size:           40
        .value_kind:     by_value
    .group_segment_fixed_size: 0
    .kernarg_segment_align: 8
    .kernarg_segment_size: 40
    .language:       OpenCL C
    .language_version:
      - 2
      - 0
    .max_flat_workgroup_size: 1024
    .name:           _ZN7rocprim17ROCPRIM_400000_NS6detail17trampoline_kernelINS0_14default_configENS1_25transform_config_selectorIaLb1EEEZNS1_14transform_implILb1ES3_S5_PaS7_NS0_8identityIaEEEE10hipError_tT2_T3_mT4_P12ihipStream_tbEUlT_E_NS1_11comp_targetILNS1_3genE10ELNS1_11target_archE1201ELNS1_3gpuE5ELNS1_3repE0EEENS1_30default_config_static_selectorELNS0_4arch9wavefront6targetE1EEEvT1_
    .private_segment_fixed_size: 0
    .sgpr_count:     4
    .sgpr_spill_count: 0
    .symbol:         _ZN7rocprim17ROCPRIM_400000_NS6detail17trampoline_kernelINS0_14default_configENS1_25transform_config_selectorIaLb1EEEZNS1_14transform_implILb1ES3_S5_PaS7_NS0_8identityIaEEEE10hipError_tT2_T3_mT4_P12ihipStream_tbEUlT_E_NS1_11comp_targetILNS1_3genE10ELNS1_11target_archE1201ELNS1_3gpuE5ELNS1_3repE0EEENS1_30default_config_static_selectorELNS0_4arch9wavefront6targetE1EEEvT1_.kd
    .uniform_work_group_size: 1
    .uses_dynamic_stack: false
    .vgpr_count:     0
    .vgpr_spill_count: 0
    .wavefront_size: 64
  - .agpr_count:     0
    .args:
      - .offset:         0
        .size:           40
        .value_kind:     by_value
    .group_segment_fixed_size: 0
    .kernarg_segment_align: 8
    .kernarg_segment_size: 40
    .language:       OpenCL C
    .language_version:
      - 2
      - 0
    .max_flat_workgroup_size: 256
    .name:           _ZN7rocprim17ROCPRIM_400000_NS6detail17trampoline_kernelINS0_14default_configENS1_25transform_config_selectorIaLb1EEEZNS1_14transform_implILb1ES3_S5_PaS7_NS0_8identityIaEEEE10hipError_tT2_T3_mT4_P12ihipStream_tbEUlT_E_NS1_11comp_targetILNS1_3genE5ELNS1_11target_archE942ELNS1_3gpuE9ELNS1_3repE0EEENS1_30default_config_static_selectorELNS0_4arch9wavefront6targetE1EEEvT1_
    .private_segment_fixed_size: 0
    .sgpr_count:     4
    .sgpr_spill_count: 0
    .symbol:         _ZN7rocprim17ROCPRIM_400000_NS6detail17trampoline_kernelINS0_14default_configENS1_25transform_config_selectorIaLb1EEEZNS1_14transform_implILb1ES3_S5_PaS7_NS0_8identityIaEEEE10hipError_tT2_T3_mT4_P12ihipStream_tbEUlT_E_NS1_11comp_targetILNS1_3genE5ELNS1_11target_archE942ELNS1_3gpuE9ELNS1_3repE0EEENS1_30default_config_static_selectorELNS0_4arch9wavefront6targetE1EEEvT1_.kd
    .uniform_work_group_size: 1
    .uses_dynamic_stack: false
    .vgpr_count:     0
    .vgpr_spill_count: 0
    .wavefront_size: 64
  - .agpr_count:     0
    .args:
      - .offset:         0
        .size:           40
        .value_kind:     by_value
      - .offset:         40
        .size:           4
        .value_kind:     hidden_block_count_x
      - .offset:         44
        .size:           4
        .value_kind:     hidden_block_count_y
      - .offset:         48
        .size:           4
        .value_kind:     hidden_block_count_z
      - .offset:         52
        .size:           2
        .value_kind:     hidden_group_size_x
      - .offset:         54
        .size:           2
        .value_kind:     hidden_group_size_y
      - .offset:         56
        .size:           2
        .value_kind:     hidden_group_size_z
      - .offset:         58
        .size:           2
        .value_kind:     hidden_remainder_x
      - .offset:         60
        .size:           2
        .value_kind:     hidden_remainder_y
      - .offset:         62
        .size:           2
        .value_kind:     hidden_remainder_z
      - .offset:         80
        .size:           8
        .value_kind:     hidden_global_offset_x
      - .offset:         88
        .size:           8
        .value_kind:     hidden_global_offset_y
      - .offset:         96
        .size:           8
        .value_kind:     hidden_global_offset_z
      - .offset:         104
        .size:           2
        .value_kind:     hidden_grid_dims
    .group_segment_fixed_size: 0
    .kernarg_segment_align: 8
    .kernarg_segment_size: 296
    .language:       OpenCL C
    .language_version:
      - 2
      - 0
    .max_flat_workgroup_size: 1024
    .name:           _ZN7rocprim17ROCPRIM_400000_NS6detail17trampoline_kernelINS0_14default_configENS1_25transform_config_selectorIaLb1EEEZNS1_14transform_implILb1ES3_S5_PaS7_NS0_8identityIaEEEE10hipError_tT2_T3_mT4_P12ihipStream_tbEUlT_E_NS1_11comp_targetILNS1_3genE4ELNS1_11target_archE910ELNS1_3gpuE8ELNS1_3repE0EEENS1_30default_config_static_selectorELNS0_4arch9wavefront6targetE1EEEvT1_
    .private_segment_fixed_size: 0
    .sgpr_count:     42
    .sgpr_spill_count: 0
    .symbol:         _ZN7rocprim17ROCPRIM_400000_NS6detail17trampoline_kernelINS0_14default_configENS1_25transform_config_selectorIaLb1EEEZNS1_14transform_implILb1ES3_S5_PaS7_NS0_8identityIaEEEE10hipError_tT2_T3_mT4_P12ihipStream_tbEUlT_E_NS1_11comp_targetILNS1_3genE4ELNS1_11target_archE910ELNS1_3gpuE8ELNS1_3repE0EEENS1_30default_config_static_selectorELNS0_4arch9wavefront6targetE1EEEvT1_.kd
    .uniform_work_group_size: 1
    .uses_dynamic_stack: false
    .vgpr_count:     18
    .vgpr_spill_count: 0
    .wavefront_size: 64
  - .agpr_count:     0
    .args:
      - .offset:         0
        .size:           40
        .value_kind:     by_value
    .group_segment_fixed_size: 0
    .kernarg_segment_align: 8
    .kernarg_segment_size: 40
    .language:       OpenCL C
    .language_version:
      - 2
      - 0
    .max_flat_workgroup_size: 128
    .name:           _ZN7rocprim17ROCPRIM_400000_NS6detail17trampoline_kernelINS0_14default_configENS1_25transform_config_selectorIaLb1EEEZNS1_14transform_implILb1ES3_S5_PaS7_NS0_8identityIaEEEE10hipError_tT2_T3_mT4_P12ihipStream_tbEUlT_E_NS1_11comp_targetILNS1_3genE3ELNS1_11target_archE908ELNS1_3gpuE7ELNS1_3repE0EEENS1_30default_config_static_selectorELNS0_4arch9wavefront6targetE1EEEvT1_
    .private_segment_fixed_size: 0
    .sgpr_count:     4
    .sgpr_spill_count: 0
    .symbol:         _ZN7rocprim17ROCPRIM_400000_NS6detail17trampoline_kernelINS0_14default_configENS1_25transform_config_selectorIaLb1EEEZNS1_14transform_implILb1ES3_S5_PaS7_NS0_8identityIaEEEE10hipError_tT2_T3_mT4_P12ihipStream_tbEUlT_E_NS1_11comp_targetILNS1_3genE3ELNS1_11target_archE908ELNS1_3gpuE7ELNS1_3repE0EEENS1_30default_config_static_selectorELNS0_4arch9wavefront6targetE1EEEvT1_.kd
    .uniform_work_group_size: 1
    .uses_dynamic_stack: false
    .vgpr_count:     0
    .vgpr_spill_count: 0
    .wavefront_size: 64
  - .agpr_count:     0
    .args:
      - .offset:         0
        .size:           40
        .value_kind:     by_value
    .group_segment_fixed_size: 0
    .kernarg_segment_align: 8
    .kernarg_segment_size: 40
    .language:       OpenCL C
    .language_version:
      - 2
      - 0
    .max_flat_workgroup_size: 512
    .name:           _ZN7rocprim17ROCPRIM_400000_NS6detail17trampoline_kernelINS0_14default_configENS1_25transform_config_selectorIaLb1EEEZNS1_14transform_implILb1ES3_S5_PaS7_NS0_8identityIaEEEE10hipError_tT2_T3_mT4_P12ihipStream_tbEUlT_E_NS1_11comp_targetILNS1_3genE2ELNS1_11target_archE906ELNS1_3gpuE6ELNS1_3repE0EEENS1_30default_config_static_selectorELNS0_4arch9wavefront6targetE1EEEvT1_
    .private_segment_fixed_size: 0
    .sgpr_count:     4
    .sgpr_spill_count: 0
    .symbol:         _ZN7rocprim17ROCPRIM_400000_NS6detail17trampoline_kernelINS0_14default_configENS1_25transform_config_selectorIaLb1EEEZNS1_14transform_implILb1ES3_S5_PaS7_NS0_8identityIaEEEE10hipError_tT2_T3_mT4_P12ihipStream_tbEUlT_E_NS1_11comp_targetILNS1_3genE2ELNS1_11target_archE906ELNS1_3gpuE6ELNS1_3repE0EEENS1_30default_config_static_selectorELNS0_4arch9wavefront6targetE1EEEvT1_.kd
    .uniform_work_group_size: 1
    .uses_dynamic_stack: false
    .vgpr_count:     0
    .vgpr_spill_count: 0
    .wavefront_size: 64
  - .agpr_count:     0
    .args:
      - .offset:         0
        .size:           40
        .value_kind:     by_value
    .group_segment_fixed_size: 0
    .kernarg_segment_align: 8
    .kernarg_segment_size: 40
    .language:       OpenCL C
    .language_version:
      - 2
      - 0
    .max_flat_workgroup_size: 1024
    .name:           _ZN7rocprim17ROCPRIM_400000_NS6detail17trampoline_kernelINS0_14default_configENS1_25transform_config_selectorIaLb1EEEZNS1_14transform_implILb1ES3_S5_PaS7_NS0_8identityIaEEEE10hipError_tT2_T3_mT4_P12ihipStream_tbEUlT_E_NS1_11comp_targetILNS1_3genE9ELNS1_11target_archE1100ELNS1_3gpuE3ELNS1_3repE0EEENS1_30default_config_static_selectorELNS0_4arch9wavefront6targetE1EEEvT1_
    .private_segment_fixed_size: 0
    .sgpr_count:     4
    .sgpr_spill_count: 0
    .symbol:         _ZN7rocprim17ROCPRIM_400000_NS6detail17trampoline_kernelINS0_14default_configENS1_25transform_config_selectorIaLb1EEEZNS1_14transform_implILb1ES3_S5_PaS7_NS0_8identityIaEEEE10hipError_tT2_T3_mT4_P12ihipStream_tbEUlT_E_NS1_11comp_targetILNS1_3genE9ELNS1_11target_archE1100ELNS1_3gpuE3ELNS1_3repE0EEENS1_30default_config_static_selectorELNS0_4arch9wavefront6targetE1EEEvT1_.kd
    .uniform_work_group_size: 1
    .uses_dynamic_stack: false
    .vgpr_count:     0
    .vgpr_spill_count: 0
    .wavefront_size: 64
  - .agpr_count:     0
    .args:
      - .offset:         0
        .size:           40
        .value_kind:     by_value
    .group_segment_fixed_size: 0
    .kernarg_segment_align: 8
    .kernarg_segment_size: 40
    .language:       OpenCL C
    .language_version:
      - 2
      - 0
    .max_flat_workgroup_size: 1024
    .name:           _ZN7rocprim17ROCPRIM_400000_NS6detail17trampoline_kernelINS0_14default_configENS1_25transform_config_selectorIaLb1EEEZNS1_14transform_implILb1ES3_S5_PaS7_NS0_8identityIaEEEE10hipError_tT2_T3_mT4_P12ihipStream_tbEUlT_E_NS1_11comp_targetILNS1_3genE8ELNS1_11target_archE1030ELNS1_3gpuE2ELNS1_3repE0EEENS1_30default_config_static_selectorELNS0_4arch9wavefront6targetE1EEEvT1_
    .private_segment_fixed_size: 0
    .sgpr_count:     4
    .sgpr_spill_count: 0
    .symbol:         _ZN7rocprim17ROCPRIM_400000_NS6detail17trampoline_kernelINS0_14default_configENS1_25transform_config_selectorIaLb1EEEZNS1_14transform_implILb1ES3_S5_PaS7_NS0_8identityIaEEEE10hipError_tT2_T3_mT4_P12ihipStream_tbEUlT_E_NS1_11comp_targetILNS1_3genE8ELNS1_11target_archE1030ELNS1_3gpuE2ELNS1_3repE0EEENS1_30default_config_static_selectorELNS0_4arch9wavefront6targetE1EEEvT1_.kd
    .uniform_work_group_size: 1
    .uses_dynamic_stack: false
    .vgpr_count:     0
    .vgpr_spill_count: 0
    .wavefront_size: 64
  - .agpr_count:     0
    .args:
      - .offset:         0
        .size:           40
        .value_kind:     by_value
    .group_segment_fixed_size: 0
    .kernarg_segment_align: 8
    .kernarg_segment_size: 40
    .language:       OpenCL C
    .language_version:
      - 2
      - 0
    .max_flat_workgroup_size: 128
    .name:           _ZN7rocprim17ROCPRIM_400000_NS6detail17trampoline_kernelINS0_14default_configENS1_38merge_sort_block_merge_config_selectorIalEEZZNS1_27merge_sort_block_merge_implIS3_PaN6thrust23THRUST_200600_302600_NS10device_ptrIlEEjNS1_19radix_merge_compareILb0ELb1EaNS0_19identity_decomposerEEEEE10hipError_tT0_T1_T2_jT3_P12ihipStream_tbPNSt15iterator_traitsISG_E10value_typeEPNSM_ISH_E10value_typeEPSI_NS1_7vsmem_tEENKUlT_SG_SH_SI_E_clIS7_S7_PlSB_EESF_SV_SG_SH_SI_EUlSV_E_NS1_11comp_targetILNS1_3genE0ELNS1_11target_archE4294967295ELNS1_3gpuE0ELNS1_3repE0EEENS1_48merge_mergepath_partition_config_static_selectorELNS0_4arch9wavefront6targetE1EEEvSH_
    .private_segment_fixed_size: 0
    .sgpr_count:     4
    .sgpr_spill_count: 0
    .symbol:         _ZN7rocprim17ROCPRIM_400000_NS6detail17trampoline_kernelINS0_14default_configENS1_38merge_sort_block_merge_config_selectorIalEEZZNS1_27merge_sort_block_merge_implIS3_PaN6thrust23THRUST_200600_302600_NS10device_ptrIlEEjNS1_19radix_merge_compareILb0ELb1EaNS0_19identity_decomposerEEEEE10hipError_tT0_T1_T2_jT3_P12ihipStream_tbPNSt15iterator_traitsISG_E10value_typeEPNSM_ISH_E10value_typeEPSI_NS1_7vsmem_tEENKUlT_SG_SH_SI_E_clIS7_S7_PlSB_EESF_SV_SG_SH_SI_EUlSV_E_NS1_11comp_targetILNS1_3genE0ELNS1_11target_archE4294967295ELNS1_3gpuE0ELNS1_3repE0EEENS1_48merge_mergepath_partition_config_static_selectorELNS0_4arch9wavefront6targetE1EEEvSH_.kd
    .uniform_work_group_size: 1
    .uses_dynamic_stack: false
    .vgpr_count:     0
    .vgpr_spill_count: 0
    .wavefront_size: 64
  - .agpr_count:     0
    .args:
      - .offset:         0
        .size:           40
        .value_kind:     by_value
    .group_segment_fixed_size: 0
    .kernarg_segment_align: 8
    .kernarg_segment_size: 40
    .language:       OpenCL C
    .language_version:
      - 2
      - 0
    .max_flat_workgroup_size: 128
    .name:           _ZN7rocprim17ROCPRIM_400000_NS6detail17trampoline_kernelINS0_14default_configENS1_38merge_sort_block_merge_config_selectorIalEEZZNS1_27merge_sort_block_merge_implIS3_PaN6thrust23THRUST_200600_302600_NS10device_ptrIlEEjNS1_19radix_merge_compareILb0ELb1EaNS0_19identity_decomposerEEEEE10hipError_tT0_T1_T2_jT3_P12ihipStream_tbPNSt15iterator_traitsISG_E10value_typeEPNSM_ISH_E10value_typeEPSI_NS1_7vsmem_tEENKUlT_SG_SH_SI_E_clIS7_S7_PlSB_EESF_SV_SG_SH_SI_EUlSV_E_NS1_11comp_targetILNS1_3genE10ELNS1_11target_archE1201ELNS1_3gpuE5ELNS1_3repE0EEENS1_48merge_mergepath_partition_config_static_selectorELNS0_4arch9wavefront6targetE1EEEvSH_
    .private_segment_fixed_size: 0
    .sgpr_count:     4
    .sgpr_spill_count: 0
    .symbol:         _ZN7rocprim17ROCPRIM_400000_NS6detail17trampoline_kernelINS0_14default_configENS1_38merge_sort_block_merge_config_selectorIalEEZZNS1_27merge_sort_block_merge_implIS3_PaN6thrust23THRUST_200600_302600_NS10device_ptrIlEEjNS1_19radix_merge_compareILb0ELb1EaNS0_19identity_decomposerEEEEE10hipError_tT0_T1_T2_jT3_P12ihipStream_tbPNSt15iterator_traitsISG_E10value_typeEPNSM_ISH_E10value_typeEPSI_NS1_7vsmem_tEENKUlT_SG_SH_SI_E_clIS7_S7_PlSB_EESF_SV_SG_SH_SI_EUlSV_E_NS1_11comp_targetILNS1_3genE10ELNS1_11target_archE1201ELNS1_3gpuE5ELNS1_3repE0EEENS1_48merge_mergepath_partition_config_static_selectorELNS0_4arch9wavefront6targetE1EEEvSH_.kd
    .uniform_work_group_size: 1
    .uses_dynamic_stack: false
    .vgpr_count:     0
    .vgpr_spill_count: 0
    .wavefront_size: 64
  - .agpr_count:     0
    .args:
      - .offset:         0
        .size:           40
        .value_kind:     by_value
    .group_segment_fixed_size: 0
    .kernarg_segment_align: 8
    .kernarg_segment_size: 40
    .language:       OpenCL C
    .language_version:
      - 2
      - 0
    .max_flat_workgroup_size: 128
    .name:           _ZN7rocprim17ROCPRIM_400000_NS6detail17trampoline_kernelINS0_14default_configENS1_38merge_sort_block_merge_config_selectorIalEEZZNS1_27merge_sort_block_merge_implIS3_PaN6thrust23THRUST_200600_302600_NS10device_ptrIlEEjNS1_19radix_merge_compareILb0ELb1EaNS0_19identity_decomposerEEEEE10hipError_tT0_T1_T2_jT3_P12ihipStream_tbPNSt15iterator_traitsISG_E10value_typeEPNSM_ISH_E10value_typeEPSI_NS1_7vsmem_tEENKUlT_SG_SH_SI_E_clIS7_S7_PlSB_EESF_SV_SG_SH_SI_EUlSV_E_NS1_11comp_targetILNS1_3genE5ELNS1_11target_archE942ELNS1_3gpuE9ELNS1_3repE0EEENS1_48merge_mergepath_partition_config_static_selectorELNS0_4arch9wavefront6targetE1EEEvSH_
    .private_segment_fixed_size: 0
    .sgpr_count:     4
    .sgpr_spill_count: 0
    .symbol:         _ZN7rocprim17ROCPRIM_400000_NS6detail17trampoline_kernelINS0_14default_configENS1_38merge_sort_block_merge_config_selectorIalEEZZNS1_27merge_sort_block_merge_implIS3_PaN6thrust23THRUST_200600_302600_NS10device_ptrIlEEjNS1_19radix_merge_compareILb0ELb1EaNS0_19identity_decomposerEEEEE10hipError_tT0_T1_T2_jT3_P12ihipStream_tbPNSt15iterator_traitsISG_E10value_typeEPNSM_ISH_E10value_typeEPSI_NS1_7vsmem_tEENKUlT_SG_SH_SI_E_clIS7_S7_PlSB_EESF_SV_SG_SH_SI_EUlSV_E_NS1_11comp_targetILNS1_3genE5ELNS1_11target_archE942ELNS1_3gpuE9ELNS1_3repE0EEENS1_48merge_mergepath_partition_config_static_selectorELNS0_4arch9wavefront6targetE1EEEvSH_.kd
    .uniform_work_group_size: 1
    .uses_dynamic_stack: false
    .vgpr_count:     0
    .vgpr_spill_count: 0
    .wavefront_size: 64
  - .agpr_count:     0
    .args:
      - .offset:         0
        .size:           40
        .value_kind:     by_value
    .group_segment_fixed_size: 0
    .kernarg_segment_align: 8
    .kernarg_segment_size: 40
    .language:       OpenCL C
    .language_version:
      - 2
      - 0
    .max_flat_workgroup_size: 128
    .name:           _ZN7rocprim17ROCPRIM_400000_NS6detail17trampoline_kernelINS0_14default_configENS1_38merge_sort_block_merge_config_selectorIalEEZZNS1_27merge_sort_block_merge_implIS3_PaN6thrust23THRUST_200600_302600_NS10device_ptrIlEEjNS1_19radix_merge_compareILb0ELb1EaNS0_19identity_decomposerEEEEE10hipError_tT0_T1_T2_jT3_P12ihipStream_tbPNSt15iterator_traitsISG_E10value_typeEPNSM_ISH_E10value_typeEPSI_NS1_7vsmem_tEENKUlT_SG_SH_SI_E_clIS7_S7_PlSB_EESF_SV_SG_SH_SI_EUlSV_E_NS1_11comp_targetILNS1_3genE4ELNS1_11target_archE910ELNS1_3gpuE8ELNS1_3repE0EEENS1_48merge_mergepath_partition_config_static_selectorELNS0_4arch9wavefront6targetE1EEEvSH_
    .private_segment_fixed_size: 0
    .sgpr_count:     14
    .sgpr_spill_count: 0
    .symbol:         _ZN7rocprim17ROCPRIM_400000_NS6detail17trampoline_kernelINS0_14default_configENS1_38merge_sort_block_merge_config_selectorIalEEZZNS1_27merge_sort_block_merge_implIS3_PaN6thrust23THRUST_200600_302600_NS10device_ptrIlEEjNS1_19radix_merge_compareILb0ELb1EaNS0_19identity_decomposerEEEEE10hipError_tT0_T1_T2_jT3_P12ihipStream_tbPNSt15iterator_traitsISG_E10value_typeEPNSM_ISH_E10value_typeEPSI_NS1_7vsmem_tEENKUlT_SG_SH_SI_E_clIS7_S7_PlSB_EESF_SV_SG_SH_SI_EUlSV_E_NS1_11comp_targetILNS1_3genE4ELNS1_11target_archE910ELNS1_3gpuE8ELNS1_3repE0EEENS1_48merge_mergepath_partition_config_static_selectorELNS0_4arch9wavefront6targetE1EEEvSH_.kd
    .uniform_work_group_size: 1
    .uses_dynamic_stack: false
    .vgpr_count:     16
    .vgpr_spill_count: 0
    .wavefront_size: 64
  - .agpr_count:     0
    .args:
      - .offset:         0
        .size:           40
        .value_kind:     by_value
    .group_segment_fixed_size: 0
    .kernarg_segment_align: 8
    .kernarg_segment_size: 40
    .language:       OpenCL C
    .language_version:
      - 2
      - 0
    .max_flat_workgroup_size: 128
    .name:           _ZN7rocprim17ROCPRIM_400000_NS6detail17trampoline_kernelINS0_14default_configENS1_38merge_sort_block_merge_config_selectorIalEEZZNS1_27merge_sort_block_merge_implIS3_PaN6thrust23THRUST_200600_302600_NS10device_ptrIlEEjNS1_19radix_merge_compareILb0ELb1EaNS0_19identity_decomposerEEEEE10hipError_tT0_T1_T2_jT3_P12ihipStream_tbPNSt15iterator_traitsISG_E10value_typeEPNSM_ISH_E10value_typeEPSI_NS1_7vsmem_tEENKUlT_SG_SH_SI_E_clIS7_S7_PlSB_EESF_SV_SG_SH_SI_EUlSV_E_NS1_11comp_targetILNS1_3genE3ELNS1_11target_archE908ELNS1_3gpuE7ELNS1_3repE0EEENS1_48merge_mergepath_partition_config_static_selectorELNS0_4arch9wavefront6targetE1EEEvSH_
    .private_segment_fixed_size: 0
    .sgpr_count:     4
    .sgpr_spill_count: 0
    .symbol:         _ZN7rocprim17ROCPRIM_400000_NS6detail17trampoline_kernelINS0_14default_configENS1_38merge_sort_block_merge_config_selectorIalEEZZNS1_27merge_sort_block_merge_implIS3_PaN6thrust23THRUST_200600_302600_NS10device_ptrIlEEjNS1_19radix_merge_compareILb0ELb1EaNS0_19identity_decomposerEEEEE10hipError_tT0_T1_T2_jT3_P12ihipStream_tbPNSt15iterator_traitsISG_E10value_typeEPNSM_ISH_E10value_typeEPSI_NS1_7vsmem_tEENKUlT_SG_SH_SI_E_clIS7_S7_PlSB_EESF_SV_SG_SH_SI_EUlSV_E_NS1_11comp_targetILNS1_3genE3ELNS1_11target_archE908ELNS1_3gpuE7ELNS1_3repE0EEENS1_48merge_mergepath_partition_config_static_selectorELNS0_4arch9wavefront6targetE1EEEvSH_.kd
    .uniform_work_group_size: 1
    .uses_dynamic_stack: false
    .vgpr_count:     0
    .vgpr_spill_count: 0
    .wavefront_size: 64
  - .agpr_count:     0
    .args:
      - .offset:         0
        .size:           40
        .value_kind:     by_value
    .group_segment_fixed_size: 0
    .kernarg_segment_align: 8
    .kernarg_segment_size: 40
    .language:       OpenCL C
    .language_version:
      - 2
      - 0
    .max_flat_workgroup_size: 128
    .name:           _ZN7rocprim17ROCPRIM_400000_NS6detail17trampoline_kernelINS0_14default_configENS1_38merge_sort_block_merge_config_selectorIalEEZZNS1_27merge_sort_block_merge_implIS3_PaN6thrust23THRUST_200600_302600_NS10device_ptrIlEEjNS1_19radix_merge_compareILb0ELb1EaNS0_19identity_decomposerEEEEE10hipError_tT0_T1_T2_jT3_P12ihipStream_tbPNSt15iterator_traitsISG_E10value_typeEPNSM_ISH_E10value_typeEPSI_NS1_7vsmem_tEENKUlT_SG_SH_SI_E_clIS7_S7_PlSB_EESF_SV_SG_SH_SI_EUlSV_E_NS1_11comp_targetILNS1_3genE2ELNS1_11target_archE906ELNS1_3gpuE6ELNS1_3repE0EEENS1_48merge_mergepath_partition_config_static_selectorELNS0_4arch9wavefront6targetE1EEEvSH_
    .private_segment_fixed_size: 0
    .sgpr_count:     4
    .sgpr_spill_count: 0
    .symbol:         _ZN7rocprim17ROCPRIM_400000_NS6detail17trampoline_kernelINS0_14default_configENS1_38merge_sort_block_merge_config_selectorIalEEZZNS1_27merge_sort_block_merge_implIS3_PaN6thrust23THRUST_200600_302600_NS10device_ptrIlEEjNS1_19radix_merge_compareILb0ELb1EaNS0_19identity_decomposerEEEEE10hipError_tT0_T1_T2_jT3_P12ihipStream_tbPNSt15iterator_traitsISG_E10value_typeEPNSM_ISH_E10value_typeEPSI_NS1_7vsmem_tEENKUlT_SG_SH_SI_E_clIS7_S7_PlSB_EESF_SV_SG_SH_SI_EUlSV_E_NS1_11comp_targetILNS1_3genE2ELNS1_11target_archE906ELNS1_3gpuE6ELNS1_3repE0EEENS1_48merge_mergepath_partition_config_static_selectorELNS0_4arch9wavefront6targetE1EEEvSH_.kd
    .uniform_work_group_size: 1
    .uses_dynamic_stack: false
    .vgpr_count:     0
    .vgpr_spill_count: 0
    .wavefront_size: 64
  - .agpr_count:     0
    .args:
      - .offset:         0
        .size:           40
        .value_kind:     by_value
    .group_segment_fixed_size: 0
    .kernarg_segment_align: 8
    .kernarg_segment_size: 40
    .language:       OpenCL C
    .language_version:
      - 2
      - 0
    .max_flat_workgroup_size: 128
    .name:           _ZN7rocprim17ROCPRIM_400000_NS6detail17trampoline_kernelINS0_14default_configENS1_38merge_sort_block_merge_config_selectorIalEEZZNS1_27merge_sort_block_merge_implIS3_PaN6thrust23THRUST_200600_302600_NS10device_ptrIlEEjNS1_19radix_merge_compareILb0ELb1EaNS0_19identity_decomposerEEEEE10hipError_tT0_T1_T2_jT3_P12ihipStream_tbPNSt15iterator_traitsISG_E10value_typeEPNSM_ISH_E10value_typeEPSI_NS1_7vsmem_tEENKUlT_SG_SH_SI_E_clIS7_S7_PlSB_EESF_SV_SG_SH_SI_EUlSV_E_NS1_11comp_targetILNS1_3genE9ELNS1_11target_archE1100ELNS1_3gpuE3ELNS1_3repE0EEENS1_48merge_mergepath_partition_config_static_selectorELNS0_4arch9wavefront6targetE1EEEvSH_
    .private_segment_fixed_size: 0
    .sgpr_count:     4
    .sgpr_spill_count: 0
    .symbol:         _ZN7rocprim17ROCPRIM_400000_NS6detail17trampoline_kernelINS0_14default_configENS1_38merge_sort_block_merge_config_selectorIalEEZZNS1_27merge_sort_block_merge_implIS3_PaN6thrust23THRUST_200600_302600_NS10device_ptrIlEEjNS1_19radix_merge_compareILb0ELb1EaNS0_19identity_decomposerEEEEE10hipError_tT0_T1_T2_jT3_P12ihipStream_tbPNSt15iterator_traitsISG_E10value_typeEPNSM_ISH_E10value_typeEPSI_NS1_7vsmem_tEENKUlT_SG_SH_SI_E_clIS7_S7_PlSB_EESF_SV_SG_SH_SI_EUlSV_E_NS1_11comp_targetILNS1_3genE9ELNS1_11target_archE1100ELNS1_3gpuE3ELNS1_3repE0EEENS1_48merge_mergepath_partition_config_static_selectorELNS0_4arch9wavefront6targetE1EEEvSH_.kd
    .uniform_work_group_size: 1
    .uses_dynamic_stack: false
    .vgpr_count:     0
    .vgpr_spill_count: 0
    .wavefront_size: 64
  - .agpr_count:     0
    .args:
      - .offset:         0
        .size:           40
        .value_kind:     by_value
    .group_segment_fixed_size: 0
    .kernarg_segment_align: 8
    .kernarg_segment_size: 40
    .language:       OpenCL C
    .language_version:
      - 2
      - 0
    .max_flat_workgroup_size: 128
    .name:           _ZN7rocprim17ROCPRIM_400000_NS6detail17trampoline_kernelINS0_14default_configENS1_38merge_sort_block_merge_config_selectorIalEEZZNS1_27merge_sort_block_merge_implIS3_PaN6thrust23THRUST_200600_302600_NS10device_ptrIlEEjNS1_19radix_merge_compareILb0ELb1EaNS0_19identity_decomposerEEEEE10hipError_tT0_T1_T2_jT3_P12ihipStream_tbPNSt15iterator_traitsISG_E10value_typeEPNSM_ISH_E10value_typeEPSI_NS1_7vsmem_tEENKUlT_SG_SH_SI_E_clIS7_S7_PlSB_EESF_SV_SG_SH_SI_EUlSV_E_NS1_11comp_targetILNS1_3genE8ELNS1_11target_archE1030ELNS1_3gpuE2ELNS1_3repE0EEENS1_48merge_mergepath_partition_config_static_selectorELNS0_4arch9wavefront6targetE1EEEvSH_
    .private_segment_fixed_size: 0
    .sgpr_count:     4
    .sgpr_spill_count: 0
    .symbol:         _ZN7rocprim17ROCPRIM_400000_NS6detail17trampoline_kernelINS0_14default_configENS1_38merge_sort_block_merge_config_selectorIalEEZZNS1_27merge_sort_block_merge_implIS3_PaN6thrust23THRUST_200600_302600_NS10device_ptrIlEEjNS1_19radix_merge_compareILb0ELb1EaNS0_19identity_decomposerEEEEE10hipError_tT0_T1_T2_jT3_P12ihipStream_tbPNSt15iterator_traitsISG_E10value_typeEPNSM_ISH_E10value_typeEPSI_NS1_7vsmem_tEENKUlT_SG_SH_SI_E_clIS7_S7_PlSB_EESF_SV_SG_SH_SI_EUlSV_E_NS1_11comp_targetILNS1_3genE8ELNS1_11target_archE1030ELNS1_3gpuE2ELNS1_3repE0EEENS1_48merge_mergepath_partition_config_static_selectorELNS0_4arch9wavefront6targetE1EEEvSH_.kd
    .uniform_work_group_size: 1
    .uses_dynamic_stack: false
    .vgpr_count:     0
    .vgpr_spill_count: 0
    .wavefront_size: 64
  - .agpr_count:     0
    .args:
      - .offset:         0
        .size:           64
        .value_kind:     by_value
    .group_segment_fixed_size: 0
    .kernarg_segment_align: 8
    .kernarg_segment_size: 64
    .language:       OpenCL C
    .language_version:
      - 2
      - 0
    .max_flat_workgroup_size: 512
    .name:           _ZN7rocprim17ROCPRIM_400000_NS6detail17trampoline_kernelINS0_14default_configENS1_38merge_sort_block_merge_config_selectorIalEEZZNS1_27merge_sort_block_merge_implIS3_PaN6thrust23THRUST_200600_302600_NS10device_ptrIlEEjNS1_19radix_merge_compareILb0ELb1EaNS0_19identity_decomposerEEEEE10hipError_tT0_T1_T2_jT3_P12ihipStream_tbPNSt15iterator_traitsISG_E10value_typeEPNSM_ISH_E10value_typeEPSI_NS1_7vsmem_tEENKUlT_SG_SH_SI_E_clIS7_S7_PlSB_EESF_SV_SG_SH_SI_EUlSV_E0_NS1_11comp_targetILNS1_3genE0ELNS1_11target_archE4294967295ELNS1_3gpuE0ELNS1_3repE0EEENS1_38merge_mergepath_config_static_selectorELNS0_4arch9wavefront6targetE1EEEvSH_
    .private_segment_fixed_size: 0
    .sgpr_count:     4
    .sgpr_spill_count: 0
    .symbol:         _ZN7rocprim17ROCPRIM_400000_NS6detail17trampoline_kernelINS0_14default_configENS1_38merge_sort_block_merge_config_selectorIalEEZZNS1_27merge_sort_block_merge_implIS3_PaN6thrust23THRUST_200600_302600_NS10device_ptrIlEEjNS1_19radix_merge_compareILb0ELb1EaNS0_19identity_decomposerEEEEE10hipError_tT0_T1_T2_jT3_P12ihipStream_tbPNSt15iterator_traitsISG_E10value_typeEPNSM_ISH_E10value_typeEPSI_NS1_7vsmem_tEENKUlT_SG_SH_SI_E_clIS7_S7_PlSB_EESF_SV_SG_SH_SI_EUlSV_E0_NS1_11comp_targetILNS1_3genE0ELNS1_11target_archE4294967295ELNS1_3gpuE0ELNS1_3repE0EEENS1_38merge_mergepath_config_static_selectorELNS0_4arch9wavefront6targetE1EEEvSH_.kd
    .uniform_work_group_size: 1
    .uses_dynamic_stack: false
    .vgpr_count:     0
    .vgpr_spill_count: 0
    .wavefront_size: 64
  - .agpr_count:     0
    .args:
      - .offset:         0
        .size:           64
        .value_kind:     by_value
    .group_segment_fixed_size: 0
    .kernarg_segment_align: 8
    .kernarg_segment_size: 64
    .language:       OpenCL C
    .language_version:
      - 2
      - 0
    .max_flat_workgroup_size: 128
    .name:           _ZN7rocprim17ROCPRIM_400000_NS6detail17trampoline_kernelINS0_14default_configENS1_38merge_sort_block_merge_config_selectorIalEEZZNS1_27merge_sort_block_merge_implIS3_PaN6thrust23THRUST_200600_302600_NS10device_ptrIlEEjNS1_19radix_merge_compareILb0ELb1EaNS0_19identity_decomposerEEEEE10hipError_tT0_T1_T2_jT3_P12ihipStream_tbPNSt15iterator_traitsISG_E10value_typeEPNSM_ISH_E10value_typeEPSI_NS1_7vsmem_tEENKUlT_SG_SH_SI_E_clIS7_S7_PlSB_EESF_SV_SG_SH_SI_EUlSV_E0_NS1_11comp_targetILNS1_3genE10ELNS1_11target_archE1201ELNS1_3gpuE5ELNS1_3repE0EEENS1_38merge_mergepath_config_static_selectorELNS0_4arch9wavefront6targetE1EEEvSH_
    .private_segment_fixed_size: 0
    .sgpr_count:     4
    .sgpr_spill_count: 0
    .symbol:         _ZN7rocprim17ROCPRIM_400000_NS6detail17trampoline_kernelINS0_14default_configENS1_38merge_sort_block_merge_config_selectorIalEEZZNS1_27merge_sort_block_merge_implIS3_PaN6thrust23THRUST_200600_302600_NS10device_ptrIlEEjNS1_19radix_merge_compareILb0ELb1EaNS0_19identity_decomposerEEEEE10hipError_tT0_T1_T2_jT3_P12ihipStream_tbPNSt15iterator_traitsISG_E10value_typeEPNSM_ISH_E10value_typeEPSI_NS1_7vsmem_tEENKUlT_SG_SH_SI_E_clIS7_S7_PlSB_EESF_SV_SG_SH_SI_EUlSV_E0_NS1_11comp_targetILNS1_3genE10ELNS1_11target_archE1201ELNS1_3gpuE5ELNS1_3repE0EEENS1_38merge_mergepath_config_static_selectorELNS0_4arch9wavefront6targetE1EEEvSH_.kd
    .uniform_work_group_size: 1
    .uses_dynamic_stack: false
    .vgpr_count:     0
    .vgpr_spill_count: 0
    .wavefront_size: 64
  - .agpr_count:     0
    .args:
      - .offset:         0
        .size:           64
        .value_kind:     by_value
    .group_segment_fixed_size: 0
    .kernarg_segment_align: 8
    .kernarg_segment_size: 64
    .language:       OpenCL C
    .language_version:
      - 2
      - 0
    .max_flat_workgroup_size: 128
    .name:           _ZN7rocprim17ROCPRIM_400000_NS6detail17trampoline_kernelINS0_14default_configENS1_38merge_sort_block_merge_config_selectorIalEEZZNS1_27merge_sort_block_merge_implIS3_PaN6thrust23THRUST_200600_302600_NS10device_ptrIlEEjNS1_19radix_merge_compareILb0ELb1EaNS0_19identity_decomposerEEEEE10hipError_tT0_T1_T2_jT3_P12ihipStream_tbPNSt15iterator_traitsISG_E10value_typeEPNSM_ISH_E10value_typeEPSI_NS1_7vsmem_tEENKUlT_SG_SH_SI_E_clIS7_S7_PlSB_EESF_SV_SG_SH_SI_EUlSV_E0_NS1_11comp_targetILNS1_3genE5ELNS1_11target_archE942ELNS1_3gpuE9ELNS1_3repE0EEENS1_38merge_mergepath_config_static_selectorELNS0_4arch9wavefront6targetE1EEEvSH_
    .private_segment_fixed_size: 0
    .sgpr_count:     4
    .sgpr_spill_count: 0
    .symbol:         _ZN7rocprim17ROCPRIM_400000_NS6detail17trampoline_kernelINS0_14default_configENS1_38merge_sort_block_merge_config_selectorIalEEZZNS1_27merge_sort_block_merge_implIS3_PaN6thrust23THRUST_200600_302600_NS10device_ptrIlEEjNS1_19radix_merge_compareILb0ELb1EaNS0_19identity_decomposerEEEEE10hipError_tT0_T1_T2_jT3_P12ihipStream_tbPNSt15iterator_traitsISG_E10value_typeEPNSM_ISH_E10value_typeEPSI_NS1_7vsmem_tEENKUlT_SG_SH_SI_E_clIS7_S7_PlSB_EESF_SV_SG_SH_SI_EUlSV_E0_NS1_11comp_targetILNS1_3genE5ELNS1_11target_archE942ELNS1_3gpuE9ELNS1_3repE0EEENS1_38merge_mergepath_config_static_selectorELNS0_4arch9wavefront6targetE1EEEvSH_.kd
    .uniform_work_group_size: 1
    .uses_dynamic_stack: false
    .vgpr_count:     0
    .vgpr_spill_count: 0
    .wavefront_size: 64
  - .agpr_count:     0
    .args:
      - .offset:         0
        .size:           64
        .value_kind:     by_value
      - .offset:         64
        .size:           4
        .value_kind:     hidden_block_count_x
      - .offset:         68
        .size:           4
        .value_kind:     hidden_block_count_y
      - .offset:         72
        .size:           4
        .value_kind:     hidden_block_count_z
      - .offset:         76
        .size:           2
        .value_kind:     hidden_group_size_x
      - .offset:         78
        .size:           2
        .value_kind:     hidden_group_size_y
      - .offset:         80
        .size:           2
        .value_kind:     hidden_group_size_z
      - .offset:         82
        .size:           2
        .value_kind:     hidden_remainder_x
      - .offset:         84
        .size:           2
        .value_kind:     hidden_remainder_y
      - .offset:         86
        .size:           2
        .value_kind:     hidden_remainder_z
      - .offset:         104
        .size:           8
        .value_kind:     hidden_global_offset_x
      - .offset:         112
        .size:           8
        .value_kind:     hidden_global_offset_y
      - .offset:         120
        .size:           8
        .value_kind:     hidden_global_offset_z
      - .offset:         128
        .size:           2
        .value_kind:     hidden_grid_dims
    .group_segment_fixed_size: 8448
    .kernarg_segment_align: 8
    .kernarg_segment_size: 320
    .language:       OpenCL C
    .language_version:
      - 2
      - 0
    .max_flat_workgroup_size: 256
    .name:           _ZN7rocprim17ROCPRIM_400000_NS6detail17trampoline_kernelINS0_14default_configENS1_38merge_sort_block_merge_config_selectorIalEEZZNS1_27merge_sort_block_merge_implIS3_PaN6thrust23THRUST_200600_302600_NS10device_ptrIlEEjNS1_19radix_merge_compareILb0ELb1EaNS0_19identity_decomposerEEEEE10hipError_tT0_T1_T2_jT3_P12ihipStream_tbPNSt15iterator_traitsISG_E10value_typeEPNSM_ISH_E10value_typeEPSI_NS1_7vsmem_tEENKUlT_SG_SH_SI_E_clIS7_S7_PlSB_EESF_SV_SG_SH_SI_EUlSV_E0_NS1_11comp_targetILNS1_3genE4ELNS1_11target_archE910ELNS1_3gpuE8ELNS1_3repE0EEENS1_38merge_mergepath_config_static_selectorELNS0_4arch9wavefront6targetE1EEEvSH_
    .private_segment_fixed_size: 0
    .sgpr_count:     36
    .sgpr_spill_count: 0
    .symbol:         _ZN7rocprim17ROCPRIM_400000_NS6detail17trampoline_kernelINS0_14default_configENS1_38merge_sort_block_merge_config_selectorIalEEZZNS1_27merge_sort_block_merge_implIS3_PaN6thrust23THRUST_200600_302600_NS10device_ptrIlEEjNS1_19radix_merge_compareILb0ELb1EaNS0_19identity_decomposerEEEEE10hipError_tT0_T1_T2_jT3_P12ihipStream_tbPNSt15iterator_traitsISG_E10value_typeEPNSM_ISH_E10value_typeEPSI_NS1_7vsmem_tEENKUlT_SG_SH_SI_E_clIS7_S7_PlSB_EESF_SV_SG_SH_SI_EUlSV_E0_NS1_11comp_targetILNS1_3genE4ELNS1_11target_archE910ELNS1_3gpuE8ELNS1_3repE0EEENS1_38merge_mergepath_config_static_selectorELNS0_4arch9wavefront6targetE1EEEvSH_.kd
    .uniform_work_group_size: 1
    .uses_dynamic_stack: false
    .vgpr_count:     36
    .vgpr_spill_count: 0
    .wavefront_size: 64
  - .agpr_count:     0
    .args:
      - .offset:         0
        .size:           64
        .value_kind:     by_value
    .group_segment_fixed_size: 0
    .kernarg_segment_align: 8
    .kernarg_segment_size: 64
    .language:       OpenCL C
    .language_version:
      - 2
      - 0
    .max_flat_workgroup_size: 512
    .name:           _ZN7rocprim17ROCPRIM_400000_NS6detail17trampoline_kernelINS0_14default_configENS1_38merge_sort_block_merge_config_selectorIalEEZZNS1_27merge_sort_block_merge_implIS3_PaN6thrust23THRUST_200600_302600_NS10device_ptrIlEEjNS1_19radix_merge_compareILb0ELb1EaNS0_19identity_decomposerEEEEE10hipError_tT0_T1_T2_jT3_P12ihipStream_tbPNSt15iterator_traitsISG_E10value_typeEPNSM_ISH_E10value_typeEPSI_NS1_7vsmem_tEENKUlT_SG_SH_SI_E_clIS7_S7_PlSB_EESF_SV_SG_SH_SI_EUlSV_E0_NS1_11comp_targetILNS1_3genE3ELNS1_11target_archE908ELNS1_3gpuE7ELNS1_3repE0EEENS1_38merge_mergepath_config_static_selectorELNS0_4arch9wavefront6targetE1EEEvSH_
    .private_segment_fixed_size: 0
    .sgpr_count:     4
    .sgpr_spill_count: 0
    .symbol:         _ZN7rocprim17ROCPRIM_400000_NS6detail17trampoline_kernelINS0_14default_configENS1_38merge_sort_block_merge_config_selectorIalEEZZNS1_27merge_sort_block_merge_implIS3_PaN6thrust23THRUST_200600_302600_NS10device_ptrIlEEjNS1_19radix_merge_compareILb0ELb1EaNS0_19identity_decomposerEEEEE10hipError_tT0_T1_T2_jT3_P12ihipStream_tbPNSt15iterator_traitsISG_E10value_typeEPNSM_ISH_E10value_typeEPSI_NS1_7vsmem_tEENKUlT_SG_SH_SI_E_clIS7_S7_PlSB_EESF_SV_SG_SH_SI_EUlSV_E0_NS1_11comp_targetILNS1_3genE3ELNS1_11target_archE908ELNS1_3gpuE7ELNS1_3repE0EEENS1_38merge_mergepath_config_static_selectorELNS0_4arch9wavefront6targetE1EEEvSH_.kd
    .uniform_work_group_size: 1
    .uses_dynamic_stack: false
    .vgpr_count:     0
    .vgpr_spill_count: 0
    .wavefront_size: 64
  - .agpr_count:     0
    .args:
      - .offset:         0
        .size:           64
        .value_kind:     by_value
    .group_segment_fixed_size: 0
    .kernarg_segment_align: 8
    .kernarg_segment_size: 64
    .language:       OpenCL C
    .language_version:
      - 2
      - 0
    .max_flat_workgroup_size: 256
    .name:           _ZN7rocprim17ROCPRIM_400000_NS6detail17trampoline_kernelINS0_14default_configENS1_38merge_sort_block_merge_config_selectorIalEEZZNS1_27merge_sort_block_merge_implIS3_PaN6thrust23THRUST_200600_302600_NS10device_ptrIlEEjNS1_19radix_merge_compareILb0ELb1EaNS0_19identity_decomposerEEEEE10hipError_tT0_T1_T2_jT3_P12ihipStream_tbPNSt15iterator_traitsISG_E10value_typeEPNSM_ISH_E10value_typeEPSI_NS1_7vsmem_tEENKUlT_SG_SH_SI_E_clIS7_S7_PlSB_EESF_SV_SG_SH_SI_EUlSV_E0_NS1_11comp_targetILNS1_3genE2ELNS1_11target_archE906ELNS1_3gpuE6ELNS1_3repE0EEENS1_38merge_mergepath_config_static_selectorELNS0_4arch9wavefront6targetE1EEEvSH_
    .private_segment_fixed_size: 0
    .sgpr_count:     4
    .sgpr_spill_count: 0
    .symbol:         _ZN7rocprim17ROCPRIM_400000_NS6detail17trampoline_kernelINS0_14default_configENS1_38merge_sort_block_merge_config_selectorIalEEZZNS1_27merge_sort_block_merge_implIS3_PaN6thrust23THRUST_200600_302600_NS10device_ptrIlEEjNS1_19radix_merge_compareILb0ELb1EaNS0_19identity_decomposerEEEEE10hipError_tT0_T1_T2_jT3_P12ihipStream_tbPNSt15iterator_traitsISG_E10value_typeEPNSM_ISH_E10value_typeEPSI_NS1_7vsmem_tEENKUlT_SG_SH_SI_E_clIS7_S7_PlSB_EESF_SV_SG_SH_SI_EUlSV_E0_NS1_11comp_targetILNS1_3genE2ELNS1_11target_archE906ELNS1_3gpuE6ELNS1_3repE0EEENS1_38merge_mergepath_config_static_selectorELNS0_4arch9wavefront6targetE1EEEvSH_.kd
    .uniform_work_group_size: 1
    .uses_dynamic_stack: false
    .vgpr_count:     0
    .vgpr_spill_count: 0
    .wavefront_size: 64
  - .agpr_count:     0
    .args:
      - .offset:         0
        .size:           64
        .value_kind:     by_value
    .group_segment_fixed_size: 0
    .kernarg_segment_align: 8
    .kernarg_segment_size: 64
    .language:       OpenCL C
    .language_version:
      - 2
      - 0
    .max_flat_workgroup_size: 512
    .name:           _ZN7rocprim17ROCPRIM_400000_NS6detail17trampoline_kernelINS0_14default_configENS1_38merge_sort_block_merge_config_selectorIalEEZZNS1_27merge_sort_block_merge_implIS3_PaN6thrust23THRUST_200600_302600_NS10device_ptrIlEEjNS1_19radix_merge_compareILb0ELb1EaNS0_19identity_decomposerEEEEE10hipError_tT0_T1_T2_jT3_P12ihipStream_tbPNSt15iterator_traitsISG_E10value_typeEPNSM_ISH_E10value_typeEPSI_NS1_7vsmem_tEENKUlT_SG_SH_SI_E_clIS7_S7_PlSB_EESF_SV_SG_SH_SI_EUlSV_E0_NS1_11comp_targetILNS1_3genE9ELNS1_11target_archE1100ELNS1_3gpuE3ELNS1_3repE0EEENS1_38merge_mergepath_config_static_selectorELNS0_4arch9wavefront6targetE1EEEvSH_
    .private_segment_fixed_size: 0
    .sgpr_count:     4
    .sgpr_spill_count: 0
    .symbol:         _ZN7rocprim17ROCPRIM_400000_NS6detail17trampoline_kernelINS0_14default_configENS1_38merge_sort_block_merge_config_selectorIalEEZZNS1_27merge_sort_block_merge_implIS3_PaN6thrust23THRUST_200600_302600_NS10device_ptrIlEEjNS1_19radix_merge_compareILb0ELb1EaNS0_19identity_decomposerEEEEE10hipError_tT0_T1_T2_jT3_P12ihipStream_tbPNSt15iterator_traitsISG_E10value_typeEPNSM_ISH_E10value_typeEPSI_NS1_7vsmem_tEENKUlT_SG_SH_SI_E_clIS7_S7_PlSB_EESF_SV_SG_SH_SI_EUlSV_E0_NS1_11comp_targetILNS1_3genE9ELNS1_11target_archE1100ELNS1_3gpuE3ELNS1_3repE0EEENS1_38merge_mergepath_config_static_selectorELNS0_4arch9wavefront6targetE1EEEvSH_.kd
    .uniform_work_group_size: 1
    .uses_dynamic_stack: false
    .vgpr_count:     0
    .vgpr_spill_count: 0
    .wavefront_size: 64
  - .agpr_count:     0
    .args:
      - .offset:         0
        .size:           64
        .value_kind:     by_value
    .group_segment_fixed_size: 0
    .kernarg_segment_align: 8
    .kernarg_segment_size: 64
    .language:       OpenCL C
    .language_version:
      - 2
      - 0
    .max_flat_workgroup_size: 1024
    .name:           _ZN7rocprim17ROCPRIM_400000_NS6detail17trampoline_kernelINS0_14default_configENS1_38merge_sort_block_merge_config_selectorIalEEZZNS1_27merge_sort_block_merge_implIS3_PaN6thrust23THRUST_200600_302600_NS10device_ptrIlEEjNS1_19radix_merge_compareILb0ELb1EaNS0_19identity_decomposerEEEEE10hipError_tT0_T1_T2_jT3_P12ihipStream_tbPNSt15iterator_traitsISG_E10value_typeEPNSM_ISH_E10value_typeEPSI_NS1_7vsmem_tEENKUlT_SG_SH_SI_E_clIS7_S7_PlSB_EESF_SV_SG_SH_SI_EUlSV_E0_NS1_11comp_targetILNS1_3genE8ELNS1_11target_archE1030ELNS1_3gpuE2ELNS1_3repE0EEENS1_38merge_mergepath_config_static_selectorELNS0_4arch9wavefront6targetE1EEEvSH_
    .private_segment_fixed_size: 0
    .sgpr_count:     4
    .sgpr_spill_count: 0
    .symbol:         _ZN7rocprim17ROCPRIM_400000_NS6detail17trampoline_kernelINS0_14default_configENS1_38merge_sort_block_merge_config_selectorIalEEZZNS1_27merge_sort_block_merge_implIS3_PaN6thrust23THRUST_200600_302600_NS10device_ptrIlEEjNS1_19radix_merge_compareILb0ELb1EaNS0_19identity_decomposerEEEEE10hipError_tT0_T1_T2_jT3_P12ihipStream_tbPNSt15iterator_traitsISG_E10value_typeEPNSM_ISH_E10value_typeEPSI_NS1_7vsmem_tEENKUlT_SG_SH_SI_E_clIS7_S7_PlSB_EESF_SV_SG_SH_SI_EUlSV_E0_NS1_11comp_targetILNS1_3genE8ELNS1_11target_archE1030ELNS1_3gpuE2ELNS1_3repE0EEENS1_38merge_mergepath_config_static_selectorELNS0_4arch9wavefront6targetE1EEEvSH_.kd
    .uniform_work_group_size: 1
    .uses_dynamic_stack: false
    .vgpr_count:     0
    .vgpr_spill_count: 0
    .wavefront_size: 64
  - .agpr_count:     0
    .args:
      - .offset:         0
        .size:           48
        .value_kind:     by_value
    .group_segment_fixed_size: 0
    .kernarg_segment_align: 8
    .kernarg_segment_size: 48
    .language:       OpenCL C
    .language_version:
      - 2
      - 0
    .max_flat_workgroup_size: 256
    .name:           _ZN7rocprim17ROCPRIM_400000_NS6detail17trampoline_kernelINS0_14default_configENS1_38merge_sort_block_merge_config_selectorIalEEZZNS1_27merge_sort_block_merge_implIS3_PaN6thrust23THRUST_200600_302600_NS10device_ptrIlEEjNS1_19radix_merge_compareILb0ELb1EaNS0_19identity_decomposerEEEEE10hipError_tT0_T1_T2_jT3_P12ihipStream_tbPNSt15iterator_traitsISG_E10value_typeEPNSM_ISH_E10value_typeEPSI_NS1_7vsmem_tEENKUlT_SG_SH_SI_E_clIS7_S7_PlSB_EESF_SV_SG_SH_SI_EUlSV_E1_NS1_11comp_targetILNS1_3genE0ELNS1_11target_archE4294967295ELNS1_3gpuE0ELNS1_3repE0EEENS1_36merge_oddeven_config_static_selectorELNS0_4arch9wavefront6targetE1EEEvSH_
    .private_segment_fixed_size: 0
    .sgpr_count:     4
    .sgpr_spill_count: 0
    .symbol:         _ZN7rocprim17ROCPRIM_400000_NS6detail17trampoline_kernelINS0_14default_configENS1_38merge_sort_block_merge_config_selectorIalEEZZNS1_27merge_sort_block_merge_implIS3_PaN6thrust23THRUST_200600_302600_NS10device_ptrIlEEjNS1_19radix_merge_compareILb0ELb1EaNS0_19identity_decomposerEEEEE10hipError_tT0_T1_T2_jT3_P12ihipStream_tbPNSt15iterator_traitsISG_E10value_typeEPNSM_ISH_E10value_typeEPSI_NS1_7vsmem_tEENKUlT_SG_SH_SI_E_clIS7_S7_PlSB_EESF_SV_SG_SH_SI_EUlSV_E1_NS1_11comp_targetILNS1_3genE0ELNS1_11target_archE4294967295ELNS1_3gpuE0ELNS1_3repE0EEENS1_36merge_oddeven_config_static_selectorELNS0_4arch9wavefront6targetE1EEEvSH_.kd
    .uniform_work_group_size: 1
    .uses_dynamic_stack: false
    .vgpr_count:     0
    .vgpr_spill_count: 0
    .wavefront_size: 64
  - .agpr_count:     0
    .args:
      - .offset:         0
        .size:           48
        .value_kind:     by_value
    .group_segment_fixed_size: 0
    .kernarg_segment_align: 8
    .kernarg_segment_size: 48
    .language:       OpenCL C
    .language_version:
      - 2
      - 0
    .max_flat_workgroup_size: 256
    .name:           _ZN7rocprim17ROCPRIM_400000_NS6detail17trampoline_kernelINS0_14default_configENS1_38merge_sort_block_merge_config_selectorIalEEZZNS1_27merge_sort_block_merge_implIS3_PaN6thrust23THRUST_200600_302600_NS10device_ptrIlEEjNS1_19radix_merge_compareILb0ELb1EaNS0_19identity_decomposerEEEEE10hipError_tT0_T1_T2_jT3_P12ihipStream_tbPNSt15iterator_traitsISG_E10value_typeEPNSM_ISH_E10value_typeEPSI_NS1_7vsmem_tEENKUlT_SG_SH_SI_E_clIS7_S7_PlSB_EESF_SV_SG_SH_SI_EUlSV_E1_NS1_11comp_targetILNS1_3genE10ELNS1_11target_archE1201ELNS1_3gpuE5ELNS1_3repE0EEENS1_36merge_oddeven_config_static_selectorELNS0_4arch9wavefront6targetE1EEEvSH_
    .private_segment_fixed_size: 0
    .sgpr_count:     4
    .sgpr_spill_count: 0
    .symbol:         _ZN7rocprim17ROCPRIM_400000_NS6detail17trampoline_kernelINS0_14default_configENS1_38merge_sort_block_merge_config_selectorIalEEZZNS1_27merge_sort_block_merge_implIS3_PaN6thrust23THRUST_200600_302600_NS10device_ptrIlEEjNS1_19radix_merge_compareILb0ELb1EaNS0_19identity_decomposerEEEEE10hipError_tT0_T1_T2_jT3_P12ihipStream_tbPNSt15iterator_traitsISG_E10value_typeEPNSM_ISH_E10value_typeEPSI_NS1_7vsmem_tEENKUlT_SG_SH_SI_E_clIS7_S7_PlSB_EESF_SV_SG_SH_SI_EUlSV_E1_NS1_11comp_targetILNS1_3genE10ELNS1_11target_archE1201ELNS1_3gpuE5ELNS1_3repE0EEENS1_36merge_oddeven_config_static_selectorELNS0_4arch9wavefront6targetE1EEEvSH_.kd
    .uniform_work_group_size: 1
    .uses_dynamic_stack: false
    .vgpr_count:     0
    .vgpr_spill_count: 0
    .wavefront_size: 64
  - .agpr_count:     0
    .args:
      - .offset:         0
        .size:           48
        .value_kind:     by_value
    .group_segment_fixed_size: 0
    .kernarg_segment_align: 8
    .kernarg_segment_size: 48
    .language:       OpenCL C
    .language_version:
      - 2
      - 0
    .max_flat_workgroup_size: 256
    .name:           _ZN7rocprim17ROCPRIM_400000_NS6detail17trampoline_kernelINS0_14default_configENS1_38merge_sort_block_merge_config_selectorIalEEZZNS1_27merge_sort_block_merge_implIS3_PaN6thrust23THRUST_200600_302600_NS10device_ptrIlEEjNS1_19radix_merge_compareILb0ELb1EaNS0_19identity_decomposerEEEEE10hipError_tT0_T1_T2_jT3_P12ihipStream_tbPNSt15iterator_traitsISG_E10value_typeEPNSM_ISH_E10value_typeEPSI_NS1_7vsmem_tEENKUlT_SG_SH_SI_E_clIS7_S7_PlSB_EESF_SV_SG_SH_SI_EUlSV_E1_NS1_11comp_targetILNS1_3genE5ELNS1_11target_archE942ELNS1_3gpuE9ELNS1_3repE0EEENS1_36merge_oddeven_config_static_selectorELNS0_4arch9wavefront6targetE1EEEvSH_
    .private_segment_fixed_size: 0
    .sgpr_count:     4
    .sgpr_spill_count: 0
    .symbol:         _ZN7rocprim17ROCPRIM_400000_NS6detail17trampoline_kernelINS0_14default_configENS1_38merge_sort_block_merge_config_selectorIalEEZZNS1_27merge_sort_block_merge_implIS3_PaN6thrust23THRUST_200600_302600_NS10device_ptrIlEEjNS1_19radix_merge_compareILb0ELb1EaNS0_19identity_decomposerEEEEE10hipError_tT0_T1_T2_jT3_P12ihipStream_tbPNSt15iterator_traitsISG_E10value_typeEPNSM_ISH_E10value_typeEPSI_NS1_7vsmem_tEENKUlT_SG_SH_SI_E_clIS7_S7_PlSB_EESF_SV_SG_SH_SI_EUlSV_E1_NS1_11comp_targetILNS1_3genE5ELNS1_11target_archE942ELNS1_3gpuE9ELNS1_3repE0EEENS1_36merge_oddeven_config_static_selectorELNS0_4arch9wavefront6targetE1EEEvSH_.kd
    .uniform_work_group_size: 1
    .uses_dynamic_stack: false
    .vgpr_count:     0
    .vgpr_spill_count: 0
    .wavefront_size: 64
  - .agpr_count:     0
    .args:
      - .offset:         0
        .size:           48
        .value_kind:     by_value
    .group_segment_fixed_size: 0
    .kernarg_segment_align: 8
    .kernarg_segment_size: 48
    .language:       OpenCL C
    .language_version:
      - 2
      - 0
    .max_flat_workgroup_size: 256
    .name:           _ZN7rocprim17ROCPRIM_400000_NS6detail17trampoline_kernelINS0_14default_configENS1_38merge_sort_block_merge_config_selectorIalEEZZNS1_27merge_sort_block_merge_implIS3_PaN6thrust23THRUST_200600_302600_NS10device_ptrIlEEjNS1_19radix_merge_compareILb0ELb1EaNS0_19identity_decomposerEEEEE10hipError_tT0_T1_T2_jT3_P12ihipStream_tbPNSt15iterator_traitsISG_E10value_typeEPNSM_ISH_E10value_typeEPSI_NS1_7vsmem_tEENKUlT_SG_SH_SI_E_clIS7_S7_PlSB_EESF_SV_SG_SH_SI_EUlSV_E1_NS1_11comp_targetILNS1_3genE4ELNS1_11target_archE910ELNS1_3gpuE8ELNS1_3repE0EEENS1_36merge_oddeven_config_static_selectorELNS0_4arch9wavefront6targetE1EEEvSH_
    .private_segment_fixed_size: 0
    .sgpr_count:     28
    .sgpr_spill_count: 0
    .symbol:         _ZN7rocprim17ROCPRIM_400000_NS6detail17trampoline_kernelINS0_14default_configENS1_38merge_sort_block_merge_config_selectorIalEEZZNS1_27merge_sort_block_merge_implIS3_PaN6thrust23THRUST_200600_302600_NS10device_ptrIlEEjNS1_19radix_merge_compareILb0ELb1EaNS0_19identity_decomposerEEEEE10hipError_tT0_T1_T2_jT3_P12ihipStream_tbPNSt15iterator_traitsISG_E10value_typeEPNSM_ISH_E10value_typeEPSI_NS1_7vsmem_tEENKUlT_SG_SH_SI_E_clIS7_S7_PlSB_EESF_SV_SG_SH_SI_EUlSV_E1_NS1_11comp_targetILNS1_3genE4ELNS1_11target_archE910ELNS1_3gpuE8ELNS1_3repE0EEENS1_36merge_oddeven_config_static_selectorELNS0_4arch9wavefront6targetE1EEEvSH_.kd
    .uniform_work_group_size: 1
    .uses_dynamic_stack: false
    .vgpr_count:     11
    .vgpr_spill_count: 0
    .wavefront_size: 64
  - .agpr_count:     0
    .args:
      - .offset:         0
        .size:           48
        .value_kind:     by_value
    .group_segment_fixed_size: 0
    .kernarg_segment_align: 8
    .kernarg_segment_size: 48
    .language:       OpenCL C
    .language_version:
      - 2
      - 0
    .max_flat_workgroup_size: 256
    .name:           _ZN7rocprim17ROCPRIM_400000_NS6detail17trampoline_kernelINS0_14default_configENS1_38merge_sort_block_merge_config_selectorIalEEZZNS1_27merge_sort_block_merge_implIS3_PaN6thrust23THRUST_200600_302600_NS10device_ptrIlEEjNS1_19radix_merge_compareILb0ELb1EaNS0_19identity_decomposerEEEEE10hipError_tT0_T1_T2_jT3_P12ihipStream_tbPNSt15iterator_traitsISG_E10value_typeEPNSM_ISH_E10value_typeEPSI_NS1_7vsmem_tEENKUlT_SG_SH_SI_E_clIS7_S7_PlSB_EESF_SV_SG_SH_SI_EUlSV_E1_NS1_11comp_targetILNS1_3genE3ELNS1_11target_archE908ELNS1_3gpuE7ELNS1_3repE0EEENS1_36merge_oddeven_config_static_selectorELNS0_4arch9wavefront6targetE1EEEvSH_
    .private_segment_fixed_size: 0
    .sgpr_count:     4
    .sgpr_spill_count: 0
    .symbol:         _ZN7rocprim17ROCPRIM_400000_NS6detail17trampoline_kernelINS0_14default_configENS1_38merge_sort_block_merge_config_selectorIalEEZZNS1_27merge_sort_block_merge_implIS3_PaN6thrust23THRUST_200600_302600_NS10device_ptrIlEEjNS1_19radix_merge_compareILb0ELb1EaNS0_19identity_decomposerEEEEE10hipError_tT0_T1_T2_jT3_P12ihipStream_tbPNSt15iterator_traitsISG_E10value_typeEPNSM_ISH_E10value_typeEPSI_NS1_7vsmem_tEENKUlT_SG_SH_SI_E_clIS7_S7_PlSB_EESF_SV_SG_SH_SI_EUlSV_E1_NS1_11comp_targetILNS1_3genE3ELNS1_11target_archE908ELNS1_3gpuE7ELNS1_3repE0EEENS1_36merge_oddeven_config_static_selectorELNS0_4arch9wavefront6targetE1EEEvSH_.kd
    .uniform_work_group_size: 1
    .uses_dynamic_stack: false
    .vgpr_count:     0
    .vgpr_spill_count: 0
    .wavefront_size: 64
  - .agpr_count:     0
    .args:
      - .offset:         0
        .size:           48
        .value_kind:     by_value
    .group_segment_fixed_size: 0
    .kernarg_segment_align: 8
    .kernarg_segment_size: 48
    .language:       OpenCL C
    .language_version:
      - 2
      - 0
    .max_flat_workgroup_size: 256
    .name:           _ZN7rocprim17ROCPRIM_400000_NS6detail17trampoline_kernelINS0_14default_configENS1_38merge_sort_block_merge_config_selectorIalEEZZNS1_27merge_sort_block_merge_implIS3_PaN6thrust23THRUST_200600_302600_NS10device_ptrIlEEjNS1_19radix_merge_compareILb0ELb1EaNS0_19identity_decomposerEEEEE10hipError_tT0_T1_T2_jT3_P12ihipStream_tbPNSt15iterator_traitsISG_E10value_typeEPNSM_ISH_E10value_typeEPSI_NS1_7vsmem_tEENKUlT_SG_SH_SI_E_clIS7_S7_PlSB_EESF_SV_SG_SH_SI_EUlSV_E1_NS1_11comp_targetILNS1_3genE2ELNS1_11target_archE906ELNS1_3gpuE6ELNS1_3repE0EEENS1_36merge_oddeven_config_static_selectorELNS0_4arch9wavefront6targetE1EEEvSH_
    .private_segment_fixed_size: 0
    .sgpr_count:     4
    .sgpr_spill_count: 0
    .symbol:         _ZN7rocprim17ROCPRIM_400000_NS6detail17trampoline_kernelINS0_14default_configENS1_38merge_sort_block_merge_config_selectorIalEEZZNS1_27merge_sort_block_merge_implIS3_PaN6thrust23THRUST_200600_302600_NS10device_ptrIlEEjNS1_19radix_merge_compareILb0ELb1EaNS0_19identity_decomposerEEEEE10hipError_tT0_T1_T2_jT3_P12ihipStream_tbPNSt15iterator_traitsISG_E10value_typeEPNSM_ISH_E10value_typeEPSI_NS1_7vsmem_tEENKUlT_SG_SH_SI_E_clIS7_S7_PlSB_EESF_SV_SG_SH_SI_EUlSV_E1_NS1_11comp_targetILNS1_3genE2ELNS1_11target_archE906ELNS1_3gpuE6ELNS1_3repE0EEENS1_36merge_oddeven_config_static_selectorELNS0_4arch9wavefront6targetE1EEEvSH_.kd
    .uniform_work_group_size: 1
    .uses_dynamic_stack: false
    .vgpr_count:     0
    .vgpr_spill_count: 0
    .wavefront_size: 64
  - .agpr_count:     0
    .args:
      - .offset:         0
        .size:           48
        .value_kind:     by_value
    .group_segment_fixed_size: 0
    .kernarg_segment_align: 8
    .kernarg_segment_size: 48
    .language:       OpenCL C
    .language_version:
      - 2
      - 0
    .max_flat_workgroup_size: 256
    .name:           _ZN7rocprim17ROCPRIM_400000_NS6detail17trampoline_kernelINS0_14default_configENS1_38merge_sort_block_merge_config_selectorIalEEZZNS1_27merge_sort_block_merge_implIS3_PaN6thrust23THRUST_200600_302600_NS10device_ptrIlEEjNS1_19radix_merge_compareILb0ELb1EaNS0_19identity_decomposerEEEEE10hipError_tT0_T1_T2_jT3_P12ihipStream_tbPNSt15iterator_traitsISG_E10value_typeEPNSM_ISH_E10value_typeEPSI_NS1_7vsmem_tEENKUlT_SG_SH_SI_E_clIS7_S7_PlSB_EESF_SV_SG_SH_SI_EUlSV_E1_NS1_11comp_targetILNS1_3genE9ELNS1_11target_archE1100ELNS1_3gpuE3ELNS1_3repE0EEENS1_36merge_oddeven_config_static_selectorELNS0_4arch9wavefront6targetE1EEEvSH_
    .private_segment_fixed_size: 0
    .sgpr_count:     4
    .sgpr_spill_count: 0
    .symbol:         _ZN7rocprim17ROCPRIM_400000_NS6detail17trampoline_kernelINS0_14default_configENS1_38merge_sort_block_merge_config_selectorIalEEZZNS1_27merge_sort_block_merge_implIS3_PaN6thrust23THRUST_200600_302600_NS10device_ptrIlEEjNS1_19radix_merge_compareILb0ELb1EaNS0_19identity_decomposerEEEEE10hipError_tT0_T1_T2_jT3_P12ihipStream_tbPNSt15iterator_traitsISG_E10value_typeEPNSM_ISH_E10value_typeEPSI_NS1_7vsmem_tEENKUlT_SG_SH_SI_E_clIS7_S7_PlSB_EESF_SV_SG_SH_SI_EUlSV_E1_NS1_11comp_targetILNS1_3genE9ELNS1_11target_archE1100ELNS1_3gpuE3ELNS1_3repE0EEENS1_36merge_oddeven_config_static_selectorELNS0_4arch9wavefront6targetE1EEEvSH_.kd
    .uniform_work_group_size: 1
    .uses_dynamic_stack: false
    .vgpr_count:     0
    .vgpr_spill_count: 0
    .wavefront_size: 64
  - .agpr_count:     0
    .args:
      - .offset:         0
        .size:           48
        .value_kind:     by_value
    .group_segment_fixed_size: 0
    .kernarg_segment_align: 8
    .kernarg_segment_size: 48
    .language:       OpenCL C
    .language_version:
      - 2
      - 0
    .max_flat_workgroup_size: 256
    .name:           _ZN7rocprim17ROCPRIM_400000_NS6detail17trampoline_kernelINS0_14default_configENS1_38merge_sort_block_merge_config_selectorIalEEZZNS1_27merge_sort_block_merge_implIS3_PaN6thrust23THRUST_200600_302600_NS10device_ptrIlEEjNS1_19radix_merge_compareILb0ELb1EaNS0_19identity_decomposerEEEEE10hipError_tT0_T1_T2_jT3_P12ihipStream_tbPNSt15iterator_traitsISG_E10value_typeEPNSM_ISH_E10value_typeEPSI_NS1_7vsmem_tEENKUlT_SG_SH_SI_E_clIS7_S7_PlSB_EESF_SV_SG_SH_SI_EUlSV_E1_NS1_11comp_targetILNS1_3genE8ELNS1_11target_archE1030ELNS1_3gpuE2ELNS1_3repE0EEENS1_36merge_oddeven_config_static_selectorELNS0_4arch9wavefront6targetE1EEEvSH_
    .private_segment_fixed_size: 0
    .sgpr_count:     4
    .sgpr_spill_count: 0
    .symbol:         _ZN7rocprim17ROCPRIM_400000_NS6detail17trampoline_kernelINS0_14default_configENS1_38merge_sort_block_merge_config_selectorIalEEZZNS1_27merge_sort_block_merge_implIS3_PaN6thrust23THRUST_200600_302600_NS10device_ptrIlEEjNS1_19radix_merge_compareILb0ELb1EaNS0_19identity_decomposerEEEEE10hipError_tT0_T1_T2_jT3_P12ihipStream_tbPNSt15iterator_traitsISG_E10value_typeEPNSM_ISH_E10value_typeEPSI_NS1_7vsmem_tEENKUlT_SG_SH_SI_E_clIS7_S7_PlSB_EESF_SV_SG_SH_SI_EUlSV_E1_NS1_11comp_targetILNS1_3genE8ELNS1_11target_archE1030ELNS1_3gpuE2ELNS1_3repE0EEENS1_36merge_oddeven_config_static_selectorELNS0_4arch9wavefront6targetE1EEEvSH_.kd
    .uniform_work_group_size: 1
    .uses_dynamic_stack: false
    .vgpr_count:     0
    .vgpr_spill_count: 0
    .wavefront_size: 64
  - .agpr_count:     0
    .args:
      - .offset:         0
        .size:           40
        .value_kind:     by_value
    .group_segment_fixed_size: 0
    .kernarg_segment_align: 8
    .kernarg_segment_size: 40
    .language:       OpenCL C
    .language_version:
      - 2
      - 0
    .max_flat_workgroup_size: 128
    .name:           _ZN7rocprim17ROCPRIM_400000_NS6detail17trampoline_kernelINS0_14default_configENS1_38merge_sort_block_merge_config_selectorIalEEZZNS1_27merge_sort_block_merge_implIS3_PaN6thrust23THRUST_200600_302600_NS10device_ptrIlEEjNS1_19radix_merge_compareILb0ELb1EaNS0_19identity_decomposerEEEEE10hipError_tT0_T1_T2_jT3_P12ihipStream_tbPNSt15iterator_traitsISG_E10value_typeEPNSM_ISH_E10value_typeEPSI_NS1_7vsmem_tEENKUlT_SG_SH_SI_E_clIS7_S7_SB_PlEESF_SV_SG_SH_SI_EUlSV_E_NS1_11comp_targetILNS1_3genE0ELNS1_11target_archE4294967295ELNS1_3gpuE0ELNS1_3repE0EEENS1_48merge_mergepath_partition_config_static_selectorELNS0_4arch9wavefront6targetE1EEEvSH_
    .private_segment_fixed_size: 0
    .sgpr_count:     4
    .sgpr_spill_count: 0
    .symbol:         _ZN7rocprim17ROCPRIM_400000_NS6detail17trampoline_kernelINS0_14default_configENS1_38merge_sort_block_merge_config_selectorIalEEZZNS1_27merge_sort_block_merge_implIS3_PaN6thrust23THRUST_200600_302600_NS10device_ptrIlEEjNS1_19radix_merge_compareILb0ELb1EaNS0_19identity_decomposerEEEEE10hipError_tT0_T1_T2_jT3_P12ihipStream_tbPNSt15iterator_traitsISG_E10value_typeEPNSM_ISH_E10value_typeEPSI_NS1_7vsmem_tEENKUlT_SG_SH_SI_E_clIS7_S7_SB_PlEESF_SV_SG_SH_SI_EUlSV_E_NS1_11comp_targetILNS1_3genE0ELNS1_11target_archE4294967295ELNS1_3gpuE0ELNS1_3repE0EEENS1_48merge_mergepath_partition_config_static_selectorELNS0_4arch9wavefront6targetE1EEEvSH_.kd
    .uniform_work_group_size: 1
    .uses_dynamic_stack: false
    .vgpr_count:     0
    .vgpr_spill_count: 0
    .wavefront_size: 64
  - .agpr_count:     0
    .args:
      - .offset:         0
        .size:           40
        .value_kind:     by_value
    .group_segment_fixed_size: 0
    .kernarg_segment_align: 8
    .kernarg_segment_size: 40
    .language:       OpenCL C
    .language_version:
      - 2
      - 0
    .max_flat_workgroup_size: 128
    .name:           _ZN7rocprim17ROCPRIM_400000_NS6detail17trampoline_kernelINS0_14default_configENS1_38merge_sort_block_merge_config_selectorIalEEZZNS1_27merge_sort_block_merge_implIS3_PaN6thrust23THRUST_200600_302600_NS10device_ptrIlEEjNS1_19radix_merge_compareILb0ELb1EaNS0_19identity_decomposerEEEEE10hipError_tT0_T1_T2_jT3_P12ihipStream_tbPNSt15iterator_traitsISG_E10value_typeEPNSM_ISH_E10value_typeEPSI_NS1_7vsmem_tEENKUlT_SG_SH_SI_E_clIS7_S7_SB_PlEESF_SV_SG_SH_SI_EUlSV_E_NS1_11comp_targetILNS1_3genE10ELNS1_11target_archE1201ELNS1_3gpuE5ELNS1_3repE0EEENS1_48merge_mergepath_partition_config_static_selectorELNS0_4arch9wavefront6targetE1EEEvSH_
    .private_segment_fixed_size: 0
    .sgpr_count:     4
    .sgpr_spill_count: 0
    .symbol:         _ZN7rocprim17ROCPRIM_400000_NS6detail17trampoline_kernelINS0_14default_configENS1_38merge_sort_block_merge_config_selectorIalEEZZNS1_27merge_sort_block_merge_implIS3_PaN6thrust23THRUST_200600_302600_NS10device_ptrIlEEjNS1_19radix_merge_compareILb0ELb1EaNS0_19identity_decomposerEEEEE10hipError_tT0_T1_T2_jT3_P12ihipStream_tbPNSt15iterator_traitsISG_E10value_typeEPNSM_ISH_E10value_typeEPSI_NS1_7vsmem_tEENKUlT_SG_SH_SI_E_clIS7_S7_SB_PlEESF_SV_SG_SH_SI_EUlSV_E_NS1_11comp_targetILNS1_3genE10ELNS1_11target_archE1201ELNS1_3gpuE5ELNS1_3repE0EEENS1_48merge_mergepath_partition_config_static_selectorELNS0_4arch9wavefront6targetE1EEEvSH_.kd
    .uniform_work_group_size: 1
    .uses_dynamic_stack: false
    .vgpr_count:     0
    .vgpr_spill_count: 0
    .wavefront_size: 64
  - .agpr_count:     0
    .args:
      - .offset:         0
        .size:           40
        .value_kind:     by_value
    .group_segment_fixed_size: 0
    .kernarg_segment_align: 8
    .kernarg_segment_size: 40
    .language:       OpenCL C
    .language_version:
      - 2
      - 0
    .max_flat_workgroup_size: 128
    .name:           _ZN7rocprim17ROCPRIM_400000_NS6detail17trampoline_kernelINS0_14default_configENS1_38merge_sort_block_merge_config_selectorIalEEZZNS1_27merge_sort_block_merge_implIS3_PaN6thrust23THRUST_200600_302600_NS10device_ptrIlEEjNS1_19radix_merge_compareILb0ELb1EaNS0_19identity_decomposerEEEEE10hipError_tT0_T1_T2_jT3_P12ihipStream_tbPNSt15iterator_traitsISG_E10value_typeEPNSM_ISH_E10value_typeEPSI_NS1_7vsmem_tEENKUlT_SG_SH_SI_E_clIS7_S7_SB_PlEESF_SV_SG_SH_SI_EUlSV_E_NS1_11comp_targetILNS1_3genE5ELNS1_11target_archE942ELNS1_3gpuE9ELNS1_3repE0EEENS1_48merge_mergepath_partition_config_static_selectorELNS0_4arch9wavefront6targetE1EEEvSH_
    .private_segment_fixed_size: 0
    .sgpr_count:     4
    .sgpr_spill_count: 0
    .symbol:         _ZN7rocprim17ROCPRIM_400000_NS6detail17trampoline_kernelINS0_14default_configENS1_38merge_sort_block_merge_config_selectorIalEEZZNS1_27merge_sort_block_merge_implIS3_PaN6thrust23THRUST_200600_302600_NS10device_ptrIlEEjNS1_19radix_merge_compareILb0ELb1EaNS0_19identity_decomposerEEEEE10hipError_tT0_T1_T2_jT3_P12ihipStream_tbPNSt15iterator_traitsISG_E10value_typeEPNSM_ISH_E10value_typeEPSI_NS1_7vsmem_tEENKUlT_SG_SH_SI_E_clIS7_S7_SB_PlEESF_SV_SG_SH_SI_EUlSV_E_NS1_11comp_targetILNS1_3genE5ELNS1_11target_archE942ELNS1_3gpuE9ELNS1_3repE0EEENS1_48merge_mergepath_partition_config_static_selectorELNS0_4arch9wavefront6targetE1EEEvSH_.kd
    .uniform_work_group_size: 1
    .uses_dynamic_stack: false
    .vgpr_count:     0
    .vgpr_spill_count: 0
    .wavefront_size: 64
  - .agpr_count:     0
    .args:
      - .offset:         0
        .size:           40
        .value_kind:     by_value
    .group_segment_fixed_size: 0
    .kernarg_segment_align: 8
    .kernarg_segment_size: 40
    .language:       OpenCL C
    .language_version:
      - 2
      - 0
    .max_flat_workgroup_size: 128
    .name:           _ZN7rocprim17ROCPRIM_400000_NS6detail17trampoline_kernelINS0_14default_configENS1_38merge_sort_block_merge_config_selectorIalEEZZNS1_27merge_sort_block_merge_implIS3_PaN6thrust23THRUST_200600_302600_NS10device_ptrIlEEjNS1_19radix_merge_compareILb0ELb1EaNS0_19identity_decomposerEEEEE10hipError_tT0_T1_T2_jT3_P12ihipStream_tbPNSt15iterator_traitsISG_E10value_typeEPNSM_ISH_E10value_typeEPSI_NS1_7vsmem_tEENKUlT_SG_SH_SI_E_clIS7_S7_SB_PlEESF_SV_SG_SH_SI_EUlSV_E_NS1_11comp_targetILNS1_3genE4ELNS1_11target_archE910ELNS1_3gpuE8ELNS1_3repE0EEENS1_48merge_mergepath_partition_config_static_selectorELNS0_4arch9wavefront6targetE1EEEvSH_
    .private_segment_fixed_size: 0
    .sgpr_count:     14
    .sgpr_spill_count: 0
    .symbol:         _ZN7rocprim17ROCPRIM_400000_NS6detail17trampoline_kernelINS0_14default_configENS1_38merge_sort_block_merge_config_selectorIalEEZZNS1_27merge_sort_block_merge_implIS3_PaN6thrust23THRUST_200600_302600_NS10device_ptrIlEEjNS1_19radix_merge_compareILb0ELb1EaNS0_19identity_decomposerEEEEE10hipError_tT0_T1_T2_jT3_P12ihipStream_tbPNSt15iterator_traitsISG_E10value_typeEPNSM_ISH_E10value_typeEPSI_NS1_7vsmem_tEENKUlT_SG_SH_SI_E_clIS7_S7_SB_PlEESF_SV_SG_SH_SI_EUlSV_E_NS1_11comp_targetILNS1_3genE4ELNS1_11target_archE910ELNS1_3gpuE8ELNS1_3repE0EEENS1_48merge_mergepath_partition_config_static_selectorELNS0_4arch9wavefront6targetE1EEEvSH_.kd
    .uniform_work_group_size: 1
    .uses_dynamic_stack: false
    .vgpr_count:     16
    .vgpr_spill_count: 0
    .wavefront_size: 64
  - .agpr_count:     0
    .args:
      - .offset:         0
        .size:           40
        .value_kind:     by_value
    .group_segment_fixed_size: 0
    .kernarg_segment_align: 8
    .kernarg_segment_size: 40
    .language:       OpenCL C
    .language_version:
      - 2
      - 0
    .max_flat_workgroup_size: 128
    .name:           _ZN7rocprim17ROCPRIM_400000_NS6detail17trampoline_kernelINS0_14default_configENS1_38merge_sort_block_merge_config_selectorIalEEZZNS1_27merge_sort_block_merge_implIS3_PaN6thrust23THRUST_200600_302600_NS10device_ptrIlEEjNS1_19radix_merge_compareILb0ELb1EaNS0_19identity_decomposerEEEEE10hipError_tT0_T1_T2_jT3_P12ihipStream_tbPNSt15iterator_traitsISG_E10value_typeEPNSM_ISH_E10value_typeEPSI_NS1_7vsmem_tEENKUlT_SG_SH_SI_E_clIS7_S7_SB_PlEESF_SV_SG_SH_SI_EUlSV_E_NS1_11comp_targetILNS1_3genE3ELNS1_11target_archE908ELNS1_3gpuE7ELNS1_3repE0EEENS1_48merge_mergepath_partition_config_static_selectorELNS0_4arch9wavefront6targetE1EEEvSH_
    .private_segment_fixed_size: 0
    .sgpr_count:     4
    .sgpr_spill_count: 0
    .symbol:         _ZN7rocprim17ROCPRIM_400000_NS6detail17trampoline_kernelINS0_14default_configENS1_38merge_sort_block_merge_config_selectorIalEEZZNS1_27merge_sort_block_merge_implIS3_PaN6thrust23THRUST_200600_302600_NS10device_ptrIlEEjNS1_19radix_merge_compareILb0ELb1EaNS0_19identity_decomposerEEEEE10hipError_tT0_T1_T2_jT3_P12ihipStream_tbPNSt15iterator_traitsISG_E10value_typeEPNSM_ISH_E10value_typeEPSI_NS1_7vsmem_tEENKUlT_SG_SH_SI_E_clIS7_S7_SB_PlEESF_SV_SG_SH_SI_EUlSV_E_NS1_11comp_targetILNS1_3genE3ELNS1_11target_archE908ELNS1_3gpuE7ELNS1_3repE0EEENS1_48merge_mergepath_partition_config_static_selectorELNS0_4arch9wavefront6targetE1EEEvSH_.kd
    .uniform_work_group_size: 1
    .uses_dynamic_stack: false
    .vgpr_count:     0
    .vgpr_spill_count: 0
    .wavefront_size: 64
  - .agpr_count:     0
    .args:
      - .offset:         0
        .size:           40
        .value_kind:     by_value
    .group_segment_fixed_size: 0
    .kernarg_segment_align: 8
    .kernarg_segment_size: 40
    .language:       OpenCL C
    .language_version:
      - 2
      - 0
    .max_flat_workgroup_size: 128
    .name:           _ZN7rocprim17ROCPRIM_400000_NS6detail17trampoline_kernelINS0_14default_configENS1_38merge_sort_block_merge_config_selectorIalEEZZNS1_27merge_sort_block_merge_implIS3_PaN6thrust23THRUST_200600_302600_NS10device_ptrIlEEjNS1_19radix_merge_compareILb0ELb1EaNS0_19identity_decomposerEEEEE10hipError_tT0_T1_T2_jT3_P12ihipStream_tbPNSt15iterator_traitsISG_E10value_typeEPNSM_ISH_E10value_typeEPSI_NS1_7vsmem_tEENKUlT_SG_SH_SI_E_clIS7_S7_SB_PlEESF_SV_SG_SH_SI_EUlSV_E_NS1_11comp_targetILNS1_3genE2ELNS1_11target_archE906ELNS1_3gpuE6ELNS1_3repE0EEENS1_48merge_mergepath_partition_config_static_selectorELNS0_4arch9wavefront6targetE1EEEvSH_
    .private_segment_fixed_size: 0
    .sgpr_count:     4
    .sgpr_spill_count: 0
    .symbol:         _ZN7rocprim17ROCPRIM_400000_NS6detail17trampoline_kernelINS0_14default_configENS1_38merge_sort_block_merge_config_selectorIalEEZZNS1_27merge_sort_block_merge_implIS3_PaN6thrust23THRUST_200600_302600_NS10device_ptrIlEEjNS1_19radix_merge_compareILb0ELb1EaNS0_19identity_decomposerEEEEE10hipError_tT0_T1_T2_jT3_P12ihipStream_tbPNSt15iterator_traitsISG_E10value_typeEPNSM_ISH_E10value_typeEPSI_NS1_7vsmem_tEENKUlT_SG_SH_SI_E_clIS7_S7_SB_PlEESF_SV_SG_SH_SI_EUlSV_E_NS1_11comp_targetILNS1_3genE2ELNS1_11target_archE906ELNS1_3gpuE6ELNS1_3repE0EEENS1_48merge_mergepath_partition_config_static_selectorELNS0_4arch9wavefront6targetE1EEEvSH_.kd
    .uniform_work_group_size: 1
    .uses_dynamic_stack: false
    .vgpr_count:     0
    .vgpr_spill_count: 0
    .wavefront_size: 64
  - .agpr_count:     0
    .args:
      - .offset:         0
        .size:           40
        .value_kind:     by_value
    .group_segment_fixed_size: 0
    .kernarg_segment_align: 8
    .kernarg_segment_size: 40
    .language:       OpenCL C
    .language_version:
      - 2
      - 0
    .max_flat_workgroup_size: 128
    .name:           _ZN7rocprim17ROCPRIM_400000_NS6detail17trampoline_kernelINS0_14default_configENS1_38merge_sort_block_merge_config_selectorIalEEZZNS1_27merge_sort_block_merge_implIS3_PaN6thrust23THRUST_200600_302600_NS10device_ptrIlEEjNS1_19radix_merge_compareILb0ELb1EaNS0_19identity_decomposerEEEEE10hipError_tT0_T1_T2_jT3_P12ihipStream_tbPNSt15iterator_traitsISG_E10value_typeEPNSM_ISH_E10value_typeEPSI_NS1_7vsmem_tEENKUlT_SG_SH_SI_E_clIS7_S7_SB_PlEESF_SV_SG_SH_SI_EUlSV_E_NS1_11comp_targetILNS1_3genE9ELNS1_11target_archE1100ELNS1_3gpuE3ELNS1_3repE0EEENS1_48merge_mergepath_partition_config_static_selectorELNS0_4arch9wavefront6targetE1EEEvSH_
    .private_segment_fixed_size: 0
    .sgpr_count:     4
    .sgpr_spill_count: 0
    .symbol:         _ZN7rocprim17ROCPRIM_400000_NS6detail17trampoline_kernelINS0_14default_configENS1_38merge_sort_block_merge_config_selectorIalEEZZNS1_27merge_sort_block_merge_implIS3_PaN6thrust23THRUST_200600_302600_NS10device_ptrIlEEjNS1_19radix_merge_compareILb0ELb1EaNS0_19identity_decomposerEEEEE10hipError_tT0_T1_T2_jT3_P12ihipStream_tbPNSt15iterator_traitsISG_E10value_typeEPNSM_ISH_E10value_typeEPSI_NS1_7vsmem_tEENKUlT_SG_SH_SI_E_clIS7_S7_SB_PlEESF_SV_SG_SH_SI_EUlSV_E_NS1_11comp_targetILNS1_3genE9ELNS1_11target_archE1100ELNS1_3gpuE3ELNS1_3repE0EEENS1_48merge_mergepath_partition_config_static_selectorELNS0_4arch9wavefront6targetE1EEEvSH_.kd
    .uniform_work_group_size: 1
    .uses_dynamic_stack: false
    .vgpr_count:     0
    .vgpr_spill_count: 0
    .wavefront_size: 64
  - .agpr_count:     0
    .args:
      - .offset:         0
        .size:           40
        .value_kind:     by_value
    .group_segment_fixed_size: 0
    .kernarg_segment_align: 8
    .kernarg_segment_size: 40
    .language:       OpenCL C
    .language_version:
      - 2
      - 0
    .max_flat_workgroup_size: 128
    .name:           _ZN7rocprim17ROCPRIM_400000_NS6detail17trampoline_kernelINS0_14default_configENS1_38merge_sort_block_merge_config_selectorIalEEZZNS1_27merge_sort_block_merge_implIS3_PaN6thrust23THRUST_200600_302600_NS10device_ptrIlEEjNS1_19radix_merge_compareILb0ELb1EaNS0_19identity_decomposerEEEEE10hipError_tT0_T1_T2_jT3_P12ihipStream_tbPNSt15iterator_traitsISG_E10value_typeEPNSM_ISH_E10value_typeEPSI_NS1_7vsmem_tEENKUlT_SG_SH_SI_E_clIS7_S7_SB_PlEESF_SV_SG_SH_SI_EUlSV_E_NS1_11comp_targetILNS1_3genE8ELNS1_11target_archE1030ELNS1_3gpuE2ELNS1_3repE0EEENS1_48merge_mergepath_partition_config_static_selectorELNS0_4arch9wavefront6targetE1EEEvSH_
    .private_segment_fixed_size: 0
    .sgpr_count:     4
    .sgpr_spill_count: 0
    .symbol:         _ZN7rocprim17ROCPRIM_400000_NS6detail17trampoline_kernelINS0_14default_configENS1_38merge_sort_block_merge_config_selectorIalEEZZNS1_27merge_sort_block_merge_implIS3_PaN6thrust23THRUST_200600_302600_NS10device_ptrIlEEjNS1_19radix_merge_compareILb0ELb1EaNS0_19identity_decomposerEEEEE10hipError_tT0_T1_T2_jT3_P12ihipStream_tbPNSt15iterator_traitsISG_E10value_typeEPNSM_ISH_E10value_typeEPSI_NS1_7vsmem_tEENKUlT_SG_SH_SI_E_clIS7_S7_SB_PlEESF_SV_SG_SH_SI_EUlSV_E_NS1_11comp_targetILNS1_3genE8ELNS1_11target_archE1030ELNS1_3gpuE2ELNS1_3repE0EEENS1_48merge_mergepath_partition_config_static_selectorELNS0_4arch9wavefront6targetE1EEEvSH_.kd
    .uniform_work_group_size: 1
    .uses_dynamic_stack: false
    .vgpr_count:     0
    .vgpr_spill_count: 0
    .wavefront_size: 64
  - .agpr_count:     0
    .args:
      - .offset:         0
        .size:           64
        .value_kind:     by_value
    .group_segment_fixed_size: 0
    .kernarg_segment_align: 8
    .kernarg_segment_size: 64
    .language:       OpenCL C
    .language_version:
      - 2
      - 0
    .max_flat_workgroup_size: 512
    .name:           _ZN7rocprim17ROCPRIM_400000_NS6detail17trampoline_kernelINS0_14default_configENS1_38merge_sort_block_merge_config_selectorIalEEZZNS1_27merge_sort_block_merge_implIS3_PaN6thrust23THRUST_200600_302600_NS10device_ptrIlEEjNS1_19radix_merge_compareILb0ELb1EaNS0_19identity_decomposerEEEEE10hipError_tT0_T1_T2_jT3_P12ihipStream_tbPNSt15iterator_traitsISG_E10value_typeEPNSM_ISH_E10value_typeEPSI_NS1_7vsmem_tEENKUlT_SG_SH_SI_E_clIS7_S7_SB_PlEESF_SV_SG_SH_SI_EUlSV_E0_NS1_11comp_targetILNS1_3genE0ELNS1_11target_archE4294967295ELNS1_3gpuE0ELNS1_3repE0EEENS1_38merge_mergepath_config_static_selectorELNS0_4arch9wavefront6targetE1EEEvSH_
    .private_segment_fixed_size: 0
    .sgpr_count:     4
    .sgpr_spill_count: 0
    .symbol:         _ZN7rocprim17ROCPRIM_400000_NS6detail17trampoline_kernelINS0_14default_configENS1_38merge_sort_block_merge_config_selectorIalEEZZNS1_27merge_sort_block_merge_implIS3_PaN6thrust23THRUST_200600_302600_NS10device_ptrIlEEjNS1_19radix_merge_compareILb0ELb1EaNS0_19identity_decomposerEEEEE10hipError_tT0_T1_T2_jT3_P12ihipStream_tbPNSt15iterator_traitsISG_E10value_typeEPNSM_ISH_E10value_typeEPSI_NS1_7vsmem_tEENKUlT_SG_SH_SI_E_clIS7_S7_SB_PlEESF_SV_SG_SH_SI_EUlSV_E0_NS1_11comp_targetILNS1_3genE0ELNS1_11target_archE4294967295ELNS1_3gpuE0ELNS1_3repE0EEENS1_38merge_mergepath_config_static_selectorELNS0_4arch9wavefront6targetE1EEEvSH_.kd
    .uniform_work_group_size: 1
    .uses_dynamic_stack: false
    .vgpr_count:     0
    .vgpr_spill_count: 0
    .wavefront_size: 64
  - .agpr_count:     0
    .args:
      - .offset:         0
        .size:           64
        .value_kind:     by_value
    .group_segment_fixed_size: 0
    .kernarg_segment_align: 8
    .kernarg_segment_size: 64
    .language:       OpenCL C
    .language_version:
      - 2
      - 0
    .max_flat_workgroup_size: 128
    .name:           _ZN7rocprim17ROCPRIM_400000_NS6detail17trampoline_kernelINS0_14default_configENS1_38merge_sort_block_merge_config_selectorIalEEZZNS1_27merge_sort_block_merge_implIS3_PaN6thrust23THRUST_200600_302600_NS10device_ptrIlEEjNS1_19radix_merge_compareILb0ELb1EaNS0_19identity_decomposerEEEEE10hipError_tT0_T1_T2_jT3_P12ihipStream_tbPNSt15iterator_traitsISG_E10value_typeEPNSM_ISH_E10value_typeEPSI_NS1_7vsmem_tEENKUlT_SG_SH_SI_E_clIS7_S7_SB_PlEESF_SV_SG_SH_SI_EUlSV_E0_NS1_11comp_targetILNS1_3genE10ELNS1_11target_archE1201ELNS1_3gpuE5ELNS1_3repE0EEENS1_38merge_mergepath_config_static_selectorELNS0_4arch9wavefront6targetE1EEEvSH_
    .private_segment_fixed_size: 0
    .sgpr_count:     4
    .sgpr_spill_count: 0
    .symbol:         _ZN7rocprim17ROCPRIM_400000_NS6detail17trampoline_kernelINS0_14default_configENS1_38merge_sort_block_merge_config_selectorIalEEZZNS1_27merge_sort_block_merge_implIS3_PaN6thrust23THRUST_200600_302600_NS10device_ptrIlEEjNS1_19radix_merge_compareILb0ELb1EaNS0_19identity_decomposerEEEEE10hipError_tT0_T1_T2_jT3_P12ihipStream_tbPNSt15iterator_traitsISG_E10value_typeEPNSM_ISH_E10value_typeEPSI_NS1_7vsmem_tEENKUlT_SG_SH_SI_E_clIS7_S7_SB_PlEESF_SV_SG_SH_SI_EUlSV_E0_NS1_11comp_targetILNS1_3genE10ELNS1_11target_archE1201ELNS1_3gpuE5ELNS1_3repE0EEENS1_38merge_mergepath_config_static_selectorELNS0_4arch9wavefront6targetE1EEEvSH_.kd
    .uniform_work_group_size: 1
    .uses_dynamic_stack: false
    .vgpr_count:     0
    .vgpr_spill_count: 0
    .wavefront_size: 64
  - .agpr_count:     0
    .args:
      - .offset:         0
        .size:           64
        .value_kind:     by_value
    .group_segment_fixed_size: 0
    .kernarg_segment_align: 8
    .kernarg_segment_size: 64
    .language:       OpenCL C
    .language_version:
      - 2
      - 0
    .max_flat_workgroup_size: 128
    .name:           _ZN7rocprim17ROCPRIM_400000_NS6detail17trampoline_kernelINS0_14default_configENS1_38merge_sort_block_merge_config_selectorIalEEZZNS1_27merge_sort_block_merge_implIS3_PaN6thrust23THRUST_200600_302600_NS10device_ptrIlEEjNS1_19radix_merge_compareILb0ELb1EaNS0_19identity_decomposerEEEEE10hipError_tT0_T1_T2_jT3_P12ihipStream_tbPNSt15iterator_traitsISG_E10value_typeEPNSM_ISH_E10value_typeEPSI_NS1_7vsmem_tEENKUlT_SG_SH_SI_E_clIS7_S7_SB_PlEESF_SV_SG_SH_SI_EUlSV_E0_NS1_11comp_targetILNS1_3genE5ELNS1_11target_archE942ELNS1_3gpuE9ELNS1_3repE0EEENS1_38merge_mergepath_config_static_selectorELNS0_4arch9wavefront6targetE1EEEvSH_
    .private_segment_fixed_size: 0
    .sgpr_count:     4
    .sgpr_spill_count: 0
    .symbol:         _ZN7rocprim17ROCPRIM_400000_NS6detail17trampoline_kernelINS0_14default_configENS1_38merge_sort_block_merge_config_selectorIalEEZZNS1_27merge_sort_block_merge_implIS3_PaN6thrust23THRUST_200600_302600_NS10device_ptrIlEEjNS1_19radix_merge_compareILb0ELb1EaNS0_19identity_decomposerEEEEE10hipError_tT0_T1_T2_jT3_P12ihipStream_tbPNSt15iterator_traitsISG_E10value_typeEPNSM_ISH_E10value_typeEPSI_NS1_7vsmem_tEENKUlT_SG_SH_SI_E_clIS7_S7_SB_PlEESF_SV_SG_SH_SI_EUlSV_E0_NS1_11comp_targetILNS1_3genE5ELNS1_11target_archE942ELNS1_3gpuE9ELNS1_3repE0EEENS1_38merge_mergepath_config_static_selectorELNS0_4arch9wavefront6targetE1EEEvSH_.kd
    .uniform_work_group_size: 1
    .uses_dynamic_stack: false
    .vgpr_count:     0
    .vgpr_spill_count: 0
    .wavefront_size: 64
  - .agpr_count:     0
    .args:
      - .offset:         0
        .size:           64
        .value_kind:     by_value
      - .offset:         64
        .size:           4
        .value_kind:     hidden_block_count_x
      - .offset:         68
        .size:           4
        .value_kind:     hidden_block_count_y
      - .offset:         72
        .size:           4
        .value_kind:     hidden_block_count_z
      - .offset:         76
        .size:           2
        .value_kind:     hidden_group_size_x
      - .offset:         78
        .size:           2
        .value_kind:     hidden_group_size_y
      - .offset:         80
        .size:           2
        .value_kind:     hidden_group_size_z
      - .offset:         82
        .size:           2
        .value_kind:     hidden_remainder_x
      - .offset:         84
        .size:           2
        .value_kind:     hidden_remainder_y
      - .offset:         86
        .size:           2
        .value_kind:     hidden_remainder_z
      - .offset:         104
        .size:           8
        .value_kind:     hidden_global_offset_x
      - .offset:         112
        .size:           8
        .value_kind:     hidden_global_offset_y
      - .offset:         120
        .size:           8
        .value_kind:     hidden_global_offset_z
      - .offset:         128
        .size:           2
        .value_kind:     hidden_grid_dims
    .group_segment_fixed_size: 8448
    .kernarg_segment_align: 8
    .kernarg_segment_size: 320
    .language:       OpenCL C
    .language_version:
      - 2
      - 0
    .max_flat_workgroup_size: 256
    .name:           _ZN7rocprim17ROCPRIM_400000_NS6detail17trampoline_kernelINS0_14default_configENS1_38merge_sort_block_merge_config_selectorIalEEZZNS1_27merge_sort_block_merge_implIS3_PaN6thrust23THRUST_200600_302600_NS10device_ptrIlEEjNS1_19radix_merge_compareILb0ELb1EaNS0_19identity_decomposerEEEEE10hipError_tT0_T1_T2_jT3_P12ihipStream_tbPNSt15iterator_traitsISG_E10value_typeEPNSM_ISH_E10value_typeEPSI_NS1_7vsmem_tEENKUlT_SG_SH_SI_E_clIS7_S7_SB_PlEESF_SV_SG_SH_SI_EUlSV_E0_NS1_11comp_targetILNS1_3genE4ELNS1_11target_archE910ELNS1_3gpuE8ELNS1_3repE0EEENS1_38merge_mergepath_config_static_selectorELNS0_4arch9wavefront6targetE1EEEvSH_
    .private_segment_fixed_size: 0
    .sgpr_count:     36
    .sgpr_spill_count: 0
    .symbol:         _ZN7rocprim17ROCPRIM_400000_NS6detail17trampoline_kernelINS0_14default_configENS1_38merge_sort_block_merge_config_selectorIalEEZZNS1_27merge_sort_block_merge_implIS3_PaN6thrust23THRUST_200600_302600_NS10device_ptrIlEEjNS1_19radix_merge_compareILb0ELb1EaNS0_19identity_decomposerEEEEE10hipError_tT0_T1_T2_jT3_P12ihipStream_tbPNSt15iterator_traitsISG_E10value_typeEPNSM_ISH_E10value_typeEPSI_NS1_7vsmem_tEENKUlT_SG_SH_SI_E_clIS7_S7_SB_PlEESF_SV_SG_SH_SI_EUlSV_E0_NS1_11comp_targetILNS1_3genE4ELNS1_11target_archE910ELNS1_3gpuE8ELNS1_3repE0EEENS1_38merge_mergepath_config_static_selectorELNS0_4arch9wavefront6targetE1EEEvSH_.kd
    .uniform_work_group_size: 1
    .uses_dynamic_stack: false
    .vgpr_count:     36
    .vgpr_spill_count: 0
    .wavefront_size: 64
  - .agpr_count:     0
    .args:
      - .offset:         0
        .size:           64
        .value_kind:     by_value
    .group_segment_fixed_size: 0
    .kernarg_segment_align: 8
    .kernarg_segment_size: 64
    .language:       OpenCL C
    .language_version:
      - 2
      - 0
    .max_flat_workgroup_size: 512
    .name:           _ZN7rocprim17ROCPRIM_400000_NS6detail17trampoline_kernelINS0_14default_configENS1_38merge_sort_block_merge_config_selectorIalEEZZNS1_27merge_sort_block_merge_implIS3_PaN6thrust23THRUST_200600_302600_NS10device_ptrIlEEjNS1_19radix_merge_compareILb0ELb1EaNS0_19identity_decomposerEEEEE10hipError_tT0_T1_T2_jT3_P12ihipStream_tbPNSt15iterator_traitsISG_E10value_typeEPNSM_ISH_E10value_typeEPSI_NS1_7vsmem_tEENKUlT_SG_SH_SI_E_clIS7_S7_SB_PlEESF_SV_SG_SH_SI_EUlSV_E0_NS1_11comp_targetILNS1_3genE3ELNS1_11target_archE908ELNS1_3gpuE7ELNS1_3repE0EEENS1_38merge_mergepath_config_static_selectorELNS0_4arch9wavefront6targetE1EEEvSH_
    .private_segment_fixed_size: 0
    .sgpr_count:     4
    .sgpr_spill_count: 0
    .symbol:         _ZN7rocprim17ROCPRIM_400000_NS6detail17trampoline_kernelINS0_14default_configENS1_38merge_sort_block_merge_config_selectorIalEEZZNS1_27merge_sort_block_merge_implIS3_PaN6thrust23THRUST_200600_302600_NS10device_ptrIlEEjNS1_19radix_merge_compareILb0ELb1EaNS0_19identity_decomposerEEEEE10hipError_tT0_T1_T2_jT3_P12ihipStream_tbPNSt15iterator_traitsISG_E10value_typeEPNSM_ISH_E10value_typeEPSI_NS1_7vsmem_tEENKUlT_SG_SH_SI_E_clIS7_S7_SB_PlEESF_SV_SG_SH_SI_EUlSV_E0_NS1_11comp_targetILNS1_3genE3ELNS1_11target_archE908ELNS1_3gpuE7ELNS1_3repE0EEENS1_38merge_mergepath_config_static_selectorELNS0_4arch9wavefront6targetE1EEEvSH_.kd
    .uniform_work_group_size: 1
    .uses_dynamic_stack: false
    .vgpr_count:     0
    .vgpr_spill_count: 0
    .wavefront_size: 64
  - .agpr_count:     0
    .args:
      - .offset:         0
        .size:           64
        .value_kind:     by_value
    .group_segment_fixed_size: 0
    .kernarg_segment_align: 8
    .kernarg_segment_size: 64
    .language:       OpenCL C
    .language_version:
      - 2
      - 0
    .max_flat_workgroup_size: 256
    .name:           _ZN7rocprim17ROCPRIM_400000_NS6detail17trampoline_kernelINS0_14default_configENS1_38merge_sort_block_merge_config_selectorIalEEZZNS1_27merge_sort_block_merge_implIS3_PaN6thrust23THRUST_200600_302600_NS10device_ptrIlEEjNS1_19radix_merge_compareILb0ELb1EaNS0_19identity_decomposerEEEEE10hipError_tT0_T1_T2_jT3_P12ihipStream_tbPNSt15iterator_traitsISG_E10value_typeEPNSM_ISH_E10value_typeEPSI_NS1_7vsmem_tEENKUlT_SG_SH_SI_E_clIS7_S7_SB_PlEESF_SV_SG_SH_SI_EUlSV_E0_NS1_11comp_targetILNS1_3genE2ELNS1_11target_archE906ELNS1_3gpuE6ELNS1_3repE0EEENS1_38merge_mergepath_config_static_selectorELNS0_4arch9wavefront6targetE1EEEvSH_
    .private_segment_fixed_size: 0
    .sgpr_count:     4
    .sgpr_spill_count: 0
    .symbol:         _ZN7rocprim17ROCPRIM_400000_NS6detail17trampoline_kernelINS0_14default_configENS1_38merge_sort_block_merge_config_selectorIalEEZZNS1_27merge_sort_block_merge_implIS3_PaN6thrust23THRUST_200600_302600_NS10device_ptrIlEEjNS1_19radix_merge_compareILb0ELb1EaNS0_19identity_decomposerEEEEE10hipError_tT0_T1_T2_jT3_P12ihipStream_tbPNSt15iterator_traitsISG_E10value_typeEPNSM_ISH_E10value_typeEPSI_NS1_7vsmem_tEENKUlT_SG_SH_SI_E_clIS7_S7_SB_PlEESF_SV_SG_SH_SI_EUlSV_E0_NS1_11comp_targetILNS1_3genE2ELNS1_11target_archE906ELNS1_3gpuE6ELNS1_3repE0EEENS1_38merge_mergepath_config_static_selectorELNS0_4arch9wavefront6targetE1EEEvSH_.kd
    .uniform_work_group_size: 1
    .uses_dynamic_stack: false
    .vgpr_count:     0
    .vgpr_spill_count: 0
    .wavefront_size: 64
  - .agpr_count:     0
    .args:
      - .offset:         0
        .size:           64
        .value_kind:     by_value
    .group_segment_fixed_size: 0
    .kernarg_segment_align: 8
    .kernarg_segment_size: 64
    .language:       OpenCL C
    .language_version:
      - 2
      - 0
    .max_flat_workgroup_size: 512
    .name:           _ZN7rocprim17ROCPRIM_400000_NS6detail17trampoline_kernelINS0_14default_configENS1_38merge_sort_block_merge_config_selectorIalEEZZNS1_27merge_sort_block_merge_implIS3_PaN6thrust23THRUST_200600_302600_NS10device_ptrIlEEjNS1_19radix_merge_compareILb0ELb1EaNS0_19identity_decomposerEEEEE10hipError_tT0_T1_T2_jT3_P12ihipStream_tbPNSt15iterator_traitsISG_E10value_typeEPNSM_ISH_E10value_typeEPSI_NS1_7vsmem_tEENKUlT_SG_SH_SI_E_clIS7_S7_SB_PlEESF_SV_SG_SH_SI_EUlSV_E0_NS1_11comp_targetILNS1_3genE9ELNS1_11target_archE1100ELNS1_3gpuE3ELNS1_3repE0EEENS1_38merge_mergepath_config_static_selectorELNS0_4arch9wavefront6targetE1EEEvSH_
    .private_segment_fixed_size: 0
    .sgpr_count:     4
    .sgpr_spill_count: 0
    .symbol:         _ZN7rocprim17ROCPRIM_400000_NS6detail17trampoline_kernelINS0_14default_configENS1_38merge_sort_block_merge_config_selectorIalEEZZNS1_27merge_sort_block_merge_implIS3_PaN6thrust23THRUST_200600_302600_NS10device_ptrIlEEjNS1_19radix_merge_compareILb0ELb1EaNS0_19identity_decomposerEEEEE10hipError_tT0_T1_T2_jT3_P12ihipStream_tbPNSt15iterator_traitsISG_E10value_typeEPNSM_ISH_E10value_typeEPSI_NS1_7vsmem_tEENKUlT_SG_SH_SI_E_clIS7_S7_SB_PlEESF_SV_SG_SH_SI_EUlSV_E0_NS1_11comp_targetILNS1_3genE9ELNS1_11target_archE1100ELNS1_3gpuE3ELNS1_3repE0EEENS1_38merge_mergepath_config_static_selectorELNS0_4arch9wavefront6targetE1EEEvSH_.kd
    .uniform_work_group_size: 1
    .uses_dynamic_stack: false
    .vgpr_count:     0
    .vgpr_spill_count: 0
    .wavefront_size: 64
  - .agpr_count:     0
    .args:
      - .offset:         0
        .size:           64
        .value_kind:     by_value
    .group_segment_fixed_size: 0
    .kernarg_segment_align: 8
    .kernarg_segment_size: 64
    .language:       OpenCL C
    .language_version:
      - 2
      - 0
    .max_flat_workgroup_size: 1024
    .name:           _ZN7rocprim17ROCPRIM_400000_NS6detail17trampoline_kernelINS0_14default_configENS1_38merge_sort_block_merge_config_selectorIalEEZZNS1_27merge_sort_block_merge_implIS3_PaN6thrust23THRUST_200600_302600_NS10device_ptrIlEEjNS1_19radix_merge_compareILb0ELb1EaNS0_19identity_decomposerEEEEE10hipError_tT0_T1_T2_jT3_P12ihipStream_tbPNSt15iterator_traitsISG_E10value_typeEPNSM_ISH_E10value_typeEPSI_NS1_7vsmem_tEENKUlT_SG_SH_SI_E_clIS7_S7_SB_PlEESF_SV_SG_SH_SI_EUlSV_E0_NS1_11comp_targetILNS1_3genE8ELNS1_11target_archE1030ELNS1_3gpuE2ELNS1_3repE0EEENS1_38merge_mergepath_config_static_selectorELNS0_4arch9wavefront6targetE1EEEvSH_
    .private_segment_fixed_size: 0
    .sgpr_count:     4
    .sgpr_spill_count: 0
    .symbol:         _ZN7rocprim17ROCPRIM_400000_NS6detail17trampoline_kernelINS0_14default_configENS1_38merge_sort_block_merge_config_selectorIalEEZZNS1_27merge_sort_block_merge_implIS3_PaN6thrust23THRUST_200600_302600_NS10device_ptrIlEEjNS1_19radix_merge_compareILb0ELb1EaNS0_19identity_decomposerEEEEE10hipError_tT0_T1_T2_jT3_P12ihipStream_tbPNSt15iterator_traitsISG_E10value_typeEPNSM_ISH_E10value_typeEPSI_NS1_7vsmem_tEENKUlT_SG_SH_SI_E_clIS7_S7_SB_PlEESF_SV_SG_SH_SI_EUlSV_E0_NS1_11comp_targetILNS1_3genE8ELNS1_11target_archE1030ELNS1_3gpuE2ELNS1_3repE0EEENS1_38merge_mergepath_config_static_selectorELNS0_4arch9wavefront6targetE1EEEvSH_.kd
    .uniform_work_group_size: 1
    .uses_dynamic_stack: false
    .vgpr_count:     0
    .vgpr_spill_count: 0
    .wavefront_size: 64
  - .agpr_count:     0
    .args:
      - .offset:         0
        .size:           48
        .value_kind:     by_value
    .group_segment_fixed_size: 0
    .kernarg_segment_align: 8
    .kernarg_segment_size: 48
    .language:       OpenCL C
    .language_version:
      - 2
      - 0
    .max_flat_workgroup_size: 256
    .name:           _ZN7rocprim17ROCPRIM_400000_NS6detail17trampoline_kernelINS0_14default_configENS1_38merge_sort_block_merge_config_selectorIalEEZZNS1_27merge_sort_block_merge_implIS3_PaN6thrust23THRUST_200600_302600_NS10device_ptrIlEEjNS1_19radix_merge_compareILb0ELb1EaNS0_19identity_decomposerEEEEE10hipError_tT0_T1_T2_jT3_P12ihipStream_tbPNSt15iterator_traitsISG_E10value_typeEPNSM_ISH_E10value_typeEPSI_NS1_7vsmem_tEENKUlT_SG_SH_SI_E_clIS7_S7_SB_PlEESF_SV_SG_SH_SI_EUlSV_E1_NS1_11comp_targetILNS1_3genE0ELNS1_11target_archE4294967295ELNS1_3gpuE0ELNS1_3repE0EEENS1_36merge_oddeven_config_static_selectorELNS0_4arch9wavefront6targetE1EEEvSH_
    .private_segment_fixed_size: 0
    .sgpr_count:     4
    .sgpr_spill_count: 0
    .symbol:         _ZN7rocprim17ROCPRIM_400000_NS6detail17trampoline_kernelINS0_14default_configENS1_38merge_sort_block_merge_config_selectorIalEEZZNS1_27merge_sort_block_merge_implIS3_PaN6thrust23THRUST_200600_302600_NS10device_ptrIlEEjNS1_19radix_merge_compareILb0ELb1EaNS0_19identity_decomposerEEEEE10hipError_tT0_T1_T2_jT3_P12ihipStream_tbPNSt15iterator_traitsISG_E10value_typeEPNSM_ISH_E10value_typeEPSI_NS1_7vsmem_tEENKUlT_SG_SH_SI_E_clIS7_S7_SB_PlEESF_SV_SG_SH_SI_EUlSV_E1_NS1_11comp_targetILNS1_3genE0ELNS1_11target_archE4294967295ELNS1_3gpuE0ELNS1_3repE0EEENS1_36merge_oddeven_config_static_selectorELNS0_4arch9wavefront6targetE1EEEvSH_.kd
    .uniform_work_group_size: 1
    .uses_dynamic_stack: false
    .vgpr_count:     0
    .vgpr_spill_count: 0
    .wavefront_size: 64
  - .agpr_count:     0
    .args:
      - .offset:         0
        .size:           48
        .value_kind:     by_value
    .group_segment_fixed_size: 0
    .kernarg_segment_align: 8
    .kernarg_segment_size: 48
    .language:       OpenCL C
    .language_version:
      - 2
      - 0
    .max_flat_workgroup_size: 256
    .name:           _ZN7rocprim17ROCPRIM_400000_NS6detail17trampoline_kernelINS0_14default_configENS1_38merge_sort_block_merge_config_selectorIalEEZZNS1_27merge_sort_block_merge_implIS3_PaN6thrust23THRUST_200600_302600_NS10device_ptrIlEEjNS1_19radix_merge_compareILb0ELb1EaNS0_19identity_decomposerEEEEE10hipError_tT0_T1_T2_jT3_P12ihipStream_tbPNSt15iterator_traitsISG_E10value_typeEPNSM_ISH_E10value_typeEPSI_NS1_7vsmem_tEENKUlT_SG_SH_SI_E_clIS7_S7_SB_PlEESF_SV_SG_SH_SI_EUlSV_E1_NS1_11comp_targetILNS1_3genE10ELNS1_11target_archE1201ELNS1_3gpuE5ELNS1_3repE0EEENS1_36merge_oddeven_config_static_selectorELNS0_4arch9wavefront6targetE1EEEvSH_
    .private_segment_fixed_size: 0
    .sgpr_count:     4
    .sgpr_spill_count: 0
    .symbol:         _ZN7rocprim17ROCPRIM_400000_NS6detail17trampoline_kernelINS0_14default_configENS1_38merge_sort_block_merge_config_selectorIalEEZZNS1_27merge_sort_block_merge_implIS3_PaN6thrust23THRUST_200600_302600_NS10device_ptrIlEEjNS1_19radix_merge_compareILb0ELb1EaNS0_19identity_decomposerEEEEE10hipError_tT0_T1_T2_jT3_P12ihipStream_tbPNSt15iterator_traitsISG_E10value_typeEPNSM_ISH_E10value_typeEPSI_NS1_7vsmem_tEENKUlT_SG_SH_SI_E_clIS7_S7_SB_PlEESF_SV_SG_SH_SI_EUlSV_E1_NS1_11comp_targetILNS1_3genE10ELNS1_11target_archE1201ELNS1_3gpuE5ELNS1_3repE0EEENS1_36merge_oddeven_config_static_selectorELNS0_4arch9wavefront6targetE1EEEvSH_.kd
    .uniform_work_group_size: 1
    .uses_dynamic_stack: false
    .vgpr_count:     0
    .vgpr_spill_count: 0
    .wavefront_size: 64
  - .agpr_count:     0
    .args:
      - .offset:         0
        .size:           48
        .value_kind:     by_value
    .group_segment_fixed_size: 0
    .kernarg_segment_align: 8
    .kernarg_segment_size: 48
    .language:       OpenCL C
    .language_version:
      - 2
      - 0
    .max_flat_workgroup_size: 256
    .name:           _ZN7rocprim17ROCPRIM_400000_NS6detail17trampoline_kernelINS0_14default_configENS1_38merge_sort_block_merge_config_selectorIalEEZZNS1_27merge_sort_block_merge_implIS3_PaN6thrust23THRUST_200600_302600_NS10device_ptrIlEEjNS1_19radix_merge_compareILb0ELb1EaNS0_19identity_decomposerEEEEE10hipError_tT0_T1_T2_jT3_P12ihipStream_tbPNSt15iterator_traitsISG_E10value_typeEPNSM_ISH_E10value_typeEPSI_NS1_7vsmem_tEENKUlT_SG_SH_SI_E_clIS7_S7_SB_PlEESF_SV_SG_SH_SI_EUlSV_E1_NS1_11comp_targetILNS1_3genE5ELNS1_11target_archE942ELNS1_3gpuE9ELNS1_3repE0EEENS1_36merge_oddeven_config_static_selectorELNS0_4arch9wavefront6targetE1EEEvSH_
    .private_segment_fixed_size: 0
    .sgpr_count:     4
    .sgpr_spill_count: 0
    .symbol:         _ZN7rocprim17ROCPRIM_400000_NS6detail17trampoline_kernelINS0_14default_configENS1_38merge_sort_block_merge_config_selectorIalEEZZNS1_27merge_sort_block_merge_implIS3_PaN6thrust23THRUST_200600_302600_NS10device_ptrIlEEjNS1_19radix_merge_compareILb0ELb1EaNS0_19identity_decomposerEEEEE10hipError_tT0_T1_T2_jT3_P12ihipStream_tbPNSt15iterator_traitsISG_E10value_typeEPNSM_ISH_E10value_typeEPSI_NS1_7vsmem_tEENKUlT_SG_SH_SI_E_clIS7_S7_SB_PlEESF_SV_SG_SH_SI_EUlSV_E1_NS1_11comp_targetILNS1_3genE5ELNS1_11target_archE942ELNS1_3gpuE9ELNS1_3repE0EEENS1_36merge_oddeven_config_static_selectorELNS0_4arch9wavefront6targetE1EEEvSH_.kd
    .uniform_work_group_size: 1
    .uses_dynamic_stack: false
    .vgpr_count:     0
    .vgpr_spill_count: 0
    .wavefront_size: 64
  - .agpr_count:     0
    .args:
      - .offset:         0
        .size:           48
        .value_kind:     by_value
    .group_segment_fixed_size: 0
    .kernarg_segment_align: 8
    .kernarg_segment_size: 48
    .language:       OpenCL C
    .language_version:
      - 2
      - 0
    .max_flat_workgroup_size: 256
    .name:           _ZN7rocprim17ROCPRIM_400000_NS6detail17trampoline_kernelINS0_14default_configENS1_38merge_sort_block_merge_config_selectorIalEEZZNS1_27merge_sort_block_merge_implIS3_PaN6thrust23THRUST_200600_302600_NS10device_ptrIlEEjNS1_19radix_merge_compareILb0ELb1EaNS0_19identity_decomposerEEEEE10hipError_tT0_T1_T2_jT3_P12ihipStream_tbPNSt15iterator_traitsISG_E10value_typeEPNSM_ISH_E10value_typeEPSI_NS1_7vsmem_tEENKUlT_SG_SH_SI_E_clIS7_S7_SB_PlEESF_SV_SG_SH_SI_EUlSV_E1_NS1_11comp_targetILNS1_3genE4ELNS1_11target_archE910ELNS1_3gpuE8ELNS1_3repE0EEENS1_36merge_oddeven_config_static_selectorELNS0_4arch9wavefront6targetE1EEEvSH_
    .private_segment_fixed_size: 0
    .sgpr_count:     28
    .sgpr_spill_count: 0
    .symbol:         _ZN7rocprim17ROCPRIM_400000_NS6detail17trampoline_kernelINS0_14default_configENS1_38merge_sort_block_merge_config_selectorIalEEZZNS1_27merge_sort_block_merge_implIS3_PaN6thrust23THRUST_200600_302600_NS10device_ptrIlEEjNS1_19radix_merge_compareILb0ELb1EaNS0_19identity_decomposerEEEEE10hipError_tT0_T1_T2_jT3_P12ihipStream_tbPNSt15iterator_traitsISG_E10value_typeEPNSM_ISH_E10value_typeEPSI_NS1_7vsmem_tEENKUlT_SG_SH_SI_E_clIS7_S7_SB_PlEESF_SV_SG_SH_SI_EUlSV_E1_NS1_11comp_targetILNS1_3genE4ELNS1_11target_archE910ELNS1_3gpuE8ELNS1_3repE0EEENS1_36merge_oddeven_config_static_selectorELNS0_4arch9wavefront6targetE1EEEvSH_.kd
    .uniform_work_group_size: 1
    .uses_dynamic_stack: false
    .vgpr_count:     11
    .vgpr_spill_count: 0
    .wavefront_size: 64
  - .agpr_count:     0
    .args:
      - .offset:         0
        .size:           48
        .value_kind:     by_value
    .group_segment_fixed_size: 0
    .kernarg_segment_align: 8
    .kernarg_segment_size: 48
    .language:       OpenCL C
    .language_version:
      - 2
      - 0
    .max_flat_workgroup_size: 256
    .name:           _ZN7rocprim17ROCPRIM_400000_NS6detail17trampoline_kernelINS0_14default_configENS1_38merge_sort_block_merge_config_selectorIalEEZZNS1_27merge_sort_block_merge_implIS3_PaN6thrust23THRUST_200600_302600_NS10device_ptrIlEEjNS1_19radix_merge_compareILb0ELb1EaNS0_19identity_decomposerEEEEE10hipError_tT0_T1_T2_jT3_P12ihipStream_tbPNSt15iterator_traitsISG_E10value_typeEPNSM_ISH_E10value_typeEPSI_NS1_7vsmem_tEENKUlT_SG_SH_SI_E_clIS7_S7_SB_PlEESF_SV_SG_SH_SI_EUlSV_E1_NS1_11comp_targetILNS1_3genE3ELNS1_11target_archE908ELNS1_3gpuE7ELNS1_3repE0EEENS1_36merge_oddeven_config_static_selectorELNS0_4arch9wavefront6targetE1EEEvSH_
    .private_segment_fixed_size: 0
    .sgpr_count:     4
    .sgpr_spill_count: 0
    .symbol:         _ZN7rocprim17ROCPRIM_400000_NS6detail17trampoline_kernelINS0_14default_configENS1_38merge_sort_block_merge_config_selectorIalEEZZNS1_27merge_sort_block_merge_implIS3_PaN6thrust23THRUST_200600_302600_NS10device_ptrIlEEjNS1_19radix_merge_compareILb0ELb1EaNS0_19identity_decomposerEEEEE10hipError_tT0_T1_T2_jT3_P12ihipStream_tbPNSt15iterator_traitsISG_E10value_typeEPNSM_ISH_E10value_typeEPSI_NS1_7vsmem_tEENKUlT_SG_SH_SI_E_clIS7_S7_SB_PlEESF_SV_SG_SH_SI_EUlSV_E1_NS1_11comp_targetILNS1_3genE3ELNS1_11target_archE908ELNS1_3gpuE7ELNS1_3repE0EEENS1_36merge_oddeven_config_static_selectorELNS0_4arch9wavefront6targetE1EEEvSH_.kd
    .uniform_work_group_size: 1
    .uses_dynamic_stack: false
    .vgpr_count:     0
    .vgpr_spill_count: 0
    .wavefront_size: 64
  - .agpr_count:     0
    .args:
      - .offset:         0
        .size:           48
        .value_kind:     by_value
    .group_segment_fixed_size: 0
    .kernarg_segment_align: 8
    .kernarg_segment_size: 48
    .language:       OpenCL C
    .language_version:
      - 2
      - 0
    .max_flat_workgroup_size: 256
    .name:           _ZN7rocprim17ROCPRIM_400000_NS6detail17trampoline_kernelINS0_14default_configENS1_38merge_sort_block_merge_config_selectorIalEEZZNS1_27merge_sort_block_merge_implIS3_PaN6thrust23THRUST_200600_302600_NS10device_ptrIlEEjNS1_19radix_merge_compareILb0ELb1EaNS0_19identity_decomposerEEEEE10hipError_tT0_T1_T2_jT3_P12ihipStream_tbPNSt15iterator_traitsISG_E10value_typeEPNSM_ISH_E10value_typeEPSI_NS1_7vsmem_tEENKUlT_SG_SH_SI_E_clIS7_S7_SB_PlEESF_SV_SG_SH_SI_EUlSV_E1_NS1_11comp_targetILNS1_3genE2ELNS1_11target_archE906ELNS1_3gpuE6ELNS1_3repE0EEENS1_36merge_oddeven_config_static_selectorELNS0_4arch9wavefront6targetE1EEEvSH_
    .private_segment_fixed_size: 0
    .sgpr_count:     4
    .sgpr_spill_count: 0
    .symbol:         _ZN7rocprim17ROCPRIM_400000_NS6detail17trampoline_kernelINS0_14default_configENS1_38merge_sort_block_merge_config_selectorIalEEZZNS1_27merge_sort_block_merge_implIS3_PaN6thrust23THRUST_200600_302600_NS10device_ptrIlEEjNS1_19radix_merge_compareILb0ELb1EaNS0_19identity_decomposerEEEEE10hipError_tT0_T1_T2_jT3_P12ihipStream_tbPNSt15iterator_traitsISG_E10value_typeEPNSM_ISH_E10value_typeEPSI_NS1_7vsmem_tEENKUlT_SG_SH_SI_E_clIS7_S7_SB_PlEESF_SV_SG_SH_SI_EUlSV_E1_NS1_11comp_targetILNS1_3genE2ELNS1_11target_archE906ELNS1_3gpuE6ELNS1_3repE0EEENS1_36merge_oddeven_config_static_selectorELNS0_4arch9wavefront6targetE1EEEvSH_.kd
    .uniform_work_group_size: 1
    .uses_dynamic_stack: false
    .vgpr_count:     0
    .vgpr_spill_count: 0
    .wavefront_size: 64
  - .agpr_count:     0
    .args:
      - .offset:         0
        .size:           48
        .value_kind:     by_value
    .group_segment_fixed_size: 0
    .kernarg_segment_align: 8
    .kernarg_segment_size: 48
    .language:       OpenCL C
    .language_version:
      - 2
      - 0
    .max_flat_workgroup_size: 256
    .name:           _ZN7rocprim17ROCPRIM_400000_NS6detail17trampoline_kernelINS0_14default_configENS1_38merge_sort_block_merge_config_selectorIalEEZZNS1_27merge_sort_block_merge_implIS3_PaN6thrust23THRUST_200600_302600_NS10device_ptrIlEEjNS1_19radix_merge_compareILb0ELb1EaNS0_19identity_decomposerEEEEE10hipError_tT0_T1_T2_jT3_P12ihipStream_tbPNSt15iterator_traitsISG_E10value_typeEPNSM_ISH_E10value_typeEPSI_NS1_7vsmem_tEENKUlT_SG_SH_SI_E_clIS7_S7_SB_PlEESF_SV_SG_SH_SI_EUlSV_E1_NS1_11comp_targetILNS1_3genE9ELNS1_11target_archE1100ELNS1_3gpuE3ELNS1_3repE0EEENS1_36merge_oddeven_config_static_selectorELNS0_4arch9wavefront6targetE1EEEvSH_
    .private_segment_fixed_size: 0
    .sgpr_count:     4
    .sgpr_spill_count: 0
    .symbol:         _ZN7rocprim17ROCPRIM_400000_NS6detail17trampoline_kernelINS0_14default_configENS1_38merge_sort_block_merge_config_selectorIalEEZZNS1_27merge_sort_block_merge_implIS3_PaN6thrust23THRUST_200600_302600_NS10device_ptrIlEEjNS1_19radix_merge_compareILb0ELb1EaNS0_19identity_decomposerEEEEE10hipError_tT0_T1_T2_jT3_P12ihipStream_tbPNSt15iterator_traitsISG_E10value_typeEPNSM_ISH_E10value_typeEPSI_NS1_7vsmem_tEENKUlT_SG_SH_SI_E_clIS7_S7_SB_PlEESF_SV_SG_SH_SI_EUlSV_E1_NS1_11comp_targetILNS1_3genE9ELNS1_11target_archE1100ELNS1_3gpuE3ELNS1_3repE0EEENS1_36merge_oddeven_config_static_selectorELNS0_4arch9wavefront6targetE1EEEvSH_.kd
    .uniform_work_group_size: 1
    .uses_dynamic_stack: false
    .vgpr_count:     0
    .vgpr_spill_count: 0
    .wavefront_size: 64
  - .agpr_count:     0
    .args:
      - .offset:         0
        .size:           48
        .value_kind:     by_value
    .group_segment_fixed_size: 0
    .kernarg_segment_align: 8
    .kernarg_segment_size: 48
    .language:       OpenCL C
    .language_version:
      - 2
      - 0
    .max_flat_workgroup_size: 256
    .name:           _ZN7rocprim17ROCPRIM_400000_NS6detail17trampoline_kernelINS0_14default_configENS1_38merge_sort_block_merge_config_selectorIalEEZZNS1_27merge_sort_block_merge_implIS3_PaN6thrust23THRUST_200600_302600_NS10device_ptrIlEEjNS1_19radix_merge_compareILb0ELb1EaNS0_19identity_decomposerEEEEE10hipError_tT0_T1_T2_jT3_P12ihipStream_tbPNSt15iterator_traitsISG_E10value_typeEPNSM_ISH_E10value_typeEPSI_NS1_7vsmem_tEENKUlT_SG_SH_SI_E_clIS7_S7_SB_PlEESF_SV_SG_SH_SI_EUlSV_E1_NS1_11comp_targetILNS1_3genE8ELNS1_11target_archE1030ELNS1_3gpuE2ELNS1_3repE0EEENS1_36merge_oddeven_config_static_selectorELNS0_4arch9wavefront6targetE1EEEvSH_
    .private_segment_fixed_size: 0
    .sgpr_count:     4
    .sgpr_spill_count: 0
    .symbol:         _ZN7rocprim17ROCPRIM_400000_NS6detail17trampoline_kernelINS0_14default_configENS1_38merge_sort_block_merge_config_selectorIalEEZZNS1_27merge_sort_block_merge_implIS3_PaN6thrust23THRUST_200600_302600_NS10device_ptrIlEEjNS1_19radix_merge_compareILb0ELb1EaNS0_19identity_decomposerEEEEE10hipError_tT0_T1_T2_jT3_P12ihipStream_tbPNSt15iterator_traitsISG_E10value_typeEPNSM_ISH_E10value_typeEPSI_NS1_7vsmem_tEENKUlT_SG_SH_SI_E_clIS7_S7_SB_PlEESF_SV_SG_SH_SI_EUlSV_E1_NS1_11comp_targetILNS1_3genE8ELNS1_11target_archE1030ELNS1_3gpuE2ELNS1_3repE0EEENS1_36merge_oddeven_config_static_selectorELNS0_4arch9wavefront6targetE1EEEvSH_.kd
    .uniform_work_group_size: 1
    .uses_dynamic_stack: false
    .vgpr_count:     0
    .vgpr_spill_count: 0
    .wavefront_size: 64
  - .agpr_count:     0
    .args:
      - .offset:         0
        .size:           40
        .value_kind:     by_value
    .group_segment_fixed_size: 0
    .kernarg_segment_align: 8
    .kernarg_segment_size: 40
    .language:       OpenCL C
    .language_version:
      - 2
      - 0
    .max_flat_workgroup_size: 1024
    .name:           _ZN7rocprim17ROCPRIM_400000_NS6detail17trampoline_kernelINS0_14default_configENS1_35radix_sort_onesweep_config_selectorIalEEZNS1_34radix_sort_onesweep_global_offsetsIS3_Lb0EPaN6thrust23THRUST_200600_302600_NS10device_ptrIlEEjNS0_19identity_decomposerEEE10hipError_tT1_T2_PT3_SG_jT4_jjP12ihipStream_tbEUlT_E_NS1_11comp_targetILNS1_3genE0ELNS1_11target_archE4294967295ELNS1_3gpuE0ELNS1_3repE0EEENS1_52radix_sort_onesweep_histogram_config_static_selectorELNS0_4arch9wavefront6targetE1EEEvSE_
    .private_segment_fixed_size: 0
    .sgpr_count:     4
    .sgpr_spill_count: 0
    .symbol:         _ZN7rocprim17ROCPRIM_400000_NS6detail17trampoline_kernelINS0_14default_configENS1_35radix_sort_onesweep_config_selectorIalEEZNS1_34radix_sort_onesweep_global_offsetsIS3_Lb0EPaN6thrust23THRUST_200600_302600_NS10device_ptrIlEEjNS0_19identity_decomposerEEE10hipError_tT1_T2_PT3_SG_jT4_jjP12ihipStream_tbEUlT_E_NS1_11comp_targetILNS1_3genE0ELNS1_11target_archE4294967295ELNS1_3gpuE0ELNS1_3repE0EEENS1_52radix_sort_onesweep_histogram_config_static_selectorELNS0_4arch9wavefront6targetE1EEEvSE_.kd
    .uniform_work_group_size: 1
    .uses_dynamic_stack: false
    .vgpr_count:     0
    .vgpr_spill_count: 0
    .wavefront_size: 64
  - .agpr_count:     0
    .args:
      - .offset:         0
        .size:           40
        .value_kind:     by_value
    .group_segment_fixed_size: 0
    .kernarg_segment_align: 8
    .kernarg_segment_size: 40
    .language:       OpenCL C
    .language_version:
      - 2
      - 0
    .max_flat_workgroup_size: 1024
    .name:           _ZN7rocprim17ROCPRIM_400000_NS6detail17trampoline_kernelINS0_14default_configENS1_35radix_sort_onesweep_config_selectorIalEEZNS1_34radix_sort_onesweep_global_offsetsIS3_Lb0EPaN6thrust23THRUST_200600_302600_NS10device_ptrIlEEjNS0_19identity_decomposerEEE10hipError_tT1_T2_PT3_SG_jT4_jjP12ihipStream_tbEUlT_E_NS1_11comp_targetILNS1_3genE6ELNS1_11target_archE950ELNS1_3gpuE13ELNS1_3repE0EEENS1_52radix_sort_onesweep_histogram_config_static_selectorELNS0_4arch9wavefront6targetE1EEEvSE_
    .private_segment_fixed_size: 0
    .sgpr_count:     4
    .sgpr_spill_count: 0
    .symbol:         _ZN7rocprim17ROCPRIM_400000_NS6detail17trampoline_kernelINS0_14default_configENS1_35radix_sort_onesweep_config_selectorIalEEZNS1_34radix_sort_onesweep_global_offsetsIS3_Lb0EPaN6thrust23THRUST_200600_302600_NS10device_ptrIlEEjNS0_19identity_decomposerEEE10hipError_tT1_T2_PT3_SG_jT4_jjP12ihipStream_tbEUlT_E_NS1_11comp_targetILNS1_3genE6ELNS1_11target_archE950ELNS1_3gpuE13ELNS1_3repE0EEENS1_52radix_sort_onesweep_histogram_config_static_selectorELNS0_4arch9wavefront6targetE1EEEvSE_.kd
    .uniform_work_group_size: 1
    .uses_dynamic_stack: false
    .vgpr_count:     0
    .vgpr_spill_count: 0
    .wavefront_size: 64
  - .agpr_count:     0
    .args:
      - .offset:         0
        .size:           40
        .value_kind:     by_value
    .group_segment_fixed_size: 0
    .kernarg_segment_align: 8
    .kernarg_segment_size: 40
    .language:       OpenCL C
    .language_version:
      - 2
      - 0
    .max_flat_workgroup_size: 1024
    .name:           _ZN7rocprim17ROCPRIM_400000_NS6detail17trampoline_kernelINS0_14default_configENS1_35radix_sort_onesweep_config_selectorIalEEZNS1_34radix_sort_onesweep_global_offsetsIS3_Lb0EPaN6thrust23THRUST_200600_302600_NS10device_ptrIlEEjNS0_19identity_decomposerEEE10hipError_tT1_T2_PT3_SG_jT4_jjP12ihipStream_tbEUlT_E_NS1_11comp_targetILNS1_3genE5ELNS1_11target_archE942ELNS1_3gpuE9ELNS1_3repE0EEENS1_52radix_sort_onesweep_histogram_config_static_selectorELNS0_4arch9wavefront6targetE1EEEvSE_
    .private_segment_fixed_size: 0
    .sgpr_count:     4
    .sgpr_spill_count: 0
    .symbol:         _ZN7rocprim17ROCPRIM_400000_NS6detail17trampoline_kernelINS0_14default_configENS1_35radix_sort_onesweep_config_selectorIalEEZNS1_34radix_sort_onesweep_global_offsetsIS3_Lb0EPaN6thrust23THRUST_200600_302600_NS10device_ptrIlEEjNS0_19identity_decomposerEEE10hipError_tT1_T2_PT3_SG_jT4_jjP12ihipStream_tbEUlT_E_NS1_11comp_targetILNS1_3genE5ELNS1_11target_archE942ELNS1_3gpuE9ELNS1_3repE0EEENS1_52radix_sort_onesweep_histogram_config_static_selectorELNS0_4arch9wavefront6targetE1EEEvSE_.kd
    .uniform_work_group_size: 1
    .uses_dynamic_stack: false
    .vgpr_count:     0
    .vgpr_spill_count: 0
    .wavefront_size: 64
  - .agpr_count:     0
    .args:
      - .offset:         0
        .size:           40
        .value_kind:     by_value
    .group_segment_fixed_size: 0
    .kernarg_segment_align: 8
    .kernarg_segment_size: 40
    .language:       OpenCL C
    .language_version:
      - 2
      - 0
    .max_flat_workgroup_size: 512
    .name:           _ZN7rocprim17ROCPRIM_400000_NS6detail17trampoline_kernelINS0_14default_configENS1_35radix_sort_onesweep_config_selectorIalEEZNS1_34radix_sort_onesweep_global_offsetsIS3_Lb0EPaN6thrust23THRUST_200600_302600_NS10device_ptrIlEEjNS0_19identity_decomposerEEE10hipError_tT1_T2_PT3_SG_jT4_jjP12ihipStream_tbEUlT_E_NS1_11comp_targetILNS1_3genE2ELNS1_11target_archE906ELNS1_3gpuE6ELNS1_3repE0EEENS1_52radix_sort_onesweep_histogram_config_static_selectorELNS0_4arch9wavefront6targetE1EEEvSE_
    .private_segment_fixed_size: 0
    .sgpr_count:     4
    .sgpr_spill_count: 0
    .symbol:         _ZN7rocprim17ROCPRIM_400000_NS6detail17trampoline_kernelINS0_14default_configENS1_35radix_sort_onesweep_config_selectorIalEEZNS1_34radix_sort_onesweep_global_offsetsIS3_Lb0EPaN6thrust23THRUST_200600_302600_NS10device_ptrIlEEjNS0_19identity_decomposerEEE10hipError_tT1_T2_PT3_SG_jT4_jjP12ihipStream_tbEUlT_E_NS1_11comp_targetILNS1_3genE2ELNS1_11target_archE906ELNS1_3gpuE6ELNS1_3repE0EEENS1_52radix_sort_onesweep_histogram_config_static_selectorELNS0_4arch9wavefront6targetE1EEEvSE_.kd
    .uniform_work_group_size: 1
    .uses_dynamic_stack: false
    .vgpr_count:     0
    .vgpr_spill_count: 0
    .wavefront_size: 64
  - .agpr_count:     0
    .args:
      - .offset:         0
        .size:           40
        .value_kind:     by_value
    .group_segment_fixed_size: 4096
    .kernarg_segment_align: 8
    .kernarg_segment_size: 40
    .language:       OpenCL C
    .language_version:
      - 2
      - 0
    .max_flat_workgroup_size: 1024
    .name:           _ZN7rocprim17ROCPRIM_400000_NS6detail17trampoline_kernelINS0_14default_configENS1_35radix_sort_onesweep_config_selectorIalEEZNS1_34radix_sort_onesweep_global_offsetsIS3_Lb0EPaN6thrust23THRUST_200600_302600_NS10device_ptrIlEEjNS0_19identity_decomposerEEE10hipError_tT1_T2_PT3_SG_jT4_jjP12ihipStream_tbEUlT_E_NS1_11comp_targetILNS1_3genE4ELNS1_11target_archE910ELNS1_3gpuE8ELNS1_3repE0EEENS1_52radix_sort_onesweep_histogram_config_static_selectorELNS0_4arch9wavefront6targetE1EEEvSE_
    .private_segment_fixed_size: 0
    .sgpr_count:     34
    .sgpr_spill_count: 0
    .symbol:         _ZN7rocprim17ROCPRIM_400000_NS6detail17trampoline_kernelINS0_14default_configENS1_35radix_sort_onesweep_config_selectorIalEEZNS1_34radix_sort_onesweep_global_offsetsIS3_Lb0EPaN6thrust23THRUST_200600_302600_NS10device_ptrIlEEjNS0_19identity_decomposerEEE10hipError_tT1_T2_PT3_SG_jT4_jjP12ihipStream_tbEUlT_E_NS1_11comp_targetILNS1_3genE4ELNS1_11target_archE910ELNS1_3gpuE8ELNS1_3repE0EEENS1_52radix_sort_onesweep_histogram_config_static_selectorELNS0_4arch9wavefront6targetE1EEEvSE_.kd
    .uniform_work_group_size: 1
    .uses_dynamic_stack: false
    .vgpr_count:     20
    .vgpr_spill_count: 0
    .wavefront_size: 64
  - .agpr_count:     0
    .args:
      - .offset:         0
        .size:           40
        .value_kind:     by_value
    .group_segment_fixed_size: 0
    .kernarg_segment_align: 8
    .kernarg_segment_size: 40
    .language:       OpenCL C
    .language_version:
      - 2
      - 0
    .max_flat_workgroup_size: 1024
    .name:           _ZN7rocprim17ROCPRIM_400000_NS6detail17trampoline_kernelINS0_14default_configENS1_35radix_sort_onesweep_config_selectorIalEEZNS1_34radix_sort_onesweep_global_offsetsIS3_Lb0EPaN6thrust23THRUST_200600_302600_NS10device_ptrIlEEjNS0_19identity_decomposerEEE10hipError_tT1_T2_PT3_SG_jT4_jjP12ihipStream_tbEUlT_E_NS1_11comp_targetILNS1_3genE3ELNS1_11target_archE908ELNS1_3gpuE7ELNS1_3repE0EEENS1_52radix_sort_onesweep_histogram_config_static_selectorELNS0_4arch9wavefront6targetE1EEEvSE_
    .private_segment_fixed_size: 0
    .sgpr_count:     4
    .sgpr_spill_count: 0
    .symbol:         _ZN7rocprim17ROCPRIM_400000_NS6detail17trampoline_kernelINS0_14default_configENS1_35radix_sort_onesweep_config_selectorIalEEZNS1_34radix_sort_onesweep_global_offsetsIS3_Lb0EPaN6thrust23THRUST_200600_302600_NS10device_ptrIlEEjNS0_19identity_decomposerEEE10hipError_tT1_T2_PT3_SG_jT4_jjP12ihipStream_tbEUlT_E_NS1_11comp_targetILNS1_3genE3ELNS1_11target_archE908ELNS1_3gpuE7ELNS1_3repE0EEENS1_52radix_sort_onesweep_histogram_config_static_selectorELNS0_4arch9wavefront6targetE1EEEvSE_.kd
    .uniform_work_group_size: 1
    .uses_dynamic_stack: false
    .vgpr_count:     0
    .vgpr_spill_count: 0
    .wavefront_size: 64
  - .agpr_count:     0
    .args:
      - .offset:         0
        .size:           40
        .value_kind:     by_value
    .group_segment_fixed_size: 0
    .kernarg_segment_align: 8
    .kernarg_segment_size: 40
    .language:       OpenCL C
    .language_version:
      - 2
      - 0
    .max_flat_workgroup_size: 1024
    .name:           _ZN7rocprim17ROCPRIM_400000_NS6detail17trampoline_kernelINS0_14default_configENS1_35radix_sort_onesweep_config_selectorIalEEZNS1_34radix_sort_onesweep_global_offsetsIS3_Lb0EPaN6thrust23THRUST_200600_302600_NS10device_ptrIlEEjNS0_19identity_decomposerEEE10hipError_tT1_T2_PT3_SG_jT4_jjP12ihipStream_tbEUlT_E_NS1_11comp_targetILNS1_3genE10ELNS1_11target_archE1201ELNS1_3gpuE5ELNS1_3repE0EEENS1_52radix_sort_onesweep_histogram_config_static_selectorELNS0_4arch9wavefront6targetE1EEEvSE_
    .private_segment_fixed_size: 0
    .sgpr_count:     4
    .sgpr_spill_count: 0
    .symbol:         _ZN7rocprim17ROCPRIM_400000_NS6detail17trampoline_kernelINS0_14default_configENS1_35radix_sort_onesweep_config_selectorIalEEZNS1_34radix_sort_onesweep_global_offsetsIS3_Lb0EPaN6thrust23THRUST_200600_302600_NS10device_ptrIlEEjNS0_19identity_decomposerEEE10hipError_tT1_T2_PT3_SG_jT4_jjP12ihipStream_tbEUlT_E_NS1_11comp_targetILNS1_3genE10ELNS1_11target_archE1201ELNS1_3gpuE5ELNS1_3repE0EEENS1_52radix_sort_onesweep_histogram_config_static_selectorELNS0_4arch9wavefront6targetE1EEEvSE_.kd
    .uniform_work_group_size: 1
    .uses_dynamic_stack: false
    .vgpr_count:     0
    .vgpr_spill_count: 0
    .wavefront_size: 64
  - .agpr_count:     0
    .args:
      - .offset:         0
        .size:           40
        .value_kind:     by_value
    .group_segment_fixed_size: 0
    .kernarg_segment_align: 8
    .kernarg_segment_size: 40
    .language:       OpenCL C
    .language_version:
      - 2
      - 0
    .max_flat_workgroup_size: 1024
    .name:           _ZN7rocprim17ROCPRIM_400000_NS6detail17trampoline_kernelINS0_14default_configENS1_35radix_sort_onesweep_config_selectorIalEEZNS1_34radix_sort_onesweep_global_offsetsIS3_Lb0EPaN6thrust23THRUST_200600_302600_NS10device_ptrIlEEjNS0_19identity_decomposerEEE10hipError_tT1_T2_PT3_SG_jT4_jjP12ihipStream_tbEUlT_E_NS1_11comp_targetILNS1_3genE9ELNS1_11target_archE1100ELNS1_3gpuE3ELNS1_3repE0EEENS1_52radix_sort_onesweep_histogram_config_static_selectorELNS0_4arch9wavefront6targetE1EEEvSE_
    .private_segment_fixed_size: 0
    .sgpr_count:     4
    .sgpr_spill_count: 0
    .symbol:         _ZN7rocprim17ROCPRIM_400000_NS6detail17trampoline_kernelINS0_14default_configENS1_35radix_sort_onesweep_config_selectorIalEEZNS1_34radix_sort_onesweep_global_offsetsIS3_Lb0EPaN6thrust23THRUST_200600_302600_NS10device_ptrIlEEjNS0_19identity_decomposerEEE10hipError_tT1_T2_PT3_SG_jT4_jjP12ihipStream_tbEUlT_E_NS1_11comp_targetILNS1_3genE9ELNS1_11target_archE1100ELNS1_3gpuE3ELNS1_3repE0EEENS1_52radix_sort_onesweep_histogram_config_static_selectorELNS0_4arch9wavefront6targetE1EEEvSE_.kd
    .uniform_work_group_size: 1
    .uses_dynamic_stack: false
    .vgpr_count:     0
    .vgpr_spill_count: 0
    .wavefront_size: 64
  - .agpr_count:     0
    .args:
      - .offset:         0
        .size:           40
        .value_kind:     by_value
    .group_segment_fixed_size: 0
    .kernarg_segment_align: 8
    .kernarg_segment_size: 40
    .language:       OpenCL C
    .language_version:
      - 2
      - 0
    .max_flat_workgroup_size: 1024
    .name:           _ZN7rocprim17ROCPRIM_400000_NS6detail17trampoline_kernelINS0_14default_configENS1_35radix_sort_onesweep_config_selectorIalEEZNS1_34radix_sort_onesweep_global_offsetsIS3_Lb0EPaN6thrust23THRUST_200600_302600_NS10device_ptrIlEEjNS0_19identity_decomposerEEE10hipError_tT1_T2_PT3_SG_jT4_jjP12ihipStream_tbEUlT_E_NS1_11comp_targetILNS1_3genE8ELNS1_11target_archE1030ELNS1_3gpuE2ELNS1_3repE0EEENS1_52radix_sort_onesweep_histogram_config_static_selectorELNS0_4arch9wavefront6targetE1EEEvSE_
    .private_segment_fixed_size: 0
    .sgpr_count:     4
    .sgpr_spill_count: 0
    .symbol:         _ZN7rocprim17ROCPRIM_400000_NS6detail17trampoline_kernelINS0_14default_configENS1_35radix_sort_onesweep_config_selectorIalEEZNS1_34radix_sort_onesweep_global_offsetsIS3_Lb0EPaN6thrust23THRUST_200600_302600_NS10device_ptrIlEEjNS0_19identity_decomposerEEE10hipError_tT1_T2_PT3_SG_jT4_jjP12ihipStream_tbEUlT_E_NS1_11comp_targetILNS1_3genE8ELNS1_11target_archE1030ELNS1_3gpuE2ELNS1_3repE0EEENS1_52radix_sort_onesweep_histogram_config_static_selectorELNS0_4arch9wavefront6targetE1EEEvSE_.kd
    .uniform_work_group_size: 1
    .uses_dynamic_stack: false
    .vgpr_count:     0
    .vgpr_spill_count: 0
    .wavefront_size: 64
  - .agpr_count:     0
    .args:
      - .address_space:  global
        .offset:         0
        .size:           8
        .value_kind:     global_buffer
    .group_segment_fixed_size: 0
    .kernarg_segment_align: 8
    .kernarg_segment_size: 8
    .language:       OpenCL C
    .language_version:
      - 2
      - 0
    .max_flat_workgroup_size: 1024
    .name:           _ZN7rocprim17ROCPRIM_400000_NS6detail17trampoline_kernelINS0_14default_configENS1_35radix_sort_onesweep_config_selectorIalEEZNS1_34radix_sort_onesweep_global_offsetsIS3_Lb0EPaN6thrust23THRUST_200600_302600_NS10device_ptrIlEEjNS0_19identity_decomposerEEE10hipError_tT1_T2_PT3_SG_jT4_jjP12ihipStream_tbEUlT_E0_NS1_11comp_targetILNS1_3genE0ELNS1_11target_archE4294967295ELNS1_3gpuE0ELNS1_3repE0EEENS1_52radix_sort_onesweep_histogram_config_static_selectorELNS0_4arch9wavefront6targetE1EEEvSE_
    .private_segment_fixed_size: 0
    .sgpr_count:     4
    .sgpr_spill_count: 0
    .symbol:         _ZN7rocprim17ROCPRIM_400000_NS6detail17trampoline_kernelINS0_14default_configENS1_35radix_sort_onesweep_config_selectorIalEEZNS1_34radix_sort_onesweep_global_offsetsIS3_Lb0EPaN6thrust23THRUST_200600_302600_NS10device_ptrIlEEjNS0_19identity_decomposerEEE10hipError_tT1_T2_PT3_SG_jT4_jjP12ihipStream_tbEUlT_E0_NS1_11comp_targetILNS1_3genE0ELNS1_11target_archE4294967295ELNS1_3gpuE0ELNS1_3repE0EEENS1_52radix_sort_onesweep_histogram_config_static_selectorELNS0_4arch9wavefront6targetE1EEEvSE_.kd
    .uniform_work_group_size: 1
    .uses_dynamic_stack: false
    .vgpr_count:     0
    .vgpr_spill_count: 0
    .wavefront_size: 64
  - .agpr_count:     0
    .args:
      - .address_space:  global
        .offset:         0
        .size:           8
        .value_kind:     global_buffer
    .group_segment_fixed_size: 0
    .kernarg_segment_align: 8
    .kernarg_segment_size: 8
    .language:       OpenCL C
    .language_version:
      - 2
      - 0
    .max_flat_workgroup_size: 1024
    .name:           _ZN7rocprim17ROCPRIM_400000_NS6detail17trampoline_kernelINS0_14default_configENS1_35radix_sort_onesweep_config_selectorIalEEZNS1_34radix_sort_onesweep_global_offsetsIS3_Lb0EPaN6thrust23THRUST_200600_302600_NS10device_ptrIlEEjNS0_19identity_decomposerEEE10hipError_tT1_T2_PT3_SG_jT4_jjP12ihipStream_tbEUlT_E0_NS1_11comp_targetILNS1_3genE6ELNS1_11target_archE950ELNS1_3gpuE13ELNS1_3repE0EEENS1_52radix_sort_onesweep_histogram_config_static_selectorELNS0_4arch9wavefront6targetE1EEEvSE_
    .private_segment_fixed_size: 0
    .sgpr_count:     4
    .sgpr_spill_count: 0
    .symbol:         _ZN7rocprim17ROCPRIM_400000_NS6detail17trampoline_kernelINS0_14default_configENS1_35radix_sort_onesweep_config_selectorIalEEZNS1_34radix_sort_onesweep_global_offsetsIS3_Lb0EPaN6thrust23THRUST_200600_302600_NS10device_ptrIlEEjNS0_19identity_decomposerEEE10hipError_tT1_T2_PT3_SG_jT4_jjP12ihipStream_tbEUlT_E0_NS1_11comp_targetILNS1_3genE6ELNS1_11target_archE950ELNS1_3gpuE13ELNS1_3repE0EEENS1_52radix_sort_onesweep_histogram_config_static_selectorELNS0_4arch9wavefront6targetE1EEEvSE_.kd
    .uniform_work_group_size: 1
    .uses_dynamic_stack: false
    .vgpr_count:     0
    .vgpr_spill_count: 0
    .wavefront_size: 64
  - .agpr_count:     0
    .args:
      - .address_space:  global
        .offset:         0
        .size:           8
        .value_kind:     global_buffer
    .group_segment_fixed_size: 0
    .kernarg_segment_align: 8
    .kernarg_segment_size: 8
    .language:       OpenCL C
    .language_version:
      - 2
      - 0
    .max_flat_workgroup_size: 1024
    .name:           _ZN7rocprim17ROCPRIM_400000_NS6detail17trampoline_kernelINS0_14default_configENS1_35radix_sort_onesweep_config_selectorIalEEZNS1_34radix_sort_onesweep_global_offsetsIS3_Lb0EPaN6thrust23THRUST_200600_302600_NS10device_ptrIlEEjNS0_19identity_decomposerEEE10hipError_tT1_T2_PT3_SG_jT4_jjP12ihipStream_tbEUlT_E0_NS1_11comp_targetILNS1_3genE5ELNS1_11target_archE942ELNS1_3gpuE9ELNS1_3repE0EEENS1_52radix_sort_onesweep_histogram_config_static_selectorELNS0_4arch9wavefront6targetE1EEEvSE_
    .private_segment_fixed_size: 0
    .sgpr_count:     4
    .sgpr_spill_count: 0
    .symbol:         _ZN7rocprim17ROCPRIM_400000_NS6detail17trampoline_kernelINS0_14default_configENS1_35radix_sort_onesweep_config_selectorIalEEZNS1_34radix_sort_onesweep_global_offsetsIS3_Lb0EPaN6thrust23THRUST_200600_302600_NS10device_ptrIlEEjNS0_19identity_decomposerEEE10hipError_tT1_T2_PT3_SG_jT4_jjP12ihipStream_tbEUlT_E0_NS1_11comp_targetILNS1_3genE5ELNS1_11target_archE942ELNS1_3gpuE9ELNS1_3repE0EEENS1_52radix_sort_onesweep_histogram_config_static_selectorELNS0_4arch9wavefront6targetE1EEEvSE_.kd
    .uniform_work_group_size: 1
    .uses_dynamic_stack: false
    .vgpr_count:     0
    .vgpr_spill_count: 0
    .wavefront_size: 64
  - .agpr_count:     0
    .args:
      - .address_space:  global
        .offset:         0
        .size:           8
        .value_kind:     global_buffer
    .group_segment_fixed_size: 0
    .kernarg_segment_align: 8
    .kernarg_segment_size: 8
    .language:       OpenCL C
    .language_version:
      - 2
      - 0
    .max_flat_workgroup_size: 512
    .name:           _ZN7rocprim17ROCPRIM_400000_NS6detail17trampoline_kernelINS0_14default_configENS1_35radix_sort_onesweep_config_selectorIalEEZNS1_34radix_sort_onesweep_global_offsetsIS3_Lb0EPaN6thrust23THRUST_200600_302600_NS10device_ptrIlEEjNS0_19identity_decomposerEEE10hipError_tT1_T2_PT3_SG_jT4_jjP12ihipStream_tbEUlT_E0_NS1_11comp_targetILNS1_3genE2ELNS1_11target_archE906ELNS1_3gpuE6ELNS1_3repE0EEENS1_52radix_sort_onesweep_histogram_config_static_selectorELNS0_4arch9wavefront6targetE1EEEvSE_
    .private_segment_fixed_size: 0
    .sgpr_count:     4
    .sgpr_spill_count: 0
    .symbol:         _ZN7rocprim17ROCPRIM_400000_NS6detail17trampoline_kernelINS0_14default_configENS1_35radix_sort_onesweep_config_selectorIalEEZNS1_34radix_sort_onesweep_global_offsetsIS3_Lb0EPaN6thrust23THRUST_200600_302600_NS10device_ptrIlEEjNS0_19identity_decomposerEEE10hipError_tT1_T2_PT3_SG_jT4_jjP12ihipStream_tbEUlT_E0_NS1_11comp_targetILNS1_3genE2ELNS1_11target_archE906ELNS1_3gpuE6ELNS1_3repE0EEENS1_52radix_sort_onesweep_histogram_config_static_selectorELNS0_4arch9wavefront6targetE1EEEvSE_.kd
    .uniform_work_group_size: 1
    .uses_dynamic_stack: false
    .vgpr_count:     0
    .vgpr_spill_count: 0
    .wavefront_size: 64
  - .agpr_count:     0
    .args:
      - .address_space:  global
        .offset:         0
        .size:           8
        .value_kind:     global_buffer
    .group_segment_fixed_size: 64
    .kernarg_segment_align: 8
    .kernarg_segment_size: 8
    .language:       OpenCL C
    .language_version:
      - 2
      - 0
    .max_flat_workgroup_size: 1024
    .name:           _ZN7rocprim17ROCPRIM_400000_NS6detail17trampoline_kernelINS0_14default_configENS1_35radix_sort_onesweep_config_selectorIalEEZNS1_34radix_sort_onesweep_global_offsetsIS3_Lb0EPaN6thrust23THRUST_200600_302600_NS10device_ptrIlEEjNS0_19identity_decomposerEEE10hipError_tT1_T2_PT3_SG_jT4_jjP12ihipStream_tbEUlT_E0_NS1_11comp_targetILNS1_3genE4ELNS1_11target_archE910ELNS1_3gpuE8ELNS1_3repE0EEENS1_52radix_sort_onesweep_histogram_config_static_selectorELNS0_4arch9wavefront6targetE1EEEvSE_
    .private_segment_fixed_size: 0
    .sgpr_count:     18
    .sgpr_spill_count: 0
    .symbol:         _ZN7rocprim17ROCPRIM_400000_NS6detail17trampoline_kernelINS0_14default_configENS1_35radix_sort_onesweep_config_selectorIalEEZNS1_34radix_sort_onesweep_global_offsetsIS3_Lb0EPaN6thrust23THRUST_200600_302600_NS10device_ptrIlEEjNS0_19identity_decomposerEEE10hipError_tT1_T2_PT3_SG_jT4_jjP12ihipStream_tbEUlT_E0_NS1_11comp_targetILNS1_3genE4ELNS1_11target_archE910ELNS1_3gpuE8ELNS1_3repE0EEENS1_52radix_sort_onesweep_histogram_config_static_selectorELNS0_4arch9wavefront6targetE1EEEvSE_.kd
    .uniform_work_group_size: 1
    .uses_dynamic_stack: false
    .vgpr_count:     7
    .vgpr_spill_count: 0
    .wavefront_size: 64
  - .agpr_count:     0
    .args:
      - .address_space:  global
        .offset:         0
        .size:           8
        .value_kind:     global_buffer
    .group_segment_fixed_size: 0
    .kernarg_segment_align: 8
    .kernarg_segment_size: 8
    .language:       OpenCL C
    .language_version:
      - 2
      - 0
    .max_flat_workgroup_size: 1024
    .name:           _ZN7rocprim17ROCPRIM_400000_NS6detail17trampoline_kernelINS0_14default_configENS1_35radix_sort_onesweep_config_selectorIalEEZNS1_34radix_sort_onesweep_global_offsetsIS3_Lb0EPaN6thrust23THRUST_200600_302600_NS10device_ptrIlEEjNS0_19identity_decomposerEEE10hipError_tT1_T2_PT3_SG_jT4_jjP12ihipStream_tbEUlT_E0_NS1_11comp_targetILNS1_3genE3ELNS1_11target_archE908ELNS1_3gpuE7ELNS1_3repE0EEENS1_52radix_sort_onesweep_histogram_config_static_selectorELNS0_4arch9wavefront6targetE1EEEvSE_
    .private_segment_fixed_size: 0
    .sgpr_count:     4
    .sgpr_spill_count: 0
    .symbol:         _ZN7rocprim17ROCPRIM_400000_NS6detail17trampoline_kernelINS0_14default_configENS1_35radix_sort_onesweep_config_selectorIalEEZNS1_34radix_sort_onesweep_global_offsetsIS3_Lb0EPaN6thrust23THRUST_200600_302600_NS10device_ptrIlEEjNS0_19identity_decomposerEEE10hipError_tT1_T2_PT3_SG_jT4_jjP12ihipStream_tbEUlT_E0_NS1_11comp_targetILNS1_3genE3ELNS1_11target_archE908ELNS1_3gpuE7ELNS1_3repE0EEENS1_52radix_sort_onesweep_histogram_config_static_selectorELNS0_4arch9wavefront6targetE1EEEvSE_.kd
    .uniform_work_group_size: 1
    .uses_dynamic_stack: false
    .vgpr_count:     0
    .vgpr_spill_count: 0
    .wavefront_size: 64
  - .agpr_count:     0
    .args:
      - .address_space:  global
        .offset:         0
        .size:           8
        .value_kind:     global_buffer
    .group_segment_fixed_size: 0
    .kernarg_segment_align: 8
    .kernarg_segment_size: 8
    .language:       OpenCL C
    .language_version:
      - 2
      - 0
    .max_flat_workgroup_size: 1024
    .name:           _ZN7rocprim17ROCPRIM_400000_NS6detail17trampoline_kernelINS0_14default_configENS1_35radix_sort_onesweep_config_selectorIalEEZNS1_34radix_sort_onesweep_global_offsetsIS3_Lb0EPaN6thrust23THRUST_200600_302600_NS10device_ptrIlEEjNS0_19identity_decomposerEEE10hipError_tT1_T2_PT3_SG_jT4_jjP12ihipStream_tbEUlT_E0_NS1_11comp_targetILNS1_3genE10ELNS1_11target_archE1201ELNS1_3gpuE5ELNS1_3repE0EEENS1_52radix_sort_onesweep_histogram_config_static_selectorELNS0_4arch9wavefront6targetE1EEEvSE_
    .private_segment_fixed_size: 0
    .sgpr_count:     4
    .sgpr_spill_count: 0
    .symbol:         _ZN7rocprim17ROCPRIM_400000_NS6detail17trampoline_kernelINS0_14default_configENS1_35radix_sort_onesweep_config_selectorIalEEZNS1_34radix_sort_onesweep_global_offsetsIS3_Lb0EPaN6thrust23THRUST_200600_302600_NS10device_ptrIlEEjNS0_19identity_decomposerEEE10hipError_tT1_T2_PT3_SG_jT4_jjP12ihipStream_tbEUlT_E0_NS1_11comp_targetILNS1_3genE10ELNS1_11target_archE1201ELNS1_3gpuE5ELNS1_3repE0EEENS1_52radix_sort_onesweep_histogram_config_static_selectorELNS0_4arch9wavefront6targetE1EEEvSE_.kd
    .uniform_work_group_size: 1
    .uses_dynamic_stack: false
    .vgpr_count:     0
    .vgpr_spill_count: 0
    .wavefront_size: 64
  - .agpr_count:     0
    .args:
      - .address_space:  global
        .offset:         0
        .size:           8
        .value_kind:     global_buffer
    .group_segment_fixed_size: 0
    .kernarg_segment_align: 8
    .kernarg_segment_size: 8
    .language:       OpenCL C
    .language_version:
      - 2
      - 0
    .max_flat_workgroup_size: 1024
    .name:           _ZN7rocprim17ROCPRIM_400000_NS6detail17trampoline_kernelINS0_14default_configENS1_35radix_sort_onesweep_config_selectorIalEEZNS1_34radix_sort_onesweep_global_offsetsIS3_Lb0EPaN6thrust23THRUST_200600_302600_NS10device_ptrIlEEjNS0_19identity_decomposerEEE10hipError_tT1_T2_PT3_SG_jT4_jjP12ihipStream_tbEUlT_E0_NS1_11comp_targetILNS1_3genE9ELNS1_11target_archE1100ELNS1_3gpuE3ELNS1_3repE0EEENS1_52radix_sort_onesweep_histogram_config_static_selectorELNS0_4arch9wavefront6targetE1EEEvSE_
    .private_segment_fixed_size: 0
    .sgpr_count:     4
    .sgpr_spill_count: 0
    .symbol:         _ZN7rocprim17ROCPRIM_400000_NS6detail17trampoline_kernelINS0_14default_configENS1_35radix_sort_onesweep_config_selectorIalEEZNS1_34radix_sort_onesweep_global_offsetsIS3_Lb0EPaN6thrust23THRUST_200600_302600_NS10device_ptrIlEEjNS0_19identity_decomposerEEE10hipError_tT1_T2_PT3_SG_jT4_jjP12ihipStream_tbEUlT_E0_NS1_11comp_targetILNS1_3genE9ELNS1_11target_archE1100ELNS1_3gpuE3ELNS1_3repE0EEENS1_52radix_sort_onesweep_histogram_config_static_selectorELNS0_4arch9wavefront6targetE1EEEvSE_.kd
    .uniform_work_group_size: 1
    .uses_dynamic_stack: false
    .vgpr_count:     0
    .vgpr_spill_count: 0
    .wavefront_size: 64
  - .agpr_count:     0
    .args:
      - .address_space:  global
        .offset:         0
        .size:           8
        .value_kind:     global_buffer
    .group_segment_fixed_size: 0
    .kernarg_segment_align: 8
    .kernarg_segment_size: 8
    .language:       OpenCL C
    .language_version:
      - 2
      - 0
    .max_flat_workgroup_size: 1024
    .name:           _ZN7rocprim17ROCPRIM_400000_NS6detail17trampoline_kernelINS0_14default_configENS1_35radix_sort_onesweep_config_selectorIalEEZNS1_34radix_sort_onesweep_global_offsetsIS3_Lb0EPaN6thrust23THRUST_200600_302600_NS10device_ptrIlEEjNS0_19identity_decomposerEEE10hipError_tT1_T2_PT3_SG_jT4_jjP12ihipStream_tbEUlT_E0_NS1_11comp_targetILNS1_3genE8ELNS1_11target_archE1030ELNS1_3gpuE2ELNS1_3repE0EEENS1_52radix_sort_onesweep_histogram_config_static_selectorELNS0_4arch9wavefront6targetE1EEEvSE_
    .private_segment_fixed_size: 0
    .sgpr_count:     4
    .sgpr_spill_count: 0
    .symbol:         _ZN7rocprim17ROCPRIM_400000_NS6detail17trampoline_kernelINS0_14default_configENS1_35radix_sort_onesweep_config_selectorIalEEZNS1_34radix_sort_onesweep_global_offsetsIS3_Lb0EPaN6thrust23THRUST_200600_302600_NS10device_ptrIlEEjNS0_19identity_decomposerEEE10hipError_tT1_T2_PT3_SG_jT4_jjP12ihipStream_tbEUlT_E0_NS1_11comp_targetILNS1_3genE8ELNS1_11target_archE1030ELNS1_3gpuE2ELNS1_3repE0EEENS1_52radix_sort_onesweep_histogram_config_static_selectorELNS0_4arch9wavefront6targetE1EEEvSE_.kd
    .uniform_work_group_size: 1
    .uses_dynamic_stack: false
    .vgpr_count:     0
    .vgpr_spill_count: 0
    .wavefront_size: 64
  - .agpr_count:     0
    .args:
      - .offset:         0
        .size:           88
        .value_kind:     by_value
    .group_segment_fixed_size: 0
    .kernarg_segment_align: 8
    .kernarg_segment_size: 88
    .language:       OpenCL C
    .language_version:
      - 2
      - 0
    .max_flat_workgroup_size: 1024
    .name:           _ZN7rocprim17ROCPRIM_400000_NS6detail17trampoline_kernelINS0_14default_configENS1_35radix_sort_onesweep_config_selectorIalEEZZNS1_29radix_sort_onesweep_iterationIS3_Lb0EPaS7_N6thrust23THRUST_200600_302600_NS10device_ptrIlEESB_jNS0_19identity_decomposerENS1_16block_id_wrapperIjLb1EEEEE10hipError_tT1_PNSt15iterator_traitsISG_E10value_typeET2_T3_PNSH_ISM_E10value_typeET4_T5_PSR_SS_PNS1_23onesweep_lookback_stateEbbT6_jjT7_P12ihipStream_tbENKUlT_T0_SG_SL_E_clIS7_S7_SB_SB_EEDaSZ_S10_SG_SL_EUlSZ_E_NS1_11comp_targetILNS1_3genE0ELNS1_11target_archE4294967295ELNS1_3gpuE0ELNS1_3repE0EEENS1_47radix_sort_onesweep_sort_config_static_selectorELNS0_4arch9wavefront6targetE1EEEvSG_
    .private_segment_fixed_size: 0
    .sgpr_count:     4
    .sgpr_spill_count: 0
    .symbol:         _ZN7rocprim17ROCPRIM_400000_NS6detail17trampoline_kernelINS0_14default_configENS1_35radix_sort_onesweep_config_selectorIalEEZZNS1_29radix_sort_onesweep_iterationIS3_Lb0EPaS7_N6thrust23THRUST_200600_302600_NS10device_ptrIlEESB_jNS0_19identity_decomposerENS1_16block_id_wrapperIjLb1EEEEE10hipError_tT1_PNSt15iterator_traitsISG_E10value_typeET2_T3_PNSH_ISM_E10value_typeET4_T5_PSR_SS_PNS1_23onesweep_lookback_stateEbbT6_jjT7_P12ihipStream_tbENKUlT_T0_SG_SL_E_clIS7_S7_SB_SB_EEDaSZ_S10_SG_SL_EUlSZ_E_NS1_11comp_targetILNS1_3genE0ELNS1_11target_archE4294967295ELNS1_3gpuE0ELNS1_3repE0EEENS1_47radix_sort_onesweep_sort_config_static_selectorELNS0_4arch9wavefront6targetE1EEEvSG_.kd
    .uniform_work_group_size: 1
    .uses_dynamic_stack: false
    .vgpr_count:     0
    .vgpr_spill_count: 0
    .wavefront_size: 64
  - .agpr_count:     0
    .args:
      - .offset:         0
        .size:           88
        .value_kind:     by_value
    .group_segment_fixed_size: 0
    .kernarg_segment_align: 8
    .kernarg_segment_size: 88
    .language:       OpenCL C
    .language_version:
      - 2
      - 0
    .max_flat_workgroup_size: 1024
    .name:           _ZN7rocprim17ROCPRIM_400000_NS6detail17trampoline_kernelINS0_14default_configENS1_35radix_sort_onesweep_config_selectorIalEEZZNS1_29radix_sort_onesweep_iterationIS3_Lb0EPaS7_N6thrust23THRUST_200600_302600_NS10device_ptrIlEESB_jNS0_19identity_decomposerENS1_16block_id_wrapperIjLb1EEEEE10hipError_tT1_PNSt15iterator_traitsISG_E10value_typeET2_T3_PNSH_ISM_E10value_typeET4_T5_PSR_SS_PNS1_23onesweep_lookback_stateEbbT6_jjT7_P12ihipStream_tbENKUlT_T0_SG_SL_E_clIS7_S7_SB_SB_EEDaSZ_S10_SG_SL_EUlSZ_E_NS1_11comp_targetILNS1_3genE6ELNS1_11target_archE950ELNS1_3gpuE13ELNS1_3repE0EEENS1_47radix_sort_onesweep_sort_config_static_selectorELNS0_4arch9wavefront6targetE1EEEvSG_
    .private_segment_fixed_size: 0
    .sgpr_count:     4
    .sgpr_spill_count: 0
    .symbol:         _ZN7rocprim17ROCPRIM_400000_NS6detail17trampoline_kernelINS0_14default_configENS1_35radix_sort_onesweep_config_selectorIalEEZZNS1_29radix_sort_onesweep_iterationIS3_Lb0EPaS7_N6thrust23THRUST_200600_302600_NS10device_ptrIlEESB_jNS0_19identity_decomposerENS1_16block_id_wrapperIjLb1EEEEE10hipError_tT1_PNSt15iterator_traitsISG_E10value_typeET2_T3_PNSH_ISM_E10value_typeET4_T5_PSR_SS_PNS1_23onesweep_lookback_stateEbbT6_jjT7_P12ihipStream_tbENKUlT_T0_SG_SL_E_clIS7_S7_SB_SB_EEDaSZ_S10_SG_SL_EUlSZ_E_NS1_11comp_targetILNS1_3genE6ELNS1_11target_archE950ELNS1_3gpuE13ELNS1_3repE0EEENS1_47radix_sort_onesweep_sort_config_static_selectorELNS0_4arch9wavefront6targetE1EEEvSG_.kd
    .uniform_work_group_size: 1
    .uses_dynamic_stack: false
    .vgpr_count:     0
    .vgpr_spill_count: 0
    .wavefront_size: 64
  - .agpr_count:     0
    .args:
      - .offset:         0
        .size:           88
        .value_kind:     by_value
    .group_segment_fixed_size: 0
    .kernarg_segment_align: 8
    .kernarg_segment_size: 88
    .language:       OpenCL C
    .language_version:
      - 2
      - 0
    .max_flat_workgroup_size: 1024
    .name:           _ZN7rocprim17ROCPRIM_400000_NS6detail17trampoline_kernelINS0_14default_configENS1_35radix_sort_onesweep_config_selectorIalEEZZNS1_29radix_sort_onesweep_iterationIS3_Lb0EPaS7_N6thrust23THRUST_200600_302600_NS10device_ptrIlEESB_jNS0_19identity_decomposerENS1_16block_id_wrapperIjLb1EEEEE10hipError_tT1_PNSt15iterator_traitsISG_E10value_typeET2_T3_PNSH_ISM_E10value_typeET4_T5_PSR_SS_PNS1_23onesweep_lookback_stateEbbT6_jjT7_P12ihipStream_tbENKUlT_T0_SG_SL_E_clIS7_S7_SB_SB_EEDaSZ_S10_SG_SL_EUlSZ_E_NS1_11comp_targetILNS1_3genE5ELNS1_11target_archE942ELNS1_3gpuE9ELNS1_3repE0EEENS1_47radix_sort_onesweep_sort_config_static_selectorELNS0_4arch9wavefront6targetE1EEEvSG_
    .private_segment_fixed_size: 0
    .sgpr_count:     4
    .sgpr_spill_count: 0
    .symbol:         _ZN7rocprim17ROCPRIM_400000_NS6detail17trampoline_kernelINS0_14default_configENS1_35radix_sort_onesweep_config_selectorIalEEZZNS1_29radix_sort_onesweep_iterationIS3_Lb0EPaS7_N6thrust23THRUST_200600_302600_NS10device_ptrIlEESB_jNS0_19identity_decomposerENS1_16block_id_wrapperIjLb1EEEEE10hipError_tT1_PNSt15iterator_traitsISG_E10value_typeET2_T3_PNSH_ISM_E10value_typeET4_T5_PSR_SS_PNS1_23onesweep_lookback_stateEbbT6_jjT7_P12ihipStream_tbENKUlT_T0_SG_SL_E_clIS7_S7_SB_SB_EEDaSZ_S10_SG_SL_EUlSZ_E_NS1_11comp_targetILNS1_3genE5ELNS1_11target_archE942ELNS1_3gpuE9ELNS1_3repE0EEENS1_47radix_sort_onesweep_sort_config_static_selectorELNS0_4arch9wavefront6targetE1EEEvSG_.kd
    .uniform_work_group_size: 1
    .uses_dynamic_stack: false
    .vgpr_count:     0
    .vgpr_spill_count: 0
    .wavefront_size: 64
  - .agpr_count:     0
    .args:
      - .offset:         0
        .size:           88
        .value_kind:     by_value
    .group_segment_fixed_size: 0
    .kernarg_segment_align: 8
    .kernarg_segment_size: 88
    .language:       OpenCL C
    .language_version:
      - 2
      - 0
    .max_flat_workgroup_size: 512
    .name:           _ZN7rocprim17ROCPRIM_400000_NS6detail17trampoline_kernelINS0_14default_configENS1_35radix_sort_onesweep_config_selectorIalEEZZNS1_29radix_sort_onesweep_iterationIS3_Lb0EPaS7_N6thrust23THRUST_200600_302600_NS10device_ptrIlEESB_jNS0_19identity_decomposerENS1_16block_id_wrapperIjLb1EEEEE10hipError_tT1_PNSt15iterator_traitsISG_E10value_typeET2_T3_PNSH_ISM_E10value_typeET4_T5_PSR_SS_PNS1_23onesweep_lookback_stateEbbT6_jjT7_P12ihipStream_tbENKUlT_T0_SG_SL_E_clIS7_S7_SB_SB_EEDaSZ_S10_SG_SL_EUlSZ_E_NS1_11comp_targetILNS1_3genE2ELNS1_11target_archE906ELNS1_3gpuE6ELNS1_3repE0EEENS1_47radix_sort_onesweep_sort_config_static_selectorELNS0_4arch9wavefront6targetE1EEEvSG_
    .private_segment_fixed_size: 0
    .sgpr_count:     4
    .sgpr_spill_count: 0
    .symbol:         _ZN7rocprim17ROCPRIM_400000_NS6detail17trampoline_kernelINS0_14default_configENS1_35radix_sort_onesweep_config_selectorIalEEZZNS1_29radix_sort_onesweep_iterationIS3_Lb0EPaS7_N6thrust23THRUST_200600_302600_NS10device_ptrIlEESB_jNS0_19identity_decomposerENS1_16block_id_wrapperIjLb1EEEEE10hipError_tT1_PNSt15iterator_traitsISG_E10value_typeET2_T3_PNSH_ISM_E10value_typeET4_T5_PSR_SS_PNS1_23onesweep_lookback_stateEbbT6_jjT7_P12ihipStream_tbENKUlT_T0_SG_SL_E_clIS7_S7_SB_SB_EEDaSZ_S10_SG_SL_EUlSZ_E_NS1_11comp_targetILNS1_3genE2ELNS1_11target_archE906ELNS1_3gpuE6ELNS1_3repE0EEENS1_47radix_sort_onesweep_sort_config_static_selectorELNS0_4arch9wavefront6targetE1EEEvSG_.kd
    .uniform_work_group_size: 1
    .uses_dynamic_stack: false
    .vgpr_count:     0
    .vgpr_spill_count: 0
    .wavefront_size: 64
  - .agpr_count:     0
    .args:
      - .offset:         0
        .size:           88
        .value_kind:     by_value
      - .offset:         88
        .size:           4
        .value_kind:     hidden_block_count_x
      - .offset:         92
        .size:           4
        .value_kind:     hidden_block_count_y
      - .offset:         96
        .size:           4
        .value_kind:     hidden_block_count_z
      - .offset:         100
        .size:           2
        .value_kind:     hidden_group_size_x
      - .offset:         102
        .size:           2
        .value_kind:     hidden_group_size_y
      - .offset:         104
        .size:           2
        .value_kind:     hidden_group_size_z
      - .offset:         106
        .size:           2
        .value_kind:     hidden_remainder_x
      - .offset:         108
        .size:           2
        .value_kind:     hidden_remainder_y
      - .offset:         110
        .size:           2
        .value_kind:     hidden_remainder_z
      - .offset:         128
        .size:           8
        .value_kind:     hidden_global_offset_x
      - .offset:         136
        .size:           8
        .value_kind:     hidden_global_offset_y
      - .offset:         144
        .size:           8
        .value_kind:     hidden_global_offset_z
      - .offset:         152
        .size:           2
        .value_kind:     hidden_grid_dims
    .group_segment_fixed_size: 20552
    .kernarg_segment_align: 8
    .kernarg_segment_size: 344
    .language:       OpenCL C
    .language_version:
      - 2
      - 0
    .max_flat_workgroup_size: 1024
    .name:           _ZN7rocprim17ROCPRIM_400000_NS6detail17trampoline_kernelINS0_14default_configENS1_35radix_sort_onesweep_config_selectorIalEEZZNS1_29radix_sort_onesweep_iterationIS3_Lb0EPaS7_N6thrust23THRUST_200600_302600_NS10device_ptrIlEESB_jNS0_19identity_decomposerENS1_16block_id_wrapperIjLb1EEEEE10hipError_tT1_PNSt15iterator_traitsISG_E10value_typeET2_T3_PNSH_ISM_E10value_typeET4_T5_PSR_SS_PNS1_23onesweep_lookback_stateEbbT6_jjT7_P12ihipStream_tbENKUlT_T0_SG_SL_E_clIS7_S7_SB_SB_EEDaSZ_S10_SG_SL_EUlSZ_E_NS1_11comp_targetILNS1_3genE4ELNS1_11target_archE910ELNS1_3gpuE8ELNS1_3repE0EEENS1_47radix_sort_onesweep_sort_config_static_selectorELNS0_4arch9wavefront6targetE1EEEvSG_
    .private_segment_fixed_size: 0
    .sgpr_count:     60
    .sgpr_spill_count: 0
    .symbol:         _ZN7rocprim17ROCPRIM_400000_NS6detail17trampoline_kernelINS0_14default_configENS1_35radix_sort_onesweep_config_selectorIalEEZZNS1_29radix_sort_onesweep_iterationIS3_Lb0EPaS7_N6thrust23THRUST_200600_302600_NS10device_ptrIlEESB_jNS0_19identity_decomposerENS1_16block_id_wrapperIjLb1EEEEE10hipError_tT1_PNSt15iterator_traitsISG_E10value_typeET2_T3_PNSH_ISM_E10value_typeET4_T5_PSR_SS_PNS1_23onesweep_lookback_stateEbbT6_jjT7_P12ihipStream_tbENKUlT_T0_SG_SL_E_clIS7_S7_SB_SB_EEDaSZ_S10_SG_SL_EUlSZ_E_NS1_11comp_targetILNS1_3genE4ELNS1_11target_archE910ELNS1_3gpuE8ELNS1_3repE0EEENS1_47radix_sort_onesweep_sort_config_static_selectorELNS0_4arch9wavefront6targetE1EEEvSG_.kd
    .uniform_work_group_size: 1
    .uses_dynamic_stack: false
    .vgpr_count:     55
    .vgpr_spill_count: 0
    .wavefront_size: 64
  - .agpr_count:     0
    .args:
      - .offset:         0
        .size:           88
        .value_kind:     by_value
    .group_segment_fixed_size: 0
    .kernarg_segment_align: 8
    .kernarg_segment_size: 88
    .language:       OpenCL C
    .language_version:
      - 2
      - 0
    .max_flat_workgroup_size: 1024
    .name:           _ZN7rocprim17ROCPRIM_400000_NS6detail17trampoline_kernelINS0_14default_configENS1_35radix_sort_onesweep_config_selectorIalEEZZNS1_29radix_sort_onesweep_iterationIS3_Lb0EPaS7_N6thrust23THRUST_200600_302600_NS10device_ptrIlEESB_jNS0_19identity_decomposerENS1_16block_id_wrapperIjLb1EEEEE10hipError_tT1_PNSt15iterator_traitsISG_E10value_typeET2_T3_PNSH_ISM_E10value_typeET4_T5_PSR_SS_PNS1_23onesweep_lookback_stateEbbT6_jjT7_P12ihipStream_tbENKUlT_T0_SG_SL_E_clIS7_S7_SB_SB_EEDaSZ_S10_SG_SL_EUlSZ_E_NS1_11comp_targetILNS1_3genE3ELNS1_11target_archE908ELNS1_3gpuE7ELNS1_3repE0EEENS1_47radix_sort_onesweep_sort_config_static_selectorELNS0_4arch9wavefront6targetE1EEEvSG_
    .private_segment_fixed_size: 0
    .sgpr_count:     4
    .sgpr_spill_count: 0
    .symbol:         _ZN7rocprim17ROCPRIM_400000_NS6detail17trampoline_kernelINS0_14default_configENS1_35radix_sort_onesweep_config_selectorIalEEZZNS1_29radix_sort_onesweep_iterationIS3_Lb0EPaS7_N6thrust23THRUST_200600_302600_NS10device_ptrIlEESB_jNS0_19identity_decomposerENS1_16block_id_wrapperIjLb1EEEEE10hipError_tT1_PNSt15iterator_traitsISG_E10value_typeET2_T3_PNSH_ISM_E10value_typeET4_T5_PSR_SS_PNS1_23onesweep_lookback_stateEbbT6_jjT7_P12ihipStream_tbENKUlT_T0_SG_SL_E_clIS7_S7_SB_SB_EEDaSZ_S10_SG_SL_EUlSZ_E_NS1_11comp_targetILNS1_3genE3ELNS1_11target_archE908ELNS1_3gpuE7ELNS1_3repE0EEENS1_47radix_sort_onesweep_sort_config_static_selectorELNS0_4arch9wavefront6targetE1EEEvSG_.kd
    .uniform_work_group_size: 1
    .uses_dynamic_stack: false
    .vgpr_count:     0
    .vgpr_spill_count: 0
    .wavefront_size: 64
  - .agpr_count:     0
    .args:
      - .offset:         0
        .size:           88
        .value_kind:     by_value
    .group_segment_fixed_size: 0
    .kernarg_segment_align: 8
    .kernarg_segment_size: 88
    .language:       OpenCL C
    .language_version:
      - 2
      - 0
    .max_flat_workgroup_size: 1024
    .name:           _ZN7rocprim17ROCPRIM_400000_NS6detail17trampoline_kernelINS0_14default_configENS1_35radix_sort_onesweep_config_selectorIalEEZZNS1_29radix_sort_onesweep_iterationIS3_Lb0EPaS7_N6thrust23THRUST_200600_302600_NS10device_ptrIlEESB_jNS0_19identity_decomposerENS1_16block_id_wrapperIjLb1EEEEE10hipError_tT1_PNSt15iterator_traitsISG_E10value_typeET2_T3_PNSH_ISM_E10value_typeET4_T5_PSR_SS_PNS1_23onesweep_lookback_stateEbbT6_jjT7_P12ihipStream_tbENKUlT_T0_SG_SL_E_clIS7_S7_SB_SB_EEDaSZ_S10_SG_SL_EUlSZ_E_NS1_11comp_targetILNS1_3genE10ELNS1_11target_archE1201ELNS1_3gpuE5ELNS1_3repE0EEENS1_47radix_sort_onesweep_sort_config_static_selectorELNS0_4arch9wavefront6targetE1EEEvSG_
    .private_segment_fixed_size: 0
    .sgpr_count:     4
    .sgpr_spill_count: 0
    .symbol:         _ZN7rocprim17ROCPRIM_400000_NS6detail17trampoline_kernelINS0_14default_configENS1_35radix_sort_onesweep_config_selectorIalEEZZNS1_29radix_sort_onesweep_iterationIS3_Lb0EPaS7_N6thrust23THRUST_200600_302600_NS10device_ptrIlEESB_jNS0_19identity_decomposerENS1_16block_id_wrapperIjLb1EEEEE10hipError_tT1_PNSt15iterator_traitsISG_E10value_typeET2_T3_PNSH_ISM_E10value_typeET4_T5_PSR_SS_PNS1_23onesweep_lookback_stateEbbT6_jjT7_P12ihipStream_tbENKUlT_T0_SG_SL_E_clIS7_S7_SB_SB_EEDaSZ_S10_SG_SL_EUlSZ_E_NS1_11comp_targetILNS1_3genE10ELNS1_11target_archE1201ELNS1_3gpuE5ELNS1_3repE0EEENS1_47radix_sort_onesweep_sort_config_static_selectorELNS0_4arch9wavefront6targetE1EEEvSG_.kd
    .uniform_work_group_size: 1
    .uses_dynamic_stack: false
    .vgpr_count:     0
    .vgpr_spill_count: 0
    .wavefront_size: 64
  - .agpr_count:     0
    .args:
      - .offset:         0
        .size:           88
        .value_kind:     by_value
    .group_segment_fixed_size: 0
    .kernarg_segment_align: 8
    .kernarg_segment_size: 88
    .language:       OpenCL C
    .language_version:
      - 2
      - 0
    .max_flat_workgroup_size: 1024
    .name:           _ZN7rocprim17ROCPRIM_400000_NS6detail17trampoline_kernelINS0_14default_configENS1_35radix_sort_onesweep_config_selectorIalEEZZNS1_29radix_sort_onesweep_iterationIS3_Lb0EPaS7_N6thrust23THRUST_200600_302600_NS10device_ptrIlEESB_jNS0_19identity_decomposerENS1_16block_id_wrapperIjLb1EEEEE10hipError_tT1_PNSt15iterator_traitsISG_E10value_typeET2_T3_PNSH_ISM_E10value_typeET4_T5_PSR_SS_PNS1_23onesweep_lookback_stateEbbT6_jjT7_P12ihipStream_tbENKUlT_T0_SG_SL_E_clIS7_S7_SB_SB_EEDaSZ_S10_SG_SL_EUlSZ_E_NS1_11comp_targetILNS1_3genE9ELNS1_11target_archE1100ELNS1_3gpuE3ELNS1_3repE0EEENS1_47radix_sort_onesweep_sort_config_static_selectorELNS0_4arch9wavefront6targetE1EEEvSG_
    .private_segment_fixed_size: 0
    .sgpr_count:     4
    .sgpr_spill_count: 0
    .symbol:         _ZN7rocprim17ROCPRIM_400000_NS6detail17trampoline_kernelINS0_14default_configENS1_35radix_sort_onesweep_config_selectorIalEEZZNS1_29radix_sort_onesweep_iterationIS3_Lb0EPaS7_N6thrust23THRUST_200600_302600_NS10device_ptrIlEESB_jNS0_19identity_decomposerENS1_16block_id_wrapperIjLb1EEEEE10hipError_tT1_PNSt15iterator_traitsISG_E10value_typeET2_T3_PNSH_ISM_E10value_typeET4_T5_PSR_SS_PNS1_23onesweep_lookback_stateEbbT6_jjT7_P12ihipStream_tbENKUlT_T0_SG_SL_E_clIS7_S7_SB_SB_EEDaSZ_S10_SG_SL_EUlSZ_E_NS1_11comp_targetILNS1_3genE9ELNS1_11target_archE1100ELNS1_3gpuE3ELNS1_3repE0EEENS1_47radix_sort_onesweep_sort_config_static_selectorELNS0_4arch9wavefront6targetE1EEEvSG_.kd
    .uniform_work_group_size: 1
    .uses_dynamic_stack: false
    .vgpr_count:     0
    .vgpr_spill_count: 0
    .wavefront_size: 64
  - .agpr_count:     0
    .args:
      - .offset:         0
        .size:           88
        .value_kind:     by_value
    .group_segment_fixed_size: 0
    .kernarg_segment_align: 8
    .kernarg_segment_size: 88
    .language:       OpenCL C
    .language_version:
      - 2
      - 0
    .max_flat_workgroup_size: 1024
    .name:           _ZN7rocprim17ROCPRIM_400000_NS6detail17trampoline_kernelINS0_14default_configENS1_35radix_sort_onesweep_config_selectorIalEEZZNS1_29radix_sort_onesweep_iterationIS3_Lb0EPaS7_N6thrust23THRUST_200600_302600_NS10device_ptrIlEESB_jNS0_19identity_decomposerENS1_16block_id_wrapperIjLb1EEEEE10hipError_tT1_PNSt15iterator_traitsISG_E10value_typeET2_T3_PNSH_ISM_E10value_typeET4_T5_PSR_SS_PNS1_23onesweep_lookback_stateEbbT6_jjT7_P12ihipStream_tbENKUlT_T0_SG_SL_E_clIS7_S7_SB_SB_EEDaSZ_S10_SG_SL_EUlSZ_E_NS1_11comp_targetILNS1_3genE8ELNS1_11target_archE1030ELNS1_3gpuE2ELNS1_3repE0EEENS1_47radix_sort_onesweep_sort_config_static_selectorELNS0_4arch9wavefront6targetE1EEEvSG_
    .private_segment_fixed_size: 0
    .sgpr_count:     4
    .sgpr_spill_count: 0
    .symbol:         _ZN7rocprim17ROCPRIM_400000_NS6detail17trampoline_kernelINS0_14default_configENS1_35radix_sort_onesweep_config_selectorIalEEZZNS1_29radix_sort_onesweep_iterationIS3_Lb0EPaS7_N6thrust23THRUST_200600_302600_NS10device_ptrIlEESB_jNS0_19identity_decomposerENS1_16block_id_wrapperIjLb1EEEEE10hipError_tT1_PNSt15iterator_traitsISG_E10value_typeET2_T3_PNSH_ISM_E10value_typeET4_T5_PSR_SS_PNS1_23onesweep_lookback_stateEbbT6_jjT7_P12ihipStream_tbENKUlT_T0_SG_SL_E_clIS7_S7_SB_SB_EEDaSZ_S10_SG_SL_EUlSZ_E_NS1_11comp_targetILNS1_3genE8ELNS1_11target_archE1030ELNS1_3gpuE2ELNS1_3repE0EEENS1_47radix_sort_onesweep_sort_config_static_selectorELNS0_4arch9wavefront6targetE1EEEvSG_.kd
    .uniform_work_group_size: 1
    .uses_dynamic_stack: false
    .vgpr_count:     0
    .vgpr_spill_count: 0
    .wavefront_size: 64
  - .agpr_count:     0
    .args:
      - .offset:         0
        .size:           88
        .value_kind:     by_value
    .group_segment_fixed_size: 0
    .kernarg_segment_align: 8
    .kernarg_segment_size: 88
    .language:       OpenCL C
    .language_version:
      - 2
      - 0
    .max_flat_workgroup_size: 1024
    .name:           _ZN7rocprim17ROCPRIM_400000_NS6detail17trampoline_kernelINS0_14default_configENS1_35radix_sort_onesweep_config_selectorIalEEZZNS1_29radix_sort_onesweep_iterationIS3_Lb0EPaS7_N6thrust23THRUST_200600_302600_NS10device_ptrIlEESB_jNS0_19identity_decomposerENS1_16block_id_wrapperIjLb1EEEEE10hipError_tT1_PNSt15iterator_traitsISG_E10value_typeET2_T3_PNSH_ISM_E10value_typeET4_T5_PSR_SS_PNS1_23onesweep_lookback_stateEbbT6_jjT7_P12ihipStream_tbENKUlT_T0_SG_SL_E_clIS7_S7_SB_PlEEDaSZ_S10_SG_SL_EUlSZ_E_NS1_11comp_targetILNS1_3genE0ELNS1_11target_archE4294967295ELNS1_3gpuE0ELNS1_3repE0EEENS1_47radix_sort_onesweep_sort_config_static_selectorELNS0_4arch9wavefront6targetE1EEEvSG_
    .private_segment_fixed_size: 0
    .sgpr_count:     4
    .sgpr_spill_count: 0
    .symbol:         _ZN7rocprim17ROCPRIM_400000_NS6detail17trampoline_kernelINS0_14default_configENS1_35radix_sort_onesweep_config_selectorIalEEZZNS1_29radix_sort_onesweep_iterationIS3_Lb0EPaS7_N6thrust23THRUST_200600_302600_NS10device_ptrIlEESB_jNS0_19identity_decomposerENS1_16block_id_wrapperIjLb1EEEEE10hipError_tT1_PNSt15iterator_traitsISG_E10value_typeET2_T3_PNSH_ISM_E10value_typeET4_T5_PSR_SS_PNS1_23onesweep_lookback_stateEbbT6_jjT7_P12ihipStream_tbENKUlT_T0_SG_SL_E_clIS7_S7_SB_PlEEDaSZ_S10_SG_SL_EUlSZ_E_NS1_11comp_targetILNS1_3genE0ELNS1_11target_archE4294967295ELNS1_3gpuE0ELNS1_3repE0EEENS1_47radix_sort_onesweep_sort_config_static_selectorELNS0_4arch9wavefront6targetE1EEEvSG_.kd
    .uniform_work_group_size: 1
    .uses_dynamic_stack: false
    .vgpr_count:     0
    .vgpr_spill_count: 0
    .wavefront_size: 64
  - .agpr_count:     0
    .args:
      - .offset:         0
        .size:           88
        .value_kind:     by_value
    .group_segment_fixed_size: 0
    .kernarg_segment_align: 8
    .kernarg_segment_size: 88
    .language:       OpenCL C
    .language_version:
      - 2
      - 0
    .max_flat_workgroup_size: 1024
    .name:           _ZN7rocprim17ROCPRIM_400000_NS6detail17trampoline_kernelINS0_14default_configENS1_35radix_sort_onesweep_config_selectorIalEEZZNS1_29radix_sort_onesweep_iterationIS3_Lb0EPaS7_N6thrust23THRUST_200600_302600_NS10device_ptrIlEESB_jNS0_19identity_decomposerENS1_16block_id_wrapperIjLb1EEEEE10hipError_tT1_PNSt15iterator_traitsISG_E10value_typeET2_T3_PNSH_ISM_E10value_typeET4_T5_PSR_SS_PNS1_23onesweep_lookback_stateEbbT6_jjT7_P12ihipStream_tbENKUlT_T0_SG_SL_E_clIS7_S7_SB_PlEEDaSZ_S10_SG_SL_EUlSZ_E_NS1_11comp_targetILNS1_3genE6ELNS1_11target_archE950ELNS1_3gpuE13ELNS1_3repE0EEENS1_47radix_sort_onesweep_sort_config_static_selectorELNS0_4arch9wavefront6targetE1EEEvSG_
    .private_segment_fixed_size: 0
    .sgpr_count:     4
    .sgpr_spill_count: 0
    .symbol:         _ZN7rocprim17ROCPRIM_400000_NS6detail17trampoline_kernelINS0_14default_configENS1_35radix_sort_onesweep_config_selectorIalEEZZNS1_29radix_sort_onesweep_iterationIS3_Lb0EPaS7_N6thrust23THRUST_200600_302600_NS10device_ptrIlEESB_jNS0_19identity_decomposerENS1_16block_id_wrapperIjLb1EEEEE10hipError_tT1_PNSt15iterator_traitsISG_E10value_typeET2_T3_PNSH_ISM_E10value_typeET4_T5_PSR_SS_PNS1_23onesweep_lookback_stateEbbT6_jjT7_P12ihipStream_tbENKUlT_T0_SG_SL_E_clIS7_S7_SB_PlEEDaSZ_S10_SG_SL_EUlSZ_E_NS1_11comp_targetILNS1_3genE6ELNS1_11target_archE950ELNS1_3gpuE13ELNS1_3repE0EEENS1_47radix_sort_onesweep_sort_config_static_selectorELNS0_4arch9wavefront6targetE1EEEvSG_.kd
    .uniform_work_group_size: 1
    .uses_dynamic_stack: false
    .vgpr_count:     0
    .vgpr_spill_count: 0
    .wavefront_size: 64
  - .agpr_count:     0
    .args:
      - .offset:         0
        .size:           88
        .value_kind:     by_value
    .group_segment_fixed_size: 0
    .kernarg_segment_align: 8
    .kernarg_segment_size: 88
    .language:       OpenCL C
    .language_version:
      - 2
      - 0
    .max_flat_workgroup_size: 1024
    .name:           _ZN7rocprim17ROCPRIM_400000_NS6detail17trampoline_kernelINS0_14default_configENS1_35radix_sort_onesweep_config_selectorIalEEZZNS1_29radix_sort_onesweep_iterationIS3_Lb0EPaS7_N6thrust23THRUST_200600_302600_NS10device_ptrIlEESB_jNS0_19identity_decomposerENS1_16block_id_wrapperIjLb1EEEEE10hipError_tT1_PNSt15iterator_traitsISG_E10value_typeET2_T3_PNSH_ISM_E10value_typeET4_T5_PSR_SS_PNS1_23onesweep_lookback_stateEbbT6_jjT7_P12ihipStream_tbENKUlT_T0_SG_SL_E_clIS7_S7_SB_PlEEDaSZ_S10_SG_SL_EUlSZ_E_NS1_11comp_targetILNS1_3genE5ELNS1_11target_archE942ELNS1_3gpuE9ELNS1_3repE0EEENS1_47radix_sort_onesweep_sort_config_static_selectorELNS0_4arch9wavefront6targetE1EEEvSG_
    .private_segment_fixed_size: 0
    .sgpr_count:     4
    .sgpr_spill_count: 0
    .symbol:         _ZN7rocprim17ROCPRIM_400000_NS6detail17trampoline_kernelINS0_14default_configENS1_35radix_sort_onesweep_config_selectorIalEEZZNS1_29radix_sort_onesweep_iterationIS3_Lb0EPaS7_N6thrust23THRUST_200600_302600_NS10device_ptrIlEESB_jNS0_19identity_decomposerENS1_16block_id_wrapperIjLb1EEEEE10hipError_tT1_PNSt15iterator_traitsISG_E10value_typeET2_T3_PNSH_ISM_E10value_typeET4_T5_PSR_SS_PNS1_23onesweep_lookback_stateEbbT6_jjT7_P12ihipStream_tbENKUlT_T0_SG_SL_E_clIS7_S7_SB_PlEEDaSZ_S10_SG_SL_EUlSZ_E_NS1_11comp_targetILNS1_3genE5ELNS1_11target_archE942ELNS1_3gpuE9ELNS1_3repE0EEENS1_47radix_sort_onesweep_sort_config_static_selectorELNS0_4arch9wavefront6targetE1EEEvSG_.kd
    .uniform_work_group_size: 1
    .uses_dynamic_stack: false
    .vgpr_count:     0
    .vgpr_spill_count: 0
    .wavefront_size: 64
  - .agpr_count:     0
    .args:
      - .offset:         0
        .size:           88
        .value_kind:     by_value
    .group_segment_fixed_size: 0
    .kernarg_segment_align: 8
    .kernarg_segment_size: 88
    .language:       OpenCL C
    .language_version:
      - 2
      - 0
    .max_flat_workgroup_size: 512
    .name:           _ZN7rocprim17ROCPRIM_400000_NS6detail17trampoline_kernelINS0_14default_configENS1_35radix_sort_onesweep_config_selectorIalEEZZNS1_29radix_sort_onesweep_iterationIS3_Lb0EPaS7_N6thrust23THRUST_200600_302600_NS10device_ptrIlEESB_jNS0_19identity_decomposerENS1_16block_id_wrapperIjLb1EEEEE10hipError_tT1_PNSt15iterator_traitsISG_E10value_typeET2_T3_PNSH_ISM_E10value_typeET4_T5_PSR_SS_PNS1_23onesweep_lookback_stateEbbT6_jjT7_P12ihipStream_tbENKUlT_T0_SG_SL_E_clIS7_S7_SB_PlEEDaSZ_S10_SG_SL_EUlSZ_E_NS1_11comp_targetILNS1_3genE2ELNS1_11target_archE906ELNS1_3gpuE6ELNS1_3repE0EEENS1_47radix_sort_onesweep_sort_config_static_selectorELNS0_4arch9wavefront6targetE1EEEvSG_
    .private_segment_fixed_size: 0
    .sgpr_count:     4
    .sgpr_spill_count: 0
    .symbol:         _ZN7rocprim17ROCPRIM_400000_NS6detail17trampoline_kernelINS0_14default_configENS1_35radix_sort_onesweep_config_selectorIalEEZZNS1_29radix_sort_onesweep_iterationIS3_Lb0EPaS7_N6thrust23THRUST_200600_302600_NS10device_ptrIlEESB_jNS0_19identity_decomposerENS1_16block_id_wrapperIjLb1EEEEE10hipError_tT1_PNSt15iterator_traitsISG_E10value_typeET2_T3_PNSH_ISM_E10value_typeET4_T5_PSR_SS_PNS1_23onesweep_lookback_stateEbbT6_jjT7_P12ihipStream_tbENKUlT_T0_SG_SL_E_clIS7_S7_SB_PlEEDaSZ_S10_SG_SL_EUlSZ_E_NS1_11comp_targetILNS1_3genE2ELNS1_11target_archE906ELNS1_3gpuE6ELNS1_3repE0EEENS1_47radix_sort_onesweep_sort_config_static_selectorELNS0_4arch9wavefront6targetE1EEEvSG_.kd
    .uniform_work_group_size: 1
    .uses_dynamic_stack: false
    .vgpr_count:     0
    .vgpr_spill_count: 0
    .wavefront_size: 64
  - .agpr_count:     0
    .args:
      - .offset:         0
        .size:           88
        .value_kind:     by_value
      - .offset:         88
        .size:           4
        .value_kind:     hidden_block_count_x
      - .offset:         92
        .size:           4
        .value_kind:     hidden_block_count_y
      - .offset:         96
        .size:           4
        .value_kind:     hidden_block_count_z
      - .offset:         100
        .size:           2
        .value_kind:     hidden_group_size_x
      - .offset:         102
        .size:           2
        .value_kind:     hidden_group_size_y
      - .offset:         104
        .size:           2
        .value_kind:     hidden_group_size_z
      - .offset:         106
        .size:           2
        .value_kind:     hidden_remainder_x
      - .offset:         108
        .size:           2
        .value_kind:     hidden_remainder_y
      - .offset:         110
        .size:           2
        .value_kind:     hidden_remainder_z
      - .offset:         128
        .size:           8
        .value_kind:     hidden_global_offset_x
      - .offset:         136
        .size:           8
        .value_kind:     hidden_global_offset_y
      - .offset:         144
        .size:           8
        .value_kind:     hidden_global_offset_z
      - .offset:         152
        .size:           2
        .value_kind:     hidden_grid_dims
    .group_segment_fixed_size: 20552
    .kernarg_segment_align: 8
    .kernarg_segment_size: 344
    .language:       OpenCL C
    .language_version:
      - 2
      - 0
    .max_flat_workgroup_size: 1024
    .name:           _ZN7rocprim17ROCPRIM_400000_NS6detail17trampoline_kernelINS0_14default_configENS1_35radix_sort_onesweep_config_selectorIalEEZZNS1_29radix_sort_onesweep_iterationIS3_Lb0EPaS7_N6thrust23THRUST_200600_302600_NS10device_ptrIlEESB_jNS0_19identity_decomposerENS1_16block_id_wrapperIjLb1EEEEE10hipError_tT1_PNSt15iterator_traitsISG_E10value_typeET2_T3_PNSH_ISM_E10value_typeET4_T5_PSR_SS_PNS1_23onesweep_lookback_stateEbbT6_jjT7_P12ihipStream_tbENKUlT_T0_SG_SL_E_clIS7_S7_SB_PlEEDaSZ_S10_SG_SL_EUlSZ_E_NS1_11comp_targetILNS1_3genE4ELNS1_11target_archE910ELNS1_3gpuE8ELNS1_3repE0EEENS1_47radix_sort_onesweep_sort_config_static_selectorELNS0_4arch9wavefront6targetE1EEEvSG_
    .private_segment_fixed_size: 0
    .sgpr_count:     60
    .sgpr_spill_count: 0
    .symbol:         _ZN7rocprim17ROCPRIM_400000_NS6detail17trampoline_kernelINS0_14default_configENS1_35radix_sort_onesweep_config_selectorIalEEZZNS1_29radix_sort_onesweep_iterationIS3_Lb0EPaS7_N6thrust23THRUST_200600_302600_NS10device_ptrIlEESB_jNS0_19identity_decomposerENS1_16block_id_wrapperIjLb1EEEEE10hipError_tT1_PNSt15iterator_traitsISG_E10value_typeET2_T3_PNSH_ISM_E10value_typeET4_T5_PSR_SS_PNS1_23onesweep_lookback_stateEbbT6_jjT7_P12ihipStream_tbENKUlT_T0_SG_SL_E_clIS7_S7_SB_PlEEDaSZ_S10_SG_SL_EUlSZ_E_NS1_11comp_targetILNS1_3genE4ELNS1_11target_archE910ELNS1_3gpuE8ELNS1_3repE0EEENS1_47radix_sort_onesweep_sort_config_static_selectorELNS0_4arch9wavefront6targetE1EEEvSG_.kd
    .uniform_work_group_size: 1
    .uses_dynamic_stack: false
    .vgpr_count:     55
    .vgpr_spill_count: 0
    .wavefront_size: 64
  - .agpr_count:     0
    .args:
      - .offset:         0
        .size:           88
        .value_kind:     by_value
    .group_segment_fixed_size: 0
    .kernarg_segment_align: 8
    .kernarg_segment_size: 88
    .language:       OpenCL C
    .language_version:
      - 2
      - 0
    .max_flat_workgroup_size: 1024
    .name:           _ZN7rocprim17ROCPRIM_400000_NS6detail17trampoline_kernelINS0_14default_configENS1_35radix_sort_onesweep_config_selectorIalEEZZNS1_29radix_sort_onesweep_iterationIS3_Lb0EPaS7_N6thrust23THRUST_200600_302600_NS10device_ptrIlEESB_jNS0_19identity_decomposerENS1_16block_id_wrapperIjLb1EEEEE10hipError_tT1_PNSt15iterator_traitsISG_E10value_typeET2_T3_PNSH_ISM_E10value_typeET4_T5_PSR_SS_PNS1_23onesweep_lookback_stateEbbT6_jjT7_P12ihipStream_tbENKUlT_T0_SG_SL_E_clIS7_S7_SB_PlEEDaSZ_S10_SG_SL_EUlSZ_E_NS1_11comp_targetILNS1_3genE3ELNS1_11target_archE908ELNS1_3gpuE7ELNS1_3repE0EEENS1_47radix_sort_onesweep_sort_config_static_selectorELNS0_4arch9wavefront6targetE1EEEvSG_
    .private_segment_fixed_size: 0
    .sgpr_count:     4
    .sgpr_spill_count: 0
    .symbol:         _ZN7rocprim17ROCPRIM_400000_NS6detail17trampoline_kernelINS0_14default_configENS1_35radix_sort_onesweep_config_selectorIalEEZZNS1_29radix_sort_onesweep_iterationIS3_Lb0EPaS7_N6thrust23THRUST_200600_302600_NS10device_ptrIlEESB_jNS0_19identity_decomposerENS1_16block_id_wrapperIjLb1EEEEE10hipError_tT1_PNSt15iterator_traitsISG_E10value_typeET2_T3_PNSH_ISM_E10value_typeET4_T5_PSR_SS_PNS1_23onesweep_lookback_stateEbbT6_jjT7_P12ihipStream_tbENKUlT_T0_SG_SL_E_clIS7_S7_SB_PlEEDaSZ_S10_SG_SL_EUlSZ_E_NS1_11comp_targetILNS1_3genE3ELNS1_11target_archE908ELNS1_3gpuE7ELNS1_3repE0EEENS1_47radix_sort_onesweep_sort_config_static_selectorELNS0_4arch9wavefront6targetE1EEEvSG_.kd
    .uniform_work_group_size: 1
    .uses_dynamic_stack: false
    .vgpr_count:     0
    .vgpr_spill_count: 0
    .wavefront_size: 64
  - .agpr_count:     0
    .args:
      - .offset:         0
        .size:           88
        .value_kind:     by_value
    .group_segment_fixed_size: 0
    .kernarg_segment_align: 8
    .kernarg_segment_size: 88
    .language:       OpenCL C
    .language_version:
      - 2
      - 0
    .max_flat_workgroup_size: 1024
    .name:           _ZN7rocprim17ROCPRIM_400000_NS6detail17trampoline_kernelINS0_14default_configENS1_35radix_sort_onesweep_config_selectorIalEEZZNS1_29radix_sort_onesweep_iterationIS3_Lb0EPaS7_N6thrust23THRUST_200600_302600_NS10device_ptrIlEESB_jNS0_19identity_decomposerENS1_16block_id_wrapperIjLb1EEEEE10hipError_tT1_PNSt15iterator_traitsISG_E10value_typeET2_T3_PNSH_ISM_E10value_typeET4_T5_PSR_SS_PNS1_23onesweep_lookback_stateEbbT6_jjT7_P12ihipStream_tbENKUlT_T0_SG_SL_E_clIS7_S7_SB_PlEEDaSZ_S10_SG_SL_EUlSZ_E_NS1_11comp_targetILNS1_3genE10ELNS1_11target_archE1201ELNS1_3gpuE5ELNS1_3repE0EEENS1_47radix_sort_onesweep_sort_config_static_selectorELNS0_4arch9wavefront6targetE1EEEvSG_
    .private_segment_fixed_size: 0
    .sgpr_count:     4
    .sgpr_spill_count: 0
    .symbol:         _ZN7rocprim17ROCPRIM_400000_NS6detail17trampoline_kernelINS0_14default_configENS1_35radix_sort_onesweep_config_selectorIalEEZZNS1_29radix_sort_onesweep_iterationIS3_Lb0EPaS7_N6thrust23THRUST_200600_302600_NS10device_ptrIlEESB_jNS0_19identity_decomposerENS1_16block_id_wrapperIjLb1EEEEE10hipError_tT1_PNSt15iterator_traitsISG_E10value_typeET2_T3_PNSH_ISM_E10value_typeET4_T5_PSR_SS_PNS1_23onesweep_lookback_stateEbbT6_jjT7_P12ihipStream_tbENKUlT_T0_SG_SL_E_clIS7_S7_SB_PlEEDaSZ_S10_SG_SL_EUlSZ_E_NS1_11comp_targetILNS1_3genE10ELNS1_11target_archE1201ELNS1_3gpuE5ELNS1_3repE0EEENS1_47radix_sort_onesweep_sort_config_static_selectorELNS0_4arch9wavefront6targetE1EEEvSG_.kd
    .uniform_work_group_size: 1
    .uses_dynamic_stack: false
    .vgpr_count:     0
    .vgpr_spill_count: 0
    .wavefront_size: 64
  - .agpr_count:     0
    .args:
      - .offset:         0
        .size:           88
        .value_kind:     by_value
    .group_segment_fixed_size: 0
    .kernarg_segment_align: 8
    .kernarg_segment_size: 88
    .language:       OpenCL C
    .language_version:
      - 2
      - 0
    .max_flat_workgroup_size: 1024
    .name:           _ZN7rocprim17ROCPRIM_400000_NS6detail17trampoline_kernelINS0_14default_configENS1_35radix_sort_onesweep_config_selectorIalEEZZNS1_29radix_sort_onesweep_iterationIS3_Lb0EPaS7_N6thrust23THRUST_200600_302600_NS10device_ptrIlEESB_jNS0_19identity_decomposerENS1_16block_id_wrapperIjLb1EEEEE10hipError_tT1_PNSt15iterator_traitsISG_E10value_typeET2_T3_PNSH_ISM_E10value_typeET4_T5_PSR_SS_PNS1_23onesweep_lookback_stateEbbT6_jjT7_P12ihipStream_tbENKUlT_T0_SG_SL_E_clIS7_S7_SB_PlEEDaSZ_S10_SG_SL_EUlSZ_E_NS1_11comp_targetILNS1_3genE9ELNS1_11target_archE1100ELNS1_3gpuE3ELNS1_3repE0EEENS1_47radix_sort_onesweep_sort_config_static_selectorELNS0_4arch9wavefront6targetE1EEEvSG_
    .private_segment_fixed_size: 0
    .sgpr_count:     4
    .sgpr_spill_count: 0
    .symbol:         _ZN7rocprim17ROCPRIM_400000_NS6detail17trampoline_kernelINS0_14default_configENS1_35radix_sort_onesweep_config_selectorIalEEZZNS1_29radix_sort_onesweep_iterationIS3_Lb0EPaS7_N6thrust23THRUST_200600_302600_NS10device_ptrIlEESB_jNS0_19identity_decomposerENS1_16block_id_wrapperIjLb1EEEEE10hipError_tT1_PNSt15iterator_traitsISG_E10value_typeET2_T3_PNSH_ISM_E10value_typeET4_T5_PSR_SS_PNS1_23onesweep_lookback_stateEbbT6_jjT7_P12ihipStream_tbENKUlT_T0_SG_SL_E_clIS7_S7_SB_PlEEDaSZ_S10_SG_SL_EUlSZ_E_NS1_11comp_targetILNS1_3genE9ELNS1_11target_archE1100ELNS1_3gpuE3ELNS1_3repE0EEENS1_47radix_sort_onesweep_sort_config_static_selectorELNS0_4arch9wavefront6targetE1EEEvSG_.kd
    .uniform_work_group_size: 1
    .uses_dynamic_stack: false
    .vgpr_count:     0
    .vgpr_spill_count: 0
    .wavefront_size: 64
  - .agpr_count:     0
    .args:
      - .offset:         0
        .size:           88
        .value_kind:     by_value
    .group_segment_fixed_size: 0
    .kernarg_segment_align: 8
    .kernarg_segment_size: 88
    .language:       OpenCL C
    .language_version:
      - 2
      - 0
    .max_flat_workgroup_size: 1024
    .name:           _ZN7rocprim17ROCPRIM_400000_NS6detail17trampoline_kernelINS0_14default_configENS1_35radix_sort_onesweep_config_selectorIalEEZZNS1_29radix_sort_onesweep_iterationIS3_Lb0EPaS7_N6thrust23THRUST_200600_302600_NS10device_ptrIlEESB_jNS0_19identity_decomposerENS1_16block_id_wrapperIjLb1EEEEE10hipError_tT1_PNSt15iterator_traitsISG_E10value_typeET2_T3_PNSH_ISM_E10value_typeET4_T5_PSR_SS_PNS1_23onesweep_lookback_stateEbbT6_jjT7_P12ihipStream_tbENKUlT_T0_SG_SL_E_clIS7_S7_SB_PlEEDaSZ_S10_SG_SL_EUlSZ_E_NS1_11comp_targetILNS1_3genE8ELNS1_11target_archE1030ELNS1_3gpuE2ELNS1_3repE0EEENS1_47radix_sort_onesweep_sort_config_static_selectorELNS0_4arch9wavefront6targetE1EEEvSG_
    .private_segment_fixed_size: 0
    .sgpr_count:     4
    .sgpr_spill_count: 0
    .symbol:         _ZN7rocprim17ROCPRIM_400000_NS6detail17trampoline_kernelINS0_14default_configENS1_35radix_sort_onesweep_config_selectorIalEEZZNS1_29radix_sort_onesweep_iterationIS3_Lb0EPaS7_N6thrust23THRUST_200600_302600_NS10device_ptrIlEESB_jNS0_19identity_decomposerENS1_16block_id_wrapperIjLb1EEEEE10hipError_tT1_PNSt15iterator_traitsISG_E10value_typeET2_T3_PNSH_ISM_E10value_typeET4_T5_PSR_SS_PNS1_23onesweep_lookback_stateEbbT6_jjT7_P12ihipStream_tbENKUlT_T0_SG_SL_E_clIS7_S7_SB_PlEEDaSZ_S10_SG_SL_EUlSZ_E_NS1_11comp_targetILNS1_3genE8ELNS1_11target_archE1030ELNS1_3gpuE2ELNS1_3repE0EEENS1_47radix_sort_onesweep_sort_config_static_selectorELNS0_4arch9wavefront6targetE1EEEvSG_.kd
    .uniform_work_group_size: 1
    .uses_dynamic_stack: false
    .vgpr_count:     0
    .vgpr_spill_count: 0
    .wavefront_size: 64
  - .agpr_count:     0
    .args:
      - .offset:         0
        .size:           88
        .value_kind:     by_value
    .group_segment_fixed_size: 0
    .kernarg_segment_align: 8
    .kernarg_segment_size: 88
    .language:       OpenCL C
    .language_version:
      - 2
      - 0
    .max_flat_workgroup_size: 1024
    .name:           _ZN7rocprim17ROCPRIM_400000_NS6detail17trampoline_kernelINS0_14default_configENS1_35radix_sort_onesweep_config_selectorIalEEZZNS1_29radix_sort_onesweep_iterationIS3_Lb0EPaS7_N6thrust23THRUST_200600_302600_NS10device_ptrIlEESB_jNS0_19identity_decomposerENS1_16block_id_wrapperIjLb1EEEEE10hipError_tT1_PNSt15iterator_traitsISG_E10value_typeET2_T3_PNSH_ISM_E10value_typeET4_T5_PSR_SS_PNS1_23onesweep_lookback_stateEbbT6_jjT7_P12ihipStream_tbENKUlT_T0_SG_SL_E_clIS7_S7_PlSB_EEDaSZ_S10_SG_SL_EUlSZ_E_NS1_11comp_targetILNS1_3genE0ELNS1_11target_archE4294967295ELNS1_3gpuE0ELNS1_3repE0EEENS1_47radix_sort_onesweep_sort_config_static_selectorELNS0_4arch9wavefront6targetE1EEEvSG_
    .private_segment_fixed_size: 0
    .sgpr_count:     4
    .sgpr_spill_count: 0
    .symbol:         _ZN7rocprim17ROCPRIM_400000_NS6detail17trampoline_kernelINS0_14default_configENS1_35radix_sort_onesweep_config_selectorIalEEZZNS1_29radix_sort_onesweep_iterationIS3_Lb0EPaS7_N6thrust23THRUST_200600_302600_NS10device_ptrIlEESB_jNS0_19identity_decomposerENS1_16block_id_wrapperIjLb1EEEEE10hipError_tT1_PNSt15iterator_traitsISG_E10value_typeET2_T3_PNSH_ISM_E10value_typeET4_T5_PSR_SS_PNS1_23onesweep_lookback_stateEbbT6_jjT7_P12ihipStream_tbENKUlT_T0_SG_SL_E_clIS7_S7_PlSB_EEDaSZ_S10_SG_SL_EUlSZ_E_NS1_11comp_targetILNS1_3genE0ELNS1_11target_archE4294967295ELNS1_3gpuE0ELNS1_3repE0EEENS1_47radix_sort_onesweep_sort_config_static_selectorELNS0_4arch9wavefront6targetE1EEEvSG_.kd
    .uniform_work_group_size: 1
    .uses_dynamic_stack: false
    .vgpr_count:     0
    .vgpr_spill_count: 0
    .wavefront_size: 64
  - .agpr_count:     0
    .args:
      - .offset:         0
        .size:           88
        .value_kind:     by_value
    .group_segment_fixed_size: 0
    .kernarg_segment_align: 8
    .kernarg_segment_size: 88
    .language:       OpenCL C
    .language_version:
      - 2
      - 0
    .max_flat_workgroup_size: 1024
    .name:           _ZN7rocprim17ROCPRIM_400000_NS6detail17trampoline_kernelINS0_14default_configENS1_35radix_sort_onesweep_config_selectorIalEEZZNS1_29radix_sort_onesweep_iterationIS3_Lb0EPaS7_N6thrust23THRUST_200600_302600_NS10device_ptrIlEESB_jNS0_19identity_decomposerENS1_16block_id_wrapperIjLb1EEEEE10hipError_tT1_PNSt15iterator_traitsISG_E10value_typeET2_T3_PNSH_ISM_E10value_typeET4_T5_PSR_SS_PNS1_23onesweep_lookback_stateEbbT6_jjT7_P12ihipStream_tbENKUlT_T0_SG_SL_E_clIS7_S7_PlSB_EEDaSZ_S10_SG_SL_EUlSZ_E_NS1_11comp_targetILNS1_3genE6ELNS1_11target_archE950ELNS1_3gpuE13ELNS1_3repE0EEENS1_47radix_sort_onesweep_sort_config_static_selectorELNS0_4arch9wavefront6targetE1EEEvSG_
    .private_segment_fixed_size: 0
    .sgpr_count:     4
    .sgpr_spill_count: 0
    .symbol:         _ZN7rocprim17ROCPRIM_400000_NS6detail17trampoline_kernelINS0_14default_configENS1_35radix_sort_onesweep_config_selectorIalEEZZNS1_29radix_sort_onesweep_iterationIS3_Lb0EPaS7_N6thrust23THRUST_200600_302600_NS10device_ptrIlEESB_jNS0_19identity_decomposerENS1_16block_id_wrapperIjLb1EEEEE10hipError_tT1_PNSt15iterator_traitsISG_E10value_typeET2_T3_PNSH_ISM_E10value_typeET4_T5_PSR_SS_PNS1_23onesweep_lookback_stateEbbT6_jjT7_P12ihipStream_tbENKUlT_T0_SG_SL_E_clIS7_S7_PlSB_EEDaSZ_S10_SG_SL_EUlSZ_E_NS1_11comp_targetILNS1_3genE6ELNS1_11target_archE950ELNS1_3gpuE13ELNS1_3repE0EEENS1_47radix_sort_onesweep_sort_config_static_selectorELNS0_4arch9wavefront6targetE1EEEvSG_.kd
    .uniform_work_group_size: 1
    .uses_dynamic_stack: false
    .vgpr_count:     0
    .vgpr_spill_count: 0
    .wavefront_size: 64
  - .agpr_count:     0
    .args:
      - .offset:         0
        .size:           88
        .value_kind:     by_value
    .group_segment_fixed_size: 0
    .kernarg_segment_align: 8
    .kernarg_segment_size: 88
    .language:       OpenCL C
    .language_version:
      - 2
      - 0
    .max_flat_workgroup_size: 1024
    .name:           _ZN7rocprim17ROCPRIM_400000_NS6detail17trampoline_kernelINS0_14default_configENS1_35radix_sort_onesweep_config_selectorIalEEZZNS1_29radix_sort_onesweep_iterationIS3_Lb0EPaS7_N6thrust23THRUST_200600_302600_NS10device_ptrIlEESB_jNS0_19identity_decomposerENS1_16block_id_wrapperIjLb1EEEEE10hipError_tT1_PNSt15iterator_traitsISG_E10value_typeET2_T3_PNSH_ISM_E10value_typeET4_T5_PSR_SS_PNS1_23onesweep_lookback_stateEbbT6_jjT7_P12ihipStream_tbENKUlT_T0_SG_SL_E_clIS7_S7_PlSB_EEDaSZ_S10_SG_SL_EUlSZ_E_NS1_11comp_targetILNS1_3genE5ELNS1_11target_archE942ELNS1_3gpuE9ELNS1_3repE0EEENS1_47radix_sort_onesweep_sort_config_static_selectorELNS0_4arch9wavefront6targetE1EEEvSG_
    .private_segment_fixed_size: 0
    .sgpr_count:     4
    .sgpr_spill_count: 0
    .symbol:         _ZN7rocprim17ROCPRIM_400000_NS6detail17trampoline_kernelINS0_14default_configENS1_35radix_sort_onesweep_config_selectorIalEEZZNS1_29radix_sort_onesweep_iterationIS3_Lb0EPaS7_N6thrust23THRUST_200600_302600_NS10device_ptrIlEESB_jNS0_19identity_decomposerENS1_16block_id_wrapperIjLb1EEEEE10hipError_tT1_PNSt15iterator_traitsISG_E10value_typeET2_T3_PNSH_ISM_E10value_typeET4_T5_PSR_SS_PNS1_23onesweep_lookback_stateEbbT6_jjT7_P12ihipStream_tbENKUlT_T0_SG_SL_E_clIS7_S7_PlSB_EEDaSZ_S10_SG_SL_EUlSZ_E_NS1_11comp_targetILNS1_3genE5ELNS1_11target_archE942ELNS1_3gpuE9ELNS1_3repE0EEENS1_47radix_sort_onesweep_sort_config_static_selectorELNS0_4arch9wavefront6targetE1EEEvSG_.kd
    .uniform_work_group_size: 1
    .uses_dynamic_stack: false
    .vgpr_count:     0
    .vgpr_spill_count: 0
    .wavefront_size: 64
  - .agpr_count:     0
    .args:
      - .offset:         0
        .size:           88
        .value_kind:     by_value
    .group_segment_fixed_size: 0
    .kernarg_segment_align: 8
    .kernarg_segment_size: 88
    .language:       OpenCL C
    .language_version:
      - 2
      - 0
    .max_flat_workgroup_size: 512
    .name:           _ZN7rocprim17ROCPRIM_400000_NS6detail17trampoline_kernelINS0_14default_configENS1_35radix_sort_onesweep_config_selectorIalEEZZNS1_29radix_sort_onesweep_iterationIS3_Lb0EPaS7_N6thrust23THRUST_200600_302600_NS10device_ptrIlEESB_jNS0_19identity_decomposerENS1_16block_id_wrapperIjLb1EEEEE10hipError_tT1_PNSt15iterator_traitsISG_E10value_typeET2_T3_PNSH_ISM_E10value_typeET4_T5_PSR_SS_PNS1_23onesweep_lookback_stateEbbT6_jjT7_P12ihipStream_tbENKUlT_T0_SG_SL_E_clIS7_S7_PlSB_EEDaSZ_S10_SG_SL_EUlSZ_E_NS1_11comp_targetILNS1_3genE2ELNS1_11target_archE906ELNS1_3gpuE6ELNS1_3repE0EEENS1_47radix_sort_onesweep_sort_config_static_selectorELNS0_4arch9wavefront6targetE1EEEvSG_
    .private_segment_fixed_size: 0
    .sgpr_count:     4
    .sgpr_spill_count: 0
    .symbol:         _ZN7rocprim17ROCPRIM_400000_NS6detail17trampoline_kernelINS0_14default_configENS1_35radix_sort_onesweep_config_selectorIalEEZZNS1_29radix_sort_onesweep_iterationIS3_Lb0EPaS7_N6thrust23THRUST_200600_302600_NS10device_ptrIlEESB_jNS0_19identity_decomposerENS1_16block_id_wrapperIjLb1EEEEE10hipError_tT1_PNSt15iterator_traitsISG_E10value_typeET2_T3_PNSH_ISM_E10value_typeET4_T5_PSR_SS_PNS1_23onesweep_lookback_stateEbbT6_jjT7_P12ihipStream_tbENKUlT_T0_SG_SL_E_clIS7_S7_PlSB_EEDaSZ_S10_SG_SL_EUlSZ_E_NS1_11comp_targetILNS1_3genE2ELNS1_11target_archE906ELNS1_3gpuE6ELNS1_3repE0EEENS1_47radix_sort_onesweep_sort_config_static_selectorELNS0_4arch9wavefront6targetE1EEEvSG_.kd
    .uniform_work_group_size: 1
    .uses_dynamic_stack: false
    .vgpr_count:     0
    .vgpr_spill_count: 0
    .wavefront_size: 64
  - .agpr_count:     0
    .args:
      - .offset:         0
        .size:           88
        .value_kind:     by_value
      - .offset:         88
        .size:           4
        .value_kind:     hidden_block_count_x
      - .offset:         92
        .size:           4
        .value_kind:     hidden_block_count_y
      - .offset:         96
        .size:           4
        .value_kind:     hidden_block_count_z
      - .offset:         100
        .size:           2
        .value_kind:     hidden_group_size_x
      - .offset:         102
        .size:           2
        .value_kind:     hidden_group_size_y
      - .offset:         104
        .size:           2
        .value_kind:     hidden_group_size_z
      - .offset:         106
        .size:           2
        .value_kind:     hidden_remainder_x
      - .offset:         108
        .size:           2
        .value_kind:     hidden_remainder_y
      - .offset:         110
        .size:           2
        .value_kind:     hidden_remainder_z
      - .offset:         128
        .size:           8
        .value_kind:     hidden_global_offset_x
      - .offset:         136
        .size:           8
        .value_kind:     hidden_global_offset_y
      - .offset:         144
        .size:           8
        .value_kind:     hidden_global_offset_z
      - .offset:         152
        .size:           2
        .value_kind:     hidden_grid_dims
    .group_segment_fixed_size: 20552
    .kernarg_segment_align: 8
    .kernarg_segment_size: 344
    .language:       OpenCL C
    .language_version:
      - 2
      - 0
    .max_flat_workgroup_size: 1024
    .name:           _ZN7rocprim17ROCPRIM_400000_NS6detail17trampoline_kernelINS0_14default_configENS1_35radix_sort_onesweep_config_selectorIalEEZZNS1_29radix_sort_onesweep_iterationIS3_Lb0EPaS7_N6thrust23THRUST_200600_302600_NS10device_ptrIlEESB_jNS0_19identity_decomposerENS1_16block_id_wrapperIjLb1EEEEE10hipError_tT1_PNSt15iterator_traitsISG_E10value_typeET2_T3_PNSH_ISM_E10value_typeET4_T5_PSR_SS_PNS1_23onesweep_lookback_stateEbbT6_jjT7_P12ihipStream_tbENKUlT_T0_SG_SL_E_clIS7_S7_PlSB_EEDaSZ_S10_SG_SL_EUlSZ_E_NS1_11comp_targetILNS1_3genE4ELNS1_11target_archE910ELNS1_3gpuE8ELNS1_3repE0EEENS1_47radix_sort_onesweep_sort_config_static_selectorELNS0_4arch9wavefront6targetE1EEEvSG_
    .private_segment_fixed_size: 0
    .sgpr_count:     60
    .sgpr_spill_count: 0
    .symbol:         _ZN7rocprim17ROCPRIM_400000_NS6detail17trampoline_kernelINS0_14default_configENS1_35radix_sort_onesweep_config_selectorIalEEZZNS1_29radix_sort_onesweep_iterationIS3_Lb0EPaS7_N6thrust23THRUST_200600_302600_NS10device_ptrIlEESB_jNS0_19identity_decomposerENS1_16block_id_wrapperIjLb1EEEEE10hipError_tT1_PNSt15iterator_traitsISG_E10value_typeET2_T3_PNSH_ISM_E10value_typeET4_T5_PSR_SS_PNS1_23onesweep_lookback_stateEbbT6_jjT7_P12ihipStream_tbENKUlT_T0_SG_SL_E_clIS7_S7_PlSB_EEDaSZ_S10_SG_SL_EUlSZ_E_NS1_11comp_targetILNS1_3genE4ELNS1_11target_archE910ELNS1_3gpuE8ELNS1_3repE0EEENS1_47radix_sort_onesweep_sort_config_static_selectorELNS0_4arch9wavefront6targetE1EEEvSG_.kd
    .uniform_work_group_size: 1
    .uses_dynamic_stack: false
    .vgpr_count:     55
    .vgpr_spill_count: 0
    .wavefront_size: 64
  - .agpr_count:     0
    .args:
      - .offset:         0
        .size:           88
        .value_kind:     by_value
    .group_segment_fixed_size: 0
    .kernarg_segment_align: 8
    .kernarg_segment_size: 88
    .language:       OpenCL C
    .language_version:
      - 2
      - 0
    .max_flat_workgroup_size: 1024
    .name:           _ZN7rocprim17ROCPRIM_400000_NS6detail17trampoline_kernelINS0_14default_configENS1_35radix_sort_onesweep_config_selectorIalEEZZNS1_29radix_sort_onesweep_iterationIS3_Lb0EPaS7_N6thrust23THRUST_200600_302600_NS10device_ptrIlEESB_jNS0_19identity_decomposerENS1_16block_id_wrapperIjLb1EEEEE10hipError_tT1_PNSt15iterator_traitsISG_E10value_typeET2_T3_PNSH_ISM_E10value_typeET4_T5_PSR_SS_PNS1_23onesweep_lookback_stateEbbT6_jjT7_P12ihipStream_tbENKUlT_T0_SG_SL_E_clIS7_S7_PlSB_EEDaSZ_S10_SG_SL_EUlSZ_E_NS1_11comp_targetILNS1_3genE3ELNS1_11target_archE908ELNS1_3gpuE7ELNS1_3repE0EEENS1_47radix_sort_onesweep_sort_config_static_selectorELNS0_4arch9wavefront6targetE1EEEvSG_
    .private_segment_fixed_size: 0
    .sgpr_count:     4
    .sgpr_spill_count: 0
    .symbol:         _ZN7rocprim17ROCPRIM_400000_NS6detail17trampoline_kernelINS0_14default_configENS1_35radix_sort_onesweep_config_selectorIalEEZZNS1_29radix_sort_onesweep_iterationIS3_Lb0EPaS7_N6thrust23THRUST_200600_302600_NS10device_ptrIlEESB_jNS0_19identity_decomposerENS1_16block_id_wrapperIjLb1EEEEE10hipError_tT1_PNSt15iterator_traitsISG_E10value_typeET2_T3_PNSH_ISM_E10value_typeET4_T5_PSR_SS_PNS1_23onesweep_lookback_stateEbbT6_jjT7_P12ihipStream_tbENKUlT_T0_SG_SL_E_clIS7_S7_PlSB_EEDaSZ_S10_SG_SL_EUlSZ_E_NS1_11comp_targetILNS1_3genE3ELNS1_11target_archE908ELNS1_3gpuE7ELNS1_3repE0EEENS1_47radix_sort_onesweep_sort_config_static_selectorELNS0_4arch9wavefront6targetE1EEEvSG_.kd
    .uniform_work_group_size: 1
    .uses_dynamic_stack: false
    .vgpr_count:     0
    .vgpr_spill_count: 0
    .wavefront_size: 64
  - .agpr_count:     0
    .args:
      - .offset:         0
        .size:           88
        .value_kind:     by_value
    .group_segment_fixed_size: 0
    .kernarg_segment_align: 8
    .kernarg_segment_size: 88
    .language:       OpenCL C
    .language_version:
      - 2
      - 0
    .max_flat_workgroup_size: 1024
    .name:           _ZN7rocprim17ROCPRIM_400000_NS6detail17trampoline_kernelINS0_14default_configENS1_35radix_sort_onesweep_config_selectorIalEEZZNS1_29radix_sort_onesweep_iterationIS3_Lb0EPaS7_N6thrust23THRUST_200600_302600_NS10device_ptrIlEESB_jNS0_19identity_decomposerENS1_16block_id_wrapperIjLb1EEEEE10hipError_tT1_PNSt15iterator_traitsISG_E10value_typeET2_T3_PNSH_ISM_E10value_typeET4_T5_PSR_SS_PNS1_23onesweep_lookback_stateEbbT6_jjT7_P12ihipStream_tbENKUlT_T0_SG_SL_E_clIS7_S7_PlSB_EEDaSZ_S10_SG_SL_EUlSZ_E_NS1_11comp_targetILNS1_3genE10ELNS1_11target_archE1201ELNS1_3gpuE5ELNS1_3repE0EEENS1_47radix_sort_onesweep_sort_config_static_selectorELNS0_4arch9wavefront6targetE1EEEvSG_
    .private_segment_fixed_size: 0
    .sgpr_count:     4
    .sgpr_spill_count: 0
    .symbol:         _ZN7rocprim17ROCPRIM_400000_NS6detail17trampoline_kernelINS0_14default_configENS1_35radix_sort_onesweep_config_selectorIalEEZZNS1_29radix_sort_onesweep_iterationIS3_Lb0EPaS7_N6thrust23THRUST_200600_302600_NS10device_ptrIlEESB_jNS0_19identity_decomposerENS1_16block_id_wrapperIjLb1EEEEE10hipError_tT1_PNSt15iterator_traitsISG_E10value_typeET2_T3_PNSH_ISM_E10value_typeET4_T5_PSR_SS_PNS1_23onesweep_lookback_stateEbbT6_jjT7_P12ihipStream_tbENKUlT_T0_SG_SL_E_clIS7_S7_PlSB_EEDaSZ_S10_SG_SL_EUlSZ_E_NS1_11comp_targetILNS1_3genE10ELNS1_11target_archE1201ELNS1_3gpuE5ELNS1_3repE0EEENS1_47radix_sort_onesweep_sort_config_static_selectorELNS0_4arch9wavefront6targetE1EEEvSG_.kd
    .uniform_work_group_size: 1
    .uses_dynamic_stack: false
    .vgpr_count:     0
    .vgpr_spill_count: 0
    .wavefront_size: 64
  - .agpr_count:     0
    .args:
      - .offset:         0
        .size:           88
        .value_kind:     by_value
    .group_segment_fixed_size: 0
    .kernarg_segment_align: 8
    .kernarg_segment_size: 88
    .language:       OpenCL C
    .language_version:
      - 2
      - 0
    .max_flat_workgroup_size: 1024
    .name:           _ZN7rocprim17ROCPRIM_400000_NS6detail17trampoline_kernelINS0_14default_configENS1_35radix_sort_onesweep_config_selectorIalEEZZNS1_29radix_sort_onesweep_iterationIS3_Lb0EPaS7_N6thrust23THRUST_200600_302600_NS10device_ptrIlEESB_jNS0_19identity_decomposerENS1_16block_id_wrapperIjLb1EEEEE10hipError_tT1_PNSt15iterator_traitsISG_E10value_typeET2_T3_PNSH_ISM_E10value_typeET4_T5_PSR_SS_PNS1_23onesweep_lookback_stateEbbT6_jjT7_P12ihipStream_tbENKUlT_T0_SG_SL_E_clIS7_S7_PlSB_EEDaSZ_S10_SG_SL_EUlSZ_E_NS1_11comp_targetILNS1_3genE9ELNS1_11target_archE1100ELNS1_3gpuE3ELNS1_3repE0EEENS1_47radix_sort_onesweep_sort_config_static_selectorELNS0_4arch9wavefront6targetE1EEEvSG_
    .private_segment_fixed_size: 0
    .sgpr_count:     4
    .sgpr_spill_count: 0
    .symbol:         _ZN7rocprim17ROCPRIM_400000_NS6detail17trampoline_kernelINS0_14default_configENS1_35radix_sort_onesweep_config_selectorIalEEZZNS1_29radix_sort_onesweep_iterationIS3_Lb0EPaS7_N6thrust23THRUST_200600_302600_NS10device_ptrIlEESB_jNS0_19identity_decomposerENS1_16block_id_wrapperIjLb1EEEEE10hipError_tT1_PNSt15iterator_traitsISG_E10value_typeET2_T3_PNSH_ISM_E10value_typeET4_T5_PSR_SS_PNS1_23onesweep_lookback_stateEbbT6_jjT7_P12ihipStream_tbENKUlT_T0_SG_SL_E_clIS7_S7_PlSB_EEDaSZ_S10_SG_SL_EUlSZ_E_NS1_11comp_targetILNS1_3genE9ELNS1_11target_archE1100ELNS1_3gpuE3ELNS1_3repE0EEENS1_47radix_sort_onesweep_sort_config_static_selectorELNS0_4arch9wavefront6targetE1EEEvSG_.kd
    .uniform_work_group_size: 1
    .uses_dynamic_stack: false
    .vgpr_count:     0
    .vgpr_spill_count: 0
    .wavefront_size: 64
  - .agpr_count:     0
    .args:
      - .offset:         0
        .size:           88
        .value_kind:     by_value
    .group_segment_fixed_size: 0
    .kernarg_segment_align: 8
    .kernarg_segment_size: 88
    .language:       OpenCL C
    .language_version:
      - 2
      - 0
    .max_flat_workgroup_size: 1024
    .name:           _ZN7rocprim17ROCPRIM_400000_NS6detail17trampoline_kernelINS0_14default_configENS1_35radix_sort_onesweep_config_selectorIalEEZZNS1_29radix_sort_onesweep_iterationIS3_Lb0EPaS7_N6thrust23THRUST_200600_302600_NS10device_ptrIlEESB_jNS0_19identity_decomposerENS1_16block_id_wrapperIjLb1EEEEE10hipError_tT1_PNSt15iterator_traitsISG_E10value_typeET2_T3_PNSH_ISM_E10value_typeET4_T5_PSR_SS_PNS1_23onesweep_lookback_stateEbbT6_jjT7_P12ihipStream_tbENKUlT_T0_SG_SL_E_clIS7_S7_PlSB_EEDaSZ_S10_SG_SL_EUlSZ_E_NS1_11comp_targetILNS1_3genE8ELNS1_11target_archE1030ELNS1_3gpuE2ELNS1_3repE0EEENS1_47radix_sort_onesweep_sort_config_static_selectorELNS0_4arch9wavefront6targetE1EEEvSG_
    .private_segment_fixed_size: 0
    .sgpr_count:     4
    .sgpr_spill_count: 0
    .symbol:         _ZN7rocprim17ROCPRIM_400000_NS6detail17trampoline_kernelINS0_14default_configENS1_35radix_sort_onesweep_config_selectorIalEEZZNS1_29radix_sort_onesweep_iterationIS3_Lb0EPaS7_N6thrust23THRUST_200600_302600_NS10device_ptrIlEESB_jNS0_19identity_decomposerENS1_16block_id_wrapperIjLb1EEEEE10hipError_tT1_PNSt15iterator_traitsISG_E10value_typeET2_T3_PNSH_ISM_E10value_typeET4_T5_PSR_SS_PNS1_23onesweep_lookback_stateEbbT6_jjT7_P12ihipStream_tbENKUlT_T0_SG_SL_E_clIS7_S7_PlSB_EEDaSZ_S10_SG_SL_EUlSZ_E_NS1_11comp_targetILNS1_3genE8ELNS1_11target_archE1030ELNS1_3gpuE2ELNS1_3repE0EEENS1_47radix_sort_onesweep_sort_config_static_selectorELNS0_4arch9wavefront6targetE1EEEvSG_.kd
    .uniform_work_group_size: 1
    .uses_dynamic_stack: false
    .vgpr_count:     0
    .vgpr_spill_count: 0
    .wavefront_size: 64
  - .agpr_count:     0
    .args:
      - .offset:         0
        .size:           88
        .value_kind:     by_value
    .group_segment_fixed_size: 0
    .kernarg_segment_align: 8
    .kernarg_segment_size: 88
    .language:       OpenCL C
    .language_version:
      - 2
      - 0
    .max_flat_workgroup_size: 1024
    .name:           _ZN7rocprim17ROCPRIM_400000_NS6detail17trampoline_kernelINS0_14default_configENS1_35radix_sort_onesweep_config_selectorIalEEZZNS1_29radix_sort_onesweep_iterationIS3_Lb0EPaS7_N6thrust23THRUST_200600_302600_NS10device_ptrIlEESB_jNS0_19identity_decomposerENS1_16block_id_wrapperIjLb0EEEEE10hipError_tT1_PNSt15iterator_traitsISG_E10value_typeET2_T3_PNSH_ISM_E10value_typeET4_T5_PSR_SS_PNS1_23onesweep_lookback_stateEbbT6_jjT7_P12ihipStream_tbENKUlT_T0_SG_SL_E_clIS7_S7_SB_SB_EEDaSZ_S10_SG_SL_EUlSZ_E_NS1_11comp_targetILNS1_3genE0ELNS1_11target_archE4294967295ELNS1_3gpuE0ELNS1_3repE0EEENS1_47radix_sort_onesweep_sort_config_static_selectorELNS0_4arch9wavefront6targetE1EEEvSG_
    .private_segment_fixed_size: 0
    .sgpr_count:     4
    .sgpr_spill_count: 0
    .symbol:         _ZN7rocprim17ROCPRIM_400000_NS6detail17trampoline_kernelINS0_14default_configENS1_35radix_sort_onesweep_config_selectorIalEEZZNS1_29radix_sort_onesweep_iterationIS3_Lb0EPaS7_N6thrust23THRUST_200600_302600_NS10device_ptrIlEESB_jNS0_19identity_decomposerENS1_16block_id_wrapperIjLb0EEEEE10hipError_tT1_PNSt15iterator_traitsISG_E10value_typeET2_T3_PNSH_ISM_E10value_typeET4_T5_PSR_SS_PNS1_23onesweep_lookback_stateEbbT6_jjT7_P12ihipStream_tbENKUlT_T0_SG_SL_E_clIS7_S7_SB_SB_EEDaSZ_S10_SG_SL_EUlSZ_E_NS1_11comp_targetILNS1_3genE0ELNS1_11target_archE4294967295ELNS1_3gpuE0ELNS1_3repE0EEENS1_47radix_sort_onesweep_sort_config_static_selectorELNS0_4arch9wavefront6targetE1EEEvSG_.kd
    .uniform_work_group_size: 1
    .uses_dynamic_stack: false
    .vgpr_count:     0
    .vgpr_spill_count: 0
    .wavefront_size: 64
  - .agpr_count:     0
    .args:
      - .offset:         0
        .size:           88
        .value_kind:     by_value
    .group_segment_fixed_size: 0
    .kernarg_segment_align: 8
    .kernarg_segment_size: 88
    .language:       OpenCL C
    .language_version:
      - 2
      - 0
    .max_flat_workgroup_size: 1024
    .name:           _ZN7rocprim17ROCPRIM_400000_NS6detail17trampoline_kernelINS0_14default_configENS1_35radix_sort_onesweep_config_selectorIalEEZZNS1_29radix_sort_onesweep_iterationIS3_Lb0EPaS7_N6thrust23THRUST_200600_302600_NS10device_ptrIlEESB_jNS0_19identity_decomposerENS1_16block_id_wrapperIjLb0EEEEE10hipError_tT1_PNSt15iterator_traitsISG_E10value_typeET2_T3_PNSH_ISM_E10value_typeET4_T5_PSR_SS_PNS1_23onesweep_lookback_stateEbbT6_jjT7_P12ihipStream_tbENKUlT_T0_SG_SL_E_clIS7_S7_SB_SB_EEDaSZ_S10_SG_SL_EUlSZ_E_NS1_11comp_targetILNS1_3genE6ELNS1_11target_archE950ELNS1_3gpuE13ELNS1_3repE0EEENS1_47radix_sort_onesweep_sort_config_static_selectorELNS0_4arch9wavefront6targetE1EEEvSG_
    .private_segment_fixed_size: 0
    .sgpr_count:     4
    .sgpr_spill_count: 0
    .symbol:         _ZN7rocprim17ROCPRIM_400000_NS6detail17trampoline_kernelINS0_14default_configENS1_35radix_sort_onesweep_config_selectorIalEEZZNS1_29radix_sort_onesweep_iterationIS3_Lb0EPaS7_N6thrust23THRUST_200600_302600_NS10device_ptrIlEESB_jNS0_19identity_decomposerENS1_16block_id_wrapperIjLb0EEEEE10hipError_tT1_PNSt15iterator_traitsISG_E10value_typeET2_T3_PNSH_ISM_E10value_typeET4_T5_PSR_SS_PNS1_23onesweep_lookback_stateEbbT6_jjT7_P12ihipStream_tbENKUlT_T0_SG_SL_E_clIS7_S7_SB_SB_EEDaSZ_S10_SG_SL_EUlSZ_E_NS1_11comp_targetILNS1_3genE6ELNS1_11target_archE950ELNS1_3gpuE13ELNS1_3repE0EEENS1_47radix_sort_onesweep_sort_config_static_selectorELNS0_4arch9wavefront6targetE1EEEvSG_.kd
    .uniform_work_group_size: 1
    .uses_dynamic_stack: false
    .vgpr_count:     0
    .vgpr_spill_count: 0
    .wavefront_size: 64
  - .agpr_count:     0
    .args:
      - .offset:         0
        .size:           88
        .value_kind:     by_value
    .group_segment_fixed_size: 0
    .kernarg_segment_align: 8
    .kernarg_segment_size: 88
    .language:       OpenCL C
    .language_version:
      - 2
      - 0
    .max_flat_workgroup_size: 1024
    .name:           _ZN7rocprim17ROCPRIM_400000_NS6detail17trampoline_kernelINS0_14default_configENS1_35radix_sort_onesweep_config_selectorIalEEZZNS1_29radix_sort_onesweep_iterationIS3_Lb0EPaS7_N6thrust23THRUST_200600_302600_NS10device_ptrIlEESB_jNS0_19identity_decomposerENS1_16block_id_wrapperIjLb0EEEEE10hipError_tT1_PNSt15iterator_traitsISG_E10value_typeET2_T3_PNSH_ISM_E10value_typeET4_T5_PSR_SS_PNS1_23onesweep_lookback_stateEbbT6_jjT7_P12ihipStream_tbENKUlT_T0_SG_SL_E_clIS7_S7_SB_SB_EEDaSZ_S10_SG_SL_EUlSZ_E_NS1_11comp_targetILNS1_3genE5ELNS1_11target_archE942ELNS1_3gpuE9ELNS1_3repE0EEENS1_47radix_sort_onesweep_sort_config_static_selectorELNS0_4arch9wavefront6targetE1EEEvSG_
    .private_segment_fixed_size: 0
    .sgpr_count:     4
    .sgpr_spill_count: 0
    .symbol:         _ZN7rocprim17ROCPRIM_400000_NS6detail17trampoline_kernelINS0_14default_configENS1_35radix_sort_onesweep_config_selectorIalEEZZNS1_29radix_sort_onesweep_iterationIS3_Lb0EPaS7_N6thrust23THRUST_200600_302600_NS10device_ptrIlEESB_jNS0_19identity_decomposerENS1_16block_id_wrapperIjLb0EEEEE10hipError_tT1_PNSt15iterator_traitsISG_E10value_typeET2_T3_PNSH_ISM_E10value_typeET4_T5_PSR_SS_PNS1_23onesweep_lookback_stateEbbT6_jjT7_P12ihipStream_tbENKUlT_T0_SG_SL_E_clIS7_S7_SB_SB_EEDaSZ_S10_SG_SL_EUlSZ_E_NS1_11comp_targetILNS1_3genE5ELNS1_11target_archE942ELNS1_3gpuE9ELNS1_3repE0EEENS1_47radix_sort_onesweep_sort_config_static_selectorELNS0_4arch9wavefront6targetE1EEEvSG_.kd
    .uniform_work_group_size: 1
    .uses_dynamic_stack: false
    .vgpr_count:     0
    .vgpr_spill_count: 0
    .wavefront_size: 64
  - .agpr_count:     0
    .args:
      - .offset:         0
        .size:           88
        .value_kind:     by_value
    .group_segment_fixed_size: 0
    .kernarg_segment_align: 8
    .kernarg_segment_size: 88
    .language:       OpenCL C
    .language_version:
      - 2
      - 0
    .max_flat_workgroup_size: 512
    .name:           _ZN7rocprim17ROCPRIM_400000_NS6detail17trampoline_kernelINS0_14default_configENS1_35radix_sort_onesweep_config_selectorIalEEZZNS1_29radix_sort_onesweep_iterationIS3_Lb0EPaS7_N6thrust23THRUST_200600_302600_NS10device_ptrIlEESB_jNS0_19identity_decomposerENS1_16block_id_wrapperIjLb0EEEEE10hipError_tT1_PNSt15iterator_traitsISG_E10value_typeET2_T3_PNSH_ISM_E10value_typeET4_T5_PSR_SS_PNS1_23onesweep_lookback_stateEbbT6_jjT7_P12ihipStream_tbENKUlT_T0_SG_SL_E_clIS7_S7_SB_SB_EEDaSZ_S10_SG_SL_EUlSZ_E_NS1_11comp_targetILNS1_3genE2ELNS1_11target_archE906ELNS1_3gpuE6ELNS1_3repE0EEENS1_47radix_sort_onesweep_sort_config_static_selectorELNS0_4arch9wavefront6targetE1EEEvSG_
    .private_segment_fixed_size: 0
    .sgpr_count:     4
    .sgpr_spill_count: 0
    .symbol:         _ZN7rocprim17ROCPRIM_400000_NS6detail17trampoline_kernelINS0_14default_configENS1_35radix_sort_onesweep_config_selectorIalEEZZNS1_29radix_sort_onesweep_iterationIS3_Lb0EPaS7_N6thrust23THRUST_200600_302600_NS10device_ptrIlEESB_jNS0_19identity_decomposerENS1_16block_id_wrapperIjLb0EEEEE10hipError_tT1_PNSt15iterator_traitsISG_E10value_typeET2_T3_PNSH_ISM_E10value_typeET4_T5_PSR_SS_PNS1_23onesweep_lookback_stateEbbT6_jjT7_P12ihipStream_tbENKUlT_T0_SG_SL_E_clIS7_S7_SB_SB_EEDaSZ_S10_SG_SL_EUlSZ_E_NS1_11comp_targetILNS1_3genE2ELNS1_11target_archE906ELNS1_3gpuE6ELNS1_3repE0EEENS1_47radix_sort_onesweep_sort_config_static_selectorELNS0_4arch9wavefront6targetE1EEEvSG_.kd
    .uniform_work_group_size: 1
    .uses_dynamic_stack: false
    .vgpr_count:     0
    .vgpr_spill_count: 0
    .wavefront_size: 64
  - .agpr_count:     0
    .args:
      - .offset:         0
        .size:           88
        .value_kind:     by_value
      - .offset:         88
        .size:           4
        .value_kind:     hidden_block_count_x
      - .offset:         92
        .size:           4
        .value_kind:     hidden_block_count_y
      - .offset:         96
        .size:           4
        .value_kind:     hidden_block_count_z
      - .offset:         100
        .size:           2
        .value_kind:     hidden_group_size_x
      - .offset:         102
        .size:           2
        .value_kind:     hidden_group_size_y
      - .offset:         104
        .size:           2
        .value_kind:     hidden_group_size_z
      - .offset:         106
        .size:           2
        .value_kind:     hidden_remainder_x
      - .offset:         108
        .size:           2
        .value_kind:     hidden_remainder_y
      - .offset:         110
        .size:           2
        .value_kind:     hidden_remainder_z
      - .offset:         128
        .size:           8
        .value_kind:     hidden_global_offset_x
      - .offset:         136
        .size:           8
        .value_kind:     hidden_global_offset_y
      - .offset:         144
        .size:           8
        .value_kind:     hidden_global_offset_z
      - .offset:         152
        .size:           2
        .value_kind:     hidden_grid_dims
    .group_segment_fixed_size: 20552
    .kernarg_segment_align: 8
    .kernarg_segment_size: 344
    .language:       OpenCL C
    .language_version:
      - 2
      - 0
    .max_flat_workgroup_size: 1024
    .name:           _ZN7rocprim17ROCPRIM_400000_NS6detail17trampoline_kernelINS0_14default_configENS1_35radix_sort_onesweep_config_selectorIalEEZZNS1_29radix_sort_onesweep_iterationIS3_Lb0EPaS7_N6thrust23THRUST_200600_302600_NS10device_ptrIlEESB_jNS0_19identity_decomposerENS1_16block_id_wrapperIjLb0EEEEE10hipError_tT1_PNSt15iterator_traitsISG_E10value_typeET2_T3_PNSH_ISM_E10value_typeET4_T5_PSR_SS_PNS1_23onesweep_lookback_stateEbbT6_jjT7_P12ihipStream_tbENKUlT_T0_SG_SL_E_clIS7_S7_SB_SB_EEDaSZ_S10_SG_SL_EUlSZ_E_NS1_11comp_targetILNS1_3genE4ELNS1_11target_archE910ELNS1_3gpuE8ELNS1_3repE0EEENS1_47radix_sort_onesweep_sort_config_static_selectorELNS0_4arch9wavefront6targetE1EEEvSG_
    .private_segment_fixed_size: 0
    .sgpr_count:     57
    .sgpr_spill_count: 0
    .symbol:         _ZN7rocprim17ROCPRIM_400000_NS6detail17trampoline_kernelINS0_14default_configENS1_35radix_sort_onesweep_config_selectorIalEEZZNS1_29radix_sort_onesweep_iterationIS3_Lb0EPaS7_N6thrust23THRUST_200600_302600_NS10device_ptrIlEESB_jNS0_19identity_decomposerENS1_16block_id_wrapperIjLb0EEEEE10hipError_tT1_PNSt15iterator_traitsISG_E10value_typeET2_T3_PNSH_ISM_E10value_typeET4_T5_PSR_SS_PNS1_23onesweep_lookback_stateEbbT6_jjT7_P12ihipStream_tbENKUlT_T0_SG_SL_E_clIS7_S7_SB_SB_EEDaSZ_S10_SG_SL_EUlSZ_E_NS1_11comp_targetILNS1_3genE4ELNS1_11target_archE910ELNS1_3gpuE8ELNS1_3repE0EEENS1_47radix_sort_onesweep_sort_config_static_selectorELNS0_4arch9wavefront6targetE1EEEvSG_.kd
    .uniform_work_group_size: 1
    .uses_dynamic_stack: false
    .vgpr_count:     55
    .vgpr_spill_count: 0
    .wavefront_size: 64
  - .agpr_count:     0
    .args:
      - .offset:         0
        .size:           88
        .value_kind:     by_value
    .group_segment_fixed_size: 0
    .kernarg_segment_align: 8
    .kernarg_segment_size: 88
    .language:       OpenCL C
    .language_version:
      - 2
      - 0
    .max_flat_workgroup_size: 1024
    .name:           _ZN7rocprim17ROCPRIM_400000_NS6detail17trampoline_kernelINS0_14default_configENS1_35radix_sort_onesweep_config_selectorIalEEZZNS1_29radix_sort_onesweep_iterationIS3_Lb0EPaS7_N6thrust23THRUST_200600_302600_NS10device_ptrIlEESB_jNS0_19identity_decomposerENS1_16block_id_wrapperIjLb0EEEEE10hipError_tT1_PNSt15iterator_traitsISG_E10value_typeET2_T3_PNSH_ISM_E10value_typeET4_T5_PSR_SS_PNS1_23onesweep_lookback_stateEbbT6_jjT7_P12ihipStream_tbENKUlT_T0_SG_SL_E_clIS7_S7_SB_SB_EEDaSZ_S10_SG_SL_EUlSZ_E_NS1_11comp_targetILNS1_3genE3ELNS1_11target_archE908ELNS1_3gpuE7ELNS1_3repE0EEENS1_47radix_sort_onesweep_sort_config_static_selectorELNS0_4arch9wavefront6targetE1EEEvSG_
    .private_segment_fixed_size: 0
    .sgpr_count:     4
    .sgpr_spill_count: 0
    .symbol:         _ZN7rocprim17ROCPRIM_400000_NS6detail17trampoline_kernelINS0_14default_configENS1_35radix_sort_onesweep_config_selectorIalEEZZNS1_29radix_sort_onesweep_iterationIS3_Lb0EPaS7_N6thrust23THRUST_200600_302600_NS10device_ptrIlEESB_jNS0_19identity_decomposerENS1_16block_id_wrapperIjLb0EEEEE10hipError_tT1_PNSt15iterator_traitsISG_E10value_typeET2_T3_PNSH_ISM_E10value_typeET4_T5_PSR_SS_PNS1_23onesweep_lookback_stateEbbT6_jjT7_P12ihipStream_tbENKUlT_T0_SG_SL_E_clIS7_S7_SB_SB_EEDaSZ_S10_SG_SL_EUlSZ_E_NS1_11comp_targetILNS1_3genE3ELNS1_11target_archE908ELNS1_3gpuE7ELNS1_3repE0EEENS1_47radix_sort_onesweep_sort_config_static_selectorELNS0_4arch9wavefront6targetE1EEEvSG_.kd
    .uniform_work_group_size: 1
    .uses_dynamic_stack: false
    .vgpr_count:     0
    .vgpr_spill_count: 0
    .wavefront_size: 64
  - .agpr_count:     0
    .args:
      - .offset:         0
        .size:           88
        .value_kind:     by_value
    .group_segment_fixed_size: 0
    .kernarg_segment_align: 8
    .kernarg_segment_size: 88
    .language:       OpenCL C
    .language_version:
      - 2
      - 0
    .max_flat_workgroup_size: 1024
    .name:           _ZN7rocprim17ROCPRIM_400000_NS6detail17trampoline_kernelINS0_14default_configENS1_35radix_sort_onesweep_config_selectorIalEEZZNS1_29radix_sort_onesweep_iterationIS3_Lb0EPaS7_N6thrust23THRUST_200600_302600_NS10device_ptrIlEESB_jNS0_19identity_decomposerENS1_16block_id_wrapperIjLb0EEEEE10hipError_tT1_PNSt15iterator_traitsISG_E10value_typeET2_T3_PNSH_ISM_E10value_typeET4_T5_PSR_SS_PNS1_23onesweep_lookback_stateEbbT6_jjT7_P12ihipStream_tbENKUlT_T0_SG_SL_E_clIS7_S7_SB_SB_EEDaSZ_S10_SG_SL_EUlSZ_E_NS1_11comp_targetILNS1_3genE10ELNS1_11target_archE1201ELNS1_3gpuE5ELNS1_3repE0EEENS1_47radix_sort_onesweep_sort_config_static_selectorELNS0_4arch9wavefront6targetE1EEEvSG_
    .private_segment_fixed_size: 0
    .sgpr_count:     4
    .sgpr_spill_count: 0
    .symbol:         _ZN7rocprim17ROCPRIM_400000_NS6detail17trampoline_kernelINS0_14default_configENS1_35radix_sort_onesweep_config_selectorIalEEZZNS1_29radix_sort_onesweep_iterationIS3_Lb0EPaS7_N6thrust23THRUST_200600_302600_NS10device_ptrIlEESB_jNS0_19identity_decomposerENS1_16block_id_wrapperIjLb0EEEEE10hipError_tT1_PNSt15iterator_traitsISG_E10value_typeET2_T3_PNSH_ISM_E10value_typeET4_T5_PSR_SS_PNS1_23onesweep_lookback_stateEbbT6_jjT7_P12ihipStream_tbENKUlT_T0_SG_SL_E_clIS7_S7_SB_SB_EEDaSZ_S10_SG_SL_EUlSZ_E_NS1_11comp_targetILNS1_3genE10ELNS1_11target_archE1201ELNS1_3gpuE5ELNS1_3repE0EEENS1_47radix_sort_onesweep_sort_config_static_selectorELNS0_4arch9wavefront6targetE1EEEvSG_.kd
    .uniform_work_group_size: 1
    .uses_dynamic_stack: false
    .vgpr_count:     0
    .vgpr_spill_count: 0
    .wavefront_size: 64
  - .agpr_count:     0
    .args:
      - .offset:         0
        .size:           88
        .value_kind:     by_value
    .group_segment_fixed_size: 0
    .kernarg_segment_align: 8
    .kernarg_segment_size: 88
    .language:       OpenCL C
    .language_version:
      - 2
      - 0
    .max_flat_workgroup_size: 1024
    .name:           _ZN7rocprim17ROCPRIM_400000_NS6detail17trampoline_kernelINS0_14default_configENS1_35radix_sort_onesweep_config_selectorIalEEZZNS1_29radix_sort_onesweep_iterationIS3_Lb0EPaS7_N6thrust23THRUST_200600_302600_NS10device_ptrIlEESB_jNS0_19identity_decomposerENS1_16block_id_wrapperIjLb0EEEEE10hipError_tT1_PNSt15iterator_traitsISG_E10value_typeET2_T3_PNSH_ISM_E10value_typeET4_T5_PSR_SS_PNS1_23onesweep_lookback_stateEbbT6_jjT7_P12ihipStream_tbENKUlT_T0_SG_SL_E_clIS7_S7_SB_SB_EEDaSZ_S10_SG_SL_EUlSZ_E_NS1_11comp_targetILNS1_3genE9ELNS1_11target_archE1100ELNS1_3gpuE3ELNS1_3repE0EEENS1_47radix_sort_onesweep_sort_config_static_selectorELNS0_4arch9wavefront6targetE1EEEvSG_
    .private_segment_fixed_size: 0
    .sgpr_count:     4
    .sgpr_spill_count: 0
    .symbol:         _ZN7rocprim17ROCPRIM_400000_NS6detail17trampoline_kernelINS0_14default_configENS1_35radix_sort_onesweep_config_selectorIalEEZZNS1_29radix_sort_onesweep_iterationIS3_Lb0EPaS7_N6thrust23THRUST_200600_302600_NS10device_ptrIlEESB_jNS0_19identity_decomposerENS1_16block_id_wrapperIjLb0EEEEE10hipError_tT1_PNSt15iterator_traitsISG_E10value_typeET2_T3_PNSH_ISM_E10value_typeET4_T5_PSR_SS_PNS1_23onesweep_lookback_stateEbbT6_jjT7_P12ihipStream_tbENKUlT_T0_SG_SL_E_clIS7_S7_SB_SB_EEDaSZ_S10_SG_SL_EUlSZ_E_NS1_11comp_targetILNS1_3genE9ELNS1_11target_archE1100ELNS1_3gpuE3ELNS1_3repE0EEENS1_47radix_sort_onesweep_sort_config_static_selectorELNS0_4arch9wavefront6targetE1EEEvSG_.kd
    .uniform_work_group_size: 1
    .uses_dynamic_stack: false
    .vgpr_count:     0
    .vgpr_spill_count: 0
    .wavefront_size: 64
  - .agpr_count:     0
    .args:
      - .offset:         0
        .size:           88
        .value_kind:     by_value
    .group_segment_fixed_size: 0
    .kernarg_segment_align: 8
    .kernarg_segment_size: 88
    .language:       OpenCL C
    .language_version:
      - 2
      - 0
    .max_flat_workgroup_size: 1024
    .name:           _ZN7rocprim17ROCPRIM_400000_NS6detail17trampoline_kernelINS0_14default_configENS1_35radix_sort_onesweep_config_selectorIalEEZZNS1_29radix_sort_onesweep_iterationIS3_Lb0EPaS7_N6thrust23THRUST_200600_302600_NS10device_ptrIlEESB_jNS0_19identity_decomposerENS1_16block_id_wrapperIjLb0EEEEE10hipError_tT1_PNSt15iterator_traitsISG_E10value_typeET2_T3_PNSH_ISM_E10value_typeET4_T5_PSR_SS_PNS1_23onesweep_lookback_stateEbbT6_jjT7_P12ihipStream_tbENKUlT_T0_SG_SL_E_clIS7_S7_SB_SB_EEDaSZ_S10_SG_SL_EUlSZ_E_NS1_11comp_targetILNS1_3genE8ELNS1_11target_archE1030ELNS1_3gpuE2ELNS1_3repE0EEENS1_47radix_sort_onesweep_sort_config_static_selectorELNS0_4arch9wavefront6targetE1EEEvSG_
    .private_segment_fixed_size: 0
    .sgpr_count:     4
    .sgpr_spill_count: 0
    .symbol:         _ZN7rocprim17ROCPRIM_400000_NS6detail17trampoline_kernelINS0_14default_configENS1_35radix_sort_onesweep_config_selectorIalEEZZNS1_29radix_sort_onesweep_iterationIS3_Lb0EPaS7_N6thrust23THRUST_200600_302600_NS10device_ptrIlEESB_jNS0_19identity_decomposerENS1_16block_id_wrapperIjLb0EEEEE10hipError_tT1_PNSt15iterator_traitsISG_E10value_typeET2_T3_PNSH_ISM_E10value_typeET4_T5_PSR_SS_PNS1_23onesweep_lookback_stateEbbT6_jjT7_P12ihipStream_tbENKUlT_T0_SG_SL_E_clIS7_S7_SB_SB_EEDaSZ_S10_SG_SL_EUlSZ_E_NS1_11comp_targetILNS1_3genE8ELNS1_11target_archE1030ELNS1_3gpuE2ELNS1_3repE0EEENS1_47radix_sort_onesweep_sort_config_static_selectorELNS0_4arch9wavefront6targetE1EEEvSG_.kd
    .uniform_work_group_size: 1
    .uses_dynamic_stack: false
    .vgpr_count:     0
    .vgpr_spill_count: 0
    .wavefront_size: 64
  - .agpr_count:     0
    .args:
      - .offset:         0
        .size:           88
        .value_kind:     by_value
    .group_segment_fixed_size: 0
    .kernarg_segment_align: 8
    .kernarg_segment_size: 88
    .language:       OpenCL C
    .language_version:
      - 2
      - 0
    .max_flat_workgroup_size: 1024
    .name:           _ZN7rocprim17ROCPRIM_400000_NS6detail17trampoline_kernelINS0_14default_configENS1_35radix_sort_onesweep_config_selectorIalEEZZNS1_29radix_sort_onesweep_iterationIS3_Lb0EPaS7_N6thrust23THRUST_200600_302600_NS10device_ptrIlEESB_jNS0_19identity_decomposerENS1_16block_id_wrapperIjLb0EEEEE10hipError_tT1_PNSt15iterator_traitsISG_E10value_typeET2_T3_PNSH_ISM_E10value_typeET4_T5_PSR_SS_PNS1_23onesweep_lookback_stateEbbT6_jjT7_P12ihipStream_tbENKUlT_T0_SG_SL_E_clIS7_S7_SB_PlEEDaSZ_S10_SG_SL_EUlSZ_E_NS1_11comp_targetILNS1_3genE0ELNS1_11target_archE4294967295ELNS1_3gpuE0ELNS1_3repE0EEENS1_47radix_sort_onesweep_sort_config_static_selectorELNS0_4arch9wavefront6targetE1EEEvSG_
    .private_segment_fixed_size: 0
    .sgpr_count:     4
    .sgpr_spill_count: 0
    .symbol:         _ZN7rocprim17ROCPRIM_400000_NS6detail17trampoline_kernelINS0_14default_configENS1_35radix_sort_onesweep_config_selectorIalEEZZNS1_29radix_sort_onesweep_iterationIS3_Lb0EPaS7_N6thrust23THRUST_200600_302600_NS10device_ptrIlEESB_jNS0_19identity_decomposerENS1_16block_id_wrapperIjLb0EEEEE10hipError_tT1_PNSt15iterator_traitsISG_E10value_typeET2_T3_PNSH_ISM_E10value_typeET4_T5_PSR_SS_PNS1_23onesweep_lookback_stateEbbT6_jjT7_P12ihipStream_tbENKUlT_T0_SG_SL_E_clIS7_S7_SB_PlEEDaSZ_S10_SG_SL_EUlSZ_E_NS1_11comp_targetILNS1_3genE0ELNS1_11target_archE4294967295ELNS1_3gpuE0ELNS1_3repE0EEENS1_47radix_sort_onesweep_sort_config_static_selectorELNS0_4arch9wavefront6targetE1EEEvSG_.kd
    .uniform_work_group_size: 1
    .uses_dynamic_stack: false
    .vgpr_count:     0
    .vgpr_spill_count: 0
    .wavefront_size: 64
  - .agpr_count:     0
    .args:
      - .offset:         0
        .size:           88
        .value_kind:     by_value
    .group_segment_fixed_size: 0
    .kernarg_segment_align: 8
    .kernarg_segment_size: 88
    .language:       OpenCL C
    .language_version:
      - 2
      - 0
    .max_flat_workgroup_size: 1024
    .name:           _ZN7rocprim17ROCPRIM_400000_NS6detail17trampoline_kernelINS0_14default_configENS1_35radix_sort_onesweep_config_selectorIalEEZZNS1_29radix_sort_onesweep_iterationIS3_Lb0EPaS7_N6thrust23THRUST_200600_302600_NS10device_ptrIlEESB_jNS0_19identity_decomposerENS1_16block_id_wrapperIjLb0EEEEE10hipError_tT1_PNSt15iterator_traitsISG_E10value_typeET2_T3_PNSH_ISM_E10value_typeET4_T5_PSR_SS_PNS1_23onesweep_lookback_stateEbbT6_jjT7_P12ihipStream_tbENKUlT_T0_SG_SL_E_clIS7_S7_SB_PlEEDaSZ_S10_SG_SL_EUlSZ_E_NS1_11comp_targetILNS1_3genE6ELNS1_11target_archE950ELNS1_3gpuE13ELNS1_3repE0EEENS1_47radix_sort_onesweep_sort_config_static_selectorELNS0_4arch9wavefront6targetE1EEEvSG_
    .private_segment_fixed_size: 0
    .sgpr_count:     4
    .sgpr_spill_count: 0
    .symbol:         _ZN7rocprim17ROCPRIM_400000_NS6detail17trampoline_kernelINS0_14default_configENS1_35radix_sort_onesweep_config_selectorIalEEZZNS1_29radix_sort_onesweep_iterationIS3_Lb0EPaS7_N6thrust23THRUST_200600_302600_NS10device_ptrIlEESB_jNS0_19identity_decomposerENS1_16block_id_wrapperIjLb0EEEEE10hipError_tT1_PNSt15iterator_traitsISG_E10value_typeET2_T3_PNSH_ISM_E10value_typeET4_T5_PSR_SS_PNS1_23onesweep_lookback_stateEbbT6_jjT7_P12ihipStream_tbENKUlT_T0_SG_SL_E_clIS7_S7_SB_PlEEDaSZ_S10_SG_SL_EUlSZ_E_NS1_11comp_targetILNS1_3genE6ELNS1_11target_archE950ELNS1_3gpuE13ELNS1_3repE0EEENS1_47radix_sort_onesweep_sort_config_static_selectorELNS0_4arch9wavefront6targetE1EEEvSG_.kd
    .uniform_work_group_size: 1
    .uses_dynamic_stack: false
    .vgpr_count:     0
    .vgpr_spill_count: 0
    .wavefront_size: 64
  - .agpr_count:     0
    .args:
      - .offset:         0
        .size:           88
        .value_kind:     by_value
    .group_segment_fixed_size: 0
    .kernarg_segment_align: 8
    .kernarg_segment_size: 88
    .language:       OpenCL C
    .language_version:
      - 2
      - 0
    .max_flat_workgroup_size: 1024
    .name:           _ZN7rocprim17ROCPRIM_400000_NS6detail17trampoline_kernelINS0_14default_configENS1_35radix_sort_onesweep_config_selectorIalEEZZNS1_29radix_sort_onesweep_iterationIS3_Lb0EPaS7_N6thrust23THRUST_200600_302600_NS10device_ptrIlEESB_jNS0_19identity_decomposerENS1_16block_id_wrapperIjLb0EEEEE10hipError_tT1_PNSt15iterator_traitsISG_E10value_typeET2_T3_PNSH_ISM_E10value_typeET4_T5_PSR_SS_PNS1_23onesweep_lookback_stateEbbT6_jjT7_P12ihipStream_tbENKUlT_T0_SG_SL_E_clIS7_S7_SB_PlEEDaSZ_S10_SG_SL_EUlSZ_E_NS1_11comp_targetILNS1_3genE5ELNS1_11target_archE942ELNS1_3gpuE9ELNS1_3repE0EEENS1_47radix_sort_onesweep_sort_config_static_selectorELNS0_4arch9wavefront6targetE1EEEvSG_
    .private_segment_fixed_size: 0
    .sgpr_count:     4
    .sgpr_spill_count: 0
    .symbol:         _ZN7rocprim17ROCPRIM_400000_NS6detail17trampoline_kernelINS0_14default_configENS1_35radix_sort_onesweep_config_selectorIalEEZZNS1_29radix_sort_onesweep_iterationIS3_Lb0EPaS7_N6thrust23THRUST_200600_302600_NS10device_ptrIlEESB_jNS0_19identity_decomposerENS1_16block_id_wrapperIjLb0EEEEE10hipError_tT1_PNSt15iterator_traitsISG_E10value_typeET2_T3_PNSH_ISM_E10value_typeET4_T5_PSR_SS_PNS1_23onesweep_lookback_stateEbbT6_jjT7_P12ihipStream_tbENKUlT_T0_SG_SL_E_clIS7_S7_SB_PlEEDaSZ_S10_SG_SL_EUlSZ_E_NS1_11comp_targetILNS1_3genE5ELNS1_11target_archE942ELNS1_3gpuE9ELNS1_3repE0EEENS1_47radix_sort_onesweep_sort_config_static_selectorELNS0_4arch9wavefront6targetE1EEEvSG_.kd
    .uniform_work_group_size: 1
    .uses_dynamic_stack: false
    .vgpr_count:     0
    .vgpr_spill_count: 0
    .wavefront_size: 64
  - .agpr_count:     0
    .args:
      - .offset:         0
        .size:           88
        .value_kind:     by_value
    .group_segment_fixed_size: 0
    .kernarg_segment_align: 8
    .kernarg_segment_size: 88
    .language:       OpenCL C
    .language_version:
      - 2
      - 0
    .max_flat_workgroup_size: 512
    .name:           _ZN7rocprim17ROCPRIM_400000_NS6detail17trampoline_kernelINS0_14default_configENS1_35radix_sort_onesweep_config_selectorIalEEZZNS1_29radix_sort_onesweep_iterationIS3_Lb0EPaS7_N6thrust23THRUST_200600_302600_NS10device_ptrIlEESB_jNS0_19identity_decomposerENS1_16block_id_wrapperIjLb0EEEEE10hipError_tT1_PNSt15iterator_traitsISG_E10value_typeET2_T3_PNSH_ISM_E10value_typeET4_T5_PSR_SS_PNS1_23onesweep_lookback_stateEbbT6_jjT7_P12ihipStream_tbENKUlT_T0_SG_SL_E_clIS7_S7_SB_PlEEDaSZ_S10_SG_SL_EUlSZ_E_NS1_11comp_targetILNS1_3genE2ELNS1_11target_archE906ELNS1_3gpuE6ELNS1_3repE0EEENS1_47radix_sort_onesweep_sort_config_static_selectorELNS0_4arch9wavefront6targetE1EEEvSG_
    .private_segment_fixed_size: 0
    .sgpr_count:     4
    .sgpr_spill_count: 0
    .symbol:         _ZN7rocprim17ROCPRIM_400000_NS6detail17trampoline_kernelINS0_14default_configENS1_35radix_sort_onesweep_config_selectorIalEEZZNS1_29radix_sort_onesweep_iterationIS3_Lb0EPaS7_N6thrust23THRUST_200600_302600_NS10device_ptrIlEESB_jNS0_19identity_decomposerENS1_16block_id_wrapperIjLb0EEEEE10hipError_tT1_PNSt15iterator_traitsISG_E10value_typeET2_T3_PNSH_ISM_E10value_typeET4_T5_PSR_SS_PNS1_23onesweep_lookback_stateEbbT6_jjT7_P12ihipStream_tbENKUlT_T0_SG_SL_E_clIS7_S7_SB_PlEEDaSZ_S10_SG_SL_EUlSZ_E_NS1_11comp_targetILNS1_3genE2ELNS1_11target_archE906ELNS1_3gpuE6ELNS1_3repE0EEENS1_47radix_sort_onesweep_sort_config_static_selectorELNS0_4arch9wavefront6targetE1EEEvSG_.kd
    .uniform_work_group_size: 1
    .uses_dynamic_stack: false
    .vgpr_count:     0
    .vgpr_spill_count: 0
    .wavefront_size: 64
  - .agpr_count:     0
    .args:
      - .offset:         0
        .size:           88
        .value_kind:     by_value
      - .offset:         88
        .size:           4
        .value_kind:     hidden_block_count_x
      - .offset:         92
        .size:           4
        .value_kind:     hidden_block_count_y
      - .offset:         96
        .size:           4
        .value_kind:     hidden_block_count_z
      - .offset:         100
        .size:           2
        .value_kind:     hidden_group_size_x
      - .offset:         102
        .size:           2
        .value_kind:     hidden_group_size_y
      - .offset:         104
        .size:           2
        .value_kind:     hidden_group_size_z
      - .offset:         106
        .size:           2
        .value_kind:     hidden_remainder_x
      - .offset:         108
        .size:           2
        .value_kind:     hidden_remainder_y
      - .offset:         110
        .size:           2
        .value_kind:     hidden_remainder_z
      - .offset:         128
        .size:           8
        .value_kind:     hidden_global_offset_x
      - .offset:         136
        .size:           8
        .value_kind:     hidden_global_offset_y
      - .offset:         144
        .size:           8
        .value_kind:     hidden_global_offset_z
      - .offset:         152
        .size:           2
        .value_kind:     hidden_grid_dims
    .group_segment_fixed_size: 20552
    .kernarg_segment_align: 8
    .kernarg_segment_size: 344
    .language:       OpenCL C
    .language_version:
      - 2
      - 0
    .max_flat_workgroup_size: 1024
    .name:           _ZN7rocprim17ROCPRIM_400000_NS6detail17trampoline_kernelINS0_14default_configENS1_35radix_sort_onesweep_config_selectorIalEEZZNS1_29radix_sort_onesweep_iterationIS3_Lb0EPaS7_N6thrust23THRUST_200600_302600_NS10device_ptrIlEESB_jNS0_19identity_decomposerENS1_16block_id_wrapperIjLb0EEEEE10hipError_tT1_PNSt15iterator_traitsISG_E10value_typeET2_T3_PNSH_ISM_E10value_typeET4_T5_PSR_SS_PNS1_23onesweep_lookback_stateEbbT6_jjT7_P12ihipStream_tbENKUlT_T0_SG_SL_E_clIS7_S7_SB_PlEEDaSZ_S10_SG_SL_EUlSZ_E_NS1_11comp_targetILNS1_3genE4ELNS1_11target_archE910ELNS1_3gpuE8ELNS1_3repE0EEENS1_47radix_sort_onesweep_sort_config_static_selectorELNS0_4arch9wavefront6targetE1EEEvSG_
    .private_segment_fixed_size: 0
    .sgpr_count:     57
    .sgpr_spill_count: 0
    .symbol:         _ZN7rocprim17ROCPRIM_400000_NS6detail17trampoline_kernelINS0_14default_configENS1_35radix_sort_onesweep_config_selectorIalEEZZNS1_29radix_sort_onesweep_iterationIS3_Lb0EPaS7_N6thrust23THRUST_200600_302600_NS10device_ptrIlEESB_jNS0_19identity_decomposerENS1_16block_id_wrapperIjLb0EEEEE10hipError_tT1_PNSt15iterator_traitsISG_E10value_typeET2_T3_PNSH_ISM_E10value_typeET4_T5_PSR_SS_PNS1_23onesweep_lookback_stateEbbT6_jjT7_P12ihipStream_tbENKUlT_T0_SG_SL_E_clIS7_S7_SB_PlEEDaSZ_S10_SG_SL_EUlSZ_E_NS1_11comp_targetILNS1_3genE4ELNS1_11target_archE910ELNS1_3gpuE8ELNS1_3repE0EEENS1_47radix_sort_onesweep_sort_config_static_selectorELNS0_4arch9wavefront6targetE1EEEvSG_.kd
    .uniform_work_group_size: 1
    .uses_dynamic_stack: false
    .vgpr_count:     55
    .vgpr_spill_count: 0
    .wavefront_size: 64
  - .agpr_count:     0
    .args:
      - .offset:         0
        .size:           88
        .value_kind:     by_value
    .group_segment_fixed_size: 0
    .kernarg_segment_align: 8
    .kernarg_segment_size: 88
    .language:       OpenCL C
    .language_version:
      - 2
      - 0
    .max_flat_workgroup_size: 1024
    .name:           _ZN7rocprim17ROCPRIM_400000_NS6detail17trampoline_kernelINS0_14default_configENS1_35radix_sort_onesweep_config_selectorIalEEZZNS1_29radix_sort_onesweep_iterationIS3_Lb0EPaS7_N6thrust23THRUST_200600_302600_NS10device_ptrIlEESB_jNS0_19identity_decomposerENS1_16block_id_wrapperIjLb0EEEEE10hipError_tT1_PNSt15iterator_traitsISG_E10value_typeET2_T3_PNSH_ISM_E10value_typeET4_T5_PSR_SS_PNS1_23onesweep_lookback_stateEbbT6_jjT7_P12ihipStream_tbENKUlT_T0_SG_SL_E_clIS7_S7_SB_PlEEDaSZ_S10_SG_SL_EUlSZ_E_NS1_11comp_targetILNS1_3genE3ELNS1_11target_archE908ELNS1_3gpuE7ELNS1_3repE0EEENS1_47radix_sort_onesweep_sort_config_static_selectorELNS0_4arch9wavefront6targetE1EEEvSG_
    .private_segment_fixed_size: 0
    .sgpr_count:     4
    .sgpr_spill_count: 0
    .symbol:         _ZN7rocprim17ROCPRIM_400000_NS6detail17trampoline_kernelINS0_14default_configENS1_35radix_sort_onesweep_config_selectorIalEEZZNS1_29radix_sort_onesweep_iterationIS3_Lb0EPaS7_N6thrust23THRUST_200600_302600_NS10device_ptrIlEESB_jNS0_19identity_decomposerENS1_16block_id_wrapperIjLb0EEEEE10hipError_tT1_PNSt15iterator_traitsISG_E10value_typeET2_T3_PNSH_ISM_E10value_typeET4_T5_PSR_SS_PNS1_23onesweep_lookback_stateEbbT6_jjT7_P12ihipStream_tbENKUlT_T0_SG_SL_E_clIS7_S7_SB_PlEEDaSZ_S10_SG_SL_EUlSZ_E_NS1_11comp_targetILNS1_3genE3ELNS1_11target_archE908ELNS1_3gpuE7ELNS1_3repE0EEENS1_47radix_sort_onesweep_sort_config_static_selectorELNS0_4arch9wavefront6targetE1EEEvSG_.kd
    .uniform_work_group_size: 1
    .uses_dynamic_stack: false
    .vgpr_count:     0
    .vgpr_spill_count: 0
    .wavefront_size: 64
  - .agpr_count:     0
    .args:
      - .offset:         0
        .size:           88
        .value_kind:     by_value
    .group_segment_fixed_size: 0
    .kernarg_segment_align: 8
    .kernarg_segment_size: 88
    .language:       OpenCL C
    .language_version:
      - 2
      - 0
    .max_flat_workgroup_size: 1024
    .name:           _ZN7rocprim17ROCPRIM_400000_NS6detail17trampoline_kernelINS0_14default_configENS1_35radix_sort_onesweep_config_selectorIalEEZZNS1_29radix_sort_onesweep_iterationIS3_Lb0EPaS7_N6thrust23THRUST_200600_302600_NS10device_ptrIlEESB_jNS0_19identity_decomposerENS1_16block_id_wrapperIjLb0EEEEE10hipError_tT1_PNSt15iterator_traitsISG_E10value_typeET2_T3_PNSH_ISM_E10value_typeET4_T5_PSR_SS_PNS1_23onesweep_lookback_stateEbbT6_jjT7_P12ihipStream_tbENKUlT_T0_SG_SL_E_clIS7_S7_SB_PlEEDaSZ_S10_SG_SL_EUlSZ_E_NS1_11comp_targetILNS1_3genE10ELNS1_11target_archE1201ELNS1_3gpuE5ELNS1_3repE0EEENS1_47radix_sort_onesweep_sort_config_static_selectorELNS0_4arch9wavefront6targetE1EEEvSG_
    .private_segment_fixed_size: 0
    .sgpr_count:     4
    .sgpr_spill_count: 0
    .symbol:         _ZN7rocprim17ROCPRIM_400000_NS6detail17trampoline_kernelINS0_14default_configENS1_35radix_sort_onesweep_config_selectorIalEEZZNS1_29radix_sort_onesweep_iterationIS3_Lb0EPaS7_N6thrust23THRUST_200600_302600_NS10device_ptrIlEESB_jNS0_19identity_decomposerENS1_16block_id_wrapperIjLb0EEEEE10hipError_tT1_PNSt15iterator_traitsISG_E10value_typeET2_T3_PNSH_ISM_E10value_typeET4_T5_PSR_SS_PNS1_23onesweep_lookback_stateEbbT6_jjT7_P12ihipStream_tbENKUlT_T0_SG_SL_E_clIS7_S7_SB_PlEEDaSZ_S10_SG_SL_EUlSZ_E_NS1_11comp_targetILNS1_3genE10ELNS1_11target_archE1201ELNS1_3gpuE5ELNS1_3repE0EEENS1_47radix_sort_onesweep_sort_config_static_selectorELNS0_4arch9wavefront6targetE1EEEvSG_.kd
    .uniform_work_group_size: 1
    .uses_dynamic_stack: false
    .vgpr_count:     0
    .vgpr_spill_count: 0
    .wavefront_size: 64
  - .agpr_count:     0
    .args:
      - .offset:         0
        .size:           88
        .value_kind:     by_value
    .group_segment_fixed_size: 0
    .kernarg_segment_align: 8
    .kernarg_segment_size: 88
    .language:       OpenCL C
    .language_version:
      - 2
      - 0
    .max_flat_workgroup_size: 1024
    .name:           _ZN7rocprim17ROCPRIM_400000_NS6detail17trampoline_kernelINS0_14default_configENS1_35radix_sort_onesweep_config_selectorIalEEZZNS1_29radix_sort_onesweep_iterationIS3_Lb0EPaS7_N6thrust23THRUST_200600_302600_NS10device_ptrIlEESB_jNS0_19identity_decomposerENS1_16block_id_wrapperIjLb0EEEEE10hipError_tT1_PNSt15iterator_traitsISG_E10value_typeET2_T3_PNSH_ISM_E10value_typeET4_T5_PSR_SS_PNS1_23onesweep_lookback_stateEbbT6_jjT7_P12ihipStream_tbENKUlT_T0_SG_SL_E_clIS7_S7_SB_PlEEDaSZ_S10_SG_SL_EUlSZ_E_NS1_11comp_targetILNS1_3genE9ELNS1_11target_archE1100ELNS1_3gpuE3ELNS1_3repE0EEENS1_47radix_sort_onesweep_sort_config_static_selectorELNS0_4arch9wavefront6targetE1EEEvSG_
    .private_segment_fixed_size: 0
    .sgpr_count:     4
    .sgpr_spill_count: 0
    .symbol:         _ZN7rocprim17ROCPRIM_400000_NS6detail17trampoline_kernelINS0_14default_configENS1_35radix_sort_onesweep_config_selectorIalEEZZNS1_29radix_sort_onesweep_iterationIS3_Lb0EPaS7_N6thrust23THRUST_200600_302600_NS10device_ptrIlEESB_jNS0_19identity_decomposerENS1_16block_id_wrapperIjLb0EEEEE10hipError_tT1_PNSt15iterator_traitsISG_E10value_typeET2_T3_PNSH_ISM_E10value_typeET4_T5_PSR_SS_PNS1_23onesweep_lookback_stateEbbT6_jjT7_P12ihipStream_tbENKUlT_T0_SG_SL_E_clIS7_S7_SB_PlEEDaSZ_S10_SG_SL_EUlSZ_E_NS1_11comp_targetILNS1_3genE9ELNS1_11target_archE1100ELNS1_3gpuE3ELNS1_3repE0EEENS1_47radix_sort_onesweep_sort_config_static_selectorELNS0_4arch9wavefront6targetE1EEEvSG_.kd
    .uniform_work_group_size: 1
    .uses_dynamic_stack: false
    .vgpr_count:     0
    .vgpr_spill_count: 0
    .wavefront_size: 64
  - .agpr_count:     0
    .args:
      - .offset:         0
        .size:           88
        .value_kind:     by_value
    .group_segment_fixed_size: 0
    .kernarg_segment_align: 8
    .kernarg_segment_size: 88
    .language:       OpenCL C
    .language_version:
      - 2
      - 0
    .max_flat_workgroup_size: 1024
    .name:           _ZN7rocprim17ROCPRIM_400000_NS6detail17trampoline_kernelINS0_14default_configENS1_35radix_sort_onesweep_config_selectorIalEEZZNS1_29radix_sort_onesweep_iterationIS3_Lb0EPaS7_N6thrust23THRUST_200600_302600_NS10device_ptrIlEESB_jNS0_19identity_decomposerENS1_16block_id_wrapperIjLb0EEEEE10hipError_tT1_PNSt15iterator_traitsISG_E10value_typeET2_T3_PNSH_ISM_E10value_typeET4_T5_PSR_SS_PNS1_23onesweep_lookback_stateEbbT6_jjT7_P12ihipStream_tbENKUlT_T0_SG_SL_E_clIS7_S7_SB_PlEEDaSZ_S10_SG_SL_EUlSZ_E_NS1_11comp_targetILNS1_3genE8ELNS1_11target_archE1030ELNS1_3gpuE2ELNS1_3repE0EEENS1_47radix_sort_onesweep_sort_config_static_selectorELNS0_4arch9wavefront6targetE1EEEvSG_
    .private_segment_fixed_size: 0
    .sgpr_count:     4
    .sgpr_spill_count: 0
    .symbol:         _ZN7rocprim17ROCPRIM_400000_NS6detail17trampoline_kernelINS0_14default_configENS1_35radix_sort_onesweep_config_selectorIalEEZZNS1_29radix_sort_onesweep_iterationIS3_Lb0EPaS7_N6thrust23THRUST_200600_302600_NS10device_ptrIlEESB_jNS0_19identity_decomposerENS1_16block_id_wrapperIjLb0EEEEE10hipError_tT1_PNSt15iterator_traitsISG_E10value_typeET2_T3_PNSH_ISM_E10value_typeET4_T5_PSR_SS_PNS1_23onesweep_lookback_stateEbbT6_jjT7_P12ihipStream_tbENKUlT_T0_SG_SL_E_clIS7_S7_SB_PlEEDaSZ_S10_SG_SL_EUlSZ_E_NS1_11comp_targetILNS1_3genE8ELNS1_11target_archE1030ELNS1_3gpuE2ELNS1_3repE0EEENS1_47radix_sort_onesweep_sort_config_static_selectorELNS0_4arch9wavefront6targetE1EEEvSG_.kd
    .uniform_work_group_size: 1
    .uses_dynamic_stack: false
    .vgpr_count:     0
    .vgpr_spill_count: 0
    .wavefront_size: 64
  - .agpr_count:     0
    .args:
      - .offset:         0
        .size:           88
        .value_kind:     by_value
    .group_segment_fixed_size: 0
    .kernarg_segment_align: 8
    .kernarg_segment_size: 88
    .language:       OpenCL C
    .language_version:
      - 2
      - 0
    .max_flat_workgroup_size: 1024
    .name:           _ZN7rocprim17ROCPRIM_400000_NS6detail17trampoline_kernelINS0_14default_configENS1_35radix_sort_onesweep_config_selectorIalEEZZNS1_29radix_sort_onesweep_iterationIS3_Lb0EPaS7_N6thrust23THRUST_200600_302600_NS10device_ptrIlEESB_jNS0_19identity_decomposerENS1_16block_id_wrapperIjLb0EEEEE10hipError_tT1_PNSt15iterator_traitsISG_E10value_typeET2_T3_PNSH_ISM_E10value_typeET4_T5_PSR_SS_PNS1_23onesweep_lookback_stateEbbT6_jjT7_P12ihipStream_tbENKUlT_T0_SG_SL_E_clIS7_S7_PlSB_EEDaSZ_S10_SG_SL_EUlSZ_E_NS1_11comp_targetILNS1_3genE0ELNS1_11target_archE4294967295ELNS1_3gpuE0ELNS1_3repE0EEENS1_47radix_sort_onesweep_sort_config_static_selectorELNS0_4arch9wavefront6targetE1EEEvSG_
    .private_segment_fixed_size: 0
    .sgpr_count:     4
    .sgpr_spill_count: 0
    .symbol:         _ZN7rocprim17ROCPRIM_400000_NS6detail17trampoline_kernelINS0_14default_configENS1_35radix_sort_onesweep_config_selectorIalEEZZNS1_29radix_sort_onesweep_iterationIS3_Lb0EPaS7_N6thrust23THRUST_200600_302600_NS10device_ptrIlEESB_jNS0_19identity_decomposerENS1_16block_id_wrapperIjLb0EEEEE10hipError_tT1_PNSt15iterator_traitsISG_E10value_typeET2_T3_PNSH_ISM_E10value_typeET4_T5_PSR_SS_PNS1_23onesweep_lookback_stateEbbT6_jjT7_P12ihipStream_tbENKUlT_T0_SG_SL_E_clIS7_S7_PlSB_EEDaSZ_S10_SG_SL_EUlSZ_E_NS1_11comp_targetILNS1_3genE0ELNS1_11target_archE4294967295ELNS1_3gpuE0ELNS1_3repE0EEENS1_47radix_sort_onesweep_sort_config_static_selectorELNS0_4arch9wavefront6targetE1EEEvSG_.kd
    .uniform_work_group_size: 1
    .uses_dynamic_stack: false
    .vgpr_count:     0
    .vgpr_spill_count: 0
    .wavefront_size: 64
  - .agpr_count:     0
    .args:
      - .offset:         0
        .size:           88
        .value_kind:     by_value
    .group_segment_fixed_size: 0
    .kernarg_segment_align: 8
    .kernarg_segment_size: 88
    .language:       OpenCL C
    .language_version:
      - 2
      - 0
    .max_flat_workgroup_size: 1024
    .name:           _ZN7rocprim17ROCPRIM_400000_NS6detail17trampoline_kernelINS0_14default_configENS1_35radix_sort_onesweep_config_selectorIalEEZZNS1_29radix_sort_onesweep_iterationIS3_Lb0EPaS7_N6thrust23THRUST_200600_302600_NS10device_ptrIlEESB_jNS0_19identity_decomposerENS1_16block_id_wrapperIjLb0EEEEE10hipError_tT1_PNSt15iterator_traitsISG_E10value_typeET2_T3_PNSH_ISM_E10value_typeET4_T5_PSR_SS_PNS1_23onesweep_lookback_stateEbbT6_jjT7_P12ihipStream_tbENKUlT_T0_SG_SL_E_clIS7_S7_PlSB_EEDaSZ_S10_SG_SL_EUlSZ_E_NS1_11comp_targetILNS1_3genE6ELNS1_11target_archE950ELNS1_3gpuE13ELNS1_3repE0EEENS1_47radix_sort_onesweep_sort_config_static_selectorELNS0_4arch9wavefront6targetE1EEEvSG_
    .private_segment_fixed_size: 0
    .sgpr_count:     4
    .sgpr_spill_count: 0
    .symbol:         _ZN7rocprim17ROCPRIM_400000_NS6detail17trampoline_kernelINS0_14default_configENS1_35radix_sort_onesweep_config_selectorIalEEZZNS1_29radix_sort_onesweep_iterationIS3_Lb0EPaS7_N6thrust23THRUST_200600_302600_NS10device_ptrIlEESB_jNS0_19identity_decomposerENS1_16block_id_wrapperIjLb0EEEEE10hipError_tT1_PNSt15iterator_traitsISG_E10value_typeET2_T3_PNSH_ISM_E10value_typeET4_T5_PSR_SS_PNS1_23onesweep_lookback_stateEbbT6_jjT7_P12ihipStream_tbENKUlT_T0_SG_SL_E_clIS7_S7_PlSB_EEDaSZ_S10_SG_SL_EUlSZ_E_NS1_11comp_targetILNS1_3genE6ELNS1_11target_archE950ELNS1_3gpuE13ELNS1_3repE0EEENS1_47radix_sort_onesweep_sort_config_static_selectorELNS0_4arch9wavefront6targetE1EEEvSG_.kd
    .uniform_work_group_size: 1
    .uses_dynamic_stack: false
    .vgpr_count:     0
    .vgpr_spill_count: 0
    .wavefront_size: 64
  - .agpr_count:     0
    .args:
      - .offset:         0
        .size:           88
        .value_kind:     by_value
    .group_segment_fixed_size: 0
    .kernarg_segment_align: 8
    .kernarg_segment_size: 88
    .language:       OpenCL C
    .language_version:
      - 2
      - 0
    .max_flat_workgroup_size: 1024
    .name:           _ZN7rocprim17ROCPRIM_400000_NS6detail17trampoline_kernelINS0_14default_configENS1_35radix_sort_onesweep_config_selectorIalEEZZNS1_29radix_sort_onesweep_iterationIS3_Lb0EPaS7_N6thrust23THRUST_200600_302600_NS10device_ptrIlEESB_jNS0_19identity_decomposerENS1_16block_id_wrapperIjLb0EEEEE10hipError_tT1_PNSt15iterator_traitsISG_E10value_typeET2_T3_PNSH_ISM_E10value_typeET4_T5_PSR_SS_PNS1_23onesweep_lookback_stateEbbT6_jjT7_P12ihipStream_tbENKUlT_T0_SG_SL_E_clIS7_S7_PlSB_EEDaSZ_S10_SG_SL_EUlSZ_E_NS1_11comp_targetILNS1_3genE5ELNS1_11target_archE942ELNS1_3gpuE9ELNS1_3repE0EEENS1_47radix_sort_onesweep_sort_config_static_selectorELNS0_4arch9wavefront6targetE1EEEvSG_
    .private_segment_fixed_size: 0
    .sgpr_count:     4
    .sgpr_spill_count: 0
    .symbol:         _ZN7rocprim17ROCPRIM_400000_NS6detail17trampoline_kernelINS0_14default_configENS1_35radix_sort_onesweep_config_selectorIalEEZZNS1_29radix_sort_onesweep_iterationIS3_Lb0EPaS7_N6thrust23THRUST_200600_302600_NS10device_ptrIlEESB_jNS0_19identity_decomposerENS1_16block_id_wrapperIjLb0EEEEE10hipError_tT1_PNSt15iterator_traitsISG_E10value_typeET2_T3_PNSH_ISM_E10value_typeET4_T5_PSR_SS_PNS1_23onesweep_lookback_stateEbbT6_jjT7_P12ihipStream_tbENKUlT_T0_SG_SL_E_clIS7_S7_PlSB_EEDaSZ_S10_SG_SL_EUlSZ_E_NS1_11comp_targetILNS1_3genE5ELNS1_11target_archE942ELNS1_3gpuE9ELNS1_3repE0EEENS1_47radix_sort_onesweep_sort_config_static_selectorELNS0_4arch9wavefront6targetE1EEEvSG_.kd
    .uniform_work_group_size: 1
    .uses_dynamic_stack: false
    .vgpr_count:     0
    .vgpr_spill_count: 0
    .wavefront_size: 64
  - .agpr_count:     0
    .args:
      - .offset:         0
        .size:           88
        .value_kind:     by_value
    .group_segment_fixed_size: 0
    .kernarg_segment_align: 8
    .kernarg_segment_size: 88
    .language:       OpenCL C
    .language_version:
      - 2
      - 0
    .max_flat_workgroup_size: 512
    .name:           _ZN7rocprim17ROCPRIM_400000_NS6detail17trampoline_kernelINS0_14default_configENS1_35radix_sort_onesweep_config_selectorIalEEZZNS1_29radix_sort_onesweep_iterationIS3_Lb0EPaS7_N6thrust23THRUST_200600_302600_NS10device_ptrIlEESB_jNS0_19identity_decomposerENS1_16block_id_wrapperIjLb0EEEEE10hipError_tT1_PNSt15iterator_traitsISG_E10value_typeET2_T3_PNSH_ISM_E10value_typeET4_T5_PSR_SS_PNS1_23onesweep_lookback_stateEbbT6_jjT7_P12ihipStream_tbENKUlT_T0_SG_SL_E_clIS7_S7_PlSB_EEDaSZ_S10_SG_SL_EUlSZ_E_NS1_11comp_targetILNS1_3genE2ELNS1_11target_archE906ELNS1_3gpuE6ELNS1_3repE0EEENS1_47radix_sort_onesweep_sort_config_static_selectorELNS0_4arch9wavefront6targetE1EEEvSG_
    .private_segment_fixed_size: 0
    .sgpr_count:     4
    .sgpr_spill_count: 0
    .symbol:         _ZN7rocprim17ROCPRIM_400000_NS6detail17trampoline_kernelINS0_14default_configENS1_35radix_sort_onesweep_config_selectorIalEEZZNS1_29radix_sort_onesweep_iterationIS3_Lb0EPaS7_N6thrust23THRUST_200600_302600_NS10device_ptrIlEESB_jNS0_19identity_decomposerENS1_16block_id_wrapperIjLb0EEEEE10hipError_tT1_PNSt15iterator_traitsISG_E10value_typeET2_T3_PNSH_ISM_E10value_typeET4_T5_PSR_SS_PNS1_23onesweep_lookback_stateEbbT6_jjT7_P12ihipStream_tbENKUlT_T0_SG_SL_E_clIS7_S7_PlSB_EEDaSZ_S10_SG_SL_EUlSZ_E_NS1_11comp_targetILNS1_3genE2ELNS1_11target_archE906ELNS1_3gpuE6ELNS1_3repE0EEENS1_47radix_sort_onesweep_sort_config_static_selectorELNS0_4arch9wavefront6targetE1EEEvSG_.kd
    .uniform_work_group_size: 1
    .uses_dynamic_stack: false
    .vgpr_count:     0
    .vgpr_spill_count: 0
    .wavefront_size: 64
  - .agpr_count:     0
    .args:
      - .offset:         0
        .size:           88
        .value_kind:     by_value
      - .offset:         88
        .size:           4
        .value_kind:     hidden_block_count_x
      - .offset:         92
        .size:           4
        .value_kind:     hidden_block_count_y
      - .offset:         96
        .size:           4
        .value_kind:     hidden_block_count_z
      - .offset:         100
        .size:           2
        .value_kind:     hidden_group_size_x
      - .offset:         102
        .size:           2
        .value_kind:     hidden_group_size_y
      - .offset:         104
        .size:           2
        .value_kind:     hidden_group_size_z
      - .offset:         106
        .size:           2
        .value_kind:     hidden_remainder_x
      - .offset:         108
        .size:           2
        .value_kind:     hidden_remainder_y
      - .offset:         110
        .size:           2
        .value_kind:     hidden_remainder_z
      - .offset:         128
        .size:           8
        .value_kind:     hidden_global_offset_x
      - .offset:         136
        .size:           8
        .value_kind:     hidden_global_offset_y
      - .offset:         144
        .size:           8
        .value_kind:     hidden_global_offset_z
      - .offset:         152
        .size:           2
        .value_kind:     hidden_grid_dims
    .group_segment_fixed_size: 20552
    .kernarg_segment_align: 8
    .kernarg_segment_size: 344
    .language:       OpenCL C
    .language_version:
      - 2
      - 0
    .max_flat_workgroup_size: 1024
    .name:           _ZN7rocprim17ROCPRIM_400000_NS6detail17trampoline_kernelINS0_14default_configENS1_35radix_sort_onesweep_config_selectorIalEEZZNS1_29radix_sort_onesweep_iterationIS3_Lb0EPaS7_N6thrust23THRUST_200600_302600_NS10device_ptrIlEESB_jNS0_19identity_decomposerENS1_16block_id_wrapperIjLb0EEEEE10hipError_tT1_PNSt15iterator_traitsISG_E10value_typeET2_T3_PNSH_ISM_E10value_typeET4_T5_PSR_SS_PNS1_23onesweep_lookback_stateEbbT6_jjT7_P12ihipStream_tbENKUlT_T0_SG_SL_E_clIS7_S7_PlSB_EEDaSZ_S10_SG_SL_EUlSZ_E_NS1_11comp_targetILNS1_3genE4ELNS1_11target_archE910ELNS1_3gpuE8ELNS1_3repE0EEENS1_47radix_sort_onesweep_sort_config_static_selectorELNS0_4arch9wavefront6targetE1EEEvSG_
    .private_segment_fixed_size: 0
    .sgpr_count:     57
    .sgpr_spill_count: 0
    .symbol:         _ZN7rocprim17ROCPRIM_400000_NS6detail17trampoline_kernelINS0_14default_configENS1_35radix_sort_onesweep_config_selectorIalEEZZNS1_29radix_sort_onesweep_iterationIS3_Lb0EPaS7_N6thrust23THRUST_200600_302600_NS10device_ptrIlEESB_jNS0_19identity_decomposerENS1_16block_id_wrapperIjLb0EEEEE10hipError_tT1_PNSt15iterator_traitsISG_E10value_typeET2_T3_PNSH_ISM_E10value_typeET4_T5_PSR_SS_PNS1_23onesweep_lookback_stateEbbT6_jjT7_P12ihipStream_tbENKUlT_T0_SG_SL_E_clIS7_S7_PlSB_EEDaSZ_S10_SG_SL_EUlSZ_E_NS1_11comp_targetILNS1_3genE4ELNS1_11target_archE910ELNS1_3gpuE8ELNS1_3repE0EEENS1_47radix_sort_onesweep_sort_config_static_selectorELNS0_4arch9wavefront6targetE1EEEvSG_.kd
    .uniform_work_group_size: 1
    .uses_dynamic_stack: false
    .vgpr_count:     55
    .vgpr_spill_count: 0
    .wavefront_size: 64
  - .agpr_count:     0
    .args:
      - .offset:         0
        .size:           88
        .value_kind:     by_value
    .group_segment_fixed_size: 0
    .kernarg_segment_align: 8
    .kernarg_segment_size: 88
    .language:       OpenCL C
    .language_version:
      - 2
      - 0
    .max_flat_workgroup_size: 1024
    .name:           _ZN7rocprim17ROCPRIM_400000_NS6detail17trampoline_kernelINS0_14default_configENS1_35radix_sort_onesweep_config_selectorIalEEZZNS1_29radix_sort_onesweep_iterationIS3_Lb0EPaS7_N6thrust23THRUST_200600_302600_NS10device_ptrIlEESB_jNS0_19identity_decomposerENS1_16block_id_wrapperIjLb0EEEEE10hipError_tT1_PNSt15iterator_traitsISG_E10value_typeET2_T3_PNSH_ISM_E10value_typeET4_T5_PSR_SS_PNS1_23onesweep_lookback_stateEbbT6_jjT7_P12ihipStream_tbENKUlT_T0_SG_SL_E_clIS7_S7_PlSB_EEDaSZ_S10_SG_SL_EUlSZ_E_NS1_11comp_targetILNS1_3genE3ELNS1_11target_archE908ELNS1_3gpuE7ELNS1_3repE0EEENS1_47radix_sort_onesweep_sort_config_static_selectorELNS0_4arch9wavefront6targetE1EEEvSG_
    .private_segment_fixed_size: 0
    .sgpr_count:     4
    .sgpr_spill_count: 0
    .symbol:         _ZN7rocprim17ROCPRIM_400000_NS6detail17trampoline_kernelINS0_14default_configENS1_35radix_sort_onesweep_config_selectorIalEEZZNS1_29radix_sort_onesweep_iterationIS3_Lb0EPaS7_N6thrust23THRUST_200600_302600_NS10device_ptrIlEESB_jNS0_19identity_decomposerENS1_16block_id_wrapperIjLb0EEEEE10hipError_tT1_PNSt15iterator_traitsISG_E10value_typeET2_T3_PNSH_ISM_E10value_typeET4_T5_PSR_SS_PNS1_23onesweep_lookback_stateEbbT6_jjT7_P12ihipStream_tbENKUlT_T0_SG_SL_E_clIS7_S7_PlSB_EEDaSZ_S10_SG_SL_EUlSZ_E_NS1_11comp_targetILNS1_3genE3ELNS1_11target_archE908ELNS1_3gpuE7ELNS1_3repE0EEENS1_47radix_sort_onesweep_sort_config_static_selectorELNS0_4arch9wavefront6targetE1EEEvSG_.kd
    .uniform_work_group_size: 1
    .uses_dynamic_stack: false
    .vgpr_count:     0
    .vgpr_spill_count: 0
    .wavefront_size: 64
  - .agpr_count:     0
    .args:
      - .offset:         0
        .size:           88
        .value_kind:     by_value
    .group_segment_fixed_size: 0
    .kernarg_segment_align: 8
    .kernarg_segment_size: 88
    .language:       OpenCL C
    .language_version:
      - 2
      - 0
    .max_flat_workgroup_size: 1024
    .name:           _ZN7rocprim17ROCPRIM_400000_NS6detail17trampoline_kernelINS0_14default_configENS1_35radix_sort_onesweep_config_selectorIalEEZZNS1_29radix_sort_onesweep_iterationIS3_Lb0EPaS7_N6thrust23THRUST_200600_302600_NS10device_ptrIlEESB_jNS0_19identity_decomposerENS1_16block_id_wrapperIjLb0EEEEE10hipError_tT1_PNSt15iterator_traitsISG_E10value_typeET2_T3_PNSH_ISM_E10value_typeET4_T5_PSR_SS_PNS1_23onesweep_lookback_stateEbbT6_jjT7_P12ihipStream_tbENKUlT_T0_SG_SL_E_clIS7_S7_PlSB_EEDaSZ_S10_SG_SL_EUlSZ_E_NS1_11comp_targetILNS1_3genE10ELNS1_11target_archE1201ELNS1_3gpuE5ELNS1_3repE0EEENS1_47radix_sort_onesweep_sort_config_static_selectorELNS0_4arch9wavefront6targetE1EEEvSG_
    .private_segment_fixed_size: 0
    .sgpr_count:     4
    .sgpr_spill_count: 0
    .symbol:         _ZN7rocprim17ROCPRIM_400000_NS6detail17trampoline_kernelINS0_14default_configENS1_35radix_sort_onesweep_config_selectorIalEEZZNS1_29radix_sort_onesweep_iterationIS3_Lb0EPaS7_N6thrust23THRUST_200600_302600_NS10device_ptrIlEESB_jNS0_19identity_decomposerENS1_16block_id_wrapperIjLb0EEEEE10hipError_tT1_PNSt15iterator_traitsISG_E10value_typeET2_T3_PNSH_ISM_E10value_typeET4_T5_PSR_SS_PNS1_23onesweep_lookback_stateEbbT6_jjT7_P12ihipStream_tbENKUlT_T0_SG_SL_E_clIS7_S7_PlSB_EEDaSZ_S10_SG_SL_EUlSZ_E_NS1_11comp_targetILNS1_3genE10ELNS1_11target_archE1201ELNS1_3gpuE5ELNS1_3repE0EEENS1_47radix_sort_onesweep_sort_config_static_selectorELNS0_4arch9wavefront6targetE1EEEvSG_.kd
    .uniform_work_group_size: 1
    .uses_dynamic_stack: false
    .vgpr_count:     0
    .vgpr_spill_count: 0
    .wavefront_size: 64
  - .agpr_count:     0
    .args:
      - .offset:         0
        .size:           88
        .value_kind:     by_value
    .group_segment_fixed_size: 0
    .kernarg_segment_align: 8
    .kernarg_segment_size: 88
    .language:       OpenCL C
    .language_version:
      - 2
      - 0
    .max_flat_workgroup_size: 1024
    .name:           _ZN7rocprim17ROCPRIM_400000_NS6detail17trampoline_kernelINS0_14default_configENS1_35radix_sort_onesweep_config_selectorIalEEZZNS1_29radix_sort_onesweep_iterationIS3_Lb0EPaS7_N6thrust23THRUST_200600_302600_NS10device_ptrIlEESB_jNS0_19identity_decomposerENS1_16block_id_wrapperIjLb0EEEEE10hipError_tT1_PNSt15iterator_traitsISG_E10value_typeET2_T3_PNSH_ISM_E10value_typeET4_T5_PSR_SS_PNS1_23onesweep_lookback_stateEbbT6_jjT7_P12ihipStream_tbENKUlT_T0_SG_SL_E_clIS7_S7_PlSB_EEDaSZ_S10_SG_SL_EUlSZ_E_NS1_11comp_targetILNS1_3genE9ELNS1_11target_archE1100ELNS1_3gpuE3ELNS1_3repE0EEENS1_47radix_sort_onesweep_sort_config_static_selectorELNS0_4arch9wavefront6targetE1EEEvSG_
    .private_segment_fixed_size: 0
    .sgpr_count:     4
    .sgpr_spill_count: 0
    .symbol:         _ZN7rocprim17ROCPRIM_400000_NS6detail17trampoline_kernelINS0_14default_configENS1_35radix_sort_onesweep_config_selectorIalEEZZNS1_29radix_sort_onesweep_iterationIS3_Lb0EPaS7_N6thrust23THRUST_200600_302600_NS10device_ptrIlEESB_jNS0_19identity_decomposerENS1_16block_id_wrapperIjLb0EEEEE10hipError_tT1_PNSt15iterator_traitsISG_E10value_typeET2_T3_PNSH_ISM_E10value_typeET4_T5_PSR_SS_PNS1_23onesweep_lookback_stateEbbT6_jjT7_P12ihipStream_tbENKUlT_T0_SG_SL_E_clIS7_S7_PlSB_EEDaSZ_S10_SG_SL_EUlSZ_E_NS1_11comp_targetILNS1_3genE9ELNS1_11target_archE1100ELNS1_3gpuE3ELNS1_3repE0EEENS1_47radix_sort_onesweep_sort_config_static_selectorELNS0_4arch9wavefront6targetE1EEEvSG_.kd
    .uniform_work_group_size: 1
    .uses_dynamic_stack: false
    .vgpr_count:     0
    .vgpr_spill_count: 0
    .wavefront_size: 64
  - .agpr_count:     0
    .args:
      - .offset:         0
        .size:           88
        .value_kind:     by_value
    .group_segment_fixed_size: 0
    .kernarg_segment_align: 8
    .kernarg_segment_size: 88
    .language:       OpenCL C
    .language_version:
      - 2
      - 0
    .max_flat_workgroup_size: 1024
    .name:           _ZN7rocprim17ROCPRIM_400000_NS6detail17trampoline_kernelINS0_14default_configENS1_35radix_sort_onesweep_config_selectorIalEEZZNS1_29radix_sort_onesweep_iterationIS3_Lb0EPaS7_N6thrust23THRUST_200600_302600_NS10device_ptrIlEESB_jNS0_19identity_decomposerENS1_16block_id_wrapperIjLb0EEEEE10hipError_tT1_PNSt15iterator_traitsISG_E10value_typeET2_T3_PNSH_ISM_E10value_typeET4_T5_PSR_SS_PNS1_23onesweep_lookback_stateEbbT6_jjT7_P12ihipStream_tbENKUlT_T0_SG_SL_E_clIS7_S7_PlSB_EEDaSZ_S10_SG_SL_EUlSZ_E_NS1_11comp_targetILNS1_3genE8ELNS1_11target_archE1030ELNS1_3gpuE2ELNS1_3repE0EEENS1_47radix_sort_onesweep_sort_config_static_selectorELNS0_4arch9wavefront6targetE1EEEvSG_
    .private_segment_fixed_size: 0
    .sgpr_count:     4
    .sgpr_spill_count: 0
    .symbol:         _ZN7rocprim17ROCPRIM_400000_NS6detail17trampoline_kernelINS0_14default_configENS1_35radix_sort_onesweep_config_selectorIalEEZZNS1_29radix_sort_onesweep_iterationIS3_Lb0EPaS7_N6thrust23THRUST_200600_302600_NS10device_ptrIlEESB_jNS0_19identity_decomposerENS1_16block_id_wrapperIjLb0EEEEE10hipError_tT1_PNSt15iterator_traitsISG_E10value_typeET2_T3_PNSH_ISM_E10value_typeET4_T5_PSR_SS_PNS1_23onesweep_lookback_stateEbbT6_jjT7_P12ihipStream_tbENKUlT_T0_SG_SL_E_clIS7_S7_PlSB_EEDaSZ_S10_SG_SL_EUlSZ_E_NS1_11comp_targetILNS1_3genE8ELNS1_11target_archE1030ELNS1_3gpuE2ELNS1_3repE0EEENS1_47radix_sort_onesweep_sort_config_static_selectorELNS0_4arch9wavefront6targetE1EEEvSG_.kd
    .uniform_work_group_size: 1
    .uses_dynamic_stack: false
    .vgpr_count:     0
    .vgpr_spill_count: 0
    .wavefront_size: 64
  - .agpr_count:     0
    .args:
      - .offset:         0
        .size:           72
        .value_kind:     by_value
    .group_segment_fixed_size: 0
    .kernarg_segment_align: 8
    .kernarg_segment_size: 72
    .language:       OpenCL C
    .language_version:
      - 2
      - 0
    .max_flat_workgroup_size: 256
    .name:           _ZN7rocprim17ROCPRIM_400000_NS6detail17trampoline_kernelINS0_14default_configENS1_22reduce_config_selectorIiEEZNS1_11reduce_implILb1ES3_N6thrust23THRUST_200600_302600_NS11hip_rocprim35transform_pair_of_input_iterators_tIiPaSB_NS8_12not_equal_toIaEEEEPiiNS8_4plusIiEEEE10hipError_tPvRmT1_T2_T3_mT4_P12ihipStream_tbEUlT_E0_NS1_11comp_targetILNS1_3genE0ELNS1_11target_archE4294967295ELNS1_3gpuE0ELNS1_3repE0EEENS1_30default_config_static_selectorELNS0_4arch9wavefront6targetE1EEEvSL_
    .private_segment_fixed_size: 0
    .sgpr_count:     4
    .sgpr_spill_count: 0
    .symbol:         _ZN7rocprim17ROCPRIM_400000_NS6detail17trampoline_kernelINS0_14default_configENS1_22reduce_config_selectorIiEEZNS1_11reduce_implILb1ES3_N6thrust23THRUST_200600_302600_NS11hip_rocprim35transform_pair_of_input_iterators_tIiPaSB_NS8_12not_equal_toIaEEEEPiiNS8_4plusIiEEEE10hipError_tPvRmT1_T2_T3_mT4_P12ihipStream_tbEUlT_E0_NS1_11comp_targetILNS1_3genE0ELNS1_11target_archE4294967295ELNS1_3gpuE0ELNS1_3repE0EEENS1_30default_config_static_selectorELNS0_4arch9wavefront6targetE1EEEvSL_.kd
    .uniform_work_group_size: 1
    .uses_dynamic_stack: false
    .vgpr_count:     0
    .vgpr_spill_count: 0
    .wavefront_size: 64
  - .agpr_count:     0
    .args:
      - .offset:         0
        .size:           72
        .value_kind:     by_value
    .group_segment_fixed_size: 0
    .kernarg_segment_align: 8
    .kernarg_segment_size: 72
    .language:       OpenCL C
    .language_version:
      - 2
      - 0
    .max_flat_workgroup_size: 256
    .name:           _ZN7rocprim17ROCPRIM_400000_NS6detail17trampoline_kernelINS0_14default_configENS1_22reduce_config_selectorIiEEZNS1_11reduce_implILb1ES3_N6thrust23THRUST_200600_302600_NS11hip_rocprim35transform_pair_of_input_iterators_tIiPaSB_NS8_12not_equal_toIaEEEEPiiNS8_4plusIiEEEE10hipError_tPvRmT1_T2_T3_mT4_P12ihipStream_tbEUlT_E0_NS1_11comp_targetILNS1_3genE5ELNS1_11target_archE942ELNS1_3gpuE9ELNS1_3repE0EEENS1_30default_config_static_selectorELNS0_4arch9wavefront6targetE1EEEvSL_
    .private_segment_fixed_size: 0
    .sgpr_count:     4
    .sgpr_spill_count: 0
    .symbol:         _ZN7rocprim17ROCPRIM_400000_NS6detail17trampoline_kernelINS0_14default_configENS1_22reduce_config_selectorIiEEZNS1_11reduce_implILb1ES3_N6thrust23THRUST_200600_302600_NS11hip_rocprim35transform_pair_of_input_iterators_tIiPaSB_NS8_12not_equal_toIaEEEEPiiNS8_4plusIiEEEE10hipError_tPvRmT1_T2_T3_mT4_P12ihipStream_tbEUlT_E0_NS1_11comp_targetILNS1_3genE5ELNS1_11target_archE942ELNS1_3gpuE9ELNS1_3repE0EEENS1_30default_config_static_selectorELNS0_4arch9wavefront6targetE1EEEvSL_.kd
    .uniform_work_group_size: 1
    .uses_dynamic_stack: false
    .vgpr_count:     0
    .vgpr_spill_count: 0
    .wavefront_size: 64
  - .agpr_count:     0
    .args:
      - .offset:         0
        .size:           72
        .value_kind:     by_value
    .group_segment_fixed_size: 16
    .kernarg_segment_align: 8
    .kernarg_segment_size: 72
    .language:       OpenCL C
    .language_version:
      - 2
      - 0
    .max_flat_workgroup_size: 128
    .name:           _ZN7rocprim17ROCPRIM_400000_NS6detail17trampoline_kernelINS0_14default_configENS1_22reduce_config_selectorIiEEZNS1_11reduce_implILb1ES3_N6thrust23THRUST_200600_302600_NS11hip_rocprim35transform_pair_of_input_iterators_tIiPaSB_NS8_12not_equal_toIaEEEEPiiNS8_4plusIiEEEE10hipError_tPvRmT1_T2_T3_mT4_P12ihipStream_tbEUlT_E0_NS1_11comp_targetILNS1_3genE4ELNS1_11target_archE910ELNS1_3gpuE8ELNS1_3repE0EEENS1_30default_config_static_selectorELNS0_4arch9wavefront6targetE1EEEvSL_
    .private_segment_fixed_size: 0
    .sgpr_count:     34
    .sgpr_spill_count: 0
    .symbol:         _ZN7rocprim17ROCPRIM_400000_NS6detail17trampoline_kernelINS0_14default_configENS1_22reduce_config_selectorIiEEZNS1_11reduce_implILb1ES3_N6thrust23THRUST_200600_302600_NS11hip_rocprim35transform_pair_of_input_iterators_tIiPaSB_NS8_12not_equal_toIaEEEEPiiNS8_4plusIiEEEE10hipError_tPvRmT1_T2_T3_mT4_P12ihipStream_tbEUlT_E0_NS1_11comp_targetILNS1_3genE4ELNS1_11target_archE910ELNS1_3gpuE8ELNS1_3repE0EEENS1_30default_config_static_selectorELNS0_4arch9wavefront6targetE1EEEvSL_.kd
    .uniform_work_group_size: 1
    .uses_dynamic_stack: false
    .vgpr_count:     20
    .vgpr_spill_count: 0
    .wavefront_size: 64
  - .agpr_count:     0
    .args:
      - .offset:         0
        .size:           72
        .value_kind:     by_value
    .group_segment_fixed_size: 0
    .kernarg_segment_align: 8
    .kernarg_segment_size: 72
    .language:       OpenCL C
    .language_version:
      - 2
      - 0
    .max_flat_workgroup_size: 256
    .name:           _ZN7rocprim17ROCPRIM_400000_NS6detail17trampoline_kernelINS0_14default_configENS1_22reduce_config_selectorIiEEZNS1_11reduce_implILb1ES3_N6thrust23THRUST_200600_302600_NS11hip_rocprim35transform_pair_of_input_iterators_tIiPaSB_NS8_12not_equal_toIaEEEEPiiNS8_4plusIiEEEE10hipError_tPvRmT1_T2_T3_mT4_P12ihipStream_tbEUlT_E0_NS1_11comp_targetILNS1_3genE3ELNS1_11target_archE908ELNS1_3gpuE7ELNS1_3repE0EEENS1_30default_config_static_selectorELNS0_4arch9wavefront6targetE1EEEvSL_
    .private_segment_fixed_size: 0
    .sgpr_count:     4
    .sgpr_spill_count: 0
    .symbol:         _ZN7rocprim17ROCPRIM_400000_NS6detail17trampoline_kernelINS0_14default_configENS1_22reduce_config_selectorIiEEZNS1_11reduce_implILb1ES3_N6thrust23THRUST_200600_302600_NS11hip_rocprim35transform_pair_of_input_iterators_tIiPaSB_NS8_12not_equal_toIaEEEEPiiNS8_4plusIiEEEE10hipError_tPvRmT1_T2_T3_mT4_P12ihipStream_tbEUlT_E0_NS1_11comp_targetILNS1_3genE3ELNS1_11target_archE908ELNS1_3gpuE7ELNS1_3repE0EEENS1_30default_config_static_selectorELNS0_4arch9wavefront6targetE1EEEvSL_.kd
    .uniform_work_group_size: 1
    .uses_dynamic_stack: false
    .vgpr_count:     0
    .vgpr_spill_count: 0
    .wavefront_size: 64
  - .agpr_count:     0
    .args:
      - .offset:         0
        .size:           72
        .value_kind:     by_value
    .group_segment_fixed_size: 0
    .kernarg_segment_align: 8
    .kernarg_segment_size: 72
    .language:       OpenCL C
    .language_version:
      - 2
      - 0
    .max_flat_workgroup_size: 256
    .name:           _ZN7rocprim17ROCPRIM_400000_NS6detail17trampoline_kernelINS0_14default_configENS1_22reduce_config_selectorIiEEZNS1_11reduce_implILb1ES3_N6thrust23THRUST_200600_302600_NS11hip_rocprim35transform_pair_of_input_iterators_tIiPaSB_NS8_12not_equal_toIaEEEEPiiNS8_4plusIiEEEE10hipError_tPvRmT1_T2_T3_mT4_P12ihipStream_tbEUlT_E0_NS1_11comp_targetILNS1_3genE2ELNS1_11target_archE906ELNS1_3gpuE6ELNS1_3repE0EEENS1_30default_config_static_selectorELNS0_4arch9wavefront6targetE1EEEvSL_
    .private_segment_fixed_size: 0
    .sgpr_count:     4
    .sgpr_spill_count: 0
    .symbol:         _ZN7rocprim17ROCPRIM_400000_NS6detail17trampoline_kernelINS0_14default_configENS1_22reduce_config_selectorIiEEZNS1_11reduce_implILb1ES3_N6thrust23THRUST_200600_302600_NS11hip_rocprim35transform_pair_of_input_iterators_tIiPaSB_NS8_12not_equal_toIaEEEEPiiNS8_4plusIiEEEE10hipError_tPvRmT1_T2_T3_mT4_P12ihipStream_tbEUlT_E0_NS1_11comp_targetILNS1_3genE2ELNS1_11target_archE906ELNS1_3gpuE6ELNS1_3repE0EEENS1_30default_config_static_selectorELNS0_4arch9wavefront6targetE1EEEvSL_.kd
    .uniform_work_group_size: 1
    .uses_dynamic_stack: false
    .vgpr_count:     0
    .vgpr_spill_count: 0
    .wavefront_size: 64
  - .agpr_count:     0
    .args:
      - .offset:         0
        .size:           72
        .value_kind:     by_value
    .group_segment_fixed_size: 0
    .kernarg_segment_align: 8
    .kernarg_segment_size: 72
    .language:       OpenCL C
    .language_version:
      - 2
      - 0
    .max_flat_workgroup_size: 256
    .name:           _ZN7rocprim17ROCPRIM_400000_NS6detail17trampoline_kernelINS0_14default_configENS1_22reduce_config_selectorIiEEZNS1_11reduce_implILb1ES3_N6thrust23THRUST_200600_302600_NS11hip_rocprim35transform_pair_of_input_iterators_tIiPaSB_NS8_12not_equal_toIaEEEEPiiNS8_4plusIiEEEE10hipError_tPvRmT1_T2_T3_mT4_P12ihipStream_tbEUlT_E0_NS1_11comp_targetILNS1_3genE10ELNS1_11target_archE1201ELNS1_3gpuE5ELNS1_3repE0EEENS1_30default_config_static_selectorELNS0_4arch9wavefront6targetE1EEEvSL_
    .private_segment_fixed_size: 0
    .sgpr_count:     4
    .sgpr_spill_count: 0
    .symbol:         _ZN7rocprim17ROCPRIM_400000_NS6detail17trampoline_kernelINS0_14default_configENS1_22reduce_config_selectorIiEEZNS1_11reduce_implILb1ES3_N6thrust23THRUST_200600_302600_NS11hip_rocprim35transform_pair_of_input_iterators_tIiPaSB_NS8_12not_equal_toIaEEEEPiiNS8_4plusIiEEEE10hipError_tPvRmT1_T2_T3_mT4_P12ihipStream_tbEUlT_E0_NS1_11comp_targetILNS1_3genE10ELNS1_11target_archE1201ELNS1_3gpuE5ELNS1_3repE0EEENS1_30default_config_static_selectorELNS0_4arch9wavefront6targetE1EEEvSL_.kd
    .uniform_work_group_size: 1
    .uses_dynamic_stack: false
    .vgpr_count:     0
    .vgpr_spill_count: 0
    .wavefront_size: 64
  - .agpr_count:     0
    .args:
      - .offset:         0
        .size:           72
        .value_kind:     by_value
    .group_segment_fixed_size: 0
    .kernarg_segment_align: 8
    .kernarg_segment_size: 72
    .language:       OpenCL C
    .language_version:
      - 2
      - 0
    .max_flat_workgroup_size: 256
    .name:           _ZN7rocprim17ROCPRIM_400000_NS6detail17trampoline_kernelINS0_14default_configENS1_22reduce_config_selectorIiEEZNS1_11reduce_implILb1ES3_N6thrust23THRUST_200600_302600_NS11hip_rocprim35transform_pair_of_input_iterators_tIiPaSB_NS8_12not_equal_toIaEEEEPiiNS8_4plusIiEEEE10hipError_tPvRmT1_T2_T3_mT4_P12ihipStream_tbEUlT_E0_NS1_11comp_targetILNS1_3genE10ELNS1_11target_archE1200ELNS1_3gpuE4ELNS1_3repE0EEENS1_30default_config_static_selectorELNS0_4arch9wavefront6targetE1EEEvSL_
    .private_segment_fixed_size: 0
    .sgpr_count:     4
    .sgpr_spill_count: 0
    .symbol:         _ZN7rocprim17ROCPRIM_400000_NS6detail17trampoline_kernelINS0_14default_configENS1_22reduce_config_selectorIiEEZNS1_11reduce_implILb1ES3_N6thrust23THRUST_200600_302600_NS11hip_rocprim35transform_pair_of_input_iterators_tIiPaSB_NS8_12not_equal_toIaEEEEPiiNS8_4plusIiEEEE10hipError_tPvRmT1_T2_T3_mT4_P12ihipStream_tbEUlT_E0_NS1_11comp_targetILNS1_3genE10ELNS1_11target_archE1200ELNS1_3gpuE4ELNS1_3repE0EEENS1_30default_config_static_selectorELNS0_4arch9wavefront6targetE1EEEvSL_.kd
    .uniform_work_group_size: 1
    .uses_dynamic_stack: false
    .vgpr_count:     0
    .vgpr_spill_count: 0
    .wavefront_size: 64
  - .agpr_count:     0
    .args:
      - .offset:         0
        .size:           72
        .value_kind:     by_value
    .group_segment_fixed_size: 0
    .kernarg_segment_align: 8
    .kernarg_segment_size: 72
    .language:       OpenCL C
    .language_version:
      - 2
      - 0
    .max_flat_workgroup_size: 256
    .name:           _ZN7rocprim17ROCPRIM_400000_NS6detail17trampoline_kernelINS0_14default_configENS1_22reduce_config_selectorIiEEZNS1_11reduce_implILb1ES3_N6thrust23THRUST_200600_302600_NS11hip_rocprim35transform_pair_of_input_iterators_tIiPaSB_NS8_12not_equal_toIaEEEEPiiNS8_4plusIiEEEE10hipError_tPvRmT1_T2_T3_mT4_P12ihipStream_tbEUlT_E0_NS1_11comp_targetILNS1_3genE9ELNS1_11target_archE1100ELNS1_3gpuE3ELNS1_3repE0EEENS1_30default_config_static_selectorELNS0_4arch9wavefront6targetE1EEEvSL_
    .private_segment_fixed_size: 0
    .sgpr_count:     4
    .sgpr_spill_count: 0
    .symbol:         _ZN7rocprim17ROCPRIM_400000_NS6detail17trampoline_kernelINS0_14default_configENS1_22reduce_config_selectorIiEEZNS1_11reduce_implILb1ES3_N6thrust23THRUST_200600_302600_NS11hip_rocprim35transform_pair_of_input_iterators_tIiPaSB_NS8_12not_equal_toIaEEEEPiiNS8_4plusIiEEEE10hipError_tPvRmT1_T2_T3_mT4_P12ihipStream_tbEUlT_E0_NS1_11comp_targetILNS1_3genE9ELNS1_11target_archE1100ELNS1_3gpuE3ELNS1_3repE0EEENS1_30default_config_static_selectorELNS0_4arch9wavefront6targetE1EEEvSL_.kd
    .uniform_work_group_size: 1
    .uses_dynamic_stack: false
    .vgpr_count:     0
    .vgpr_spill_count: 0
    .wavefront_size: 64
  - .agpr_count:     0
    .args:
      - .offset:         0
        .size:           72
        .value_kind:     by_value
    .group_segment_fixed_size: 0
    .kernarg_segment_align: 8
    .kernarg_segment_size: 72
    .language:       OpenCL C
    .language_version:
      - 2
      - 0
    .max_flat_workgroup_size: 256
    .name:           _ZN7rocprim17ROCPRIM_400000_NS6detail17trampoline_kernelINS0_14default_configENS1_22reduce_config_selectorIiEEZNS1_11reduce_implILb1ES3_N6thrust23THRUST_200600_302600_NS11hip_rocprim35transform_pair_of_input_iterators_tIiPaSB_NS8_12not_equal_toIaEEEEPiiNS8_4plusIiEEEE10hipError_tPvRmT1_T2_T3_mT4_P12ihipStream_tbEUlT_E0_NS1_11comp_targetILNS1_3genE8ELNS1_11target_archE1030ELNS1_3gpuE2ELNS1_3repE0EEENS1_30default_config_static_selectorELNS0_4arch9wavefront6targetE1EEEvSL_
    .private_segment_fixed_size: 0
    .sgpr_count:     4
    .sgpr_spill_count: 0
    .symbol:         _ZN7rocprim17ROCPRIM_400000_NS6detail17trampoline_kernelINS0_14default_configENS1_22reduce_config_selectorIiEEZNS1_11reduce_implILb1ES3_N6thrust23THRUST_200600_302600_NS11hip_rocprim35transform_pair_of_input_iterators_tIiPaSB_NS8_12not_equal_toIaEEEEPiiNS8_4plusIiEEEE10hipError_tPvRmT1_T2_T3_mT4_P12ihipStream_tbEUlT_E0_NS1_11comp_targetILNS1_3genE8ELNS1_11target_archE1030ELNS1_3gpuE2ELNS1_3repE0EEENS1_30default_config_static_selectorELNS0_4arch9wavefront6targetE1EEEvSL_.kd
    .uniform_work_group_size: 1
    .uses_dynamic_stack: false
    .vgpr_count:     0
    .vgpr_spill_count: 0
    .wavefront_size: 64
  - .agpr_count:     0
    .args:
      - .offset:         0
        .size:           56
        .value_kind:     by_value
    .group_segment_fixed_size: 0
    .kernarg_segment_align: 8
    .kernarg_segment_size: 56
    .language:       OpenCL C
    .language_version:
      - 2
      - 0
    .max_flat_workgroup_size: 256
    .name:           _ZN7rocprim17ROCPRIM_400000_NS6detail17trampoline_kernelINS0_14default_configENS1_22reduce_config_selectorIiEEZNS1_11reduce_implILb1ES3_N6thrust23THRUST_200600_302600_NS11hip_rocprim35transform_pair_of_input_iterators_tIiPaSB_NS8_12not_equal_toIaEEEEPiiNS8_4plusIiEEEE10hipError_tPvRmT1_T2_T3_mT4_P12ihipStream_tbEUlT_E1_NS1_11comp_targetILNS1_3genE0ELNS1_11target_archE4294967295ELNS1_3gpuE0ELNS1_3repE0EEENS1_30default_config_static_selectorELNS0_4arch9wavefront6targetE1EEEvSL_
    .private_segment_fixed_size: 0
    .sgpr_count:     4
    .sgpr_spill_count: 0
    .symbol:         _ZN7rocprim17ROCPRIM_400000_NS6detail17trampoline_kernelINS0_14default_configENS1_22reduce_config_selectorIiEEZNS1_11reduce_implILb1ES3_N6thrust23THRUST_200600_302600_NS11hip_rocprim35transform_pair_of_input_iterators_tIiPaSB_NS8_12not_equal_toIaEEEEPiiNS8_4plusIiEEEE10hipError_tPvRmT1_T2_T3_mT4_P12ihipStream_tbEUlT_E1_NS1_11comp_targetILNS1_3genE0ELNS1_11target_archE4294967295ELNS1_3gpuE0ELNS1_3repE0EEENS1_30default_config_static_selectorELNS0_4arch9wavefront6targetE1EEEvSL_.kd
    .uniform_work_group_size: 1
    .uses_dynamic_stack: false
    .vgpr_count:     0
    .vgpr_spill_count: 0
    .wavefront_size: 64
  - .agpr_count:     0
    .args:
      - .offset:         0
        .size:           56
        .value_kind:     by_value
    .group_segment_fixed_size: 0
    .kernarg_segment_align: 8
    .kernarg_segment_size: 56
    .language:       OpenCL C
    .language_version:
      - 2
      - 0
    .max_flat_workgroup_size: 256
    .name:           _ZN7rocprim17ROCPRIM_400000_NS6detail17trampoline_kernelINS0_14default_configENS1_22reduce_config_selectorIiEEZNS1_11reduce_implILb1ES3_N6thrust23THRUST_200600_302600_NS11hip_rocprim35transform_pair_of_input_iterators_tIiPaSB_NS8_12not_equal_toIaEEEEPiiNS8_4plusIiEEEE10hipError_tPvRmT1_T2_T3_mT4_P12ihipStream_tbEUlT_E1_NS1_11comp_targetILNS1_3genE5ELNS1_11target_archE942ELNS1_3gpuE9ELNS1_3repE0EEENS1_30default_config_static_selectorELNS0_4arch9wavefront6targetE1EEEvSL_
    .private_segment_fixed_size: 0
    .sgpr_count:     4
    .sgpr_spill_count: 0
    .symbol:         _ZN7rocprim17ROCPRIM_400000_NS6detail17trampoline_kernelINS0_14default_configENS1_22reduce_config_selectorIiEEZNS1_11reduce_implILb1ES3_N6thrust23THRUST_200600_302600_NS11hip_rocprim35transform_pair_of_input_iterators_tIiPaSB_NS8_12not_equal_toIaEEEEPiiNS8_4plusIiEEEE10hipError_tPvRmT1_T2_T3_mT4_P12ihipStream_tbEUlT_E1_NS1_11comp_targetILNS1_3genE5ELNS1_11target_archE942ELNS1_3gpuE9ELNS1_3repE0EEENS1_30default_config_static_selectorELNS0_4arch9wavefront6targetE1EEEvSL_.kd
    .uniform_work_group_size: 1
    .uses_dynamic_stack: false
    .vgpr_count:     0
    .vgpr_spill_count: 0
    .wavefront_size: 64
  - .agpr_count:     0
    .args:
      - .offset:         0
        .size:           56
        .value_kind:     by_value
    .group_segment_fixed_size: 56
    .kernarg_segment_align: 8
    .kernarg_segment_size: 56
    .language:       OpenCL C
    .language_version:
      - 2
      - 0
    .max_flat_workgroup_size: 128
    .name:           _ZN7rocprim17ROCPRIM_400000_NS6detail17trampoline_kernelINS0_14default_configENS1_22reduce_config_selectorIiEEZNS1_11reduce_implILb1ES3_N6thrust23THRUST_200600_302600_NS11hip_rocprim35transform_pair_of_input_iterators_tIiPaSB_NS8_12not_equal_toIaEEEEPiiNS8_4plusIiEEEE10hipError_tPvRmT1_T2_T3_mT4_P12ihipStream_tbEUlT_E1_NS1_11comp_targetILNS1_3genE4ELNS1_11target_archE910ELNS1_3gpuE8ELNS1_3repE0EEENS1_30default_config_static_selectorELNS0_4arch9wavefront6targetE1EEEvSL_
    .private_segment_fixed_size: 0
    .sgpr_count:     53
    .sgpr_spill_count: 0
    .symbol:         _ZN7rocprim17ROCPRIM_400000_NS6detail17trampoline_kernelINS0_14default_configENS1_22reduce_config_selectorIiEEZNS1_11reduce_implILb1ES3_N6thrust23THRUST_200600_302600_NS11hip_rocprim35transform_pair_of_input_iterators_tIiPaSB_NS8_12not_equal_toIaEEEEPiiNS8_4plusIiEEEE10hipError_tPvRmT1_T2_T3_mT4_P12ihipStream_tbEUlT_E1_NS1_11comp_targetILNS1_3genE4ELNS1_11target_archE910ELNS1_3gpuE8ELNS1_3repE0EEENS1_30default_config_static_selectorELNS0_4arch9wavefront6targetE1EEEvSL_.kd
    .uniform_work_group_size: 1
    .uses_dynamic_stack: false
    .vgpr_count:     60
    .vgpr_spill_count: 0
    .wavefront_size: 64
  - .agpr_count:     0
    .args:
      - .offset:         0
        .size:           56
        .value_kind:     by_value
    .group_segment_fixed_size: 0
    .kernarg_segment_align: 8
    .kernarg_segment_size: 56
    .language:       OpenCL C
    .language_version:
      - 2
      - 0
    .max_flat_workgroup_size: 256
    .name:           _ZN7rocprim17ROCPRIM_400000_NS6detail17trampoline_kernelINS0_14default_configENS1_22reduce_config_selectorIiEEZNS1_11reduce_implILb1ES3_N6thrust23THRUST_200600_302600_NS11hip_rocprim35transform_pair_of_input_iterators_tIiPaSB_NS8_12not_equal_toIaEEEEPiiNS8_4plusIiEEEE10hipError_tPvRmT1_T2_T3_mT4_P12ihipStream_tbEUlT_E1_NS1_11comp_targetILNS1_3genE3ELNS1_11target_archE908ELNS1_3gpuE7ELNS1_3repE0EEENS1_30default_config_static_selectorELNS0_4arch9wavefront6targetE1EEEvSL_
    .private_segment_fixed_size: 0
    .sgpr_count:     4
    .sgpr_spill_count: 0
    .symbol:         _ZN7rocprim17ROCPRIM_400000_NS6detail17trampoline_kernelINS0_14default_configENS1_22reduce_config_selectorIiEEZNS1_11reduce_implILb1ES3_N6thrust23THRUST_200600_302600_NS11hip_rocprim35transform_pair_of_input_iterators_tIiPaSB_NS8_12not_equal_toIaEEEEPiiNS8_4plusIiEEEE10hipError_tPvRmT1_T2_T3_mT4_P12ihipStream_tbEUlT_E1_NS1_11comp_targetILNS1_3genE3ELNS1_11target_archE908ELNS1_3gpuE7ELNS1_3repE0EEENS1_30default_config_static_selectorELNS0_4arch9wavefront6targetE1EEEvSL_.kd
    .uniform_work_group_size: 1
    .uses_dynamic_stack: false
    .vgpr_count:     0
    .vgpr_spill_count: 0
    .wavefront_size: 64
  - .agpr_count:     0
    .args:
      - .offset:         0
        .size:           56
        .value_kind:     by_value
    .group_segment_fixed_size: 0
    .kernarg_segment_align: 8
    .kernarg_segment_size: 56
    .language:       OpenCL C
    .language_version:
      - 2
      - 0
    .max_flat_workgroup_size: 256
    .name:           _ZN7rocprim17ROCPRIM_400000_NS6detail17trampoline_kernelINS0_14default_configENS1_22reduce_config_selectorIiEEZNS1_11reduce_implILb1ES3_N6thrust23THRUST_200600_302600_NS11hip_rocprim35transform_pair_of_input_iterators_tIiPaSB_NS8_12not_equal_toIaEEEEPiiNS8_4plusIiEEEE10hipError_tPvRmT1_T2_T3_mT4_P12ihipStream_tbEUlT_E1_NS1_11comp_targetILNS1_3genE2ELNS1_11target_archE906ELNS1_3gpuE6ELNS1_3repE0EEENS1_30default_config_static_selectorELNS0_4arch9wavefront6targetE1EEEvSL_
    .private_segment_fixed_size: 0
    .sgpr_count:     4
    .sgpr_spill_count: 0
    .symbol:         _ZN7rocprim17ROCPRIM_400000_NS6detail17trampoline_kernelINS0_14default_configENS1_22reduce_config_selectorIiEEZNS1_11reduce_implILb1ES3_N6thrust23THRUST_200600_302600_NS11hip_rocprim35transform_pair_of_input_iterators_tIiPaSB_NS8_12not_equal_toIaEEEEPiiNS8_4plusIiEEEE10hipError_tPvRmT1_T2_T3_mT4_P12ihipStream_tbEUlT_E1_NS1_11comp_targetILNS1_3genE2ELNS1_11target_archE906ELNS1_3gpuE6ELNS1_3repE0EEENS1_30default_config_static_selectorELNS0_4arch9wavefront6targetE1EEEvSL_.kd
    .uniform_work_group_size: 1
    .uses_dynamic_stack: false
    .vgpr_count:     0
    .vgpr_spill_count: 0
    .wavefront_size: 64
  - .agpr_count:     0
    .args:
      - .offset:         0
        .size:           56
        .value_kind:     by_value
    .group_segment_fixed_size: 0
    .kernarg_segment_align: 8
    .kernarg_segment_size: 56
    .language:       OpenCL C
    .language_version:
      - 2
      - 0
    .max_flat_workgroup_size: 256
    .name:           _ZN7rocprim17ROCPRIM_400000_NS6detail17trampoline_kernelINS0_14default_configENS1_22reduce_config_selectorIiEEZNS1_11reduce_implILb1ES3_N6thrust23THRUST_200600_302600_NS11hip_rocprim35transform_pair_of_input_iterators_tIiPaSB_NS8_12not_equal_toIaEEEEPiiNS8_4plusIiEEEE10hipError_tPvRmT1_T2_T3_mT4_P12ihipStream_tbEUlT_E1_NS1_11comp_targetILNS1_3genE10ELNS1_11target_archE1201ELNS1_3gpuE5ELNS1_3repE0EEENS1_30default_config_static_selectorELNS0_4arch9wavefront6targetE1EEEvSL_
    .private_segment_fixed_size: 0
    .sgpr_count:     4
    .sgpr_spill_count: 0
    .symbol:         _ZN7rocprim17ROCPRIM_400000_NS6detail17trampoline_kernelINS0_14default_configENS1_22reduce_config_selectorIiEEZNS1_11reduce_implILb1ES3_N6thrust23THRUST_200600_302600_NS11hip_rocprim35transform_pair_of_input_iterators_tIiPaSB_NS8_12not_equal_toIaEEEEPiiNS8_4plusIiEEEE10hipError_tPvRmT1_T2_T3_mT4_P12ihipStream_tbEUlT_E1_NS1_11comp_targetILNS1_3genE10ELNS1_11target_archE1201ELNS1_3gpuE5ELNS1_3repE0EEENS1_30default_config_static_selectorELNS0_4arch9wavefront6targetE1EEEvSL_.kd
    .uniform_work_group_size: 1
    .uses_dynamic_stack: false
    .vgpr_count:     0
    .vgpr_spill_count: 0
    .wavefront_size: 64
  - .agpr_count:     0
    .args:
      - .offset:         0
        .size:           56
        .value_kind:     by_value
    .group_segment_fixed_size: 0
    .kernarg_segment_align: 8
    .kernarg_segment_size: 56
    .language:       OpenCL C
    .language_version:
      - 2
      - 0
    .max_flat_workgroup_size: 256
    .name:           _ZN7rocprim17ROCPRIM_400000_NS6detail17trampoline_kernelINS0_14default_configENS1_22reduce_config_selectorIiEEZNS1_11reduce_implILb1ES3_N6thrust23THRUST_200600_302600_NS11hip_rocprim35transform_pair_of_input_iterators_tIiPaSB_NS8_12not_equal_toIaEEEEPiiNS8_4plusIiEEEE10hipError_tPvRmT1_T2_T3_mT4_P12ihipStream_tbEUlT_E1_NS1_11comp_targetILNS1_3genE10ELNS1_11target_archE1200ELNS1_3gpuE4ELNS1_3repE0EEENS1_30default_config_static_selectorELNS0_4arch9wavefront6targetE1EEEvSL_
    .private_segment_fixed_size: 0
    .sgpr_count:     4
    .sgpr_spill_count: 0
    .symbol:         _ZN7rocprim17ROCPRIM_400000_NS6detail17trampoline_kernelINS0_14default_configENS1_22reduce_config_selectorIiEEZNS1_11reduce_implILb1ES3_N6thrust23THRUST_200600_302600_NS11hip_rocprim35transform_pair_of_input_iterators_tIiPaSB_NS8_12not_equal_toIaEEEEPiiNS8_4plusIiEEEE10hipError_tPvRmT1_T2_T3_mT4_P12ihipStream_tbEUlT_E1_NS1_11comp_targetILNS1_3genE10ELNS1_11target_archE1200ELNS1_3gpuE4ELNS1_3repE0EEENS1_30default_config_static_selectorELNS0_4arch9wavefront6targetE1EEEvSL_.kd
    .uniform_work_group_size: 1
    .uses_dynamic_stack: false
    .vgpr_count:     0
    .vgpr_spill_count: 0
    .wavefront_size: 64
  - .agpr_count:     0
    .args:
      - .offset:         0
        .size:           56
        .value_kind:     by_value
    .group_segment_fixed_size: 0
    .kernarg_segment_align: 8
    .kernarg_segment_size: 56
    .language:       OpenCL C
    .language_version:
      - 2
      - 0
    .max_flat_workgroup_size: 256
    .name:           _ZN7rocprim17ROCPRIM_400000_NS6detail17trampoline_kernelINS0_14default_configENS1_22reduce_config_selectorIiEEZNS1_11reduce_implILb1ES3_N6thrust23THRUST_200600_302600_NS11hip_rocprim35transform_pair_of_input_iterators_tIiPaSB_NS8_12not_equal_toIaEEEEPiiNS8_4plusIiEEEE10hipError_tPvRmT1_T2_T3_mT4_P12ihipStream_tbEUlT_E1_NS1_11comp_targetILNS1_3genE9ELNS1_11target_archE1100ELNS1_3gpuE3ELNS1_3repE0EEENS1_30default_config_static_selectorELNS0_4arch9wavefront6targetE1EEEvSL_
    .private_segment_fixed_size: 0
    .sgpr_count:     4
    .sgpr_spill_count: 0
    .symbol:         _ZN7rocprim17ROCPRIM_400000_NS6detail17trampoline_kernelINS0_14default_configENS1_22reduce_config_selectorIiEEZNS1_11reduce_implILb1ES3_N6thrust23THRUST_200600_302600_NS11hip_rocprim35transform_pair_of_input_iterators_tIiPaSB_NS8_12not_equal_toIaEEEEPiiNS8_4plusIiEEEE10hipError_tPvRmT1_T2_T3_mT4_P12ihipStream_tbEUlT_E1_NS1_11comp_targetILNS1_3genE9ELNS1_11target_archE1100ELNS1_3gpuE3ELNS1_3repE0EEENS1_30default_config_static_selectorELNS0_4arch9wavefront6targetE1EEEvSL_.kd
    .uniform_work_group_size: 1
    .uses_dynamic_stack: false
    .vgpr_count:     0
    .vgpr_spill_count: 0
    .wavefront_size: 64
  - .agpr_count:     0
    .args:
      - .offset:         0
        .size:           56
        .value_kind:     by_value
    .group_segment_fixed_size: 0
    .kernarg_segment_align: 8
    .kernarg_segment_size: 56
    .language:       OpenCL C
    .language_version:
      - 2
      - 0
    .max_flat_workgroup_size: 256
    .name:           _ZN7rocprim17ROCPRIM_400000_NS6detail17trampoline_kernelINS0_14default_configENS1_22reduce_config_selectorIiEEZNS1_11reduce_implILb1ES3_N6thrust23THRUST_200600_302600_NS11hip_rocprim35transform_pair_of_input_iterators_tIiPaSB_NS8_12not_equal_toIaEEEEPiiNS8_4plusIiEEEE10hipError_tPvRmT1_T2_T3_mT4_P12ihipStream_tbEUlT_E1_NS1_11comp_targetILNS1_3genE8ELNS1_11target_archE1030ELNS1_3gpuE2ELNS1_3repE0EEENS1_30default_config_static_selectorELNS0_4arch9wavefront6targetE1EEEvSL_
    .private_segment_fixed_size: 0
    .sgpr_count:     4
    .sgpr_spill_count: 0
    .symbol:         _ZN7rocprim17ROCPRIM_400000_NS6detail17trampoline_kernelINS0_14default_configENS1_22reduce_config_selectorIiEEZNS1_11reduce_implILb1ES3_N6thrust23THRUST_200600_302600_NS11hip_rocprim35transform_pair_of_input_iterators_tIiPaSB_NS8_12not_equal_toIaEEEEPiiNS8_4plusIiEEEE10hipError_tPvRmT1_T2_T3_mT4_P12ihipStream_tbEUlT_E1_NS1_11comp_targetILNS1_3genE8ELNS1_11target_archE1030ELNS1_3gpuE2ELNS1_3repE0EEENS1_30default_config_static_selectorELNS0_4arch9wavefront6targetE1EEEvSL_.kd
    .uniform_work_group_size: 1
    .uses_dynamic_stack: false
    .vgpr_count:     0
    .vgpr_spill_count: 0
    .wavefront_size: 64
  - .agpr_count:     0
    .args:
      - .offset:         0
        .size:           144
        .value_kind:     by_value
    .group_segment_fixed_size: 0
    .kernarg_segment_align: 8
    .kernarg_segment_size: 144
    .language:       OpenCL C
    .language_version:
      - 2
      - 0
    .max_flat_workgroup_size: 256
    .name:           _ZN7rocprim17ROCPRIM_400000_NS6detail17trampoline_kernelINS0_14default_configENS1_29reduce_by_key_config_selectorIalN6thrust23THRUST_200600_302600_NS4plusIlEEEEZZNS1_33reduce_by_key_impl_wrapped_configILNS1_25lookback_scan_determinismE0ES3_S9_PaNS6_17constant_iteratorIiNS6_11use_defaultESE_EENS6_10device_ptrIaEENSG_IlEEPmS8_NS6_8equal_toIaEEEE10hipError_tPvRmT2_T3_mT4_T5_T6_T7_T8_P12ihipStream_tbENKUlT_T0_E_clISt17integral_constantIbLb0EES13_EEDaSY_SZ_EUlSY_E_NS1_11comp_targetILNS1_3genE0ELNS1_11target_archE4294967295ELNS1_3gpuE0ELNS1_3repE0EEENS1_30default_config_static_selectorELNS0_4arch9wavefront6targetE1EEEvT1_
    .private_segment_fixed_size: 0
    .sgpr_count:     4
    .sgpr_spill_count: 0
    .symbol:         _ZN7rocprim17ROCPRIM_400000_NS6detail17trampoline_kernelINS0_14default_configENS1_29reduce_by_key_config_selectorIalN6thrust23THRUST_200600_302600_NS4plusIlEEEEZZNS1_33reduce_by_key_impl_wrapped_configILNS1_25lookback_scan_determinismE0ES3_S9_PaNS6_17constant_iteratorIiNS6_11use_defaultESE_EENS6_10device_ptrIaEENSG_IlEEPmS8_NS6_8equal_toIaEEEE10hipError_tPvRmT2_T3_mT4_T5_T6_T7_T8_P12ihipStream_tbENKUlT_T0_E_clISt17integral_constantIbLb0EES13_EEDaSY_SZ_EUlSY_E_NS1_11comp_targetILNS1_3genE0ELNS1_11target_archE4294967295ELNS1_3gpuE0ELNS1_3repE0EEENS1_30default_config_static_selectorELNS0_4arch9wavefront6targetE1EEEvT1_.kd
    .uniform_work_group_size: 1
    .uses_dynamic_stack: false
    .vgpr_count:     0
    .vgpr_spill_count: 0
    .wavefront_size: 64
  - .agpr_count:     0
    .args:
      - .offset:         0
        .size:           144
        .value_kind:     by_value
    .group_segment_fixed_size: 0
    .kernarg_segment_align: 8
    .kernarg_segment_size: 144
    .language:       OpenCL C
    .language_version:
      - 2
      - 0
    .max_flat_workgroup_size: 256
    .name:           _ZN7rocprim17ROCPRIM_400000_NS6detail17trampoline_kernelINS0_14default_configENS1_29reduce_by_key_config_selectorIalN6thrust23THRUST_200600_302600_NS4plusIlEEEEZZNS1_33reduce_by_key_impl_wrapped_configILNS1_25lookback_scan_determinismE0ES3_S9_PaNS6_17constant_iteratorIiNS6_11use_defaultESE_EENS6_10device_ptrIaEENSG_IlEEPmS8_NS6_8equal_toIaEEEE10hipError_tPvRmT2_T3_mT4_T5_T6_T7_T8_P12ihipStream_tbENKUlT_T0_E_clISt17integral_constantIbLb0EES13_EEDaSY_SZ_EUlSY_E_NS1_11comp_targetILNS1_3genE5ELNS1_11target_archE942ELNS1_3gpuE9ELNS1_3repE0EEENS1_30default_config_static_selectorELNS0_4arch9wavefront6targetE1EEEvT1_
    .private_segment_fixed_size: 0
    .sgpr_count:     4
    .sgpr_spill_count: 0
    .symbol:         _ZN7rocprim17ROCPRIM_400000_NS6detail17trampoline_kernelINS0_14default_configENS1_29reduce_by_key_config_selectorIalN6thrust23THRUST_200600_302600_NS4plusIlEEEEZZNS1_33reduce_by_key_impl_wrapped_configILNS1_25lookback_scan_determinismE0ES3_S9_PaNS6_17constant_iteratorIiNS6_11use_defaultESE_EENS6_10device_ptrIaEENSG_IlEEPmS8_NS6_8equal_toIaEEEE10hipError_tPvRmT2_T3_mT4_T5_T6_T7_T8_P12ihipStream_tbENKUlT_T0_E_clISt17integral_constantIbLb0EES13_EEDaSY_SZ_EUlSY_E_NS1_11comp_targetILNS1_3genE5ELNS1_11target_archE942ELNS1_3gpuE9ELNS1_3repE0EEENS1_30default_config_static_selectorELNS0_4arch9wavefront6targetE1EEEvT1_.kd
    .uniform_work_group_size: 1
    .uses_dynamic_stack: false
    .vgpr_count:     0
    .vgpr_spill_count: 0
    .wavefront_size: 64
  - .agpr_count:     0
    .args:
      - .offset:         0
        .size:           144
        .value_kind:     by_value
    .group_segment_fixed_size: 30720
    .kernarg_segment_align: 8
    .kernarg_segment_size: 144
    .language:       OpenCL C
    .language_version:
      - 2
      - 0
    .max_flat_workgroup_size: 256
    .name:           _ZN7rocprim17ROCPRIM_400000_NS6detail17trampoline_kernelINS0_14default_configENS1_29reduce_by_key_config_selectorIalN6thrust23THRUST_200600_302600_NS4plusIlEEEEZZNS1_33reduce_by_key_impl_wrapped_configILNS1_25lookback_scan_determinismE0ES3_S9_PaNS6_17constant_iteratorIiNS6_11use_defaultESE_EENS6_10device_ptrIaEENSG_IlEEPmS8_NS6_8equal_toIaEEEE10hipError_tPvRmT2_T3_mT4_T5_T6_T7_T8_P12ihipStream_tbENKUlT_T0_E_clISt17integral_constantIbLb0EES13_EEDaSY_SZ_EUlSY_E_NS1_11comp_targetILNS1_3genE4ELNS1_11target_archE910ELNS1_3gpuE8ELNS1_3repE0EEENS1_30default_config_static_selectorELNS0_4arch9wavefront6targetE1EEEvT1_
    .private_segment_fixed_size: 0
    .sgpr_count:     68
    .sgpr_spill_count: 0
    .symbol:         _ZN7rocprim17ROCPRIM_400000_NS6detail17trampoline_kernelINS0_14default_configENS1_29reduce_by_key_config_selectorIalN6thrust23THRUST_200600_302600_NS4plusIlEEEEZZNS1_33reduce_by_key_impl_wrapped_configILNS1_25lookback_scan_determinismE0ES3_S9_PaNS6_17constant_iteratorIiNS6_11use_defaultESE_EENS6_10device_ptrIaEENSG_IlEEPmS8_NS6_8equal_toIaEEEE10hipError_tPvRmT2_T3_mT4_T5_T6_T7_T8_P12ihipStream_tbENKUlT_T0_E_clISt17integral_constantIbLb0EES13_EEDaSY_SZ_EUlSY_E_NS1_11comp_targetILNS1_3genE4ELNS1_11target_archE910ELNS1_3gpuE8ELNS1_3repE0EEENS1_30default_config_static_selectorELNS0_4arch9wavefront6targetE1EEEvT1_.kd
    .uniform_work_group_size: 1
    .uses_dynamic_stack: false
    .vgpr_count:     133
    .vgpr_spill_count: 0
    .wavefront_size: 64
  - .agpr_count:     0
    .args:
      - .offset:         0
        .size:           144
        .value_kind:     by_value
    .group_segment_fixed_size: 0
    .kernarg_segment_align: 8
    .kernarg_segment_size: 144
    .language:       OpenCL C
    .language_version:
      - 2
      - 0
    .max_flat_workgroup_size: 256
    .name:           _ZN7rocprim17ROCPRIM_400000_NS6detail17trampoline_kernelINS0_14default_configENS1_29reduce_by_key_config_selectorIalN6thrust23THRUST_200600_302600_NS4plusIlEEEEZZNS1_33reduce_by_key_impl_wrapped_configILNS1_25lookback_scan_determinismE0ES3_S9_PaNS6_17constant_iteratorIiNS6_11use_defaultESE_EENS6_10device_ptrIaEENSG_IlEEPmS8_NS6_8equal_toIaEEEE10hipError_tPvRmT2_T3_mT4_T5_T6_T7_T8_P12ihipStream_tbENKUlT_T0_E_clISt17integral_constantIbLb0EES13_EEDaSY_SZ_EUlSY_E_NS1_11comp_targetILNS1_3genE3ELNS1_11target_archE908ELNS1_3gpuE7ELNS1_3repE0EEENS1_30default_config_static_selectorELNS0_4arch9wavefront6targetE1EEEvT1_
    .private_segment_fixed_size: 0
    .sgpr_count:     4
    .sgpr_spill_count: 0
    .symbol:         _ZN7rocprim17ROCPRIM_400000_NS6detail17trampoline_kernelINS0_14default_configENS1_29reduce_by_key_config_selectorIalN6thrust23THRUST_200600_302600_NS4plusIlEEEEZZNS1_33reduce_by_key_impl_wrapped_configILNS1_25lookback_scan_determinismE0ES3_S9_PaNS6_17constant_iteratorIiNS6_11use_defaultESE_EENS6_10device_ptrIaEENSG_IlEEPmS8_NS6_8equal_toIaEEEE10hipError_tPvRmT2_T3_mT4_T5_T6_T7_T8_P12ihipStream_tbENKUlT_T0_E_clISt17integral_constantIbLb0EES13_EEDaSY_SZ_EUlSY_E_NS1_11comp_targetILNS1_3genE3ELNS1_11target_archE908ELNS1_3gpuE7ELNS1_3repE0EEENS1_30default_config_static_selectorELNS0_4arch9wavefront6targetE1EEEvT1_.kd
    .uniform_work_group_size: 1
    .uses_dynamic_stack: false
    .vgpr_count:     0
    .vgpr_spill_count: 0
    .wavefront_size: 64
  - .agpr_count:     0
    .args:
      - .offset:         0
        .size:           144
        .value_kind:     by_value
    .group_segment_fixed_size: 0
    .kernarg_segment_align: 8
    .kernarg_segment_size: 144
    .language:       OpenCL C
    .language_version:
      - 2
      - 0
    .max_flat_workgroup_size: 256
    .name:           _ZN7rocprim17ROCPRIM_400000_NS6detail17trampoline_kernelINS0_14default_configENS1_29reduce_by_key_config_selectorIalN6thrust23THRUST_200600_302600_NS4plusIlEEEEZZNS1_33reduce_by_key_impl_wrapped_configILNS1_25lookback_scan_determinismE0ES3_S9_PaNS6_17constant_iteratorIiNS6_11use_defaultESE_EENS6_10device_ptrIaEENSG_IlEEPmS8_NS6_8equal_toIaEEEE10hipError_tPvRmT2_T3_mT4_T5_T6_T7_T8_P12ihipStream_tbENKUlT_T0_E_clISt17integral_constantIbLb0EES13_EEDaSY_SZ_EUlSY_E_NS1_11comp_targetILNS1_3genE2ELNS1_11target_archE906ELNS1_3gpuE6ELNS1_3repE0EEENS1_30default_config_static_selectorELNS0_4arch9wavefront6targetE1EEEvT1_
    .private_segment_fixed_size: 0
    .sgpr_count:     4
    .sgpr_spill_count: 0
    .symbol:         _ZN7rocprim17ROCPRIM_400000_NS6detail17trampoline_kernelINS0_14default_configENS1_29reduce_by_key_config_selectorIalN6thrust23THRUST_200600_302600_NS4plusIlEEEEZZNS1_33reduce_by_key_impl_wrapped_configILNS1_25lookback_scan_determinismE0ES3_S9_PaNS6_17constant_iteratorIiNS6_11use_defaultESE_EENS6_10device_ptrIaEENSG_IlEEPmS8_NS6_8equal_toIaEEEE10hipError_tPvRmT2_T3_mT4_T5_T6_T7_T8_P12ihipStream_tbENKUlT_T0_E_clISt17integral_constantIbLb0EES13_EEDaSY_SZ_EUlSY_E_NS1_11comp_targetILNS1_3genE2ELNS1_11target_archE906ELNS1_3gpuE6ELNS1_3repE0EEENS1_30default_config_static_selectorELNS0_4arch9wavefront6targetE1EEEvT1_.kd
    .uniform_work_group_size: 1
    .uses_dynamic_stack: false
    .vgpr_count:     0
    .vgpr_spill_count: 0
    .wavefront_size: 64
  - .agpr_count:     0
    .args:
      - .offset:         0
        .size:           144
        .value_kind:     by_value
    .group_segment_fixed_size: 0
    .kernarg_segment_align: 8
    .kernarg_segment_size: 144
    .language:       OpenCL C
    .language_version:
      - 2
      - 0
    .max_flat_workgroup_size: 256
    .name:           _ZN7rocprim17ROCPRIM_400000_NS6detail17trampoline_kernelINS0_14default_configENS1_29reduce_by_key_config_selectorIalN6thrust23THRUST_200600_302600_NS4plusIlEEEEZZNS1_33reduce_by_key_impl_wrapped_configILNS1_25lookback_scan_determinismE0ES3_S9_PaNS6_17constant_iteratorIiNS6_11use_defaultESE_EENS6_10device_ptrIaEENSG_IlEEPmS8_NS6_8equal_toIaEEEE10hipError_tPvRmT2_T3_mT4_T5_T6_T7_T8_P12ihipStream_tbENKUlT_T0_E_clISt17integral_constantIbLb0EES13_EEDaSY_SZ_EUlSY_E_NS1_11comp_targetILNS1_3genE10ELNS1_11target_archE1201ELNS1_3gpuE5ELNS1_3repE0EEENS1_30default_config_static_selectorELNS0_4arch9wavefront6targetE1EEEvT1_
    .private_segment_fixed_size: 0
    .sgpr_count:     4
    .sgpr_spill_count: 0
    .symbol:         _ZN7rocprim17ROCPRIM_400000_NS6detail17trampoline_kernelINS0_14default_configENS1_29reduce_by_key_config_selectorIalN6thrust23THRUST_200600_302600_NS4plusIlEEEEZZNS1_33reduce_by_key_impl_wrapped_configILNS1_25lookback_scan_determinismE0ES3_S9_PaNS6_17constant_iteratorIiNS6_11use_defaultESE_EENS6_10device_ptrIaEENSG_IlEEPmS8_NS6_8equal_toIaEEEE10hipError_tPvRmT2_T3_mT4_T5_T6_T7_T8_P12ihipStream_tbENKUlT_T0_E_clISt17integral_constantIbLb0EES13_EEDaSY_SZ_EUlSY_E_NS1_11comp_targetILNS1_3genE10ELNS1_11target_archE1201ELNS1_3gpuE5ELNS1_3repE0EEENS1_30default_config_static_selectorELNS0_4arch9wavefront6targetE1EEEvT1_.kd
    .uniform_work_group_size: 1
    .uses_dynamic_stack: false
    .vgpr_count:     0
    .vgpr_spill_count: 0
    .wavefront_size: 64
  - .agpr_count:     0
    .args:
      - .offset:         0
        .size:           144
        .value_kind:     by_value
    .group_segment_fixed_size: 0
    .kernarg_segment_align: 8
    .kernarg_segment_size: 144
    .language:       OpenCL C
    .language_version:
      - 2
      - 0
    .max_flat_workgroup_size: 256
    .name:           _ZN7rocprim17ROCPRIM_400000_NS6detail17trampoline_kernelINS0_14default_configENS1_29reduce_by_key_config_selectorIalN6thrust23THRUST_200600_302600_NS4plusIlEEEEZZNS1_33reduce_by_key_impl_wrapped_configILNS1_25lookback_scan_determinismE0ES3_S9_PaNS6_17constant_iteratorIiNS6_11use_defaultESE_EENS6_10device_ptrIaEENSG_IlEEPmS8_NS6_8equal_toIaEEEE10hipError_tPvRmT2_T3_mT4_T5_T6_T7_T8_P12ihipStream_tbENKUlT_T0_E_clISt17integral_constantIbLb0EES13_EEDaSY_SZ_EUlSY_E_NS1_11comp_targetILNS1_3genE10ELNS1_11target_archE1200ELNS1_3gpuE4ELNS1_3repE0EEENS1_30default_config_static_selectorELNS0_4arch9wavefront6targetE1EEEvT1_
    .private_segment_fixed_size: 0
    .sgpr_count:     4
    .sgpr_spill_count: 0
    .symbol:         _ZN7rocprim17ROCPRIM_400000_NS6detail17trampoline_kernelINS0_14default_configENS1_29reduce_by_key_config_selectorIalN6thrust23THRUST_200600_302600_NS4plusIlEEEEZZNS1_33reduce_by_key_impl_wrapped_configILNS1_25lookback_scan_determinismE0ES3_S9_PaNS6_17constant_iteratorIiNS6_11use_defaultESE_EENS6_10device_ptrIaEENSG_IlEEPmS8_NS6_8equal_toIaEEEE10hipError_tPvRmT2_T3_mT4_T5_T6_T7_T8_P12ihipStream_tbENKUlT_T0_E_clISt17integral_constantIbLb0EES13_EEDaSY_SZ_EUlSY_E_NS1_11comp_targetILNS1_3genE10ELNS1_11target_archE1200ELNS1_3gpuE4ELNS1_3repE0EEENS1_30default_config_static_selectorELNS0_4arch9wavefront6targetE1EEEvT1_.kd
    .uniform_work_group_size: 1
    .uses_dynamic_stack: false
    .vgpr_count:     0
    .vgpr_spill_count: 0
    .wavefront_size: 64
  - .agpr_count:     0
    .args:
      - .offset:         0
        .size:           144
        .value_kind:     by_value
    .group_segment_fixed_size: 0
    .kernarg_segment_align: 8
    .kernarg_segment_size: 144
    .language:       OpenCL C
    .language_version:
      - 2
      - 0
    .max_flat_workgroup_size: 256
    .name:           _ZN7rocprim17ROCPRIM_400000_NS6detail17trampoline_kernelINS0_14default_configENS1_29reduce_by_key_config_selectorIalN6thrust23THRUST_200600_302600_NS4plusIlEEEEZZNS1_33reduce_by_key_impl_wrapped_configILNS1_25lookback_scan_determinismE0ES3_S9_PaNS6_17constant_iteratorIiNS6_11use_defaultESE_EENS6_10device_ptrIaEENSG_IlEEPmS8_NS6_8equal_toIaEEEE10hipError_tPvRmT2_T3_mT4_T5_T6_T7_T8_P12ihipStream_tbENKUlT_T0_E_clISt17integral_constantIbLb0EES13_EEDaSY_SZ_EUlSY_E_NS1_11comp_targetILNS1_3genE9ELNS1_11target_archE1100ELNS1_3gpuE3ELNS1_3repE0EEENS1_30default_config_static_selectorELNS0_4arch9wavefront6targetE1EEEvT1_
    .private_segment_fixed_size: 0
    .sgpr_count:     4
    .sgpr_spill_count: 0
    .symbol:         _ZN7rocprim17ROCPRIM_400000_NS6detail17trampoline_kernelINS0_14default_configENS1_29reduce_by_key_config_selectorIalN6thrust23THRUST_200600_302600_NS4plusIlEEEEZZNS1_33reduce_by_key_impl_wrapped_configILNS1_25lookback_scan_determinismE0ES3_S9_PaNS6_17constant_iteratorIiNS6_11use_defaultESE_EENS6_10device_ptrIaEENSG_IlEEPmS8_NS6_8equal_toIaEEEE10hipError_tPvRmT2_T3_mT4_T5_T6_T7_T8_P12ihipStream_tbENKUlT_T0_E_clISt17integral_constantIbLb0EES13_EEDaSY_SZ_EUlSY_E_NS1_11comp_targetILNS1_3genE9ELNS1_11target_archE1100ELNS1_3gpuE3ELNS1_3repE0EEENS1_30default_config_static_selectorELNS0_4arch9wavefront6targetE1EEEvT1_.kd
    .uniform_work_group_size: 1
    .uses_dynamic_stack: false
    .vgpr_count:     0
    .vgpr_spill_count: 0
    .wavefront_size: 64
  - .agpr_count:     0
    .args:
      - .offset:         0
        .size:           144
        .value_kind:     by_value
    .group_segment_fixed_size: 0
    .kernarg_segment_align: 8
    .kernarg_segment_size: 144
    .language:       OpenCL C
    .language_version:
      - 2
      - 0
    .max_flat_workgroup_size: 256
    .name:           _ZN7rocprim17ROCPRIM_400000_NS6detail17trampoline_kernelINS0_14default_configENS1_29reduce_by_key_config_selectorIalN6thrust23THRUST_200600_302600_NS4plusIlEEEEZZNS1_33reduce_by_key_impl_wrapped_configILNS1_25lookback_scan_determinismE0ES3_S9_PaNS6_17constant_iteratorIiNS6_11use_defaultESE_EENS6_10device_ptrIaEENSG_IlEEPmS8_NS6_8equal_toIaEEEE10hipError_tPvRmT2_T3_mT4_T5_T6_T7_T8_P12ihipStream_tbENKUlT_T0_E_clISt17integral_constantIbLb0EES13_EEDaSY_SZ_EUlSY_E_NS1_11comp_targetILNS1_3genE8ELNS1_11target_archE1030ELNS1_3gpuE2ELNS1_3repE0EEENS1_30default_config_static_selectorELNS0_4arch9wavefront6targetE1EEEvT1_
    .private_segment_fixed_size: 0
    .sgpr_count:     4
    .sgpr_spill_count: 0
    .symbol:         _ZN7rocprim17ROCPRIM_400000_NS6detail17trampoline_kernelINS0_14default_configENS1_29reduce_by_key_config_selectorIalN6thrust23THRUST_200600_302600_NS4plusIlEEEEZZNS1_33reduce_by_key_impl_wrapped_configILNS1_25lookback_scan_determinismE0ES3_S9_PaNS6_17constant_iteratorIiNS6_11use_defaultESE_EENS6_10device_ptrIaEENSG_IlEEPmS8_NS6_8equal_toIaEEEE10hipError_tPvRmT2_T3_mT4_T5_T6_T7_T8_P12ihipStream_tbENKUlT_T0_E_clISt17integral_constantIbLb0EES13_EEDaSY_SZ_EUlSY_E_NS1_11comp_targetILNS1_3genE8ELNS1_11target_archE1030ELNS1_3gpuE2ELNS1_3repE0EEENS1_30default_config_static_selectorELNS0_4arch9wavefront6targetE1EEEvT1_.kd
    .uniform_work_group_size: 1
    .uses_dynamic_stack: false
    .vgpr_count:     0
    .vgpr_spill_count: 0
    .wavefront_size: 64
  - .agpr_count:     0
    .args:
      - .offset:         0
        .size:           144
        .value_kind:     by_value
    .group_segment_fixed_size: 0
    .kernarg_segment_align: 8
    .kernarg_segment_size: 144
    .language:       OpenCL C
    .language_version:
      - 2
      - 0
    .max_flat_workgroup_size: 256
    .name:           _ZN7rocprim17ROCPRIM_400000_NS6detail17trampoline_kernelINS0_14default_configENS1_29reduce_by_key_config_selectorIalN6thrust23THRUST_200600_302600_NS4plusIlEEEEZZNS1_33reduce_by_key_impl_wrapped_configILNS1_25lookback_scan_determinismE0ES3_S9_PaNS6_17constant_iteratorIiNS6_11use_defaultESE_EENS6_10device_ptrIaEENSG_IlEEPmS8_NS6_8equal_toIaEEEE10hipError_tPvRmT2_T3_mT4_T5_T6_T7_T8_P12ihipStream_tbENKUlT_T0_E_clISt17integral_constantIbLb1EES13_EEDaSY_SZ_EUlSY_E_NS1_11comp_targetILNS1_3genE0ELNS1_11target_archE4294967295ELNS1_3gpuE0ELNS1_3repE0EEENS1_30default_config_static_selectorELNS0_4arch9wavefront6targetE1EEEvT1_
    .private_segment_fixed_size: 0
    .sgpr_count:     4
    .sgpr_spill_count: 0
    .symbol:         _ZN7rocprim17ROCPRIM_400000_NS6detail17trampoline_kernelINS0_14default_configENS1_29reduce_by_key_config_selectorIalN6thrust23THRUST_200600_302600_NS4plusIlEEEEZZNS1_33reduce_by_key_impl_wrapped_configILNS1_25lookback_scan_determinismE0ES3_S9_PaNS6_17constant_iteratorIiNS6_11use_defaultESE_EENS6_10device_ptrIaEENSG_IlEEPmS8_NS6_8equal_toIaEEEE10hipError_tPvRmT2_T3_mT4_T5_T6_T7_T8_P12ihipStream_tbENKUlT_T0_E_clISt17integral_constantIbLb1EES13_EEDaSY_SZ_EUlSY_E_NS1_11comp_targetILNS1_3genE0ELNS1_11target_archE4294967295ELNS1_3gpuE0ELNS1_3repE0EEENS1_30default_config_static_selectorELNS0_4arch9wavefront6targetE1EEEvT1_.kd
    .uniform_work_group_size: 1
    .uses_dynamic_stack: false
    .vgpr_count:     0
    .vgpr_spill_count: 0
    .wavefront_size: 64
  - .agpr_count:     0
    .args:
      - .offset:         0
        .size:           144
        .value_kind:     by_value
    .group_segment_fixed_size: 0
    .kernarg_segment_align: 8
    .kernarg_segment_size: 144
    .language:       OpenCL C
    .language_version:
      - 2
      - 0
    .max_flat_workgroup_size: 256
    .name:           _ZN7rocprim17ROCPRIM_400000_NS6detail17trampoline_kernelINS0_14default_configENS1_29reduce_by_key_config_selectorIalN6thrust23THRUST_200600_302600_NS4plusIlEEEEZZNS1_33reduce_by_key_impl_wrapped_configILNS1_25lookback_scan_determinismE0ES3_S9_PaNS6_17constant_iteratorIiNS6_11use_defaultESE_EENS6_10device_ptrIaEENSG_IlEEPmS8_NS6_8equal_toIaEEEE10hipError_tPvRmT2_T3_mT4_T5_T6_T7_T8_P12ihipStream_tbENKUlT_T0_E_clISt17integral_constantIbLb1EES13_EEDaSY_SZ_EUlSY_E_NS1_11comp_targetILNS1_3genE5ELNS1_11target_archE942ELNS1_3gpuE9ELNS1_3repE0EEENS1_30default_config_static_selectorELNS0_4arch9wavefront6targetE1EEEvT1_
    .private_segment_fixed_size: 0
    .sgpr_count:     4
    .sgpr_spill_count: 0
    .symbol:         _ZN7rocprim17ROCPRIM_400000_NS6detail17trampoline_kernelINS0_14default_configENS1_29reduce_by_key_config_selectorIalN6thrust23THRUST_200600_302600_NS4plusIlEEEEZZNS1_33reduce_by_key_impl_wrapped_configILNS1_25lookback_scan_determinismE0ES3_S9_PaNS6_17constant_iteratorIiNS6_11use_defaultESE_EENS6_10device_ptrIaEENSG_IlEEPmS8_NS6_8equal_toIaEEEE10hipError_tPvRmT2_T3_mT4_T5_T6_T7_T8_P12ihipStream_tbENKUlT_T0_E_clISt17integral_constantIbLb1EES13_EEDaSY_SZ_EUlSY_E_NS1_11comp_targetILNS1_3genE5ELNS1_11target_archE942ELNS1_3gpuE9ELNS1_3repE0EEENS1_30default_config_static_selectorELNS0_4arch9wavefront6targetE1EEEvT1_.kd
    .uniform_work_group_size: 1
    .uses_dynamic_stack: false
    .vgpr_count:     0
    .vgpr_spill_count: 0
    .wavefront_size: 64
  - .agpr_count:     0
    .args:
      - .offset:         0
        .size:           144
        .value_kind:     by_value
    .group_segment_fixed_size: 30720
    .kernarg_segment_align: 8
    .kernarg_segment_size: 144
    .language:       OpenCL C
    .language_version:
      - 2
      - 0
    .max_flat_workgroup_size: 256
    .name:           _ZN7rocprim17ROCPRIM_400000_NS6detail17trampoline_kernelINS0_14default_configENS1_29reduce_by_key_config_selectorIalN6thrust23THRUST_200600_302600_NS4plusIlEEEEZZNS1_33reduce_by_key_impl_wrapped_configILNS1_25lookback_scan_determinismE0ES3_S9_PaNS6_17constant_iteratorIiNS6_11use_defaultESE_EENS6_10device_ptrIaEENSG_IlEEPmS8_NS6_8equal_toIaEEEE10hipError_tPvRmT2_T3_mT4_T5_T6_T7_T8_P12ihipStream_tbENKUlT_T0_E_clISt17integral_constantIbLb1EES13_EEDaSY_SZ_EUlSY_E_NS1_11comp_targetILNS1_3genE4ELNS1_11target_archE910ELNS1_3gpuE8ELNS1_3repE0EEENS1_30default_config_static_selectorELNS0_4arch9wavefront6targetE1EEEvT1_
    .private_segment_fixed_size: 0
    .sgpr_count:     69
    .sgpr_spill_count: 0
    .symbol:         _ZN7rocprim17ROCPRIM_400000_NS6detail17trampoline_kernelINS0_14default_configENS1_29reduce_by_key_config_selectorIalN6thrust23THRUST_200600_302600_NS4plusIlEEEEZZNS1_33reduce_by_key_impl_wrapped_configILNS1_25lookback_scan_determinismE0ES3_S9_PaNS6_17constant_iteratorIiNS6_11use_defaultESE_EENS6_10device_ptrIaEENSG_IlEEPmS8_NS6_8equal_toIaEEEE10hipError_tPvRmT2_T3_mT4_T5_T6_T7_T8_P12ihipStream_tbENKUlT_T0_E_clISt17integral_constantIbLb1EES13_EEDaSY_SZ_EUlSY_E_NS1_11comp_targetILNS1_3genE4ELNS1_11target_archE910ELNS1_3gpuE8ELNS1_3repE0EEENS1_30default_config_static_selectorELNS0_4arch9wavefront6targetE1EEEvT1_.kd
    .uniform_work_group_size: 1
    .uses_dynamic_stack: false
    .vgpr_count:     133
    .vgpr_spill_count: 0
    .wavefront_size: 64
  - .agpr_count:     0
    .args:
      - .offset:         0
        .size:           144
        .value_kind:     by_value
    .group_segment_fixed_size: 0
    .kernarg_segment_align: 8
    .kernarg_segment_size: 144
    .language:       OpenCL C
    .language_version:
      - 2
      - 0
    .max_flat_workgroup_size: 256
    .name:           _ZN7rocprim17ROCPRIM_400000_NS6detail17trampoline_kernelINS0_14default_configENS1_29reduce_by_key_config_selectorIalN6thrust23THRUST_200600_302600_NS4plusIlEEEEZZNS1_33reduce_by_key_impl_wrapped_configILNS1_25lookback_scan_determinismE0ES3_S9_PaNS6_17constant_iteratorIiNS6_11use_defaultESE_EENS6_10device_ptrIaEENSG_IlEEPmS8_NS6_8equal_toIaEEEE10hipError_tPvRmT2_T3_mT4_T5_T6_T7_T8_P12ihipStream_tbENKUlT_T0_E_clISt17integral_constantIbLb1EES13_EEDaSY_SZ_EUlSY_E_NS1_11comp_targetILNS1_3genE3ELNS1_11target_archE908ELNS1_3gpuE7ELNS1_3repE0EEENS1_30default_config_static_selectorELNS0_4arch9wavefront6targetE1EEEvT1_
    .private_segment_fixed_size: 0
    .sgpr_count:     4
    .sgpr_spill_count: 0
    .symbol:         _ZN7rocprim17ROCPRIM_400000_NS6detail17trampoline_kernelINS0_14default_configENS1_29reduce_by_key_config_selectorIalN6thrust23THRUST_200600_302600_NS4plusIlEEEEZZNS1_33reduce_by_key_impl_wrapped_configILNS1_25lookback_scan_determinismE0ES3_S9_PaNS6_17constant_iteratorIiNS6_11use_defaultESE_EENS6_10device_ptrIaEENSG_IlEEPmS8_NS6_8equal_toIaEEEE10hipError_tPvRmT2_T3_mT4_T5_T6_T7_T8_P12ihipStream_tbENKUlT_T0_E_clISt17integral_constantIbLb1EES13_EEDaSY_SZ_EUlSY_E_NS1_11comp_targetILNS1_3genE3ELNS1_11target_archE908ELNS1_3gpuE7ELNS1_3repE0EEENS1_30default_config_static_selectorELNS0_4arch9wavefront6targetE1EEEvT1_.kd
    .uniform_work_group_size: 1
    .uses_dynamic_stack: false
    .vgpr_count:     0
    .vgpr_spill_count: 0
    .wavefront_size: 64
  - .agpr_count:     0
    .args:
      - .offset:         0
        .size:           144
        .value_kind:     by_value
    .group_segment_fixed_size: 0
    .kernarg_segment_align: 8
    .kernarg_segment_size: 144
    .language:       OpenCL C
    .language_version:
      - 2
      - 0
    .max_flat_workgroup_size: 256
    .name:           _ZN7rocprim17ROCPRIM_400000_NS6detail17trampoline_kernelINS0_14default_configENS1_29reduce_by_key_config_selectorIalN6thrust23THRUST_200600_302600_NS4plusIlEEEEZZNS1_33reduce_by_key_impl_wrapped_configILNS1_25lookback_scan_determinismE0ES3_S9_PaNS6_17constant_iteratorIiNS6_11use_defaultESE_EENS6_10device_ptrIaEENSG_IlEEPmS8_NS6_8equal_toIaEEEE10hipError_tPvRmT2_T3_mT4_T5_T6_T7_T8_P12ihipStream_tbENKUlT_T0_E_clISt17integral_constantIbLb1EES13_EEDaSY_SZ_EUlSY_E_NS1_11comp_targetILNS1_3genE2ELNS1_11target_archE906ELNS1_3gpuE6ELNS1_3repE0EEENS1_30default_config_static_selectorELNS0_4arch9wavefront6targetE1EEEvT1_
    .private_segment_fixed_size: 0
    .sgpr_count:     4
    .sgpr_spill_count: 0
    .symbol:         _ZN7rocprim17ROCPRIM_400000_NS6detail17trampoline_kernelINS0_14default_configENS1_29reduce_by_key_config_selectorIalN6thrust23THRUST_200600_302600_NS4plusIlEEEEZZNS1_33reduce_by_key_impl_wrapped_configILNS1_25lookback_scan_determinismE0ES3_S9_PaNS6_17constant_iteratorIiNS6_11use_defaultESE_EENS6_10device_ptrIaEENSG_IlEEPmS8_NS6_8equal_toIaEEEE10hipError_tPvRmT2_T3_mT4_T5_T6_T7_T8_P12ihipStream_tbENKUlT_T0_E_clISt17integral_constantIbLb1EES13_EEDaSY_SZ_EUlSY_E_NS1_11comp_targetILNS1_3genE2ELNS1_11target_archE906ELNS1_3gpuE6ELNS1_3repE0EEENS1_30default_config_static_selectorELNS0_4arch9wavefront6targetE1EEEvT1_.kd
    .uniform_work_group_size: 1
    .uses_dynamic_stack: false
    .vgpr_count:     0
    .vgpr_spill_count: 0
    .wavefront_size: 64
  - .agpr_count:     0
    .args:
      - .offset:         0
        .size:           144
        .value_kind:     by_value
    .group_segment_fixed_size: 0
    .kernarg_segment_align: 8
    .kernarg_segment_size: 144
    .language:       OpenCL C
    .language_version:
      - 2
      - 0
    .max_flat_workgroup_size: 256
    .name:           _ZN7rocprim17ROCPRIM_400000_NS6detail17trampoline_kernelINS0_14default_configENS1_29reduce_by_key_config_selectorIalN6thrust23THRUST_200600_302600_NS4plusIlEEEEZZNS1_33reduce_by_key_impl_wrapped_configILNS1_25lookback_scan_determinismE0ES3_S9_PaNS6_17constant_iteratorIiNS6_11use_defaultESE_EENS6_10device_ptrIaEENSG_IlEEPmS8_NS6_8equal_toIaEEEE10hipError_tPvRmT2_T3_mT4_T5_T6_T7_T8_P12ihipStream_tbENKUlT_T0_E_clISt17integral_constantIbLb1EES13_EEDaSY_SZ_EUlSY_E_NS1_11comp_targetILNS1_3genE10ELNS1_11target_archE1201ELNS1_3gpuE5ELNS1_3repE0EEENS1_30default_config_static_selectorELNS0_4arch9wavefront6targetE1EEEvT1_
    .private_segment_fixed_size: 0
    .sgpr_count:     4
    .sgpr_spill_count: 0
    .symbol:         _ZN7rocprim17ROCPRIM_400000_NS6detail17trampoline_kernelINS0_14default_configENS1_29reduce_by_key_config_selectorIalN6thrust23THRUST_200600_302600_NS4plusIlEEEEZZNS1_33reduce_by_key_impl_wrapped_configILNS1_25lookback_scan_determinismE0ES3_S9_PaNS6_17constant_iteratorIiNS6_11use_defaultESE_EENS6_10device_ptrIaEENSG_IlEEPmS8_NS6_8equal_toIaEEEE10hipError_tPvRmT2_T3_mT4_T5_T6_T7_T8_P12ihipStream_tbENKUlT_T0_E_clISt17integral_constantIbLb1EES13_EEDaSY_SZ_EUlSY_E_NS1_11comp_targetILNS1_3genE10ELNS1_11target_archE1201ELNS1_3gpuE5ELNS1_3repE0EEENS1_30default_config_static_selectorELNS0_4arch9wavefront6targetE1EEEvT1_.kd
    .uniform_work_group_size: 1
    .uses_dynamic_stack: false
    .vgpr_count:     0
    .vgpr_spill_count: 0
    .wavefront_size: 64
  - .agpr_count:     0
    .args:
      - .offset:         0
        .size:           144
        .value_kind:     by_value
    .group_segment_fixed_size: 0
    .kernarg_segment_align: 8
    .kernarg_segment_size: 144
    .language:       OpenCL C
    .language_version:
      - 2
      - 0
    .max_flat_workgroup_size: 256
    .name:           _ZN7rocprim17ROCPRIM_400000_NS6detail17trampoline_kernelINS0_14default_configENS1_29reduce_by_key_config_selectorIalN6thrust23THRUST_200600_302600_NS4plusIlEEEEZZNS1_33reduce_by_key_impl_wrapped_configILNS1_25lookback_scan_determinismE0ES3_S9_PaNS6_17constant_iteratorIiNS6_11use_defaultESE_EENS6_10device_ptrIaEENSG_IlEEPmS8_NS6_8equal_toIaEEEE10hipError_tPvRmT2_T3_mT4_T5_T6_T7_T8_P12ihipStream_tbENKUlT_T0_E_clISt17integral_constantIbLb1EES13_EEDaSY_SZ_EUlSY_E_NS1_11comp_targetILNS1_3genE10ELNS1_11target_archE1200ELNS1_3gpuE4ELNS1_3repE0EEENS1_30default_config_static_selectorELNS0_4arch9wavefront6targetE1EEEvT1_
    .private_segment_fixed_size: 0
    .sgpr_count:     4
    .sgpr_spill_count: 0
    .symbol:         _ZN7rocprim17ROCPRIM_400000_NS6detail17trampoline_kernelINS0_14default_configENS1_29reduce_by_key_config_selectorIalN6thrust23THRUST_200600_302600_NS4plusIlEEEEZZNS1_33reduce_by_key_impl_wrapped_configILNS1_25lookback_scan_determinismE0ES3_S9_PaNS6_17constant_iteratorIiNS6_11use_defaultESE_EENS6_10device_ptrIaEENSG_IlEEPmS8_NS6_8equal_toIaEEEE10hipError_tPvRmT2_T3_mT4_T5_T6_T7_T8_P12ihipStream_tbENKUlT_T0_E_clISt17integral_constantIbLb1EES13_EEDaSY_SZ_EUlSY_E_NS1_11comp_targetILNS1_3genE10ELNS1_11target_archE1200ELNS1_3gpuE4ELNS1_3repE0EEENS1_30default_config_static_selectorELNS0_4arch9wavefront6targetE1EEEvT1_.kd
    .uniform_work_group_size: 1
    .uses_dynamic_stack: false
    .vgpr_count:     0
    .vgpr_spill_count: 0
    .wavefront_size: 64
  - .agpr_count:     0
    .args:
      - .offset:         0
        .size:           144
        .value_kind:     by_value
    .group_segment_fixed_size: 0
    .kernarg_segment_align: 8
    .kernarg_segment_size: 144
    .language:       OpenCL C
    .language_version:
      - 2
      - 0
    .max_flat_workgroup_size: 256
    .name:           _ZN7rocprim17ROCPRIM_400000_NS6detail17trampoline_kernelINS0_14default_configENS1_29reduce_by_key_config_selectorIalN6thrust23THRUST_200600_302600_NS4plusIlEEEEZZNS1_33reduce_by_key_impl_wrapped_configILNS1_25lookback_scan_determinismE0ES3_S9_PaNS6_17constant_iteratorIiNS6_11use_defaultESE_EENS6_10device_ptrIaEENSG_IlEEPmS8_NS6_8equal_toIaEEEE10hipError_tPvRmT2_T3_mT4_T5_T6_T7_T8_P12ihipStream_tbENKUlT_T0_E_clISt17integral_constantIbLb1EES13_EEDaSY_SZ_EUlSY_E_NS1_11comp_targetILNS1_3genE9ELNS1_11target_archE1100ELNS1_3gpuE3ELNS1_3repE0EEENS1_30default_config_static_selectorELNS0_4arch9wavefront6targetE1EEEvT1_
    .private_segment_fixed_size: 0
    .sgpr_count:     4
    .sgpr_spill_count: 0
    .symbol:         _ZN7rocprim17ROCPRIM_400000_NS6detail17trampoline_kernelINS0_14default_configENS1_29reduce_by_key_config_selectorIalN6thrust23THRUST_200600_302600_NS4plusIlEEEEZZNS1_33reduce_by_key_impl_wrapped_configILNS1_25lookback_scan_determinismE0ES3_S9_PaNS6_17constant_iteratorIiNS6_11use_defaultESE_EENS6_10device_ptrIaEENSG_IlEEPmS8_NS6_8equal_toIaEEEE10hipError_tPvRmT2_T3_mT4_T5_T6_T7_T8_P12ihipStream_tbENKUlT_T0_E_clISt17integral_constantIbLb1EES13_EEDaSY_SZ_EUlSY_E_NS1_11comp_targetILNS1_3genE9ELNS1_11target_archE1100ELNS1_3gpuE3ELNS1_3repE0EEENS1_30default_config_static_selectorELNS0_4arch9wavefront6targetE1EEEvT1_.kd
    .uniform_work_group_size: 1
    .uses_dynamic_stack: false
    .vgpr_count:     0
    .vgpr_spill_count: 0
    .wavefront_size: 64
  - .agpr_count:     0
    .args:
      - .offset:         0
        .size:           144
        .value_kind:     by_value
    .group_segment_fixed_size: 0
    .kernarg_segment_align: 8
    .kernarg_segment_size: 144
    .language:       OpenCL C
    .language_version:
      - 2
      - 0
    .max_flat_workgroup_size: 256
    .name:           _ZN7rocprim17ROCPRIM_400000_NS6detail17trampoline_kernelINS0_14default_configENS1_29reduce_by_key_config_selectorIalN6thrust23THRUST_200600_302600_NS4plusIlEEEEZZNS1_33reduce_by_key_impl_wrapped_configILNS1_25lookback_scan_determinismE0ES3_S9_PaNS6_17constant_iteratorIiNS6_11use_defaultESE_EENS6_10device_ptrIaEENSG_IlEEPmS8_NS6_8equal_toIaEEEE10hipError_tPvRmT2_T3_mT4_T5_T6_T7_T8_P12ihipStream_tbENKUlT_T0_E_clISt17integral_constantIbLb1EES13_EEDaSY_SZ_EUlSY_E_NS1_11comp_targetILNS1_3genE8ELNS1_11target_archE1030ELNS1_3gpuE2ELNS1_3repE0EEENS1_30default_config_static_selectorELNS0_4arch9wavefront6targetE1EEEvT1_
    .private_segment_fixed_size: 0
    .sgpr_count:     4
    .sgpr_spill_count: 0
    .symbol:         _ZN7rocprim17ROCPRIM_400000_NS6detail17trampoline_kernelINS0_14default_configENS1_29reduce_by_key_config_selectorIalN6thrust23THRUST_200600_302600_NS4plusIlEEEEZZNS1_33reduce_by_key_impl_wrapped_configILNS1_25lookback_scan_determinismE0ES3_S9_PaNS6_17constant_iteratorIiNS6_11use_defaultESE_EENS6_10device_ptrIaEENSG_IlEEPmS8_NS6_8equal_toIaEEEE10hipError_tPvRmT2_T3_mT4_T5_T6_T7_T8_P12ihipStream_tbENKUlT_T0_E_clISt17integral_constantIbLb1EES13_EEDaSY_SZ_EUlSY_E_NS1_11comp_targetILNS1_3genE8ELNS1_11target_archE1030ELNS1_3gpuE2ELNS1_3repE0EEENS1_30default_config_static_selectorELNS0_4arch9wavefront6targetE1EEEvT1_.kd
    .uniform_work_group_size: 1
    .uses_dynamic_stack: false
    .vgpr_count:     0
    .vgpr_spill_count: 0
    .wavefront_size: 64
  - .agpr_count:     0
    .args:
      - .offset:         0
        .size:           144
        .value_kind:     by_value
    .group_segment_fixed_size: 0
    .kernarg_segment_align: 8
    .kernarg_segment_size: 144
    .language:       OpenCL C
    .language_version:
      - 2
      - 0
    .max_flat_workgroup_size: 256
    .name:           _ZN7rocprim17ROCPRIM_400000_NS6detail17trampoline_kernelINS0_14default_configENS1_29reduce_by_key_config_selectorIalN6thrust23THRUST_200600_302600_NS4plusIlEEEEZZNS1_33reduce_by_key_impl_wrapped_configILNS1_25lookback_scan_determinismE0ES3_S9_PaNS6_17constant_iteratorIiNS6_11use_defaultESE_EENS6_10device_ptrIaEENSG_IlEEPmS8_NS6_8equal_toIaEEEE10hipError_tPvRmT2_T3_mT4_T5_T6_T7_T8_P12ihipStream_tbENKUlT_T0_E_clISt17integral_constantIbLb1EES12_IbLb0EEEEDaSY_SZ_EUlSY_E_NS1_11comp_targetILNS1_3genE0ELNS1_11target_archE4294967295ELNS1_3gpuE0ELNS1_3repE0EEENS1_30default_config_static_selectorELNS0_4arch9wavefront6targetE1EEEvT1_
    .private_segment_fixed_size: 0
    .sgpr_count:     4
    .sgpr_spill_count: 0
    .symbol:         _ZN7rocprim17ROCPRIM_400000_NS6detail17trampoline_kernelINS0_14default_configENS1_29reduce_by_key_config_selectorIalN6thrust23THRUST_200600_302600_NS4plusIlEEEEZZNS1_33reduce_by_key_impl_wrapped_configILNS1_25lookback_scan_determinismE0ES3_S9_PaNS6_17constant_iteratorIiNS6_11use_defaultESE_EENS6_10device_ptrIaEENSG_IlEEPmS8_NS6_8equal_toIaEEEE10hipError_tPvRmT2_T3_mT4_T5_T6_T7_T8_P12ihipStream_tbENKUlT_T0_E_clISt17integral_constantIbLb1EES12_IbLb0EEEEDaSY_SZ_EUlSY_E_NS1_11comp_targetILNS1_3genE0ELNS1_11target_archE4294967295ELNS1_3gpuE0ELNS1_3repE0EEENS1_30default_config_static_selectorELNS0_4arch9wavefront6targetE1EEEvT1_.kd
    .uniform_work_group_size: 1
    .uses_dynamic_stack: false
    .vgpr_count:     0
    .vgpr_spill_count: 0
    .wavefront_size: 64
  - .agpr_count:     0
    .args:
      - .offset:         0
        .size:           144
        .value_kind:     by_value
    .group_segment_fixed_size: 0
    .kernarg_segment_align: 8
    .kernarg_segment_size: 144
    .language:       OpenCL C
    .language_version:
      - 2
      - 0
    .max_flat_workgroup_size: 256
    .name:           _ZN7rocprim17ROCPRIM_400000_NS6detail17trampoline_kernelINS0_14default_configENS1_29reduce_by_key_config_selectorIalN6thrust23THRUST_200600_302600_NS4plusIlEEEEZZNS1_33reduce_by_key_impl_wrapped_configILNS1_25lookback_scan_determinismE0ES3_S9_PaNS6_17constant_iteratorIiNS6_11use_defaultESE_EENS6_10device_ptrIaEENSG_IlEEPmS8_NS6_8equal_toIaEEEE10hipError_tPvRmT2_T3_mT4_T5_T6_T7_T8_P12ihipStream_tbENKUlT_T0_E_clISt17integral_constantIbLb1EES12_IbLb0EEEEDaSY_SZ_EUlSY_E_NS1_11comp_targetILNS1_3genE5ELNS1_11target_archE942ELNS1_3gpuE9ELNS1_3repE0EEENS1_30default_config_static_selectorELNS0_4arch9wavefront6targetE1EEEvT1_
    .private_segment_fixed_size: 0
    .sgpr_count:     4
    .sgpr_spill_count: 0
    .symbol:         _ZN7rocprim17ROCPRIM_400000_NS6detail17trampoline_kernelINS0_14default_configENS1_29reduce_by_key_config_selectorIalN6thrust23THRUST_200600_302600_NS4plusIlEEEEZZNS1_33reduce_by_key_impl_wrapped_configILNS1_25lookback_scan_determinismE0ES3_S9_PaNS6_17constant_iteratorIiNS6_11use_defaultESE_EENS6_10device_ptrIaEENSG_IlEEPmS8_NS6_8equal_toIaEEEE10hipError_tPvRmT2_T3_mT4_T5_T6_T7_T8_P12ihipStream_tbENKUlT_T0_E_clISt17integral_constantIbLb1EES12_IbLb0EEEEDaSY_SZ_EUlSY_E_NS1_11comp_targetILNS1_3genE5ELNS1_11target_archE942ELNS1_3gpuE9ELNS1_3repE0EEENS1_30default_config_static_selectorELNS0_4arch9wavefront6targetE1EEEvT1_.kd
    .uniform_work_group_size: 1
    .uses_dynamic_stack: false
    .vgpr_count:     0
    .vgpr_spill_count: 0
    .wavefront_size: 64
  - .agpr_count:     0
    .args:
      - .offset:         0
        .size:           144
        .value_kind:     by_value
    .group_segment_fixed_size: 30720
    .kernarg_segment_align: 8
    .kernarg_segment_size: 144
    .language:       OpenCL C
    .language_version:
      - 2
      - 0
    .max_flat_workgroup_size: 256
    .name:           _ZN7rocprim17ROCPRIM_400000_NS6detail17trampoline_kernelINS0_14default_configENS1_29reduce_by_key_config_selectorIalN6thrust23THRUST_200600_302600_NS4plusIlEEEEZZNS1_33reduce_by_key_impl_wrapped_configILNS1_25lookback_scan_determinismE0ES3_S9_PaNS6_17constant_iteratorIiNS6_11use_defaultESE_EENS6_10device_ptrIaEENSG_IlEEPmS8_NS6_8equal_toIaEEEE10hipError_tPvRmT2_T3_mT4_T5_T6_T7_T8_P12ihipStream_tbENKUlT_T0_E_clISt17integral_constantIbLb1EES12_IbLb0EEEEDaSY_SZ_EUlSY_E_NS1_11comp_targetILNS1_3genE4ELNS1_11target_archE910ELNS1_3gpuE8ELNS1_3repE0EEENS1_30default_config_static_selectorELNS0_4arch9wavefront6targetE1EEEvT1_
    .private_segment_fixed_size: 0
    .sgpr_count:     68
    .sgpr_spill_count: 0
    .symbol:         _ZN7rocprim17ROCPRIM_400000_NS6detail17trampoline_kernelINS0_14default_configENS1_29reduce_by_key_config_selectorIalN6thrust23THRUST_200600_302600_NS4plusIlEEEEZZNS1_33reduce_by_key_impl_wrapped_configILNS1_25lookback_scan_determinismE0ES3_S9_PaNS6_17constant_iteratorIiNS6_11use_defaultESE_EENS6_10device_ptrIaEENSG_IlEEPmS8_NS6_8equal_toIaEEEE10hipError_tPvRmT2_T3_mT4_T5_T6_T7_T8_P12ihipStream_tbENKUlT_T0_E_clISt17integral_constantIbLb1EES12_IbLb0EEEEDaSY_SZ_EUlSY_E_NS1_11comp_targetILNS1_3genE4ELNS1_11target_archE910ELNS1_3gpuE8ELNS1_3repE0EEENS1_30default_config_static_selectorELNS0_4arch9wavefront6targetE1EEEvT1_.kd
    .uniform_work_group_size: 1
    .uses_dynamic_stack: false
    .vgpr_count:     133
    .vgpr_spill_count: 0
    .wavefront_size: 64
  - .agpr_count:     0
    .args:
      - .offset:         0
        .size:           144
        .value_kind:     by_value
    .group_segment_fixed_size: 0
    .kernarg_segment_align: 8
    .kernarg_segment_size: 144
    .language:       OpenCL C
    .language_version:
      - 2
      - 0
    .max_flat_workgroup_size: 256
    .name:           _ZN7rocprim17ROCPRIM_400000_NS6detail17trampoline_kernelINS0_14default_configENS1_29reduce_by_key_config_selectorIalN6thrust23THRUST_200600_302600_NS4plusIlEEEEZZNS1_33reduce_by_key_impl_wrapped_configILNS1_25lookback_scan_determinismE0ES3_S9_PaNS6_17constant_iteratorIiNS6_11use_defaultESE_EENS6_10device_ptrIaEENSG_IlEEPmS8_NS6_8equal_toIaEEEE10hipError_tPvRmT2_T3_mT4_T5_T6_T7_T8_P12ihipStream_tbENKUlT_T0_E_clISt17integral_constantIbLb1EES12_IbLb0EEEEDaSY_SZ_EUlSY_E_NS1_11comp_targetILNS1_3genE3ELNS1_11target_archE908ELNS1_3gpuE7ELNS1_3repE0EEENS1_30default_config_static_selectorELNS0_4arch9wavefront6targetE1EEEvT1_
    .private_segment_fixed_size: 0
    .sgpr_count:     4
    .sgpr_spill_count: 0
    .symbol:         _ZN7rocprim17ROCPRIM_400000_NS6detail17trampoline_kernelINS0_14default_configENS1_29reduce_by_key_config_selectorIalN6thrust23THRUST_200600_302600_NS4plusIlEEEEZZNS1_33reduce_by_key_impl_wrapped_configILNS1_25lookback_scan_determinismE0ES3_S9_PaNS6_17constant_iteratorIiNS6_11use_defaultESE_EENS6_10device_ptrIaEENSG_IlEEPmS8_NS6_8equal_toIaEEEE10hipError_tPvRmT2_T3_mT4_T5_T6_T7_T8_P12ihipStream_tbENKUlT_T0_E_clISt17integral_constantIbLb1EES12_IbLb0EEEEDaSY_SZ_EUlSY_E_NS1_11comp_targetILNS1_3genE3ELNS1_11target_archE908ELNS1_3gpuE7ELNS1_3repE0EEENS1_30default_config_static_selectorELNS0_4arch9wavefront6targetE1EEEvT1_.kd
    .uniform_work_group_size: 1
    .uses_dynamic_stack: false
    .vgpr_count:     0
    .vgpr_spill_count: 0
    .wavefront_size: 64
  - .agpr_count:     0
    .args:
      - .offset:         0
        .size:           144
        .value_kind:     by_value
    .group_segment_fixed_size: 0
    .kernarg_segment_align: 8
    .kernarg_segment_size: 144
    .language:       OpenCL C
    .language_version:
      - 2
      - 0
    .max_flat_workgroup_size: 256
    .name:           _ZN7rocprim17ROCPRIM_400000_NS6detail17trampoline_kernelINS0_14default_configENS1_29reduce_by_key_config_selectorIalN6thrust23THRUST_200600_302600_NS4plusIlEEEEZZNS1_33reduce_by_key_impl_wrapped_configILNS1_25lookback_scan_determinismE0ES3_S9_PaNS6_17constant_iteratorIiNS6_11use_defaultESE_EENS6_10device_ptrIaEENSG_IlEEPmS8_NS6_8equal_toIaEEEE10hipError_tPvRmT2_T3_mT4_T5_T6_T7_T8_P12ihipStream_tbENKUlT_T0_E_clISt17integral_constantIbLb1EES12_IbLb0EEEEDaSY_SZ_EUlSY_E_NS1_11comp_targetILNS1_3genE2ELNS1_11target_archE906ELNS1_3gpuE6ELNS1_3repE0EEENS1_30default_config_static_selectorELNS0_4arch9wavefront6targetE1EEEvT1_
    .private_segment_fixed_size: 0
    .sgpr_count:     4
    .sgpr_spill_count: 0
    .symbol:         _ZN7rocprim17ROCPRIM_400000_NS6detail17trampoline_kernelINS0_14default_configENS1_29reduce_by_key_config_selectorIalN6thrust23THRUST_200600_302600_NS4plusIlEEEEZZNS1_33reduce_by_key_impl_wrapped_configILNS1_25lookback_scan_determinismE0ES3_S9_PaNS6_17constant_iteratorIiNS6_11use_defaultESE_EENS6_10device_ptrIaEENSG_IlEEPmS8_NS6_8equal_toIaEEEE10hipError_tPvRmT2_T3_mT4_T5_T6_T7_T8_P12ihipStream_tbENKUlT_T0_E_clISt17integral_constantIbLb1EES12_IbLb0EEEEDaSY_SZ_EUlSY_E_NS1_11comp_targetILNS1_3genE2ELNS1_11target_archE906ELNS1_3gpuE6ELNS1_3repE0EEENS1_30default_config_static_selectorELNS0_4arch9wavefront6targetE1EEEvT1_.kd
    .uniform_work_group_size: 1
    .uses_dynamic_stack: false
    .vgpr_count:     0
    .vgpr_spill_count: 0
    .wavefront_size: 64
  - .agpr_count:     0
    .args:
      - .offset:         0
        .size:           144
        .value_kind:     by_value
    .group_segment_fixed_size: 0
    .kernarg_segment_align: 8
    .kernarg_segment_size: 144
    .language:       OpenCL C
    .language_version:
      - 2
      - 0
    .max_flat_workgroup_size: 256
    .name:           _ZN7rocprim17ROCPRIM_400000_NS6detail17trampoline_kernelINS0_14default_configENS1_29reduce_by_key_config_selectorIalN6thrust23THRUST_200600_302600_NS4plusIlEEEEZZNS1_33reduce_by_key_impl_wrapped_configILNS1_25lookback_scan_determinismE0ES3_S9_PaNS6_17constant_iteratorIiNS6_11use_defaultESE_EENS6_10device_ptrIaEENSG_IlEEPmS8_NS6_8equal_toIaEEEE10hipError_tPvRmT2_T3_mT4_T5_T6_T7_T8_P12ihipStream_tbENKUlT_T0_E_clISt17integral_constantIbLb1EES12_IbLb0EEEEDaSY_SZ_EUlSY_E_NS1_11comp_targetILNS1_3genE10ELNS1_11target_archE1201ELNS1_3gpuE5ELNS1_3repE0EEENS1_30default_config_static_selectorELNS0_4arch9wavefront6targetE1EEEvT1_
    .private_segment_fixed_size: 0
    .sgpr_count:     4
    .sgpr_spill_count: 0
    .symbol:         _ZN7rocprim17ROCPRIM_400000_NS6detail17trampoline_kernelINS0_14default_configENS1_29reduce_by_key_config_selectorIalN6thrust23THRUST_200600_302600_NS4plusIlEEEEZZNS1_33reduce_by_key_impl_wrapped_configILNS1_25lookback_scan_determinismE0ES3_S9_PaNS6_17constant_iteratorIiNS6_11use_defaultESE_EENS6_10device_ptrIaEENSG_IlEEPmS8_NS6_8equal_toIaEEEE10hipError_tPvRmT2_T3_mT4_T5_T6_T7_T8_P12ihipStream_tbENKUlT_T0_E_clISt17integral_constantIbLb1EES12_IbLb0EEEEDaSY_SZ_EUlSY_E_NS1_11comp_targetILNS1_3genE10ELNS1_11target_archE1201ELNS1_3gpuE5ELNS1_3repE0EEENS1_30default_config_static_selectorELNS0_4arch9wavefront6targetE1EEEvT1_.kd
    .uniform_work_group_size: 1
    .uses_dynamic_stack: false
    .vgpr_count:     0
    .vgpr_spill_count: 0
    .wavefront_size: 64
  - .agpr_count:     0
    .args:
      - .offset:         0
        .size:           144
        .value_kind:     by_value
    .group_segment_fixed_size: 0
    .kernarg_segment_align: 8
    .kernarg_segment_size: 144
    .language:       OpenCL C
    .language_version:
      - 2
      - 0
    .max_flat_workgroup_size: 256
    .name:           _ZN7rocprim17ROCPRIM_400000_NS6detail17trampoline_kernelINS0_14default_configENS1_29reduce_by_key_config_selectorIalN6thrust23THRUST_200600_302600_NS4plusIlEEEEZZNS1_33reduce_by_key_impl_wrapped_configILNS1_25lookback_scan_determinismE0ES3_S9_PaNS6_17constant_iteratorIiNS6_11use_defaultESE_EENS6_10device_ptrIaEENSG_IlEEPmS8_NS6_8equal_toIaEEEE10hipError_tPvRmT2_T3_mT4_T5_T6_T7_T8_P12ihipStream_tbENKUlT_T0_E_clISt17integral_constantIbLb1EES12_IbLb0EEEEDaSY_SZ_EUlSY_E_NS1_11comp_targetILNS1_3genE10ELNS1_11target_archE1200ELNS1_3gpuE4ELNS1_3repE0EEENS1_30default_config_static_selectorELNS0_4arch9wavefront6targetE1EEEvT1_
    .private_segment_fixed_size: 0
    .sgpr_count:     4
    .sgpr_spill_count: 0
    .symbol:         _ZN7rocprim17ROCPRIM_400000_NS6detail17trampoline_kernelINS0_14default_configENS1_29reduce_by_key_config_selectorIalN6thrust23THRUST_200600_302600_NS4plusIlEEEEZZNS1_33reduce_by_key_impl_wrapped_configILNS1_25lookback_scan_determinismE0ES3_S9_PaNS6_17constant_iteratorIiNS6_11use_defaultESE_EENS6_10device_ptrIaEENSG_IlEEPmS8_NS6_8equal_toIaEEEE10hipError_tPvRmT2_T3_mT4_T5_T6_T7_T8_P12ihipStream_tbENKUlT_T0_E_clISt17integral_constantIbLb1EES12_IbLb0EEEEDaSY_SZ_EUlSY_E_NS1_11comp_targetILNS1_3genE10ELNS1_11target_archE1200ELNS1_3gpuE4ELNS1_3repE0EEENS1_30default_config_static_selectorELNS0_4arch9wavefront6targetE1EEEvT1_.kd
    .uniform_work_group_size: 1
    .uses_dynamic_stack: false
    .vgpr_count:     0
    .vgpr_spill_count: 0
    .wavefront_size: 64
  - .agpr_count:     0
    .args:
      - .offset:         0
        .size:           144
        .value_kind:     by_value
    .group_segment_fixed_size: 0
    .kernarg_segment_align: 8
    .kernarg_segment_size: 144
    .language:       OpenCL C
    .language_version:
      - 2
      - 0
    .max_flat_workgroup_size: 256
    .name:           _ZN7rocprim17ROCPRIM_400000_NS6detail17trampoline_kernelINS0_14default_configENS1_29reduce_by_key_config_selectorIalN6thrust23THRUST_200600_302600_NS4plusIlEEEEZZNS1_33reduce_by_key_impl_wrapped_configILNS1_25lookback_scan_determinismE0ES3_S9_PaNS6_17constant_iteratorIiNS6_11use_defaultESE_EENS6_10device_ptrIaEENSG_IlEEPmS8_NS6_8equal_toIaEEEE10hipError_tPvRmT2_T3_mT4_T5_T6_T7_T8_P12ihipStream_tbENKUlT_T0_E_clISt17integral_constantIbLb1EES12_IbLb0EEEEDaSY_SZ_EUlSY_E_NS1_11comp_targetILNS1_3genE9ELNS1_11target_archE1100ELNS1_3gpuE3ELNS1_3repE0EEENS1_30default_config_static_selectorELNS0_4arch9wavefront6targetE1EEEvT1_
    .private_segment_fixed_size: 0
    .sgpr_count:     4
    .sgpr_spill_count: 0
    .symbol:         _ZN7rocprim17ROCPRIM_400000_NS6detail17trampoline_kernelINS0_14default_configENS1_29reduce_by_key_config_selectorIalN6thrust23THRUST_200600_302600_NS4plusIlEEEEZZNS1_33reduce_by_key_impl_wrapped_configILNS1_25lookback_scan_determinismE0ES3_S9_PaNS6_17constant_iteratorIiNS6_11use_defaultESE_EENS6_10device_ptrIaEENSG_IlEEPmS8_NS6_8equal_toIaEEEE10hipError_tPvRmT2_T3_mT4_T5_T6_T7_T8_P12ihipStream_tbENKUlT_T0_E_clISt17integral_constantIbLb1EES12_IbLb0EEEEDaSY_SZ_EUlSY_E_NS1_11comp_targetILNS1_3genE9ELNS1_11target_archE1100ELNS1_3gpuE3ELNS1_3repE0EEENS1_30default_config_static_selectorELNS0_4arch9wavefront6targetE1EEEvT1_.kd
    .uniform_work_group_size: 1
    .uses_dynamic_stack: false
    .vgpr_count:     0
    .vgpr_spill_count: 0
    .wavefront_size: 64
  - .agpr_count:     0
    .args:
      - .offset:         0
        .size:           144
        .value_kind:     by_value
    .group_segment_fixed_size: 0
    .kernarg_segment_align: 8
    .kernarg_segment_size: 144
    .language:       OpenCL C
    .language_version:
      - 2
      - 0
    .max_flat_workgroup_size: 256
    .name:           _ZN7rocprim17ROCPRIM_400000_NS6detail17trampoline_kernelINS0_14default_configENS1_29reduce_by_key_config_selectorIalN6thrust23THRUST_200600_302600_NS4plusIlEEEEZZNS1_33reduce_by_key_impl_wrapped_configILNS1_25lookback_scan_determinismE0ES3_S9_PaNS6_17constant_iteratorIiNS6_11use_defaultESE_EENS6_10device_ptrIaEENSG_IlEEPmS8_NS6_8equal_toIaEEEE10hipError_tPvRmT2_T3_mT4_T5_T6_T7_T8_P12ihipStream_tbENKUlT_T0_E_clISt17integral_constantIbLb1EES12_IbLb0EEEEDaSY_SZ_EUlSY_E_NS1_11comp_targetILNS1_3genE8ELNS1_11target_archE1030ELNS1_3gpuE2ELNS1_3repE0EEENS1_30default_config_static_selectorELNS0_4arch9wavefront6targetE1EEEvT1_
    .private_segment_fixed_size: 0
    .sgpr_count:     4
    .sgpr_spill_count: 0
    .symbol:         _ZN7rocprim17ROCPRIM_400000_NS6detail17trampoline_kernelINS0_14default_configENS1_29reduce_by_key_config_selectorIalN6thrust23THRUST_200600_302600_NS4plusIlEEEEZZNS1_33reduce_by_key_impl_wrapped_configILNS1_25lookback_scan_determinismE0ES3_S9_PaNS6_17constant_iteratorIiNS6_11use_defaultESE_EENS6_10device_ptrIaEENSG_IlEEPmS8_NS6_8equal_toIaEEEE10hipError_tPvRmT2_T3_mT4_T5_T6_T7_T8_P12ihipStream_tbENKUlT_T0_E_clISt17integral_constantIbLb1EES12_IbLb0EEEEDaSY_SZ_EUlSY_E_NS1_11comp_targetILNS1_3genE8ELNS1_11target_archE1030ELNS1_3gpuE2ELNS1_3repE0EEENS1_30default_config_static_selectorELNS0_4arch9wavefront6targetE1EEEvT1_.kd
    .uniform_work_group_size: 1
    .uses_dynamic_stack: false
    .vgpr_count:     0
    .vgpr_spill_count: 0
    .wavefront_size: 64
  - .agpr_count:     0
    .args:
      - .offset:         0
        .size:           144
        .value_kind:     by_value
    .group_segment_fixed_size: 0
    .kernarg_segment_align: 8
    .kernarg_segment_size: 144
    .language:       OpenCL C
    .language_version:
      - 2
      - 0
    .max_flat_workgroup_size: 256
    .name:           _ZN7rocprim17ROCPRIM_400000_NS6detail17trampoline_kernelINS0_14default_configENS1_29reduce_by_key_config_selectorIalN6thrust23THRUST_200600_302600_NS4plusIlEEEEZZNS1_33reduce_by_key_impl_wrapped_configILNS1_25lookback_scan_determinismE0ES3_S9_PaNS6_17constant_iteratorIiNS6_11use_defaultESE_EENS6_10device_ptrIaEENSG_IlEEPmS8_NS6_8equal_toIaEEEE10hipError_tPvRmT2_T3_mT4_T5_T6_T7_T8_P12ihipStream_tbENKUlT_T0_E_clISt17integral_constantIbLb0EES12_IbLb1EEEEDaSY_SZ_EUlSY_E_NS1_11comp_targetILNS1_3genE0ELNS1_11target_archE4294967295ELNS1_3gpuE0ELNS1_3repE0EEENS1_30default_config_static_selectorELNS0_4arch9wavefront6targetE1EEEvT1_
    .private_segment_fixed_size: 0
    .sgpr_count:     4
    .sgpr_spill_count: 0
    .symbol:         _ZN7rocprim17ROCPRIM_400000_NS6detail17trampoline_kernelINS0_14default_configENS1_29reduce_by_key_config_selectorIalN6thrust23THRUST_200600_302600_NS4plusIlEEEEZZNS1_33reduce_by_key_impl_wrapped_configILNS1_25lookback_scan_determinismE0ES3_S9_PaNS6_17constant_iteratorIiNS6_11use_defaultESE_EENS6_10device_ptrIaEENSG_IlEEPmS8_NS6_8equal_toIaEEEE10hipError_tPvRmT2_T3_mT4_T5_T6_T7_T8_P12ihipStream_tbENKUlT_T0_E_clISt17integral_constantIbLb0EES12_IbLb1EEEEDaSY_SZ_EUlSY_E_NS1_11comp_targetILNS1_3genE0ELNS1_11target_archE4294967295ELNS1_3gpuE0ELNS1_3repE0EEENS1_30default_config_static_selectorELNS0_4arch9wavefront6targetE1EEEvT1_.kd
    .uniform_work_group_size: 1
    .uses_dynamic_stack: false
    .vgpr_count:     0
    .vgpr_spill_count: 0
    .wavefront_size: 64
  - .agpr_count:     0
    .args:
      - .offset:         0
        .size:           144
        .value_kind:     by_value
    .group_segment_fixed_size: 0
    .kernarg_segment_align: 8
    .kernarg_segment_size: 144
    .language:       OpenCL C
    .language_version:
      - 2
      - 0
    .max_flat_workgroup_size: 256
    .name:           _ZN7rocprim17ROCPRIM_400000_NS6detail17trampoline_kernelINS0_14default_configENS1_29reduce_by_key_config_selectorIalN6thrust23THRUST_200600_302600_NS4plusIlEEEEZZNS1_33reduce_by_key_impl_wrapped_configILNS1_25lookback_scan_determinismE0ES3_S9_PaNS6_17constant_iteratorIiNS6_11use_defaultESE_EENS6_10device_ptrIaEENSG_IlEEPmS8_NS6_8equal_toIaEEEE10hipError_tPvRmT2_T3_mT4_T5_T6_T7_T8_P12ihipStream_tbENKUlT_T0_E_clISt17integral_constantIbLb0EES12_IbLb1EEEEDaSY_SZ_EUlSY_E_NS1_11comp_targetILNS1_3genE5ELNS1_11target_archE942ELNS1_3gpuE9ELNS1_3repE0EEENS1_30default_config_static_selectorELNS0_4arch9wavefront6targetE1EEEvT1_
    .private_segment_fixed_size: 0
    .sgpr_count:     4
    .sgpr_spill_count: 0
    .symbol:         _ZN7rocprim17ROCPRIM_400000_NS6detail17trampoline_kernelINS0_14default_configENS1_29reduce_by_key_config_selectorIalN6thrust23THRUST_200600_302600_NS4plusIlEEEEZZNS1_33reduce_by_key_impl_wrapped_configILNS1_25lookback_scan_determinismE0ES3_S9_PaNS6_17constant_iteratorIiNS6_11use_defaultESE_EENS6_10device_ptrIaEENSG_IlEEPmS8_NS6_8equal_toIaEEEE10hipError_tPvRmT2_T3_mT4_T5_T6_T7_T8_P12ihipStream_tbENKUlT_T0_E_clISt17integral_constantIbLb0EES12_IbLb1EEEEDaSY_SZ_EUlSY_E_NS1_11comp_targetILNS1_3genE5ELNS1_11target_archE942ELNS1_3gpuE9ELNS1_3repE0EEENS1_30default_config_static_selectorELNS0_4arch9wavefront6targetE1EEEvT1_.kd
    .uniform_work_group_size: 1
    .uses_dynamic_stack: false
    .vgpr_count:     0
    .vgpr_spill_count: 0
    .wavefront_size: 64
  - .agpr_count:     0
    .args:
      - .offset:         0
        .size:           144
        .value_kind:     by_value
    .group_segment_fixed_size: 30720
    .kernarg_segment_align: 8
    .kernarg_segment_size: 144
    .language:       OpenCL C
    .language_version:
      - 2
      - 0
    .max_flat_workgroup_size: 256
    .name:           _ZN7rocprim17ROCPRIM_400000_NS6detail17trampoline_kernelINS0_14default_configENS1_29reduce_by_key_config_selectorIalN6thrust23THRUST_200600_302600_NS4plusIlEEEEZZNS1_33reduce_by_key_impl_wrapped_configILNS1_25lookback_scan_determinismE0ES3_S9_PaNS6_17constant_iteratorIiNS6_11use_defaultESE_EENS6_10device_ptrIaEENSG_IlEEPmS8_NS6_8equal_toIaEEEE10hipError_tPvRmT2_T3_mT4_T5_T6_T7_T8_P12ihipStream_tbENKUlT_T0_E_clISt17integral_constantIbLb0EES12_IbLb1EEEEDaSY_SZ_EUlSY_E_NS1_11comp_targetILNS1_3genE4ELNS1_11target_archE910ELNS1_3gpuE8ELNS1_3repE0EEENS1_30default_config_static_selectorELNS0_4arch9wavefront6targetE1EEEvT1_
    .private_segment_fixed_size: 0
    .sgpr_count:     69
    .sgpr_spill_count: 0
    .symbol:         _ZN7rocprim17ROCPRIM_400000_NS6detail17trampoline_kernelINS0_14default_configENS1_29reduce_by_key_config_selectorIalN6thrust23THRUST_200600_302600_NS4plusIlEEEEZZNS1_33reduce_by_key_impl_wrapped_configILNS1_25lookback_scan_determinismE0ES3_S9_PaNS6_17constant_iteratorIiNS6_11use_defaultESE_EENS6_10device_ptrIaEENSG_IlEEPmS8_NS6_8equal_toIaEEEE10hipError_tPvRmT2_T3_mT4_T5_T6_T7_T8_P12ihipStream_tbENKUlT_T0_E_clISt17integral_constantIbLb0EES12_IbLb1EEEEDaSY_SZ_EUlSY_E_NS1_11comp_targetILNS1_3genE4ELNS1_11target_archE910ELNS1_3gpuE8ELNS1_3repE0EEENS1_30default_config_static_selectorELNS0_4arch9wavefront6targetE1EEEvT1_.kd
    .uniform_work_group_size: 1
    .uses_dynamic_stack: false
    .vgpr_count:     133
    .vgpr_spill_count: 0
    .wavefront_size: 64
  - .agpr_count:     0
    .args:
      - .offset:         0
        .size:           144
        .value_kind:     by_value
    .group_segment_fixed_size: 0
    .kernarg_segment_align: 8
    .kernarg_segment_size: 144
    .language:       OpenCL C
    .language_version:
      - 2
      - 0
    .max_flat_workgroup_size: 256
    .name:           _ZN7rocprim17ROCPRIM_400000_NS6detail17trampoline_kernelINS0_14default_configENS1_29reduce_by_key_config_selectorIalN6thrust23THRUST_200600_302600_NS4plusIlEEEEZZNS1_33reduce_by_key_impl_wrapped_configILNS1_25lookback_scan_determinismE0ES3_S9_PaNS6_17constant_iteratorIiNS6_11use_defaultESE_EENS6_10device_ptrIaEENSG_IlEEPmS8_NS6_8equal_toIaEEEE10hipError_tPvRmT2_T3_mT4_T5_T6_T7_T8_P12ihipStream_tbENKUlT_T0_E_clISt17integral_constantIbLb0EES12_IbLb1EEEEDaSY_SZ_EUlSY_E_NS1_11comp_targetILNS1_3genE3ELNS1_11target_archE908ELNS1_3gpuE7ELNS1_3repE0EEENS1_30default_config_static_selectorELNS0_4arch9wavefront6targetE1EEEvT1_
    .private_segment_fixed_size: 0
    .sgpr_count:     4
    .sgpr_spill_count: 0
    .symbol:         _ZN7rocprim17ROCPRIM_400000_NS6detail17trampoline_kernelINS0_14default_configENS1_29reduce_by_key_config_selectorIalN6thrust23THRUST_200600_302600_NS4plusIlEEEEZZNS1_33reduce_by_key_impl_wrapped_configILNS1_25lookback_scan_determinismE0ES3_S9_PaNS6_17constant_iteratorIiNS6_11use_defaultESE_EENS6_10device_ptrIaEENSG_IlEEPmS8_NS6_8equal_toIaEEEE10hipError_tPvRmT2_T3_mT4_T5_T6_T7_T8_P12ihipStream_tbENKUlT_T0_E_clISt17integral_constantIbLb0EES12_IbLb1EEEEDaSY_SZ_EUlSY_E_NS1_11comp_targetILNS1_3genE3ELNS1_11target_archE908ELNS1_3gpuE7ELNS1_3repE0EEENS1_30default_config_static_selectorELNS0_4arch9wavefront6targetE1EEEvT1_.kd
    .uniform_work_group_size: 1
    .uses_dynamic_stack: false
    .vgpr_count:     0
    .vgpr_spill_count: 0
    .wavefront_size: 64
  - .agpr_count:     0
    .args:
      - .offset:         0
        .size:           144
        .value_kind:     by_value
    .group_segment_fixed_size: 0
    .kernarg_segment_align: 8
    .kernarg_segment_size: 144
    .language:       OpenCL C
    .language_version:
      - 2
      - 0
    .max_flat_workgroup_size: 256
    .name:           _ZN7rocprim17ROCPRIM_400000_NS6detail17trampoline_kernelINS0_14default_configENS1_29reduce_by_key_config_selectorIalN6thrust23THRUST_200600_302600_NS4plusIlEEEEZZNS1_33reduce_by_key_impl_wrapped_configILNS1_25lookback_scan_determinismE0ES3_S9_PaNS6_17constant_iteratorIiNS6_11use_defaultESE_EENS6_10device_ptrIaEENSG_IlEEPmS8_NS6_8equal_toIaEEEE10hipError_tPvRmT2_T3_mT4_T5_T6_T7_T8_P12ihipStream_tbENKUlT_T0_E_clISt17integral_constantIbLb0EES12_IbLb1EEEEDaSY_SZ_EUlSY_E_NS1_11comp_targetILNS1_3genE2ELNS1_11target_archE906ELNS1_3gpuE6ELNS1_3repE0EEENS1_30default_config_static_selectorELNS0_4arch9wavefront6targetE1EEEvT1_
    .private_segment_fixed_size: 0
    .sgpr_count:     4
    .sgpr_spill_count: 0
    .symbol:         _ZN7rocprim17ROCPRIM_400000_NS6detail17trampoline_kernelINS0_14default_configENS1_29reduce_by_key_config_selectorIalN6thrust23THRUST_200600_302600_NS4plusIlEEEEZZNS1_33reduce_by_key_impl_wrapped_configILNS1_25lookback_scan_determinismE0ES3_S9_PaNS6_17constant_iteratorIiNS6_11use_defaultESE_EENS6_10device_ptrIaEENSG_IlEEPmS8_NS6_8equal_toIaEEEE10hipError_tPvRmT2_T3_mT4_T5_T6_T7_T8_P12ihipStream_tbENKUlT_T0_E_clISt17integral_constantIbLb0EES12_IbLb1EEEEDaSY_SZ_EUlSY_E_NS1_11comp_targetILNS1_3genE2ELNS1_11target_archE906ELNS1_3gpuE6ELNS1_3repE0EEENS1_30default_config_static_selectorELNS0_4arch9wavefront6targetE1EEEvT1_.kd
    .uniform_work_group_size: 1
    .uses_dynamic_stack: false
    .vgpr_count:     0
    .vgpr_spill_count: 0
    .wavefront_size: 64
  - .agpr_count:     0
    .args:
      - .offset:         0
        .size:           144
        .value_kind:     by_value
    .group_segment_fixed_size: 0
    .kernarg_segment_align: 8
    .kernarg_segment_size: 144
    .language:       OpenCL C
    .language_version:
      - 2
      - 0
    .max_flat_workgroup_size: 256
    .name:           _ZN7rocprim17ROCPRIM_400000_NS6detail17trampoline_kernelINS0_14default_configENS1_29reduce_by_key_config_selectorIalN6thrust23THRUST_200600_302600_NS4plusIlEEEEZZNS1_33reduce_by_key_impl_wrapped_configILNS1_25lookback_scan_determinismE0ES3_S9_PaNS6_17constant_iteratorIiNS6_11use_defaultESE_EENS6_10device_ptrIaEENSG_IlEEPmS8_NS6_8equal_toIaEEEE10hipError_tPvRmT2_T3_mT4_T5_T6_T7_T8_P12ihipStream_tbENKUlT_T0_E_clISt17integral_constantIbLb0EES12_IbLb1EEEEDaSY_SZ_EUlSY_E_NS1_11comp_targetILNS1_3genE10ELNS1_11target_archE1201ELNS1_3gpuE5ELNS1_3repE0EEENS1_30default_config_static_selectorELNS0_4arch9wavefront6targetE1EEEvT1_
    .private_segment_fixed_size: 0
    .sgpr_count:     4
    .sgpr_spill_count: 0
    .symbol:         _ZN7rocprim17ROCPRIM_400000_NS6detail17trampoline_kernelINS0_14default_configENS1_29reduce_by_key_config_selectorIalN6thrust23THRUST_200600_302600_NS4plusIlEEEEZZNS1_33reduce_by_key_impl_wrapped_configILNS1_25lookback_scan_determinismE0ES3_S9_PaNS6_17constant_iteratorIiNS6_11use_defaultESE_EENS6_10device_ptrIaEENSG_IlEEPmS8_NS6_8equal_toIaEEEE10hipError_tPvRmT2_T3_mT4_T5_T6_T7_T8_P12ihipStream_tbENKUlT_T0_E_clISt17integral_constantIbLb0EES12_IbLb1EEEEDaSY_SZ_EUlSY_E_NS1_11comp_targetILNS1_3genE10ELNS1_11target_archE1201ELNS1_3gpuE5ELNS1_3repE0EEENS1_30default_config_static_selectorELNS0_4arch9wavefront6targetE1EEEvT1_.kd
    .uniform_work_group_size: 1
    .uses_dynamic_stack: false
    .vgpr_count:     0
    .vgpr_spill_count: 0
    .wavefront_size: 64
  - .agpr_count:     0
    .args:
      - .offset:         0
        .size:           144
        .value_kind:     by_value
    .group_segment_fixed_size: 0
    .kernarg_segment_align: 8
    .kernarg_segment_size: 144
    .language:       OpenCL C
    .language_version:
      - 2
      - 0
    .max_flat_workgroup_size: 256
    .name:           _ZN7rocprim17ROCPRIM_400000_NS6detail17trampoline_kernelINS0_14default_configENS1_29reduce_by_key_config_selectorIalN6thrust23THRUST_200600_302600_NS4plusIlEEEEZZNS1_33reduce_by_key_impl_wrapped_configILNS1_25lookback_scan_determinismE0ES3_S9_PaNS6_17constant_iteratorIiNS6_11use_defaultESE_EENS6_10device_ptrIaEENSG_IlEEPmS8_NS6_8equal_toIaEEEE10hipError_tPvRmT2_T3_mT4_T5_T6_T7_T8_P12ihipStream_tbENKUlT_T0_E_clISt17integral_constantIbLb0EES12_IbLb1EEEEDaSY_SZ_EUlSY_E_NS1_11comp_targetILNS1_3genE10ELNS1_11target_archE1200ELNS1_3gpuE4ELNS1_3repE0EEENS1_30default_config_static_selectorELNS0_4arch9wavefront6targetE1EEEvT1_
    .private_segment_fixed_size: 0
    .sgpr_count:     4
    .sgpr_spill_count: 0
    .symbol:         _ZN7rocprim17ROCPRIM_400000_NS6detail17trampoline_kernelINS0_14default_configENS1_29reduce_by_key_config_selectorIalN6thrust23THRUST_200600_302600_NS4plusIlEEEEZZNS1_33reduce_by_key_impl_wrapped_configILNS1_25lookback_scan_determinismE0ES3_S9_PaNS6_17constant_iteratorIiNS6_11use_defaultESE_EENS6_10device_ptrIaEENSG_IlEEPmS8_NS6_8equal_toIaEEEE10hipError_tPvRmT2_T3_mT4_T5_T6_T7_T8_P12ihipStream_tbENKUlT_T0_E_clISt17integral_constantIbLb0EES12_IbLb1EEEEDaSY_SZ_EUlSY_E_NS1_11comp_targetILNS1_3genE10ELNS1_11target_archE1200ELNS1_3gpuE4ELNS1_3repE0EEENS1_30default_config_static_selectorELNS0_4arch9wavefront6targetE1EEEvT1_.kd
    .uniform_work_group_size: 1
    .uses_dynamic_stack: false
    .vgpr_count:     0
    .vgpr_spill_count: 0
    .wavefront_size: 64
  - .agpr_count:     0
    .args:
      - .offset:         0
        .size:           144
        .value_kind:     by_value
    .group_segment_fixed_size: 0
    .kernarg_segment_align: 8
    .kernarg_segment_size: 144
    .language:       OpenCL C
    .language_version:
      - 2
      - 0
    .max_flat_workgroup_size: 256
    .name:           _ZN7rocprim17ROCPRIM_400000_NS6detail17trampoline_kernelINS0_14default_configENS1_29reduce_by_key_config_selectorIalN6thrust23THRUST_200600_302600_NS4plusIlEEEEZZNS1_33reduce_by_key_impl_wrapped_configILNS1_25lookback_scan_determinismE0ES3_S9_PaNS6_17constant_iteratorIiNS6_11use_defaultESE_EENS6_10device_ptrIaEENSG_IlEEPmS8_NS6_8equal_toIaEEEE10hipError_tPvRmT2_T3_mT4_T5_T6_T7_T8_P12ihipStream_tbENKUlT_T0_E_clISt17integral_constantIbLb0EES12_IbLb1EEEEDaSY_SZ_EUlSY_E_NS1_11comp_targetILNS1_3genE9ELNS1_11target_archE1100ELNS1_3gpuE3ELNS1_3repE0EEENS1_30default_config_static_selectorELNS0_4arch9wavefront6targetE1EEEvT1_
    .private_segment_fixed_size: 0
    .sgpr_count:     4
    .sgpr_spill_count: 0
    .symbol:         _ZN7rocprim17ROCPRIM_400000_NS6detail17trampoline_kernelINS0_14default_configENS1_29reduce_by_key_config_selectorIalN6thrust23THRUST_200600_302600_NS4plusIlEEEEZZNS1_33reduce_by_key_impl_wrapped_configILNS1_25lookback_scan_determinismE0ES3_S9_PaNS6_17constant_iteratorIiNS6_11use_defaultESE_EENS6_10device_ptrIaEENSG_IlEEPmS8_NS6_8equal_toIaEEEE10hipError_tPvRmT2_T3_mT4_T5_T6_T7_T8_P12ihipStream_tbENKUlT_T0_E_clISt17integral_constantIbLb0EES12_IbLb1EEEEDaSY_SZ_EUlSY_E_NS1_11comp_targetILNS1_3genE9ELNS1_11target_archE1100ELNS1_3gpuE3ELNS1_3repE0EEENS1_30default_config_static_selectorELNS0_4arch9wavefront6targetE1EEEvT1_.kd
    .uniform_work_group_size: 1
    .uses_dynamic_stack: false
    .vgpr_count:     0
    .vgpr_spill_count: 0
    .wavefront_size: 64
  - .agpr_count:     0
    .args:
      - .offset:         0
        .size:           144
        .value_kind:     by_value
    .group_segment_fixed_size: 0
    .kernarg_segment_align: 8
    .kernarg_segment_size: 144
    .language:       OpenCL C
    .language_version:
      - 2
      - 0
    .max_flat_workgroup_size: 256
    .name:           _ZN7rocprim17ROCPRIM_400000_NS6detail17trampoline_kernelINS0_14default_configENS1_29reduce_by_key_config_selectorIalN6thrust23THRUST_200600_302600_NS4plusIlEEEEZZNS1_33reduce_by_key_impl_wrapped_configILNS1_25lookback_scan_determinismE0ES3_S9_PaNS6_17constant_iteratorIiNS6_11use_defaultESE_EENS6_10device_ptrIaEENSG_IlEEPmS8_NS6_8equal_toIaEEEE10hipError_tPvRmT2_T3_mT4_T5_T6_T7_T8_P12ihipStream_tbENKUlT_T0_E_clISt17integral_constantIbLb0EES12_IbLb1EEEEDaSY_SZ_EUlSY_E_NS1_11comp_targetILNS1_3genE8ELNS1_11target_archE1030ELNS1_3gpuE2ELNS1_3repE0EEENS1_30default_config_static_selectorELNS0_4arch9wavefront6targetE1EEEvT1_
    .private_segment_fixed_size: 0
    .sgpr_count:     4
    .sgpr_spill_count: 0
    .symbol:         _ZN7rocprim17ROCPRIM_400000_NS6detail17trampoline_kernelINS0_14default_configENS1_29reduce_by_key_config_selectorIalN6thrust23THRUST_200600_302600_NS4plusIlEEEEZZNS1_33reduce_by_key_impl_wrapped_configILNS1_25lookback_scan_determinismE0ES3_S9_PaNS6_17constant_iteratorIiNS6_11use_defaultESE_EENS6_10device_ptrIaEENSG_IlEEPmS8_NS6_8equal_toIaEEEE10hipError_tPvRmT2_T3_mT4_T5_T6_T7_T8_P12ihipStream_tbENKUlT_T0_E_clISt17integral_constantIbLb0EES12_IbLb1EEEEDaSY_SZ_EUlSY_E_NS1_11comp_targetILNS1_3genE8ELNS1_11target_archE1030ELNS1_3gpuE2ELNS1_3repE0EEENS1_30default_config_static_selectorELNS0_4arch9wavefront6targetE1EEEvT1_.kd
    .uniform_work_group_size: 1
    .uses_dynamic_stack: false
    .vgpr_count:     0
    .vgpr_spill_count: 0
    .wavefront_size: 64
  - .agpr_count:     0
    .args:
      - .offset:         0
        .size:           88
        .value_kind:     by_value
    .group_segment_fixed_size: 0
    .kernarg_segment_align: 8
    .kernarg_segment_size: 88
    .language:       OpenCL C
    .language_version:
      - 2
      - 0
    .max_flat_workgroup_size: 128
    .name:           _ZN7rocprim17ROCPRIM_400000_NS6detail17trampoline_kernelINS0_14default_configENS1_22reduce_config_selectorIN6thrust23THRUST_200600_302600_NS5tupleIblNS6_9null_typeES8_S8_S8_S8_S8_S8_S8_EEEEZNS1_11reduce_implILb1ES3_NS6_12zip_iteratorINS7_INS6_11hip_rocprim26transform_input_iterator_tIbPaNS6_6detail10functional5actorINSH_9compositeIJNSH_27transparent_binary_operatorINS6_8equal_toIvEEEENSI_INSH_8argumentILj0EEEEENSH_5valueIaEEEEEEEEENSD_19counting_iterator_tIlEES8_S8_S8_S8_S8_S8_S8_S8_EEEEPS9_S9_NSD_9__find_if7functorIS9_EEEE10hipError_tPvRmT1_T2_T3_mT4_P12ihipStream_tbEUlT_E0_NS1_11comp_targetILNS1_3genE0ELNS1_11target_archE4294967295ELNS1_3gpuE0ELNS1_3repE0EEENS1_30default_config_static_selectorELNS0_4arch9wavefront6targetE1EEEvS17_
    .private_segment_fixed_size: 0
    .sgpr_count:     4
    .sgpr_spill_count: 0
    .symbol:         _ZN7rocprim17ROCPRIM_400000_NS6detail17trampoline_kernelINS0_14default_configENS1_22reduce_config_selectorIN6thrust23THRUST_200600_302600_NS5tupleIblNS6_9null_typeES8_S8_S8_S8_S8_S8_S8_EEEEZNS1_11reduce_implILb1ES3_NS6_12zip_iteratorINS7_INS6_11hip_rocprim26transform_input_iterator_tIbPaNS6_6detail10functional5actorINSH_9compositeIJNSH_27transparent_binary_operatorINS6_8equal_toIvEEEENSI_INSH_8argumentILj0EEEEENSH_5valueIaEEEEEEEEENSD_19counting_iterator_tIlEES8_S8_S8_S8_S8_S8_S8_S8_EEEEPS9_S9_NSD_9__find_if7functorIS9_EEEE10hipError_tPvRmT1_T2_T3_mT4_P12ihipStream_tbEUlT_E0_NS1_11comp_targetILNS1_3genE0ELNS1_11target_archE4294967295ELNS1_3gpuE0ELNS1_3repE0EEENS1_30default_config_static_selectorELNS0_4arch9wavefront6targetE1EEEvS17_.kd
    .uniform_work_group_size: 1
    .uses_dynamic_stack: false
    .vgpr_count:     0
    .vgpr_spill_count: 0
    .wavefront_size: 64
  - .agpr_count:     0
    .args:
      - .offset:         0
        .size:           88
        .value_kind:     by_value
    .group_segment_fixed_size: 0
    .kernarg_segment_align: 8
    .kernarg_segment_size: 88
    .language:       OpenCL C
    .language_version:
      - 2
      - 0
    .max_flat_workgroup_size: 256
    .name:           _ZN7rocprim17ROCPRIM_400000_NS6detail17trampoline_kernelINS0_14default_configENS1_22reduce_config_selectorIN6thrust23THRUST_200600_302600_NS5tupleIblNS6_9null_typeES8_S8_S8_S8_S8_S8_S8_EEEEZNS1_11reduce_implILb1ES3_NS6_12zip_iteratorINS7_INS6_11hip_rocprim26transform_input_iterator_tIbPaNS6_6detail10functional5actorINSH_9compositeIJNSH_27transparent_binary_operatorINS6_8equal_toIvEEEENSI_INSH_8argumentILj0EEEEENSH_5valueIaEEEEEEEEENSD_19counting_iterator_tIlEES8_S8_S8_S8_S8_S8_S8_S8_EEEEPS9_S9_NSD_9__find_if7functorIS9_EEEE10hipError_tPvRmT1_T2_T3_mT4_P12ihipStream_tbEUlT_E0_NS1_11comp_targetILNS1_3genE5ELNS1_11target_archE942ELNS1_3gpuE9ELNS1_3repE0EEENS1_30default_config_static_selectorELNS0_4arch9wavefront6targetE1EEEvS17_
    .private_segment_fixed_size: 0
    .sgpr_count:     4
    .sgpr_spill_count: 0
    .symbol:         _ZN7rocprim17ROCPRIM_400000_NS6detail17trampoline_kernelINS0_14default_configENS1_22reduce_config_selectorIN6thrust23THRUST_200600_302600_NS5tupleIblNS6_9null_typeES8_S8_S8_S8_S8_S8_S8_EEEEZNS1_11reduce_implILb1ES3_NS6_12zip_iteratorINS7_INS6_11hip_rocprim26transform_input_iterator_tIbPaNS6_6detail10functional5actorINSH_9compositeIJNSH_27transparent_binary_operatorINS6_8equal_toIvEEEENSI_INSH_8argumentILj0EEEEENSH_5valueIaEEEEEEEEENSD_19counting_iterator_tIlEES8_S8_S8_S8_S8_S8_S8_S8_EEEEPS9_S9_NSD_9__find_if7functorIS9_EEEE10hipError_tPvRmT1_T2_T3_mT4_P12ihipStream_tbEUlT_E0_NS1_11comp_targetILNS1_3genE5ELNS1_11target_archE942ELNS1_3gpuE9ELNS1_3repE0EEENS1_30default_config_static_selectorELNS0_4arch9wavefront6targetE1EEEvS17_.kd
    .uniform_work_group_size: 1
    .uses_dynamic_stack: false
    .vgpr_count:     0
    .vgpr_spill_count: 0
    .wavefront_size: 64
  - .agpr_count:     0
    .args:
      - .offset:         0
        .size:           88
        .value_kind:     by_value
    .group_segment_fixed_size: 128
    .kernarg_segment_align: 8
    .kernarg_segment_size: 88
    .language:       OpenCL C
    .language_version:
      - 2
      - 0
    .max_flat_workgroup_size: 256
    .name:           _ZN7rocprim17ROCPRIM_400000_NS6detail17trampoline_kernelINS0_14default_configENS1_22reduce_config_selectorIN6thrust23THRUST_200600_302600_NS5tupleIblNS6_9null_typeES8_S8_S8_S8_S8_S8_S8_EEEEZNS1_11reduce_implILb1ES3_NS6_12zip_iteratorINS7_INS6_11hip_rocprim26transform_input_iterator_tIbPaNS6_6detail10functional5actorINSH_9compositeIJNSH_27transparent_binary_operatorINS6_8equal_toIvEEEENSI_INSH_8argumentILj0EEEEENSH_5valueIaEEEEEEEEENSD_19counting_iterator_tIlEES8_S8_S8_S8_S8_S8_S8_S8_EEEEPS9_S9_NSD_9__find_if7functorIS9_EEEE10hipError_tPvRmT1_T2_T3_mT4_P12ihipStream_tbEUlT_E0_NS1_11comp_targetILNS1_3genE4ELNS1_11target_archE910ELNS1_3gpuE8ELNS1_3repE0EEENS1_30default_config_static_selectorELNS0_4arch9wavefront6targetE1EEEvS17_
    .private_segment_fixed_size: 0
    .sgpr_count:     28
    .sgpr_spill_count: 0
    .symbol:         _ZN7rocprim17ROCPRIM_400000_NS6detail17trampoline_kernelINS0_14default_configENS1_22reduce_config_selectorIN6thrust23THRUST_200600_302600_NS5tupleIblNS6_9null_typeES8_S8_S8_S8_S8_S8_S8_EEEEZNS1_11reduce_implILb1ES3_NS6_12zip_iteratorINS7_INS6_11hip_rocprim26transform_input_iterator_tIbPaNS6_6detail10functional5actorINSH_9compositeIJNSH_27transparent_binary_operatorINS6_8equal_toIvEEEENSI_INSH_8argumentILj0EEEEENSH_5valueIaEEEEEEEEENSD_19counting_iterator_tIlEES8_S8_S8_S8_S8_S8_S8_S8_EEEEPS9_S9_NSD_9__find_if7functorIS9_EEEE10hipError_tPvRmT1_T2_T3_mT4_P12ihipStream_tbEUlT_E0_NS1_11comp_targetILNS1_3genE4ELNS1_11target_archE910ELNS1_3gpuE8ELNS1_3repE0EEENS1_30default_config_static_selectorELNS0_4arch9wavefront6targetE1EEEvS17_.kd
    .uniform_work_group_size: 1
    .uses_dynamic_stack: false
    .vgpr_count:     12
    .vgpr_spill_count: 0
    .wavefront_size: 64
  - .agpr_count:     0
    .args:
      - .offset:         0
        .size:           88
        .value_kind:     by_value
    .group_segment_fixed_size: 0
    .kernarg_segment_align: 8
    .kernarg_segment_size: 88
    .language:       OpenCL C
    .language_version:
      - 2
      - 0
    .max_flat_workgroup_size: 128
    .name:           _ZN7rocprim17ROCPRIM_400000_NS6detail17trampoline_kernelINS0_14default_configENS1_22reduce_config_selectorIN6thrust23THRUST_200600_302600_NS5tupleIblNS6_9null_typeES8_S8_S8_S8_S8_S8_S8_EEEEZNS1_11reduce_implILb1ES3_NS6_12zip_iteratorINS7_INS6_11hip_rocprim26transform_input_iterator_tIbPaNS6_6detail10functional5actorINSH_9compositeIJNSH_27transparent_binary_operatorINS6_8equal_toIvEEEENSI_INSH_8argumentILj0EEEEENSH_5valueIaEEEEEEEEENSD_19counting_iterator_tIlEES8_S8_S8_S8_S8_S8_S8_S8_EEEEPS9_S9_NSD_9__find_if7functorIS9_EEEE10hipError_tPvRmT1_T2_T3_mT4_P12ihipStream_tbEUlT_E0_NS1_11comp_targetILNS1_3genE3ELNS1_11target_archE908ELNS1_3gpuE7ELNS1_3repE0EEENS1_30default_config_static_selectorELNS0_4arch9wavefront6targetE1EEEvS17_
    .private_segment_fixed_size: 0
    .sgpr_count:     4
    .sgpr_spill_count: 0
    .symbol:         _ZN7rocprim17ROCPRIM_400000_NS6detail17trampoline_kernelINS0_14default_configENS1_22reduce_config_selectorIN6thrust23THRUST_200600_302600_NS5tupleIblNS6_9null_typeES8_S8_S8_S8_S8_S8_S8_EEEEZNS1_11reduce_implILb1ES3_NS6_12zip_iteratorINS7_INS6_11hip_rocprim26transform_input_iterator_tIbPaNS6_6detail10functional5actorINSH_9compositeIJNSH_27transparent_binary_operatorINS6_8equal_toIvEEEENSI_INSH_8argumentILj0EEEEENSH_5valueIaEEEEEEEEENSD_19counting_iterator_tIlEES8_S8_S8_S8_S8_S8_S8_S8_EEEEPS9_S9_NSD_9__find_if7functorIS9_EEEE10hipError_tPvRmT1_T2_T3_mT4_P12ihipStream_tbEUlT_E0_NS1_11comp_targetILNS1_3genE3ELNS1_11target_archE908ELNS1_3gpuE7ELNS1_3repE0EEENS1_30default_config_static_selectorELNS0_4arch9wavefront6targetE1EEEvS17_.kd
    .uniform_work_group_size: 1
    .uses_dynamic_stack: false
    .vgpr_count:     0
    .vgpr_spill_count: 0
    .wavefront_size: 64
  - .agpr_count:     0
    .args:
      - .offset:         0
        .size:           88
        .value_kind:     by_value
    .group_segment_fixed_size: 0
    .kernarg_segment_align: 8
    .kernarg_segment_size: 88
    .language:       OpenCL C
    .language_version:
      - 2
      - 0
    .max_flat_workgroup_size: 128
    .name:           _ZN7rocprim17ROCPRIM_400000_NS6detail17trampoline_kernelINS0_14default_configENS1_22reduce_config_selectorIN6thrust23THRUST_200600_302600_NS5tupleIblNS6_9null_typeES8_S8_S8_S8_S8_S8_S8_EEEEZNS1_11reduce_implILb1ES3_NS6_12zip_iteratorINS7_INS6_11hip_rocprim26transform_input_iterator_tIbPaNS6_6detail10functional5actorINSH_9compositeIJNSH_27transparent_binary_operatorINS6_8equal_toIvEEEENSI_INSH_8argumentILj0EEEEENSH_5valueIaEEEEEEEEENSD_19counting_iterator_tIlEES8_S8_S8_S8_S8_S8_S8_S8_EEEEPS9_S9_NSD_9__find_if7functorIS9_EEEE10hipError_tPvRmT1_T2_T3_mT4_P12ihipStream_tbEUlT_E0_NS1_11comp_targetILNS1_3genE2ELNS1_11target_archE906ELNS1_3gpuE6ELNS1_3repE0EEENS1_30default_config_static_selectorELNS0_4arch9wavefront6targetE1EEEvS17_
    .private_segment_fixed_size: 0
    .sgpr_count:     4
    .sgpr_spill_count: 0
    .symbol:         _ZN7rocprim17ROCPRIM_400000_NS6detail17trampoline_kernelINS0_14default_configENS1_22reduce_config_selectorIN6thrust23THRUST_200600_302600_NS5tupleIblNS6_9null_typeES8_S8_S8_S8_S8_S8_S8_EEEEZNS1_11reduce_implILb1ES3_NS6_12zip_iteratorINS7_INS6_11hip_rocprim26transform_input_iterator_tIbPaNS6_6detail10functional5actorINSH_9compositeIJNSH_27transparent_binary_operatorINS6_8equal_toIvEEEENSI_INSH_8argumentILj0EEEEENSH_5valueIaEEEEEEEEENSD_19counting_iterator_tIlEES8_S8_S8_S8_S8_S8_S8_S8_EEEEPS9_S9_NSD_9__find_if7functorIS9_EEEE10hipError_tPvRmT1_T2_T3_mT4_P12ihipStream_tbEUlT_E0_NS1_11comp_targetILNS1_3genE2ELNS1_11target_archE906ELNS1_3gpuE6ELNS1_3repE0EEENS1_30default_config_static_selectorELNS0_4arch9wavefront6targetE1EEEvS17_.kd
    .uniform_work_group_size: 1
    .uses_dynamic_stack: false
    .vgpr_count:     0
    .vgpr_spill_count: 0
    .wavefront_size: 64
  - .agpr_count:     0
    .args:
      - .offset:         0
        .size:           88
        .value_kind:     by_value
    .group_segment_fixed_size: 0
    .kernarg_segment_align: 8
    .kernarg_segment_size: 88
    .language:       OpenCL C
    .language_version:
      - 2
      - 0
    .max_flat_workgroup_size: 256
    .name:           _ZN7rocprim17ROCPRIM_400000_NS6detail17trampoline_kernelINS0_14default_configENS1_22reduce_config_selectorIN6thrust23THRUST_200600_302600_NS5tupleIblNS6_9null_typeES8_S8_S8_S8_S8_S8_S8_EEEEZNS1_11reduce_implILb1ES3_NS6_12zip_iteratorINS7_INS6_11hip_rocprim26transform_input_iterator_tIbPaNS6_6detail10functional5actorINSH_9compositeIJNSH_27transparent_binary_operatorINS6_8equal_toIvEEEENSI_INSH_8argumentILj0EEEEENSH_5valueIaEEEEEEEEENSD_19counting_iterator_tIlEES8_S8_S8_S8_S8_S8_S8_S8_EEEEPS9_S9_NSD_9__find_if7functorIS9_EEEE10hipError_tPvRmT1_T2_T3_mT4_P12ihipStream_tbEUlT_E0_NS1_11comp_targetILNS1_3genE10ELNS1_11target_archE1201ELNS1_3gpuE5ELNS1_3repE0EEENS1_30default_config_static_selectorELNS0_4arch9wavefront6targetE1EEEvS17_
    .private_segment_fixed_size: 0
    .sgpr_count:     4
    .sgpr_spill_count: 0
    .symbol:         _ZN7rocprim17ROCPRIM_400000_NS6detail17trampoline_kernelINS0_14default_configENS1_22reduce_config_selectorIN6thrust23THRUST_200600_302600_NS5tupleIblNS6_9null_typeES8_S8_S8_S8_S8_S8_S8_EEEEZNS1_11reduce_implILb1ES3_NS6_12zip_iteratorINS7_INS6_11hip_rocprim26transform_input_iterator_tIbPaNS6_6detail10functional5actorINSH_9compositeIJNSH_27transparent_binary_operatorINS6_8equal_toIvEEEENSI_INSH_8argumentILj0EEEEENSH_5valueIaEEEEEEEEENSD_19counting_iterator_tIlEES8_S8_S8_S8_S8_S8_S8_S8_EEEEPS9_S9_NSD_9__find_if7functorIS9_EEEE10hipError_tPvRmT1_T2_T3_mT4_P12ihipStream_tbEUlT_E0_NS1_11comp_targetILNS1_3genE10ELNS1_11target_archE1201ELNS1_3gpuE5ELNS1_3repE0EEENS1_30default_config_static_selectorELNS0_4arch9wavefront6targetE1EEEvS17_.kd
    .uniform_work_group_size: 1
    .uses_dynamic_stack: false
    .vgpr_count:     0
    .vgpr_spill_count: 0
    .wavefront_size: 64
  - .agpr_count:     0
    .args:
      - .offset:         0
        .size:           88
        .value_kind:     by_value
    .group_segment_fixed_size: 0
    .kernarg_segment_align: 8
    .kernarg_segment_size: 88
    .language:       OpenCL C
    .language_version:
      - 2
      - 0
    .max_flat_workgroup_size: 256
    .name:           _ZN7rocprim17ROCPRIM_400000_NS6detail17trampoline_kernelINS0_14default_configENS1_22reduce_config_selectorIN6thrust23THRUST_200600_302600_NS5tupleIblNS6_9null_typeES8_S8_S8_S8_S8_S8_S8_EEEEZNS1_11reduce_implILb1ES3_NS6_12zip_iteratorINS7_INS6_11hip_rocprim26transform_input_iterator_tIbPaNS6_6detail10functional5actorINSH_9compositeIJNSH_27transparent_binary_operatorINS6_8equal_toIvEEEENSI_INSH_8argumentILj0EEEEENSH_5valueIaEEEEEEEEENSD_19counting_iterator_tIlEES8_S8_S8_S8_S8_S8_S8_S8_EEEEPS9_S9_NSD_9__find_if7functorIS9_EEEE10hipError_tPvRmT1_T2_T3_mT4_P12ihipStream_tbEUlT_E0_NS1_11comp_targetILNS1_3genE10ELNS1_11target_archE1200ELNS1_3gpuE4ELNS1_3repE0EEENS1_30default_config_static_selectorELNS0_4arch9wavefront6targetE1EEEvS17_
    .private_segment_fixed_size: 0
    .sgpr_count:     4
    .sgpr_spill_count: 0
    .symbol:         _ZN7rocprim17ROCPRIM_400000_NS6detail17trampoline_kernelINS0_14default_configENS1_22reduce_config_selectorIN6thrust23THRUST_200600_302600_NS5tupleIblNS6_9null_typeES8_S8_S8_S8_S8_S8_S8_EEEEZNS1_11reduce_implILb1ES3_NS6_12zip_iteratorINS7_INS6_11hip_rocprim26transform_input_iterator_tIbPaNS6_6detail10functional5actorINSH_9compositeIJNSH_27transparent_binary_operatorINS6_8equal_toIvEEEENSI_INSH_8argumentILj0EEEEENSH_5valueIaEEEEEEEEENSD_19counting_iterator_tIlEES8_S8_S8_S8_S8_S8_S8_S8_EEEEPS9_S9_NSD_9__find_if7functorIS9_EEEE10hipError_tPvRmT1_T2_T3_mT4_P12ihipStream_tbEUlT_E0_NS1_11comp_targetILNS1_3genE10ELNS1_11target_archE1200ELNS1_3gpuE4ELNS1_3repE0EEENS1_30default_config_static_selectorELNS0_4arch9wavefront6targetE1EEEvS17_.kd
    .uniform_work_group_size: 1
    .uses_dynamic_stack: false
    .vgpr_count:     0
    .vgpr_spill_count: 0
    .wavefront_size: 64
  - .agpr_count:     0
    .args:
      - .offset:         0
        .size:           88
        .value_kind:     by_value
    .group_segment_fixed_size: 0
    .kernarg_segment_align: 8
    .kernarg_segment_size: 88
    .language:       OpenCL C
    .language_version:
      - 2
      - 0
    .max_flat_workgroup_size: 256
    .name:           _ZN7rocprim17ROCPRIM_400000_NS6detail17trampoline_kernelINS0_14default_configENS1_22reduce_config_selectorIN6thrust23THRUST_200600_302600_NS5tupleIblNS6_9null_typeES8_S8_S8_S8_S8_S8_S8_EEEEZNS1_11reduce_implILb1ES3_NS6_12zip_iteratorINS7_INS6_11hip_rocprim26transform_input_iterator_tIbPaNS6_6detail10functional5actorINSH_9compositeIJNSH_27transparent_binary_operatorINS6_8equal_toIvEEEENSI_INSH_8argumentILj0EEEEENSH_5valueIaEEEEEEEEENSD_19counting_iterator_tIlEES8_S8_S8_S8_S8_S8_S8_S8_EEEEPS9_S9_NSD_9__find_if7functorIS9_EEEE10hipError_tPvRmT1_T2_T3_mT4_P12ihipStream_tbEUlT_E0_NS1_11comp_targetILNS1_3genE9ELNS1_11target_archE1100ELNS1_3gpuE3ELNS1_3repE0EEENS1_30default_config_static_selectorELNS0_4arch9wavefront6targetE1EEEvS17_
    .private_segment_fixed_size: 0
    .sgpr_count:     4
    .sgpr_spill_count: 0
    .symbol:         _ZN7rocprim17ROCPRIM_400000_NS6detail17trampoline_kernelINS0_14default_configENS1_22reduce_config_selectorIN6thrust23THRUST_200600_302600_NS5tupleIblNS6_9null_typeES8_S8_S8_S8_S8_S8_S8_EEEEZNS1_11reduce_implILb1ES3_NS6_12zip_iteratorINS7_INS6_11hip_rocprim26transform_input_iterator_tIbPaNS6_6detail10functional5actorINSH_9compositeIJNSH_27transparent_binary_operatorINS6_8equal_toIvEEEENSI_INSH_8argumentILj0EEEEENSH_5valueIaEEEEEEEEENSD_19counting_iterator_tIlEES8_S8_S8_S8_S8_S8_S8_S8_EEEEPS9_S9_NSD_9__find_if7functorIS9_EEEE10hipError_tPvRmT1_T2_T3_mT4_P12ihipStream_tbEUlT_E0_NS1_11comp_targetILNS1_3genE9ELNS1_11target_archE1100ELNS1_3gpuE3ELNS1_3repE0EEENS1_30default_config_static_selectorELNS0_4arch9wavefront6targetE1EEEvS17_.kd
    .uniform_work_group_size: 1
    .uses_dynamic_stack: false
    .vgpr_count:     0
    .vgpr_spill_count: 0
    .wavefront_size: 64
  - .agpr_count:     0
    .args:
      - .offset:         0
        .size:           88
        .value_kind:     by_value
    .group_segment_fixed_size: 0
    .kernarg_segment_align: 8
    .kernarg_segment_size: 88
    .language:       OpenCL C
    .language_version:
      - 2
      - 0
    .max_flat_workgroup_size: 256
    .name:           _ZN7rocprim17ROCPRIM_400000_NS6detail17trampoline_kernelINS0_14default_configENS1_22reduce_config_selectorIN6thrust23THRUST_200600_302600_NS5tupleIblNS6_9null_typeES8_S8_S8_S8_S8_S8_S8_EEEEZNS1_11reduce_implILb1ES3_NS6_12zip_iteratorINS7_INS6_11hip_rocprim26transform_input_iterator_tIbPaNS6_6detail10functional5actorINSH_9compositeIJNSH_27transparent_binary_operatorINS6_8equal_toIvEEEENSI_INSH_8argumentILj0EEEEENSH_5valueIaEEEEEEEEENSD_19counting_iterator_tIlEES8_S8_S8_S8_S8_S8_S8_S8_EEEEPS9_S9_NSD_9__find_if7functorIS9_EEEE10hipError_tPvRmT1_T2_T3_mT4_P12ihipStream_tbEUlT_E0_NS1_11comp_targetILNS1_3genE8ELNS1_11target_archE1030ELNS1_3gpuE2ELNS1_3repE0EEENS1_30default_config_static_selectorELNS0_4arch9wavefront6targetE1EEEvS17_
    .private_segment_fixed_size: 0
    .sgpr_count:     4
    .sgpr_spill_count: 0
    .symbol:         _ZN7rocprim17ROCPRIM_400000_NS6detail17trampoline_kernelINS0_14default_configENS1_22reduce_config_selectorIN6thrust23THRUST_200600_302600_NS5tupleIblNS6_9null_typeES8_S8_S8_S8_S8_S8_S8_EEEEZNS1_11reduce_implILb1ES3_NS6_12zip_iteratorINS7_INS6_11hip_rocprim26transform_input_iterator_tIbPaNS6_6detail10functional5actorINSH_9compositeIJNSH_27transparent_binary_operatorINS6_8equal_toIvEEEENSI_INSH_8argumentILj0EEEEENSH_5valueIaEEEEEEEEENSD_19counting_iterator_tIlEES8_S8_S8_S8_S8_S8_S8_S8_EEEEPS9_S9_NSD_9__find_if7functorIS9_EEEE10hipError_tPvRmT1_T2_T3_mT4_P12ihipStream_tbEUlT_E0_NS1_11comp_targetILNS1_3genE8ELNS1_11target_archE1030ELNS1_3gpuE2ELNS1_3repE0EEENS1_30default_config_static_selectorELNS0_4arch9wavefront6targetE1EEEvS17_.kd
    .uniform_work_group_size: 1
    .uses_dynamic_stack: false
    .vgpr_count:     0
    .vgpr_spill_count: 0
    .wavefront_size: 64
  - .agpr_count:     0
    .args:
      - .offset:         0
        .size:           72
        .value_kind:     by_value
    .group_segment_fixed_size: 0
    .kernarg_segment_align: 8
    .kernarg_segment_size: 72
    .language:       OpenCL C
    .language_version:
      - 2
      - 0
    .max_flat_workgroup_size: 128
    .name:           _ZN7rocprim17ROCPRIM_400000_NS6detail17trampoline_kernelINS0_14default_configENS1_22reduce_config_selectorIN6thrust23THRUST_200600_302600_NS5tupleIblNS6_9null_typeES8_S8_S8_S8_S8_S8_S8_EEEEZNS1_11reduce_implILb1ES3_NS6_12zip_iteratorINS7_INS6_11hip_rocprim26transform_input_iterator_tIbPaNS6_6detail10functional5actorINSH_9compositeIJNSH_27transparent_binary_operatorINS6_8equal_toIvEEEENSI_INSH_8argumentILj0EEEEENSH_5valueIaEEEEEEEEENSD_19counting_iterator_tIlEES8_S8_S8_S8_S8_S8_S8_S8_EEEEPS9_S9_NSD_9__find_if7functorIS9_EEEE10hipError_tPvRmT1_T2_T3_mT4_P12ihipStream_tbEUlT_E1_NS1_11comp_targetILNS1_3genE0ELNS1_11target_archE4294967295ELNS1_3gpuE0ELNS1_3repE0EEENS1_30default_config_static_selectorELNS0_4arch9wavefront6targetE1EEEvS17_
    .private_segment_fixed_size: 0
    .sgpr_count:     4
    .sgpr_spill_count: 0
    .symbol:         _ZN7rocprim17ROCPRIM_400000_NS6detail17trampoline_kernelINS0_14default_configENS1_22reduce_config_selectorIN6thrust23THRUST_200600_302600_NS5tupleIblNS6_9null_typeES8_S8_S8_S8_S8_S8_S8_EEEEZNS1_11reduce_implILb1ES3_NS6_12zip_iteratorINS7_INS6_11hip_rocprim26transform_input_iterator_tIbPaNS6_6detail10functional5actorINSH_9compositeIJNSH_27transparent_binary_operatorINS6_8equal_toIvEEEENSI_INSH_8argumentILj0EEEEENSH_5valueIaEEEEEEEEENSD_19counting_iterator_tIlEES8_S8_S8_S8_S8_S8_S8_S8_EEEEPS9_S9_NSD_9__find_if7functorIS9_EEEE10hipError_tPvRmT1_T2_T3_mT4_P12ihipStream_tbEUlT_E1_NS1_11comp_targetILNS1_3genE0ELNS1_11target_archE4294967295ELNS1_3gpuE0ELNS1_3repE0EEENS1_30default_config_static_selectorELNS0_4arch9wavefront6targetE1EEEvS17_.kd
    .uniform_work_group_size: 1
    .uses_dynamic_stack: false
    .vgpr_count:     0
    .vgpr_spill_count: 0
    .wavefront_size: 64
  - .agpr_count:     0
    .args:
      - .offset:         0
        .size:           72
        .value_kind:     by_value
    .group_segment_fixed_size: 0
    .kernarg_segment_align: 8
    .kernarg_segment_size: 72
    .language:       OpenCL C
    .language_version:
      - 2
      - 0
    .max_flat_workgroup_size: 256
    .name:           _ZN7rocprim17ROCPRIM_400000_NS6detail17trampoline_kernelINS0_14default_configENS1_22reduce_config_selectorIN6thrust23THRUST_200600_302600_NS5tupleIblNS6_9null_typeES8_S8_S8_S8_S8_S8_S8_EEEEZNS1_11reduce_implILb1ES3_NS6_12zip_iteratorINS7_INS6_11hip_rocprim26transform_input_iterator_tIbPaNS6_6detail10functional5actorINSH_9compositeIJNSH_27transparent_binary_operatorINS6_8equal_toIvEEEENSI_INSH_8argumentILj0EEEEENSH_5valueIaEEEEEEEEENSD_19counting_iterator_tIlEES8_S8_S8_S8_S8_S8_S8_S8_EEEEPS9_S9_NSD_9__find_if7functorIS9_EEEE10hipError_tPvRmT1_T2_T3_mT4_P12ihipStream_tbEUlT_E1_NS1_11comp_targetILNS1_3genE5ELNS1_11target_archE942ELNS1_3gpuE9ELNS1_3repE0EEENS1_30default_config_static_selectorELNS0_4arch9wavefront6targetE1EEEvS17_
    .private_segment_fixed_size: 0
    .sgpr_count:     4
    .sgpr_spill_count: 0
    .symbol:         _ZN7rocprim17ROCPRIM_400000_NS6detail17trampoline_kernelINS0_14default_configENS1_22reduce_config_selectorIN6thrust23THRUST_200600_302600_NS5tupleIblNS6_9null_typeES8_S8_S8_S8_S8_S8_S8_EEEEZNS1_11reduce_implILb1ES3_NS6_12zip_iteratorINS7_INS6_11hip_rocprim26transform_input_iterator_tIbPaNS6_6detail10functional5actorINSH_9compositeIJNSH_27transparent_binary_operatorINS6_8equal_toIvEEEENSI_INSH_8argumentILj0EEEEENSH_5valueIaEEEEEEEEENSD_19counting_iterator_tIlEES8_S8_S8_S8_S8_S8_S8_S8_EEEEPS9_S9_NSD_9__find_if7functorIS9_EEEE10hipError_tPvRmT1_T2_T3_mT4_P12ihipStream_tbEUlT_E1_NS1_11comp_targetILNS1_3genE5ELNS1_11target_archE942ELNS1_3gpuE9ELNS1_3repE0EEENS1_30default_config_static_selectorELNS0_4arch9wavefront6targetE1EEEvS17_.kd
    .uniform_work_group_size: 1
    .uses_dynamic_stack: false
    .vgpr_count:     0
    .vgpr_spill_count: 0
    .wavefront_size: 64
  - .agpr_count:     0
    .args:
      - .offset:         0
        .size:           72
        .value_kind:     by_value
    .group_segment_fixed_size: 320
    .kernarg_segment_align: 8
    .kernarg_segment_size: 72
    .language:       OpenCL C
    .language_version:
      - 2
      - 0
    .max_flat_workgroup_size: 256
    .name:           _ZN7rocprim17ROCPRIM_400000_NS6detail17trampoline_kernelINS0_14default_configENS1_22reduce_config_selectorIN6thrust23THRUST_200600_302600_NS5tupleIblNS6_9null_typeES8_S8_S8_S8_S8_S8_S8_EEEEZNS1_11reduce_implILb1ES3_NS6_12zip_iteratorINS7_INS6_11hip_rocprim26transform_input_iterator_tIbPaNS6_6detail10functional5actorINSH_9compositeIJNSH_27transparent_binary_operatorINS6_8equal_toIvEEEENSI_INSH_8argumentILj0EEEEENSH_5valueIaEEEEEEEEENSD_19counting_iterator_tIlEES8_S8_S8_S8_S8_S8_S8_S8_EEEEPS9_S9_NSD_9__find_if7functorIS9_EEEE10hipError_tPvRmT1_T2_T3_mT4_P12ihipStream_tbEUlT_E1_NS1_11comp_targetILNS1_3genE4ELNS1_11target_archE910ELNS1_3gpuE8ELNS1_3repE0EEENS1_30default_config_static_selectorELNS0_4arch9wavefront6targetE1EEEvS17_
    .private_segment_fixed_size: 0
    .sgpr_count:     44
    .sgpr_spill_count: 0
    .symbol:         _ZN7rocprim17ROCPRIM_400000_NS6detail17trampoline_kernelINS0_14default_configENS1_22reduce_config_selectorIN6thrust23THRUST_200600_302600_NS5tupleIblNS6_9null_typeES8_S8_S8_S8_S8_S8_S8_EEEEZNS1_11reduce_implILb1ES3_NS6_12zip_iteratorINS7_INS6_11hip_rocprim26transform_input_iterator_tIbPaNS6_6detail10functional5actorINSH_9compositeIJNSH_27transparent_binary_operatorINS6_8equal_toIvEEEENSI_INSH_8argumentILj0EEEEENSH_5valueIaEEEEEEEEENSD_19counting_iterator_tIlEES8_S8_S8_S8_S8_S8_S8_S8_EEEEPS9_S9_NSD_9__find_if7functorIS9_EEEE10hipError_tPvRmT1_T2_T3_mT4_P12ihipStream_tbEUlT_E1_NS1_11comp_targetILNS1_3genE4ELNS1_11target_archE910ELNS1_3gpuE8ELNS1_3repE0EEENS1_30default_config_static_selectorELNS0_4arch9wavefront6targetE1EEEvS17_.kd
    .uniform_work_group_size: 1
    .uses_dynamic_stack: false
    .vgpr_count:     27
    .vgpr_spill_count: 0
    .wavefront_size: 64
  - .agpr_count:     0
    .args:
      - .offset:         0
        .size:           72
        .value_kind:     by_value
    .group_segment_fixed_size: 0
    .kernarg_segment_align: 8
    .kernarg_segment_size: 72
    .language:       OpenCL C
    .language_version:
      - 2
      - 0
    .max_flat_workgroup_size: 128
    .name:           _ZN7rocprim17ROCPRIM_400000_NS6detail17trampoline_kernelINS0_14default_configENS1_22reduce_config_selectorIN6thrust23THRUST_200600_302600_NS5tupleIblNS6_9null_typeES8_S8_S8_S8_S8_S8_S8_EEEEZNS1_11reduce_implILb1ES3_NS6_12zip_iteratorINS7_INS6_11hip_rocprim26transform_input_iterator_tIbPaNS6_6detail10functional5actorINSH_9compositeIJNSH_27transparent_binary_operatorINS6_8equal_toIvEEEENSI_INSH_8argumentILj0EEEEENSH_5valueIaEEEEEEEEENSD_19counting_iterator_tIlEES8_S8_S8_S8_S8_S8_S8_S8_EEEEPS9_S9_NSD_9__find_if7functorIS9_EEEE10hipError_tPvRmT1_T2_T3_mT4_P12ihipStream_tbEUlT_E1_NS1_11comp_targetILNS1_3genE3ELNS1_11target_archE908ELNS1_3gpuE7ELNS1_3repE0EEENS1_30default_config_static_selectorELNS0_4arch9wavefront6targetE1EEEvS17_
    .private_segment_fixed_size: 0
    .sgpr_count:     4
    .sgpr_spill_count: 0
    .symbol:         _ZN7rocprim17ROCPRIM_400000_NS6detail17trampoline_kernelINS0_14default_configENS1_22reduce_config_selectorIN6thrust23THRUST_200600_302600_NS5tupleIblNS6_9null_typeES8_S8_S8_S8_S8_S8_S8_EEEEZNS1_11reduce_implILb1ES3_NS6_12zip_iteratorINS7_INS6_11hip_rocprim26transform_input_iterator_tIbPaNS6_6detail10functional5actorINSH_9compositeIJNSH_27transparent_binary_operatorINS6_8equal_toIvEEEENSI_INSH_8argumentILj0EEEEENSH_5valueIaEEEEEEEEENSD_19counting_iterator_tIlEES8_S8_S8_S8_S8_S8_S8_S8_EEEEPS9_S9_NSD_9__find_if7functorIS9_EEEE10hipError_tPvRmT1_T2_T3_mT4_P12ihipStream_tbEUlT_E1_NS1_11comp_targetILNS1_3genE3ELNS1_11target_archE908ELNS1_3gpuE7ELNS1_3repE0EEENS1_30default_config_static_selectorELNS0_4arch9wavefront6targetE1EEEvS17_.kd
    .uniform_work_group_size: 1
    .uses_dynamic_stack: false
    .vgpr_count:     0
    .vgpr_spill_count: 0
    .wavefront_size: 64
  - .agpr_count:     0
    .args:
      - .offset:         0
        .size:           72
        .value_kind:     by_value
    .group_segment_fixed_size: 0
    .kernarg_segment_align: 8
    .kernarg_segment_size: 72
    .language:       OpenCL C
    .language_version:
      - 2
      - 0
    .max_flat_workgroup_size: 128
    .name:           _ZN7rocprim17ROCPRIM_400000_NS6detail17trampoline_kernelINS0_14default_configENS1_22reduce_config_selectorIN6thrust23THRUST_200600_302600_NS5tupleIblNS6_9null_typeES8_S8_S8_S8_S8_S8_S8_EEEEZNS1_11reduce_implILb1ES3_NS6_12zip_iteratorINS7_INS6_11hip_rocprim26transform_input_iterator_tIbPaNS6_6detail10functional5actorINSH_9compositeIJNSH_27transparent_binary_operatorINS6_8equal_toIvEEEENSI_INSH_8argumentILj0EEEEENSH_5valueIaEEEEEEEEENSD_19counting_iterator_tIlEES8_S8_S8_S8_S8_S8_S8_S8_EEEEPS9_S9_NSD_9__find_if7functorIS9_EEEE10hipError_tPvRmT1_T2_T3_mT4_P12ihipStream_tbEUlT_E1_NS1_11comp_targetILNS1_3genE2ELNS1_11target_archE906ELNS1_3gpuE6ELNS1_3repE0EEENS1_30default_config_static_selectorELNS0_4arch9wavefront6targetE1EEEvS17_
    .private_segment_fixed_size: 0
    .sgpr_count:     4
    .sgpr_spill_count: 0
    .symbol:         _ZN7rocprim17ROCPRIM_400000_NS6detail17trampoline_kernelINS0_14default_configENS1_22reduce_config_selectorIN6thrust23THRUST_200600_302600_NS5tupleIblNS6_9null_typeES8_S8_S8_S8_S8_S8_S8_EEEEZNS1_11reduce_implILb1ES3_NS6_12zip_iteratorINS7_INS6_11hip_rocprim26transform_input_iterator_tIbPaNS6_6detail10functional5actorINSH_9compositeIJNSH_27transparent_binary_operatorINS6_8equal_toIvEEEENSI_INSH_8argumentILj0EEEEENSH_5valueIaEEEEEEEEENSD_19counting_iterator_tIlEES8_S8_S8_S8_S8_S8_S8_S8_EEEEPS9_S9_NSD_9__find_if7functorIS9_EEEE10hipError_tPvRmT1_T2_T3_mT4_P12ihipStream_tbEUlT_E1_NS1_11comp_targetILNS1_3genE2ELNS1_11target_archE906ELNS1_3gpuE6ELNS1_3repE0EEENS1_30default_config_static_selectorELNS0_4arch9wavefront6targetE1EEEvS17_.kd
    .uniform_work_group_size: 1
    .uses_dynamic_stack: false
    .vgpr_count:     0
    .vgpr_spill_count: 0
    .wavefront_size: 64
  - .agpr_count:     0
    .args:
      - .offset:         0
        .size:           72
        .value_kind:     by_value
    .group_segment_fixed_size: 0
    .kernarg_segment_align: 8
    .kernarg_segment_size: 72
    .language:       OpenCL C
    .language_version:
      - 2
      - 0
    .max_flat_workgroup_size: 256
    .name:           _ZN7rocprim17ROCPRIM_400000_NS6detail17trampoline_kernelINS0_14default_configENS1_22reduce_config_selectorIN6thrust23THRUST_200600_302600_NS5tupleIblNS6_9null_typeES8_S8_S8_S8_S8_S8_S8_EEEEZNS1_11reduce_implILb1ES3_NS6_12zip_iteratorINS7_INS6_11hip_rocprim26transform_input_iterator_tIbPaNS6_6detail10functional5actorINSH_9compositeIJNSH_27transparent_binary_operatorINS6_8equal_toIvEEEENSI_INSH_8argumentILj0EEEEENSH_5valueIaEEEEEEEEENSD_19counting_iterator_tIlEES8_S8_S8_S8_S8_S8_S8_S8_EEEEPS9_S9_NSD_9__find_if7functorIS9_EEEE10hipError_tPvRmT1_T2_T3_mT4_P12ihipStream_tbEUlT_E1_NS1_11comp_targetILNS1_3genE10ELNS1_11target_archE1201ELNS1_3gpuE5ELNS1_3repE0EEENS1_30default_config_static_selectorELNS0_4arch9wavefront6targetE1EEEvS17_
    .private_segment_fixed_size: 0
    .sgpr_count:     4
    .sgpr_spill_count: 0
    .symbol:         _ZN7rocprim17ROCPRIM_400000_NS6detail17trampoline_kernelINS0_14default_configENS1_22reduce_config_selectorIN6thrust23THRUST_200600_302600_NS5tupleIblNS6_9null_typeES8_S8_S8_S8_S8_S8_S8_EEEEZNS1_11reduce_implILb1ES3_NS6_12zip_iteratorINS7_INS6_11hip_rocprim26transform_input_iterator_tIbPaNS6_6detail10functional5actorINSH_9compositeIJNSH_27transparent_binary_operatorINS6_8equal_toIvEEEENSI_INSH_8argumentILj0EEEEENSH_5valueIaEEEEEEEEENSD_19counting_iterator_tIlEES8_S8_S8_S8_S8_S8_S8_S8_EEEEPS9_S9_NSD_9__find_if7functorIS9_EEEE10hipError_tPvRmT1_T2_T3_mT4_P12ihipStream_tbEUlT_E1_NS1_11comp_targetILNS1_3genE10ELNS1_11target_archE1201ELNS1_3gpuE5ELNS1_3repE0EEENS1_30default_config_static_selectorELNS0_4arch9wavefront6targetE1EEEvS17_.kd
    .uniform_work_group_size: 1
    .uses_dynamic_stack: false
    .vgpr_count:     0
    .vgpr_spill_count: 0
    .wavefront_size: 64
  - .agpr_count:     0
    .args:
      - .offset:         0
        .size:           72
        .value_kind:     by_value
    .group_segment_fixed_size: 0
    .kernarg_segment_align: 8
    .kernarg_segment_size: 72
    .language:       OpenCL C
    .language_version:
      - 2
      - 0
    .max_flat_workgroup_size: 256
    .name:           _ZN7rocprim17ROCPRIM_400000_NS6detail17trampoline_kernelINS0_14default_configENS1_22reduce_config_selectorIN6thrust23THRUST_200600_302600_NS5tupleIblNS6_9null_typeES8_S8_S8_S8_S8_S8_S8_EEEEZNS1_11reduce_implILb1ES3_NS6_12zip_iteratorINS7_INS6_11hip_rocprim26transform_input_iterator_tIbPaNS6_6detail10functional5actorINSH_9compositeIJNSH_27transparent_binary_operatorINS6_8equal_toIvEEEENSI_INSH_8argumentILj0EEEEENSH_5valueIaEEEEEEEEENSD_19counting_iterator_tIlEES8_S8_S8_S8_S8_S8_S8_S8_EEEEPS9_S9_NSD_9__find_if7functorIS9_EEEE10hipError_tPvRmT1_T2_T3_mT4_P12ihipStream_tbEUlT_E1_NS1_11comp_targetILNS1_3genE10ELNS1_11target_archE1200ELNS1_3gpuE4ELNS1_3repE0EEENS1_30default_config_static_selectorELNS0_4arch9wavefront6targetE1EEEvS17_
    .private_segment_fixed_size: 0
    .sgpr_count:     4
    .sgpr_spill_count: 0
    .symbol:         _ZN7rocprim17ROCPRIM_400000_NS6detail17trampoline_kernelINS0_14default_configENS1_22reduce_config_selectorIN6thrust23THRUST_200600_302600_NS5tupleIblNS6_9null_typeES8_S8_S8_S8_S8_S8_S8_EEEEZNS1_11reduce_implILb1ES3_NS6_12zip_iteratorINS7_INS6_11hip_rocprim26transform_input_iterator_tIbPaNS6_6detail10functional5actorINSH_9compositeIJNSH_27transparent_binary_operatorINS6_8equal_toIvEEEENSI_INSH_8argumentILj0EEEEENSH_5valueIaEEEEEEEEENSD_19counting_iterator_tIlEES8_S8_S8_S8_S8_S8_S8_S8_EEEEPS9_S9_NSD_9__find_if7functorIS9_EEEE10hipError_tPvRmT1_T2_T3_mT4_P12ihipStream_tbEUlT_E1_NS1_11comp_targetILNS1_3genE10ELNS1_11target_archE1200ELNS1_3gpuE4ELNS1_3repE0EEENS1_30default_config_static_selectorELNS0_4arch9wavefront6targetE1EEEvS17_.kd
    .uniform_work_group_size: 1
    .uses_dynamic_stack: false
    .vgpr_count:     0
    .vgpr_spill_count: 0
    .wavefront_size: 64
  - .agpr_count:     0
    .args:
      - .offset:         0
        .size:           72
        .value_kind:     by_value
    .group_segment_fixed_size: 0
    .kernarg_segment_align: 8
    .kernarg_segment_size: 72
    .language:       OpenCL C
    .language_version:
      - 2
      - 0
    .max_flat_workgroup_size: 256
    .name:           _ZN7rocprim17ROCPRIM_400000_NS6detail17trampoline_kernelINS0_14default_configENS1_22reduce_config_selectorIN6thrust23THRUST_200600_302600_NS5tupleIblNS6_9null_typeES8_S8_S8_S8_S8_S8_S8_EEEEZNS1_11reduce_implILb1ES3_NS6_12zip_iteratorINS7_INS6_11hip_rocprim26transform_input_iterator_tIbPaNS6_6detail10functional5actorINSH_9compositeIJNSH_27transparent_binary_operatorINS6_8equal_toIvEEEENSI_INSH_8argumentILj0EEEEENSH_5valueIaEEEEEEEEENSD_19counting_iterator_tIlEES8_S8_S8_S8_S8_S8_S8_S8_EEEEPS9_S9_NSD_9__find_if7functorIS9_EEEE10hipError_tPvRmT1_T2_T3_mT4_P12ihipStream_tbEUlT_E1_NS1_11comp_targetILNS1_3genE9ELNS1_11target_archE1100ELNS1_3gpuE3ELNS1_3repE0EEENS1_30default_config_static_selectorELNS0_4arch9wavefront6targetE1EEEvS17_
    .private_segment_fixed_size: 0
    .sgpr_count:     4
    .sgpr_spill_count: 0
    .symbol:         _ZN7rocprim17ROCPRIM_400000_NS6detail17trampoline_kernelINS0_14default_configENS1_22reduce_config_selectorIN6thrust23THRUST_200600_302600_NS5tupleIblNS6_9null_typeES8_S8_S8_S8_S8_S8_S8_EEEEZNS1_11reduce_implILb1ES3_NS6_12zip_iteratorINS7_INS6_11hip_rocprim26transform_input_iterator_tIbPaNS6_6detail10functional5actorINSH_9compositeIJNSH_27transparent_binary_operatorINS6_8equal_toIvEEEENSI_INSH_8argumentILj0EEEEENSH_5valueIaEEEEEEEEENSD_19counting_iterator_tIlEES8_S8_S8_S8_S8_S8_S8_S8_EEEEPS9_S9_NSD_9__find_if7functorIS9_EEEE10hipError_tPvRmT1_T2_T3_mT4_P12ihipStream_tbEUlT_E1_NS1_11comp_targetILNS1_3genE9ELNS1_11target_archE1100ELNS1_3gpuE3ELNS1_3repE0EEENS1_30default_config_static_selectorELNS0_4arch9wavefront6targetE1EEEvS17_.kd
    .uniform_work_group_size: 1
    .uses_dynamic_stack: false
    .vgpr_count:     0
    .vgpr_spill_count: 0
    .wavefront_size: 64
  - .agpr_count:     0
    .args:
      - .offset:         0
        .size:           72
        .value_kind:     by_value
    .group_segment_fixed_size: 0
    .kernarg_segment_align: 8
    .kernarg_segment_size: 72
    .language:       OpenCL C
    .language_version:
      - 2
      - 0
    .max_flat_workgroup_size: 256
    .name:           _ZN7rocprim17ROCPRIM_400000_NS6detail17trampoline_kernelINS0_14default_configENS1_22reduce_config_selectorIN6thrust23THRUST_200600_302600_NS5tupleIblNS6_9null_typeES8_S8_S8_S8_S8_S8_S8_EEEEZNS1_11reduce_implILb1ES3_NS6_12zip_iteratorINS7_INS6_11hip_rocprim26transform_input_iterator_tIbPaNS6_6detail10functional5actorINSH_9compositeIJNSH_27transparent_binary_operatorINS6_8equal_toIvEEEENSI_INSH_8argumentILj0EEEEENSH_5valueIaEEEEEEEEENSD_19counting_iterator_tIlEES8_S8_S8_S8_S8_S8_S8_S8_EEEEPS9_S9_NSD_9__find_if7functorIS9_EEEE10hipError_tPvRmT1_T2_T3_mT4_P12ihipStream_tbEUlT_E1_NS1_11comp_targetILNS1_3genE8ELNS1_11target_archE1030ELNS1_3gpuE2ELNS1_3repE0EEENS1_30default_config_static_selectorELNS0_4arch9wavefront6targetE1EEEvS17_
    .private_segment_fixed_size: 0
    .sgpr_count:     4
    .sgpr_spill_count: 0
    .symbol:         _ZN7rocprim17ROCPRIM_400000_NS6detail17trampoline_kernelINS0_14default_configENS1_22reduce_config_selectorIN6thrust23THRUST_200600_302600_NS5tupleIblNS6_9null_typeES8_S8_S8_S8_S8_S8_S8_EEEEZNS1_11reduce_implILb1ES3_NS6_12zip_iteratorINS7_INS6_11hip_rocprim26transform_input_iterator_tIbPaNS6_6detail10functional5actorINSH_9compositeIJNSH_27transparent_binary_operatorINS6_8equal_toIvEEEENSI_INSH_8argumentILj0EEEEENSH_5valueIaEEEEEEEEENSD_19counting_iterator_tIlEES8_S8_S8_S8_S8_S8_S8_S8_EEEEPS9_S9_NSD_9__find_if7functorIS9_EEEE10hipError_tPvRmT1_T2_T3_mT4_P12ihipStream_tbEUlT_E1_NS1_11comp_targetILNS1_3genE8ELNS1_11target_archE1030ELNS1_3gpuE2ELNS1_3repE0EEENS1_30default_config_static_selectorELNS0_4arch9wavefront6targetE1EEEvS17_.kd
    .uniform_work_group_size: 1
    .uses_dynamic_stack: false
    .vgpr_count:     0
    .vgpr_spill_count: 0
    .wavefront_size: 64
  - .agpr_count:     0
    .args:
      - .offset:         0
        .size:           48
        .value_kind:     by_value
    .group_segment_fixed_size: 0
    .kernarg_segment_align: 8
    .kernarg_segment_size: 48
    .language:       OpenCL C
    .language_version:
      - 2
      - 0
    .max_flat_workgroup_size: 256
    .name:           _ZN7rocprim17ROCPRIM_400000_NS6detail17trampoline_kernelINS0_13kernel_configILj256ELj4ELj4294967295EEENS1_37radix_sort_block_sort_config_selectorIilEEZNS1_21radix_sort_block_sortIS4_Lb0EPiS8_N6thrust23THRUST_200600_302600_NS10device_ptrIlEESC_NS0_19identity_decomposerEEE10hipError_tT1_T2_T3_T4_jRjT5_jjP12ihipStream_tbEUlT_E_NS1_11comp_targetILNS1_3genE0ELNS1_11target_archE4294967295ELNS1_3gpuE0ELNS1_3repE0EEENS1_44radix_sort_block_sort_config_static_selectorELNS0_4arch9wavefront6targetE1EEEvSF_
    .private_segment_fixed_size: 0
    .sgpr_count:     4
    .sgpr_spill_count: 0
    .symbol:         _ZN7rocprim17ROCPRIM_400000_NS6detail17trampoline_kernelINS0_13kernel_configILj256ELj4ELj4294967295EEENS1_37radix_sort_block_sort_config_selectorIilEEZNS1_21radix_sort_block_sortIS4_Lb0EPiS8_N6thrust23THRUST_200600_302600_NS10device_ptrIlEESC_NS0_19identity_decomposerEEE10hipError_tT1_T2_T3_T4_jRjT5_jjP12ihipStream_tbEUlT_E_NS1_11comp_targetILNS1_3genE0ELNS1_11target_archE4294967295ELNS1_3gpuE0ELNS1_3repE0EEENS1_44radix_sort_block_sort_config_static_selectorELNS0_4arch9wavefront6targetE1EEEvSF_.kd
    .uniform_work_group_size: 1
    .uses_dynamic_stack: false
    .vgpr_count:     0
    .vgpr_spill_count: 0
    .wavefront_size: 64
  - .agpr_count:     0
    .args:
      - .offset:         0
        .size:           48
        .value_kind:     by_value
    .group_segment_fixed_size: 0
    .kernarg_segment_align: 8
    .kernarg_segment_size: 48
    .language:       OpenCL C
    .language_version:
      - 2
      - 0
    .max_flat_workgroup_size: 256
    .name:           _ZN7rocprim17ROCPRIM_400000_NS6detail17trampoline_kernelINS0_13kernel_configILj256ELj4ELj4294967295EEENS1_37radix_sort_block_sort_config_selectorIilEEZNS1_21radix_sort_block_sortIS4_Lb0EPiS8_N6thrust23THRUST_200600_302600_NS10device_ptrIlEESC_NS0_19identity_decomposerEEE10hipError_tT1_T2_T3_T4_jRjT5_jjP12ihipStream_tbEUlT_E_NS1_11comp_targetILNS1_3genE5ELNS1_11target_archE942ELNS1_3gpuE9ELNS1_3repE0EEENS1_44radix_sort_block_sort_config_static_selectorELNS0_4arch9wavefront6targetE1EEEvSF_
    .private_segment_fixed_size: 0
    .sgpr_count:     4
    .sgpr_spill_count: 0
    .symbol:         _ZN7rocprim17ROCPRIM_400000_NS6detail17trampoline_kernelINS0_13kernel_configILj256ELj4ELj4294967295EEENS1_37radix_sort_block_sort_config_selectorIilEEZNS1_21radix_sort_block_sortIS4_Lb0EPiS8_N6thrust23THRUST_200600_302600_NS10device_ptrIlEESC_NS0_19identity_decomposerEEE10hipError_tT1_T2_T3_T4_jRjT5_jjP12ihipStream_tbEUlT_E_NS1_11comp_targetILNS1_3genE5ELNS1_11target_archE942ELNS1_3gpuE9ELNS1_3repE0EEENS1_44radix_sort_block_sort_config_static_selectorELNS0_4arch9wavefront6targetE1EEEvSF_.kd
    .uniform_work_group_size: 1
    .uses_dynamic_stack: false
    .vgpr_count:     0
    .vgpr_spill_count: 0
    .wavefront_size: 64
  - .agpr_count:     0
    .args:
      - .offset:         0
        .size:           48
        .value_kind:     by_value
      - .offset:         48
        .size:           4
        .value_kind:     hidden_block_count_x
      - .offset:         52
        .size:           4
        .value_kind:     hidden_block_count_y
      - .offset:         56
        .size:           4
        .value_kind:     hidden_block_count_z
      - .offset:         60
        .size:           2
        .value_kind:     hidden_group_size_x
      - .offset:         62
        .size:           2
        .value_kind:     hidden_group_size_y
      - .offset:         64
        .size:           2
        .value_kind:     hidden_group_size_z
      - .offset:         66
        .size:           2
        .value_kind:     hidden_remainder_x
      - .offset:         68
        .size:           2
        .value_kind:     hidden_remainder_y
      - .offset:         70
        .size:           2
        .value_kind:     hidden_remainder_z
      - .offset:         88
        .size:           8
        .value_kind:     hidden_global_offset_x
      - .offset:         96
        .size:           8
        .value_kind:     hidden_global_offset_y
      - .offset:         104
        .size:           8
        .value_kind:     hidden_global_offset_z
      - .offset:         112
        .size:           2
        .value_kind:     hidden_grid_dims
    .group_segment_fixed_size: 8192
    .kernarg_segment_align: 8
    .kernarg_segment_size: 304
    .language:       OpenCL C
    .language_version:
      - 2
      - 0
    .max_flat_workgroup_size: 256
    .name:           _ZN7rocprim17ROCPRIM_400000_NS6detail17trampoline_kernelINS0_13kernel_configILj256ELj4ELj4294967295EEENS1_37radix_sort_block_sort_config_selectorIilEEZNS1_21radix_sort_block_sortIS4_Lb0EPiS8_N6thrust23THRUST_200600_302600_NS10device_ptrIlEESC_NS0_19identity_decomposerEEE10hipError_tT1_T2_T3_T4_jRjT5_jjP12ihipStream_tbEUlT_E_NS1_11comp_targetILNS1_3genE4ELNS1_11target_archE910ELNS1_3gpuE8ELNS1_3repE0EEENS1_44radix_sort_block_sort_config_static_selectorELNS0_4arch9wavefront6targetE1EEEvSF_
    .private_segment_fixed_size: 0
    .sgpr_count:     52
    .sgpr_spill_count: 0
    .symbol:         _ZN7rocprim17ROCPRIM_400000_NS6detail17trampoline_kernelINS0_13kernel_configILj256ELj4ELj4294967295EEENS1_37radix_sort_block_sort_config_selectorIilEEZNS1_21radix_sort_block_sortIS4_Lb0EPiS8_N6thrust23THRUST_200600_302600_NS10device_ptrIlEESC_NS0_19identity_decomposerEEE10hipError_tT1_T2_T3_T4_jRjT5_jjP12ihipStream_tbEUlT_E_NS1_11comp_targetILNS1_3genE4ELNS1_11target_archE910ELNS1_3gpuE8ELNS1_3repE0EEENS1_44radix_sort_block_sort_config_static_selectorELNS0_4arch9wavefront6targetE1EEEvSF_.kd
    .uniform_work_group_size: 1
    .uses_dynamic_stack: false
    .vgpr_count:     53
    .vgpr_spill_count: 0
    .wavefront_size: 64
  - .agpr_count:     0
    .args:
      - .offset:         0
        .size:           48
        .value_kind:     by_value
    .group_segment_fixed_size: 0
    .kernarg_segment_align: 8
    .kernarg_segment_size: 48
    .language:       OpenCL C
    .language_version:
      - 2
      - 0
    .max_flat_workgroup_size: 256
    .name:           _ZN7rocprim17ROCPRIM_400000_NS6detail17trampoline_kernelINS0_13kernel_configILj256ELj4ELj4294967295EEENS1_37radix_sort_block_sort_config_selectorIilEEZNS1_21radix_sort_block_sortIS4_Lb0EPiS8_N6thrust23THRUST_200600_302600_NS10device_ptrIlEESC_NS0_19identity_decomposerEEE10hipError_tT1_T2_T3_T4_jRjT5_jjP12ihipStream_tbEUlT_E_NS1_11comp_targetILNS1_3genE3ELNS1_11target_archE908ELNS1_3gpuE7ELNS1_3repE0EEENS1_44radix_sort_block_sort_config_static_selectorELNS0_4arch9wavefront6targetE1EEEvSF_
    .private_segment_fixed_size: 0
    .sgpr_count:     4
    .sgpr_spill_count: 0
    .symbol:         _ZN7rocprim17ROCPRIM_400000_NS6detail17trampoline_kernelINS0_13kernel_configILj256ELj4ELj4294967295EEENS1_37radix_sort_block_sort_config_selectorIilEEZNS1_21radix_sort_block_sortIS4_Lb0EPiS8_N6thrust23THRUST_200600_302600_NS10device_ptrIlEESC_NS0_19identity_decomposerEEE10hipError_tT1_T2_T3_T4_jRjT5_jjP12ihipStream_tbEUlT_E_NS1_11comp_targetILNS1_3genE3ELNS1_11target_archE908ELNS1_3gpuE7ELNS1_3repE0EEENS1_44radix_sort_block_sort_config_static_selectorELNS0_4arch9wavefront6targetE1EEEvSF_.kd
    .uniform_work_group_size: 1
    .uses_dynamic_stack: false
    .vgpr_count:     0
    .vgpr_spill_count: 0
    .wavefront_size: 64
  - .agpr_count:     0
    .args:
      - .offset:         0
        .size:           48
        .value_kind:     by_value
    .group_segment_fixed_size: 0
    .kernarg_segment_align: 8
    .kernarg_segment_size: 48
    .language:       OpenCL C
    .language_version:
      - 2
      - 0
    .max_flat_workgroup_size: 256
    .name:           _ZN7rocprim17ROCPRIM_400000_NS6detail17trampoline_kernelINS0_13kernel_configILj256ELj4ELj4294967295EEENS1_37radix_sort_block_sort_config_selectorIilEEZNS1_21radix_sort_block_sortIS4_Lb0EPiS8_N6thrust23THRUST_200600_302600_NS10device_ptrIlEESC_NS0_19identity_decomposerEEE10hipError_tT1_T2_T3_T4_jRjT5_jjP12ihipStream_tbEUlT_E_NS1_11comp_targetILNS1_3genE2ELNS1_11target_archE906ELNS1_3gpuE6ELNS1_3repE0EEENS1_44radix_sort_block_sort_config_static_selectorELNS0_4arch9wavefront6targetE1EEEvSF_
    .private_segment_fixed_size: 0
    .sgpr_count:     4
    .sgpr_spill_count: 0
    .symbol:         _ZN7rocprim17ROCPRIM_400000_NS6detail17trampoline_kernelINS0_13kernel_configILj256ELj4ELj4294967295EEENS1_37radix_sort_block_sort_config_selectorIilEEZNS1_21radix_sort_block_sortIS4_Lb0EPiS8_N6thrust23THRUST_200600_302600_NS10device_ptrIlEESC_NS0_19identity_decomposerEEE10hipError_tT1_T2_T3_T4_jRjT5_jjP12ihipStream_tbEUlT_E_NS1_11comp_targetILNS1_3genE2ELNS1_11target_archE906ELNS1_3gpuE6ELNS1_3repE0EEENS1_44radix_sort_block_sort_config_static_selectorELNS0_4arch9wavefront6targetE1EEEvSF_.kd
    .uniform_work_group_size: 1
    .uses_dynamic_stack: false
    .vgpr_count:     0
    .vgpr_spill_count: 0
    .wavefront_size: 64
  - .agpr_count:     0
    .args:
      - .offset:         0
        .size:           48
        .value_kind:     by_value
    .group_segment_fixed_size: 0
    .kernarg_segment_align: 8
    .kernarg_segment_size: 48
    .language:       OpenCL C
    .language_version:
      - 2
      - 0
    .max_flat_workgroup_size: 256
    .name:           _ZN7rocprim17ROCPRIM_400000_NS6detail17trampoline_kernelINS0_13kernel_configILj256ELj4ELj4294967295EEENS1_37radix_sort_block_sort_config_selectorIilEEZNS1_21radix_sort_block_sortIS4_Lb0EPiS8_N6thrust23THRUST_200600_302600_NS10device_ptrIlEESC_NS0_19identity_decomposerEEE10hipError_tT1_T2_T3_T4_jRjT5_jjP12ihipStream_tbEUlT_E_NS1_11comp_targetILNS1_3genE10ELNS1_11target_archE1201ELNS1_3gpuE5ELNS1_3repE0EEENS1_44radix_sort_block_sort_config_static_selectorELNS0_4arch9wavefront6targetE1EEEvSF_
    .private_segment_fixed_size: 0
    .sgpr_count:     4
    .sgpr_spill_count: 0
    .symbol:         _ZN7rocprim17ROCPRIM_400000_NS6detail17trampoline_kernelINS0_13kernel_configILj256ELj4ELj4294967295EEENS1_37radix_sort_block_sort_config_selectorIilEEZNS1_21radix_sort_block_sortIS4_Lb0EPiS8_N6thrust23THRUST_200600_302600_NS10device_ptrIlEESC_NS0_19identity_decomposerEEE10hipError_tT1_T2_T3_T4_jRjT5_jjP12ihipStream_tbEUlT_E_NS1_11comp_targetILNS1_3genE10ELNS1_11target_archE1201ELNS1_3gpuE5ELNS1_3repE0EEENS1_44radix_sort_block_sort_config_static_selectorELNS0_4arch9wavefront6targetE1EEEvSF_.kd
    .uniform_work_group_size: 1
    .uses_dynamic_stack: false
    .vgpr_count:     0
    .vgpr_spill_count: 0
    .wavefront_size: 64
  - .agpr_count:     0
    .args:
      - .offset:         0
        .size:           48
        .value_kind:     by_value
    .group_segment_fixed_size: 0
    .kernarg_segment_align: 8
    .kernarg_segment_size: 48
    .language:       OpenCL C
    .language_version:
      - 2
      - 0
    .max_flat_workgroup_size: 256
    .name:           _ZN7rocprim17ROCPRIM_400000_NS6detail17trampoline_kernelINS0_13kernel_configILj256ELj4ELj4294967295EEENS1_37radix_sort_block_sort_config_selectorIilEEZNS1_21radix_sort_block_sortIS4_Lb0EPiS8_N6thrust23THRUST_200600_302600_NS10device_ptrIlEESC_NS0_19identity_decomposerEEE10hipError_tT1_T2_T3_T4_jRjT5_jjP12ihipStream_tbEUlT_E_NS1_11comp_targetILNS1_3genE10ELNS1_11target_archE1200ELNS1_3gpuE4ELNS1_3repE0EEENS1_44radix_sort_block_sort_config_static_selectorELNS0_4arch9wavefront6targetE1EEEvSF_
    .private_segment_fixed_size: 0
    .sgpr_count:     4
    .sgpr_spill_count: 0
    .symbol:         _ZN7rocprim17ROCPRIM_400000_NS6detail17trampoline_kernelINS0_13kernel_configILj256ELj4ELj4294967295EEENS1_37radix_sort_block_sort_config_selectorIilEEZNS1_21radix_sort_block_sortIS4_Lb0EPiS8_N6thrust23THRUST_200600_302600_NS10device_ptrIlEESC_NS0_19identity_decomposerEEE10hipError_tT1_T2_T3_T4_jRjT5_jjP12ihipStream_tbEUlT_E_NS1_11comp_targetILNS1_3genE10ELNS1_11target_archE1200ELNS1_3gpuE4ELNS1_3repE0EEENS1_44radix_sort_block_sort_config_static_selectorELNS0_4arch9wavefront6targetE1EEEvSF_.kd
    .uniform_work_group_size: 1
    .uses_dynamic_stack: false
    .vgpr_count:     0
    .vgpr_spill_count: 0
    .wavefront_size: 64
  - .agpr_count:     0
    .args:
      - .offset:         0
        .size:           48
        .value_kind:     by_value
    .group_segment_fixed_size: 0
    .kernarg_segment_align: 8
    .kernarg_segment_size: 48
    .language:       OpenCL C
    .language_version:
      - 2
      - 0
    .max_flat_workgroup_size: 256
    .name:           _ZN7rocprim17ROCPRIM_400000_NS6detail17trampoline_kernelINS0_13kernel_configILj256ELj4ELj4294967295EEENS1_37radix_sort_block_sort_config_selectorIilEEZNS1_21radix_sort_block_sortIS4_Lb0EPiS8_N6thrust23THRUST_200600_302600_NS10device_ptrIlEESC_NS0_19identity_decomposerEEE10hipError_tT1_T2_T3_T4_jRjT5_jjP12ihipStream_tbEUlT_E_NS1_11comp_targetILNS1_3genE9ELNS1_11target_archE1100ELNS1_3gpuE3ELNS1_3repE0EEENS1_44radix_sort_block_sort_config_static_selectorELNS0_4arch9wavefront6targetE1EEEvSF_
    .private_segment_fixed_size: 0
    .sgpr_count:     4
    .sgpr_spill_count: 0
    .symbol:         _ZN7rocprim17ROCPRIM_400000_NS6detail17trampoline_kernelINS0_13kernel_configILj256ELj4ELj4294967295EEENS1_37radix_sort_block_sort_config_selectorIilEEZNS1_21radix_sort_block_sortIS4_Lb0EPiS8_N6thrust23THRUST_200600_302600_NS10device_ptrIlEESC_NS0_19identity_decomposerEEE10hipError_tT1_T2_T3_T4_jRjT5_jjP12ihipStream_tbEUlT_E_NS1_11comp_targetILNS1_3genE9ELNS1_11target_archE1100ELNS1_3gpuE3ELNS1_3repE0EEENS1_44radix_sort_block_sort_config_static_selectorELNS0_4arch9wavefront6targetE1EEEvSF_.kd
    .uniform_work_group_size: 1
    .uses_dynamic_stack: false
    .vgpr_count:     0
    .vgpr_spill_count: 0
    .wavefront_size: 64
  - .agpr_count:     0
    .args:
      - .offset:         0
        .size:           48
        .value_kind:     by_value
    .group_segment_fixed_size: 0
    .kernarg_segment_align: 8
    .kernarg_segment_size: 48
    .language:       OpenCL C
    .language_version:
      - 2
      - 0
    .max_flat_workgroup_size: 256
    .name:           _ZN7rocprim17ROCPRIM_400000_NS6detail17trampoline_kernelINS0_13kernel_configILj256ELj4ELj4294967295EEENS1_37radix_sort_block_sort_config_selectorIilEEZNS1_21radix_sort_block_sortIS4_Lb0EPiS8_N6thrust23THRUST_200600_302600_NS10device_ptrIlEESC_NS0_19identity_decomposerEEE10hipError_tT1_T2_T3_T4_jRjT5_jjP12ihipStream_tbEUlT_E_NS1_11comp_targetILNS1_3genE8ELNS1_11target_archE1030ELNS1_3gpuE2ELNS1_3repE0EEENS1_44radix_sort_block_sort_config_static_selectorELNS0_4arch9wavefront6targetE1EEEvSF_
    .private_segment_fixed_size: 0
    .sgpr_count:     4
    .sgpr_spill_count: 0
    .symbol:         _ZN7rocprim17ROCPRIM_400000_NS6detail17trampoline_kernelINS0_13kernel_configILj256ELj4ELj4294967295EEENS1_37radix_sort_block_sort_config_selectorIilEEZNS1_21radix_sort_block_sortIS4_Lb0EPiS8_N6thrust23THRUST_200600_302600_NS10device_ptrIlEESC_NS0_19identity_decomposerEEE10hipError_tT1_T2_T3_T4_jRjT5_jjP12ihipStream_tbEUlT_E_NS1_11comp_targetILNS1_3genE8ELNS1_11target_archE1030ELNS1_3gpuE2ELNS1_3repE0EEENS1_44radix_sort_block_sort_config_static_selectorELNS0_4arch9wavefront6targetE1EEEvSF_.kd
    .uniform_work_group_size: 1
    .uses_dynamic_stack: false
    .vgpr_count:     0
    .vgpr_spill_count: 0
    .wavefront_size: 64
  - .agpr_count:     0
    .args:           []
    .group_segment_fixed_size: 0
    .kernarg_segment_align: 4
    .kernarg_segment_size: 0
    .language:       OpenCL C
    .language_version:
      - 2
      - 0
    .max_flat_workgroup_size: 1024
    .name:           _ZN7rocprim17ROCPRIM_400000_NS6detail44device_merge_sort_compile_time_verifier_archINS1_11comp_targetILNS1_3genE0ELNS1_11target_archE4294967295ELNS1_3gpuE0ELNS1_3repE0EEES8_NS1_28merge_sort_block_sort_configILj256ELj4ELNS0_20block_sort_algorithmE0EEENS0_14default_configENS1_37merge_sort_block_sort_config_selectorIilEENS1_38merge_sort_block_merge_config_selectorIilEEEEvv
    .private_segment_fixed_size: 0
    .sgpr_count:     4
    .sgpr_spill_count: 0
    .symbol:         _ZN7rocprim17ROCPRIM_400000_NS6detail44device_merge_sort_compile_time_verifier_archINS1_11comp_targetILNS1_3genE0ELNS1_11target_archE4294967295ELNS1_3gpuE0ELNS1_3repE0EEES8_NS1_28merge_sort_block_sort_configILj256ELj4ELNS0_20block_sort_algorithmE0EEENS0_14default_configENS1_37merge_sort_block_sort_config_selectorIilEENS1_38merge_sort_block_merge_config_selectorIilEEEEvv.kd
    .uniform_work_group_size: 1
    .uses_dynamic_stack: false
    .vgpr_count:     0
    .vgpr_spill_count: 0
    .wavefront_size: 64
  - .agpr_count:     0
    .args:           []
    .group_segment_fixed_size: 0
    .kernarg_segment_align: 4
    .kernarg_segment_size: 0
    .language:       OpenCL C
    .language_version:
      - 2
      - 0
    .max_flat_workgroup_size: 1024
    .name:           _ZN7rocprim17ROCPRIM_400000_NS6detail44device_merge_sort_compile_time_verifier_archINS1_11comp_targetILNS1_3genE5ELNS1_11target_archE942ELNS1_3gpuE9ELNS1_3repE0EEES8_NS1_28merge_sort_block_sort_configILj256ELj4ELNS0_20block_sort_algorithmE0EEENS0_14default_configENS1_37merge_sort_block_sort_config_selectorIilEENS1_38merge_sort_block_merge_config_selectorIilEEEEvv
    .private_segment_fixed_size: 0
    .sgpr_count:     4
    .sgpr_spill_count: 0
    .symbol:         _ZN7rocprim17ROCPRIM_400000_NS6detail44device_merge_sort_compile_time_verifier_archINS1_11comp_targetILNS1_3genE5ELNS1_11target_archE942ELNS1_3gpuE9ELNS1_3repE0EEES8_NS1_28merge_sort_block_sort_configILj256ELj4ELNS0_20block_sort_algorithmE0EEENS0_14default_configENS1_37merge_sort_block_sort_config_selectorIilEENS1_38merge_sort_block_merge_config_selectorIilEEEEvv.kd
    .uniform_work_group_size: 1
    .uses_dynamic_stack: false
    .vgpr_count:     0
    .vgpr_spill_count: 0
    .wavefront_size: 64
  - .agpr_count:     0
    .args:           []
    .group_segment_fixed_size: 0
    .kernarg_segment_align: 4
    .kernarg_segment_size: 0
    .language:       OpenCL C
    .language_version:
      - 2
      - 0
    .max_flat_workgroup_size: 1024
    .name:           _ZN7rocprim17ROCPRIM_400000_NS6detail44device_merge_sort_compile_time_verifier_archINS1_11comp_targetILNS1_3genE4ELNS1_11target_archE910ELNS1_3gpuE8ELNS1_3repE0EEES8_NS1_28merge_sort_block_sort_configILj256ELj4ELNS0_20block_sort_algorithmE0EEENS0_14default_configENS1_37merge_sort_block_sort_config_selectorIilEENS1_38merge_sort_block_merge_config_selectorIilEEEEvv
    .private_segment_fixed_size: 0
    .sgpr_count:     4
    .sgpr_spill_count: 0
    .symbol:         _ZN7rocprim17ROCPRIM_400000_NS6detail44device_merge_sort_compile_time_verifier_archINS1_11comp_targetILNS1_3genE4ELNS1_11target_archE910ELNS1_3gpuE8ELNS1_3repE0EEES8_NS1_28merge_sort_block_sort_configILj256ELj4ELNS0_20block_sort_algorithmE0EEENS0_14default_configENS1_37merge_sort_block_sort_config_selectorIilEENS1_38merge_sort_block_merge_config_selectorIilEEEEvv.kd
    .uniform_work_group_size: 1
    .uses_dynamic_stack: false
    .vgpr_count:     0
    .vgpr_spill_count: 0
    .wavefront_size: 64
  - .agpr_count:     0
    .args:           []
    .group_segment_fixed_size: 0
    .kernarg_segment_align: 4
    .kernarg_segment_size: 0
    .language:       OpenCL C
    .language_version:
      - 2
      - 0
    .max_flat_workgroup_size: 1024
    .name:           _ZN7rocprim17ROCPRIM_400000_NS6detail44device_merge_sort_compile_time_verifier_archINS1_11comp_targetILNS1_3genE3ELNS1_11target_archE908ELNS1_3gpuE7ELNS1_3repE0EEES8_NS1_28merge_sort_block_sort_configILj256ELj4ELNS0_20block_sort_algorithmE0EEENS0_14default_configENS1_37merge_sort_block_sort_config_selectorIilEENS1_38merge_sort_block_merge_config_selectorIilEEEEvv
    .private_segment_fixed_size: 0
    .sgpr_count:     4
    .sgpr_spill_count: 0
    .symbol:         _ZN7rocprim17ROCPRIM_400000_NS6detail44device_merge_sort_compile_time_verifier_archINS1_11comp_targetILNS1_3genE3ELNS1_11target_archE908ELNS1_3gpuE7ELNS1_3repE0EEES8_NS1_28merge_sort_block_sort_configILj256ELj4ELNS0_20block_sort_algorithmE0EEENS0_14default_configENS1_37merge_sort_block_sort_config_selectorIilEENS1_38merge_sort_block_merge_config_selectorIilEEEEvv.kd
    .uniform_work_group_size: 1
    .uses_dynamic_stack: false
    .vgpr_count:     0
    .vgpr_spill_count: 0
    .wavefront_size: 64
  - .agpr_count:     0
    .args:           []
    .group_segment_fixed_size: 0
    .kernarg_segment_align: 4
    .kernarg_segment_size: 0
    .language:       OpenCL C
    .language_version:
      - 2
      - 0
    .max_flat_workgroup_size: 1024
    .name:           _ZN7rocprim17ROCPRIM_400000_NS6detail44device_merge_sort_compile_time_verifier_archINS1_11comp_targetILNS1_3genE2ELNS1_11target_archE906ELNS1_3gpuE6ELNS1_3repE0EEES8_NS1_28merge_sort_block_sort_configILj256ELj4ELNS0_20block_sort_algorithmE0EEENS0_14default_configENS1_37merge_sort_block_sort_config_selectorIilEENS1_38merge_sort_block_merge_config_selectorIilEEEEvv
    .private_segment_fixed_size: 0
    .sgpr_count:     4
    .sgpr_spill_count: 0
    .symbol:         _ZN7rocprim17ROCPRIM_400000_NS6detail44device_merge_sort_compile_time_verifier_archINS1_11comp_targetILNS1_3genE2ELNS1_11target_archE906ELNS1_3gpuE6ELNS1_3repE0EEES8_NS1_28merge_sort_block_sort_configILj256ELj4ELNS0_20block_sort_algorithmE0EEENS0_14default_configENS1_37merge_sort_block_sort_config_selectorIilEENS1_38merge_sort_block_merge_config_selectorIilEEEEvv.kd
    .uniform_work_group_size: 1
    .uses_dynamic_stack: false
    .vgpr_count:     0
    .vgpr_spill_count: 0
    .wavefront_size: 64
  - .agpr_count:     0
    .args:           []
    .group_segment_fixed_size: 0
    .kernarg_segment_align: 4
    .kernarg_segment_size: 0
    .language:       OpenCL C
    .language_version:
      - 2
      - 0
    .max_flat_workgroup_size: 1024
    .name:           _ZN7rocprim17ROCPRIM_400000_NS6detail44device_merge_sort_compile_time_verifier_archINS1_11comp_targetILNS1_3genE10ELNS1_11target_archE1201ELNS1_3gpuE5ELNS1_3repE0EEES8_NS1_28merge_sort_block_sort_configILj256ELj4ELNS0_20block_sort_algorithmE0EEENS0_14default_configENS1_37merge_sort_block_sort_config_selectorIilEENS1_38merge_sort_block_merge_config_selectorIilEEEEvv
    .private_segment_fixed_size: 0
    .sgpr_count:     4
    .sgpr_spill_count: 0
    .symbol:         _ZN7rocprim17ROCPRIM_400000_NS6detail44device_merge_sort_compile_time_verifier_archINS1_11comp_targetILNS1_3genE10ELNS1_11target_archE1201ELNS1_3gpuE5ELNS1_3repE0EEES8_NS1_28merge_sort_block_sort_configILj256ELj4ELNS0_20block_sort_algorithmE0EEENS0_14default_configENS1_37merge_sort_block_sort_config_selectorIilEENS1_38merge_sort_block_merge_config_selectorIilEEEEvv.kd
    .uniform_work_group_size: 1
    .uses_dynamic_stack: false
    .vgpr_count:     0
    .vgpr_spill_count: 0
    .wavefront_size: 64
  - .agpr_count:     0
    .args:           []
    .group_segment_fixed_size: 0
    .kernarg_segment_align: 4
    .kernarg_segment_size: 0
    .language:       OpenCL C
    .language_version:
      - 2
      - 0
    .max_flat_workgroup_size: 1024
    .name:           _ZN7rocprim17ROCPRIM_400000_NS6detail44device_merge_sort_compile_time_verifier_archINS1_11comp_targetILNS1_3genE10ELNS1_11target_archE1200ELNS1_3gpuE4ELNS1_3repE0EEENS3_ILS4_10ELS5_1201ELS6_5ELS7_0EEENS1_28merge_sort_block_sort_configILj256ELj4ELNS0_20block_sort_algorithmE0EEENS0_14default_configENS1_37merge_sort_block_sort_config_selectorIilEENS1_38merge_sort_block_merge_config_selectorIilEEEEvv
    .private_segment_fixed_size: 0
    .sgpr_count:     4
    .sgpr_spill_count: 0
    .symbol:         _ZN7rocprim17ROCPRIM_400000_NS6detail44device_merge_sort_compile_time_verifier_archINS1_11comp_targetILNS1_3genE10ELNS1_11target_archE1200ELNS1_3gpuE4ELNS1_3repE0EEENS3_ILS4_10ELS5_1201ELS6_5ELS7_0EEENS1_28merge_sort_block_sort_configILj256ELj4ELNS0_20block_sort_algorithmE0EEENS0_14default_configENS1_37merge_sort_block_sort_config_selectorIilEENS1_38merge_sort_block_merge_config_selectorIilEEEEvv.kd
    .uniform_work_group_size: 1
    .uses_dynamic_stack: false
    .vgpr_count:     0
    .vgpr_spill_count: 0
    .wavefront_size: 64
  - .agpr_count:     0
    .args:           []
    .group_segment_fixed_size: 0
    .kernarg_segment_align: 4
    .kernarg_segment_size: 0
    .language:       OpenCL C
    .language_version:
      - 2
      - 0
    .max_flat_workgroup_size: 1024
    .name:           _ZN7rocprim17ROCPRIM_400000_NS6detail44device_merge_sort_compile_time_verifier_archINS1_11comp_targetILNS1_3genE9ELNS1_11target_archE1100ELNS1_3gpuE3ELNS1_3repE0EEES8_NS1_28merge_sort_block_sort_configILj256ELj4ELNS0_20block_sort_algorithmE0EEENS0_14default_configENS1_37merge_sort_block_sort_config_selectorIilEENS1_38merge_sort_block_merge_config_selectorIilEEEEvv
    .private_segment_fixed_size: 0
    .sgpr_count:     4
    .sgpr_spill_count: 0
    .symbol:         _ZN7rocprim17ROCPRIM_400000_NS6detail44device_merge_sort_compile_time_verifier_archINS1_11comp_targetILNS1_3genE9ELNS1_11target_archE1100ELNS1_3gpuE3ELNS1_3repE0EEES8_NS1_28merge_sort_block_sort_configILj256ELj4ELNS0_20block_sort_algorithmE0EEENS0_14default_configENS1_37merge_sort_block_sort_config_selectorIilEENS1_38merge_sort_block_merge_config_selectorIilEEEEvv.kd
    .uniform_work_group_size: 1
    .uses_dynamic_stack: false
    .vgpr_count:     0
    .vgpr_spill_count: 0
    .wavefront_size: 64
  - .agpr_count:     0
    .args:           []
    .group_segment_fixed_size: 0
    .kernarg_segment_align: 4
    .kernarg_segment_size: 0
    .language:       OpenCL C
    .language_version:
      - 2
      - 0
    .max_flat_workgroup_size: 1024
    .name:           _ZN7rocprim17ROCPRIM_400000_NS6detail44device_merge_sort_compile_time_verifier_archINS1_11comp_targetILNS1_3genE8ELNS1_11target_archE1030ELNS1_3gpuE2ELNS1_3repE0EEES8_NS1_28merge_sort_block_sort_configILj256ELj4ELNS0_20block_sort_algorithmE0EEENS0_14default_configENS1_37merge_sort_block_sort_config_selectorIilEENS1_38merge_sort_block_merge_config_selectorIilEEEEvv
    .private_segment_fixed_size: 0
    .sgpr_count:     4
    .sgpr_spill_count: 0
    .symbol:         _ZN7rocprim17ROCPRIM_400000_NS6detail44device_merge_sort_compile_time_verifier_archINS1_11comp_targetILNS1_3genE8ELNS1_11target_archE1030ELNS1_3gpuE2ELNS1_3repE0EEES8_NS1_28merge_sort_block_sort_configILj256ELj4ELNS0_20block_sort_algorithmE0EEENS0_14default_configENS1_37merge_sort_block_sort_config_selectorIilEENS1_38merge_sort_block_merge_config_selectorIilEEEEvv.kd
    .uniform_work_group_size: 1
    .uses_dynamic_stack: false
    .vgpr_count:     0
    .vgpr_spill_count: 0
    .wavefront_size: 64
  - .agpr_count:     0
    .args:
      - .offset:         0
        .size:           40
        .value_kind:     by_value
    .group_segment_fixed_size: 0
    .kernarg_segment_align: 8
    .kernarg_segment_size: 40
    .language:       OpenCL C
    .language_version:
      - 2
      - 0
    .max_flat_workgroup_size: 128
    .name:           _ZN7rocprim17ROCPRIM_400000_NS6detail17trampoline_kernelINS0_14default_configENS1_38merge_sort_block_merge_config_selectorIilEEZZNS1_27merge_sort_block_merge_implIS3_PiN6thrust23THRUST_200600_302600_NS10device_ptrIlEEjNS1_19radix_merge_compareILb0ELb0EiNS0_19identity_decomposerEEEEE10hipError_tT0_T1_T2_jT3_P12ihipStream_tbPNSt15iterator_traitsISG_E10value_typeEPNSM_ISH_E10value_typeEPSI_NS1_7vsmem_tEENKUlT_SG_SH_SI_E_clIS7_S7_PlSB_EESF_SV_SG_SH_SI_EUlSV_E_NS1_11comp_targetILNS1_3genE0ELNS1_11target_archE4294967295ELNS1_3gpuE0ELNS1_3repE0EEENS1_48merge_mergepath_partition_config_static_selectorELNS0_4arch9wavefront6targetE1EEEvSH_
    .private_segment_fixed_size: 0
    .sgpr_count:     4
    .sgpr_spill_count: 0
    .symbol:         _ZN7rocprim17ROCPRIM_400000_NS6detail17trampoline_kernelINS0_14default_configENS1_38merge_sort_block_merge_config_selectorIilEEZZNS1_27merge_sort_block_merge_implIS3_PiN6thrust23THRUST_200600_302600_NS10device_ptrIlEEjNS1_19radix_merge_compareILb0ELb0EiNS0_19identity_decomposerEEEEE10hipError_tT0_T1_T2_jT3_P12ihipStream_tbPNSt15iterator_traitsISG_E10value_typeEPNSM_ISH_E10value_typeEPSI_NS1_7vsmem_tEENKUlT_SG_SH_SI_E_clIS7_S7_PlSB_EESF_SV_SG_SH_SI_EUlSV_E_NS1_11comp_targetILNS1_3genE0ELNS1_11target_archE4294967295ELNS1_3gpuE0ELNS1_3repE0EEENS1_48merge_mergepath_partition_config_static_selectorELNS0_4arch9wavefront6targetE1EEEvSH_.kd
    .uniform_work_group_size: 1
    .uses_dynamic_stack: false
    .vgpr_count:     0
    .vgpr_spill_count: 0
    .wavefront_size: 64
  - .agpr_count:     0
    .args:
      - .offset:         0
        .size:           40
        .value_kind:     by_value
    .group_segment_fixed_size: 0
    .kernarg_segment_align: 8
    .kernarg_segment_size: 40
    .language:       OpenCL C
    .language_version:
      - 2
      - 0
    .max_flat_workgroup_size: 128
    .name:           _ZN7rocprim17ROCPRIM_400000_NS6detail17trampoline_kernelINS0_14default_configENS1_38merge_sort_block_merge_config_selectorIilEEZZNS1_27merge_sort_block_merge_implIS3_PiN6thrust23THRUST_200600_302600_NS10device_ptrIlEEjNS1_19radix_merge_compareILb0ELb0EiNS0_19identity_decomposerEEEEE10hipError_tT0_T1_T2_jT3_P12ihipStream_tbPNSt15iterator_traitsISG_E10value_typeEPNSM_ISH_E10value_typeEPSI_NS1_7vsmem_tEENKUlT_SG_SH_SI_E_clIS7_S7_PlSB_EESF_SV_SG_SH_SI_EUlSV_E_NS1_11comp_targetILNS1_3genE10ELNS1_11target_archE1201ELNS1_3gpuE5ELNS1_3repE0EEENS1_48merge_mergepath_partition_config_static_selectorELNS0_4arch9wavefront6targetE1EEEvSH_
    .private_segment_fixed_size: 0
    .sgpr_count:     4
    .sgpr_spill_count: 0
    .symbol:         _ZN7rocprim17ROCPRIM_400000_NS6detail17trampoline_kernelINS0_14default_configENS1_38merge_sort_block_merge_config_selectorIilEEZZNS1_27merge_sort_block_merge_implIS3_PiN6thrust23THRUST_200600_302600_NS10device_ptrIlEEjNS1_19radix_merge_compareILb0ELb0EiNS0_19identity_decomposerEEEEE10hipError_tT0_T1_T2_jT3_P12ihipStream_tbPNSt15iterator_traitsISG_E10value_typeEPNSM_ISH_E10value_typeEPSI_NS1_7vsmem_tEENKUlT_SG_SH_SI_E_clIS7_S7_PlSB_EESF_SV_SG_SH_SI_EUlSV_E_NS1_11comp_targetILNS1_3genE10ELNS1_11target_archE1201ELNS1_3gpuE5ELNS1_3repE0EEENS1_48merge_mergepath_partition_config_static_selectorELNS0_4arch9wavefront6targetE1EEEvSH_.kd
    .uniform_work_group_size: 1
    .uses_dynamic_stack: false
    .vgpr_count:     0
    .vgpr_spill_count: 0
    .wavefront_size: 64
  - .agpr_count:     0
    .args:
      - .offset:         0
        .size:           40
        .value_kind:     by_value
    .group_segment_fixed_size: 0
    .kernarg_segment_align: 8
    .kernarg_segment_size: 40
    .language:       OpenCL C
    .language_version:
      - 2
      - 0
    .max_flat_workgroup_size: 128
    .name:           _ZN7rocprim17ROCPRIM_400000_NS6detail17trampoline_kernelINS0_14default_configENS1_38merge_sort_block_merge_config_selectorIilEEZZNS1_27merge_sort_block_merge_implIS3_PiN6thrust23THRUST_200600_302600_NS10device_ptrIlEEjNS1_19radix_merge_compareILb0ELb0EiNS0_19identity_decomposerEEEEE10hipError_tT0_T1_T2_jT3_P12ihipStream_tbPNSt15iterator_traitsISG_E10value_typeEPNSM_ISH_E10value_typeEPSI_NS1_7vsmem_tEENKUlT_SG_SH_SI_E_clIS7_S7_PlSB_EESF_SV_SG_SH_SI_EUlSV_E_NS1_11comp_targetILNS1_3genE5ELNS1_11target_archE942ELNS1_3gpuE9ELNS1_3repE0EEENS1_48merge_mergepath_partition_config_static_selectorELNS0_4arch9wavefront6targetE1EEEvSH_
    .private_segment_fixed_size: 0
    .sgpr_count:     4
    .sgpr_spill_count: 0
    .symbol:         _ZN7rocprim17ROCPRIM_400000_NS6detail17trampoline_kernelINS0_14default_configENS1_38merge_sort_block_merge_config_selectorIilEEZZNS1_27merge_sort_block_merge_implIS3_PiN6thrust23THRUST_200600_302600_NS10device_ptrIlEEjNS1_19radix_merge_compareILb0ELb0EiNS0_19identity_decomposerEEEEE10hipError_tT0_T1_T2_jT3_P12ihipStream_tbPNSt15iterator_traitsISG_E10value_typeEPNSM_ISH_E10value_typeEPSI_NS1_7vsmem_tEENKUlT_SG_SH_SI_E_clIS7_S7_PlSB_EESF_SV_SG_SH_SI_EUlSV_E_NS1_11comp_targetILNS1_3genE5ELNS1_11target_archE942ELNS1_3gpuE9ELNS1_3repE0EEENS1_48merge_mergepath_partition_config_static_selectorELNS0_4arch9wavefront6targetE1EEEvSH_.kd
    .uniform_work_group_size: 1
    .uses_dynamic_stack: false
    .vgpr_count:     0
    .vgpr_spill_count: 0
    .wavefront_size: 64
  - .agpr_count:     0
    .args:
      - .offset:         0
        .size:           40
        .value_kind:     by_value
    .group_segment_fixed_size: 0
    .kernarg_segment_align: 8
    .kernarg_segment_size: 40
    .language:       OpenCL C
    .language_version:
      - 2
      - 0
    .max_flat_workgroup_size: 128
    .name:           _ZN7rocprim17ROCPRIM_400000_NS6detail17trampoline_kernelINS0_14default_configENS1_38merge_sort_block_merge_config_selectorIilEEZZNS1_27merge_sort_block_merge_implIS3_PiN6thrust23THRUST_200600_302600_NS10device_ptrIlEEjNS1_19radix_merge_compareILb0ELb0EiNS0_19identity_decomposerEEEEE10hipError_tT0_T1_T2_jT3_P12ihipStream_tbPNSt15iterator_traitsISG_E10value_typeEPNSM_ISH_E10value_typeEPSI_NS1_7vsmem_tEENKUlT_SG_SH_SI_E_clIS7_S7_PlSB_EESF_SV_SG_SH_SI_EUlSV_E_NS1_11comp_targetILNS1_3genE4ELNS1_11target_archE910ELNS1_3gpuE8ELNS1_3repE0EEENS1_48merge_mergepath_partition_config_static_selectorELNS0_4arch9wavefront6targetE1EEEvSH_
    .private_segment_fixed_size: 0
    .sgpr_count:     12
    .sgpr_spill_count: 0
    .symbol:         _ZN7rocprim17ROCPRIM_400000_NS6detail17trampoline_kernelINS0_14default_configENS1_38merge_sort_block_merge_config_selectorIilEEZZNS1_27merge_sort_block_merge_implIS3_PiN6thrust23THRUST_200600_302600_NS10device_ptrIlEEjNS1_19radix_merge_compareILb0ELb0EiNS0_19identity_decomposerEEEEE10hipError_tT0_T1_T2_jT3_P12ihipStream_tbPNSt15iterator_traitsISG_E10value_typeEPNSM_ISH_E10value_typeEPSI_NS1_7vsmem_tEENKUlT_SG_SH_SI_E_clIS7_S7_PlSB_EESF_SV_SG_SH_SI_EUlSV_E_NS1_11comp_targetILNS1_3genE4ELNS1_11target_archE910ELNS1_3gpuE8ELNS1_3repE0EEENS1_48merge_mergepath_partition_config_static_selectorELNS0_4arch9wavefront6targetE1EEEvSH_.kd
    .uniform_work_group_size: 1
    .uses_dynamic_stack: false
    .vgpr_count:     17
    .vgpr_spill_count: 0
    .wavefront_size: 64
  - .agpr_count:     0
    .args:
      - .offset:         0
        .size:           40
        .value_kind:     by_value
    .group_segment_fixed_size: 0
    .kernarg_segment_align: 8
    .kernarg_segment_size: 40
    .language:       OpenCL C
    .language_version:
      - 2
      - 0
    .max_flat_workgroup_size: 128
    .name:           _ZN7rocprim17ROCPRIM_400000_NS6detail17trampoline_kernelINS0_14default_configENS1_38merge_sort_block_merge_config_selectorIilEEZZNS1_27merge_sort_block_merge_implIS3_PiN6thrust23THRUST_200600_302600_NS10device_ptrIlEEjNS1_19radix_merge_compareILb0ELb0EiNS0_19identity_decomposerEEEEE10hipError_tT0_T1_T2_jT3_P12ihipStream_tbPNSt15iterator_traitsISG_E10value_typeEPNSM_ISH_E10value_typeEPSI_NS1_7vsmem_tEENKUlT_SG_SH_SI_E_clIS7_S7_PlSB_EESF_SV_SG_SH_SI_EUlSV_E_NS1_11comp_targetILNS1_3genE3ELNS1_11target_archE908ELNS1_3gpuE7ELNS1_3repE0EEENS1_48merge_mergepath_partition_config_static_selectorELNS0_4arch9wavefront6targetE1EEEvSH_
    .private_segment_fixed_size: 0
    .sgpr_count:     4
    .sgpr_spill_count: 0
    .symbol:         _ZN7rocprim17ROCPRIM_400000_NS6detail17trampoline_kernelINS0_14default_configENS1_38merge_sort_block_merge_config_selectorIilEEZZNS1_27merge_sort_block_merge_implIS3_PiN6thrust23THRUST_200600_302600_NS10device_ptrIlEEjNS1_19radix_merge_compareILb0ELb0EiNS0_19identity_decomposerEEEEE10hipError_tT0_T1_T2_jT3_P12ihipStream_tbPNSt15iterator_traitsISG_E10value_typeEPNSM_ISH_E10value_typeEPSI_NS1_7vsmem_tEENKUlT_SG_SH_SI_E_clIS7_S7_PlSB_EESF_SV_SG_SH_SI_EUlSV_E_NS1_11comp_targetILNS1_3genE3ELNS1_11target_archE908ELNS1_3gpuE7ELNS1_3repE0EEENS1_48merge_mergepath_partition_config_static_selectorELNS0_4arch9wavefront6targetE1EEEvSH_.kd
    .uniform_work_group_size: 1
    .uses_dynamic_stack: false
    .vgpr_count:     0
    .vgpr_spill_count: 0
    .wavefront_size: 64
  - .agpr_count:     0
    .args:
      - .offset:         0
        .size:           40
        .value_kind:     by_value
    .group_segment_fixed_size: 0
    .kernarg_segment_align: 8
    .kernarg_segment_size: 40
    .language:       OpenCL C
    .language_version:
      - 2
      - 0
    .max_flat_workgroup_size: 128
    .name:           _ZN7rocprim17ROCPRIM_400000_NS6detail17trampoline_kernelINS0_14default_configENS1_38merge_sort_block_merge_config_selectorIilEEZZNS1_27merge_sort_block_merge_implIS3_PiN6thrust23THRUST_200600_302600_NS10device_ptrIlEEjNS1_19radix_merge_compareILb0ELb0EiNS0_19identity_decomposerEEEEE10hipError_tT0_T1_T2_jT3_P12ihipStream_tbPNSt15iterator_traitsISG_E10value_typeEPNSM_ISH_E10value_typeEPSI_NS1_7vsmem_tEENKUlT_SG_SH_SI_E_clIS7_S7_PlSB_EESF_SV_SG_SH_SI_EUlSV_E_NS1_11comp_targetILNS1_3genE2ELNS1_11target_archE906ELNS1_3gpuE6ELNS1_3repE0EEENS1_48merge_mergepath_partition_config_static_selectorELNS0_4arch9wavefront6targetE1EEEvSH_
    .private_segment_fixed_size: 0
    .sgpr_count:     4
    .sgpr_spill_count: 0
    .symbol:         _ZN7rocprim17ROCPRIM_400000_NS6detail17trampoline_kernelINS0_14default_configENS1_38merge_sort_block_merge_config_selectorIilEEZZNS1_27merge_sort_block_merge_implIS3_PiN6thrust23THRUST_200600_302600_NS10device_ptrIlEEjNS1_19radix_merge_compareILb0ELb0EiNS0_19identity_decomposerEEEEE10hipError_tT0_T1_T2_jT3_P12ihipStream_tbPNSt15iterator_traitsISG_E10value_typeEPNSM_ISH_E10value_typeEPSI_NS1_7vsmem_tEENKUlT_SG_SH_SI_E_clIS7_S7_PlSB_EESF_SV_SG_SH_SI_EUlSV_E_NS1_11comp_targetILNS1_3genE2ELNS1_11target_archE906ELNS1_3gpuE6ELNS1_3repE0EEENS1_48merge_mergepath_partition_config_static_selectorELNS0_4arch9wavefront6targetE1EEEvSH_.kd
    .uniform_work_group_size: 1
    .uses_dynamic_stack: false
    .vgpr_count:     0
    .vgpr_spill_count: 0
    .wavefront_size: 64
  - .agpr_count:     0
    .args:
      - .offset:         0
        .size:           40
        .value_kind:     by_value
    .group_segment_fixed_size: 0
    .kernarg_segment_align: 8
    .kernarg_segment_size: 40
    .language:       OpenCL C
    .language_version:
      - 2
      - 0
    .max_flat_workgroup_size: 128
    .name:           _ZN7rocprim17ROCPRIM_400000_NS6detail17trampoline_kernelINS0_14default_configENS1_38merge_sort_block_merge_config_selectorIilEEZZNS1_27merge_sort_block_merge_implIS3_PiN6thrust23THRUST_200600_302600_NS10device_ptrIlEEjNS1_19radix_merge_compareILb0ELb0EiNS0_19identity_decomposerEEEEE10hipError_tT0_T1_T2_jT3_P12ihipStream_tbPNSt15iterator_traitsISG_E10value_typeEPNSM_ISH_E10value_typeEPSI_NS1_7vsmem_tEENKUlT_SG_SH_SI_E_clIS7_S7_PlSB_EESF_SV_SG_SH_SI_EUlSV_E_NS1_11comp_targetILNS1_3genE9ELNS1_11target_archE1100ELNS1_3gpuE3ELNS1_3repE0EEENS1_48merge_mergepath_partition_config_static_selectorELNS0_4arch9wavefront6targetE1EEEvSH_
    .private_segment_fixed_size: 0
    .sgpr_count:     4
    .sgpr_spill_count: 0
    .symbol:         _ZN7rocprim17ROCPRIM_400000_NS6detail17trampoline_kernelINS0_14default_configENS1_38merge_sort_block_merge_config_selectorIilEEZZNS1_27merge_sort_block_merge_implIS3_PiN6thrust23THRUST_200600_302600_NS10device_ptrIlEEjNS1_19radix_merge_compareILb0ELb0EiNS0_19identity_decomposerEEEEE10hipError_tT0_T1_T2_jT3_P12ihipStream_tbPNSt15iterator_traitsISG_E10value_typeEPNSM_ISH_E10value_typeEPSI_NS1_7vsmem_tEENKUlT_SG_SH_SI_E_clIS7_S7_PlSB_EESF_SV_SG_SH_SI_EUlSV_E_NS1_11comp_targetILNS1_3genE9ELNS1_11target_archE1100ELNS1_3gpuE3ELNS1_3repE0EEENS1_48merge_mergepath_partition_config_static_selectorELNS0_4arch9wavefront6targetE1EEEvSH_.kd
    .uniform_work_group_size: 1
    .uses_dynamic_stack: false
    .vgpr_count:     0
    .vgpr_spill_count: 0
    .wavefront_size: 64
  - .agpr_count:     0
    .args:
      - .offset:         0
        .size:           40
        .value_kind:     by_value
    .group_segment_fixed_size: 0
    .kernarg_segment_align: 8
    .kernarg_segment_size: 40
    .language:       OpenCL C
    .language_version:
      - 2
      - 0
    .max_flat_workgroup_size: 128
    .name:           _ZN7rocprim17ROCPRIM_400000_NS6detail17trampoline_kernelINS0_14default_configENS1_38merge_sort_block_merge_config_selectorIilEEZZNS1_27merge_sort_block_merge_implIS3_PiN6thrust23THRUST_200600_302600_NS10device_ptrIlEEjNS1_19radix_merge_compareILb0ELb0EiNS0_19identity_decomposerEEEEE10hipError_tT0_T1_T2_jT3_P12ihipStream_tbPNSt15iterator_traitsISG_E10value_typeEPNSM_ISH_E10value_typeEPSI_NS1_7vsmem_tEENKUlT_SG_SH_SI_E_clIS7_S7_PlSB_EESF_SV_SG_SH_SI_EUlSV_E_NS1_11comp_targetILNS1_3genE8ELNS1_11target_archE1030ELNS1_3gpuE2ELNS1_3repE0EEENS1_48merge_mergepath_partition_config_static_selectorELNS0_4arch9wavefront6targetE1EEEvSH_
    .private_segment_fixed_size: 0
    .sgpr_count:     4
    .sgpr_spill_count: 0
    .symbol:         _ZN7rocprim17ROCPRIM_400000_NS6detail17trampoline_kernelINS0_14default_configENS1_38merge_sort_block_merge_config_selectorIilEEZZNS1_27merge_sort_block_merge_implIS3_PiN6thrust23THRUST_200600_302600_NS10device_ptrIlEEjNS1_19radix_merge_compareILb0ELb0EiNS0_19identity_decomposerEEEEE10hipError_tT0_T1_T2_jT3_P12ihipStream_tbPNSt15iterator_traitsISG_E10value_typeEPNSM_ISH_E10value_typeEPSI_NS1_7vsmem_tEENKUlT_SG_SH_SI_E_clIS7_S7_PlSB_EESF_SV_SG_SH_SI_EUlSV_E_NS1_11comp_targetILNS1_3genE8ELNS1_11target_archE1030ELNS1_3gpuE2ELNS1_3repE0EEENS1_48merge_mergepath_partition_config_static_selectorELNS0_4arch9wavefront6targetE1EEEvSH_.kd
    .uniform_work_group_size: 1
    .uses_dynamic_stack: false
    .vgpr_count:     0
    .vgpr_spill_count: 0
    .wavefront_size: 64
  - .agpr_count:     0
    .args:
      - .offset:         0
        .size:           64
        .value_kind:     by_value
    .group_segment_fixed_size: 0
    .kernarg_segment_align: 8
    .kernarg_segment_size: 64
    .language:       OpenCL C
    .language_version:
      - 2
      - 0
    .max_flat_workgroup_size: 512
    .name:           _ZN7rocprim17ROCPRIM_400000_NS6detail17trampoline_kernelINS0_14default_configENS1_38merge_sort_block_merge_config_selectorIilEEZZNS1_27merge_sort_block_merge_implIS3_PiN6thrust23THRUST_200600_302600_NS10device_ptrIlEEjNS1_19radix_merge_compareILb0ELb0EiNS0_19identity_decomposerEEEEE10hipError_tT0_T1_T2_jT3_P12ihipStream_tbPNSt15iterator_traitsISG_E10value_typeEPNSM_ISH_E10value_typeEPSI_NS1_7vsmem_tEENKUlT_SG_SH_SI_E_clIS7_S7_PlSB_EESF_SV_SG_SH_SI_EUlSV_E0_NS1_11comp_targetILNS1_3genE0ELNS1_11target_archE4294967295ELNS1_3gpuE0ELNS1_3repE0EEENS1_38merge_mergepath_config_static_selectorELNS0_4arch9wavefront6targetE1EEEvSH_
    .private_segment_fixed_size: 0
    .sgpr_count:     4
    .sgpr_spill_count: 0
    .symbol:         _ZN7rocprim17ROCPRIM_400000_NS6detail17trampoline_kernelINS0_14default_configENS1_38merge_sort_block_merge_config_selectorIilEEZZNS1_27merge_sort_block_merge_implIS3_PiN6thrust23THRUST_200600_302600_NS10device_ptrIlEEjNS1_19radix_merge_compareILb0ELb0EiNS0_19identity_decomposerEEEEE10hipError_tT0_T1_T2_jT3_P12ihipStream_tbPNSt15iterator_traitsISG_E10value_typeEPNSM_ISH_E10value_typeEPSI_NS1_7vsmem_tEENKUlT_SG_SH_SI_E_clIS7_S7_PlSB_EESF_SV_SG_SH_SI_EUlSV_E0_NS1_11comp_targetILNS1_3genE0ELNS1_11target_archE4294967295ELNS1_3gpuE0ELNS1_3repE0EEENS1_38merge_mergepath_config_static_selectorELNS0_4arch9wavefront6targetE1EEEvSH_.kd
    .uniform_work_group_size: 1
    .uses_dynamic_stack: false
    .vgpr_count:     0
    .vgpr_spill_count: 0
    .wavefront_size: 64
  - .agpr_count:     0
    .args:
      - .offset:         0
        .size:           64
        .value_kind:     by_value
    .group_segment_fixed_size: 0
    .kernarg_segment_align: 8
    .kernarg_segment_size: 64
    .language:       OpenCL C
    .language_version:
      - 2
      - 0
    .max_flat_workgroup_size: 512
    .name:           _ZN7rocprim17ROCPRIM_400000_NS6detail17trampoline_kernelINS0_14default_configENS1_38merge_sort_block_merge_config_selectorIilEEZZNS1_27merge_sort_block_merge_implIS3_PiN6thrust23THRUST_200600_302600_NS10device_ptrIlEEjNS1_19radix_merge_compareILb0ELb0EiNS0_19identity_decomposerEEEEE10hipError_tT0_T1_T2_jT3_P12ihipStream_tbPNSt15iterator_traitsISG_E10value_typeEPNSM_ISH_E10value_typeEPSI_NS1_7vsmem_tEENKUlT_SG_SH_SI_E_clIS7_S7_PlSB_EESF_SV_SG_SH_SI_EUlSV_E0_NS1_11comp_targetILNS1_3genE10ELNS1_11target_archE1201ELNS1_3gpuE5ELNS1_3repE0EEENS1_38merge_mergepath_config_static_selectorELNS0_4arch9wavefront6targetE1EEEvSH_
    .private_segment_fixed_size: 0
    .sgpr_count:     4
    .sgpr_spill_count: 0
    .symbol:         _ZN7rocprim17ROCPRIM_400000_NS6detail17trampoline_kernelINS0_14default_configENS1_38merge_sort_block_merge_config_selectorIilEEZZNS1_27merge_sort_block_merge_implIS3_PiN6thrust23THRUST_200600_302600_NS10device_ptrIlEEjNS1_19radix_merge_compareILb0ELb0EiNS0_19identity_decomposerEEEEE10hipError_tT0_T1_T2_jT3_P12ihipStream_tbPNSt15iterator_traitsISG_E10value_typeEPNSM_ISH_E10value_typeEPSI_NS1_7vsmem_tEENKUlT_SG_SH_SI_E_clIS7_S7_PlSB_EESF_SV_SG_SH_SI_EUlSV_E0_NS1_11comp_targetILNS1_3genE10ELNS1_11target_archE1201ELNS1_3gpuE5ELNS1_3repE0EEENS1_38merge_mergepath_config_static_selectorELNS0_4arch9wavefront6targetE1EEEvSH_.kd
    .uniform_work_group_size: 1
    .uses_dynamic_stack: false
    .vgpr_count:     0
    .vgpr_spill_count: 0
    .wavefront_size: 64
  - .agpr_count:     0
    .args:
      - .offset:         0
        .size:           64
        .value_kind:     by_value
    .group_segment_fixed_size: 0
    .kernarg_segment_align: 8
    .kernarg_segment_size: 64
    .language:       OpenCL C
    .language_version:
      - 2
      - 0
    .max_flat_workgroup_size: 256
    .name:           _ZN7rocprim17ROCPRIM_400000_NS6detail17trampoline_kernelINS0_14default_configENS1_38merge_sort_block_merge_config_selectorIilEEZZNS1_27merge_sort_block_merge_implIS3_PiN6thrust23THRUST_200600_302600_NS10device_ptrIlEEjNS1_19radix_merge_compareILb0ELb0EiNS0_19identity_decomposerEEEEE10hipError_tT0_T1_T2_jT3_P12ihipStream_tbPNSt15iterator_traitsISG_E10value_typeEPNSM_ISH_E10value_typeEPSI_NS1_7vsmem_tEENKUlT_SG_SH_SI_E_clIS7_S7_PlSB_EESF_SV_SG_SH_SI_EUlSV_E0_NS1_11comp_targetILNS1_3genE5ELNS1_11target_archE942ELNS1_3gpuE9ELNS1_3repE0EEENS1_38merge_mergepath_config_static_selectorELNS0_4arch9wavefront6targetE1EEEvSH_
    .private_segment_fixed_size: 0
    .sgpr_count:     4
    .sgpr_spill_count: 0
    .symbol:         _ZN7rocprim17ROCPRIM_400000_NS6detail17trampoline_kernelINS0_14default_configENS1_38merge_sort_block_merge_config_selectorIilEEZZNS1_27merge_sort_block_merge_implIS3_PiN6thrust23THRUST_200600_302600_NS10device_ptrIlEEjNS1_19radix_merge_compareILb0ELb0EiNS0_19identity_decomposerEEEEE10hipError_tT0_T1_T2_jT3_P12ihipStream_tbPNSt15iterator_traitsISG_E10value_typeEPNSM_ISH_E10value_typeEPSI_NS1_7vsmem_tEENKUlT_SG_SH_SI_E_clIS7_S7_PlSB_EESF_SV_SG_SH_SI_EUlSV_E0_NS1_11comp_targetILNS1_3genE5ELNS1_11target_archE942ELNS1_3gpuE9ELNS1_3repE0EEENS1_38merge_mergepath_config_static_selectorELNS0_4arch9wavefront6targetE1EEEvSH_.kd
    .uniform_work_group_size: 1
    .uses_dynamic_stack: false
    .vgpr_count:     0
    .vgpr_spill_count: 0
    .wavefront_size: 64
  - .agpr_count:     0
    .args:
      - .offset:         0
        .size:           64
        .value_kind:     by_value
      - .offset:         64
        .size:           4
        .value_kind:     hidden_block_count_x
      - .offset:         68
        .size:           4
        .value_kind:     hidden_block_count_y
      - .offset:         72
        .size:           4
        .value_kind:     hidden_block_count_z
      - .offset:         76
        .size:           2
        .value_kind:     hidden_group_size_x
      - .offset:         78
        .size:           2
        .value_kind:     hidden_group_size_y
      - .offset:         80
        .size:           2
        .value_kind:     hidden_group_size_z
      - .offset:         82
        .size:           2
        .value_kind:     hidden_remainder_x
      - .offset:         84
        .size:           2
        .value_kind:     hidden_remainder_y
      - .offset:         86
        .size:           2
        .value_kind:     hidden_remainder_z
      - .offset:         104
        .size:           8
        .value_kind:     hidden_global_offset_x
      - .offset:         112
        .size:           8
        .value_kind:     hidden_global_offset_y
      - .offset:         120
        .size:           8
        .value_kind:     hidden_global_offset_z
      - .offset:         128
        .size:           2
        .value_kind:     hidden_grid_dims
    .group_segment_fixed_size: 8448
    .kernarg_segment_align: 8
    .kernarg_segment_size: 320
    .language:       OpenCL C
    .language_version:
      - 2
      - 0
    .max_flat_workgroup_size: 256
    .name:           _ZN7rocprim17ROCPRIM_400000_NS6detail17trampoline_kernelINS0_14default_configENS1_38merge_sort_block_merge_config_selectorIilEEZZNS1_27merge_sort_block_merge_implIS3_PiN6thrust23THRUST_200600_302600_NS10device_ptrIlEEjNS1_19radix_merge_compareILb0ELb0EiNS0_19identity_decomposerEEEEE10hipError_tT0_T1_T2_jT3_P12ihipStream_tbPNSt15iterator_traitsISG_E10value_typeEPNSM_ISH_E10value_typeEPSI_NS1_7vsmem_tEENKUlT_SG_SH_SI_E_clIS7_S7_PlSB_EESF_SV_SG_SH_SI_EUlSV_E0_NS1_11comp_targetILNS1_3genE4ELNS1_11target_archE910ELNS1_3gpuE8ELNS1_3repE0EEENS1_38merge_mergepath_config_static_selectorELNS0_4arch9wavefront6targetE1EEEvSH_
    .private_segment_fixed_size: 0
    .sgpr_count:     34
    .sgpr_spill_count: 0
    .symbol:         _ZN7rocprim17ROCPRIM_400000_NS6detail17trampoline_kernelINS0_14default_configENS1_38merge_sort_block_merge_config_selectorIilEEZZNS1_27merge_sort_block_merge_implIS3_PiN6thrust23THRUST_200600_302600_NS10device_ptrIlEEjNS1_19radix_merge_compareILb0ELb0EiNS0_19identity_decomposerEEEEE10hipError_tT0_T1_T2_jT3_P12ihipStream_tbPNSt15iterator_traitsISG_E10value_typeEPNSM_ISH_E10value_typeEPSI_NS1_7vsmem_tEENKUlT_SG_SH_SI_E_clIS7_S7_PlSB_EESF_SV_SG_SH_SI_EUlSV_E0_NS1_11comp_targetILNS1_3genE4ELNS1_11target_archE910ELNS1_3gpuE8ELNS1_3repE0EEENS1_38merge_mergepath_config_static_selectorELNS0_4arch9wavefront6targetE1EEEvSH_.kd
    .uniform_work_group_size: 1
    .uses_dynamic_stack: false
    .vgpr_count:     35
    .vgpr_spill_count: 0
    .wavefront_size: 64
  - .agpr_count:     0
    .args:
      - .offset:         0
        .size:           64
        .value_kind:     by_value
    .group_segment_fixed_size: 0
    .kernarg_segment_align: 8
    .kernarg_segment_size: 64
    .language:       OpenCL C
    .language_version:
      - 2
      - 0
    .max_flat_workgroup_size: 512
    .name:           _ZN7rocprim17ROCPRIM_400000_NS6detail17trampoline_kernelINS0_14default_configENS1_38merge_sort_block_merge_config_selectorIilEEZZNS1_27merge_sort_block_merge_implIS3_PiN6thrust23THRUST_200600_302600_NS10device_ptrIlEEjNS1_19radix_merge_compareILb0ELb0EiNS0_19identity_decomposerEEEEE10hipError_tT0_T1_T2_jT3_P12ihipStream_tbPNSt15iterator_traitsISG_E10value_typeEPNSM_ISH_E10value_typeEPSI_NS1_7vsmem_tEENKUlT_SG_SH_SI_E_clIS7_S7_PlSB_EESF_SV_SG_SH_SI_EUlSV_E0_NS1_11comp_targetILNS1_3genE3ELNS1_11target_archE908ELNS1_3gpuE7ELNS1_3repE0EEENS1_38merge_mergepath_config_static_selectorELNS0_4arch9wavefront6targetE1EEEvSH_
    .private_segment_fixed_size: 0
    .sgpr_count:     4
    .sgpr_spill_count: 0
    .symbol:         _ZN7rocprim17ROCPRIM_400000_NS6detail17trampoline_kernelINS0_14default_configENS1_38merge_sort_block_merge_config_selectorIilEEZZNS1_27merge_sort_block_merge_implIS3_PiN6thrust23THRUST_200600_302600_NS10device_ptrIlEEjNS1_19radix_merge_compareILb0ELb0EiNS0_19identity_decomposerEEEEE10hipError_tT0_T1_T2_jT3_P12ihipStream_tbPNSt15iterator_traitsISG_E10value_typeEPNSM_ISH_E10value_typeEPSI_NS1_7vsmem_tEENKUlT_SG_SH_SI_E_clIS7_S7_PlSB_EESF_SV_SG_SH_SI_EUlSV_E0_NS1_11comp_targetILNS1_3genE3ELNS1_11target_archE908ELNS1_3gpuE7ELNS1_3repE0EEENS1_38merge_mergepath_config_static_selectorELNS0_4arch9wavefront6targetE1EEEvSH_.kd
    .uniform_work_group_size: 1
    .uses_dynamic_stack: false
    .vgpr_count:     0
    .vgpr_spill_count: 0
    .wavefront_size: 64
  - .agpr_count:     0
    .args:
      - .offset:         0
        .size:           64
        .value_kind:     by_value
    .group_segment_fixed_size: 0
    .kernarg_segment_align: 8
    .kernarg_segment_size: 64
    .language:       OpenCL C
    .language_version:
      - 2
      - 0
    .max_flat_workgroup_size: 256
    .name:           _ZN7rocprim17ROCPRIM_400000_NS6detail17trampoline_kernelINS0_14default_configENS1_38merge_sort_block_merge_config_selectorIilEEZZNS1_27merge_sort_block_merge_implIS3_PiN6thrust23THRUST_200600_302600_NS10device_ptrIlEEjNS1_19radix_merge_compareILb0ELb0EiNS0_19identity_decomposerEEEEE10hipError_tT0_T1_T2_jT3_P12ihipStream_tbPNSt15iterator_traitsISG_E10value_typeEPNSM_ISH_E10value_typeEPSI_NS1_7vsmem_tEENKUlT_SG_SH_SI_E_clIS7_S7_PlSB_EESF_SV_SG_SH_SI_EUlSV_E0_NS1_11comp_targetILNS1_3genE2ELNS1_11target_archE906ELNS1_3gpuE6ELNS1_3repE0EEENS1_38merge_mergepath_config_static_selectorELNS0_4arch9wavefront6targetE1EEEvSH_
    .private_segment_fixed_size: 0
    .sgpr_count:     4
    .sgpr_spill_count: 0
    .symbol:         _ZN7rocprim17ROCPRIM_400000_NS6detail17trampoline_kernelINS0_14default_configENS1_38merge_sort_block_merge_config_selectorIilEEZZNS1_27merge_sort_block_merge_implIS3_PiN6thrust23THRUST_200600_302600_NS10device_ptrIlEEjNS1_19radix_merge_compareILb0ELb0EiNS0_19identity_decomposerEEEEE10hipError_tT0_T1_T2_jT3_P12ihipStream_tbPNSt15iterator_traitsISG_E10value_typeEPNSM_ISH_E10value_typeEPSI_NS1_7vsmem_tEENKUlT_SG_SH_SI_E_clIS7_S7_PlSB_EESF_SV_SG_SH_SI_EUlSV_E0_NS1_11comp_targetILNS1_3genE2ELNS1_11target_archE906ELNS1_3gpuE6ELNS1_3repE0EEENS1_38merge_mergepath_config_static_selectorELNS0_4arch9wavefront6targetE1EEEvSH_.kd
    .uniform_work_group_size: 1
    .uses_dynamic_stack: false
    .vgpr_count:     0
    .vgpr_spill_count: 0
    .wavefront_size: 64
  - .agpr_count:     0
    .args:
      - .offset:         0
        .size:           64
        .value_kind:     by_value
    .group_segment_fixed_size: 0
    .kernarg_segment_align: 8
    .kernarg_segment_size: 64
    .language:       OpenCL C
    .language_version:
      - 2
      - 0
    .max_flat_workgroup_size: 512
    .name:           _ZN7rocprim17ROCPRIM_400000_NS6detail17trampoline_kernelINS0_14default_configENS1_38merge_sort_block_merge_config_selectorIilEEZZNS1_27merge_sort_block_merge_implIS3_PiN6thrust23THRUST_200600_302600_NS10device_ptrIlEEjNS1_19radix_merge_compareILb0ELb0EiNS0_19identity_decomposerEEEEE10hipError_tT0_T1_T2_jT3_P12ihipStream_tbPNSt15iterator_traitsISG_E10value_typeEPNSM_ISH_E10value_typeEPSI_NS1_7vsmem_tEENKUlT_SG_SH_SI_E_clIS7_S7_PlSB_EESF_SV_SG_SH_SI_EUlSV_E0_NS1_11comp_targetILNS1_3genE9ELNS1_11target_archE1100ELNS1_3gpuE3ELNS1_3repE0EEENS1_38merge_mergepath_config_static_selectorELNS0_4arch9wavefront6targetE1EEEvSH_
    .private_segment_fixed_size: 0
    .sgpr_count:     4
    .sgpr_spill_count: 0
    .symbol:         _ZN7rocprim17ROCPRIM_400000_NS6detail17trampoline_kernelINS0_14default_configENS1_38merge_sort_block_merge_config_selectorIilEEZZNS1_27merge_sort_block_merge_implIS3_PiN6thrust23THRUST_200600_302600_NS10device_ptrIlEEjNS1_19radix_merge_compareILb0ELb0EiNS0_19identity_decomposerEEEEE10hipError_tT0_T1_T2_jT3_P12ihipStream_tbPNSt15iterator_traitsISG_E10value_typeEPNSM_ISH_E10value_typeEPSI_NS1_7vsmem_tEENKUlT_SG_SH_SI_E_clIS7_S7_PlSB_EESF_SV_SG_SH_SI_EUlSV_E0_NS1_11comp_targetILNS1_3genE9ELNS1_11target_archE1100ELNS1_3gpuE3ELNS1_3repE0EEENS1_38merge_mergepath_config_static_selectorELNS0_4arch9wavefront6targetE1EEEvSH_.kd
    .uniform_work_group_size: 1
    .uses_dynamic_stack: false
    .vgpr_count:     0
    .vgpr_spill_count: 0
    .wavefront_size: 64
  - .agpr_count:     0
    .args:
      - .offset:         0
        .size:           64
        .value_kind:     by_value
    .group_segment_fixed_size: 0
    .kernarg_segment_align: 8
    .kernarg_segment_size: 64
    .language:       OpenCL C
    .language_version:
      - 2
      - 0
    .max_flat_workgroup_size: 1024
    .name:           _ZN7rocprim17ROCPRIM_400000_NS6detail17trampoline_kernelINS0_14default_configENS1_38merge_sort_block_merge_config_selectorIilEEZZNS1_27merge_sort_block_merge_implIS3_PiN6thrust23THRUST_200600_302600_NS10device_ptrIlEEjNS1_19radix_merge_compareILb0ELb0EiNS0_19identity_decomposerEEEEE10hipError_tT0_T1_T2_jT3_P12ihipStream_tbPNSt15iterator_traitsISG_E10value_typeEPNSM_ISH_E10value_typeEPSI_NS1_7vsmem_tEENKUlT_SG_SH_SI_E_clIS7_S7_PlSB_EESF_SV_SG_SH_SI_EUlSV_E0_NS1_11comp_targetILNS1_3genE8ELNS1_11target_archE1030ELNS1_3gpuE2ELNS1_3repE0EEENS1_38merge_mergepath_config_static_selectorELNS0_4arch9wavefront6targetE1EEEvSH_
    .private_segment_fixed_size: 0
    .sgpr_count:     4
    .sgpr_spill_count: 0
    .symbol:         _ZN7rocprim17ROCPRIM_400000_NS6detail17trampoline_kernelINS0_14default_configENS1_38merge_sort_block_merge_config_selectorIilEEZZNS1_27merge_sort_block_merge_implIS3_PiN6thrust23THRUST_200600_302600_NS10device_ptrIlEEjNS1_19radix_merge_compareILb0ELb0EiNS0_19identity_decomposerEEEEE10hipError_tT0_T1_T2_jT3_P12ihipStream_tbPNSt15iterator_traitsISG_E10value_typeEPNSM_ISH_E10value_typeEPSI_NS1_7vsmem_tEENKUlT_SG_SH_SI_E_clIS7_S7_PlSB_EESF_SV_SG_SH_SI_EUlSV_E0_NS1_11comp_targetILNS1_3genE8ELNS1_11target_archE1030ELNS1_3gpuE2ELNS1_3repE0EEENS1_38merge_mergepath_config_static_selectorELNS0_4arch9wavefront6targetE1EEEvSH_.kd
    .uniform_work_group_size: 1
    .uses_dynamic_stack: false
    .vgpr_count:     0
    .vgpr_spill_count: 0
    .wavefront_size: 64
  - .agpr_count:     0
    .args:
      - .offset:         0
        .size:           48
        .value_kind:     by_value
    .group_segment_fixed_size: 0
    .kernarg_segment_align: 8
    .kernarg_segment_size: 48
    .language:       OpenCL C
    .language_version:
      - 2
      - 0
    .max_flat_workgroup_size: 256
    .name:           _ZN7rocprim17ROCPRIM_400000_NS6detail17trampoline_kernelINS0_14default_configENS1_38merge_sort_block_merge_config_selectorIilEEZZNS1_27merge_sort_block_merge_implIS3_PiN6thrust23THRUST_200600_302600_NS10device_ptrIlEEjNS1_19radix_merge_compareILb0ELb0EiNS0_19identity_decomposerEEEEE10hipError_tT0_T1_T2_jT3_P12ihipStream_tbPNSt15iterator_traitsISG_E10value_typeEPNSM_ISH_E10value_typeEPSI_NS1_7vsmem_tEENKUlT_SG_SH_SI_E_clIS7_S7_PlSB_EESF_SV_SG_SH_SI_EUlSV_E1_NS1_11comp_targetILNS1_3genE0ELNS1_11target_archE4294967295ELNS1_3gpuE0ELNS1_3repE0EEENS1_36merge_oddeven_config_static_selectorELNS0_4arch9wavefront6targetE1EEEvSH_
    .private_segment_fixed_size: 0
    .sgpr_count:     4
    .sgpr_spill_count: 0
    .symbol:         _ZN7rocprim17ROCPRIM_400000_NS6detail17trampoline_kernelINS0_14default_configENS1_38merge_sort_block_merge_config_selectorIilEEZZNS1_27merge_sort_block_merge_implIS3_PiN6thrust23THRUST_200600_302600_NS10device_ptrIlEEjNS1_19radix_merge_compareILb0ELb0EiNS0_19identity_decomposerEEEEE10hipError_tT0_T1_T2_jT3_P12ihipStream_tbPNSt15iterator_traitsISG_E10value_typeEPNSM_ISH_E10value_typeEPSI_NS1_7vsmem_tEENKUlT_SG_SH_SI_E_clIS7_S7_PlSB_EESF_SV_SG_SH_SI_EUlSV_E1_NS1_11comp_targetILNS1_3genE0ELNS1_11target_archE4294967295ELNS1_3gpuE0ELNS1_3repE0EEENS1_36merge_oddeven_config_static_selectorELNS0_4arch9wavefront6targetE1EEEvSH_.kd
    .uniform_work_group_size: 1
    .uses_dynamic_stack: false
    .vgpr_count:     0
    .vgpr_spill_count: 0
    .wavefront_size: 64
  - .agpr_count:     0
    .args:
      - .offset:         0
        .size:           48
        .value_kind:     by_value
    .group_segment_fixed_size: 0
    .kernarg_segment_align: 8
    .kernarg_segment_size: 48
    .language:       OpenCL C
    .language_version:
      - 2
      - 0
    .max_flat_workgroup_size: 256
    .name:           _ZN7rocprim17ROCPRIM_400000_NS6detail17trampoline_kernelINS0_14default_configENS1_38merge_sort_block_merge_config_selectorIilEEZZNS1_27merge_sort_block_merge_implIS3_PiN6thrust23THRUST_200600_302600_NS10device_ptrIlEEjNS1_19radix_merge_compareILb0ELb0EiNS0_19identity_decomposerEEEEE10hipError_tT0_T1_T2_jT3_P12ihipStream_tbPNSt15iterator_traitsISG_E10value_typeEPNSM_ISH_E10value_typeEPSI_NS1_7vsmem_tEENKUlT_SG_SH_SI_E_clIS7_S7_PlSB_EESF_SV_SG_SH_SI_EUlSV_E1_NS1_11comp_targetILNS1_3genE10ELNS1_11target_archE1201ELNS1_3gpuE5ELNS1_3repE0EEENS1_36merge_oddeven_config_static_selectorELNS0_4arch9wavefront6targetE1EEEvSH_
    .private_segment_fixed_size: 0
    .sgpr_count:     4
    .sgpr_spill_count: 0
    .symbol:         _ZN7rocprim17ROCPRIM_400000_NS6detail17trampoline_kernelINS0_14default_configENS1_38merge_sort_block_merge_config_selectorIilEEZZNS1_27merge_sort_block_merge_implIS3_PiN6thrust23THRUST_200600_302600_NS10device_ptrIlEEjNS1_19radix_merge_compareILb0ELb0EiNS0_19identity_decomposerEEEEE10hipError_tT0_T1_T2_jT3_P12ihipStream_tbPNSt15iterator_traitsISG_E10value_typeEPNSM_ISH_E10value_typeEPSI_NS1_7vsmem_tEENKUlT_SG_SH_SI_E_clIS7_S7_PlSB_EESF_SV_SG_SH_SI_EUlSV_E1_NS1_11comp_targetILNS1_3genE10ELNS1_11target_archE1201ELNS1_3gpuE5ELNS1_3repE0EEENS1_36merge_oddeven_config_static_selectorELNS0_4arch9wavefront6targetE1EEEvSH_.kd
    .uniform_work_group_size: 1
    .uses_dynamic_stack: false
    .vgpr_count:     0
    .vgpr_spill_count: 0
    .wavefront_size: 64
  - .agpr_count:     0
    .args:
      - .offset:         0
        .size:           48
        .value_kind:     by_value
    .group_segment_fixed_size: 0
    .kernarg_segment_align: 8
    .kernarg_segment_size: 48
    .language:       OpenCL C
    .language_version:
      - 2
      - 0
    .max_flat_workgroup_size: 256
    .name:           _ZN7rocprim17ROCPRIM_400000_NS6detail17trampoline_kernelINS0_14default_configENS1_38merge_sort_block_merge_config_selectorIilEEZZNS1_27merge_sort_block_merge_implIS3_PiN6thrust23THRUST_200600_302600_NS10device_ptrIlEEjNS1_19radix_merge_compareILb0ELb0EiNS0_19identity_decomposerEEEEE10hipError_tT0_T1_T2_jT3_P12ihipStream_tbPNSt15iterator_traitsISG_E10value_typeEPNSM_ISH_E10value_typeEPSI_NS1_7vsmem_tEENKUlT_SG_SH_SI_E_clIS7_S7_PlSB_EESF_SV_SG_SH_SI_EUlSV_E1_NS1_11comp_targetILNS1_3genE5ELNS1_11target_archE942ELNS1_3gpuE9ELNS1_3repE0EEENS1_36merge_oddeven_config_static_selectorELNS0_4arch9wavefront6targetE1EEEvSH_
    .private_segment_fixed_size: 0
    .sgpr_count:     4
    .sgpr_spill_count: 0
    .symbol:         _ZN7rocprim17ROCPRIM_400000_NS6detail17trampoline_kernelINS0_14default_configENS1_38merge_sort_block_merge_config_selectorIilEEZZNS1_27merge_sort_block_merge_implIS3_PiN6thrust23THRUST_200600_302600_NS10device_ptrIlEEjNS1_19radix_merge_compareILb0ELb0EiNS0_19identity_decomposerEEEEE10hipError_tT0_T1_T2_jT3_P12ihipStream_tbPNSt15iterator_traitsISG_E10value_typeEPNSM_ISH_E10value_typeEPSI_NS1_7vsmem_tEENKUlT_SG_SH_SI_E_clIS7_S7_PlSB_EESF_SV_SG_SH_SI_EUlSV_E1_NS1_11comp_targetILNS1_3genE5ELNS1_11target_archE942ELNS1_3gpuE9ELNS1_3repE0EEENS1_36merge_oddeven_config_static_selectorELNS0_4arch9wavefront6targetE1EEEvSH_.kd
    .uniform_work_group_size: 1
    .uses_dynamic_stack: false
    .vgpr_count:     0
    .vgpr_spill_count: 0
    .wavefront_size: 64
  - .agpr_count:     0
    .args:
      - .offset:         0
        .size:           48
        .value_kind:     by_value
    .group_segment_fixed_size: 0
    .kernarg_segment_align: 8
    .kernarg_segment_size: 48
    .language:       OpenCL C
    .language_version:
      - 2
      - 0
    .max_flat_workgroup_size: 256
    .name:           _ZN7rocprim17ROCPRIM_400000_NS6detail17trampoline_kernelINS0_14default_configENS1_38merge_sort_block_merge_config_selectorIilEEZZNS1_27merge_sort_block_merge_implIS3_PiN6thrust23THRUST_200600_302600_NS10device_ptrIlEEjNS1_19radix_merge_compareILb0ELb0EiNS0_19identity_decomposerEEEEE10hipError_tT0_T1_T2_jT3_P12ihipStream_tbPNSt15iterator_traitsISG_E10value_typeEPNSM_ISH_E10value_typeEPSI_NS1_7vsmem_tEENKUlT_SG_SH_SI_E_clIS7_S7_PlSB_EESF_SV_SG_SH_SI_EUlSV_E1_NS1_11comp_targetILNS1_3genE4ELNS1_11target_archE910ELNS1_3gpuE8ELNS1_3repE0EEENS1_36merge_oddeven_config_static_selectorELNS0_4arch9wavefront6targetE1EEEvSH_
    .private_segment_fixed_size: 0
    .sgpr_count:     28
    .sgpr_spill_count: 0
    .symbol:         _ZN7rocprim17ROCPRIM_400000_NS6detail17trampoline_kernelINS0_14default_configENS1_38merge_sort_block_merge_config_selectorIilEEZZNS1_27merge_sort_block_merge_implIS3_PiN6thrust23THRUST_200600_302600_NS10device_ptrIlEEjNS1_19radix_merge_compareILb0ELb0EiNS0_19identity_decomposerEEEEE10hipError_tT0_T1_T2_jT3_P12ihipStream_tbPNSt15iterator_traitsISG_E10value_typeEPNSM_ISH_E10value_typeEPSI_NS1_7vsmem_tEENKUlT_SG_SH_SI_E_clIS7_S7_PlSB_EESF_SV_SG_SH_SI_EUlSV_E1_NS1_11comp_targetILNS1_3genE4ELNS1_11target_archE910ELNS1_3gpuE8ELNS1_3repE0EEENS1_36merge_oddeven_config_static_selectorELNS0_4arch9wavefront6targetE1EEEvSH_.kd
    .uniform_work_group_size: 1
    .uses_dynamic_stack: false
    .vgpr_count:     12
    .vgpr_spill_count: 0
    .wavefront_size: 64
  - .agpr_count:     0
    .args:
      - .offset:         0
        .size:           48
        .value_kind:     by_value
    .group_segment_fixed_size: 0
    .kernarg_segment_align: 8
    .kernarg_segment_size: 48
    .language:       OpenCL C
    .language_version:
      - 2
      - 0
    .max_flat_workgroup_size: 256
    .name:           _ZN7rocprim17ROCPRIM_400000_NS6detail17trampoline_kernelINS0_14default_configENS1_38merge_sort_block_merge_config_selectorIilEEZZNS1_27merge_sort_block_merge_implIS3_PiN6thrust23THRUST_200600_302600_NS10device_ptrIlEEjNS1_19radix_merge_compareILb0ELb0EiNS0_19identity_decomposerEEEEE10hipError_tT0_T1_T2_jT3_P12ihipStream_tbPNSt15iterator_traitsISG_E10value_typeEPNSM_ISH_E10value_typeEPSI_NS1_7vsmem_tEENKUlT_SG_SH_SI_E_clIS7_S7_PlSB_EESF_SV_SG_SH_SI_EUlSV_E1_NS1_11comp_targetILNS1_3genE3ELNS1_11target_archE908ELNS1_3gpuE7ELNS1_3repE0EEENS1_36merge_oddeven_config_static_selectorELNS0_4arch9wavefront6targetE1EEEvSH_
    .private_segment_fixed_size: 0
    .sgpr_count:     4
    .sgpr_spill_count: 0
    .symbol:         _ZN7rocprim17ROCPRIM_400000_NS6detail17trampoline_kernelINS0_14default_configENS1_38merge_sort_block_merge_config_selectorIilEEZZNS1_27merge_sort_block_merge_implIS3_PiN6thrust23THRUST_200600_302600_NS10device_ptrIlEEjNS1_19radix_merge_compareILb0ELb0EiNS0_19identity_decomposerEEEEE10hipError_tT0_T1_T2_jT3_P12ihipStream_tbPNSt15iterator_traitsISG_E10value_typeEPNSM_ISH_E10value_typeEPSI_NS1_7vsmem_tEENKUlT_SG_SH_SI_E_clIS7_S7_PlSB_EESF_SV_SG_SH_SI_EUlSV_E1_NS1_11comp_targetILNS1_3genE3ELNS1_11target_archE908ELNS1_3gpuE7ELNS1_3repE0EEENS1_36merge_oddeven_config_static_selectorELNS0_4arch9wavefront6targetE1EEEvSH_.kd
    .uniform_work_group_size: 1
    .uses_dynamic_stack: false
    .vgpr_count:     0
    .vgpr_spill_count: 0
    .wavefront_size: 64
  - .agpr_count:     0
    .args:
      - .offset:         0
        .size:           48
        .value_kind:     by_value
    .group_segment_fixed_size: 0
    .kernarg_segment_align: 8
    .kernarg_segment_size: 48
    .language:       OpenCL C
    .language_version:
      - 2
      - 0
    .max_flat_workgroup_size: 256
    .name:           _ZN7rocprim17ROCPRIM_400000_NS6detail17trampoline_kernelINS0_14default_configENS1_38merge_sort_block_merge_config_selectorIilEEZZNS1_27merge_sort_block_merge_implIS3_PiN6thrust23THRUST_200600_302600_NS10device_ptrIlEEjNS1_19radix_merge_compareILb0ELb0EiNS0_19identity_decomposerEEEEE10hipError_tT0_T1_T2_jT3_P12ihipStream_tbPNSt15iterator_traitsISG_E10value_typeEPNSM_ISH_E10value_typeEPSI_NS1_7vsmem_tEENKUlT_SG_SH_SI_E_clIS7_S7_PlSB_EESF_SV_SG_SH_SI_EUlSV_E1_NS1_11comp_targetILNS1_3genE2ELNS1_11target_archE906ELNS1_3gpuE6ELNS1_3repE0EEENS1_36merge_oddeven_config_static_selectorELNS0_4arch9wavefront6targetE1EEEvSH_
    .private_segment_fixed_size: 0
    .sgpr_count:     4
    .sgpr_spill_count: 0
    .symbol:         _ZN7rocprim17ROCPRIM_400000_NS6detail17trampoline_kernelINS0_14default_configENS1_38merge_sort_block_merge_config_selectorIilEEZZNS1_27merge_sort_block_merge_implIS3_PiN6thrust23THRUST_200600_302600_NS10device_ptrIlEEjNS1_19radix_merge_compareILb0ELb0EiNS0_19identity_decomposerEEEEE10hipError_tT0_T1_T2_jT3_P12ihipStream_tbPNSt15iterator_traitsISG_E10value_typeEPNSM_ISH_E10value_typeEPSI_NS1_7vsmem_tEENKUlT_SG_SH_SI_E_clIS7_S7_PlSB_EESF_SV_SG_SH_SI_EUlSV_E1_NS1_11comp_targetILNS1_3genE2ELNS1_11target_archE906ELNS1_3gpuE6ELNS1_3repE0EEENS1_36merge_oddeven_config_static_selectorELNS0_4arch9wavefront6targetE1EEEvSH_.kd
    .uniform_work_group_size: 1
    .uses_dynamic_stack: false
    .vgpr_count:     0
    .vgpr_spill_count: 0
    .wavefront_size: 64
  - .agpr_count:     0
    .args:
      - .offset:         0
        .size:           48
        .value_kind:     by_value
    .group_segment_fixed_size: 0
    .kernarg_segment_align: 8
    .kernarg_segment_size: 48
    .language:       OpenCL C
    .language_version:
      - 2
      - 0
    .max_flat_workgroup_size: 256
    .name:           _ZN7rocprim17ROCPRIM_400000_NS6detail17trampoline_kernelINS0_14default_configENS1_38merge_sort_block_merge_config_selectorIilEEZZNS1_27merge_sort_block_merge_implIS3_PiN6thrust23THRUST_200600_302600_NS10device_ptrIlEEjNS1_19radix_merge_compareILb0ELb0EiNS0_19identity_decomposerEEEEE10hipError_tT0_T1_T2_jT3_P12ihipStream_tbPNSt15iterator_traitsISG_E10value_typeEPNSM_ISH_E10value_typeEPSI_NS1_7vsmem_tEENKUlT_SG_SH_SI_E_clIS7_S7_PlSB_EESF_SV_SG_SH_SI_EUlSV_E1_NS1_11comp_targetILNS1_3genE9ELNS1_11target_archE1100ELNS1_3gpuE3ELNS1_3repE0EEENS1_36merge_oddeven_config_static_selectorELNS0_4arch9wavefront6targetE1EEEvSH_
    .private_segment_fixed_size: 0
    .sgpr_count:     4
    .sgpr_spill_count: 0
    .symbol:         _ZN7rocprim17ROCPRIM_400000_NS6detail17trampoline_kernelINS0_14default_configENS1_38merge_sort_block_merge_config_selectorIilEEZZNS1_27merge_sort_block_merge_implIS3_PiN6thrust23THRUST_200600_302600_NS10device_ptrIlEEjNS1_19radix_merge_compareILb0ELb0EiNS0_19identity_decomposerEEEEE10hipError_tT0_T1_T2_jT3_P12ihipStream_tbPNSt15iterator_traitsISG_E10value_typeEPNSM_ISH_E10value_typeEPSI_NS1_7vsmem_tEENKUlT_SG_SH_SI_E_clIS7_S7_PlSB_EESF_SV_SG_SH_SI_EUlSV_E1_NS1_11comp_targetILNS1_3genE9ELNS1_11target_archE1100ELNS1_3gpuE3ELNS1_3repE0EEENS1_36merge_oddeven_config_static_selectorELNS0_4arch9wavefront6targetE1EEEvSH_.kd
    .uniform_work_group_size: 1
    .uses_dynamic_stack: false
    .vgpr_count:     0
    .vgpr_spill_count: 0
    .wavefront_size: 64
  - .agpr_count:     0
    .args:
      - .offset:         0
        .size:           48
        .value_kind:     by_value
    .group_segment_fixed_size: 0
    .kernarg_segment_align: 8
    .kernarg_segment_size: 48
    .language:       OpenCL C
    .language_version:
      - 2
      - 0
    .max_flat_workgroup_size: 256
    .name:           _ZN7rocprim17ROCPRIM_400000_NS6detail17trampoline_kernelINS0_14default_configENS1_38merge_sort_block_merge_config_selectorIilEEZZNS1_27merge_sort_block_merge_implIS3_PiN6thrust23THRUST_200600_302600_NS10device_ptrIlEEjNS1_19radix_merge_compareILb0ELb0EiNS0_19identity_decomposerEEEEE10hipError_tT0_T1_T2_jT3_P12ihipStream_tbPNSt15iterator_traitsISG_E10value_typeEPNSM_ISH_E10value_typeEPSI_NS1_7vsmem_tEENKUlT_SG_SH_SI_E_clIS7_S7_PlSB_EESF_SV_SG_SH_SI_EUlSV_E1_NS1_11comp_targetILNS1_3genE8ELNS1_11target_archE1030ELNS1_3gpuE2ELNS1_3repE0EEENS1_36merge_oddeven_config_static_selectorELNS0_4arch9wavefront6targetE1EEEvSH_
    .private_segment_fixed_size: 0
    .sgpr_count:     4
    .sgpr_spill_count: 0
    .symbol:         _ZN7rocprim17ROCPRIM_400000_NS6detail17trampoline_kernelINS0_14default_configENS1_38merge_sort_block_merge_config_selectorIilEEZZNS1_27merge_sort_block_merge_implIS3_PiN6thrust23THRUST_200600_302600_NS10device_ptrIlEEjNS1_19radix_merge_compareILb0ELb0EiNS0_19identity_decomposerEEEEE10hipError_tT0_T1_T2_jT3_P12ihipStream_tbPNSt15iterator_traitsISG_E10value_typeEPNSM_ISH_E10value_typeEPSI_NS1_7vsmem_tEENKUlT_SG_SH_SI_E_clIS7_S7_PlSB_EESF_SV_SG_SH_SI_EUlSV_E1_NS1_11comp_targetILNS1_3genE8ELNS1_11target_archE1030ELNS1_3gpuE2ELNS1_3repE0EEENS1_36merge_oddeven_config_static_selectorELNS0_4arch9wavefront6targetE1EEEvSH_.kd
    .uniform_work_group_size: 1
    .uses_dynamic_stack: false
    .vgpr_count:     0
    .vgpr_spill_count: 0
    .wavefront_size: 64
  - .agpr_count:     0
    .args:
      - .offset:         0
        .size:           40
        .value_kind:     by_value
    .group_segment_fixed_size: 0
    .kernarg_segment_align: 8
    .kernarg_segment_size: 40
    .language:       OpenCL C
    .language_version:
      - 2
      - 0
    .max_flat_workgroup_size: 128
    .name:           _ZN7rocprim17ROCPRIM_400000_NS6detail17trampoline_kernelINS0_14default_configENS1_38merge_sort_block_merge_config_selectorIilEEZZNS1_27merge_sort_block_merge_implIS3_PiN6thrust23THRUST_200600_302600_NS10device_ptrIlEEjNS1_19radix_merge_compareILb0ELb0EiNS0_19identity_decomposerEEEEE10hipError_tT0_T1_T2_jT3_P12ihipStream_tbPNSt15iterator_traitsISG_E10value_typeEPNSM_ISH_E10value_typeEPSI_NS1_7vsmem_tEENKUlT_SG_SH_SI_E_clIS7_S7_SB_PlEESF_SV_SG_SH_SI_EUlSV_E_NS1_11comp_targetILNS1_3genE0ELNS1_11target_archE4294967295ELNS1_3gpuE0ELNS1_3repE0EEENS1_48merge_mergepath_partition_config_static_selectorELNS0_4arch9wavefront6targetE1EEEvSH_
    .private_segment_fixed_size: 0
    .sgpr_count:     4
    .sgpr_spill_count: 0
    .symbol:         _ZN7rocprim17ROCPRIM_400000_NS6detail17trampoline_kernelINS0_14default_configENS1_38merge_sort_block_merge_config_selectorIilEEZZNS1_27merge_sort_block_merge_implIS3_PiN6thrust23THRUST_200600_302600_NS10device_ptrIlEEjNS1_19radix_merge_compareILb0ELb0EiNS0_19identity_decomposerEEEEE10hipError_tT0_T1_T2_jT3_P12ihipStream_tbPNSt15iterator_traitsISG_E10value_typeEPNSM_ISH_E10value_typeEPSI_NS1_7vsmem_tEENKUlT_SG_SH_SI_E_clIS7_S7_SB_PlEESF_SV_SG_SH_SI_EUlSV_E_NS1_11comp_targetILNS1_3genE0ELNS1_11target_archE4294967295ELNS1_3gpuE0ELNS1_3repE0EEENS1_48merge_mergepath_partition_config_static_selectorELNS0_4arch9wavefront6targetE1EEEvSH_.kd
    .uniform_work_group_size: 1
    .uses_dynamic_stack: false
    .vgpr_count:     0
    .vgpr_spill_count: 0
    .wavefront_size: 64
  - .agpr_count:     0
    .args:
      - .offset:         0
        .size:           40
        .value_kind:     by_value
    .group_segment_fixed_size: 0
    .kernarg_segment_align: 8
    .kernarg_segment_size: 40
    .language:       OpenCL C
    .language_version:
      - 2
      - 0
    .max_flat_workgroup_size: 128
    .name:           _ZN7rocprim17ROCPRIM_400000_NS6detail17trampoline_kernelINS0_14default_configENS1_38merge_sort_block_merge_config_selectorIilEEZZNS1_27merge_sort_block_merge_implIS3_PiN6thrust23THRUST_200600_302600_NS10device_ptrIlEEjNS1_19radix_merge_compareILb0ELb0EiNS0_19identity_decomposerEEEEE10hipError_tT0_T1_T2_jT3_P12ihipStream_tbPNSt15iterator_traitsISG_E10value_typeEPNSM_ISH_E10value_typeEPSI_NS1_7vsmem_tEENKUlT_SG_SH_SI_E_clIS7_S7_SB_PlEESF_SV_SG_SH_SI_EUlSV_E_NS1_11comp_targetILNS1_3genE10ELNS1_11target_archE1201ELNS1_3gpuE5ELNS1_3repE0EEENS1_48merge_mergepath_partition_config_static_selectorELNS0_4arch9wavefront6targetE1EEEvSH_
    .private_segment_fixed_size: 0
    .sgpr_count:     4
    .sgpr_spill_count: 0
    .symbol:         _ZN7rocprim17ROCPRIM_400000_NS6detail17trampoline_kernelINS0_14default_configENS1_38merge_sort_block_merge_config_selectorIilEEZZNS1_27merge_sort_block_merge_implIS3_PiN6thrust23THRUST_200600_302600_NS10device_ptrIlEEjNS1_19radix_merge_compareILb0ELb0EiNS0_19identity_decomposerEEEEE10hipError_tT0_T1_T2_jT3_P12ihipStream_tbPNSt15iterator_traitsISG_E10value_typeEPNSM_ISH_E10value_typeEPSI_NS1_7vsmem_tEENKUlT_SG_SH_SI_E_clIS7_S7_SB_PlEESF_SV_SG_SH_SI_EUlSV_E_NS1_11comp_targetILNS1_3genE10ELNS1_11target_archE1201ELNS1_3gpuE5ELNS1_3repE0EEENS1_48merge_mergepath_partition_config_static_selectorELNS0_4arch9wavefront6targetE1EEEvSH_.kd
    .uniform_work_group_size: 1
    .uses_dynamic_stack: false
    .vgpr_count:     0
    .vgpr_spill_count: 0
    .wavefront_size: 64
  - .agpr_count:     0
    .args:
      - .offset:         0
        .size:           40
        .value_kind:     by_value
    .group_segment_fixed_size: 0
    .kernarg_segment_align: 8
    .kernarg_segment_size: 40
    .language:       OpenCL C
    .language_version:
      - 2
      - 0
    .max_flat_workgroup_size: 128
    .name:           _ZN7rocprim17ROCPRIM_400000_NS6detail17trampoline_kernelINS0_14default_configENS1_38merge_sort_block_merge_config_selectorIilEEZZNS1_27merge_sort_block_merge_implIS3_PiN6thrust23THRUST_200600_302600_NS10device_ptrIlEEjNS1_19radix_merge_compareILb0ELb0EiNS0_19identity_decomposerEEEEE10hipError_tT0_T1_T2_jT3_P12ihipStream_tbPNSt15iterator_traitsISG_E10value_typeEPNSM_ISH_E10value_typeEPSI_NS1_7vsmem_tEENKUlT_SG_SH_SI_E_clIS7_S7_SB_PlEESF_SV_SG_SH_SI_EUlSV_E_NS1_11comp_targetILNS1_3genE5ELNS1_11target_archE942ELNS1_3gpuE9ELNS1_3repE0EEENS1_48merge_mergepath_partition_config_static_selectorELNS0_4arch9wavefront6targetE1EEEvSH_
    .private_segment_fixed_size: 0
    .sgpr_count:     4
    .sgpr_spill_count: 0
    .symbol:         _ZN7rocprim17ROCPRIM_400000_NS6detail17trampoline_kernelINS0_14default_configENS1_38merge_sort_block_merge_config_selectorIilEEZZNS1_27merge_sort_block_merge_implIS3_PiN6thrust23THRUST_200600_302600_NS10device_ptrIlEEjNS1_19radix_merge_compareILb0ELb0EiNS0_19identity_decomposerEEEEE10hipError_tT0_T1_T2_jT3_P12ihipStream_tbPNSt15iterator_traitsISG_E10value_typeEPNSM_ISH_E10value_typeEPSI_NS1_7vsmem_tEENKUlT_SG_SH_SI_E_clIS7_S7_SB_PlEESF_SV_SG_SH_SI_EUlSV_E_NS1_11comp_targetILNS1_3genE5ELNS1_11target_archE942ELNS1_3gpuE9ELNS1_3repE0EEENS1_48merge_mergepath_partition_config_static_selectorELNS0_4arch9wavefront6targetE1EEEvSH_.kd
    .uniform_work_group_size: 1
    .uses_dynamic_stack: false
    .vgpr_count:     0
    .vgpr_spill_count: 0
    .wavefront_size: 64
  - .agpr_count:     0
    .args:
      - .offset:         0
        .size:           40
        .value_kind:     by_value
    .group_segment_fixed_size: 0
    .kernarg_segment_align: 8
    .kernarg_segment_size: 40
    .language:       OpenCL C
    .language_version:
      - 2
      - 0
    .max_flat_workgroup_size: 128
    .name:           _ZN7rocprim17ROCPRIM_400000_NS6detail17trampoline_kernelINS0_14default_configENS1_38merge_sort_block_merge_config_selectorIilEEZZNS1_27merge_sort_block_merge_implIS3_PiN6thrust23THRUST_200600_302600_NS10device_ptrIlEEjNS1_19radix_merge_compareILb0ELb0EiNS0_19identity_decomposerEEEEE10hipError_tT0_T1_T2_jT3_P12ihipStream_tbPNSt15iterator_traitsISG_E10value_typeEPNSM_ISH_E10value_typeEPSI_NS1_7vsmem_tEENKUlT_SG_SH_SI_E_clIS7_S7_SB_PlEESF_SV_SG_SH_SI_EUlSV_E_NS1_11comp_targetILNS1_3genE4ELNS1_11target_archE910ELNS1_3gpuE8ELNS1_3repE0EEENS1_48merge_mergepath_partition_config_static_selectorELNS0_4arch9wavefront6targetE1EEEvSH_
    .private_segment_fixed_size: 0
    .sgpr_count:     12
    .sgpr_spill_count: 0
    .symbol:         _ZN7rocprim17ROCPRIM_400000_NS6detail17trampoline_kernelINS0_14default_configENS1_38merge_sort_block_merge_config_selectorIilEEZZNS1_27merge_sort_block_merge_implIS3_PiN6thrust23THRUST_200600_302600_NS10device_ptrIlEEjNS1_19radix_merge_compareILb0ELb0EiNS0_19identity_decomposerEEEEE10hipError_tT0_T1_T2_jT3_P12ihipStream_tbPNSt15iterator_traitsISG_E10value_typeEPNSM_ISH_E10value_typeEPSI_NS1_7vsmem_tEENKUlT_SG_SH_SI_E_clIS7_S7_SB_PlEESF_SV_SG_SH_SI_EUlSV_E_NS1_11comp_targetILNS1_3genE4ELNS1_11target_archE910ELNS1_3gpuE8ELNS1_3repE0EEENS1_48merge_mergepath_partition_config_static_selectorELNS0_4arch9wavefront6targetE1EEEvSH_.kd
    .uniform_work_group_size: 1
    .uses_dynamic_stack: false
    .vgpr_count:     17
    .vgpr_spill_count: 0
    .wavefront_size: 64
  - .agpr_count:     0
    .args:
      - .offset:         0
        .size:           40
        .value_kind:     by_value
    .group_segment_fixed_size: 0
    .kernarg_segment_align: 8
    .kernarg_segment_size: 40
    .language:       OpenCL C
    .language_version:
      - 2
      - 0
    .max_flat_workgroup_size: 128
    .name:           _ZN7rocprim17ROCPRIM_400000_NS6detail17trampoline_kernelINS0_14default_configENS1_38merge_sort_block_merge_config_selectorIilEEZZNS1_27merge_sort_block_merge_implIS3_PiN6thrust23THRUST_200600_302600_NS10device_ptrIlEEjNS1_19radix_merge_compareILb0ELb0EiNS0_19identity_decomposerEEEEE10hipError_tT0_T1_T2_jT3_P12ihipStream_tbPNSt15iterator_traitsISG_E10value_typeEPNSM_ISH_E10value_typeEPSI_NS1_7vsmem_tEENKUlT_SG_SH_SI_E_clIS7_S7_SB_PlEESF_SV_SG_SH_SI_EUlSV_E_NS1_11comp_targetILNS1_3genE3ELNS1_11target_archE908ELNS1_3gpuE7ELNS1_3repE0EEENS1_48merge_mergepath_partition_config_static_selectorELNS0_4arch9wavefront6targetE1EEEvSH_
    .private_segment_fixed_size: 0
    .sgpr_count:     4
    .sgpr_spill_count: 0
    .symbol:         _ZN7rocprim17ROCPRIM_400000_NS6detail17trampoline_kernelINS0_14default_configENS1_38merge_sort_block_merge_config_selectorIilEEZZNS1_27merge_sort_block_merge_implIS3_PiN6thrust23THRUST_200600_302600_NS10device_ptrIlEEjNS1_19radix_merge_compareILb0ELb0EiNS0_19identity_decomposerEEEEE10hipError_tT0_T1_T2_jT3_P12ihipStream_tbPNSt15iterator_traitsISG_E10value_typeEPNSM_ISH_E10value_typeEPSI_NS1_7vsmem_tEENKUlT_SG_SH_SI_E_clIS7_S7_SB_PlEESF_SV_SG_SH_SI_EUlSV_E_NS1_11comp_targetILNS1_3genE3ELNS1_11target_archE908ELNS1_3gpuE7ELNS1_3repE0EEENS1_48merge_mergepath_partition_config_static_selectorELNS0_4arch9wavefront6targetE1EEEvSH_.kd
    .uniform_work_group_size: 1
    .uses_dynamic_stack: false
    .vgpr_count:     0
    .vgpr_spill_count: 0
    .wavefront_size: 64
  - .agpr_count:     0
    .args:
      - .offset:         0
        .size:           40
        .value_kind:     by_value
    .group_segment_fixed_size: 0
    .kernarg_segment_align: 8
    .kernarg_segment_size: 40
    .language:       OpenCL C
    .language_version:
      - 2
      - 0
    .max_flat_workgroup_size: 128
    .name:           _ZN7rocprim17ROCPRIM_400000_NS6detail17trampoline_kernelINS0_14default_configENS1_38merge_sort_block_merge_config_selectorIilEEZZNS1_27merge_sort_block_merge_implIS3_PiN6thrust23THRUST_200600_302600_NS10device_ptrIlEEjNS1_19radix_merge_compareILb0ELb0EiNS0_19identity_decomposerEEEEE10hipError_tT0_T1_T2_jT3_P12ihipStream_tbPNSt15iterator_traitsISG_E10value_typeEPNSM_ISH_E10value_typeEPSI_NS1_7vsmem_tEENKUlT_SG_SH_SI_E_clIS7_S7_SB_PlEESF_SV_SG_SH_SI_EUlSV_E_NS1_11comp_targetILNS1_3genE2ELNS1_11target_archE906ELNS1_3gpuE6ELNS1_3repE0EEENS1_48merge_mergepath_partition_config_static_selectorELNS0_4arch9wavefront6targetE1EEEvSH_
    .private_segment_fixed_size: 0
    .sgpr_count:     4
    .sgpr_spill_count: 0
    .symbol:         _ZN7rocprim17ROCPRIM_400000_NS6detail17trampoline_kernelINS0_14default_configENS1_38merge_sort_block_merge_config_selectorIilEEZZNS1_27merge_sort_block_merge_implIS3_PiN6thrust23THRUST_200600_302600_NS10device_ptrIlEEjNS1_19radix_merge_compareILb0ELb0EiNS0_19identity_decomposerEEEEE10hipError_tT0_T1_T2_jT3_P12ihipStream_tbPNSt15iterator_traitsISG_E10value_typeEPNSM_ISH_E10value_typeEPSI_NS1_7vsmem_tEENKUlT_SG_SH_SI_E_clIS7_S7_SB_PlEESF_SV_SG_SH_SI_EUlSV_E_NS1_11comp_targetILNS1_3genE2ELNS1_11target_archE906ELNS1_3gpuE6ELNS1_3repE0EEENS1_48merge_mergepath_partition_config_static_selectorELNS0_4arch9wavefront6targetE1EEEvSH_.kd
    .uniform_work_group_size: 1
    .uses_dynamic_stack: false
    .vgpr_count:     0
    .vgpr_spill_count: 0
    .wavefront_size: 64
  - .agpr_count:     0
    .args:
      - .offset:         0
        .size:           40
        .value_kind:     by_value
    .group_segment_fixed_size: 0
    .kernarg_segment_align: 8
    .kernarg_segment_size: 40
    .language:       OpenCL C
    .language_version:
      - 2
      - 0
    .max_flat_workgroup_size: 128
    .name:           _ZN7rocprim17ROCPRIM_400000_NS6detail17trampoline_kernelINS0_14default_configENS1_38merge_sort_block_merge_config_selectorIilEEZZNS1_27merge_sort_block_merge_implIS3_PiN6thrust23THRUST_200600_302600_NS10device_ptrIlEEjNS1_19radix_merge_compareILb0ELb0EiNS0_19identity_decomposerEEEEE10hipError_tT0_T1_T2_jT3_P12ihipStream_tbPNSt15iterator_traitsISG_E10value_typeEPNSM_ISH_E10value_typeEPSI_NS1_7vsmem_tEENKUlT_SG_SH_SI_E_clIS7_S7_SB_PlEESF_SV_SG_SH_SI_EUlSV_E_NS1_11comp_targetILNS1_3genE9ELNS1_11target_archE1100ELNS1_3gpuE3ELNS1_3repE0EEENS1_48merge_mergepath_partition_config_static_selectorELNS0_4arch9wavefront6targetE1EEEvSH_
    .private_segment_fixed_size: 0
    .sgpr_count:     4
    .sgpr_spill_count: 0
    .symbol:         _ZN7rocprim17ROCPRIM_400000_NS6detail17trampoline_kernelINS0_14default_configENS1_38merge_sort_block_merge_config_selectorIilEEZZNS1_27merge_sort_block_merge_implIS3_PiN6thrust23THRUST_200600_302600_NS10device_ptrIlEEjNS1_19radix_merge_compareILb0ELb0EiNS0_19identity_decomposerEEEEE10hipError_tT0_T1_T2_jT3_P12ihipStream_tbPNSt15iterator_traitsISG_E10value_typeEPNSM_ISH_E10value_typeEPSI_NS1_7vsmem_tEENKUlT_SG_SH_SI_E_clIS7_S7_SB_PlEESF_SV_SG_SH_SI_EUlSV_E_NS1_11comp_targetILNS1_3genE9ELNS1_11target_archE1100ELNS1_3gpuE3ELNS1_3repE0EEENS1_48merge_mergepath_partition_config_static_selectorELNS0_4arch9wavefront6targetE1EEEvSH_.kd
    .uniform_work_group_size: 1
    .uses_dynamic_stack: false
    .vgpr_count:     0
    .vgpr_spill_count: 0
    .wavefront_size: 64
  - .agpr_count:     0
    .args:
      - .offset:         0
        .size:           40
        .value_kind:     by_value
    .group_segment_fixed_size: 0
    .kernarg_segment_align: 8
    .kernarg_segment_size: 40
    .language:       OpenCL C
    .language_version:
      - 2
      - 0
    .max_flat_workgroup_size: 128
    .name:           _ZN7rocprim17ROCPRIM_400000_NS6detail17trampoline_kernelINS0_14default_configENS1_38merge_sort_block_merge_config_selectorIilEEZZNS1_27merge_sort_block_merge_implIS3_PiN6thrust23THRUST_200600_302600_NS10device_ptrIlEEjNS1_19radix_merge_compareILb0ELb0EiNS0_19identity_decomposerEEEEE10hipError_tT0_T1_T2_jT3_P12ihipStream_tbPNSt15iterator_traitsISG_E10value_typeEPNSM_ISH_E10value_typeEPSI_NS1_7vsmem_tEENKUlT_SG_SH_SI_E_clIS7_S7_SB_PlEESF_SV_SG_SH_SI_EUlSV_E_NS1_11comp_targetILNS1_3genE8ELNS1_11target_archE1030ELNS1_3gpuE2ELNS1_3repE0EEENS1_48merge_mergepath_partition_config_static_selectorELNS0_4arch9wavefront6targetE1EEEvSH_
    .private_segment_fixed_size: 0
    .sgpr_count:     4
    .sgpr_spill_count: 0
    .symbol:         _ZN7rocprim17ROCPRIM_400000_NS6detail17trampoline_kernelINS0_14default_configENS1_38merge_sort_block_merge_config_selectorIilEEZZNS1_27merge_sort_block_merge_implIS3_PiN6thrust23THRUST_200600_302600_NS10device_ptrIlEEjNS1_19radix_merge_compareILb0ELb0EiNS0_19identity_decomposerEEEEE10hipError_tT0_T1_T2_jT3_P12ihipStream_tbPNSt15iterator_traitsISG_E10value_typeEPNSM_ISH_E10value_typeEPSI_NS1_7vsmem_tEENKUlT_SG_SH_SI_E_clIS7_S7_SB_PlEESF_SV_SG_SH_SI_EUlSV_E_NS1_11comp_targetILNS1_3genE8ELNS1_11target_archE1030ELNS1_3gpuE2ELNS1_3repE0EEENS1_48merge_mergepath_partition_config_static_selectorELNS0_4arch9wavefront6targetE1EEEvSH_.kd
    .uniform_work_group_size: 1
    .uses_dynamic_stack: false
    .vgpr_count:     0
    .vgpr_spill_count: 0
    .wavefront_size: 64
  - .agpr_count:     0
    .args:
      - .offset:         0
        .size:           64
        .value_kind:     by_value
    .group_segment_fixed_size: 0
    .kernarg_segment_align: 8
    .kernarg_segment_size: 64
    .language:       OpenCL C
    .language_version:
      - 2
      - 0
    .max_flat_workgroup_size: 512
    .name:           _ZN7rocprim17ROCPRIM_400000_NS6detail17trampoline_kernelINS0_14default_configENS1_38merge_sort_block_merge_config_selectorIilEEZZNS1_27merge_sort_block_merge_implIS3_PiN6thrust23THRUST_200600_302600_NS10device_ptrIlEEjNS1_19radix_merge_compareILb0ELb0EiNS0_19identity_decomposerEEEEE10hipError_tT0_T1_T2_jT3_P12ihipStream_tbPNSt15iterator_traitsISG_E10value_typeEPNSM_ISH_E10value_typeEPSI_NS1_7vsmem_tEENKUlT_SG_SH_SI_E_clIS7_S7_SB_PlEESF_SV_SG_SH_SI_EUlSV_E0_NS1_11comp_targetILNS1_3genE0ELNS1_11target_archE4294967295ELNS1_3gpuE0ELNS1_3repE0EEENS1_38merge_mergepath_config_static_selectorELNS0_4arch9wavefront6targetE1EEEvSH_
    .private_segment_fixed_size: 0
    .sgpr_count:     4
    .sgpr_spill_count: 0
    .symbol:         _ZN7rocprim17ROCPRIM_400000_NS6detail17trampoline_kernelINS0_14default_configENS1_38merge_sort_block_merge_config_selectorIilEEZZNS1_27merge_sort_block_merge_implIS3_PiN6thrust23THRUST_200600_302600_NS10device_ptrIlEEjNS1_19radix_merge_compareILb0ELb0EiNS0_19identity_decomposerEEEEE10hipError_tT0_T1_T2_jT3_P12ihipStream_tbPNSt15iterator_traitsISG_E10value_typeEPNSM_ISH_E10value_typeEPSI_NS1_7vsmem_tEENKUlT_SG_SH_SI_E_clIS7_S7_SB_PlEESF_SV_SG_SH_SI_EUlSV_E0_NS1_11comp_targetILNS1_3genE0ELNS1_11target_archE4294967295ELNS1_3gpuE0ELNS1_3repE0EEENS1_38merge_mergepath_config_static_selectorELNS0_4arch9wavefront6targetE1EEEvSH_.kd
    .uniform_work_group_size: 1
    .uses_dynamic_stack: false
    .vgpr_count:     0
    .vgpr_spill_count: 0
    .wavefront_size: 64
  - .agpr_count:     0
    .args:
      - .offset:         0
        .size:           64
        .value_kind:     by_value
    .group_segment_fixed_size: 0
    .kernarg_segment_align: 8
    .kernarg_segment_size: 64
    .language:       OpenCL C
    .language_version:
      - 2
      - 0
    .max_flat_workgroup_size: 512
    .name:           _ZN7rocprim17ROCPRIM_400000_NS6detail17trampoline_kernelINS0_14default_configENS1_38merge_sort_block_merge_config_selectorIilEEZZNS1_27merge_sort_block_merge_implIS3_PiN6thrust23THRUST_200600_302600_NS10device_ptrIlEEjNS1_19radix_merge_compareILb0ELb0EiNS0_19identity_decomposerEEEEE10hipError_tT0_T1_T2_jT3_P12ihipStream_tbPNSt15iterator_traitsISG_E10value_typeEPNSM_ISH_E10value_typeEPSI_NS1_7vsmem_tEENKUlT_SG_SH_SI_E_clIS7_S7_SB_PlEESF_SV_SG_SH_SI_EUlSV_E0_NS1_11comp_targetILNS1_3genE10ELNS1_11target_archE1201ELNS1_3gpuE5ELNS1_3repE0EEENS1_38merge_mergepath_config_static_selectorELNS0_4arch9wavefront6targetE1EEEvSH_
    .private_segment_fixed_size: 0
    .sgpr_count:     4
    .sgpr_spill_count: 0
    .symbol:         _ZN7rocprim17ROCPRIM_400000_NS6detail17trampoline_kernelINS0_14default_configENS1_38merge_sort_block_merge_config_selectorIilEEZZNS1_27merge_sort_block_merge_implIS3_PiN6thrust23THRUST_200600_302600_NS10device_ptrIlEEjNS1_19radix_merge_compareILb0ELb0EiNS0_19identity_decomposerEEEEE10hipError_tT0_T1_T2_jT3_P12ihipStream_tbPNSt15iterator_traitsISG_E10value_typeEPNSM_ISH_E10value_typeEPSI_NS1_7vsmem_tEENKUlT_SG_SH_SI_E_clIS7_S7_SB_PlEESF_SV_SG_SH_SI_EUlSV_E0_NS1_11comp_targetILNS1_3genE10ELNS1_11target_archE1201ELNS1_3gpuE5ELNS1_3repE0EEENS1_38merge_mergepath_config_static_selectorELNS0_4arch9wavefront6targetE1EEEvSH_.kd
    .uniform_work_group_size: 1
    .uses_dynamic_stack: false
    .vgpr_count:     0
    .vgpr_spill_count: 0
    .wavefront_size: 64
  - .agpr_count:     0
    .args:
      - .offset:         0
        .size:           64
        .value_kind:     by_value
    .group_segment_fixed_size: 0
    .kernarg_segment_align: 8
    .kernarg_segment_size: 64
    .language:       OpenCL C
    .language_version:
      - 2
      - 0
    .max_flat_workgroup_size: 256
    .name:           _ZN7rocprim17ROCPRIM_400000_NS6detail17trampoline_kernelINS0_14default_configENS1_38merge_sort_block_merge_config_selectorIilEEZZNS1_27merge_sort_block_merge_implIS3_PiN6thrust23THRUST_200600_302600_NS10device_ptrIlEEjNS1_19radix_merge_compareILb0ELb0EiNS0_19identity_decomposerEEEEE10hipError_tT0_T1_T2_jT3_P12ihipStream_tbPNSt15iterator_traitsISG_E10value_typeEPNSM_ISH_E10value_typeEPSI_NS1_7vsmem_tEENKUlT_SG_SH_SI_E_clIS7_S7_SB_PlEESF_SV_SG_SH_SI_EUlSV_E0_NS1_11comp_targetILNS1_3genE5ELNS1_11target_archE942ELNS1_3gpuE9ELNS1_3repE0EEENS1_38merge_mergepath_config_static_selectorELNS0_4arch9wavefront6targetE1EEEvSH_
    .private_segment_fixed_size: 0
    .sgpr_count:     4
    .sgpr_spill_count: 0
    .symbol:         _ZN7rocprim17ROCPRIM_400000_NS6detail17trampoline_kernelINS0_14default_configENS1_38merge_sort_block_merge_config_selectorIilEEZZNS1_27merge_sort_block_merge_implIS3_PiN6thrust23THRUST_200600_302600_NS10device_ptrIlEEjNS1_19radix_merge_compareILb0ELb0EiNS0_19identity_decomposerEEEEE10hipError_tT0_T1_T2_jT3_P12ihipStream_tbPNSt15iterator_traitsISG_E10value_typeEPNSM_ISH_E10value_typeEPSI_NS1_7vsmem_tEENKUlT_SG_SH_SI_E_clIS7_S7_SB_PlEESF_SV_SG_SH_SI_EUlSV_E0_NS1_11comp_targetILNS1_3genE5ELNS1_11target_archE942ELNS1_3gpuE9ELNS1_3repE0EEENS1_38merge_mergepath_config_static_selectorELNS0_4arch9wavefront6targetE1EEEvSH_.kd
    .uniform_work_group_size: 1
    .uses_dynamic_stack: false
    .vgpr_count:     0
    .vgpr_spill_count: 0
    .wavefront_size: 64
  - .agpr_count:     0
    .args:
      - .offset:         0
        .size:           64
        .value_kind:     by_value
      - .offset:         64
        .size:           4
        .value_kind:     hidden_block_count_x
      - .offset:         68
        .size:           4
        .value_kind:     hidden_block_count_y
      - .offset:         72
        .size:           4
        .value_kind:     hidden_block_count_z
      - .offset:         76
        .size:           2
        .value_kind:     hidden_group_size_x
      - .offset:         78
        .size:           2
        .value_kind:     hidden_group_size_y
      - .offset:         80
        .size:           2
        .value_kind:     hidden_group_size_z
      - .offset:         82
        .size:           2
        .value_kind:     hidden_remainder_x
      - .offset:         84
        .size:           2
        .value_kind:     hidden_remainder_y
      - .offset:         86
        .size:           2
        .value_kind:     hidden_remainder_z
      - .offset:         104
        .size:           8
        .value_kind:     hidden_global_offset_x
      - .offset:         112
        .size:           8
        .value_kind:     hidden_global_offset_y
      - .offset:         120
        .size:           8
        .value_kind:     hidden_global_offset_z
      - .offset:         128
        .size:           2
        .value_kind:     hidden_grid_dims
    .group_segment_fixed_size: 8448
    .kernarg_segment_align: 8
    .kernarg_segment_size: 320
    .language:       OpenCL C
    .language_version:
      - 2
      - 0
    .max_flat_workgroup_size: 256
    .name:           _ZN7rocprim17ROCPRIM_400000_NS6detail17trampoline_kernelINS0_14default_configENS1_38merge_sort_block_merge_config_selectorIilEEZZNS1_27merge_sort_block_merge_implIS3_PiN6thrust23THRUST_200600_302600_NS10device_ptrIlEEjNS1_19radix_merge_compareILb0ELb0EiNS0_19identity_decomposerEEEEE10hipError_tT0_T1_T2_jT3_P12ihipStream_tbPNSt15iterator_traitsISG_E10value_typeEPNSM_ISH_E10value_typeEPSI_NS1_7vsmem_tEENKUlT_SG_SH_SI_E_clIS7_S7_SB_PlEESF_SV_SG_SH_SI_EUlSV_E0_NS1_11comp_targetILNS1_3genE4ELNS1_11target_archE910ELNS1_3gpuE8ELNS1_3repE0EEENS1_38merge_mergepath_config_static_selectorELNS0_4arch9wavefront6targetE1EEEvSH_
    .private_segment_fixed_size: 0
    .sgpr_count:     34
    .sgpr_spill_count: 0
    .symbol:         _ZN7rocprim17ROCPRIM_400000_NS6detail17trampoline_kernelINS0_14default_configENS1_38merge_sort_block_merge_config_selectorIilEEZZNS1_27merge_sort_block_merge_implIS3_PiN6thrust23THRUST_200600_302600_NS10device_ptrIlEEjNS1_19radix_merge_compareILb0ELb0EiNS0_19identity_decomposerEEEEE10hipError_tT0_T1_T2_jT3_P12ihipStream_tbPNSt15iterator_traitsISG_E10value_typeEPNSM_ISH_E10value_typeEPSI_NS1_7vsmem_tEENKUlT_SG_SH_SI_E_clIS7_S7_SB_PlEESF_SV_SG_SH_SI_EUlSV_E0_NS1_11comp_targetILNS1_3genE4ELNS1_11target_archE910ELNS1_3gpuE8ELNS1_3repE0EEENS1_38merge_mergepath_config_static_selectorELNS0_4arch9wavefront6targetE1EEEvSH_.kd
    .uniform_work_group_size: 1
    .uses_dynamic_stack: false
    .vgpr_count:     35
    .vgpr_spill_count: 0
    .wavefront_size: 64
  - .agpr_count:     0
    .args:
      - .offset:         0
        .size:           64
        .value_kind:     by_value
    .group_segment_fixed_size: 0
    .kernarg_segment_align: 8
    .kernarg_segment_size: 64
    .language:       OpenCL C
    .language_version:
      - 2
      - 0
    .max_flat_workgroup_size: 512
    .name:           _ZN7rocprim17ROCPRIM_400000_NS6detail17trampoline_kernelINS0_14default_configENS1_38merge_sort_block_merge_config_selectorIilEEZZNS1_27merge_sort_block_merge_implIS3_PiN6thrust23THRUST_200600_302600_NS10device_ptrIlEEjNS1_19radix_merge_compareILb0ELb0EiNS0_19identity_decomposerEEEEE10hipError_tT0_T1_T2_jT3_P12ihipStream_tbPNSt15iterator_traitsISG_E10value_typeEPNSM_ISH_E10value_typeEPSI_NS1_7vsmem_tEENKUlT_SG_SH_SI_E_clIS7_S7_SB_PlEESF_SV_SG_SH_SI_EUlSV_E0_NS1_11comp_targetILNS1_3genE3ELNS1_11target_archE908ELNS1_3gpuE7ELNS1_3repE0EEENS1_38merge_mergepath_config_static_selectorELNS0_4arch9wavefront6targetE1EEEvSH_
    .private_segment_fixed_size: 0
    .sgpr_count:     4
    .sgpr_spill_count: 0
    .symbol:         _ZN7rocprim17ROCPRIM_400000_NS6detail17trampoline_kernelINS0_14default_configENS1_38merge_sort_block_merge_config_selectorIilEEZZNS1_27merge_sort_block_merge_implIS3_PiN6thrust23THRUST_200600_302600_NS10device_ptrIlEEjNS1_19radix_merge_compareILb0ELb0EiNS0_19identity_decomposerEEEEE10hipError_tT0_T1_T2_jT3_P12ihipStream_tbPNSt15iterator_traitsISG_E10value_typeEPNSM_ISH_E10value_typeEPSI_NS1_7vsmem_tEENKUlT_SG_SH_SI_E_clIS7_S7_SB_PlEESF_SV_SG_SH_SI_EUlSV_E0_NS1_11comp_targetILNS1_3genE3ELNS1_11target_archE908ELNS1_3gpuE7ELNS1_3repE0EEENS1_38merge_mergepath_config_static_selectorELNS0_4arch9wavefront6targetE1EEEvSH_.kd
    .uniform_work_group_size: 1
    .uses_dynamic_stack: false
    .vgpr_count:     0
    .vgpr_spill_count: 0
    .wavefront_size: 64
  - .agpr_count:     0
    .args:
      - .offset:         0
        .size:           64
        .value_kind:     by_value
    .group_segment_fixed_size: 0
    .kernarg_segment_align: 8
    .kernarg_segment_size: 64
    .language:       OpenCL C
    .language_version:
      - 2
      - 0
    .max_flat_workgroup_size: 256
    .name:           _ZN7rocprim17ROCPRIM_400000_NS6detail17trampoline_kernelINS0_14default_configENS1_38merge_sort_block_merge_config_selectorIilEEZZNS1_27merge_sort_block_merge_implIS3_PiN6thrust23THRUST_200600_302600_NS10device_ptrIlEEjNS1_19radix_merge_compareILb0ELb0EiNS0_19identity_decomposerEEEEE10hipError_tT0_T1_T2_jT3_P12ihipStream_tbPNSt15iterator_traitsISG_E10value_typeEPNSM_ISH_E10value_typeEPSI_NS1_7vsmem_tEENKUlT_SG_SH_SI_E_clIS7_S7_SB_PlEESF_SV_SG_SH_SI_EUlSV_E0_NS1_11comp_targetILNS1_3genE2ELNS1_11target_archE906ELNS1_3gpuE6ELNS1_3repE0EEENS1_38merge_mergepath_config_static_selectorELNS0_4arch9wavefront6targetE1EEEvSH_
    .private_segment_fixed_size: 0
    .sgpr_count:     4
    .sgpr_spill_count: 0
    .symbol:         _ZN7rocprim17ROCPRIM_400000_NS6detail17trampoline_kernelINS0_14default_configENS1_38merge_sort_block_merge_config_selectorIilEEZZNS1_27merge_sort_block_merge_implIS3_PiN6thrust23THRUST_200600_302600_NS10device_ptrIlEEjNS1_19radix_merge_compareILb0ELb0EiNS0_19identity_decomposerEEEEE10hipError_tT0_T1_T2_jT3_P12ihipStream_tbPNSt15iterator_traitsISG_E10value_typeEPNSM_ISH_E10value_typeEPSI_NS1_7vsmem_tEENKUlT_SG_SH_SI_E_clIS7_S7_SB_PlEESF_SV_SG_SH_SI_EUlSV_E0_NS1_11comp_targetILNS1_3genE2ELNS1_11target_archE906ELNS1_3gpuE6ELNS1_3repE0EEENS1_38merge_mergepath_config_static_selectorELNS0_4arch9wavefront6targetE1EEEvSH_.kd
    .uniform_work_group_size: 1
    .uses_dynamic_stack: false
    .vgpr_count:     0
    .vgpr_spill_count: 0
    .wavefront_size: 64
  - .agpr_count:     0
    .args:
      - .offset:         0
        .size:           64
        .value_kind:     by_value
    .group_segment_fixed_size: 0
    .kernarg_segment_align: 8
    .kernarg_segment_size: 64
    .language:       OpenCL C
    .language_version:
      - 2
      - 0
    .max_flat_workgroup_size: 512
    .name:           _ZN7rocprim17ROCPRIM_400000_NS6detail17trampoline_kernelINS0_14default_configENS1_38merge_sort_block_merge_config_selectorIilEEZZNS1_27merge_sort_block_merge_implIS3_PiN6thrust23THRUST_200600_302600_NS10device_ptrIlEEjNS1_19radix_merge_compareILb0ELb0EiNS0_19identity_decomposerEEEEE10hipError_tT0_T1_T2_jT3_P12ihipStream_tbPNSt15iterator_traitsISG_E10value_typeEPNSM_ISH_E10value_typeEPSI_NS1_7vsmem_tEENKUlT_SG_SH_SI_E_clIS7_S7_SB_PlEESF_SV_SG_SH_SI_EUlSV_E0_NS1_11comp_targetILNS1_3genE9ELNS1_11target_archE1100ELNS1_3gpuE3ELNS1_3repE0EEENS1_38merge_mergepath_config_static_selectorELNS0_4arch9wavefront6targetE1EEEvSH_
    .private_segment_fixed_size: 0
    .sgpr_count:     4
    .sgpr_spill_count: 0
    .symbol:         _ZN7rocprim17ROCPRIM_400000_NS6detail17trampoline_kernelINS0_14default_configENS1_38merge_sort_block_merge_config_selectorIilEEZZNS1_27merge_sort_block_merge_implIS3_PiN6thrust23THRUST_200600_302600_NS10device_ptrIlEEjNS1_19radix_merge_compareILb0ELb0EiNS0_19identity_decomposerEEEEE10hipError_tT0_T1_T2_jT3_P12ihipStream_tbPNSt15iterator_traitsISG_E10value_typeEPNSM_ISH_E10value_typeEPSI_NS1_7vsmem_tEENKUlT_SG_SH_SI_E_clIS7_S7_SB_PlEESF_SV_SG_SH_SI_EUlSV_E0_NS1_11comp_targetILNS1_3genE9ELNS1_11target_archE1100ELNS1_3gpuE3ELNS1_3repE0EEENS1_38merge_mergepath_config_static_selectorELNS0_4arch9wavefront6targetE1EEEvSH_.kd
    .uniform_work_group_size: 1
    .uses_dynamic_stack: false
    .vgpr_count:     0
    .vgpr_spill_count: 0
    .wavefront_size: 64
  - .agpr_count:     0
    .args:
      - .offset:         0
        .size:           64
        .value_kind:     by_value
    .group_segment_fixed_size: 0
    .kernarg_segment_align: 8
    .kernarg_segment_size: 64
    .language:       OpenCL C
    .language_version:
      - 2
      - 0
    .max_flat_workgroup_size: 1024
    .name:           _ZN7rocprim17ROCPRIM_400000_NS6detail17trampoline_kernelINS0_14default_configENS1_38merge_sort_block_merge_config_selectorIilEEZZNS1_27merge_sort_block_merge_implIS3_PiN6thrust23THRUST_200600_302600_NS10device_ptrIlEEjNS1_19radix_merge_compareILb0ELb0EiNS0_19identity_decomposerEEEEE10hipError_tT0_T1_T2_jT3_P12ihipStream_tbPNSt15iterator_traitsISG_E10value_typeEPNSM_ISH_E10value_typeEPSI_NS1_7vsmem_tEENKUlT_SG_SH_SI_E_clIS7_S7_SB_PlEESF_SV_SG_SH_SI_EUlSV_E0_NS1_11comp_targetILNS1_3genE8ELNS1_11target_archE1030ELNS1_3gpuE2ELNS1_3repE0EEENS1_38merge_mergepath_config_static_selectorELNS0_4arch9wavefront6targetE1EEEvSH_
    .private_segment_fixed_size: 0
    .sgpr_count:     4
    .sgpr_spill_count: 0
    .symbol:         _ZN7rocprim17ROCPRIM_400000_NS6detail17trampoline_kernelINS0_14default_configENS1_38merge_sort_block_merge_config_selectorIilEEZZNS1_27merge_sort_block_merge_implIS3_PiN6thrust23THRUST_200600_302600_NS10device_ptrIlEEjNS1_19radix_merge_compareILb0ELb0EiNS0_19identity_decomposerEEEEE10hipError_tT0_T1_T2_jT3_P12ihipStream_tbPNSt15iterator_traitsISG_E10value_typeEPNSM_ISH_E10value_typeEPSI_NS1_7vsmem_tEENKUlT_SG_SH_SI_E_clIS7_S7_SB_PlEESF_SV_SG_SH_SI_EUlSV_E0_NS1_11comp_targetILNS1_3genE8ELNS1_11target_archE1030ELNS1_3gpuE2ELNS1_3repE0EEENS1_38merge_mergepath_config_static_selectorELNS0_4arch9wavefront6targetE1EEEvSH_.kd
    .uniform_work_group_size: 1
    .uses_dynamic_stack: false
    .vgpr_count:     0
    .vgpr_spill_count: 0
    .wavefront_size: 64
  - .agpr_count:     0
    .args:
      - .offset:         0
        .size:           48
        .value_kind:     by_value
    .group_segment_fixed_size: 0
    .kernarg_segment_align: 8
    .kernarg_segment_size: 48
    .language:       OpenCL C
    .language_version:
      - 2
      - 0
    .max_flat_workgroup_size: 256
    .name:           _ZN7rocprim17ROCPRIM_400000_NS6detail17trampoline_kernelINS0_14default_configENS1_38merge_sort_block_merge_config_selectorIilEEZZNS1_27merge_sort_block_merge_implIS3_PiN6thrust23THRUST_200600_302600_NS10device_ptrIlEEjNS1_19radix_merge_compareILb0ELb0EiNS0_19identity_decomposerEEEEE10hipError_tT0_T1_T2_jT3_P12ihipStream_tbPNSt15iterator_traitsISG_E10value_typeEPNSM_ISH_E10value_typeEPSI_NS1_7vsmem_tEENKUlT_SG_SH_SI_E_clIS7_S7_SB_PlEESF_SV_SG_SH_SI_EUlSV_E1_NS1_11comp_targetILNS1_3genE0ELNS1_11target_archE4294967295ELNS1_3gpuE0ELNS1_3repE0EEENS1_36merge_oddeven_config_static_selectorELNS0_4arch9wavefront6targetE1EEEvSH_
    .private_segment_fixed_size: 0
    .sgpr_count:     4
    .sgpr_spill_count: 0
    .symbol:         _ZN7rocprim17ROCPRIM_400000_NS6detail17trampoline_kernelINS0_14default_configENS1_38merge_sort_block_merge_config_selectorIilEEZZNS1_27merge_sort_block_merge_implIS3_PiN6thrust23THRUST_200600_302600_NS10device_ptrIlEEjNS1_19radix_merge_compareILb0ELb0EiNS0_19identity_decomposerEEEEE10hipError_tT0_T1_T2_jT3_P12ihipStream_tbPNSt15iterator_traitsISG_E10value_typeEPNSM_ISH_E10value_typeEPSI_NS1_7vsmem_tEENKUlT_SG_SH_SI_E_clIS7_S7_SB_PlEESF_SV_SG_SH_SI_EUlSV_E1_NS1_11comp_targetILNS1_3genE0ELNS1_11target_archE4294967295ELNS1_3gpuE0ELNS1_3repE0EEENS1_36merge_oddeven_config_static_selectorELNS0_4arch9wavefront6targetE1EEEvSH_.kd
    .uniform_work_group_size: 1
    .uses_dynamic_stack: false
    .vgpr_count:     0
    .vgpr_spill_count: 0
    .wavefront_size: 64
  - .agpr_count:     0
    .args:
      - .offset:         0
        .size:           48
        .value_kind:     by_value
    .group_segment_fixed_size: 0
    .kernarg_segment_align: 8
    .kernarg_segment_size: 48
    .language:       OpenCL C
    .language_version:
      - 2
      - 0
    .max_flat_workgroup_size: 256
    .name:           _ZN7rocprim17ROCPRIM_400000_NS6detail17trampoline_kernelINS0_14default_configENS1_38merge_sort_block_merge_config_selectorIilEEZZNS1_27merge_sort_block_merge_implIS3_PiN6thrust23THRUST_200600_302600_NS10device_ptrIlEEjNS1_19radix_merge_compareILb0ELb0EiNS0_19identity_decomposerEEEEE10hipError_tT0_T1_T2_jT3_P12ihipStream_tbPNSt15iterator_traitsISG_E10value_typeEPNSM_ISH_E10value_typeEPSI_NS1_7vsmem_tEENKUlT_SG_SH_SI_E_clIS7_S7_SB_PlEESF_SV_SG_SH_SI_EUlSV_E1_NS1_11comp_targetILNS1_3genE10ELNS1_11target_archE1201ELNS1_3gpuE5ELNS1_3repE0EEENS1_36merge_oddeven_config_static_selectorELNS0_4arch9wavefront6targetE1EEEvSH_
    .private_segment_fixed_size: 0
    .sgpr_count:     4
    .sgpr_spill_count: 0
    .symbol:         _ZN7rocprim17ROCPRIM_400000_NS6detail17trampoline_kernelINS0_14default_configENS1_38merge_sort_block_merge_config_selectorIilEEZZNS1_27merge_sort_block_merge_implIS3_PiN6thrust23THRUST_200600_302600_NS10device_ptrIlEEjNS1_19radix_merge_compareILb0ELb0EiNS0_19identity_decomposerEEEEE10hipError_tT0_T1_T2_jT3_P12ihipStream_tbPNSt15iterator_traitsISG_E10value_typeEPNSM_ISH_E10value_typeEPSI_NS1_7vsmem_tEENKUlT_SG_SH_SI_E_clIS7_S7_SB_PlEESF_SV_SG_SH_SI_EUlSV_E1_NS1_11comp_targetILNS1_3genE10ELNS1_11target_archE1201ELNS1_3gpuE5ELNS1_3repE0EEENS1_36merge_oddeven_config_static_selectorELNS0_4arch9wavefront6targetE1EEEvSH_.kd
    .uniform_work_group_size: 1
    .uses_dynamic_stack: false
    .vgpr_count:     0
    .vgpr_spill_count: 0
    .wavefront_size: 64
  - .agpr_count:     0
    .args:
      - .offset:         0
        .size:           48
        .value_kind:     by_value
    .group_segment_fixed_size: 0
    .kernarg_segment_align: 8
    .kernarg_segment_size: 48
    .language:       OpenCL C
    .language_version:
      - 2
      - 0
    .max_flat_workgroup_size: 256
    .name:           _ZN7rocprim17ROCPRIM_400000_NS6detail17trampoline_kernelINS0_14default_configENS1_38merge_sort_block_merge_config_selectorIilEEZZNS1_27merge_sort_block_merge_implIS3_PiN6thrust23THRUST_200600_302600_NS10device_ptrIlEEjNS1_19radix_merge_compareILb0ELb0EiNS0_19identity_decomposerEEEEE10hipError_tT0_T1_T2_jT3_P12ihipStream_tbPNSt15iterator_traitsISG_E10value_typeEPNSM_ISH_E10value_typeEPSI_NS1_7vsmem_tEENKUlT_SG_SH_SI_E_clIS7_S7_SB_PlEESF_SV_SG_SH_SI_EUlSV_E1_NS1_11comp_targetILNS1_3genE5ELNS1_11target_archE942ELNS1_3gpuE9ELNS1_3repE0EEENS1_36merge_oddeven_config_static_selectorELNS0_4arch9wavefront6targetE1EEEvSH_
    .private_segment_fixed_size: 0
    .sgpr_count:     4
    .sgpr_spill_count: 0
    .symbol:         _ZN7rocprim17ROCPRIM_400000_NS6detail17trampoline_kernelINS0_14default_configENS1_38merge_sort_block_merge_config_selectorIilEEZZNS1_27merge_sort_block_merge_implIS3_PiN6thrust23THRUST_200600_302600_NS10device_ptrIlEEjNS1_19radix_merge_compareILb0ELb0EiNS0_19identity_decomposerEEEEE10hipError_tT0_T1_T2_jT3_P12ihipStream_tbPNSt15iterator_traitsISG_E10value_typeEPNSM_ISH_E10value_typeEPSI_NS1_7vsmem_tEENKUlT_SG_SH_SI_E_clIS7_S7_SB_PlEESF_SV_SG_SH_SI_EUlSV_E1_NS1_11comp_targetILNS1_3genE5ELNS1_11target_archE942ELNS1_3gpuE9ELNS1_3repE0EEENS1_36merge_oddeven_config_static_selectorELNS0_4arch9wavefront6targetE1EEEvSH_.kd
    .uniform_work_group_size: 1
    .uses_dynamic_stack: false
    .vgpr_count:     0
    .vgpr_spill_count: 0
    .wavefront_size: 64
  - .agpr_count:     0
    .args:
      - .offset:         0
        .size:           48
        .value_kind:     by_value
    .group_segment_fixed_size: 0
    .kernarg_segment_align: 8
    .kernarg_segment_size: 48
    .language:       OpenCL C
    .language_version:
      - 2
      - 0
    .max_flat_workgroup_size: 256
    .name:           _ZN7rocprim17ROCPRIM_400000_NS6detail17trampoline_kernelINS0_14default_configENS1_38merge_sort_block_merge_config_selectorIilEEZZNS1_27merge_sort_block_merge_implIS3_PiN6thrust23THRUST_200600_302600_NS10device_ptrIlEEjNS1_19radix_merge_compareILb0ELb0EiNS0_19identity_decomposerEEEEE10hipError_tT0_T1_T2_jT3_P12ihipStream_tbPNSt15iterator_traitsISG_E10value_typeEPNSM_ISH_E10value_typeEPSI_NS1_7vsmem_tEENKUlT_SG_SH_SI_E_clIS7_S7_SB_PlEESF_SV_SG_SH_SI_EUlSV_E1_NS1_11comp_targetILNS1_3genE4ELNS1_11target_archE910ELNS1_3gpuE8ELNS1_3repE0EEENS1_36merge_oddeven_config_static_selectorELNS0_4arch9wavefront6targetE1EEEvSH_
    .private_segment_fixed_size: 0
    .sgpr_count:     28
    .sgpr_spill_count: 0
    .symbol:         _ZN7rocprim17ROCPRIM_400000_NS6detail17trampoline_kernelINS0_14default_configENS1_38merge_sort_block_merge_config_selectorIilEEZZNS1_27merge_sort_block_merge_implIS3_PiN6thrust23THRUST_200600_302600_NS10device_ptrIlEEjNS1_19radix_merge_compareILb0ELb0EiNS0_19identity_decomposerEEEEE10hipError_tT0_T1_T2_jT3_P12ihipStream_tbPNSt15iterator_traitsISG_E10value_typeEPNSM_ISH_E10value_typeEPSI_NS1_7vsmem_tEENKUlT_SG_SH_SI_E_clIS7_S7_SB_PlEESF_SV_SG_SH_SI_EUlSV_E1_NS1_11comp_targetILNS1_3genE4ELNS1_11target_archE910ELNS1_3gpuE8ELNS1_3repE0EEENS1_36merge_oddeven_config_static_selectorELNS0_4arch9wavefront6targetE1EEEvSH_.kd
    .uniform_work_group_size: 1
    .uses_dynamic_stack: false
    .vgpr_count:     12
    .vgpr_spill_count: 0
    .wavefront_size: 64
  - .agpr_count:     0
    .args:
      - .offset:         0
        .size:           48
        .value_kind:     by_value
    .group_segment_fixed_size: 0
    .kernarg_segment_align: 8
    .kernarg_segment_size: 48
    .language:       OpenCL C
    .language_version:
      - 2
      - 0
    .max_flat_workgroup_size: 256
    .name:           _ZN7rocprim17ROCPRIM_400000_NS6detail17trampoline_kernelINS0_14default_configENS1_38merge_sort_block_merge_config_selectorIilEEZZNS1_27merge_sort_block_merge_implIS3_PiN6thrust23THRUST_200600_302600_NS10device_ptrIlEEjNS1_19radix_merge_compareILb0ELb0EiNS0_19identity_decomposerEEEEE10hipError_tT0_T1_T2_jT3_P12ihipStream_tbPNSt15iterator_traitsISG_E10value_typeEPNSM_ISH_E10value_typeEPSI_NS1_7vsmem_tEENKUlT_SG_SH_SI_E_clIS7_S7_SB_PlEESF_SV_SG_SH_SI_EUlSV_E1_NS1_11comp_targetILNS1_3genE3ELNS1_11target_archE908ELNS1_3gpuE7ELNS1_3repE0EEENS1_36merge_oddeven_config_static_selectorELNS0_4arch9wavefront6targetE1EEEvSH_
    .private_segment_fixed_size: 0
    .sgpr_count:     4
    .sgpr_spill_count: 0
    .symbol:         _ZN7rocprim17ROCPRIM_400000_NS6detail17trampoline_kernelINS0_14default_configENS1_38merge_sort_block_merge_config_selectorIilEEZZNS1_27merge_sort_block_merge_implIS3_PiN6thrust23THRUST_200600_302600_NS10device_ptrIlEEjNS1_19radix_merge_compareILb0ELb0EiNS0_19identity_decomposerEEEEE10hipError_tT0_T1_T2_jT3_P12ihipStream_tbPNSt15iterator_traitsISG_E10value_typeEPNSM_ISH_E10value_typeEPSI_NS1_7vsmem_tEENKUlT_SG_SH_SI_E_clIS7_S7_SB_PlEESF_SV_SG_SH_SI_EUlSV_E1_NS1_11comp_targetILNS1_3genE3ELNS1_11target_archE908ELNS1_3gpuE7ELNS1_3repE0EEENS1_36merge_oddeven_config_static_selectorELNS0_4arch9wavefront6targetE1EEEvSH_.kd
    .uniform_work_group_size: 1
    .uses_dynamic_stack: false
    .vgpr_count:     0
    .vgpr_spill_count: 0
    .wavefront_size: 64
  - .agpr_count:     0
    .args:
      - .offset:         0
        .size:           48
        .value_kind:     by_value
    .group_segment_fixed_size: 0
    .kernarg_segment_align: 8
    .kernarg_segment_size: 48
    .language:       OpenCL C
    .language_version:
      - 2
      - 0
    .max_flat_workgroup_size: 256
    .name:           _ZN7rocprim17ROCPRIM_400000_NS6detail17trampoline_kernelINS0_14default_configENS1_38merge_sort_block_merge_config_selectorIilEEZZNS1_27merge_sort_block_merge_implIS3_PiN6thrust23THRUST_200600_302600_NS10device_ptrIlEEjNS1_19radix_merge_compareILb0ELb0EiNS0_19identity_decomposerEEEEE10hipError_tT0_T1_T2_jT3_P12ihipStream_tbPNSt15iterator_traitsISG_E10value_typeEPNSM_ISH_E10value_typeEPSI_NS1_7vsmem_tEENKUlT_SG_SH_SI_E_clIS7_S7_SB_PlEESF_SV_SG_SH_SI_EUlSV_E1_NS1_11comp_targetILNS1_3genE2ELNS1_11target_archE906ELNS1_3gpuE6ELNS1_3repE0EEENS1_36merge_oddeven_config_static_selectorELNS0_4arch9wavefront6targetE1EEEvSH_
    .private_segment_fixed_size: 0
    .sgpr_count:     4
    .sgpr_spill_count: 0
    .symbol:         _ZN7rocprim17ROCPRIM_400000_NS6detail17trampoline_kernelINS0_14default_configENS1_38merge_sort_block_merge_config_selectorIilEEZZNS1_27merge_sort_block_merge_implIS3_PiN6thrust23THRUST_200600_302600_NS10device_ptrIlEEjNS1_19radix_merge_compareILb0ELb0EiNS0_19identity_decomposerEEEEE10hipError_tT0_T1_T2_jT3_P12ihipStream_tbPNSt15iterator_traitsISG_E10value_typeEPNSM_ISH_E10value_typeEPSI_NS1_7vsmem_tEENKUlT_SG_SH_SI_E_clIS7_S7_SB_PlEESF_SV_SG_SH_SI_EUlSV_E1_NS1_11comp_targetILNS1_3genE2ELNS1_11target_archE906ELNS1_3gpuE6ELNS1_3repE0EEENS1_36merge_oddeven_config_static_selectorELNS0_4arch9wavefront6targetE1EEEvSH_.kd
    .uniform_work_group_size: 1
    .uses_dynamic_stack: false
    .vgpr_count:     0
    .vgpr_spill_count: 0
    .wavefront_size: 64
  - .agpr_count:     0
    .args:
      - .offset:         0
        .size:           48
        .value_kind:     by_value
    .group_segment_fixed_size: 0
    .kernarg_segment_align: 8
    .kernarg_segment_size: 48
    .language:       OpenCL C
    .language_version:
      - 2
      - 0
    .max_flat_workgroup_size: 256
    .name:           _ZN7rocprim17ROCPRIM_400000_NS6detail17trampoline_kernelINS0_14default_configENS1_38merge_sort_block_merge_config_selectorIilEEZZNS1_27merge_sort_block_merge_implIS3_PiN6thrust23THRUST_200600_302600_NS10device_ptrIlEEjNS1_19radix_merge_compareILb0ELb0EiNS0_19identity_decomposerEEEEE10hipError_tT0_T1_T2_jT3_P12ihipStream_tbPNSt15iterator_traitsISG_E10value_typeEPNSM_ISH_E10value_typeEPSI_NS1_7vsmem_tEENKUlT_SG_SH_SI_E_clIS7_S7_SB_PlEESF_SV_SG_SH_SI_EUlSV_E1_NS1_11comp_targetILNS1_3genE9ELNS1_11target_archE1100ELNS1_3gpuE3ELNS1_3repE0EEENS1_36merge_oddeven_config_static_selectorELNS0_4arch9wavefront6targetE1EEEvSH_
    .private_segment_fixed_size: 0
    .sgpr_count:     4
    .sgpr_spill_count: 0
    .symbol:         _ZN7rocprim17ROCPRIM_400000_NS6detail17trampoline_kernelINS0_14default_configENS1_38merge_sort_block_merge_config_selectorIilEEZZNS1_27merge_sort_block_merge_implIS3_PiN6thrust23THRUST_200600_302600_NS10device_ptrIlEEjNS1_19radix_merge_compareILb0ELb0EiNS0_19identity_decomposerEEEEE10hipError_tT0_T1_T2_jT3_P12ihipStream_tbPNSt15iterator_traitsISG_E10value_typeEPNSM_ISH_E10value_typeEPSI_NS1_7vsmem_tEENKUlT_SG_SH_SI_E_clIS7_S7_SB_PlEESF_SV_SG_SH_SI_EUlSV_E1_NS1_11comp_targetILNS1_3genE9ELNS1_11target_archE1100ELNS1_3gpuE3ELNS1_3repE0EEENS1_36merge_oddeven_config_static_selectorELNS0_4arch9wavefront6targetE1EEEvSH_.kd
    .uniform_work_group_size: 1
    .uses_dynamic_stack: false
    .vgpr_count:     0
    .vgpr_spill_count: 0
    .wavefront_size: 64
  - .agpr_count:     0
    .args:
      - .offset:         0
        .size:           48
        .value_kind:     by_value
    .group_segment_fixed_size: 0
    .kernarg_segment_align: 8
    .kernarg_segment_size: 48
    .language:       OpenCL C
    .language_version:
      - 2
      - 0
    .max_flat_workgroup_size: 256
    .name:           _ZN7rocprim17ROCPRIM_400000_NS6detail17trampoline_kernelINS0_14default_configENS1_38merge_sort_block_merge_config_selectorIilEEZZNS1_27merge_sort_block_merge_implIS3_PiN6thrust23THRUST_200600_302600_NS10device_ptrIlEEjNS1_19radix_merge_compareILb0ELb0EiNS0_19identity_decomposerEEEEE10hipError_tT0_T1_T2_jT3_P12ihipStream_tbPNSt15iterator_traitsISG_E10value_typeEPNSM_ISH_E10value_typeEPSI_NS1_7vsmem_tEENKUlT_SG_SH_SI_E_clIS7_S7_SB_PlEESF_SV_SG_SH_SI_EUlSV_E1_NS1_11comp_targetILNS1_3genE8ELNS1_11target_archE1030ELNS1_3gpuE2ELNS1_3repE0EEENS1_36merge_oddeven_config_static_selectorELNS0_4arch9wavefront6targetE1EEEvSH_
    .private_segment_fixed_size: 0
    .sgpr_count:     4
    .sgpr_spill_count: 0
    .symbol:         _ZN7rocprim17ROCPRIM_400000_NS6detail17trampoline_kernelINS0_14default_configENS1_38merge_sort_block_merge_config_selectorIilEEZZNS1_27merge_sort_block_merge_implIS3_PiN6thrust23THRUST_200600_302600_NS10device_ptrIlEEjNS1_19radix_merge_compareILb0ELb0EiNS0_19identity_decomposerEEEEE10hipError_tT0_T1_T2_jT3_P12ihipStream_tbPNSt15iterator_traitsISG_E10value_typeEPNSM_ISH_E10value_typeEPSI_NS1_7vsmem_tEENKUlT_SG_SH_SI_E_clIS7_S7_SB_PlEESF_SV_SG_SH_SI_EUlSV_E1_NS1_11comp_targetILNS1_3genE8ELNS1_11target_archE1030ELNS1_3gpuE2ELNS1_3repE0EEENS1_36merge_oddeven_config_static_selectorELNS0_4arch9wavefront6targetE1EEEvSH_.kd
    .uniform_work_group_size: 1
    .uses_dynamic_stack: false
    .vgpr_count:     0
    .vgpr_spill_count: 0
    .wavefront_size: 64
  - .agpr_count:     0
    .args:
      - .offset:         0
        .size:           40
        .value_kind:     by_value
    .group_segment_fixed_size: 0
    .kernarg_segment_align: 8
    .kernarg_segment_size: 40
    .language:       OpenCL C
    .language_version:
      - 2
      - 0
    .max_flat_workgroup_size: 128
    .name:           _ZN7rocprim17ROCPRIM_400000_NS6detail17trampoline_kernelINS0_14default_configENS1_25transform_config_selectorIiLb1EEEZNS1_14transform_implILb1ES3_S5_PiS7_NS0_8identityIiEEEE10hipError_tT2_T3_mT4_P12ihipStream_tbEUlT_E_NS1_11comp_targetILNS1_3genE0ELNS1_11target_archE4294967295ELNS1_3gpuE0ELNS1_3repE0EEENS1_30default_config_static_selectorELNS0_4arch9wavefront6targetE1EEEvT1_
    .private_segment_fixed_size: 0
    .sgpr_count:     4
    .sgpr_spill_count: 0
    .symbol:         _ZN7rocprim17ROCPRIM_400000_NS6detail17trampoline_kernelINS0_14default_configENS1_25transform_config_selectorIiLb1EEEZNS1_14transform_implILb1ES3_S5_PiS7_NS0_8identityIiEEEE10hipError_tT2_T3_mT4_P12ihipStream_tbEUlT_E_NS1_11comp_targetILNS1_3genE0ELNS1_11target_archE4294967295ELNS1_3gpuE0ELNS1_3repE0EEENS1_30default_config_static_selectorELNS0_4arch9wavefront6targetE1EEEvT1_.kd
    .uniform_work_group_size: 1
    .uses_dynamic_stack: false
    .vgpr_count:     0
    .vgpr_spill_count: 0
    .wavefront_size: 64
  - .agpr_count:     0
    .args:
      - .offset:         0
        .size:           40
        .value_kind:     by_value
    .group_segment_fixed_size: 0
    .kernarg_segment_align: 8
    .kernarg_segment_size: 40
    .language:       OpenCL C
    .language_version:
      - 2
      - 0
    .max_flat_workgroup_size: 1024
    .name:           _ZN7rocprim17ROCPRIM_400000_NS6detail17trampoline_kernelINS0_14default_configENS1_25transform_config_selectorIiLb1EEEZNS1_14transform_implILb1ES3_S5_PiS7_NS0_8identityIiEEEE10hipError_tT2_T3_mT4_P12ihipStream_tbEUlT_E_NS1_11comp_targetILNS1_3genE10ELNS1_11target_archE1201ELNS1_3gpuE5ELNS1_3repE0EEENS1_30default_config_static_selectorELNS0_4arch9wavefront6targetE1EEEvT1_
    .private_segment_fixed_size: 0
    .sgpr_count:     4
    .sgpr_spill_count: 0
    .symbol:         _ZN7rocprim17ROCPRIM_400000_NS6detail17trampoline_kernelINS0_14default_configENS1_25transform_config_selectorIiLb1EEEZNS1_14transform_implILb1ES3_S5_PiS7_NS0_8identityIiEEEE10hipError_tT2_T3_mT4_P12ihipStream_tbEUlT_E_NS1_11comp_targetILNS1_3genE10ELNS1_11target_archE1201ELNS1_3gpuE5ELNS1_3repE0EEENS1_30default_config_static_selectorELNS0_4arch9wavefront6targetE1EEEvT1_.kd
    .uniform_work_group_size: 1
    .uses_dynamic_stack: false
    .vgpr_count:     0
    .vgpr_spill_count: 0
    .wavefront_size: 64
  - .agpr_count:     0
    .args:
      - .offset:         0
        .size:           40
        .value_kind:     by_value
    .group_segment_fixed_size: 0
    .kernarg_segment_align: 8
    .kernarg_segment_size: 40
    .language:       OpenCL C
    .language_version:
      - 2
      - 0
    .max_flat_workgroup_size: 256
    .name:           _ZN7rocprim17ROCPRIM_400000_NS6detail17trampoline_kernelINS0_14default_configENS1_25transform_config_selectorIiLb1EEEZNS1_14transform_implILb1ES3_S5_PiS7_NS0_8identityIiEEEE10hipError_tT2_T3_mT4_P12ihipStream_tbEUlT_E_NS1_11comp_targetILNS1_3genE5ELNS1_11target_archE942ELNS1_3gpuE9ELNS1_3repE0EEENS1_30default_config_static_selectorELNS0_4arch9wavefront6targetE1EEEvT1_
    .private_segment_fixed_size: 0
    .sgpr_count:     4
    .sgpr_spill_count: 0
    .symbol:         _ZN7rocprim17ROCPRIM_400000_NS6detail17trampoline_kernelINS0_14default_configENS1_25transform_config_selectorIiLb1EEEZNS1_14transform_implILb1ES3_S5_PiS7_NS0_8identityIiEEEE10hipError_tT2_T3_mT4_P12ihipStream_tbEUlT_E_NS1_11comp_targetILNS1_3genE5ELNS1_11target_archE942ELNS1_3gpuE9ELNS1_3repE0EEENS1_30default_config_static_selectorELNS0_4arch9wavefront6targetE1EEEvT1_.kd
    .uniform_work_group_size: 1
    .uses_dynamic_stack: false
    .vgpr_count:     0
    .vgpr_spill_count: 0
    .wavefront_size: 64
  - .agpr_count:     0
    .args:
      - .offset:         0
        .size:           40
        .value_kind:     by_value
      - .offset:         40
        .size:           4
        .value_kind:     hidden_block_count_x
      - .offset:         44
        .size:           4
        .value_kind:     hidden_block_count_y
      - .offset:         48
        .size:           4
        .value_kind:     hidden_block_count_z
      - .offset:         52
        .size:           2
        .value_kind:     hidden_group_size_x
      - .offset:         54
        .size:           2
        .value_kind:     hidden_group_size_y
      - .offset:         56
        .size:           2
        .value_kind:     hidden_group_size_z
      - .offset:         58
        .size:           2
        .value_kind:     hidden_remainder_x
      - .offset:         60
        .size:           2
        .value_kind:     hidden_remainder_y
      - .offset:         62
        .size:           2
        .value_kind:     hidden_remainder_z
      - .offset:         80
        .size:           8
        .value_kind:     hidden_global_offset_x
      - .offset:         88
        .size:           8
        .value_kind:     hidden_global_offset_y
      - .offset:         96
        .size:           8
        .value_kind:     hidden_global_offset_z
      - .offset:         104
        .size:           2
        .value_kind:     hidden_grid_dims
    .group_segment_fixed_size: 0
    .kernarg_segment_align: 8
    .kernarg_segment_size: 296
    .language:       OpenCL C
    .language_version:
      - 2
      - 0
    .max_flat_workgroup_size: 1024
    .name:           _ZN7rocprim17ROCPRIM_400000_NS6detail17trampoline_kernelINS0_14default_configENS1_25transform_config_selectorIiLb1EEEZNS1_14transform_implILb1ES3_S5_PiS7_NS0_8identityIiEEEE10hipError_tT2_T3_mT4_P12ihipStream_tbEUlT_E_NS1_11comp_targetILNS1_3genE4ELNS1_11target_archE910ELNS1_3gpuE8ELNS1_3repE0EEENS1_30default_config_static_selectorELNS0_4arch9wavefront6targetE1EEEvT1_
    .private_segment_fixed_size: 0
    .sgpr_count:     20
    .sgpr_spill_count: 0
    .symbol:         _ZN7rocprim17ROCPRIM_400000_NS6detail17trampoline_kernelINS0_14default_configENS1_25transform_config_selectorIiLb1EEEZNS1_14transform_implILb1ES3_S5_PiS7_NS0_8identityIiEEEE10hipError_tT2_T3_mT4_P12ihipStream_tbEUlT_E_NS1_11comp_targetILNS1_3genE4ELNS1_11target_archE910ELNS1_3gpuE8ELNS1_3repE0EEENS1_30default_config_static_selectorELNS0_4arch9wavefront6targetE1EEEvT1_.kd
    .uniform_work_group_size: 1
    .uses_dynamic_stack: false
    .vgpr_count:     8
    .vgpr_spill_count: 0
    .wavefront_size: 64
  - .agpr_count:     0
    .args:
      - .offset:         0
        .size:           40
        .value_kind:     by_value
    .group_segment_fixed_size: 0
    .kernarg_segment_align: 8
    .kernarg_segment_size: 40
    .language:       OpenCL C
    .language_version:
      - 2
      - 0
    .max_flat_workgroup_size: 128
    .name:           _ZN7rocprim17ROCPRIM_400000_NS6detail17trampoline_kernelINS0_14default_configENS1_25transform_config_selectorIiLb1EEEZNS1_14transform_implILb1ES3_S5_PiS7_NS0_8identityIiEEEE10hipError_tT2_T3_mT4_P12ihipStream_tbEUlT_E_NS1_11comp_targetILNS1_3genE3ELNS1_11target_archE908ELNS1_3gpuE7ELNS1_3repE0EEENS1_30default_config_static_selectorELNS0_4arch9wavefront6targetE1EEEvT1_
    .private_segment_fixed_size: 0
    .sgpr_count:     4
    .sgpr_spill_count: 0
    .symbol:         _ZN7rocprim17ROCPRIM_400000_NS6detail17trampoline_kernelINS0_14default_configENS1_25transform_config_selectorIiLb1EEEZNS1_14transform_implILb1ES3_S5_PiS7_NS0_8identityIiEEEE10hipError_tT2_T3_mT4_P12ihipStream_tbEUlT_E_NS1_11comp_targetILNS1_3genE3ELNS1_11target_archE908ELNS1_3gpuE7ELNS1_3repE0EEENS1_30default_config_static_selectorELNS0_4arch9wavefront6targetE1EEEvT1_.kd
    .uniform_work_group_size: 1
    .uses_dynamic_stack: false
    .vgpr_count:     0
    .vgpr_spill_count: 0
    .wavefront_size: 64
  - .agpr_count:     0
    .args:
      - .offset:         0
        .size:           40
        .value_kind:     by_value
    .group_segment_fixed_size: 0
    .kernarg_segment_align: 8
    .kernarg_segment_size: 40
    .language:       OpenCL C
    .language_version:
      - 2
      - 0
    .max_flat_workgroup_size: 1024
    .name:           _ZN7rocprim17ROCPRIM_400000_NS6detail17trampoline_kernelINS0_14default_configENS1_25transform_config_selectorIiLb1EEEZNS1_14transform_implILb1ES3_S5_PiS7_NS0_8identityIiEEEE10hipError_tT2_T3_mT4_P12ihipStream_tbEUlT_E_NS1_11comp_targetILNS1_3genE2ELNS1_11target_archE906ELNS1_3gpuE6ELNS1_3repE0EEENS1_30default_config_static_selectorELNS0_4arch9wavefront6targetE1EEEvT1_
    .private_segment_fixed_size: 0
    .sgpr_count:     4
    .sgpr_spill_count: 0
    .symbol:         _ZN7rocprim17ROCPRIM_400000_NS6detail17trampoline_kernelINS0_14default_configENS1_25transform_config_selectorIiLb1EEEZNS1_14transform_implILb1ES3_S5_PiS7_NS0_8identityIiEEEE10hipError_tT2_T3_mT4_P12ihipStream_tbEUlT_E_NS1_11comp_targetILNS1_3genE2ELNS1_11target_archE906ELNS1_3gpuE6ELNS1_3repE0EEENS1_30default_config_static_selectorELNS0_4arch9wavefront6targetE1EEEvT1_.kd
    .uniform_work_group_size: 1
    .uses_dynamic_stack: false
    .vgpr_count:     0
    .vgpr_spill_count: 0
    .wavefront_size: 64
  - .agpr_count:     0
    .args:
      - .offset:         0
        .size:           40
        .value_kind:     by_value
    .group_segment_fixed_size: 0
    .kernarg_segment_align: 8
    .kernarg_segment_size: 40
    .language:       OpenCL C
    .language_version:
      - 2
      - 0
    .max_flat_workgroup_size: 1024
    .name:           _ZN7rocprim17ROCPRIM_400000_NS6detail17trampoline_kernelINS0_14default_configENS1_25transform_config_selectorIiLb1EEEZNS1_14transform_implILb1ES3_S5_PiS7_NS0_8identityIiEEEE10hipError_tT2_T3_mT4_P12ihipStream_tbEUlT_E_NS1_11comp_targetILNS1_3genE9ELNS1_11target_archE1100ELNS1_3gpuE3ELNS1_3repE0EEENS1_30default_config_static_selectorELNS0_4arch9wavefront6targetE1EEEvT1_
    .private_segment_fixed_size: 0
    .sgpr_count:     4
    .sgpr_spill_count: 0
    .symbol:         _ZN7rocprim17ROCPRIM_400000_NS6detail17trampoline_kernelINS0_14default_configENS1_25transform_config_selectorIiLb1EEEZNS1_14transform_implILb1ES3_S5_PiS7_NS0_8identityIiEEEE10hipError_tT2_T3_mT4_P12ihipStream_tbEUlT_E_NS1_11comp_targetILNS1_3genE9ELNS1_11target_archE1100ELNS1_3gpuE3ELNS1_3repE0EEENS1_30default_config_static_selectorELNS0_4arch9wavefront6targetE1EEEvT1_.kd
    .uniform_work_group_size: 1
    .uses_dynamic_stack: false
    .vgpr_count:     0
    .vgpr_spill_count: 0
    .wavefront_size: 64
  - .agpr_count:     0
    .args:
      - .offset:         0
        .size:           40
        .value_kind:     by_value
    .group_segment_fixed_size: 0
    .kernarg_segment_align: 8
    .kernarg_segment_size: 40
    .language:       OpenCL C
    .language_version:
      - 2
      - 0
    .max_flat_workgroup_size: 1024
    .name:           _ZN7rocprim17ROCPRIM_400000_NS6detail17trampoline_kernelINS0_14default_configENS1_25transform_config_selectorIiLb1EEEZNS1_14transform_implILb1ES3_S5_PiS7_NS0_8identityIiEEEE10hipError_tT2_T3_mT4_P12ihipStream_tbEUlT_E_NS1_11comp_targetILNS1_3genE8ELNS1_11target_archE1030ELNS1_3gpuE2ELNS1_3repE0EEENS1_30default_config_static_selectorELNS0_4arch9wavefront6targetE1EEEvT1_
    .private_segment_fixed_size: 0
    .sgpr_count:     4
    .sgpr_spill_count: 0
    .symbol:         _ZN7rocprim17ROCPRIM_400000_NS6detail17trampoline_kernelINS0_14default_configENS1_25transform_config_selectorIiLb1EEEZNS1_14transform_implILb1ES3_S5_PiS7_NS0_8identityIiEEEE10hipError_tT2_T3_mT4_P12ihipStream_tbEUlT_E_NS1_11comp_targetILNS1_3genE8ELNS1_11target_archE1030ELNS1_3gpuE2ELNS1_3repE0EEENS1_30default_config_static_selectorELNS0_4arch9wavefront6targetE1EEEvT1_.kd
    .uniform_work_group_size: 1
    .uses_dynamic_stack: false
    .vgpr_count:     0
    .vgpr_spill_count: 0
    .wavefront_size: 64
  - .agpr_count:     0
    .args:
      - .offset:         0
        .size:           40
        .value_kind:     by_value
    .group_segment_fixed_size: 0
    .kernarg_segment_align: 8
    .kernarg_segment_size: 40
    .language:       OpenCL C
    .language_version:
      - 2
      - 0
    .max_flat_workgroup_size: 128
    .name:           _ZN7rocprim17ROCPRIM_400000_NS6detail17trampoline_kernelINS0_14default_configENS1_38merge_sort_block_merge_config_selectorIilEEZZNS1_27merge_sort_block_merge_implIS3_PiN6thrust23THRUST_200600_302600_NS10device_ptrIlEEjNS1_19radix_merge_compareILb0ELb1EiNS0_19identity_decomposerEEEEE10hipError_tT0_T1_T2_jT3_P12ihipStream_tbPNSt15iterator_traitsISG_E10value_typeEPNSM_ISH_E10value_typeEPSI_NS1_7vsmem_tEENKUlT_SG_SH_SI_E_clIS7_S7_PlSB_EESF_SV_SG_SH_SI_EUlSV_E_NS1_11comp_targetILNS1_3genE0ELNS1_11target_archE4294967295ELNS1_3gpuE0ELNS1_3repE0EEENS1_48merge_mergepath_partition_config_static_selectorELNS0_4arch9wavefront6targetE1EEEvSH_
    .private_segment_fixed_size: 0
    .sgpr_count:     4
    .sgpr_spill_count: 0
    .symbol:         _ZN7rocprim17ROCPRIM_400000_NS6detail17trampoline_kernelINS0_14default_configENS1_38merge_sort_block_merge_config_selectorIilEEZZNS1_27merge_sort_block_merge_implIS3_PiN6thrust23THRUST_200600_302600_NS10device_ptrIlEEjNS1_19radix_merge_compareILb0ELb1EiNS0_19identity_decomposerEEEEE10hipError_tT0_T1_T2_jT3_P12ihipStream_tbPNSt15iterator_traitsISG_E10value_typeEPNSM_ISH_E10value_typeEPSI_NS1_7vsmem_tEENKUlT_SG_SH_SI_E_clIS7_S7_PlSB_EESF_SV_SG_SH_SI_EUlSV_E_NS1_11comp_targetILNS1_3genE0ELNS1_11target_archE4294967295ELNS1_3gpuE0ELNS1_3repE0EEENS1_48merge_mergepath_partition_config_static_selectorELNS0_4arch9wavefront6targetE1EEEvSH_.kd
    .uniform_work_group_size: 1
    .uses_dynamic_stack: false
    .vgpr_count:     0
    .vgpr_spill_count: 0
    .wavefront_size: 64
  - .agpr_count:     0
    .args:
      - .offset:         0
        .size:           40
        .value_kind:     by_value
    .group_segment_fixed_size: 0
    .kernarg_segment_align: 8
    .kernarg_segment_size: 40
    .language:       OpenCL C
    .language_version:
      - 2
      - 0
    .max_flat_workgroup_size: 128
    .name:           _ZN7rocprim17ROCPRIM_400000_NS6detail17trampoline_kernelINS0_14default_configENS1_38merge_sort_block_merge_config_selectorIilEEZZNS1_27merge_sort_block_merge_implIS3_PiN6thrust23THRUST_200600_302600_NS10device_ptrIlEEjNS1_19radix_merge_compareILb0ELb1EiNS0_19identity_decomposerEEEEE10hipError_tT0_T1_T2_jT3_P12ihipStream_tbPNSt15iterator_traitsISG_E10value_typeEPNSM_ISH_E10value_typeEPSI_NS1_7vsmem_tEENKUlT_SG_SH_SI_E_clIS7_S7_PlSB_EESF_SV_SG_SH_SI_EUlSV_E_NS1_11comp_targetILNS1_3genE10ELNS1_11target_archE1201ELNS1_3gpuE5ELNS1_3repE0EEENS1_48merge_mergepath_partition_config_static_selectorELNS0_4arch9wavefront6targetE1EEEvSH_
    .private_segment_fixed_size: 0
    .sgpr_count:     4
    .sgpr_spill_count: 0
    .symbol:         _ZN7rocprim17ROCPRIM_400000_NS6detail17trampoline_kernelINS0_14default_configENS1_38merge_sort_block_merge_config_selectorIilEEZZNS1_27merge_sort_block_merge_implIS3_PiN6thrust23THRUST_200600_302600_NS10device_ptrIlEEjNS1_19radix_merge_compareILb0ELb1EiNS0_19identity_decomposerEEEEE10hipError_tT0_T1_T2_jT3_P12ihipStream_tbPNSt15iterator_traitsISG_E10value_typeEPNSM_ISH_E10value_typeEPSI_NS1_7vsmem_tEENKUlT_SG_SH_SI_E_clIS7_S7_PlSB_EESF_SV_SG_SH_SI_EUlSV_E_NS1_11comp_targetILNS1_3genE10ELNS1_11target_archE1201ELNS1_3gpuE5ELNS1_3repE0EEENS1_48merge_mergepath_partition_config_static_selectorELNS0_4arch9wavefront6targetE1EEEvSH_.kd
    .uniform_work_group_size: 1
    .uses_dynamic_stack: false
    .vgpr_count:     0
    .vgpr_spill_count: 0
    .wavefront_size: 64
  - .agpr_count:     0
    .args:
      - .offset:         0
        .size:           40
        .value_kind:     by_value
    .group_segment_fixed_size: 0
    .kernarg_segment_align: 8
    .kernarg_segment_size: 40
    .language:       OpenCL C
    .language_version:
      - 2
      - 0
    .max_flat_workgroup_size: 128
    .name:           _ZN7rocprim17ROCPRIM_400000_NS6detail17trampoline_kernelINS0_14default_configENS1_38merge_sort_block_merge_config_selectorIilEEZZNS1_27merge_sort_block_merge_implIS3_PiN6thrust23THRUST_200600_302600_NS10device_ptrIlEEjNS1_19radix_merge_compareILb0ELb1EiNS0_19identity_decomposerEEEEE10hipError_tT0_T1_T2_jT3_P12ihipStream_tbPNSt15iterator_traitsISG_E10value_typeEPNSM_ISH_E10value_typeEPSI_NS1_7vsmem_tEENKUlT_SG_SH_SI_E_clIS7_S7_PlSB_EESF_SV_SG_SH_SI_EUlSV_E_NS1_11comp_targetILNS1_3genE5ELNS1_11target_archE942ELNS1_3gpuE9ELNS1_3repE0EEENS1_48merge_mergepath_partition_config_static_selectorELNS0_4arch9wavefront6targetE1EEEvSH_
    .private_segment_fixed_size: 0
    .sgpr_count:     4
    .sgpr_spill_count: 0
    .symbol:         _ZN7rocprim17ROCPRIM_400000_NS6detail17trampoline_kernelINS0_14default_configENS1_38merge_sort_block_merge_config_selectorIilEEZZNS1_27merge_sort_block_merge_implIS3_PiN6thrust23THRUST_200600_302600_NS10device_ptrIlEEjNS1_19radix_merge_compareILb0ELb1EiNS0_19identity_decomposerEEEEE10hipError_tT0_T1_T2_jT3_P12ihipStream_tbPNSt15iterator_traitsISG_E10value_typeEPNSM_ISH_E10value_typeEPSI_NS1_7vsmem_tEENKUlT_SG_SH_SI_E_clIS7_S7_PlSB_EESF_SV_SG_SH_SI_EUlSV_E_NS1_11comp_targetILNS1_3genE5ELNS1_11target_archE942ELNS1_3gpuE9ELNS1_3repE0EEENS1_48merge_mergepath_partition_config_static_selectorELNS0_4arch9wavefront6targetE1EEEvSH_.kd
    .uniform_work_group_size: 1
    .uses_dynamic_stack: false
    .vgpr_count:     0
    .vgpr_spill_count: 0
    .wavefront_size: 64
  - .agpr_count:     0
    .args:
      - .offset:         0
        .size:           40
        .value_kind:     by_value
    .group_segment_fixed_size: 0
    .kernarg_segment_align: 8
    .kernarg_segment_size: 40
    .language:       OpenCL C
    .language_version:
      - 2
      - 0
    .max_flat_workgroup_size: 128
    .name:           _ZN7rocprim17ROCPRIM_400000_NS6detail17trampoline_kernelINS0_14default_configENS1_38merge_sort_block_merge_config_selectorIilEEZZNS1_27merge_sort_block_merge_implIS3_PiN6thrust23THRUST_200600_302600_NS10device_ptrIlEEjNS1_19radix_merge_compareILb0ELb1EiNS0_19identity_decomposerEEEEE10hipError_tT0_T1_T2_jT3_P12ihipStream_tbPNSt15iterator_traitsISG_E10value_typeEPNSM_ISH_E10value_typeEPSI_NS1_7vsmem_tEENKUlT_SG_SH_SI_E_clIS7_S7_PlSB_EESF_SV_SG_SH_SI_EUlSV_E_NS1_11comp_targetILNS1_3genE4ELNS1_11target_archE910ELNS1_3gpuE8ELNS1_3repE0EEENS1_48merge_mergepath_partition_config_static_selectorELNS0_4arch9wavefront6targetE1EEEvSH_
    .private_segment_fixed_size: 0
    .sgpr_count:     14
    .sgpr_spill_count: 0
    .symbol:         _ZN7rocprim17ROCPRIM_400000_NS6detail17trampoline_kernelINS0_14default_configENS1_38merge_sort_block_merge_config_selectorIilEEZZNS1_27merge_sort_block_merge_implIS3_PiN6thrust23THRUST_200600_302600_NS10device_ptrIlEEjNS1_19radix_merge_compareILb0ELb1EiNS0_19identity_decomposerEEEEE10hipError_tT0_T1_T2_jT3_P12ihipStream_tbPNSt15iterator_traitsISG_E10value_typeEPNSM_ISH_E10value_typeEPSI_NS1_7vsmem_tEENKUlT_SG_SH_SI_E_clIS7_S7_PlSB_EESF_SV_SG_SH_SI_EUlSV_E_NS1_11comp_targetILNS1_3genE4ELNS1_11target_archE910ELNS1_3gpuE8ELNS1_3repE0EEENS1_48merge_mergepath_partition_config_static_selectorELNS0_4arch9wavefront6targetE1EEEvSH_.kd
    .uniform_work_group_size: 1
    .uses_dynamic_stack: false
    .vgpr_count:     17
    .vgpr_spill_count: 0
    .wavefront_size: 64
  - .agpr_count:     0
    .args:
      - .offset:         0
        .size:           40
        .value_kind:     by_value
    .group_segment_fixed_size: 0
    .kernarg_segment_align: 8
    .kernarg_segment_size: 40
    .language:       OpenCL C
    .language_version:
      - 2
      - 0
    .max_flat_workgroup_size: 128
    .name:           _ZN7rocprim17ROCPRIM_400000_NS6detail17trampoline_kernelINS0_14default_configENS1_38merge_sort_block_merge_config_selectorIilEEZZNS1_27merge_sort_block_merge_implIS3_PiN6thrust23THRUST_200600_302600_NS10device_ptrIlEEjNS1_19radix_merge_compareILb0ELb1EiNS0_19identity_decomposerEEEEE10hipError_tT0_T1_T2_jT3_P12ihipStream_tbPNSt15iterator_traitsISG_E10value_typeEPNSM_ISH_E10value_typeEPSI_NS1_7vsmem_tEENKUlT_SG_SH_SI_E_clIS7_S7_PlSB_EESF_SV_SG_SH_SI_EUlSV_E_NS1_11comp_targetILNS1_3genE3ELNS1_11target_archE908ELNS1_3gpuE7ELNS1_3repE0EEENS1_48merge_mergepath_partition_config_static_selectorELNS0_4arch9wavefront6targetE1EEEvSH_
    .private_segment_fixed_size: 0
    .sgpr_count:     4
    .sgpr_spill_count: 0
    .symbol:         _ZN7rocprim17ROCPRIM_400000_NS6detail17trampoline_kernelINS0_14default_configENS1_38merge_sort_block_merge_config_selectorIilEEZZNS1_27merge_sort_block_merge_implIS3_PiN6thrust23THRUST_200600_302600_NS10device_ptrIlEEjNS1_19radix_merge_compareILb0ELb1EiNS0_19identity_decomposerEEEEE10hipError_tT0_T1_T2_jT3_P12ihipStream_tbPNSt15iterator_traitsISG_E10value_typeEPNSM_ISH_E10value_typeEPSI_NS1_7vsmem_tEENKUlT_SG_SH_SI_E_clIS7_S7_PlSB_EESF_SV_SG_SH_SI_EUlSV_E_NS1_11comp_targetILNS1_3genE3ELNS1_11target_archE908ELNS1_3gpuE7ELNS1_3repE0EEENS1_48merge_mergepath_partition_config_static_selectorELNS0_4arch9wavefront6targetE1EEEvSH_.kd
    .uniform_work_group_size: 1
    .uses_dynamic_stack: false
    .vgpr_count:     0
    .vgpr_spill_count: 0
    .wavefront_size: 64
  - .agpr_count:     0
    .args:
      - .offset:         0
        .size:           40
        .value_kind:     by_value
    .group_segment_fixed_size: 0
    .kernarg_segment_align: 8
    .kernarg_segment_size: 40
    .language:       OpenCL C
    .language_version:
      - 2
      - 0
    .max_flat_workgroup_size: 128
    .name:           _ZN7rocprim17ROCPRIM_400000_NS6detail17trampoline_kernelINS0_14default_configENS1_38merge_sort_block_merge_config_selectorIilEEZZNS1_27merge_sort_block_merge_implIS3_PiN6thrust23THRUST_200600_302600_NS10device_ptrIlEEjNS1_19radix_merge_compareILb0ELb1EiNS0_19identity_decomposerEEEEE10hipError_tT0_T1_T2_jT3_P12ihipStream_tbPNSt15iterator_traitsISG_E10value_typeEPNSM_ISH_E10value_typeEPSI_NS1_7vsmem_tEENKUlT_SG_SH_SI_E_clIS7_S7_PlSB_EESF_SV_SG_SH_SI_EUlSV_E_NS1_11comp_targetILNS1_3genE2ELNS1_11target_archE906ELNS1_3gpuE6ELNS1_3repE0EEENS1_48merge_mergepath_partition_config_static_selectorELNS0_4arch9wavefront6targetE1EEEvSH_
    .private_segment_fixed_size: 0
    .sgpr_count:     4
    .sgpr_spill_count: 0
    .symbol:         _ZN7rocprim17ROCPRIM_400000_NS6detail17trampoline_kernelINS0_14default_configENS1_38merge_sort_block_merge_config_selectorIilEEZZNS1_27merge_sort_block_merge_implIS3_PiN6thrust23THRUST_200600_302600_NS10device_ptrIlEEjNS1_19radix_merge_compareILb0ELb1EiNS0_19identity_decomposerEEEEE10hipError_tT0_T1_T2_jT3_P12ihipStream_tbPNSt15iterator_traitsISG_E10value_typeEPNSM_ISH_E10value_typeEPSI_NS1_7vsmem_tEENKUlT_SG_SH_SI_E_clIS7_S7_PlSB_EESF_SV_SG_SH_SI_EUlSV_E_NS1_11comp_targetILNS1_3genE2ELNS1_11target_archE906ELNS1_3gpuE6ELNS1_3repE0EEENS1_48merge_mergepath_partition_config_static_selectorELNS0_4arch9wavefront6targetE1EEEvSH_.kd
    .uniform_work_group_size: 1
    .uses_dynamic_stack: false
    .vgpr_count:     0
    .vgpr_spill_count: 0
    .wavefront_size: 64
  - .agpr_count:     0
    .args:
      - .offset:         0
        .size:           40
        .value_kind:     by_value
    .group_segment_fixed_size: 0
    .kernarg_segment_align: 8
    .kernarg_segment_size: 40
    .language:       OpenCL C
    .language_version:
      - 2
      - 0
    .max_flat_workgroup_size: 128
    .name:           _ZN7rocprim17ROCPRIM_400000_NS6detail17trampoline_kernelINS0_14default_configENS1_38merge_sort_block_merge_config_selectorIilEEZZNS1_27merge_sort_block_merge_implIS3_PiN6thrust23THRUST_200600_302600_NS10device_ptrIlEEjNS1_19radix_merge_compareILb0ELb1EiNS0_19identity_decomposerEEEEE10hipError_tT0_T1_T2_jT3_P12ihipStream_tbPNSt15iterator_traitsISG_E10value_typeEPNSM_ISH_E10value_typeEPSI_NS1_7vsmem_tEENKUlT_SG_SH_SI_E_clIS7_S7_PlSB_EESF_SV_SG_SH_SI_EUlSV_E_NS1_11comp_targetILNS1_3genE9ELNS1_11target_archE1100ELNS1_3gpuE3ELNS1_3repE0EEENS1_48merge_mergepath_partition_config_static_selectorELNS0_4arch9wavefront6targetE1EEEvSH_
    .private_segment_fixed_size: 0
    .sgpr_count:     4
    .sgpr_spill_count: 0
    .symbol:         _ZN7rocprim17ROCPRIM_400000_NS6detail17trampoline_kernelINS0_14default_configENS1_38merge_sort_block_merge_config_selectorIilEEZZNS1_27merge_sort_block_merge_implIS3_PiN6thrust23THRUST_200600_302600_NS10device_ptrIlEEjNS1_19radix_merge_compareILb0ELb1EiNS0_19identity_decomposerEEEEE10hipError_tT0_T1_T2_jT3_P12ihipStream_tbPNSt15iterator_traitsISG_E10value_typeEPNSM_ISH_E10value_typeEPSI_NS1_7vsmem_tEENKUlT_SG_SH_SI_E_clIS7_S7_PlSB_EESF_SV_SG_SH_SI_EUlSV_E_NS1_11comp_targetILNS1_3genE9ELNS1_11target_archE1100ELNS1_3gpuE3ELNS1_3repE0EEENS1_48merge_mergepath_partition_config_static_selectorELNS0_4arch9wavefront6targetE1EEEvSH_.kd
    .uniform_work_group_size: 1
    .uses_dynamic_stack: false
    .vgpr_count:     0
    .vgpr_spill_count: 0
    .wavefront_size: 64
  - .agpr_count:     0
    .args:
      - .offset:         0
        .size:           40
        .value_kind:     by_value
    .group_segment_fixed_size: 0
    .kernarg_segment_align: 8
    .kernarg_segment_size: 40
    .language:       OpenCL C
    .language_version:
      - 2
      - 0
    .max_flat_workgroup_size: 128
    .name:           _ZN7rocprim17ROCPRIM_400000_NS6detail17trampoline_kernelINS0_14default_configENS1_38merge_sort_block_merge_config_selectorIilEEZZNS1_27merge_sort_block_merge_implIS3_PiN6thrust23THRUST_200600_302600_NS10device_ptrIlEEjNS1_19radix_merge_compareILb0ELb1EiNS0_19identity_decomposerEEEEE10hipError_tT0_T1_T2_jT3_P12ihipStream_tbPNSt15iterator_traitsISG_E10value_typeEPNSM_ISH_E10value_typeEPSI_NS1_7vsmem_tEENKUlT_SG_SH_SI_E_clIS7_S7_PlSB_EESF_SV_SG_SH_SI_EUlSV_E_NS1_11comp_targetILNS1_3genE8ELNS1_11target_archE1030ELNS1_3gpuE2ELNS1_3repE0EEENS1_48merge_mergepath_partition_config_static_selectorELNS0_4arch9wavefront6targetE1EEEvSH_
    .private_segment_fixed_size: 0
    .sgpr_count:     4
    .sgpr_spill_count: 0
    .symbol:         _ZN7rocprim17ROCPRIM_400000_NS6detail17trampoline_kernelINS0_14default_configENS1_38merge_sort_block_merge_config_selectorIilEEZZNS1_27merge_sort_block_merge_implIS3_PiN6thrust23THRUST_200600_302600_NS10device_ptrIlEEjNS1_19radix_merge_compareILb0ELb1EiNS0_19identity_decomposerEEEEE10hipError_tT0_T1_T2_jT3_P12ihipStream_tbPNSt15iterator_traitsISG_E10value_typeEPNSM_ISH_E10value_typeEPSI_NS1_7vsmem_tEENKUlT_SG_SH_SI_E_clIS7_S7_PlSB_EESF_SV_SG_SH_SI_EUlSV_E_NS1_11comp_targetILNS1_3genE8ELNS1_11target_archE1030ELNS1_3gpuE2ELNS1_3repE0EEENS1_48merge_mergepath_partition_config_static_selectorELNS0_4arch9wavefront6targetE1EEEvSH_.kd
    .uniform_work_group_size: 1
    .uses_dynamic_stack: false
    .vgpr_count:     0
    .vgpr_spill_count: 0
    .wavefront_size: 64
  - .agpr_count:     0
    .args:
      - .offset:         0
        .size:           64
        .value_kind:     by_value
    .group_segment_fixed_size: 0
    .kernarg_segment_align: 8
    .kernarg_segment_size: 64
    .language:       OpenCL C
    .language_version:
      - 2
      - 0
    .max_flat_workgroup_size: 512
    .name:           _ZN7rocprim17ROCPRIM_400000_NS6detail17trampoline_kernelINS0_14default_configENS1_38merge_sort_block_merge_config_selectorIilEEZZNS1_27merge_sort_block_merge_implIS3_PiN6thrust23THRUST_200600_302600_NS10device_ptrIlEEjNS1_19radix_merge_compareILb0ELb1EiNS0_19identity_decomposerEEEEE10hipError_tT0_T1_T2_jT3_P12ihipStream_tbPNSt15iterator_traitsISG_E10value_typeEPNSM_ISH_E10value_typeEPSI_NS1_7vsmem_tEENKUlT_SG_SH_SI_E_clIS7_S7_PlSB_EESF_SV_SG_SH_SI_EUlSV_E0_NS1_11comp_targetILNS1_3genE0ELNS1_11target_archE4294967295ELNS1_3gpuE0ELNS1_3repE0EEENS1_38merge_mergepath_config_static_selectorELNS0_4arch9wavefront6targetE1EEEvSH_
    .private_segment_fixed_size: 0
    .sgpr_count:     4
    .sgpr_spill_count: 0
    .symbol:         _ZN7rocprim17ROCPRIM_400000_NS6detail17trampoline_kernelINS0_14default_configENS1_38merge_sort_block_merge_config_selectorIilEEZZNS1_27merge_sort_block_merge_implIS3_PiN6thrust23THRUST_200600_302600_NS10device_ptrIlEEjNS1_19radix_merge_compareILb0ELb1EiNS0_19identity_decomposerEEEEE10hipError_tT0_T1_T2_jT3_P12ihipStream_tbPNSt15iterator_traitsISG_E10value_typeEPNSM_ISH_E10value_typeEPSI_NS1_7vsmem_tEENKUlT_SG_SH_SI_E_clIS7_S7_PlSB_EESF_SV_SG_SH_SI_EUlSV_E0_NS1_11comp_targetILNS1_3genE0ELNS1_11target_archE4294967295ELNS1_3gpuE0ELNS1_3repE0EEENS1_38merge_mergepath_config_static_selectorELNS0_4arch9wavefront6targetE1EEEvSH_.kd
    .uniform_work_group_size: 1
    .uses_dynamic_stack: false
    .vgpr_count:     0
    .vgpr_spill_count: 0
    .wavefront_size: 64
  - .agpr_count:     0
    .args:
      - .offset:         0
        .size:           64
        .value_kind:     by_value
    .group_segment_fixed_size: 0
    .kernarg_segment_align: 8
    .kernarg_segment_size: 64
    .language:       OpenCL C
    .language_version:
      - 2
      - 0
    .max_flat_workgroup_size: 512
    .name:           _ZN7rocprim17ROCPRIM_400000_NS6detail17trampoline_kernelINS0_14default_configENS1_38merge_sort_block_merge_config_selectorIilEEZZNS1_27merge_sort_block_merge_implIS3_PiN6thrust23THRUST_200600_302600_NS10device_ptrIlEEjNS1_19radix_merge_compareILb0ELb1EiNS0_19identity_decomposerEEEEE10hipError_tT0_T1_T2_jT3_P12ihipStream_tbPNSt15iterator_traitsISG_E10value_typeEPNSM_ISH_E10value_typeEPSI_NS1_7vsmem_tEENKUlT_SG_SH_SI_E_clIS7_S7_PlSB_EESF_SV_SG_SH_SI_EUlSV_E0_NS1_11comp_targetILNS1_3genE10ELNS1_11target_archE1201ELNS1_3gpuE5ELNS1_3repE0EEENS1_38merge_mergepath_config_static_selectorELNS0_4arch9wavefront6targetE1EEEvSH_
    .private_segment_fixed_size: 0
    .sgpr_count:     4
    .sgpr_spill_count: 0
    .symbol:         _ZN7rocprim17ROCPRIM_400000_NS6detail17trampoline_kernelINS0_14default_configENS1_38merge_sort_block_merge_config_selectorIilEEZZNS1_27merge_sort_block_merge_implIS3_PiN6thrust23THRUST_200600_302600_NS10device_ptrIlEEjNS1_19radix_merge_compareILb0ELb1EiNS0_19identity_decomposerEEEEE10hipError_tT0_T1_T2_jT3_P12ihipStream_tbPNSt15iterator_traitsISG_E10value_typeEPNSM_ISH_E10value_typeEPSI_NS1_7vsmem_tEENKUlT_SG_SH_SI_E_clIS7_S7_PlSB_EESF_SV_SG_SH_SI_EUlSV_E0_NS1_11comp_targetILNS1_3genE10ELNS1_11target_archE1201ELNS1_3gpuE5ELNS1_3repE0EEENS1_38merge_mergepath_config_static_selectorELNS0_4arch9wavefront6targetE1EEEvSH_.kd
    .uniform_work_group_size: 1
    .uses_dynamic_stack: false
    .vgpr_count:     0
    .vgpr_spill_count: 0
    .wavefront_size: 64
  - .agpr_count:     0
    .args:
      - .offset:         0
        .size:           64
        .value_kind:     by_value
    .group_segment_fixed_size: 0
    .kernarg_segment_align: 8
    .kernarg_segment_size: 64
    .language:       OpenCL C
    .language_version:
      - 2
      - 0
    .max_flat_workgroup_size: 256
    .name:           _ZN7rocprim17ROCPRIM_400000_NS6detail17trampoline_kernelINS0_14default_configENS1_38merge_sort_block_merge_config_selectorIilEEZZNS1_27merge_sort_block_merge_implIS3_PiN6thrust23THRUST_200600_302600_NS10device_ptrIlEEjNS1_19radix_merge_compareILb0ELb1EiNS0_19identity_decomposerEEEEE10hipError_tT0_T1_T2_jT3_P12ihipStream_tbPNSt15iterator_traitsISG_E10value_typeEPNSM_ISH_E10value_typeEPSI_NS1_7vsmem_tEENKUlT_SG_SH_SI_E_clIS7_S7_PlSB_EESF_SV_SG_SH_SI_EUlSV_E0_NS1_11comp_targetILNS1_3genE5ELNS1_11target_archE942ELNS1_3gpuE9ELNS1_3repE0EEENS1_38merge_mergepath_config_static_selectorELNS0_4arch9wavefront6targetE1EEEvSH_
    .private_segment_fixed_size: 0
    .sgpr_count:     4
    .sgpr_spill_count: 0
    .symbol:         _ZN7rocprim17ROCPRIM_400000_NS6detail17trampoline_kernelINS0_14default_configENS1_38merge_sort_block_merge_config_selectorIilEEZZNS1_27merge_sort_block_merge_implIS3_PiN6thrust23THRUST_200600_302600_NS10device_ptrIlEEjNS1_19radix_merge_compareILb0ELb1EiNS0_19identity_decomposerEEEEE10hipError_tT0_T1_T2_jT3_P12ihipStream_tbPNSt15iterator_traitsISG_E10value_typeEPNSM_ISH_E10value_typeEPSI_NS1_7vsmem_tEENKUlT_SG_SH_SI_E_clIS7_S7_PlSB_EESF_SV_SG_SH_SI_EUlSV_E0_NS1_11comp_targetILNS1_3genE5ELNS1_11target_archE942ELNS1_3gpuE9ELNS1_3repE0EEENS1_38merge_mergepath_config_static_selectorELNS0_4arch9wavefront6targetE1EEEvSH_.kd
    .uniform_work_group_size: 1
    .uses_dynamic_stack: false
    .vgpr_count:     0
    .vgpr_spill_count: 0
    .wavefront_size: 64
  - .agpr_count:     0
    .args:
      - .offset:         0
        .size:           64
        .value_kind:     by_value
      - .offset:         64
        .size:           4
        .value_kind:     hidden_block_count_x
      - .offset:         68
        .size:           4
        .value_kind:     hidden_block_count_y
      - .offset:         72
        .size:           4
        .value_kind:     hidden_block_count_z
      - .offset:         76
        .size:           2
        .value_kind:     hidden_group_size_x
      - .offset:         78
        .size:           2
        .value_kind:     hidden_group_size_y
      - .offset:         80
        .size:           2
        .value_kind:     hidden_group_size_z
      - .offset:         82
        .size:           2
        .value_kind:     hidden_remainder_x
      - .offset:         84
        .size:           2
        .value_kind:     hidden_remainder_y
      - .offset:         86
        .size:           2
        .value_kind:     hidden_remainder_z
      - .offset:         104
        .size:           8
        .value_kind:     hidden_global_offset_x
      - .offset:         112
        .size:           8
        .value_kind:     hidden_global_offset_y
      - .offset:         120
        .size:           8
        .value_kind:     hidden_global_offset_z
      - .offset:         128
        .size:           2
        .value_kind:     hidden_grid_dims
    .group_segment_fixed_size: 8448
    .kernarg_segment_align: 8
    .kernarg_segment_size: 320
    .language:       OpenCL C
    .language_version:
      - 2
      - 0
    .max_flat_workgroup_size: 256
    .name:           _ZN7rocprim17ROCPRIM_400000_NS6detail17trampoline_kernelINS0_14default_configENS1_38merge_sort_block_merge_config_selectorIilEEZZNS1_27merge_sort_block_merge_implIS3_PiN6thrust23THRUST_200600_302600_NS10device_ptrIlEEjNS1_19radix_merge_compareILb0ELb1EiNS0_19identity_decomposerEEEEE10hipError_tT0_T1_T2_jT3_P12ihipStream_tbPNSt15iterator_traitsISG_E10value_typeEPNSM_ISH_E10value_typeEPSI_NS1_7vsmem_tEENKUlT_SG_SH_SI_E_clIS7_S7_PlSB_EESF_SV_SG_SH_SI_EUlSV_E0_NS1_11comp_targetILNS1_3genE4ELNS1_11target_archE910ELNS1_3gpuE8ELNS1_3repE0EEENS1_38merge_mergepath_config_static_selectorELNS0_4arch9wavefront6targetE1EEEvSH_
    .private_segment_fixed_size: 0
    .sgpr_count:     36
    .sgpr_spill_count: 0
    .symbol:         _ZN7rocprim17ROCPRIM_400000_NS6detail17trampoline_kernelINS0_14default_configENS1_38merge_sort_block_merge_config_selectorIilEEZZNS1_27merge_sort_block_merge_implIS3_PiN6thrust23THRUST_200600_302600_NS10device_ptrIlEEjNS1_19radix_merge_compareILb0ELb1EiNS0_19identity_decomposerEEEEE10hipError_tT0_T1_T2_jT3_P12ihipStream_tbPNSt15iterator_traitsISG_E10value_typeEPNSM_ISH_E10value_typeEPSI_NS1_7vsmem_tEENKUlT_SG_SH_SI_E_clIS7_S7_PlSB_EESF_SV_SG_SH_SI_EUlSV_E0_NS1_11comp_targetILNS1_3genE4ELNS1_11target_archE910ELNS1_3gpuE8ELNS1_3repE0EEENS1_38merge_mergepath_config_static_selectorELNS0_4arch9wavefront6targetE1EEEvSH_.kd
    .uniform_work_group_size: 1
    .uses_dynamic_stack: false
    .vgpr_count:     35
    .vgpr_spill_count: 0
    .wavefront_size: 64
  - .agpr_count:     0
    .args:
      - .offset:         0
        .size:           64
        .value_kind:     by_value
    .group_segment_fixed_size: 0
    .kernarg_segment_align: 8
    .kernarg_segment_size: 64
    .language:       OpenCL C
    .language_version:
      - 2
      - 0
    .max_flat_workgroup_size: 512
    .name:           _ZN7rocprim17ROCPRIM_400000_NS6detail17trampoline_kernelINS0_14default_configENS1_38merge_sort_block_merge_config_selectorIilEEZZNS1_27merge_sort_block_merge_implIS3_PiN6thrust23THRUST_200600_302600_NS10device_ptrIlEEjNS1_19radix_merge_compareILb0ELb1EiNS0_19identity_decomposerEEEEE10hipError_tT0_T1_T2_jT3_P12ihipStream_tbPNSt15iterator_traitsISG_E10value_typeEPNSM_ISH_E10value_typeEPSI_NS1_7vsmem_tEENKUlT_SG_SH_SI_E_clIS7_S7_PlSB_EESF_SV_SG_SH_SI_EUlSV_E0_NS1_11comp_targetILNS1_3genE3ELNS1_11target_archE908ELNS1_3gpuE7ELNS1_3repE0EEENS1_38merge_mergepath_config_static_selectorELNS0_4arch9wavefront6targetE1EEEvSH_
    .private_segment_fixed_size: 0
    .sgpr_count:     4
    .sgpr_spill_count: 0
    .symbol:         _ZN7rocprim17ROCPRIM_400000_NS6detail17trampoline_kernelINS0_14default_configENS1_38merge_sort_block_merge_config_selectorIilEEZZNS1_27merge_sort_block_merge_implIS3_PiN6thrust23THRUST_200600_302600_NS10device_ptrIlEEjNS1_19radix_merge_compareILb0ELb1EiNS0_19identity_decomposerEEEEE10hipError_tT0_T1_T2_jT3_P12ihipStream_tbPNSt15iterator_traitsISG_E10value_typeEPNSM_ISH_E10value_typeEPSI_NS1_7vsmem_tEENKUlT_SG_SH_SI_E_clIS7_S7_PlSB_EESF_SV_SG_SH_SI_EUlSV_E0_NS1_11comp_targetILNS1_3genE3ELNS1_11target_archE908ELNS1_3gpuE7ELNS1_3repE0EEENS1_38merge_mergepath_config_static_selectorELNS0_4arch9wavefront6targetE1EEEvSH_.kd
    .uniform_work_group_size: 1
    .uses_dynamic_stack: false
    .vgpr_count:     0
    .vgpr_spill_count: 0
    .wavefront_size: 64
  - .agpr_count:     0
    .args:
      - .offset:         0
        .size:           64
        .value_kind:     by_value
    .group_segment_fixed_size: 0
    .kernarg_segment_align: 8
    .kernarg_segment_size: 64
    .language:       OpenCL C
    .language_version:
      - 2
      - 0
    .max_flat_workgroup_size: 256
    .name:           _ZN7rocprim17ROCPRIM_400000_NS6detail17trampoline_kernelINS0_14default_configENS1_38merge_sort_block_merge_config_selectorIilEEZZNS1_27merge_sort_block_merge_implIS3_PiN6thrust23THRUST_200600_302600_NS10device_ptrIlEEjNS1_19radix_merge_compareILb0ELb1EiNS0_19identity_decomposerEEEEE10hipError_tT0_T1_T2_jT3_P12ihipStream_tbPNSt15iterator_traitsISG_E10value_typeEPNSM_ISH_E10value_typeEPSI_NS1_7vsmem_tEENKUlT_SG_SH_SI_E_clIS7_S7_PlSB_EESF_SV_SG_SH_SI_EUlSV_E0_NS1_11comp_targetILNS1_3genE2ELNS1_11target_archE906ELNS1_3gpuE6ELNS1_3repE0EEENS1_38merge_mergepath_config_static_selectorELNS0_4arch9wavefront6targetE1EEEvSH_
    .private_segment_fixed_size: 0
    .sgpr_count:     4
    .sgpr_spill_count: 0
    .symbol:         _ZN7rocprim17ROCPRIM_400000_NS6detail17trampoline_kernelINS0_14default_configENS1_38merge_sort_block_merge_config_selectorIilEEZZNS1_27merge_sort_block_merge_implIS3_PiN6thrust23THRUST_200600_302600_NS10device_ptrIlEEjNS1_19radix_merge_compareILb0ELb1EiNS0_19identity_decomposerEEEEE10hipError_tT0_T1_T2_jT3_P12ihipStream_tbPNSt15iterator_traitsISG_E10value_typeEPNSM_ISH_E10value_typeEPSI_NS1_7vsmem_tEENKUlT_SG_SH_SI_E_clIS7_S7_PlSB_EESF_SV_SG_SH_SI_EUlSV_E0_NS1_11comp_targetILNS1_3genE2ELNS1_11target_archE906ELNS1_3gpuE6ELNS1_3repE0EEENS1_38merge_mergepath_config_static_selectorELNS0_4arch9wavefront6targetE1EEEvSH_.kd
    .uniform_work_group_size: 1
    .uses_dynamic_stack: false
    .vgpr_count:     0
    .vgpr_spill_count: 0
    .wavefront_size: 64
  - .agpr_count:     0
    .args:
      - .offset:         0
        .size:           64
        .value_kind:     by_value
    .group_segment_fixed_size: 0
    .kernarg_segment_align: 8
    .kernarg_segment_size: 64
    .language:       OpenCL C
    .language_version:
      - 2
      - 0
    .max_flat_workgroup_size: 512
    .name:           _ZN7rocprim17ROCPRIM_400000_NS6detail17trampoline_kernelINS0_14default_configENS1_38merge_sort_block_merge_config_selectorIilEEZZNS1_27merge_sort_block_merge_implIS3_PiN6thrust23THRUST_200600_302600_NS10device_ptrIlEEjNS1_19radix_merge_compareILb0ELb1EiNS0_19identity_decomposerEEEEE10hipError_tT0_T1_T2_jT3_P12ihipStream_tbPNSt15iterator_traitsISG_E10value_typeEPNSM_ISH_E10value_typeEPSI_NS1_7vsmem_tEENKUlT_SG_SH_SI_E_clIS7_S7_PlSB_EESF_SV_SG_SH_SI_EUlSV_E0_NS1_11comp_targetILNS1_3genE9ELNS1_11target_archE1100ELNS1_3gpuE3ELNS1_3repE0EEENS1_38merge_mergepath_config_static_selectorELNS0_4arch9wavefront6targetE1EEEvSH_
    .private_segment_fixed_size: 0
    .sgpr_count:     4
    .sgpr_spill_count: 0
    .symbol:         _ZN7rocprim17ROCPRIM_400000_NS6detail17trampoline_kernelINS0_14default_configENS1_38merge_sort_block_merge_config_selectorIilEEZZNS1_27merge_sort_block_merge_implIS3_PiN6thrust23THRUST_200600_302600_NS10device_ptrIlEEjNS1_19radix_merge_compareILb0ELb1EiNS0_19identity_decomposerEEEEE10hipError_tT0_T1_T2_jT3_P12ihipStream_tbPNSt15iterator_traitsISG_E10value_typeEPNSM_ISH_E10value_typeEPSI_NS1_7vsmem_tEENKUlT_SG_SH_SI_E_clIS7_S7_PlSB_EESF_SV_SG_SH_SI_EUlSV_E0_NS1_11comp_targetILNS1_3genE9ELNS1_11target_archE1100ELNS1_3gpuE3ELNS1_3repE0EEENS1_38merge_mergepath_config_static_selectorELNS0_4arch9wavefront6targetE1EEEvSH_.kd
    .uniform_work_group_size: 1
    .uses_dynamic_stack: false
    .vgpr_count:     0
    .vgpr_spill_count: 0
    .wavefront_size: 64
  - .agpr_count:     0
    .args:
      - .offset:         0
        .size:           64
        .value_kind:     by_value
    .group_segment_fixed_size: 0
    .kernarg_segment_align: 8
    .kernarg_segment_size: 64
    .language:       OpenCL C
    .language_version:
      - 2
      - 0
    .max_flat_workgroup_size: 1024
    .name:           _ZN7rocprim17ROCPRIM_400000_NS6detail17trampoline_kernelINS0_14default_configENS1_38merge_sort_block_merge_config_selectorIilEEZZNS1_27merge_sort_block_merge_implIS3_PiN6thrust23THRUST_200600_302600_NS10device_ptrIlEEjNS1_19radix_merge_compareILb0ELb1EiNS0_19identity_decomposerEEEEE10hipError_tT0_T1_T2_jT3_P12ihipStream_tbPNSt15iterator_traitsISG_E10value_typeEPNSM_ISH_E10value_typeEPSI_NS1_7vsmem_tEENKUlT_SG_SH_SI_E_clIS7_S7_PlSB_EESF_SV_SG_SH_SI_EUlSV_E0_NS1_11comp_targetILNS1_3genE8ELNS1_11target_archE1030ELNS1_3gpuE2ELNS1_3repE0EEENS1_38merge_mergepath_config_static_selectorELNS0_4arch9wavefront6targetE1EEEvSH_
    .private_segment_fixed_size: 0
    .sgpr_count:     4
    .sgpr_spill_count: 0
    .symbol:         _ZN7rocprim17ROCPRIM_400000_NS6detail17trampoline_kernelINS0_14default_configENS1_38merge_sort_block_merge_config_selectorIilEEZZNS1_27merge_sort_block_merge_implIS3_PiN6thrust23THRUST_200600_302600_NS10device_ptrIlEEjNS1_19radix_merge_compareILb0ELb1EiNS0_19identity_decomposerEEEEE10hipError_tT0_T1_T2_jT3_P12ihipStream_tbPNSt15iterator_traitsISG_E10value_typeEPNSM_ISH_E10value_typeEPSI_NS1_7vsmem_tEENKUlT_SG_SH_SI_E_clIS7_S7_PlSB_EESF_SV_SG_SH_SI_EUlSV_E0_NS1_11comp_targetILNS1_3genE8ELNS1_11target_archE1030ELNS1_3gpuE2ELNS1_3repE0EEENS1_38merge_mergepath_config_static_selectorELNS0_4arch9wavefront6targetE1EEEvSH_.kd
    .uniform_work_group_size: 1
    .uses_dynamic_stack: false
    .vgpr_count:     0
    .vgpr_spill_count: 0
    .wavefront_size: 64
  - .agpr_count:     0
    .args:
      - .offset:         0
        .size:           48
        .value_kind:     by_value
    .group_segment_fixed_size: 0
    .kernarg_segment_align: 8
    .kernarg_segment_size: 48
    .language:       OpenCL C
    .language_version:
      - 2
      - 0
    .max_flat_workgroup_size: 256
    .name:           _ZN7rocprim17ROCPRIM_400000_NS6detail17trampoline_kernelINS0_14default_configENS1_38merge_sort_block_merge_config_selectorIilEEZZNS1_27merge_sort_block_merge_implIS3_PiN6thrust23THRUST_200600_302600_NS10device_ptrIlEEjNS1_19radix_merge_compareILb0ELb1EiNS0_19identity_decomposerEEEEE10hipError_tT0_T1_T2_jT3_P12ihipStream_tbPNSt15iterator_traitsISG_E10value_typeEPNSM_ISH_E10value_typeEPSI_NS1_7vsmem_tEENKUlT_SG_SH_SI_E_clIS7_S7_PlSB_EESF_SV_SG_SH_SI_EUlSV_E1_NS1_11comp_targetILNS1_3genE0ELNS1_11target_archE4294967295ELNS1_3gpuE0ELNS1_3repE0EEENS1_36merge_oddeven_config_static_selectorELNS0_4arch9wavefront6targetE1EEEvSH_
    .private_segment_fixed_size: 0
    .sgpr_count:     4
    .sgpr_spill_count: 0
    .symbol:         _ZN7rocprim17ROCPRIM_400000_NS6detail17trampoline_kernelINS0_14default_configENS1_38merge_sort_block_merge_config_selectorIilEEZZNS1_27merge_sort_block_merge_implIS3_PiN6thrust23THRUST_200600_302600_NS10device_ptrIlEEjNS1_19radix_merge_compareILb0ELb1EiNS0_19identity_decomposerEEEEE10hipError_tT0_T1_T2_jT3_P12ihipStream_tbPNSt15iterator_traitsISG_E10value_typeEPNSM_ISH_E10value_typeEPSI_NS1_7vsmem_tEENKUlT_SG_SH_SI_E_clIS7_S7_PlSB_EESF_SV_SG_SH_SI_EUlSV_E1_NS1_11comp_targetILNS1_3genE0ELNS1_11target_archE4294967295ELNS1_3gpuE0ELNS1_3repE0EEENS1_36merge_oddeven_config_static_selectorELNS0_4arch9wavefront6targetE1EEEvSH_.kd
    .uniform_work_group_size: 1
    .uses_dynamic_stack: false
    .vgpr_count:     0
    .vgpr_spill_count: 0
    .wavefront_size: 64
  - .agpr_count:     0
    .args:
      - .offset:         0
        .size:           48
        .value_kind:     by_value
    .group_segment_fixed_size: 0
    .kernarg_segment_align: 8
    .kernarg_segment_size: 48
    .language:       OpenCL C
    .language_version:
      - 2
      - 0
    .max_flat_workgroup_size: 256
    .name:           _ZN7rocprim17ROCPRIM_400000_NS6detail17trampoline_kernelINS0_14default_configENS1_38merge_sort_block_merge_config_selectorIilEEZZNS1_27merge_sort_block_merge_implIS3_PiN6thrust23THRUST_200600_302600_NS10device_ptrIlEEjNS1_19radix_merge_compareILb0ELb1EiNS0_19identity_decomposerEEEEE10hipError_tT0_T1_T2_jT3_P12ihipStream_tbPNSt15iterator_traitsISG_E10value_typeEPNSM_ISH_E10value_typeEPSI_NS1_7vsmem_tEENKUlT_SG_SH_SI_E_clIS7_S7_PlSB_EESF_SV_SG_SH_SI_EUlSV_E1_NS1_11comp_targetILNS1_3genE10ELNS1_11target_archE1201ELNS1_3gpuE5ELNS1_3repE0EEENS1_36merge_oddeven_config_static_selectorELNS0_4arch9wavefront6targetE1EEEvSH_
    .private_segment_fixed_size: 0
    .sgpr_count:     4
    .sgpr_spill_count: 0
    .symbol:         _ZN7rocprim17ROCPRIM_400000_NS6detail17trampoline_kernelINS0_14default_configENS1_38merge_sort_block_merge_config_selectorIilEEZZNS1_27merge_sort_block_merge_implIS3_PiN6thrust23THRUST_200600_302600_NS10device_ptrIlEEjNS1_19radix_merge_compareILb0ELb1EiNS0_19identity_decomposerEEEEE10hipError_tT0_T1_T2_jT3_P12ihipStream_tbPNSt15iterator_traitsISG_E10value_typeEPNSM_ISH_E10value_typeEPSI_NS1_7vsmem_tEENKUlT_SG_SH_SI_E_clIS7_S7_PlSB_EESF_SV_SG_SH_SI_EUlSV_E1_NS1_11comp_targetILNS1_3genE10ELNS1_11target_archE1201ELNS1_3gpuE5ELNS1_3repE0EEENS1_36merge_oddeven_config_static_selectorELNS0_4arch9wavefront6targetE1EEEvSH_.kd
    .uniform_work_group_size: 1
    .uses_dynamic_stack: false
    .vgpr_count:     0
    .vgpr_spill_count: 0
    .wavefront_size: 64
  - .agpr_count:     0
    .args:
      - .offset:         0
        .size:           48
        .value_kind:     by_value
    .group_segment_fixed_size: 0
    .kernarg_segment_align: 8
    .kernarg_segment_size: 48
    .language:       OpenCL C
    .language_version:
      - 2
      - 0
    .max_flat_workgroup_size: 256
    .name:           _ZN7rocprim17ROCPRIM_400000_NS6detail17trampoline_kernelINS0_14default_configENS1_38merge_sort_block_merge_config_selectorIilEEZZNS1_27merge_sort_block_merge_implIS3_PiN6thrust23THRUST_200600_302600_NS10device_ptrIlEEjNS1_19radix_merge_compareILb0ELb1EiNS0_19identity_decomposerEEEEE10hipError_tT0_T1_T2_jT3_P12ihipStream_tbPNSt15iterator_traitsISG_E10value_typeEPNSM_ISH_E10value_typeEPSI_NS1_7vsmem_tEENKUlT_SG_SH_SI_E_clIS7_S7_PlSB_EESF_SV_SG_SH_SI_EUlSV_E1_NS1_11comp_targetILNS1_3genE5ELNS1_11target_archE942ELNS1_3gpuE9ELNS1_3repE0EEENS1_36merge_oddeven_config_static_selectorELNS0_4arch9wavefront6targetE1EEEvSH_
    .private_segment_fixed_size: 0
    .sgpr_count:     4
    .sgpr_spill_count: 0
    .symbol:         _ZN7rocprim17ROCPRIM_400000_NS6detail17trampoline_kernelINS0_14default_configENS1_38merge_sort_block_merge_config_selectorIilEEZZNS1_27merge_sort_block_merge_implIS3_PiN6thrust23THRUST_200600_302600_NS10device_ptrIlEEjNS1_19radix_merge_compareILb0ELb1EiNS0_19identity_decomposerEEEEE10hipError_tT0_T1_T2_jT3_P12ihipStream_tbPNSt15iterator_traitsISG_E10value_typeEPNSM_ISH_E10value_typeEPSI_NS1_7vsmem_tEENKUlT_SG_SH_SI_E_clIS7_S7_PlSB_EESF_SV_SG_SH_SI_EUlSV_E1_NS1_11comp_targetILNS1_3genE5ELNS1_11target_archE942ELNS1_3gpuE9ELNS1_3repE0EEENS1_36merge_oddeven_config_static_selectorELNS0_4arch9wavefront6targetE1EEEvSH_.kd
    .uniform_work_group_size: 1
    .uses_dynamic_stack: false
    .vgpr_count:     0
    .vgpr_spill_count: 0
    .wavefront_size: 64
  - .agpr_count:     0
    .args:
      - .offset:         0
        .size:           48
        .value_kind:     by_value
    .group_segment_fixed_size: 0
    .kernarg_segment_align: 8
    .kernarg_segment_size: 48
    .language:       OpenCL C
    .language_version:
      - 2
      - 0
    .max_flat_workgroup_size: 256
    .name:           _ZN7rocprim17ROCPRIM_400000_NS6detail17trampoline_kernelINS0_14default_configENS1_38merge_sort_block_merge_config_selectorIilEEZZNS1_27merge_sort_block_merge_implIS3_PiN6thrust23THRUST_200600_302600_NS10device_ptrIlEEjNS1_19radix_merge_compareILb0ELb1EiNS0_19identity_decomposerEEEEE10hipError_tT0_T1_T2_jT3_P12ihipStream_tbPNSt15iterator_traitsISG_E10value_typeEPNSM_ISH_E10value_typeEPSI_NS1_7vsmem_tEENKUlT_SG_SH_SI_E_clIS7_S7_PlSB_EESF_SV_SG_SH_SI_EUlSV_E1_NS1_11comp_targetILNS1_3genE4ELNS1_11target_archE910ELNS1_3gpuE8ELNS1_3repE0EEENS1_36merge_oddeven_config_static_selectorELNS0_4arch9wavefront6targetE1EEEvSH_
    .private_segment_fixed_size: 0
    .sgpr_count:     28
    .sgpr_spill_count: 0
    .symbol:         _ZN7rocprim17ROCPRIM_400000_NS6detail17trampoline_kernelINS0_14default_configENS1_38merge_sort_block_merge_config_selectorIilEEZZNS1_27merge_sort_block_merge_implIS3_PiN6thrust23THRUST_200600_302600_NS10device_ptrIlEEjNS1_19radix_merge_compareILb0ELb1EiNS0_19identity_decomposerEEEEE10hipError_tT0_T1_T2_jT3_P12ihipStream_tbPNSt15iterator_traitsISG_E10value_typeEPNSM_ISH_E10value_typeEPSI_NS1_7vsmem_tEENKUlT_SG_SH_SI_E_clIS7_S7_PlSB_EESF_SV_SG_SH_SI_EUlSV_E1_NS1_11comp_targetILNS1_3genE4ELNS1_11target_archE910ELNS1_3gpuE8ELNS1_3repE0EEENS1_36merge_oddeven_config_static_selectorELNS0_4arch9wavefront6targetE1EEEvSH_.kd
    .uniform_work_group_size: 1
    .uses_dynamic_stack: false
    .vgpr_count:     13
    .vgpr_spill_count: 0
    .wavefront_size: 64
  - .agpr_count:     0
    .args:
      - .offset:         0
        .size:           48
        .value_kind:     by_value
    .group_segment_fixed_size: 0
    .kernarg_segment_align: 8
    .kernarg_segment_size: 48
    .language:       OpenCL C
    .language_version:
      - 2
      - 0
    .max_flat_workgroup_size: 256
    .name:           _ZN7rocprim17ROCPRIM_400000_NS6detail17trampoline_kernelINS0_14default_configENS1_38merge_sort_block_merge_config_selectorIilEEZZNS1_27merge_sort_block_merge_implIS3_PiN6thrust23THRUST_200600_302600_NS10device_ptrIlEEjNS1_19radix_merge_compareILb0ELb1EiNS0_19identity_decomposerEEEEE10hipError_tT0_T1_T2_jT3_P12ihipStream_tbPNSt15iterator_traitsISG_E10value_typeEPNSM_ISH_E10value_typeEPSI_NS1_7vsmem_tEENKUlT_SG_SH_SI_E_clIS7_S7_PlSB_EESF_SV_SG_SH_SI_EUlSV_E1_NS1_11comp_targetILNS1_3genE3ELNS1_11target_archE908ELNS1_3gpuE7ELNS1_3repE0EEENS1_36merge_oddeven_config_static_selectorELNS0_4arch9wavefront6targetE1EEEvSH_
    .private_segment_fixed_size: 0
    .sgpr_count:     4
    .sgpr_spill_count: 0
    .symbol:         _ZN7rocprim17ROCPRIM_400000_NS6detail17trampoline_kernelINS0_14default_configENS1_38merge_sort_block_merge_config_selectorIilEEZZNS1_27merge_sort_block_merge_implIS3_PiN6thrust23THRUST_200600_302600_NS10device_ptrIlEEjNS1_19radix_merge_compareILb0ELb1EiNS0_19identity_decomposerEEEEE10hipError_tT0_T1_T2_jT3_P12ihipStream_tbPNSt15iterator_traitsISG_E10value_typeEPNSM_ISH_E10value_typeEPSI_NS1_7vsmem_tEENKUlT_SG_SH_SI_E_clIS7_S7_PlSB_EESF_SV_SG_SH_SI_EUlSV_E1_NS1_11comp_targetILNS1_3genE3ELNS1_11target_archE908ELNS1_3gpuE7ELNS1_3repE0EEENS1_36merge_oddeven_config_static_selectorELNS0_4arch9wavefront6targetE1EEEvSH_.kd
    .uniform_work_group_size: 1
    .uses_dynamic_stack: false
    .vgpr_count:     0
    .vgpr_spill_count: 0
    .wavefront_size: 64
  - .agpr_count:     0
    .args:
      - .offset:         0
        .size:           48
        .value_kind:     by_value
    .group_segment_fixed_size: 0
    .kernarg_segment_align: 8
    .kernarg_segment_size: 48
    .language:       OpenCL C
    .language_version:
      - 2
      - 0
    .max_flat_workgroup_size: 256
    .name:           _ZN7rocprim17ROCPRIM_400000_NS6detail17trampoline_kernelINS0_14default_configENS1_38merge_sort_block_merge_config_selectorIilEEZZNS1_27merge_sort_block_merge_implIS3_PiN6thrust23THRUST_200600_302600_NS10device_ptrIlEEjNS1_19radix_merge_compareILb0ELb1EiNS0_19identity_decomposerEEEEE10hipError_tT0_T1_T2_jT3_P12ihipStream_tbPNSt15iterator_traitsISG_E10value_typeEPNSM_ISH_E10value_typeEPSI_NS1_7vsmem_tEENKUlT_SG_SH_SI_E_clIS7_S7_PlSB_EESF_SV_SG_SH_SI_EUlSV_E1_NS1_11comp_targetILNS1_3genE2ELNS1_11target_archE906ELNS1_3gpuE6ELNS1_3repE0EEENS1_36merge_oddeven_config_static_selectorELNS0_4arch9wavefront6targetE1EEEvSH_
    .private_segment_fixed_size: 0
    .sgpr_count:     4
    .sgpr_spill_count: 0
    .symbol:         _ZN7rocprim17ROCPRIM_400000_NS6detail17trampoline_kernelINS0_14default_configENS1_38merge_sort_block_merge_config_selectorIilEEZZNS1_27merge_sort_block_merge_implIS3_PiN6thrust23THRUST_200600_302600_NS10device_ptrIlEEjNS1_19radix_merge_compareILb0ELb1EiNS0_19identity_decomposerEEEEE10hipError_tT0_T1_T2_jT3_P12ihipStream_tbPNSt15iterator_traitsISG_E10value_typeEPNSM_ISH_E10value_typeEPSI_NS1_7vsmem_tEENKUlT_SG_SH_SI_E_clIS7_S7_PlSB_EESF_SV_SG_SH_SI_EUlSV_E1_NS1_11comp_targetILNS1_3genE2ELNS1_11target_archE906ELNS1_3gpuE6ELNS1_3repE0EEENS1_36merge_oddeven_config_static_selectorELNS0_4arch9wavefront6targetE1EEEvSH_.kd
    .uniform_work_group_size: 1
    .uses_dynamic_stack: false
    .vgpr_count:     0
    .vgpr_spill_count: 0
    .wavefront_size: 64
  - .agpr_count:     0
    .args:
      - .offset:         0
        .size:           48
        .value_kind:     by_value
    .group_segment_fixed_size: 0
    .kernarg_segment_align: 8
    .kernarg_segment_size: 48
    .language:       OpenCL C
    .language_version:
      - 2
      - 0
    .max_flat_workgroup_size: 256
    .name:           _ZN7rocprim17ROCPRIM_400000_NS6detail17trampoline_kernelINS0_14default_configENS1_38merge_sort_block_merge_config_selectorIilEEZZNS1_27merge_sort_block_merge_implIS3_PiN6thrust23THRUST_200600_302600_NS10device_ptrIlEEjNS1_19radix_merge_compareILb0ELb1EiNS0_19identity_decomposerEEEEE10hipError_tT0_T1_T2_jT3_P12ihipStream_tbPNSt15iterator_traitsISG_E10value_typeEPNSM_ISH_E10value_typeEPSI_NS1_7vsmem_tEENKUlT_SG_SH_SI_E_clIS7_S7_PlSB_EESF_SV_SG_SH_SI_EUlSV_E1_NS1_11comp_targetILNS1_3genE9ELNS1_11target_archE1100ELNS1_3gpuE3ELNS1_3repE0EEENS1_36merge_oddeven_config_static_selectorELNS0_4arch9wavefront6targetE1EEEvSH_
    .private_segment_fixed_size: 0
    .sgpr_count:     4
    .sgpr_spill_count: 0
    .symbol:         _ZN7rocprim17ROCPRIM_400000_NS6detail17trampoline_kernelINS0_14default_configENS1_38merge_sort_block_merge_config_selectorIilEEZZNS1_27merge_sort_block_merge_implIS3_PiN6thrust23THRUST_200600_302600_NS10device_ptrIlEEjNS1_19radix_merge_compareILb0ELb1EiNS0_19identity_decomposerEEEEE10hipError_tT0_T1_T2_jT3_P12ihipStream_tbPNSt15iterator_traitsISG_E10value_typeEPNSM_ISH_E10value_typeEPSI_NS1_7vsmem_tEENKUlT_SG_SH_SI_E_clIS7_S7_PlSB_EESF_SV_SG_SH_SI_EUlSV_E1_NS1_11comp_targetILNS1_3genE9ELNS1_11target_archE1100ELNS1_3gpuE3ELNS1_3repE0EEENS1_36merge_oddeven_config_static_selectorELNS0_4arch9wavefront6targetE1EEEvSH_.kd
    .uniform_work_group_size: 1
    .uses_dynamic_stack: false
    .vgpr_count:     0
    .vgpr_spill_count: 0
    .wavefront_size: 64
  - .agpr_count:     0
    .args:
      - .offset:         0
        .size:           48
        .value_kind:     by_value
    .group_segment_fixed_size: 0
    .kernarg_segment_align: 8
    .kernarg_segment_size: 48
    .language:       OpenCL C
    .language_version:
      - 2
      - 0
    .max_flat_workgroup_size: 256
    .name:           _ZN7rocprim17ROCPRIM_400000_NS6detail17trampoline_kernelINS0_14default_configENS1_38merge_sort_block_merge_config_selectorIilEEZZNS1_27merge_sort_block_merge_implIS3_PiN6thrust23THRUST_200600_302600_NS10device_ptrIlEEjNS1_19radix_merge_compareILb0ELb1EiNS0_19identity_decomposerEEEEE10hipError_tT0_T1_T2_jT3_P12ihipStream_tbPNSt15iterator_traitsISG_E10value_typeEPNSM_ISH_E10value_typeEPSI_NS1_7vsmem_tEENKUlT_SG_SH_SI_E_clIS7_S7_PlSB_EESF_SV_SG_SH_SI_EUlSV_E1_NS1_11comp_targetILNS1_3genE8ELNS1_11target_archE1030ELNS1_3gpuE2ELNS1_3repE0EEENS1_36merge_oddeven_config_static_selectorELNS0_4arch9wavefront6targetE1EEEvSH_
    .private_segment_fixed_size: 0
    .sgpr_count:     4
    .sgpr_spill_count: 0
    .symbol:         _ZN7rocprim17ROCPRIM_400000_NS6detail17trampoline_kernelINS0_14default_configENS1_38merge_sort_block_merge_config_selectorIilEEZZNS1_27merge_sort_block_merge_implIS3_PiN6thrust23THRUST_200600_302600_NS10device_ptrIlEEjNS1_19radix_merge_compareILb0ELb1EiNS0_19identity_decomposerEEEEE10hipError_tT0_T1_T2_jT3_P12ihipStream_tbPNSt15iterator_traitsISG_E10value_typeEPNSM_ISH_E10value_typeEPSI_NS1_7vsmem_tEENKUlT_SG_SH_SI_E_clIS7_S7_PlSB_EESF_SV_SG_SH_SI_EUlSV_E1_NS1_11comp_targetILNS1_3genE8ELNS1_11target_archE1030ELNS1_3gpuE2ELNS1_3repE0EEENS1_36merge_oddeven_config_static_selectorELNS0_4arch9wavefront6targetE1EEEvSH_.kd
    .uniform_work_group_size: 1
    .uses_dynamic_stack: false
    .vgpr_count:     0
    .vgpr_spill_count: 0
    .wavefront_size: 64
  - .agpr_count:     0
    .args:
      - .offset:         0
        .size:           40
        .value_kind:     by_value
    .group_segment_fixed_size: 0
    .kernarg_segment_align: 8
    .kernarg_segment_size: 40
    .language:       OpenCL C
    .language_version:
      - 2
      - 0
    .max_flat_workgroup_size: 128
    .name:           _ZN7rocprim17ROCPRIM_400000_NS6detail17trampoline_kernelINS0_14default_configENS1_38merge_sort_block_merge_config_selectorIilEEZZNS1_27merge_sort_block_merge_implIS3_PiN6thrust23THRUST_200600_302600_NS10device_ptrIlEEjNS1_19radix_merge_compareILb0ELb1EiNS0_19identity_decomposerEEEEE10hipError_tT0_T1_T2_jT3_P12ihipStream_tbPNSt15iterator_traitsISG_E10value_typeEPNSM_ISH_E10value_typeEPSI_NS1_7vsmem_tEENKUlT_SG_SH_SI_E_clIS7_S7_SB_PlEESF_SV_SG_SH_SI_EUlSV_E_NS1_11comp_targetILNS1_3genE0ELNS1_11target_archE4294967295ELNS1_3gpuE0ELNS1_3repE0EEENS1_48merge_mergepath_partition_config_static_selectorELNS0_4arch9wavefront6targetE1EEEvSH_
    .private_segment_fixed_size: 0
    .sgpr_count:     4
    .sgpr_spill_count: 0
    .symbol:         _ZN7rocprim17ROCPRIM_400000_NS6detail17trampoline_kernelINS0_14default_configENS1_38merge_sort_block_merge_config_selectorIilEEZZNS1_27merge_sort_block_merge_implIS3_PiN6thrust23THRUST_200600_302600_NS10device_ptrIlEEjNS1_19radix_merge_compareILb0ELb1EiNS0_19identity_decomposerEEEEE10hipError_tT0_T1_T2_jT3_P12ihipStream_tbPNSt15iterator_traitsISG_E10value_typeEPNSM_ISH_E10value_typeEPSI_NS1_7vsmem_tEENKUlT_SG_SH_SI_E_clIS7_S7_SB_PlEESF_SV_SG_SH_SI_EUlSV_E_NS1_11comp_targetILNS1_3genE0ELNS1_11target_archE4294967295ELNS1_3gpuE0ELNS1_3repE0EEENS1_48merge_mergepath_partition_config_static_selectorELNS0_4arch9wavefront6targetE1EEEvSH_.kd
    .uniform_work_group_size: 1
    .uses_dynamic_stack: false
    .vgpr_count:     0
    .vgpr_spill_count: 0
    .wavefront_size: 64
  - .agpr_count:     0
    .args:
      - .offset:         0
        .size:           40
        .value_kind:     by_value
    .group_segment_fixed_size: 0
    .kernarg_segment_align: 8
    .kernarg_segment_size: 40
    .language:       OpenCL C
    .language_version:
      - 2
      - 0
    .max_flat_workgroup_size: 128
    .name:           _ZN7rocprim17ROCPRIM_400000_NS6detail17trampoline_kernelINS0_14default_configENS1_38merge_sort_block_merge_config_selectorIilEEZZNS1_27merge_sort_block_merge_implIS3_PiN6thrust23THRUST_200600_302600_NS10device_ptrIlEEjNS1_19radix_merge_compareILb0ELb1EiNS0_19identity_decomposerEEEEE10hipError_tT0_T1_T2_jT3_P12ihipStream_tbPNSt15iterator_traitsISG_E10value_typeEPNSM_ISH_E10value_typeEPSI_NS1_7vsmem_tEENKUlT_SG_SH_SI_E_clIS7_S7_SB_PlEESF_SV_SG_SH_SI_EUlSV_E_NS1_11comp_targetILNS1_3genE10ELNS1_11target_archE1201ELNS1_3gpuE5ELNS1_3repE0EEENS1_48merge_mergepath_partition_config_static_selectorELNS0_4arch9wavefront6targetE1EEEvSH_
    .private_segment_fixed_size: 0
    .sgpr_count:     4
    .sgpr_spill_count: 0
    .symbol:         _ZN7rocprim17ROCPRIM_400000_NS6detail17trampoline_kernelINS0_14default_configENS1_38merge_sort_block_merge_config_selectorIilEEZZNS1_27merge_sort_block_merge_implIS3_PiN6thrust23THRUST_200600_302600_NS10device_ptrIlEEjNS1_19radix_merge_compareILb0ELb1EiNS0_19identity_decomposerEEEEE10hipError_tT0_T1_T2_jT3_P12ihipStream_tbPNSt15iterator_traitsISG_E10value_typeEPNSM_ISH_E10value_typeEPSI_NS1_7vsmem_tEENKUlT_SG_SH_SI_E_clIS7_S7_SB_PlEESF_SV_SG_SH_SI_EUlSV_E_NS1_11comp_targetILNS1_3genE10ELNS1_11target_archE1201ELNS1_3gpuE5ELNS1_3repE0EEENS1_48merge_mergepath_partition_config_static_selectorELNS0_4arch9wavefront6targetE1EEEvSH_.kd
    .uniform_work_group_size: 1
    .uses_dynamic_stack: false
    .vgpr_count:     0
    .vgpr_spill_count: 0
    .wavefront_size: 64
  - .agpr_count:     0
    .args:
      - .offset:         0
        .size:           40
        .value_kind:     by_value
    .group_segment_fixed_size: 0
    .kernarg_segment_align: 8
    .kernarg_segment_size: 40
    .language:       OpenCL C
    .language_version:
      - 2
      - 0
    .max_flat_workgroup_size: 128
    .name:           _ZN7rocprim17ROCPRIM_400000_NS6detail17trampoline_kernelINS0_14default_configENS1_38merge_sort_block_merge_config_selectorIilEEZZNS1_27merge_sort_block_merge_implIS3_PiN6thrust23THRUST_200600_302600_NS10device_ptrIlEEjNS1_19radix_merge_compareILb0ELb1EiNS0_19identity_decomposerEEEEE10hipError_tT0_T1_T2_jT3_P12ihipStream_tbPNSt15iterator_traitsISG_E10value_typeEPNSM_ISH_E10value_typeEPSI_NS1_7vsmem_tEENKUlT_SG_SH_SI_E_clIS7_S7_SB_PlEESF_SV_SG_SH_SI_EUlSV_E_NS1_11comp_targetILNS1_3genE5ELNS1_11target_archE942ELNS1_3gpuE9ELNS1_3repE0EEENS1_48merge_mergepath_partition_config_static_selectorELNS0_4arch9wavefront6targetE1EEEvSH_
    .private_segment_fixed_size: 0
    .sgpr_count:     4
    .sgpr_spill_count: 0
    .symbol:         _ZN7rocprim17ROCPRIM_400000_NS6detail17trampoline_kernelINS0_14default_configENS1_38merge_sort_block_merge_config_selectorIilEEZZNS1_27merge_sort_block_merge_implIS3_PiN6thrust23THRUST_200600_302600_NS10device_ptrIlEEjNS1_19radix_merge_compareILb0ELb1EiNS0_19identity_decomposerEEEEE10hipError_tT0_T1_T2_jT3_P12ihipStream_tbPNSt15iterator_traitsISG_E10value_typeEPNSM_ISH_E10value_typeEPSI_NS1_7vsmem_tEENKUlT_SG_SH_SI_E_clIS7_S7_SB_PlEESF_SV_SG_SH_SI_EUlSV_E_NS1_11comp_targetILNS1_3genE5ELNS1_11target_archE942ELNS1_3gpuE9ELNS1_3repE0EEENS1_48merge_mergepath_partition_config_static_selectorELNS0_4arch9wavefront6targetE1EEEvSH_.kd
    .uniform_work_group_size: 1
    .uses_dynamic_stack: false
    .vgpr_count:     0
    .vgpr_spill_count: 0
    .wavefront_size: 64
  - .agpr_count:     0
    .args:
      - .offset:         0
        .size:           40
        .value_kind:     by_value
    .group_segment_fixed_size: 0
    .kernarg_segment_align: 8
    .kernarg_segment_size: 40
    .language:       OpenCL C
    .language_version:
      - 2
      - 0
    .max_flat_workgroup_size: 128
    .name:           _ZN7rocprim17ROCPRIM_400000_NS6detail17trampoline_kernelINS0_14default_configENS1_38merge_sort_block_merge_config_selectorIilEEZZNS1_27merge_sort_block_merge_implIS3_PiN6thrust23THRUST_200600_302600_NS10device_ptrIlEEjNS1_19radix_merge_compareILb0ELb1EiNS0_19identity_decomposerEEEEE10hipError_tT0_T1_T2_jT3_P12ihipStream_tbPNSt15iterator_traitsISG_E10value_typeEPNSM_ISH_E10value_typeEPSI_NS1_7vsmem_tEENKUlT_SG_SH_SI_E_clIS7_S7_SB_PlEESF_SV_SG_SH_SI_EUlSV_E_NS1_11comp_targetILNS1_3genE4ELNS1_11target_archE910ELNS1_3gpuE8ELNS1_3repE0EEENS1_48merge_mergepath_partition_config_static_selectorELNS0_4arch9wavefront6targetE1EEEvSH_
    .private_segment_fixed_size: 0
    .sgpr_count:     14
    .sgpr_spill_count: 0
    .symbol:         _ZN7rocprim17ROCPRIM_400000_NS6detail17trampoline_kernelINS0_14default_configENS1_38merge_sort_block_merge_config_selectorIilEEZZNS1_27merge_sort_block_merge_implIS3_PiN6thrust23THRUST_200600_302600_NS10device_ptrIlEEjNS1_19radix_merge_compareILb0ELb1EiNS0_19identity_decomposerEEEEE10hipError_tT0_T1_T2_jT3_P12ihipStream_tbPNSt15iterator_traitsISG_E10value_typeEPNSM_ISH_E10value_typeEPSI_NS1_7vsmem_tEENKUlT_SG_SH_SI_E_clIS7_S7_SB_PlEESF_SV_SG_SH_SI_EUlSV_E_NS1_11comp_targetILNS1_3genE4ELNS1_11target_archE910ELNS1_3gpuE8ELNS1_3repE0EEENS1_48merge_mergepath_partition_config_static_selectorELNS0_4arch9wavefront6targetE1EEEvSH_.kd
    .uniform_work_group_size: 1
    .uses_dynamic_stack: false
    .vgpr_count:     17
    .vgpr_spill_count: 0
    .wavefront_size: 64
  - .agpr_count:     0
    .args:
      - .offset:         0
        .size:           40
        .value_kind:     by_value
    .group_segment_fixed_size: 0
    .kernarg_segment_align: 8
    .kernarg_segment_size: 40
    .language:       OpenCL C
    .language_version:
      - 2
      - 0
    .max_flat_workgroup_size: 128
    .name:           _ZN7rocprim17ROCPRIM_400000_NS6detail17trampoline_kernelINS0_14default_configENS1_38merge_sort_block_merge_config_selectorIilEEZZNS1_27merge_sort_block_merge_implIS3_PiN6thrust23THRUST_200600_302600_NS10device_ptrIlEEjNS1_19radix_merge_compareILb0ELb1EiNS0_19identity_decomposerEEEEE10hipError_tT0_T1_T2_jT3_P12ihipStream_tbPNSt15iterator_traitsISG_E10value_typeEPNSM_ISH_E10value_typeEPSI_NS1_7vsmem_tEENKUlT_SG_SH_SI_E_clIS7_S7_SB_PlEESF_SV_SG_SH_SI_EUlSV_E_NS1_11comp_targetILNS1_3genE3ELNS1_11target_archE908ELNS1_3gpuE7ELNS1_3repE0EEENS1_48merge_mergepath_partition_config_static_selectorELNS0_4arch9wavefront6targetE1EEEvSH_
    .private_segment_fixed_size: 0
    .sgpr_count:     4
    .sgpr_spill_count: 0
    .symbol:         _ZN7rocprim17ROCPRIM_400000_NS6detail17trampoline_kernelINS0_14default_configENS1_38merge_sort_block_merge_config_selectorIilEEZZNS1_27merge_sort_block_merge_implIS3_PiN6thrust23THRUST_200600_302600_NS10device_ptrIlEEjNS1_19radix_merge_compareILb0ELb1EiNS0_19identity_decomposerEEEEE10hipError_tT0_T1_T2_jT3_P12ihipStream_tbPNSt15iterator_traitsISG_E10value_typeEPNSM_ISH_E10value_typeEPSI_NS1_7vsmem_tEENKUlT_SG_SH_SI_E_clIS7_S7_SB_PlEESF_SV_SG_SH_SI_EUlSV_E_NS1_11comp_targetILNS1_3genE3ELNS1_11target_archE908ELNS1_3gpuE7ELNS1_3repE0EEENS1_48merge_mergepath_partition_config_static_selectorELNS0_4arch9wavefront6targetE1EEEvSH_.kd
    .uniform_work_group_size: 1
    .uses_dynamic_stack: false
    .vgpr_count:     0
    .vgpr_spill_count: 0
    .wavefront_size: 64
  - .agpr_count:     0
    .args:
      - .offset:         0
        .size:           40
        .value_kind:     by_value
    .group_segment_fixed_size: 0
    .kernarg_segment_align: 8
    .kernarg_segment_size: 40
    .language:       OpenCL C
    .language_version:
      - 2
      - 0
    .max_flat_workgroup_size: 128
    .name:           _ZN7rocprim17ROCPRIM_400000_NS6detail17trampoline_kernelINS0_14default_configENS1_38merge_sort_block_merge_config_selectorIilEEZZNS1_27merge_sort_block_merge_implIS3_PiN6thrust23THRUST_200600_302600_NS10device_ptrIlEEjNS1_19radix_merge_compareILb0ELb1EiNS0_19identity_decomposerEEEEE10hipError_tT0_T1_T2_jT3_P12ihipStream_tbPNSt15iterator_traitsISG_E10value_typeEPNSM_ISH_E10value_typeEPSI_NS1_7vsmem_tEENKUlT_SG_SH_SI_E_clIS7_S7_SB_PlEESF_SV_SG_SH_SI_EUlSV_E_NS1_11comp_targetILNS1_3genE2ELNS1_11target_archE906ELNS1_3gpuE6ELNS1_3repE0EEENS1_48merge_mergepath_partition_config_static_selectorELNS0_4arch9wavefront6targetE1EEEvSH_
    .private_segment_fixed_size: 0
    .sgpr_count:     4
    .sgpr_spill_count: 0
    .symbol:         _ZN7rocprim17ROCPRIM_400000_NS6detail17trampoline_kernelINS0_14default_configENS1_38merge_sort_block_merge_config_selectorIilEEZZNS1_27merge_sort_block_merge_implIS3_PiN6thrust23THRUST_200600_302600_NS10device_ptrIlEEjNS1_19radix_merge_compareILb0ELb1EiNS0_19identity_decomposerEEEEE10hipError_tT0_T1_T2_jT3_P12ihipStream_tbPNSt15iterator_traitsISG_E10value_typeEPNSM_ISH_E10value_typeEPSI_NS1_7vsmem_tEENKUlT_SG_SH_SI_E_clIS7_S7_SB_PlEESF_SV_SG_SH_SI_EUlSV_E_NS1_11comp_targetILNS1_3genE2ELNS1_11target_archE906ELNS1_3gpuE6ELNS1_3repE0EEENS1_48merge_mergepath_partition_config_static_selectorELNS0_4arch9wavefront6targetE1EEEvSH_.kd
    .uniform_work_group_size: 1
    .uses_dynamic_stack: false
    .vgpr_count:     0
    .vgpr_spill_count: 0
    .wavefront_size: 64
  - .agpr_count:     0
    .args:
      - .offset:         0
        .size:           40
        .value_kind:     by_value
    .group_segment_fixed_size: 0
    .kernarg_segment_align: 8
    .kernarg_segment_size: 40
    .language:       OpenCL C
    .language_version:
      - 2
      - 0
    .max_flat_workgroup_size: 128
    .name:           _ZN7rocprim17ROCPRIM_400000_NS6detail17trampoline_kernelINS0_14default_configENS1_38merge_sort_block_merge_config_selectorIilEEZZNS1_27merge_sort_block_merge_implIS3_PiN6thrust23THRUST_200600_302600_NS10device_ptrIlEEjNS1_19radix_merge_compareILb0ELb1EiNS0_19identity_decomposerEEEEE10hipError_tT0_T1_T2_jT3_P12ihipStream_tbPNSt15iterator_traitsISG_E10value_typeEPNSM_ISH_E10value_typeEPSI_NS1_7vsmem_tEENKUlT_SG_SH_SI_E_clIS7_S7_SB_PlEESF_SV_SG_SH_SI_EUlSV_E_NS1_11comp_targetILNS1_3genE9ELNS1_11target_archE1100ELNS1_3gpuE3ELNS1_3repE0EEENS1_48merge_mergepath_partition_config_static_selectorELNS0_4arch9wavefront6targetE1EEEvSH_
    .private_segment_fixed_size: 0
    .sgpr_count:     4
    .sgpr_spill_count: 0
    .symbol:         _ZN7rocprim17ROCPRIM_400000_NS6detail17trampoline_kernelINS0_14default_configENS1_38merge_sort_block_merge_config_selectorIilEEZZNS1_27merge_sort_block_merge_implIS3_PiN6thrust23THRUST_200600_302600_NS10device_ptrIlEEjNS1_19radix_merge_compareILb0ELb1EiNS0_19identity_decomposerEEEEE10hipError_tT0_T1_T2_jT3_P12ihipStream_tbPNSt15iterator_traitsISG_E10value_typeEPNSM_ISH_E10value_typeEPSI_NS1_7vsmem_tEENKUlT_SG_SH_SI_E_clIS7_S7_SB_PlEESF_SV_SG_SH_SI_EUlSV_E_NS1_11comp_targetILNS1_3genE9ELNS1_11target_archE1100ELNS1_3gpuE3ELNS1_3repE0EEENS1_48merge_mergepath_partition_config_static_selectorELNS0_4arch9wavefront6targetE1EEEvSH_.kd
    .uniform_work_group_size: 1
    .uses_dynamic_stack: false
    .vgpr_count:     0
    .vgpr_spill_count: 0
    .wavefront_size: 64
  - .agpr_count:     0
    .args:
      - .offset:         0
        .size:           40
        .value_kind:     by_value
    .group_segment_fixed_size: 0
    .kernarg_segment_align: 8
    .kernarg_segment_size: 40
    .language:       OpenCL C
    .language_version:
      - 2
      - 0
    .max_flat_workgroup_size: 128
    .name:           _ZN7rocprim17ROCPRIM_400000_NS6detail17trampoline_kernelINS0_14default_configENS1_38merge_sort_block_merge_config_selectorIilEEZZNS1_27merge_sort_block_merge_implIS3_PiN6thrust23THRUST_200600_302600_NS10device_ptrIlEEjNS1_19radix_merge_compareILb0ELb1EiNS0_19identity_decomposerEEEEE10hipError_tT0_T1_T2_jT3_P12ihipStream_tbPNSt15iterator_traitsISG_E10value_typeEPNSM_ISH_E10value_typeEPSI_NS1_7vsmem_tEENKUlT_SG_SH_SI_E_clIS7_S7_SB_PlEESF_SV_SG_SH_SI_EUlSV_E_NS1_11comp_targetILNS1_3genE8ELNS1_11target_archE1030ELNS1_3gpuE2ELNS1_3repE0EEENS1_48merge_mergepath_partition_config_static_selectorELNS0_4arch9wavefront6targetE1EEEvSH_
    .private_segment_fixed_size: 0
    .sgpr_count:     4
    .sgpr_spill_count: 0
    .symbol:         _ZN7rocprim17ROCPRIM_400000_NS6detail17trampoline_kernelINS0_14default_configENS1_38merge_sort_block_merge_config_selectorIilEEZZNS1_27merge_sort_block_merge_implIS3_PiN6thrust23THRUST_200600_302600_NS10device_ptrIlEEjNS1_19radix_merge_compareILb0ELb1EiNS0_19identity_decomposerEEEEE10hipError_tT0_T1_T2_jT3_P12ihipStream_tbPNSt15iterator_traitsISG_E10value_typeEPNSM_ISH_E10value_typeEPSI_NS1_7vsmem_tEENKUlT_SG_SH_SI_E_clIS7_S7_SB_PlEESF_SV_SG_SH_SI_EUlSV_E_NS1_11comp_targetILNS1_3genE8ELNS1_11target_archE1030ELNS1_3gpuE2ELNS1_3repE0EEENS1_48merge_mergepath_partition_config_static_selectorELNS0_4arch9wavefront6targetE1EEEvSH_.kd
    .uniform_work_group_size: 1
    .uses_dynamic_stack: false
    .vgpr_count:     0
    .vgpr_spill_count: 0
    .wavefront_size: 64
  - .agpr_count:     0
    .args:
      - .offset:         0
        .size:           64
        .value_kind:     by_value
    .group_segment_fixed_size: 0
    .kernarg_segment_align: 8
    .kernarg_segment_size: 64
    .language:       OpenCL C
    .language_version:
      - 2
      - 0
    .max_flat_workgroup_size: 512
    .name:           _ZN7rocprim17ROCPRIM_400000_NS6detail17trampoline_kernelINS0_14default_configENS1_38merge_sort_block_merge_config_selectorIilEEZZNS1_27merge_sort_block_merge_implIS3_PiN6thrust23THRUST_200600_302600_NS10device_ptrIlEEjNS1_19radix_merge_compareILb0ELb1EiNS0_19identity_decomposerEEEEE10hipError_tT0_T1_T2_jT3_P12ihipStream_tbPNSt15iterator_traitsISG_E10value_typeEPNSM_ISH_E10value_typeEPSI_NS1_7vsmem_tEENKUlT_SG_SH_SI_E_clIS7_S7_SB_PlEESF_SV_SG_SH_SI_EUlSV_E0_NS1_11comp_targetILNS1_3genE0ELNS1_11target_archE4294967295ELNS1_3gpuE0ELNS1_3repE0EEENS1_38merge_mergepath_config_static_selectorELNS0_4arch9wavefront6targetE1EEEvSH_
    .private_segment_fixed_size: 0
    .sgpr_count:     4
    .sgpr_spill_count: 0
    .symbol:         _ZN7rocprim17ROCPRIM_400000_NS6detail17trampoline_kernelINS0_14default_configENS1_38merge_sort_block_merge_config_selectorIilEEZZNS1_27merge_sort_block_merge_implIS3_PiN6thrust23THRUST_200600_302600_NS10device_ptrIlEEjNS1_19radix_merge_compareILb0ELb1EiNS0_19identity_decomposerEEEEE10hipError_tT0_T1_T2_jT3_P12ihipStream_tbPNSt15iterator_traitsISG_E10value_typeEPNSM_ISH_E10value_typeEPSI_NS1_7vsmem_tEENKUlT_SG_SH_SI_E_clIS7_S7_SB_PlEESF_SV_SG_SH_SI_EUlSV_E0_NS1_11comp_targetILNS1_3genE0ELNS1_11target_archE4294967295ELNS1_3gpuE0ELNS1_3repE0EEENS1_38merge_mergepath_config_static_selectorELNS0_4arch9wavefront6targetE1EEEvSH_.kd
    .uniform_work_group_size: 1
    .uses_dynamic_stack: false
    .vgpr_count:     0
    .vgpr_spill_count: 0
    .wavefront_size: 64
  - .agpr_count:     0
    .args:
      - .offset:         0
        .size:           64
        .value_kind:     by_value
    .group_segment_fixed_size: 0
    .kernarg_segment_align: 8
    .kernarg_segment_size: 64
    .language:       OpenCL C
    .language_version:
      - 2
      - 0
    .max_flat_workgroup_size: 512
    .name:           _ZN7rocprim17ROCPRIM_400000_NS6detail17trampoline_kernelINS0_14default_configENS1_38merge_sort_block_merge_config_selectorIilEEZZNS1_27merge_sort_block_merge_implIS3_PiN6thrust23THRUST_200600_302600_NS10device_ptrIlEEjNS1_19radix_merge_compareILb0ELb1EiNS0_19identity_decomposerEEEEE10hipError_tT0_T1_T2_jT3_P12ihipStream_tbPNSt15iterator_traitsISG_E10value_typeEPNSM_ISH_E10value_typeEPSI_NS1_7vsmem_tEENKUlT_SG_SH_SI_E_clIS7_S7_SB_PlEESF_SV_SG_SH_SI_EUlSV_E0_NS1_11comp_targetILNS1_3genE10ELNS1_11target_archE1201ELNS1_3gpuE5ELNS1_3repE0EEENS1_38merge_mergepath_config_static_selectorELNS0_4arch9wavefront6targetE1EEEvSH_
    .private_segment_fixed_size: 0
    .sgpr_count:     4
    .sgpr_spill_count: 0
    .symbol:         _ZN7rocprim17ROCPRIM_400000_NS6detail17trampoline_kernelINS0_14default_configENS1_38merge_sort_block_merge_config_selectorIilEEZZNS1_27merge_sort_block_merge_implIS3_PiN6thrust23THRUST_200600_302600_NS10device_ptrIlEEjNS1_19radix_merge_compareILb0ELb1EiNS0_19identity_decomposerEEEEE10hipError_tT0_T1_T2_jT3_P12ihipStream_tbPNSt15iterator_traitsISG_E10value_typeEPNSM_ISH_E10value_typeEPSI_NS1_7vsmem_tEENKUlT_SG_SH_SI_E_clIS7_S7_SB_PlEESF_SV_SG_SH_SI_EUlSV_E0_NS1_11comp_targetILNS1_3genE10ELNS1_11target_archE1201ELNS1_3gpuE5ELNS1_3repE0EEENS1_38merge_mergepath_config_static_selectorELNS0_4arch9wavefront6targetE1EEEvSH_.kd
    .uniform_work_group_size: 1
    .uses_dynamic_stack: false
    .vgpr_count:     0
    .vgpr_spill_count: 0
    .wavefront_size: 64
  - .agpr_count:     0
    .args:
      - .offset:         0
        .size:           64
        .value_kind:     by_value
    .group_segment_fixed_size: 0
    .kernarg_segment_align: 8
    .kernarg_segment_size: 64
    .language:       OpenCL C
    .language_version:
      - 2
      - 0
    .max_flat_workgroup_size: 256
    .name:           _ZN7rocprim17ROCPRIM_400000_NS6detail17trampoline_kernelINS0_14default_configENS1_38merge_sort_block_merge_config_selectorIilEEZZNS1_27merge_sort_block_merge_implIS3_PiN6thrust23THRUST_200600_302600_NS10device_ptrIlEEjNS1_19radix_merge_compareILb0ELb1EiNS0_19identity_decomposerEEEEE10hipError_tT0_T1_T2_jT3_P12ihipStream_tbPNSt15iterator_traitsISG_E10value_typeEPNSM_ISH_E10value_typeEPSI_NS1_7vsmem_tEENKUlT_SG_SH_SI_E_clIS7_S7_SB_PlEESF_SV_SG_SH_SI_EUlSV_E0_NS1_11comp_targetILNS1_3genE5ELNS1_11target_archE942ELNS1_3gpuE9ELNS1_3repE0EEENS1_38merge_mergepath_config_static_selectorELNS0_4arch9wavefront6targetE1EEEvSH_
    .private_segment_fixed_size: 0
    .sgpr_count:     4
    .sgpr_spill_count: 0
    .symbol:         _ZN7rocprim17ROCPRIM_400000_NS6detail17trampoline_kernelINS0_14default_configENS1_38merge_sort_block_merge_config_selectorIilEEZZNS1_27merge_sort_block_merge_implIS3_PiN6thrust23THRUST_200600_302600_NS10device_ptrIlEEjNS1_19radix_merge_compareILb0ELb1EiNS0_19identity_decomposerEEEEE10hipError_tT0_T1_T2_jT3_P12ihipStream_tbPNSt15iterator_traitsISG_E10value_typeEPNSM_ISH_E10value_typeEPSI_NS1_7vsmem_tEENKUlT_SG_SH_SI_E_clIS7_S7_SB_PlEESF_SV_SG_SH_SI_EUlSV_E0_NS1_11comp_targetILNS1_3genE5ELNS1_11target_archE942ELNS1_3gpuE9ELNS1_3repE0EEENS1_38merge_mergepath_config_static_selectorELNS0_4arch9wavefront6targetE1EEEvSH_.kd
    .uniform_work_group_size: 1
    .uses_dynamic_stack: false
    .vgpr_count:     0
    .vgpr_spill_count: 0
    .wavefront_size: 64
  - .agpr_count:     0
    .args:
      - .offset:         0
        .size:           64
        .value_kind:     by_value
      - .offset:         64
        .size:           4
        .value_kind:     hidden_block_count_x
      - .offset:         68
        .size:           4
        .value_kind:     hidden_block_count_y
      - .offset:         72
        .size:           4
        .value_kind:     hidden_block_count_z
      - .offset:         76
        .size:           2
        .value_kind:     hidden_group_size_x
      - .offset:         78
        .size:           2
        .value_kind:     hidden_group_size_y
      - .offset:         80
        .size:           2
        .value_kind:     hidden_group_size_z
      - .offset:         82
        .size:           2
        .value_kind:     hidden_remainder_x
      - .offset:         84
        .size:           2
        .value_kind:     hidden_remainder_y
      - .offset:         86
        .size:           2
        .value_kind:     hidden_remainder_z
      - .offset:         104
        .size:           8
        .value_kind:     hidden_global_offset_x
      - .offset:         112
        .size:           8
        .value_kind:     hidden_global_offset_y
      - .offset:         120
        .size:           8
        .value_kind:     hidden_global_offset_z
      - .offset:         128
        .size:           2
        .value_kind:     hidden_grid_dims
    .group_segment_fixed_size: 8448
    .kernarg_segment_align: 8
    .kernarg_segment_size: 320
    .language:       OpenCL C
    .language_version:
      - 2
      - 0
    .max_flat_workgroup_size: 256
    .name:           _ZN7rocprim17ROCPRIM_400000_NS6detail17trampoline_kernelINS0_14default_configENS1_38merge_sort_block_merge_config_selectorIilEEZZNS1_27merge_sort_block_merge_implIS3_PiN6thrust23THRUST_200600_302600_NS10device_ptrIlEEjNS1_19radix_merge_compareILb0ELb1EiNS0_19identity_decomposerEEEEE10hipError_tT0_T1_T2_jT3_P12ihipStream_tbPNSt15iterator_traitsISG_E10value_typeEPNSM_ISH_E10value_typeEPSI_NS1_7vsmem_tEENKUlT_SG_SH_SI_E_clIS7_S7_SB_PlEESF_SV_SG_SH_SI_EUlSV_E0_NS1_11comp_targetILNS1_3genE4ELNS1_11target_archE910ELNS1_3gpuE8ELNS1_3repE0EEENS1_38merge_mergepath_config_static_selectorELNS0_4arch9wavefront6targetE1EEEvSH_
    .private_segment_fixed_size: 0
    .sgpr_count:     36
    .sgpr_spill_count: 0
    .symbol:         _ZN7rocprim17ROCPRIM_400000_NS6detail17trampoline_kernelINS0_14default_configENS1_38merge_sort_block_merge_config_selectorIilEEZZNS1_27merge_sort_block_merge_implIS3_PiN6thrust23THRUST_200600_302600_NS10device_ptrIlEEjNS1_19radix_merge_compareILb0ELb1EiNS0_19identity_decomposerEEEEE10hipError_tT0_T1_T2_jT3_P12ihipStream_tbPNSt15iterator_traitsISG_E10value_typeEPNSM_ISH_E10value_typeEPSI_NS1_7vsmem_tEENKUlT_SG_SH_SI_E_clIS7_S7_SB_PlEESF_SV_SG_SH_SI_EUlSV_E0_NS1_11comp_targetILNS1_3genE4ELNS1_11target_archE910ELNS1_3gpuE8ELNS1_3repE0EEENS1_38merge_mergepath_config_static_selectorELNS0_4arch9wavefront6targetE1EEEvSH_.kd
    .uniform_work_group_size: 1
    .uses_dynamic_stack: false
    .vgpr_count:     35
    .vgpr_spill_count: 0
    .wavefront_size: 64
  - .agpr_count:     0
    .args:
      - .offset:         0
        .size:           64
        .value_kind:     by_value
    .group_segment_fixed_size: 0
    .kernarg_segment_align: 8
    .kernarg_segment_size: 64
    .language:       OpenCL C
    .language_version:
      - 2
      - 0
    .max_flat_workgroup_size: 512
    .name:           _ZN7rocprim17ROCPRIM_400000_NS6detail17trampoline_kernelINS0_14default_configENS1_38merge_sort_block_merge_config_selectorIilEEZZNS1_27merge_sort_block_merge_implIS3_PiN6thrust23THRUST_200600_302600_NS10device_ptrIlEEjNS1_19radix_merge_compareILb0ELb1EiNS0_19identity_decomposerEEEEE10hipError_tT0_T1_T2_jT3_P12ihipStream_tbPNSt15iterator_traitsISG_E10value_typeEPNSM_ISH_E10value_typeEPSI_NS1_7vsmem_tEENKUlT_SG_SH_SI_E_clIS7_S7_SB_PlEESF_SV_SG_SH_SI_EUlSV_E0_NS1_11comp_targetILNS1_3genE3ELNS1_11target_archE908ELNS1_3gpuE7ELNS1_3repE0EEENS1_38merge_mergepath_config_static_selectorELNS0_4arch9wavefront6targetE1EEEvSH_
    .private_segment_fixed_size: 0
    .sgpr_count:     4
    .sgpr_spill_count: 0
    .symbol:         _ZN7rocprim17ROCPRIM_400000_NS6detail17trampoline_kernelINS0_14default_configENS1_38merge_sort_block_merge_config_selectorIilEEZZNS1_27merge_sort_block_merge_implIS3_PiN6thrust23THRUST_200600_302600_NS10device_ptrIlEEjNS1_19radix_merge_compareILb0ELb1EiNS0_19identity_decomposerEEEEE10hipError_tT0_T1_T2_jT3_P12ihipStream_tbPNSt15iterator_traitsISG_E10value_typeEPNSM_ISH_E10value_typeEPSI_NS1_7vsmem_tEENKUlT_SG_SH_SI_E_clIS7_S7_SB_PlEESF_SV_SG_SH_SI_EUlSV_E0_NS1_11comp_targetILNS1_3genE3ELNS1_11target_archE908ELNS1_3gpuE7ELNS1_3repE0EEENS1_38merge_mergepath_config_static_selectorELNS0_4arch9wavefront6targetE1EEEvSH_.kd
    .uniform_work_group_size: 1
    .uses_dynamic_stack: false
    .vgpr_count:     0
    .vgpr_spill_count: 0
    .wavefront_size: 64
  - .agpr_count:     0
    .args:
      - .offset:         0
        .size:           64
        .value_kind:     by_value
    .group_segment_fixed_size: 0
    .kernarg_segment_align: 8
    .kernarg_segment_size: 64
    .language:       OpenCL C
    .language_version:
      - 2
      - 0
    .max_flat_workgroup_size: 256
    .name:           _ZN7rocprim17ROCPRIM_400000_NS6detail17trampoline_kernelINS0_14default_configENS1_38merge_sort_block_merge_config_selectorIilEEZZNS1_27merge_sort_block_merge_implIS3_PiN6thrust23THRUST_200600_302600_NS10device_ptrIlEEjNS1_19radix_merge_compareILb0ELb1EiNS0_19identity_decomposerEEEEE10hipError_tT0_T1_T2_jT3_P12ihipStream_tbPNSt15iterator_traitsISG_E10value_typeEPNSM_ISH_E10value_typeEPSI_NS1_7vsmem_tEENKUlT_SG_SH_SI_E_clIS7_S7_SB_PlEESF_SV_SG_SH_SI_EUlSV_E0_NS1_11comp_targetILNS1_3genE2ELNS1_11target_archE906ELNS1_3gpuE6ELNS1_3repE0EEENS1_38merge_mergepath_config_static_selectorELNS0_4arch9wavefront6targetE1EEEvSH_
    .private_segment_fixed_size: 0
    .sgpr_count:     4
    .sgpr_spill_count: 0
    .symbol:         _ZN7rocprim17ROCPRIM_400000_NS6detail17trampoline_kernelINS0_14default_configENS1_38merge_sort_block_merge_config_selectorIilEEZZNS1_27merge_sort_block_merge_implIS3_PiN6thrust23THRUST_200600_302600_NS10device_ptrIlEEjNS1_19radix_merge_compareILb0ELb1EiNS0_19identity_decomposerEEEEE10hipError_tT0_T1_T2_jT3_P12ihipStream_tbPNSt15iterator_traitsISG_E10value_typeEPNSM_ISH_E10value_typeEPSI_NS1_7vsmem_tEENKUlT_SG_SH_SI_E_clIS7_S7_SB_PlEESF_SV_SG_SH_SI_EUlSV_E0_NS1_11comp_targetILNS1_3genE2ELNS1_11target_archE906ELNS1_3gpuE6ELNS1_3repE0EEENS1_38merge_mergepath_config_static_selectorELNS0_4arch9wavefront6targetE1EEEvSH_.kd
    .uniform_work_group_size: 1
    .uses_dynamic_stack: false
    .vgpr_count:     0
    .vgpr_spill_count: 0
    .wavefront_size: 64
  - .agpr_count:     0
    .args:
      - .offset:         0
        .size:           64
        .value_kind:     by_value
    .group_segment_fixed_size: 0
    .kernarg_segment_align: 8
    .kernarg_segment_size: 64
    .language:       OpenCL C
    .language_version:
      - 2
      - 0
    .max_flat_workgroup_size: 512
    .name:           _ZN7rocprim17ROCPRIM_400000_NS6detail17trampoline_kernelINS0_14default_configENS1_38merge_sort_block_merge_config_selectorIilEEZZNS1_27merge_sort_block_merge_implIS3_PiN6thrust23THRUST_200600_302600_NS10device_ptrIlEEjNS1_19radix_merge_compareILb0ELb1EiNS0_19identity_decomposerEEEEE10hipError_tT0_T1_T2_jT3_P12ihipStream_tbPNSt15iterator_traitsISG_E10value_typeEPNSM_ISH_E10value_typeEPSI_NS1_7vsmem_tEENKUlT_SG_SH_SI_E_clIS7_S7_SB_PlEESF_SV_SG_SH_SI_EUlSV_E0_NS1_11comp_targetILNS1_3genE9ELNS1_11target_archE1100ELNS1_3gpuE3ELNS1_3repE0EEENS1_38merge_mergepath_config_static_selectorELNS0_4arch9wavefront6targetE1EEEvSH_
    .private_segment_fixed_size: 0
    .sgpr_count:     4
    .sgpr_spill_count: 0
    .symbol:         _ZN7rocprim17ROCPRIM_400000_NS6detail17trampoline_kernelINS0_14default_configENS1_38merge_sort_block_merge_config_selectorIilEEZZNS1_27merge_sort_block_merge_implIS3_PiN6thrust23THRUST_200600_302600_NS10device_ptrIlEEjNS1_19radix_merge_compareILb0ELb1EiNS0_19identity_decomposerEEEEE10hipError_tT0_T1_T2_jT3_P12ihipStream_tbPNSt15iterator_traitsISG_E10value_typeEPNSM_ISH_E10value_typeEPSI_NS1_7vsmem_tEENKUlT_SG_SH_SI_E_clIS7_S7_SB_PlEESF_SV_SG_SH_SI_EUlSV_E0_NS1_11comp_targetILNS1_3genE9ELNS1_11target_archE1100ELNS1_3gpuE3ELNS1_3repE0EEENS1_38merge_mergepath_config_static_selectorELNS0_4arch9wavefront6targetE1EEEvSH_.kd
    .uniform_work_group_size: 1
    .uses_dynamic_stack: false
    .vgpr_count:     0
    .vgpr_spill_count: 0
    .wavefront_size: 64
  - .agpr_count:     0
    .args:
      - .offset:         0
        .size:           64
        .value_kind:     by_value
    .group_segment_fixed_size: 0
    .kernarg_segment_align: 8
    .kernarg_segment_size: 64
    .language:       OpenCL C
    .language_version:
      - 2
      - 0
    .max_flat_workgroup_size: 1024
    .name:           _ZN7rocprim17ROCPRIM_400000_NS6detail17trampoline_kernelINS0_14default_configENS1_38merge_sort_block_merge_config_selectorIilEEZZNS1_27merge_sort_block_merge_implIS3_PiN6thrust23THRUST_200600_302600_NS10device_ptrIlEEjNS1_19radix_merge_compareILb0ELb1EiNS0_19identity_decomposerEEEEE10hipError_tT0_T1_T2_jT3_P12ihipStream_tbPNSt15iterator_traitsISG_E10value_typeEPNSM_ISH_E10value_typeEPSI_NS1_7vsmem_tEENKUlT_SG_SH_SI_E_clIS7_S7_SB_PlEESF_SV_SG_SH_SI_EUlSV_E0_NS1_11comp_targetILNS1_3genE8ELNS1_11target_archE1030ELNS1_3gpuE2ELNS1_3repE0EEENS1_38merge_mergepath_config_static_selectorELNS0_4arch9wavefront6targetE1EEEvSH_
    .private_segment_fixed_size: 0
    .sgpr_count:     4
    .sgpr_spill_count: 0
    .symbol:         _ZN7rocprim17ROCPRIM_400000_NS6detail17trampoline_kernelINS0_14default_configENS1_38merge_sort_block_merge_config_selectorIilEEZZNS1_27merge_sort_block_merge_implIS3_PiN6thrust23THRUST_200600_302600_NS10device_ptrIlEEjNS1_19radix_merge_compareILb0ELb1EiNS0_19identity_decomposerEEEEE10hipError_tT0_T1_T2_jT3_P12ihipStream_tbPNSt15iterator_traitsISG_E10value_typeEPNSM_ISH_E10value_typeEPSI_NS1_7vsmem_tEENKUlT_SG_SH_SI_E_clIS7_S7_SB_PlEESF_SV_SG_SH_SI_EUlSV_E0_NS1_11comp_targetILNS1_3genE8ELNS1_11target_archE1030ELNS1_3gpuE2ELNS1_3repE0EEENS1_38merge_mergepath_config_static_selectorELNS0_4arch9wavefront6targetE1EEEvSH_.kd
    .uniform_work_group_size: 1
    .uses_dynamic_stack: false
    .vgpr_count:     0
    .vgpr_spill_count: 0
    .wavefront_size: 64
  - .agpr_count:     0
    .args:
      - .offset:         0
        .size:           48
        .value_kind:     by_value
    .group_segment_fixed_size: 0
    .kernarg_segment_align: 8
    .kernarg_segment_size: 48
    .language:       OpenCL C
    .language_version:
      - 2
      - 0
    .max_flat_workgroup_size: 256
    .name:           _ZN7rocprim17ROCPRIM_400000_NS6detail17trampoline_kernelINS0_14default_configENS1_38merge_sort_block_merge_config_selectorIilEEZZNS1_27merge_sort_block_merge_implIS3_PiN6thrust23THRUST_200600_302600_NS10device_ptrIlEEjNS1_19radix_merge_compareILb0ELb1EiNS0_19identity_decomposerEEEEE10hipError_tT0_T1_T2_jT3_P12ihipStream_tbPNSt15iterator_traitsISG_E10value_typeEPNSM_ISH_E10value_typeEPSI_NS1_7vsmem_tEENKUlT_SG_SH_SI_E_clIS7_S7_SB_PlEESF_SV_SG_SH_SI_EUlSV_E1_NS1_11comp_targetILNS1_3genE0ELNS1_11target_archE4294967295ELNS1_3gpuE0ELNS1_3repE0EEENS1_36merge_oddeven_config_static_selectorELNS0_4arch9wavefront6targetE1EEEvSH_
    .private_segment_fixed_size: 0
    .sgpr_count:     4
    .sgpr_spill_count: 0
    .symbol:         _ZN7rocprim17ROCPRIM_400000_NS6detail17trampoline_kernelINS0_14default_configENS1_38merge_sort_block_merge_config_selectorIilEEZZNS1_27merge_sort_block_merge_implIS3_PiN6thrust23THRUST_200600_302600_NS10device_ptrIlEEjNS1_19radix_merge_compareILb0ELb1EiNS0_19identity_decomposerEEEEE10hipError_tT0_T1_T2_jT3_P12ihipStream_tbPNSt15iterator_traitsISG_E10value_typeEPNSM_ISH_E10value_typeEPSI_NS1_7vsmem_tEENKUlT_SG_SH_SI_E_clIS7_S7_SB_PlEESF_SV_SG_SH_SI_EUlSV_E1_NS1_11comp_targetILNS1_3genE0ELNS1_11target_archE4294967295ELNS1_3gpuE0ELNS1_3repE0EEENS1_36merge_oddeven_config_static_selectorELNS0_4arch9wavefront6targetE1EEEvSH_.kd
    .uniform_work_group_size: 1
    .uses_dynamic_stack: false
    .vgpr_count:     0
    .vgpr_spill_count: 0
    .wavefront_size: 64
  - .agpr_count:     0
    .args:
      - .offset:         0
        .size:           48
        .value_kind:     by_value
    .group_segment_fixed_size: 0
    .kernarg_segment_align: 8
    .kernarg_segment_size: 48
    .language:       OpenCL C
    .language_version:
      - 2
      - 0
    .max_flat_workgroup_size: 256
    .name:           _ZN7rocprim17ROCPRIM_400000_NS6detail17trampoline_kernelINS0_14default_configENS1_38merge_sort_block_merge_config_selectorIilEEZZNS1_27merge_sort_block_merge_implIS3_PiN6thrust23THRUST_200600_302600_NS10device_ptrIlEEjNS1_19radix_merge_compareILb0ELb1EiNS0_19identity_decomposerEEEEE10hipError_tT0_T1_T2_jT3_P12ihipStream_tbPNSt15iterator_traitsISG_E10value_typeEPNSM_ISH_E10value_typeEPSI_NS1_7vsmem_tEENKUlT_SG_SH_SI_E_clIS7_S7_SB_PlEESF_SV_SG_SH_SI_EUlSV_E1_NS1_11comp_targetILNS1_3genE10ELNS1_11target_archE1201ELNS1_3gpuE5ELNS1_3repE0EEENS1_36merge_oddeven_config_static_selectorELNS0_4arch9wavefront6targetE1EEEvSH_
    .private_segment_fixed_size: 0
    .sgpr_count:     4
    .sgpr_spill_count: 0
    .symbol:         _ZN7rocprim17ROCPRIM_400000_NS6detail17trampoline_kernelINS0_14default_configENS1_38merge_sort_block_merge_config_selectorIilEEZZNS1_27merge_sort_block_merge_implIS3_PiN6thrust23THRUST_200600_302600_NS10device_ptrIlEEjNS1_19radix_merge_compareILb0ELb1EiNS0_19identity_decomposerEEEEE10hipError_tT0_T1_T2_jT3_P12ihipStream_tbPNSt15iterator_traitsISG_E10value_typeEPNSM_ISH_E10value_typeEPSI_NS1_7vsmem_tEENKUlT_SG_SH_SI_E_clIS7_S7_SB_PlEESF_SV_SG_SH_SI_EUlSV_E1_NS1_11comp_targetILNS1_3genE10ELNS1_11target_archE1201ELNS1_3gpuE5ELNS1_3repE0EEENS1_36merge_oddeven_config_static_selectorELNS0_4arch9wavefront6targetE1EEEvSH_.kd
    .uniform_work_group_size: 1
    .uses_dynamic_stack: false
    .vgpr_count:     0
    .vgpr_spill_count: 0
    .wavefront_size: 64
  - .agpr_count:     0
    .args:
      - .offset:         0
        .size:           48
        .value_kind:     by_value
    .group_segment_fixed_size: 0
    .kernarg_segment_align: 8
    .kernarg_segment_size: 48
    .language:       OpenCL C
    .language_version:
      - 2
      - 0
    .max_flat_workgroup_size: 256
    .name:           _ZN7rocprim17ROCPRIM_400000_NS6detail17trampoline_kernelINS0_14default_configENS1_38merge_sort_block_merge_config_selectorIilEEZZNS1_27merge_sort_block_merge_implIS3_PiN6thrust23THRUST_200600_302600_NS10device_ptrIlEEjNS1_19radix_merge_compareILb0ELb1EiNS0_19identity_decomposerEEEEE10hipError_tT0_T1_T2_jT3_P12ihipStream_tbPNSt15iterator_traitsISG_E10value_typeEPNSM_ISH_E10value_typeEPSI_NS1_7vsmem_tEENKUlT_SG_SH_SI_E_clIS7_S7_SB_PlEESF_SV_SG_SH_SI_EUlSV_E1_NS1_11comp_targetILNS1_3genE5ELNS1_11target_archE942ELNS1_3gpuE9ELNS1_3repE0EEENS1_36merge_oddeven_config_static_selectorELNS0_4arch9wavefront6targetE1EEEvSH_
    .private_segment_fixed_size: 0
    .sgpr_count:     4
    .sgpr_spill_count: 0
    .symbol:         _ZN7rocprim17ROCPRIM_400000_NS6detail17trampoline_kernelINS0_14default_configENS1_38merge_sort_block_merge_config_selectorIilEEZZNS1_27merge_sort_block_merge_implIS3_PiN6thrust23THRUST_200600_302600_NS10device_ptrIlEEjNS1_19radix_merge_compareILb0ELb1EiNS0_19identity_decomposerEEEEE10hipError_tT0_T1_T2_jT3_P12ihipStream_tbPNSt15iterator_traitsISG_E10value_typeEPNSM_ISH_E10value_typeEPSI_NS1_7vsmem_tEENKUlT_SG_SH_SI_E_clIS7_S7_SB_PlEESF_SV_SG_SH_SI_EUlSV_E1_NS1_11comp_targetILNS1_3genE5ELNS1_11target_archE942ELNS1_3gpuE9ELNS1_3repE0EEENS1_36merge_oddeven_config_static_selectorELNS0_4arch9wavefront6targetE1EEEvSH_.kd
    .uniform_work_group_size: 1
    .uses_dynamic_stack: false
    .vgpr_count:     0
    .vgpr_spill_count: 0
    .wavefront_size: 64
  - .agpr_count:     0
    .args:
      - .offset:         0
        .size:           48
        .value_kind:     by_value
    .group_segment_fixed_size: 0
    .kernarg_segment_align: 8
    .kernarg_segment_size: 48
    .language:       OpenCL C
    .language_version:
      - 2
      - 0
    .max_flat_workgroup_size: 256
    .name:           _ZN7rocprim17ROCPRIM_400000_NS6detail17trampoline_kernelINS0_14default_configENS1_38merge_sort_block_merge_config_selectorIilEEZZNS1_27merge_sort_block_merge_implIS3_PiN6thrust23THRUST_200600_302600_NS10device_ptrIlEEjNS1_19radix_merge_compareILb0ELb1EiNS0_19identity_decomposerEEEEE10hipError_tT0_T1_T2_jT3_P12ihipStream_tbPNSt15iterator_traitsISG_E10value_typeEPNSM_ISH_E10value_typeEPSI_NS1_7vsmem_tEENKUlT_SG_SH_SI_E_clIS7_S7_SB_PlEESF_SV_SG_SH_SI_EUlSV_E1_NS1_11comp_targetILNS1_3genE4ELNS1_11target_archE910ELNS1_3gpuE8ELNS1_3repE0EEENS1_36merge_oddeven_config_static_selectorELNS0_4arch9wavefront6targetE1EEEvSH_
    .private_segment_fixed_size: 0
    .sgpr_count:     28
    .sgpr_spill_count: 0
    .symbol:         _ZN7rocprim17ROCPRIM_400000_NS6detail17trampoline_kernelINS0_14default_configENS1_38merge_sort_block_merge_config_selectorIilEEZZNS1_27merge_sort_block_merge_implIS3_PiN6thrust23THRUST_200600_302600_NS10device_ptrIlEEjNS1_19radix_merge_compareILb0ELb1EiNS0_19identity_decomposerEEEEE10hipError_tT0_T1_T2_jT3_P12ihipStream_tbPNSt15iterator_traitsISG_E10value_typeEPNSM_ISH_E10value_typeEPSI_NS1_7vsmem_tEENKUlT_SG_SH_SI_E_clIS7_S7_SB_PlEESF_SV_SG_SH_SI_EUlSV_E1_NS1_11comp_targetILNS1_3genE4ELNS1_11target_archE910ELNS1_3gpuE8ELNS1_3repE0EEENS1_36merge_oddeven_config_static_selectorELNS0_4arch9wavefront6targetE1EEEvSH_.kd
    .uniform_work_group_size: 1
    .uses_dynamic_stack: false
    .vgpr_count:     13
    .vgpr_spill_count: 0
    .wavefront_size: 64
  - .agpr_count:     0
    .args:
      - .offset:         0
        .size:           48
        .value_kind:     by_value
    .group_segment_fixed_size: 0
    .kernarg_segment_align: 8
    .kernarg_segment_size: 48
    .language:       OpenCL C
    .language_version:
      - 2
      - 0
    .max_flat_workgroup_size: 256
    .name:           _ZN7rocprim17ROCPRIM_400000_NS6detail17trampoline_kernelINS0_14default_configENS1_38merge_sort_block_merge_config_selectorIilEEZZNS1_27merge_sort_block_merge_implIS3_PiN6thrust23THRUST_200600_302600_NS10device_ptrIlEEjNS1_19radix_merge_compareILb0ELb1EiNS0_19identity_decomposerEEEEE10hipError_tT0_T1_T2_jT3_P12ihipStream_tbPNSt15iterator_traitsISG_E10value_typeEPNSM_ISH_E10value_typeEPSI_NS1_7vsmem_tEENKUlT_SG_SH_SI_E_clIS7_S7_SB_PlEESF_SV_SG_SH_SI_EUlSV_E1_NS1_11comp_targetILNS1_3genE3ELNS1_11target_archE908ELNS1_3gpuE7ELNS1_3repE0EEENS1_36merge_oddeven_config_static_selectorELNS0_4arch9wavefront6targetE1EEEvSH_
    .private_segment_fixed_size: 0
    .sgpr_count:     4
    .sgpr_spill_count: 0
    .symbol:         _ZN7rocprim17ROCPRIM_400000_NS6detail17trampoline_kernelINS0_14default_configENS1_38merge_sort_block_merge_config_selectorIilEEZZNS1_27merge_sort_block_merge_implIS3_PiN6thrust23THRUST_200600_302600_NS10device_ptrIlEEjNS1_19radix_merge_compareILb0ELb1EiNS0_19identity_decomposerEEEEE10hipError_tT0_T1_T2_jT3_P12ihipStream_tbPNSt15iterator_traitsISG_E10value_typeEPNSM_ISH_E10value_typeEPSI_NS1_7vsmem_tEENKUlT_SG_SH_SI_E_clIS7_S7_SB_PlEESF_SV_SG_SH_SI_EUlSV_E1_NS1_11comp_targetILNS1_3genE3ELNS1_11target_archE908ELNS1_3gpuE7ELNS1_3repE0EEENS1_36merge_oddeven_config_static_selectorELNS0_4arch9wavefront6targetE1EEEvSH_.kd
    .uniform_work_group_size: 1
    .uses_dynamic_stack: false
    .vgpr_count:     0
    .vgpr_spill_count: 0
    .wavefront_size: 64
  - .agpr_count:     0
    .args:
      - .offset:         0
        .size:           48
        .value_kind:     by_value
    .group_segment_fixed_size: 0
    .kernarg_segment_align: 8
    .kernarg_segment_size: 48
    .language:       OpenCL C
    .language_version:
      - 2
      - 0
    .max_flat_workgroup_size: 256
    .name:           _ZN7rocprim17ROCPRIM_400000_NS6detail17trampoline_kernelINS0_14default_configENS1_38merge_sort_block_merge_config_selectorIilEEZZNS1_27merge_sort_block_merge_implIS3_PiN6thrust23THRUST_200600_302600_NS10device_ptrIlEEjNS1_19radix_merge_compareILb0ELb1EiNS0_19identity_decomposerEEEEE10hipError_tT0_T1_T2_jT3_P12ihipStream_tbPNSt15iterator_traitsISG_E10value_typeEPNSM_ISH_E10value_typeEPSI_NS1_7vsmem_tEENKUlT_SG_SH_SI_E_clIS7_S7_SB_PlEESF_SV_SG_SH_SI_EUlSV_E1_NS1_11comp_targetILNS1_3genE2ELNS1_11target_archE906ELNS1_3gpuE6ELNS1_3repE0EEENS1_36merge_oddeven_config_static_selectorELNS0_4arch9wavefront6targetE1EEEvSH_
    .private_segment_fixed_size: 0
    .sgpr_count:     4
    .sgpr_spill_count: 0
    .symbol:         _ZN7rocprim17ROCPRIM_400000_NS6detail17trampoline_kernelINS0_14default_configENS1_38merge_sort_block_merge_config_selectorIilEEZZNS1_27merge_sort_block_merge_implIS3_PiN6thrust23THRUST_200600_302600_NS10device_ptrIlEEjNS1_19radix_merge_compareILb0ELb1EiNS0_19identity_decomposerEEEEE10hipError_tT0_T1_T2_jT3_P12ihipStream_tbPNSt15iterator_traitsISG_E10value_typeEPNSM_ISH_E10value_typeEPSI_NS1_7vsmem_tEENKUlT_SG_SH_SI_E_clIS7_S7_SB_PlEESF_SV_SG_SH_SI_EUlSV_E1_NS1_11comp_targetILNS1_3genE2ELNS1_11target_archE906ELNS1_3gpuE6ELNS1_3repE0EEENS1_36merge_oddeven_config_static_selectorELNS0_4arch9wavefront6targetE1EEEvSH_.kd
    .uniform_work_group_size: 1
    .uses_dynamic_stack: false
    .vgpr_count:     0
    .vgpr_spill_count: 0
    .wavefront_size: 64
  - .agpr_count:     0
    .args:
      - .offset:         0
        .size:           48
        .value_kind:     by_value
    .group_segment_fixed_size: 0
    .kernarg_segment_align: 8
    .kernarg_segment_size: 48
    .language:       OpenCL C
    .language_version:
      - 2
      - 0
    .max_flat_workgroup_size: 256
    .name:           _ZN7rocprim17ROCPRIM_400000_NS6detail17trampoline_kernelINS0_14default_configENS1_38merge_sort_block_merge_config_selectorIilEEZZNS1_27merge_sort_block_merge_implIS3_PiN6thrust23THRUST_200600_302600_NS10device_ptrIlEEjNS1_19radix_merge_compareILb0ELb1EiNS0_19identity_decomposerEEEEE10hipError_tT0_T1_T2_jT3_P12ihipStream_tbPNSt15iterator_traitsISG_E10value_typeEPNSM_ISH_E10value_typeEPSI_NS1_7vsmem_tEENKUlT_SG_SH_SI_E_clIS7_S7_SB_PlEESF_SV_SG_SH_SI_EUlSV_E1_NS1_11comp_targetILNS1_3genE9ELNS1_11target_archE1100ELNS1_3gpuE3ELNS1_3repE0EEENS1_36merge_oddeven_config_static_selectorELNS0_4arch9wavefront6targetE1EEEvSH_
    .private_segment_fixed_size: 0
    .sgpr_count:     4
    .sgpr_spill_count: 0
    .symbol:         _ZN7rocprim17ROCPRIM_400000_NS6detail17trampoline_kernelINS0_14default_configENS1_38merge_sort_block_merge_config_selectorIilEEZZNS1_27merge_sort_block_merge_implIS3_PiN6thrust23THRUST_200600_302600_NS10device_ptrIlEEjNS1_19radix_merge_compareILb0ELb1EiNS0_19identity_decomposerEEEEE10hipError_tT0_T1_T2_jT3_P12ihipStream_tbPNSt15iterator_traitsISG_E10value_typeEPNSM_ISH_E10value_typeEPSI_NS1_7vsmem_tEENKUlT_SG_SH_SI_E_clIS7_S7_SB_PlEESF_SV_SG_SH_SI_EUlSV_E1_NS1_11comp_targetILNS1_3genE9ELNS1_11target_archE1100ELNS1_3gpuE3ELNS1_3repE0EEENS1_36merge_oddeven_config_static_selectorELNS0_4arch9wavefront6targetE1EEEvSH_.kd
    .uniform_work_group_size: 1
    .uses_dynamic_stack: false
    .vgpr_count:     0
    .vgpr_spill_count: 0
    .wavefront_size: 64
  - .agpr_count:     0
    .args:
      - .offset:         0
        .size:           48
        .value_kind:     by_value
    .group_segment_fixed_size: 0
    .kernarg_segment_align: 8
    .kernarg_segment_size: 48
    .language:       OpenCL C
    .language_version:
      - 2
      - 0
    .max_flat_workgroup_size: 256
    .name:           _ZN7rocprim17ROCPRIM_400000_NS6detail17trampoline_kernelINS0_14default_configENS1_38merge_sort_block_merge_config_selectorIilEEZZNS1_27merge_sort_block_merge_implIS3_PiN6thrust23THRUST_200600_302600_NS10device_ptrIlEEjNS1_19radix_merge_compareILb0ELb1EiNS0_19identity_decomposerEEEEE10hipError_tT0_T1_T2_jT3_P12ihipStream_tbPNSt15iterator_traitsISG_E10value_typeEPNSM_ISH_E10value_typeEPSI_NS1_7vsmem_tEENKUlT_SG_SH_SI_E_clIS7_S7_SB_PlEESF_SV_SG_SH_SI_EUlSV_E1_NS1_11comp_targetILNS1_3genE8ELNS1_11target_archE1030ELNS1_3gpuE2ELNS1_3repE0EEENS1_36merge_oddeven_config_static_selectorELNS0_4arch9wavefront6targetE1EEEvSH_
    .private_segment_fixed_size: 0
    .sgpr_count:     4
    .sgpr_spill_count: 0
    .symbol:         _ZN7rocprim17ROCPRIM_400000_NS6detail17trampoline_kernelINS0_14default_configENS1_38merge_sort_block_merge_config_selectorIilEEZZNS1_27merge_sort_block_merge_implIS3_PiN6thrust23THRUST_200600_302600_NS10device_ptrIlEEjNS1_19radix_merge_compareILb0ELb1EiNS0_19identity_decomposerEEEEE10hipError_tT0_T1_T2_jT3_P12ihipStream_tbPNSt15iterator_traitsISG_E10value_typeEPNSM_ISH_E10value_typeEPSI_NS1_7vsmem_tEENKUlT_SG_SH_SI_E_clIS7_S7_SB_PlEESF_SV_SG_SH_SI_EUlSV_E1_NS1_11comp_targetILNS1_3genE8ELNS1_11target_archE1030ELNS1_3gpuE2ELNS1_3repE0EEENS1_36merge_oddeven_config_static_selectorELNS0_4arch9wavefront6targetE1EEEvSH_.kd
    .uniform_work_group_size: 1
    .uses_dynamic_stack: false
    .vgpr_count:     0
    .vgpr_spill_count: 0
    .wavefront_size: 64
  - .agpr_count:     0
    .args:
      - .offset:         0
        .size:           40
        .value_kind:     by_value
    .group_segment_fixed_size: 0
    .kernarg_segment_align: 8
    .kernarg_segment_size: 40
    .language:       OpenCL C
    .language_version:
      - 2
      - 0
    .max_flat_workgroup_size: 512
    .name:           _ZN7rocprim17ROCPRIM_400000_NS6detail17trampoline_kernelINS0_14default_configENS1_35radix_sort_onesweep_config_selectorIilEEZNS1_34radix_sort_onesweep_global_offsetsIS3_Lb0EPiN6thrust23THRUST_200600_302600_NS10device_ptrIlEEjNS0_19identity_decomposerEEE10hipError_tT1_T2_PT3_SG_jT4_jjP12ihipStream_tbEUlT_E_NS1_11comp_targetILNS1_3genE0ELNS1_11target_archE4294967295ELNS1_3gpuE0ELNS1_3repE0EEENS1_52radix_sort_onesweep_histogram_config_static_selectorELNS0_4arch9wavefront6targetE1EEEvSE_
    .private_segment_fixed_size: 0
    .sgpr_count:     4
    .sgpr_spill_count: 0
    .symbol:         _ZN7rocprim17ROCPRIM_400000_NS6detail17trampoline_kernelINS0_14default_configENS1_35radix_sort_onesweep_config_selectorIilEEZNS1_34radix_sort_onesweep_global_offsetsIS3_Lb0EPiN6thrust23THRUST_200600_302600_NS10device_ptrIlEEjNS0_19identity_decomposerEEE10hipError_tT1_T2_PT3_SG_jT4_jjP12ihipStream_tbEUlT_E_NS1_11comp_targetILNS1_3genE0ELNS1_11target_archE4294967295ELNS1_3gpuE0ELNS1_3repE0EEENS1_52radix_sort_onesweep_histogram_config_static_selectorELNS0_4arch9wavefront6targetE1EEEvSE_.kd
    .uniform_work_group_size: 1
    .uses_dynamic_stack: false
    .vgpr_count:     0
    .vgpr_spill_count: 0
    .wavefront_size: 64
  - .agpr_count:     0
    .args:
      - .offset:         0
        .size:           40
        .value_kind:     by_value
    .group_segment_fixed_size: 0
    .kernarg_segment_align: 8
    .kernarg_segment_size: 40
    .language:       OpenCL C
    .language_version:
      - 2
      - 0
    .max_flat_workgroup_size: 1024
    .name:           _ZN7rocprim17ROCPRIM_400000_NS6detail17trampoline_kernelINS0_14default_configENS1_35radix_sort_onesweep_config_selectorIilEEZNS1_34radix_sort_onesweep_global_offsetsIS3_Lb0EPiN6thrust23THRUST_200600_302600_NS10device_ptrIlEEjNS0_19identity_decomposerEEE10hipError_tT1_T2_PT3_SG_jT4_jjP12ihipStream_tbEUlT_E_NS1_11comp_targetILNS1_3genE6ELNS1_11target_archE950ELNS1_3gpuE13ELNS1_3repE0EEENS1_52radix_sort_onesweep_histogram_config_static_selectorELNS0_4arch9wavefront6targetE1EEEvSE_
    .private_segment_fixed_size: 0
    .sgpr_count:     4
    .sgpr_spill_count: 0
    .symbol:         _ZN7rocprim17ROCPRIM_400000_NS6detail17trampoline_kernelINS0_14default_configENS1_35radix_sort_onesweep_config_selectorIilEEZNS1_34radix_sort_onesweep_global_offsetsIS3_Lb0EPiN6thrust23THRUST_200600_302600_NS10device_ptrIlEEjNS0_19identity_decomposerEEE10hipError_tT1_T2_PT3_SG_jT4_jjP12ihipStream_tbEUlT_E_NS1_11comp_targetILNS1_3genE6ELNS1_11target_archE950ELNS1_3gpuE13ELNS1_3repE0EEENS1_52radix_sort_onesweep_histogram_config_static_selectorELNS0_4arch9wavefront6targetE1EEEvSE_.kd
    .uniform_work_group_size: 1
    .uses_dynamic_stack: false
    .vgpr_count:     0
    .vgpr_spill_count: 0
    .wavefront_size: 64
  - .agpr_count:     0
    .args:
      - .offset:         0
        .size:           40
        .value_kind:     by_value
    .group_segment_fixed_size: 0
    .kernarg_segment_align: 8
    .kernarg_segment_size: 40
    .language:       OpenCL C
    .language_version:
      - 2
      - 0
    .max_flat_workgroup_size: 1024
    .name:           _ZN7rocprim17ROCPRIM_400000_NS6detail17trampoline_kernelINS0_14default_configENS1_35radix_sort_onesweep_config_selectorIilEEZNS1_34radix_sort_onesweep_global_offsetsIS3_Lb0EPiN6thrust23THRUST_200600_302600_NS10device_ptrIlEEjNS0_19identity_decomposerEEE10hipError_tT1_T2_PT3_SG_jT4_jjP12ihipStream_tbEUlT_E_NS1_11comp_targetILNS1_3genE5ELNS1_11target_archE942ELNS1_3gpuE9ELNS1_3repE0EEENS1_52radix_sort_onesweep_histogram_config_static_selectorELNS0_4arch9wavefront6targetE1EEEvSE_
    .private_segment_fixed_size: 0
    .sgpr_count:     4
    .sgpr_spill_count: 0
    .symbol:         _ZN7rocprim17ROCPRIM_400000_NS6detail17trampoline_kernelINS0_14default_configENS1_35radix_sort_onesweep_config_selectorIilEEZNS1_34radix_sort_onesweep_global_offsetsIS3_Lb0EPiN6thrust23THRUST_200600_302600_NS10device_ptrIlEEjNS0_19identity_decomposerEEE10hipError_tT1_T2_PT3_SG_jT4_jjP12ihipStream_tbEUlT_E_NS1_11comp_targetILNS1_3genE5ELNS1_11target_archE942ELNS1_3gpuE9ELNS1_3repE0EEENS1_52radix_sort_onesweep_histogram_config_static_selectorELNS0_4arch9wavefront6targetE1EEEvSE_.kd
    .uniform_work_group_size: 1
    .uses_dynamic_stack: false
    .vgpr_count:     0
    .vgpr_spill_count: 0
    .wavefront_size: 64
  - .agpr_count:     0
    .args:
      - .offset:         0
        .size:           40
        .value_kind:     by_value
    .group_segment_fixed_size: 0
    .kernarg_segment_align: 8
    .kernarg_segment_size: 40
    .language:       OpenCL C
    .language_version:
      - 2
      - 0
    .max_flat_workgroup_size: 512
    .name:           _ZN7rocprim17ROCPRIM_400000_NS6detail17trampoline_kernelINS0_14default_configENS1_35radix_sort_onesweep_config_selectorIilEEZNS1_34radix_sort_onesweep_global_offsetsIS3_Lb0EPiN6thrust23THRUST_200600_302600_NS10device_ptrIlEEjNS0_19identity_decomposerEEE10hipError_tT1_T2_PT3_SG_jT4_jjP12ihipStream_tbEUlT_E_NS1_11comp_targetILNS1_3genE2ELNS1_11target_archE906ELNS1_3gpuE6ELNS1_3repE0EEENS1_52radix_sort_onesweep_histogram_config_static_selectorELNS0_4arch9wavefront6targetE1EEEvSE_
    .private_segment_fixed_size: 0
    .sgpr_count:     4
    .sgpr_spill_count: 0
    .symbol:         _ZN7rocprim17ROCPRIM_400000_NS6detail17trampoline_kernelINS0_14default_configENS1_35radix_sort_onesweep_config_selectorIilEEZNS1_34radix_sort_onesweep_global_offsetsIS3_Lb0EPiN6thrust23THRUST_200600_302600_NS10device_ptrIlEEjNS0_19identity_decomposerEEE10hipError_tT1_T2_PT3_SG_jT4_jjP12ihipStream_tbEUlT_E_NS1_11comp_targetILNS1_3genE2ELNS1_11target_archE906ELNS1_3gpuE6ELNS1_3repE0EEENS1_52radix_sort_onesweep_histogram_config_static_selectorELNS0_4arch9wavefront6targetE1EEEvSE_.kd
    .uniform_work_group_size: 1
    .uses_dynamic_stack: false
    .vgpr_count:     0
    .vgpr_spill_count: 0
    .wavefront_size: 64
  - .agpr_count:     0
    .args:
      - .offset:         0
        .size:           40
        .value_kind:     by_value
    .group_segment_fixed_size: 16384
    .kernarg_segment_align: 8
    .kernarg_segment_size: 40
    .language:       OpenCL C
    .language_version:
      - 2
      - 0
    .max_flat_workgroup_size: 512
    .name:           _ZN7rocprim17ROCPRIM_400000_NS6detail17trampoline_kernelINS0_14default_configENS1_35radix_sort_onesweep_config_selectorIilEEZNS1_34radix_sort_onesweep_global_offsetsIS3_Lb0EPiN6thrust23THRUST_200600_302600_NS10device_ptrIlEEjNS0_19identity_decomposerEEE10hipError_tT1_T2_PT3_SG_jT4_jjP12ihipStream_tbEUlT_E_NS1_11comp_targetILNS1_3genE4ELNS1_11target_archE910ELNS1_3gpuE8ELNS1_3repE0EEENS1_52radix_sort_onesweep_histogram_config_static_selectorELNS0_4arch9wavefront6targetE1EEEvSE_
    .private_segment_fixed_size: 0
    .sgpr_count:     23
    .sgpr_spill_count: 0
    .symbol:         _ZN7rocprim17ROCPRIM_400000_NS6detail17trampoline_kernelINS0_14default_configENS1_35radix_sort_onesweep_config_selectorIilEEZNS1_34radix_sort_onesweep_global_offsetsIS3_Lb0EPiN6thrust23THRUST_200600_302600_NS10device_ptrIlEEjNS0_19identity_decomposerEEE10hipError_tT1_T2_PT3_SG_jT4_jjP12ihipStream_tbEUlT_E_NS1_11comp_targetILNS1_3genE4ELNS1_11target_archE910ELNS1_3gpuE8ELNS1_3repE0EEENS1_52radix_sort_onesweep_histogram_config_static_selectorELNS0_4arch9wavefront6targetE1EEEvSE_.kd
    .uniform_work_group_size: 1
    .uses_dynamic_stack: false
    .vgpr_count:     35
    .vgpr_spill_count: 0
    .wavefront_size: 64
  - .agpr_count:     0
    .args:
      - .offset:         0
        .size:           40
        .value_kind:     by_value
    .group_segment_fixed_size: 0
    .kernarg_segment_align: 8
    .kernarg_segment_size: 40
    .language:       OpenCL C
    .language_version:
      - 2
      - 0
    .max_flat_workgroup_size: 512
    .name:           _ZN7rocprim17ROCPRIM_400000_NS6detail17trampoline_kernelINS0_14default_configENS1_35radix_sort_onesweep_config_selectorIilEEZNS1_34radix_sort_onesweep_global_offsetsIS3_Lb0EPiN6thrust23THRUST_200600_302600_NS10device_ptrIlEEjNS0_19identity_decomposerEEE10hipError_tT1_T2_PT3_SG_jT4_jjP12ihipStream_tbEUlT_E_NS1_11comp_targetILNS1_3genE3ELNS1_11target_archE908ELNS1_3gpuE7ELNS1_3repE0EEENS1_52radix_sort_onesweep_histogram_config_static_selectorELNS0_4arch9wavefront6targetE1EEEvSE_
    .private_segment_fixed_size: 0
    .sgpr_count:     4
    .sgpr_spill_count: 0
    .symbol:         _ZN7rocprim17ROCPRIM_400000_NS6detail17trampoline_kernelINS0_14default_configENS1_35radix_sort_onesweep_config_selectorIilEEZNS1_34radix_sort_onesweep_global_offsetsIS3_Lb0EPiN6thrust23THRUST_200600_302600_NS10device_ptrIlEEjNS0_19identity_decomposerEEE10hipError_tT1_T2_PT3_SG_jT4_jjP12ihipStream_tbEUlT_E_NS1_11comp_targetILNS1_3genE3ELNS1_11target_archE908ELNS1_3gpuE7ELNS1_3repE0EEENS1_52radix_sort_onesweep_histogram_config_static_selectorELNS0_4arch9wavefront6targetE1EEEvSE_.kd
    .uniform_work_group_size: 1
    .uses_dynamic_stack: false
    .vgpr_count:     0
    .vgpr_spill_count: 0
    .wavefront_size: 64
  - .agpr_count:     0
    .args:
      - .offset:         0
        .size:           40
        .value_kind:     by_value
    .group_segment_fixed_size: 0
    .kernarg_segment_align: 8
    .kernarg_segment_size: 40
    .language:       OpenCL C
    .language_version:
      - 2
      - 0
    .max_flat_workgroup_size: 1024
    .name:           _ZN7rocprim17ROCPRIM_400000_NS6detail17trampoline_kernelINS0_14default_configENS1_35radix_sort_onesweep_config_selectorIilEEZNS1_34radix_sort_onesweep_global_offsetsIS3_Lb0EPiN6thrust23THRUST_200600_302600_NS10device_ptrIlEEjNS0_19identity_decomposerEEE10hipError_tT1_T2_PT3_SG_jT4_jjP12ihipStream_tbEUlT_E_NS1_11comp_targetILNS1_3genE10ELNS1_11target_archE1201ELNS1_3gpuE5ELNS1_3repE0EEENS1_52radix_sort_onesweep_histogram_config_static_selectorELNS0_4arch9wavefront6targetE1EEEvSE_
    .private_segment_fixed_size: 0
    .sgpr_count:     4
    .sgpr_spill_count: 0
    .symbol:         _ZN7rocprim17ROCPRIM_400000_NS6detail17trampoline_kernelINS0_14default_configENS1_35radix_sort_onesweep_config_selectorIilEEZNS1_34radix_sort_onesweep_global_offsetsIS3_Lb0EPiN6thrust23THRUST_200600_302600_NS10device_ptrIlEEjNS0_19identity_decomposerEEE10hipError_tT1_T2_PT3_SG_jT4_jjP12ihipStream_tbEUlT_E_NS1_11comp_targetILNS1_3genE10ELNS1_11target_archE1201ELNS1_3gpuE5ELNS1_3repE0EEENS1_52radix_sort_onesweep_histogram_config_static_selectorELNS0_4arch9wavefront6targetE1EEEvSE_.kd
    .uniform_work_group_size: 1
    .uses_dynamic_stack: false
    .vgpr_count:     0
    .vgpr_spill_count: 0
    .wavefront_size: 64
  - .agpr_count:     0
    .args:
      - .offset:         0
        .size:           40
        .value_kind:     by_value
    .group_segment_fixed_size: 0
    .kernarg_segment_align: 8
    .kernarg_segment_size: 40
    .language:       OpenCL C
    .language_version:
      - 2
      - 0
    .max_flat_workgroup_size: 1024
    .name:           _ZN7rocprim17ROCPRIM_400000_NS6detail17trampoline_kernelINS0_14default_configENS1_35radix_sort_onesweep_config_selectorIilEEZNS1_34radix_sort_onesweep_global_offsetsIS3_Lb0EPiN6thrust23THRUST_200600_302600_NS10device_ptrIlEEjNS0_19identity_decomposerEEE10hipError_tT1_T2_PT3_SG_jT4_jjP12ihipStream_tbEUlT_E_NS1_11comp_targetILNS1_3genE9ELNS1_11target_archE1100ELNS1_3gpuE3ELNS1_3repE0EEENS1_52radix_sort_onesweep_histogram_config_static_selectorELNS0_4arch9wavefront6targetE1EEEvSE_
    .private_segment_fixed_size: 0
    .sgpr_count:     4
    .sgpr_spill_count: 0
    .symbol:         _ZN7rocprim17ROCPRIM_400000_NS6detail17trampoline_kernelINS0_14default_configENS1_35radix_sort_onesweep_config_selectorIilEEZNS1_34radix_sort_onesweep_global_offsetsIS3_Lb0EPiN6thrust23THRUST_200600_302600_NS10device_ptrIlEEjNS0_19identity_decomposerEEE10hipError_tT1_T2_PT3_SG_jT4_jjP12ihipStream_tbEUlT_E_NS1_11comp_targetILNS1_3genE9ELNS1_11target_archE1100ELNS1_3gpuE3ELNS1_3repE0EEENS1_52radix_sort_onesweep_histogram_config_static_selectorELNS0_4arch9wavefront6targetE1EEEvSE_.kd
    .uniform_work_group_size: 1
    .uses_dynamic_stack: false
    .vgpr_count:     0
    .vgpr_spill_count: 0
    .wavefront_size: 64
  - .agpr_count:     0
    .args:
      - .offset:         0
        .size:           40
        .value_kind:     by_value
    .group_segment_fixed_size: 0
    .kernarg_segment_align: 8
    .kernarg_segment_size: 40
    .language:       OpenCL C
    .language_version:
      - 2
      - 0
    .max_flat_workgroup_size: 1024
    .name:           _ZN7rocprim17ROCPRIM_400000_NS6detail17trampoline_kernelINS0_14default_configENS1_35radix_sort_onesweep_config_selectorIilEEZNS1_34radix_sort_onesweep_global_offsetsIS3_Lb0EPiN6thrust23THRUST_200600_302600_NS10device_ptrIlEEjNS0_19identity_decomposerEEE10hipError_tT1_T2_PT3_SG_jT4_jjP12ihipStream_tbEUlT_E_NS1_11comp_targetILNS1_3genE8ELNS1_11target_archE1030ELNS1_3gpuE2ELNS1_3repE0EEENS1_52radix_sort_onesweep_histogram_config_static_selectorELNS0_4arch9wavefront6targetE1EEEvSE_
    .private_segment_fixed_size: 0
    .sgpr_count:     4
    .sgpr_spill_count: 0
    .symbol:         _ZN7rocprim17ROCPRIM_400000_NS6detail17trampoline_kernelINS0_14default_configENS1_35radix_sort_onesweep_config_selectorIilEEZNS1_34radix_sort_onesweep_global_offsetsIS3_Lb0EPiN6thrust23THRUST_200600_302600_NS10device_ptrIlEEjNS0_19identity_decomposerEEE10hipError_tT1_T2_PT3_SG_jT4_jjP12ihipStream_tbEUlT_E_NS1_11comp_targetILNS1_3genE8ELNS1_11target_archE1030ELNS1_3gpuE2ELNS1_3repE0EEENS1_52radix_sort_onesweep_histogram_config_static_selectorELNS0_4arch9wavefront6targetE1EEEvSE_.kd
    .uniform_work_group_size: 1
    .uses_dynamic_stack: false
    .vgpr_count:     0
    .vgpr_spill_count: 0
    .wavefront_size: 64
  - .agpr_count:     0
    .args:
      - .address_space:  global
        .offset:         0
        .size:           8
        .value_kind:     global_buffer
    .group_segment_fixed_size: 0
    .kernarg_segment_align: 8
    .kernarg_segment_size: 8
    .language:       OpenCL C
    .language_version:
      - 2
      - 0
    .max_flat_workgroup_size: 512
    .name:           _ZN7rocprim17ROCPRIM_400000_NS6detail17trampoline_kernelINS0_14default_configENS1_35radix_sort_onesweep_config_selectorIilEEZNS1_34radix_sort_onesweep_global_offsetsIS3_Lb0EPiN6thrust23THRUST_200600_302600_NS10device_ptrIlEEjNS0_19identity_decomposerEEE10hipError_tT1_T2_PT3_SG_jT4_jjP12ihipStream_tbEUlT_E0_NS1_11comp_targetILNS1_3genE0ELNS1_11target_archE4294967295ELNS1_3gpuE0ELNS1_3repE0EEENS1_52radix_sort_onesweep_histogram_config_static_selectorELNS0_4arch9wavefront6targetE1EEEvSE_
    .private_segment_fixed_size: 0
    .sgpr_count:     4
    .sgpr_spill_count: 0
    .symbol:         _ZN7rocprim17ROCPRIM_400000_NS6detail17trampoline_kernelINS0_14default_configENS1_35radix_sort_onesweep_config_selectorIilEEZNS1_34radix_sort_onesweep_global_offsetsIS3_Lb0EPiN6thrust23THRUST_200600_302600_NS10device_ptrIlEEjNS0_19identity_decomposerEEE10hipError_tT1_T2_PT3_SG_jT4_jjP12ihipStream_tbEUlT_E0_NS1_11comp_targetILNS1_3genE0ELNS1_11target_archE4294967295ELNS1_3gpuE0ELNS1_3repE0EEENS1_52radix_sort_onesweep_histogram_config_static_selectorELNS0_4arch9wavefront6targetE1EEEvSE_.kd
    .uniform_work_group_size: 1
    .uses_dynamic_stack: false
    .vgpr_count:     0
    .vgpr_spill_count: 0
    .wavefront_size: 64
  - .agpr_count:     0
    .args:
      - .address_space:  global
        .offset:         0
        .size:           8
        .value_kind:     global_buffer
    .group_segment_fixed_size: 0
    .kernarg_segment_align: 8
    .kernarg_segment_size: 8
    .language:       OpenCL C
    .language_version:
      - 2
      - 0
    .max_flat_workgroup_size: 1024
    .name:           _ZN7rocprim17ROCPRIM_400000_NS6detail17trampoline_kernelINS0_14default_configENS1_35radix_sort_onesweep_config_selectorIilEEZNS1_34radix_sort_onesweep_global_offsetsIS3_Lb0EPiN6thrust23THRUST_200600_302600_NS10device_ptrIlEEjNS0_19identity_decomposerEEE10hipError_tT1_T2_PT3_SG_jT4_jjP12ihipStream_tbEUlT_E0_NS1_11comp_targetILNS1_3genE6ELNS1_11target_archE950ELNS1_3gpuE13ELNS1_3repE0EEENS1_52radix_sort_onesweep_histogram_config_static_selectorELNS0_4arch9wavefront6targetE1EEEvSE_
    .private_segment_fixed_size: 0
    .sgpr_count:     4
    .sgpr_spill_count: 0
    .symbol:         _ZN7rocprim17ROCPRIM_400000_NS6detail17trampoline_kernelINS0_14default_configENS1_35radix_sort_onesweep_config_selectorIilEEZNS1_34radix_sort_onesweep_global_offsetsIS3_Lb0EPiN6thrust23THRUST_200600_302600_NS10device_ptrIlEEjNS0_19identity_decomposerEEE10hipError_tT1_T2_PT3_SG_jT4_jjP12ihipStream_tbEUlT_E0_NS1_11comp_targetILNS1_3genE6ELNS1_11target_archE950ELNS1_3gpuE13ELNS1_3repE0EEENS1_52radix_sort_onesweep_histogram_config_static_selectorELNS0_4arch9wavefront6targetE1EEEvSE_.kd
    .uniform_work_group_size: 1
    .uses_dynamic_stack: false
    .vgpr_count:     0
    .vgpr_spill_count: 0
    .wavefront_size: 64
  - .agpr_count:     0
    .args:
      - .address_space:  global
        .offset:         0
        .size:           8
        .value_kind:     global_buffer
    .group_segment_fixed_size: 0
    .kernarg_segment_align: 8
    .kernarg_segment_size: 8
    .language:       OpenCL C
    .language_version:
      - 2
      - 0
    .max_flat_workgroup_size: 1024
    .name:           _ZN7rocprim17ROCPRIM_400000_NS6detail17trampoline_kernelINS0_14default_configENS1_35radix_sort_onesweep_config_selectorIilEEZNS1_34radix_sort_onesweep_global_offsetsIS3_Lb0EPiN6thrust23THRUST_200600_302600_NS10device_ptrIlEEjNS0_19identity_decomposerEEE10hipError_tT1_T2_PT3_SG_jT4_jjP12ihipStream_tbEUlT_E0_NS1_11comp_targetILNS1_3genE5ELNS1_11target_archE942ELNS1_3gpuE9ELNS1_3repE0EEENS1_52radix_sort_onesweep_histogram_config_static_selectorELNS0_4arch9wavefront6targetE1EEEvSE_
    .private_segment_fixed_size: 0
    .sgpr_count:     4
    .sgpr_spill_count: 0
    .symbol:         _ZN7rocprim17ROCPRIM_400000_NS6detail17trampoline_kernelINS0_14default_configENS1_35radix_sort_onesweep_config_selectorIilEEZNS1_34radix_sort_onesweep_global_offsetsIS3_Lb0EPiN6thrust23THRUST_200600_302600_NS10device_ptrIlEEjNS0_19identity_decomposerEEE10hipError_tT1_T2_PT3_SG_jT4_jjP12ihipStream_tbEUlT_E0_NS1_11comp_targetILNS1_3genE5ELNS1_11target_archE942ELNS1_3gpuE9ELNS1_3repE0EEENS1_52radix_sort_onesweep_histogram_config_static_selectorELNS0_4arch9wavefront6targetE1EEEvSE_.kd
    .uniform_work_group_size: 1
    .uses_dynamic_stack: false
    .vgpr_count:     0
    .vgpr_spill_count: 0
    .wavefront_size: 64
  - .agpr_count:     0
    .args:
      - .address_space:  global
        .offset:         0
        .size:           8
        .value_kind:     global_buffer
    .group_segment_fixed_size: 0
    .kernarg_segment_align: 8
    .kernarg_segment_size: 8
    .language:       OpenCL C
    .language_version:
      - 2
      - 0
    .max_flat_workgroup_size: 512
    .name:           _ZN7rocprim17ROCPRIM_400000_NS6detail17trampoline_kernelINS0_14default_configENS1_35radix_sort_onesweep_config_selectorIilEEZNS1_34radix_sort_onesweep_global_offsetsIS3_Lb0EPiN6thrust23THRUST_200600_302600_NS10device_ptrIlEEjNS0_19identity_decomposerEEE10hipError_tT1_T2_PT3_SG_jT4_jjP12ihipStream_tbEUlT_E0_NS1_11comp_targetILNS1_3genE2ELNS1_11target_archE906ELNS1_3gpuE6ELNS1_3repE0EEENS1_52radix_sort_onesweep_histogram_config_static_selectorELNS0_4arch9wavefront6targetE1EEEvSE_
    .private_segment_fixed_size: 0
    .sgpr_count:     4
    .sgpr_spill_count: 0
    .symbol:         _ZN7rocprim17ROCPRIM_400000_NS6detail17trampoline_kernelINS0_14default_configENS1_35radix_sort_onesweep_config_selectorIilEEZNS1_34radix_sort_onesweep_global_offsetsIS3_Lb0EPiN6thrust23THRUST_200600_302600_NS10device_ptrIlEEjNS0_19identity_decomposerEEE10hipError_tT1_T2_PT3_SG_jT4_jjP12ihipStream_tbEUlT_E0_NS1_11comp_targetILNS1_3genE2ELNS1_11target_archE906ELNS1_3gpuE6ELNS1_3repE0EEENS1_52radix_sort_onesweep_histogram_config_static_selectorELNS0_4arch9wavefront6targetE1EEEvSE_.kd
    .uniform_work_group_size: 1
    .uses_dynamic_stack: false
    .vgpr_count:     0
    .vgpr_spill_count: 0
    .wavefront_size: 64
  - .agpr_count:     0
    .args:
      - .address_space:  global
        .offset:         0
        .size:           8
        .value_kind:     global_buffer
    .group_segment_fixed_size: 32
    .kernarg_segment_align: 8
    .kernarg_segment_size: 8
    .language:       OpenCL C
    .language_version:
      - 2
      - 0
    .max_flat_workgroup_size: 512
    .name:           _ZN7rocprim17ROCPRIM_400000_NS6detail17trampoline_kernelINS0_14default_configENS1_35radix_sort_onesweep_config_selectorIilEEZNS1_34radix_sort_onesweep_global_offsetsIS3_Lb0EPiN6thrust23THRUST_200600_302600_NS10device_ptrIlEEjNS0_19identity_decomposerEEE10hipError_tT1_T2_PT3_SG_jT4_jjP12ihipStream_tbEUlT_E0_NS1_11comp_targetILNS1_3genE4ELNS1_11target_archE910ELNS1_3gpuE8ELNS1_3repE0EEENS1_52radix_sort_onesweep_histogram_config_static_selectorELNS0_4arch9wavefront6targetE1EEEvSE_
    .private_segment_fixed_size: 0
    .sgpr_count:     11
    .sgpr_spill_count: 0
    .symbol:         _ZN7rocprim17ROCPRIM_400000_NS6detail17trampoline_kernelINS0_14default_configENS1_35radix_sort_onesweep_config_selectorIilEEZNS1_34radix_sort_onesweep_global_offsetsIS3_Lb0EPiN6thrust23THRUST_200600_302600_NS10device_ptrIlEEjNS0_19identity_decomposerEEE10hipError_tT1_T2_PT3_SG_jT4_jjP12ihipStream_tbEUlT_E0_NS1_11comp_targetILNS1_3genE4ELNS1_11target_archE910ELNS1_3gpuE8ELNS1_3repE0EEENS1_52radix_sort_onesweep_histogram_config_static_selectorELNS0_4arch9wavefront6targetE1EEEvSE_.kd
    .uniform_work_group_size: 1
    .uses_dynamic_stack: false
    .vgpr_count:     8
    .vgpr_spill_count: 0
    .wavefront_size: 64
  - .agpr_count:     0
    .args:
      - .address_space:  global
        .offset:         0
        .size:           8
        .value_kind:     global_buffer
    .group_segment_fixed_size: 0
    .kernarg_segment_align: 8
    .kernarg_segment_size: 8
    .language:       OpenCL C
    .language_version:
      - 2
      - 0
    .max_flat_workgroup_size: 512
    .name:           _ZN7rocprim17ROCPRIM_400000_NS6detail17trampoline_kernelINS0_14default_configENS1_35radix_sort_onesweep_config_selectorIilEEZNS1_34radix_sort_onesweep_global_offsetsIS3_Lb0EPiN6thrust23THRUST_200600_302600_NS10device_ptrIlEEjNS0_19identity_decomposerEEE10hipError_tT1_T2_PT3_SG_jT4_jjP12ihipStream_tbEUlT_E0_NS1_11comp_targetILNS1_3genE3ELNS1_11target_archE908ELNS1_3gpuE7ELNS1_3repE0EEENS1_52radix_sort_onesweep_histogram_config_static_selectorELNS0_4arch9wavefront6targetE1EEEvSE_
    .private_segment_fixed_size: 0
    .sgpr_count:     4
    .sgpr_spill_count: 0
    .symbol:         _ZN7rocprim17ROCPRIM_400000_NS6detail17trampoline_kernelINS0_14default_configENS1_35radix_sort_onesweep_config_selectorIilEEZNS1_34radix_sort_onesweep_global_offsetsIS3_Lb0EPiN6thrust23THRUST_200600_302600_NS10device_ptrIlEEjNS0_19identity_decomposerEEE10hipError_tT1_T2_PT3_SG_jT4_jjP12ihipStream_tbEUlT_E0_NS1_11comp_targetILNS1_3genE3ELNS1_11target_archE908ELNS1_3gpuE7ELNS1_3repE0EEENS1_52radix_sort_onesweep_histogram_config_static_selectorELNS0_4arch9wavefront6targetE1EEEvSE_.kd
    .uniform_work_group_size: 1
    .uses_dynamic_stack: false
    .vgpr_count:     0
    .vgpr_spill_count: 0
    .wavefront_size: 64
  - .agpr_count:     0
    .args:
      - .address_space:  global
        .offset:         0
        .size:           8
        .value_kind:     global_buffer
    .group_segment_fixed_size: 0
    .kernarg_segment_align: 8
    .kernarg_segment_size: 8
    .language:       OpenCL C
    .language_version:
      - 2
      - 0
    .max_flat_workgroup_size: 1024
    .name:           _ZN7rocprim17ROCPRIM_400000_NS6detail17trampoline_kernelINS0_14default_configENS1_35radix_sort_onesweep_config_selectorIilEEZNS1_34radix_sort_onesweep_global_offsetsIS3_Lb0EPiN6thrust23THRUST_200600_302600_NS10device_ptrIlEEjNS0_19identity_decomposerEEE10hipError_tT1_T2_PT3_SG_jT4_jjP12ihipStream_tbEUlT_E0_NS1_11comp_targetILNS1_3genE10ELNS1_11target_archE1201ELNS1_3gpuE5ELNS1_3repE0EEENS1_52radix_sort_onesweep_histogram_config_static_selectorELNS0_4arch9wavefront6targetE1EEEvSE_
    .private_segment_fixed_size: 0
    .sgpr_count:     4
    .sgpr_spill_count: 0
    .symbol:         _ZN7rocprim17ROCPRIM_400000_NS6detail17trampoline_kernelINS0_14default_configENS1_35radix_sort_onesweep_config_selectorIilEEZNS1_34radix_sort_onesweep_global_offsetsIS3_Lb0EPiN6thrust23THRUST_200600_302600_NS10device_ptrIlEEjNS0_19identity_decomposerEEE10hipError_tT1_T2_PT3_SG_jT4_jjP12ihipStream_tbEUlT_E0_NS1_11comp_targetILNS1_3genE10ELNS1_11target_archE1201ELNS1_3gpuE5ELNS1_3repE0EEENS1_52radix_sort_onesweep_histogram_config_static_selectorELNS0_4arch9wavefront6targetE1EEEvSE_.kd
    .uniform_work_group_size: 1
    .uses_dynamic_stack: false
    .vgpr_count:     0
    .vgpr_spill_count: 0
    .wavefront_size: 64
  - .agpr_count:     0
    .args:
      - .address_space:  global
        .offset:         0
        .size:           8
        .value_kind:     global_buffer
    .group_segment_fixed_size: 0
    .kernarg_segment_align: 8
    .kernarg_segment_size: 8
    .language:       OpenCL C
    .language_version:
      - 2
      - 0
    .max_flat_workgroup_size: 1024
    .name:           _ZN7rocprim17ROCPRIM_400000_NS6detail17trampoline_kernelINS0_14default_configENS1_35radix_sort_onesweep_config_selectorIilEEZNS1_34radix_sort_onesweep_global_offsetsIS3_Lb0EPiN6thrust23THRUST_200600_302600_NS10device_ptrIlEEjNS0_19identity_decomposerEEE10hipError_tT1_T2_PT3_SG_jT4_jjP12ihipStream_tbEUlT_E0_NS1_11comp_targetILNS1_3genE9ELNS1_11target_archE1100ELNS1_3gpuE3ELNS1_3repE0EEENS1_52radix_sort_onesweep_histogram_config_static_selectorELNS0_4arch9wavefront6targetE1EEEvSE_
    .private_segment_fixed_size: 0
    .sgpr_count:     4
    .sgpr_spill_count: 0
    .symbol:         _ZN7rocprim17ROCPRIM_400000_NS6detail17trampoline_kernelINS0_14default_configENS1_35radix_sort_onesweep_config_selectorIilEEZNS1_34radix_sort_onesweep_global_offsetsIS3_Lb0EPiN6thrust23THRUST_200600_302600_NS10device_ptrIlEEjNS0_19identity_decomposerEEE10hipError_tT1_T2_PT3_SG_jT4_jjP12ihipStream_tbEUlT_E0_NS1_11comp_targetILNS1_3genE9ELNS1_11target_archE1100ELNS1_3gpuE3ELNS1_3repE0EEENS1_52radix_sort_onesweep_histogram_config_static_selectorELNS0_4arch9wavefront6targetE1EEEvSE_.kd
    .uniform_work_group_size: 1
    .uses_dynamic_stack: false
    .vgpr_count:     0
    .vgpr_spill_count: 0
    .wavefront_size: 64
  - .agpr_count:     0
    .args:
      - .address_space:  global
        .offset:         0
        .size:           8
        .value_kind:     global_buffer
    .group_segment_fixed_size: 0
    .kernarg_segment_align: 8
    .kernarg_segment_size: 8
    .language:       OpenCL C
    .language_version:
      - 2
      - 0
    .max_flat_workgroup_size: 1024
    .name:           _ZN7rocprim17ROCPRIM_400000_NS6detail17trampoline_kernelINS0_14default_configENS1_35radix_sort_onesweep_config_selectorIilEEZNS1_34radix_sort_onesweep_global_offsetsIS3_Lb0EPiN6thrust23THRUST_200600_302600_NS10device_ptrIlEEjNS0_19identity_decomposerEEE10hipError_tT1_T2_PT3_SG_jT4_jjP12ihipStream_tbEUlT_E0_NS1_11comp_targetILNS1_3genE8ELNS1_11target_archE1030ELNS1_3gpuE2ELNS1_3repE0EEENS1_52radix_sort_onesweep_histogram_config_static_selectorELNS0_4arch9wavefront6targetE1EEEvSE_
    .private_segment_fixed_size: 0
    .sgpr_count:     4
    .sgpr_spill_count: 0
    .symbol:         _ZN7rocprim17ROCPRIM_400000_NS6detail17trampoline_kernelINS0_14default_configENS1_35radix_sort_onesweep_config_selectorIilEEZNS1_34radix_sort_onesweep_global_offsetsIS3_Lb0EPiN6thrust23THRUST_200600_302600_NS10device_ptrIlEEjNS0_19identity_decomposerEEE10hipError_tT1_T2_PT3_SG_jT4_jjP12ihipStream_tbEUlT_E0_NS1_11comp_targetILNS1_3genE8ELNS1_11target_archE1030ELNS1_3gpuE2ELNS1_3repE0EEENS1_52radix_sort_onesweep_histogram_config_static_selectorELNS0_4arch9wavefront6targetE1EEEvSE_.kd
    .uniform_work_group_size: 1
    .uses_dynamic_stack: false
    .vgpr_count:     0
    .vgpr_spill_count: 0
    .wavefront_size: 64
  - .agpr_count:     0
    .args:
      - .offset:         0
        .size:           88
        .value_kind:     by_value
    .group_segment_fixed_size: 0
    .kernarg_segment_align: 8
    .kernarg_segment_size: 88
    .language:       OpenCL C
    .language_version:
      - 2
      - 0
    .max_flat_workgroup_size: 512
    .name:           _ZN7rocprim17ROCPRIM_400000_NS6detail17trampoline_kernelINS0_14default_configENS1_35radix_sort_onesweep_config_selectorIilEEZZNS1_29radix_sort_onesweep_iterationIS3_Lb0EPiS7_N6thrust23THRUST_200600_302600_NS10device_ptrIlEESB_jNS0_19identity_decomposerENS1_16block_id_wrapperIjLb1EEEEE10hipError_tT1_PNSt15iterator_traitsISG_E10value_typeET2_T3_PNSH_ISM_E10value_typeET4_T5_PSR_SS_PNS1_23onesweep_lookback_stateEbbT6_jjT7_P12ihipStream_tbENKUlT_T0_SG_SL_E_clIS7_S7_SB_SB_EEDaSZ_S10_SG_SL_EUlSZ_E_NS1_11comp_targetILNS1_3genE0ELNS1_11target_archE4294967295ELNS1_3gpuE0ELNS1_3repE0EEENS1_47radix_sort_onesweep_sort_config_static_selectorELNS0_4arch9wavefront6targetE1EEEvSG_
    .private_segment_fixed_size: 0
    .sgpr_count:     4
    .sgpr_spill_count: 0
    .symbol:         _ZN7rocprim17ROCPRIM_400000_NS6detail17trampoline_kernelINS0_14default_configENS1_35radix_sort_onesweep_config_selectorIilEEZZNS1_29radix_sort_onesweep_iterationIS3_Lb0EPiS7_N6thrust23THRUST_200600_302600_NS10device_ptrIlEESB_jNS0_19identity_decomposerENS1_16block_id_wrapperIjLb1EEEEE10hipError_tT1_PNSt15iterator_traitsISG_E10value_typeET2_T3_PNSH_ISM_E10value_typeET4_T5_PSR_SS_PNS1_23onesweep_lookback_stateEbbT6_jjT7_P12ihipStream_tbENKUlT_T0_SG_SL_E_clIS7_S7_SB_SB_EEDaSZ_S10_SG_SL_EUlSZ_E_NS1_11comp_targetILNS1_3genE0ELNS1_11target_archE4294967295ELNS1_3gpuE0ELNS1_3repE0EEENS1_47radix_sort_onesweep_sort_config_static_selectorELNS0_4arch9wavefront6targetE1EEEvSG_.kd
    .uniform_work_group_size: 1
    .uses_dynamic_stack: false
    .vgpr_count:     0
    .vgpr_spill_count: 0
    .wavefront_size: 64
  - .agpr_count:     0
    .args:
      - .offset:         0
        .size:           88
        .value_kind:     by_value
    .group_segment_fixed_size: 0
    .kernarg_segment_align: 8
    .kernarg_segment_size: 88
    .language:       OpenCL C
    .language_version:
      - 2
      - 0
    .max_flat_workgroup_size: 1024
    .name:           _ZN7rocprim17ROCPRIM_400000_NS6detail17trampoline_kernelINS0_14default_configENS1_35radix_sort_onesweep_config_selectorIilEEZZNS1_29radix_sort_onesweep_iterationIS3_Lb0EPiS7_N6thrust23THRUST_200600_302600_NS10device_ptrIlEESB_jNS0_19identity_decomposerENS1_16block_id_wrapperIjLb1EEEEE10hipError_tT1_PNSt15iterator_traitsISG_E10value_typeET2_T3_PNSH_ISM_E10value_typeET4_T5_PSR_SS_PNS1_23onesweep_lookback_stateEbbT6_jjT7_P12ihipStream_tbENKUlT_T0_SG_SL_E_clIS7_S7_SB_SB_EEDaSZ_S10_SG_SL_EUlSZ_E_NS1_11comp_targetILNS1_3genE6ELNS1_11target_archE950ELNS1_3gpuE13ELNS1_3repE0EEENS1_47radix_sort_onesweep_sort_config_static_selectorELNS0_4arch9wavefront6targetE1EEEvSG_
    .private_segment_fixed_size: 0
    .sgpr_count:     4
    .sgpr_spill_count: 0
    .symbol:         _ZN7rocprim17ROCPRIM_400000_NS6detail17trampoline_kernelINS0_14default_configENS1_35radix_sort_onesweep_config_selectorIilEEZZNS1_29radix_sort_onesweep_iterationIS3_Lb0EPiS7_N6thrust23THRUST_200600_302600_NS10device_ptrIlEESB_jNS0_19identity_decomposerENS1_16block_id_wrapperIjLb1EEEEE10hipError_tT1_PNSt15iterator_traitsISG_E10value_typeET2_T3_PNSH_ISM_E10value_typeET4_T5_PSR_SS_PNS1_23onesweep_lookback_stateEbbT6_jjT7_P12ihipStream_tbENKUlT_T0_SG_SL_E_clIS7_S7_SB_SB_EEDaSZ_S10_SG_SL_EUlSZ_E_NS1_11comp_targetILNS1_3genE6ELNS1_11target_archE950ELNS1_3gpuE13ELNS1_3repE0EEENS1_47radix_sort_onesweep_sort_config_static_selectorELNS0_4arch9wavefront6targetE1EEEvSG_.kd
    .uniform_work_group_size: 1
    .uses_dynamic_stack: false
    .vgpr_count:     0
    .vgpr_spill_count: 0
    .wavefront_size: 64
  - .agpr_count:     0
    .args:
      - .offset:         0
        .size:           88
        .value_kind:     by_value
    .group_segment_fixed_size: 0
    .kernarg_segment_align: 8
    .kernarg_segment_size: 88
    .language:       OpenCL C
    .language_version:
      - 2
      - 0
    .max_flat_workgroup_size: 1024
    .name:           _ZN7rocprim17ROCPRIM_400000_NS6detail17trampoline_kernelINS0_14default_configENS1_35radix_sort_onesweep_config_selectorIilEEZZNS1_29radix_sort_onesweep_iterationIS3_Lb0EPiS7_N6thrust23THRUST_200600_302600_NS10device_ptrIlEESB_jNS0_19identity_decomposerENS1_16block_id_wrapperIjLb1EEEEE10hipError_tT1_PNSt15iterator_traitsISG_E10value_typeET2_T3_PNSH_ISM_E10value_typeET4_T5_PSR_SS_PNS1_23onesweep_lookback_stateEbbT6_jjT7_P12ihipStream_tbENKUlT_T0_SG_SL_E_clIS7_S7_SB_SB_EEDaSZ_S10_SG_SL_EUlSZ_E_NS1_11comp_targetILNS1_3genE5ELNS1_11target_archE942ELNS1_3gpuE9ELNS1_3repE0EEENS1_47radix_sort_onesweep_sort_config_static_selectorELNS0_4arch9wavefront6targetE1EEEvSG_
    .private_segment_fixed_size: 0
    .sgpr_count:     4
    .sgpr_spill_count: 0
    .symbol:         _ZN7rocprim17ROCPRIM_400000_NS6detail17trampoline_kernelINS0_14default_configENS1_35radix_sort_onesweep_config_selectorIilEEZZNS1_29radix_sort_onesweep_iterationIS3_Lb0EPiS7_N6thrust23THRUST_200600_302600_NS10device_ptrIlEESB_jNS0_19identity_decomposerENS1_16block_id_wrapperIjLb1EEEEE10hipError_tT1_PNSt15iterator_traitsISG_E10value_typeET2_T3_PNSH_ISM_E10value_typeET4_T5_PSR_SS_PNS1_23onesweep_lookback_stateEbbT6_jjT7_P12ihipStream_tbENKUlT_T0_SG_SL_E_clIS7_S7_SB_SB_EEDaSZ_S10_SG_SL_EUlSZ_E_NS1_11comp_targetILNS1_3genE5ELNS1_11target_archE942ELNS1_3gpuE9ELNS1_3repE0EEENS1_47radix_sort_onesweep_sort_config_static_selectorELNS0_4arch9wavefront6targetE1EEEvSG_.kd
    .uniform_work_group_size: 1
    .uses_dynamic_stack: false
    .vgpr_count:     0
    .vgpr_spill_count: 0
    .wavefront_size: 64
  - .agpr_count:     0
    .args:
      - .offset:         0
        .size:           88
        .value_kind:     by_value
    .group_segment_fixed_size: 0
    .kernarg_segment_align: 8
    .kernarg_segment_size: 88
    .language:       OpenCL C
    .language_version:
      - 2
      - 0
    .max_flat_workgroup_size: 512
    .name:           _ZN7rocprim17ROCPRIM_400000_NS6detail17trampoline_kernelINS0_14default_configENS1_35radix_sort_onesweep_config_selectorIilEEZZNS1_29radix_sort_onesweep_iterationIS3_Lb0EPiS7_N6thrust23THRUST_200600_302600_NS10device_ptrIlEESB_jNS0_19identity_decomposerENS1_16block_id_wrapperIjLb1EEEEE10hipError_tT1_PNSt15iterator_traitsISG_E10value_typeET2_T3_PNSH_ISM_E10value_typeET4_T5_PSR_SS_PNS1_23onesweep_lookback_stateEbbT6_jjT7_P12ihipStream_tbENKUlT_T0_SG_SL_E_clIS7_S7_SB_SB_EEDaSZ_S10_SG_SL_EUlSZ_E_NS1_11comp_targetILNS1_3genE2ELNS1_11target_archE906ELNS1_3gpuE6ELNS1_3repE0EEENS1_47radix_sort_onesweep_sort_config_static_selectorELNS0_4arch9wavefront6targetE1EEEvSG_
    .private_segment_fixed_size: 0
    .sgpr_count:     4
    .sgpr_spill_count: 0
    .symbol:         _ZN7rocprim17ROCPRIM_400000_NS6detail17trampoline_kernelINS0_14default_configENS1_35radix_sort_onesweep_config_selectorIilEEZZNS1_29radix_sort_onesweep_iterationIS3_Lb0EPiS7_N6thrust23THRUST_200600_302600_NS10device_ptrIlEESB_jNS0_19identity_decomposerENS1_16block_id_wrapperIjLb1EEEEE10hipError_tT1_PNSt15iterator_traitsISG_E10value_typeET2_T3_PNSH_ISM_E10value_typeET4_T5_PSR_SS_PNS1_23onesweep_lookback_stateEbbT6_jjT7_P12ihipStream_tbENKUlT_T0_SG_SL_E_clIS7_S7_SB_SB_EEDaSZ_S10_SG_SL_EUlSZ_E_NS1_11comp_targetILNS1_3genE2ELNS1_11target_archE906ELNS1_3gpuE6ELNS1_3repE0EEENS1_47radix_sort_onesweep_sort_config_static_selectorELNS0_4arch9wavefront6targetE1EEEvSG_.kd
    .uniform_work_group_size: 1
    .uses_dynamic_stack: false
    .vgpr_count:     0
    .vgpr_spill_count: 0
    .wavefront_size: 64
  - .agpr_count:     0
    .args:
      - .offset:         0
        .size:           88
        .value_kind:     by_value
      - .offset:         88
        .size:           4
        .value_kind:     hidden_block_count_x
      - .offset:         92
        .size:           4
        .value_kind:     hidden_block_count_y
      - .offset:         96
        .size:           4
        .value_kind:     hidden_block_count_z
      - .offset:         100
        .size:           2
        .value_kind:     hidden_group_size_x
      - .offset:         102
        .size:           2
        .value_kind:     hidden_group_size_y
      - .offset:         104
        .size:           2
        .value_kind:     hidden_group_size_z
      - .offset:         106
        .size:           2
        .value_kind:     hidden_remainder_x
      - .offset:         108
        .size:           2
        .value_kind:     hidden_remainder_y
      - .offset:         110
        .size:           2
        .value_kind:     hidden_remainder_z
      - .offset:         128
        .size:           8
        .value_kind:     hidden_global_offset_x
      - .offset:         136
        .size:           8
        .value_kind:     hidden_global_offset_y
      - .offset:         144
        .size:           8
        .value_kind:     hidden_global_offset_z
      - .offset:         152
        .size:           2
        .value_kind:     hidden_grid_dims
    .group_segment_fixed_size: 10280
    .kernarg_segment_align: 8
    .kernarg_segment_size: 344
    .language:       OpenCL C
    .language_version:
      - 2
      - 0
    .max_flat_workgroup_size: 512
    .name:           _ZN7rocprim17ROCPRIM_400000_NS6detail17trampoline_kernelINS0_14default_configENS1_35radix_sort_onesweep_config_selectorIilEEZZNS1_29radix_sort_onesweep_iterationIS3_Lb0EPiS7_N6thrust23THRUST_200600_302600_NS10device_ptrIlEESB_jNS0_19identity_decomposerENS1_16block_id_wrapperIjLb1EEEEE10hipError_tT1_PNSt15iterator_traitsISG_E10value_typeET2_T3_PNSH_ISM_E10value_typeET4_T5_PSR_SS_PNS1_23onesweep_lookback_stateEbbT6_jjT7_P12ihipStream_tbENKUlT_T0_SG_SL_E_clIS7_S7_SB_SB_EEDaSZ_S10_SG_SL_EUlSZ_E_NS1_11comp_targetILNS1_3genE4ELNS1_11target_archE910ELNS1_3gpuE8ELNS1_3repE0EEENS1_47radix_sort_onesweep_sort_config_static_selectorELNS0_4arch9wavefront6targetE1EEEvSG_
    .private_segment_fixed_size: 0
    .sgpr_count:     76
    .sgpr_spill_count: 0
    .symbol:         _ZN7rocprim17ROCPRIM_400000_NS6detail17trampoline_kernelINS0_14default_configENS1_35radix_sort_onesweep_config_selectorIilEEZZNS1_29radix_sort_onesweep_iterationIS3_Lb0EPiS7_N6thrust23THRUST_200600_302600_NS10device_ptrIlEESB_jNS0_19identity_decomposerENS1_16block_id_wrapperIjLb1EEEEE10hipError_tT1_PNSt15iterator_traitsISG_E10value_typeET2_T3_PNSH_ISM_E10value_typeET4_T5_PSR_SS_PNS1_23onesweep_lookback_stateEbbT6_jjT7_P12ihipStream_tbENKUlT_T0_SG_SL_E_clIS7_S7_SB_SB_EEDaSZ_S10_SG_SL_EUlSZ_E_NS1_11comp_targetILNS1_3genE4ELNS1_11target_archE910ELNS1_3gpuE8ELNS1_3repE0EEENS1_47radix_sort_onesweep_sort_config_static_selectorELNS0_4arch9wavefront6targetE1EEEvSG_.kd
    .uniform_work_group_size: 1
    .uses_dynamic_stack: false
    .vgpr_count:     88
    .vgpr_spill_count: 0
    .wavefront_size: 64
  - .agpr_count:     0
    .args:
      - .offset:         0
        .size:           88
        .value_kind:     by_value
    .group_segment_fixed_size: 0
    .kernarg_segment_align: 8
    .kernarg_segment_size: 88
    .language:       OpenCL C
    .language_version:
      - 2
      - 0
    .max_flat_workgroup_size: 512
    .name:           _ZN7rocprim17ROCPRIM_400000_NS6detail17trampoline_kernelINS0_14default_configENS1_35radix_sort_onesweep_config_selectorIilEEZZNS1_29radix_sort_onesweep_iterationIS3_Lb0EPiS7_N6thrust23THRUST_200600_302600_NS10device_ptrIlEESB_jNS0_19identity_decomposerENS1_16block_id_wrapperIjLb1EEEEE10hipError_tT1_PNSt15iterator_traitsISG_E10value_typeET2_T3_PNSH_ISM_E10value_typeET4_T5_PSR_SS_PNS1_23onesweep_lookback_stateEbbT6_jjT7_P12ihipStream_tbENKUlT_T0_SG_SL_E_clIS7_S7_SB_SB_EEDaSZ_S10_SG_SL_EUlSZ_E_NS1_11comp_targetILNS1_3genE3ELNS1_11target_archE908ELNS1_3gpuE7ELNS1_3repE0EEENS1_47radix_sort_onesweep_sort_config_static_selectorELNS0_4arch9wavefront6targetE1EEEvSG_
    .private_segment_fixed_size: 0
    .sgpr_count:     4
    .sgpr_spill_count: 0
    .symbol:         _ZN7rocprim17ROCPRIM_400000_NS6detail17trampoline_kernelINS0_14default_configENS1_35radix_sort_onesweep_config_selectorIilEEZZNS1_29radix_sort_onesweep_iterationIS3_Lb0EPiS7_N6thrust23THRUST_200600_302600_NS10device_ptrIlEESB_jNS0_19identity_decomposerENS1_16block_id_wrapperIjLb1EEEEE10hipError_tT1_PNSt15iterator_traitsISG_E10value_typeET2_T3_PNSH_ISM_E10value_typeET4_T5_PSR_SS_PNS1_23onesweep_lookback_stateEbbT6_jjT7_P12ihipStream_tbENKUlT_T0_SG_SL_E_clIS7_S7_SB_SB_EEDaSZ_S10_SG_SL_EUlSZ_E_NS1_11comp_targetILNS1_3genE3ELNS1_11target_archE908ELNS1_3gpuE7ELNS1_3repE0EEENS1_47radix_sort_onesweep_sort_config_static_selectorELNS0_4arch9wavefront6targetE1EEEvSG_.kd
    .uniform_work_group_size: 1
    .uses_dynamic_stack: false
    .vgpr_count:     0
    .vgpr_spill_count: 0
    .wavefront_size: 64
  - .agpr_count:     0
    .args:
      - .offset:         0
        .size:           88
        .value_kind:     by_value
    .group_segment_fixed_size: 0
    .kernarg_segment_align: 8
    .kernarg_segment_size: 88
    .language:       OpenCL C
    .language_version:
      - 2
      - 0
    .max_flat_workgroup_size: 1024
    .name:           _ZN7rocprim17ROCPRIM_400000_NS6detail17trampoline_kernelINS0_14default_configENS1_35radix_sort_onesweep_config_selectorIilEEZZNS1_29radix_sort_onesweep_iterationIS3_Lb0EPiS7_N6thrust23THRUST_200600_302600_NS10device_ptrIlEESB_jNS0_19identity_decomposerENS1_16block_id_wrapperIjLb1EEEEE10hipError_tT1_PNSt15iterator_traitsISG_E10value_typeET2_T3_PNSH_ISM_E10value_typeET4_T5_PSR_SS_PNS1_23onesweep_lookback_stateEbbT6_jjT7_P12ihipStream_tbENKUlT_T0_SG_SL_E_clIS7_S7_SB_SB_EEDaSZ_S10_SG_SL_EUlSZ_E_NS1_11comp_targetILNS1_3genE10ELNS1_11target_archE1201ELNS1_3gpuE5ELNS1_3repE0EEENS1_47radix_sort_onesweep_sort_config_static_selectorELNS0_4arch9wavefront6targetE1EEEvSG_
    .private_segment_fixed_size: 0
    .sgpr_count:     4
    .sgpr_spill_count: 0
    .symbol:         _ZN7rocprim17ROCPRIM_400000_NS6detail17trampoline_kernelINS0_14default_configENS1_35radix_sort_onesweep_config_selectorIilEEZZNS1_29radix_sort_onesweep_iterationIS3_Lb0EPiS7_N6thrust23THRUST_200600_302600_NS10device_ptrIlEESB_jNS0_19identity_decomposerENS1_16block_id_wrapperIjLb1EEEEE10hipError_tT1_PNSt15iterator_traitsISG_E10value_typeET2_T3_PNSH_ISM_E10value_typeET4_T5_PSR_SS_PNS1_23onesweep_lookback_stateEbbT6_jjT7_P12ihipStream_tbENKUlT_T0_SG_SL_E_clIS7_S7_SB_SB_EEDaSZ_S10_SG_SL_EUlSZ_E_NS1_11comp_targetILNS1_3genE10ELNS1_11target_archE1201ELNS1_3gpuE5ELNS1_3repE0EEENS1_47radix_sort_onesweep_sort_config_static_selectorELNS0_4arch9wavefront6targetE1EEEvSG_.kd
    .uniform_work_group_size: 1
    .uses_dynamic_stack: false
    .vgpr_count:     0
    .vgpr_spill_count: 0
    .wavefront_size: 64
  - .agpr_count:     0
    .args:
      - .offset:         0
        .size:           88
        .value_kind:     by_value
    .group_segment_fixed_size: 0
    .kernarg_segment_align: 8
    .kernarg_segment_size: 88
    .language:       OpenCL C
    .language_version:
      - 2
      - 0
    .max_flat_workgroup_size: 1024
    .name:           _ZN7rocprim17ROCPRIM_400000_NS6detail17trampoline_kernelINS0_14default_configENS1_35radix_sort_onesweep_config_selectorIilEEZZNS1_29radix_sort_onesweep_iterationIS3_Lb0EPiS7_N6thrust23THRUST_200600_302600_NS10device_ptrIlEESB_jNS0_19identity_decomposerENS1_16block_id_wrapperIjLb1EEEEE10hipError_tT1_PNSt15iterator_traitsISG_E10value_typeET2_T3_PNSH_ISM_E10value_typeET4_T5_PSR_SS_PNS1_23onesweep_lookback_stateEbbT6_jjT7_P12ihipStream_tbENKUlT_T0_SG_SL_E_clIS7_S7_SB_SB_EEDaSZ_S10_SG_SL_EUlSZ_E_NS1_11comp_targetILNS1_3genE9ELNS1_11target_archE1100ELNS1_3gpuE3ELNS1_3repE0EEENS1_47radix_sort_onesweep_sort_config_static_selectorELNS0_4arch9wavefront6targetE1EEEvSG_
    .private_segment_fixed_size: 0
    .sgpr_count:     4
    .sgpr_spill_count: 0
    .symbol:         _ZN7rocprim17ROCPRIM_400000_NS6detail17trampoline_kernelINS0_14default_configENS1_35radix_sort_onesweep_config_selectorIilEEZZNS1_29radix_sort_onesweep_iterationIS3_Lb0EPiS7_N6thrust23THRUST_200600_302600_NS10device_ptrIlEESB_jNS0_19identity_decomposerENS1_16block_id_wrapperIjLb1EEEEE10hipError_tT1_PNSt15iterator_traitsISG_E10value_typeET2_T3_PNSH_ISM_E10value_typeET4_T5_PSR_SS_PNS1_23onesweep_lookback_stateEbbT6_jjT7_P12ihipStream_tbENKUlT_T0_SG_SL_E_clIS7_S7_SB_SB_EEDaSZ_S10_SG_SL_EUlSZ_E_NS1_11comp_targetILNS1_3genE9ELNS1_11target_archE1100ELNS1_3gpuE3ELNS1_3repE0EEENS1_47radix_sort_onesweep_sort_config_static_selectorELNS0_4arch9wavefront6targetE1EEEvSG_.kd
    .uniform_work_group_size: 1
    .uses_dynamic_stack: false
    .vgpr_count:     0
    .vgpr_spill_count: 0
    .wavefront_size: 64
  - .agpr_count:     0
    .args:
      - .offset:         0
        .size:           88
        .value_kind:     by_value
    .group_segment_fixed_size: 0
    .kernarg_segment_align: 8
    .kernarg_segment_size: 88
    .language:       OpenCL C
    .language_version:
      - 2
      - 0
    .max_flat_workgroup_size: 1024
    .name:           _ZN7rocprim17ROCPRIM_400000_NS6detail17trampoline_kernelINS0_14default_configENS1_35radix_sort_onesweep_config_selectorIilEEZZNS1_29radix_sort_onesweep_iterationIS3_Lb0EPiS7_N6thrust23THRUST_200600_302600_NS10device_ptrIlEESB_jNS0_19identity_decomposerENS1_16block_id_wrapperIjLb1EEEEE10hipError_tT1_PNSt15iterator_traitsISG_E10value_typeET2_T3_PNSH_ISM_E10value_typeET4_T5_PSR_SS_PNS1_23onesweep_lookback_stateEbbT6_jjT7_P12ihipStream_tbENKUlT_T0_SG_SL_E_clIS7_S7_SB_SB_EEDaSZ_S10_SG_SL_EUlSZ_E_NS1_11comp_targetILNS1_3genE8ELNS1_11target_archE1030ELNS1_3gpuE2ELNS1_3repE0EEENS1_47radix_sort_onesweep_sort_config_static_selectorELNS0_4arch9wavefront6targetE1EEEvSG_
    .private_segment_fixed_size: 0
    .sgpr_count:     4
    .sgpr_spill_count: 0
    .symbol:         _ZN7rocprim17ROCPRIM_400000_NS6detail17trampoline_kernelINS0_14default_configENS1_35radix_sort_onesweep_config_selectorIilEEZZNS1_29radix_sort_onesweep_iterationIS3_Lb0EPiS7_N6thrust23THRUST_200600_302600_NS10device_ptrIlEESB_jNS0_19identity_decomposerENS1_16block_id_wrapperIjLb1EEEEE10hipError_tT1_PNSt15iterator_traitsISG_E10value_typeET2_T3_PNSH_ISM_E10value_typeET4_T5_PSR_SS_PNS1_23onesweep_lookback_stateEbbT6_jjT7_P12ihipStream_tbENKUlT_T0_SG_SL_E_clIS7_S7_SB_SB_EEDaSZ_S10_SG_SL_EUlSZ_E_NS1_11comp_targetILNS1_3genE8ELNS1_11target_archE1030ELNS1_3gpuE2ELNS1_3repE0EEENS1_47radix_sort_onesweep_sort_config_static_selectorELNS0_4arch9wavefront6targetE1EEEvSG_.kd
    .uniform_work_group_size: 1
    .uses_dynamic_stack: false
    .vgpr_count:     0
    .vgpr_spill_count: 0
    .wavefront_size: 64
  - .agpr_count:     0
    .args:
      - .offset:         0
        .size:           88
        .value_kind:     by_value
    .group_segment_fixed_size: 0
    .kernarg_segment_align: 8
    .kernarg_segment_size: 88
    .language:       OpenCL C
    .language_version:
      - 2
      - 0
    .max_flat_workgroup_size: 512
    .name:           _ZN7rocprim17ROCPRIM_400000_NS6detail17trampoline_kernelINS0_14default_configENS1_35radix_sort_onesweep_config_selectorIilEEZZNS1_29radix_sort_onesweep_iterationIS3_Lb0EPiS7_N6thrust23THRUST_200600_302600_NS10device_ptrIlEESB_jNS0_19identity_decomposerENS1_16block_id_wrapperIjLb1EEEEE10hipError_tT1_PNSt15iterator_traitsISG_E10value_typeET2_T3_PNSH_ISM_E10value_typeET4_T5_PSR_SS_PNS1_23onesweep_lookback_stateEbbT6_jjT7_P12ihipStream_tbENKUlT_T0_SG_SL_E_clIS7_S7_SB_PlEEDaSZ_S10_SG_SL_EUlSZ_E_NS1_11comp_targetILNS1_3genE0ELNS1_11target_archE4294967295ELNS1_3gpuE0ELNS1_3repE0EEENS1_47radix_sort_onesweep_sort_config_static_selectorELNS0_4arch9wavefront6targetE1EEEvSG_
    .private_segment_fixed_size: 0
    .sgpr_count:     4
    .sgpr_spill_count: 0
    .symbol:         _ZN7rocprim17ROCPRIM_400000_NS6detail17trampoline_kernelINS0_14default_configENS1_35radix_sort_onesweep_config_selectorIilEEZZNS1_29radix_sort_onesweep_iterationIS3_Lb0EPiS7_N6thrust23THRUST_200600_302600_NS10device_ptrIlEESB_jNS0_19identity_decomposerENS1_16block_id_wrapperIjLb1EEEEE10hipError_tT1_PNSt15iterator_traitsISG_E10value_typeET2_T3_PNSH_ISM_E10value_typeET4_T5_PSR_SS_PNS1_23onesweep_lookback_stateEbbT6_jjT7_P12ihipStream_tbENKUlT_T0_SG_SL_E_clIS7_S7_SB_PlEEDaSZ_S10_SG_SL_EUlSZ_E_NS1_11comp_targetILNS1_3genE0ELNS1_11target_archE4294967295ELNS1_3gpuE0ELNS1_3repE0EEENS1_47radix_sort_onesweep_sort_config_static_selectorELNS0_4arch9wavefront6targetE1EEEvSG_.kd
    .uniform_work_group_size: 1
    .uses_dynamic_stack: false
    .vgpr_count:     0
    .vgpr_spill_count: 0
    .wavefront_size: 64
  - .agpr_count:     0
    .args:
      - .offset:         0
        .size:           88
        .value_kind:     by_value
    .group_segment_fixed_size: 0
    .kernarg_segment_align: 8
    .kernarg_segment_size: 88
    .language:       OpenCL C
    .language_version:
      - 2
      - 0
    .max_flat_workgroup_size: 1024
    .name:           _ZN7rocprim17ROCPRIM_400000_NS6detail17trampoline_kernelINS0_14default_configENS1_35radix_sort_onesweep_config_selectorIilEEZZNS1_29radix_sort_onesweep_iterationIS3_Lb0EPiS7_N6thrust23THRUST_200600_302600_NS10device_ptrIlEESB_jNS0_19identity_decomposerENS1_16block_id_wrapperIjLb1EEEEE10hipError_tT1_PNSt15iterator_traitsISG_E10value_typeET2_T3_PNSH_ISM_E10value_typeET4_T5_PSR_SS_PNS1_23onesweep_lookback_stateEbbT6_jjT7_P12ihipStream_tbENKUlT_T0_SG_SL_E_clIS7_S7_SB_PlEEDaSZ_S10_SG_SL_EUlSZ_E_NS1_11comp_targetILNS1_3genE6ELNS1_11target_archE950ELNS1_3gpuE13ELNS1_3repE0EEENS1_47radix_sort_onesweep_sort_config_static_selectorELNS0_4arch9wavefront6targetE1EEEvSG_
    .private_segment_fixed_size: 0
    .sgpr_count:     4
    .sgpr_spill_count: 0
    .symbol:         _ZN7rocprim17ROCPRIM_400000_NS6detail17trampoline_kernelINS0_14default_configENS1_35radix_sort_onesweep_config_selectorIilEEZZNS1_29radix_sort_onesweep_iterationIS3_Lb0EPiS7_N6thrust23THRUST_200600_302600_NS10device_ptrIlEESB_jNS0_19identity_decomposerENS1_16block_id_wrapperIjLb1EEEEE10hipError_tT1_PNSt15iterator_traitsISG_E10value_typeET2_T3_PNSH_ISM_E10value_typeET4_T5_PSR_SS_PNS1_23onesweep_lookback_stateEbbT6_jjT7_P12ihipStream_tbENKUlT_T0_SG_SL_E_clIS7_S7_SB_PlEEDaSZ_S10_SG_SL_EUlSZ_E_NS1_11comp_targetILNS1_3genE6ELNS1_11target_archE950ELNS1_3gpuE13ELNS1_3repE0EEENS1_47radix_sort_onesweep_sort_config_static_selectorELNS0_4arch9wavefront6targetE1EEEvSG_.kd
    .uniform_work_group_size: 1
    .uses_dynamic_stack: false
    .vgpr_count:     0
    .vgpr_spill_count: 0
    .wavefront_size: 64
  - .agpr_count:     0
    .args:
      - .offset:         0
        .size:           88
        .value_kind:     by_value
    .group_segment_fixed_size: 0
    .kernarg_segment_align: 8
    .kernarg_segment_size: 88
    .language:       OpenCL C
    .language_version:
      - 2
      - 0
    .max_flat_workgroup_size: 1024
    .name:           _ZN7rocprim17ROCPRIM_400000_NS6detail17trampoline_kernelINS0_14default_configENS1_35radix_sort_onesweep_config_selectorIilEEZZNS1_29radix_sort_onesweep_iterationIS3_Lb0EPiS7_N6thrust23THRUST_200600_302600_NS10device_ptrIlEESB_jNS0_19identity_decomposerENS1_16block_id_wrapperIjLb1EEEEE10hipError_tT1_PNSt15iterator_traitsISG_E10value_typeET2_T3_PNSH_ISM_E10value_typeET4_T5_PSR_SS_PNS1_23onesweep_lookback_stateEbbT6_jjT7_P12ihipStream_tbENKUlT_T0_SG_SL_E_clIS7_S7_SB_PlEEDaSZ_S10_SG_SL_EUlSZ_E_NS1_11comp_targetILNS1_3genE5ELNS1_11target_archE942ELNS1_3gpuE9ELNS1_3repE0EEENS1_47radix_sort_onesweep_sort_config_static_selectorELNS0_4arch9wavefront6targetE1EEEvSG_
    .private_segment_fixed_size: 0
    .sgpr_count:     4
    .sgpr_spill_count: 0
    .symbol:         _ZN7rocprim17ROCPRIM_400000_NS6detail17trampoline_kernelINS0_14default_configENS1_35radix_sort_onesweep_config_selectorIilEEZZNS1_29radix_sort_onesweep_iterationIS3_Lb0EPiS7_N6thrust23THRUST_200600_302600_NS10device_ptrIlEESB_jNS0_19identity_decomposerENS1_16block_id_wrapperIjLb1EEEEE10hipError_tT1_PNSt15iterator_traitsISG_E10value_typeET2_T3_PNSH_ISM_E10value_typeET4_T5_PSR_SS_PNS1_23onesweep_lookback_stateEbbT6_jjT7_P12ihipStream_tbENKUlT_T0_SG_SL_E_clIS7_S7_SB_PlEEDaSZ_S10_SG_SL_EUlSZ_E_NS1_11comp_targetILNS1_3genE5ELNS1_11target_archE942ELNS1_3gpuE9ELNS1_3repE0EEENS1_47radix_sort_onesweep_sort_config_static_selectorELNS0_4arch9wavefront6targetE1EEEvSG_.kd
    .uniform_work_group_size: 1
    .uses_dynamic_stack: false
    .vgpr_count:     0
    .vgpr_spill_count: 0
    .wavefront_size: 64
  - .agpr_count:     0
    .args:
      - .offset:         0
        .size:           88
        .value_kind:     by_value
    .group_segment_fixed_size: 0
    .kernarg_segment_align: 8
    .kernarg_segment_size: 88
    .language:       OpenCL C
    .language_version:
      - 2
      - 0
    .max_flat_workgroup_size: 512
    .name:           _ZN7rocprim17ROCPRIM_400000_NS6detail17trampoline_kernelINS0_14default_configENS1_35radix_sort_onesweep_config_selectorIilEEZZNS1_29radix_sort_onesweep_iterationIS3_Lb0EPiS7_N6thrust23THRUST_200600_302600_NS10device_ptrIlEESB_jNS0_19identity_decomposerENS1_16block_id_wrapperIjLb1EEEEE10hipError_tT1_PNSt15iterator_traitsISG_E10value_typeET2_T3_PNSH_ISM_E10value_typeET4_T5_PSR_SS_PNS1_23onesweep_lookback_stateEbbT6_jjT7_P12ihipStream_tbENKUlT_T0_SG_SL_E_clIS7_S7_SB_PlEEDaSZ_S10_SG_SL_EUlSZ_E_NS1_11comp_targetILNS1_3genE2ELNS1_11target_archE906ELNS1_3gpuE6ELNS1_3repE0EEENS1_47radix_sort_onesweep_sort_config_static_selectorELNS0_4arch9wavefront6targetE1EEEvSG_
    .private_segment_fixed_size: 0
    .sgpr_count:     4
    .sgpr_spill_count: 0
    .symbol:         _ZN7rocprim17ROCPRIM_400000_NS6detail17trampoline_kernelINS0_14default_configENS1_35radix_sort_onesweep_config_selectorIilEEZZNS1_29radix_sort_onesweep_iterationIS3_Lb0EPiS7_N6thrust23THRUST_200600_302600_NS10device_ptrIlEESB_jNS0_19identity_decomposerENS1_16block_id_wrapperIjLb1EEEEE10hipError_tT1_PNSt15iterator_traitsISG_E10value_typeET2_T3_PNSH_ISM_E10value_typeET4_T5_PSR_SS_PNS1_23onesweep_lookback_stateEbbT6_jjT7_P12ihipStream_tbENKUlT_T0_SG_SL_E_clIS7_S7_SB_PlEEDaSZ_S10_SG_SL_EUlSZ_E_NS1_11comp_targetILNS1_3genE2ELNS1_11target_archE906ELNS1_3gpuE6ELNS1_3repE0EEENS1_47radix_sort_onesweep_sort_config_static_selectorELNS0_4arch9wavefront6targetE1EEEvSG_.kd
    .uniform_work_group_size: 1
    .uses_dynamic_stack: false
    .vgpr_count:     0
    .vgpr_spill_count: 0
    .wavefront_size: 64
  - .agpr_count:     0
    .args:
      - .offset:         0
        .size:           88
        .value_kind:     by_value
      - .offset:         88
        .size:           4
        .value_kind:     hidden_block_count_x
      - .offset:         92
        .size:           4
        .value_kind:     hidden_block_count_y
      - .offset:         96
        .size:           4
        .value_kind:     hidden_block_count_z
      - .offset:         100
        .size:           2
        .value_kind:     hidden_group_size_x
      - .offset:         102
        .size:           2
        .value_kind:     hidden_group_size_y
      - .offset:         104
        .size:           2
        .value_kind:     hidden_group_size_z
      - .offset:         106
        .size:           2
        .value_kind:     hidden_remainder_x
      - .offset:         108
        .size:           2
        .value_kind:     hidden_remainder_y
      - .offset:         110
        .size:           2
        .value_kind:     hidden_remainder_z
      - .offset:         128
        .size:           8
        .value_kind:     hidden_global_offset_x
      - .offset:         136
        .size:           8
        .value_kind:     hidden_global_offset_y
      - .offset:         144
        .size:           8
        .value_kind:     hidden_global_offset_z
      - .offset:         152
        .size:           2
        .value_kind:     hidden_grid_dims
    .group_segment_fixed_size: 10280
    .kernarg_segment_align: 8
    .kernarg_segment_size: 344
    .language:       OpenCL C
    .language_version:
      - 2
      - 0
    .max_flat_workgroup_size: 512
    .name:           _ZN7rocprim17ROCPRIM_400000_NS6detail17trampoline_kernelINS0_14default_configENS1_35radix_sort_onesweep_config_selectorIilEEZZNS1_29radix_sort_onesweep_iterationIS3_Lb0EPiS7_N6thrust23THRUST_200600_302600_NS10device_ptrIlEESB_jNS0_19identity_decomposerENS1_16block_id_wrapperIjLb1EEEEE10hipError_tT1_PNSt15iterator_traitsISG_E10value_typeET2_T3_PNSH_ISM_E10value_typeET4_T5_PSR_SS_PNS1_23onesweep_lookback_stateEbbT6_jjT7_P12ihipStream_tbENKUlT_T0_SG_SL_E_clIS7_S7_SB_PlEEDaSZ_S10_SG_SL_EUlSZ_E_NS1_11comp_targetILNS1_3genE4ELNS1_11target_archE910ELNS1_3gpuE8ELNS1_3repE0EEENS1_47radix_sort_onesweep_sort_config_static_selectorELNS0_4arch9wavefront6targetE1EEEvSG_
    .private_segment_fixed_size: 0
    .sgpr_count:     76
    .sgpr_spill_count: 0
    .symbol:         _ZN7rocprim17ROCPRIM_400000_NS6detail17trampoline_kernelINS0_14default_configENS1_35radix_sort_onesweep_config_selectorIilEEZZNS1_29radix_sort_onesweep_iterationIS3_Lb0EPiS7_N6thrust23THRUST_200600_302600_NS10device_ptrIlEESB_jNS0_19identity_decomposerENS1_16block_id_wrapperIjLb1EEEEE10hipError_tT1_PNSt15iterator_traitsISG_E10value_typeET2_T3_PNSH_ISM_E10value_typeET4_T5_PSR_SS_PNS1_23onesweep_lookback_stateEbbT6_jjT7_P12ihipStream_tbENKUlT_T0_SG_SL_E_clIS7_S7_SB_PlEEDaSZ_S10_SG_SL_EUlSZ_E_NS1_11comp_targetILNS1_3genE4ELNS1_11target_archE910ELNS1_3gpuE8ELNS1_3repE0EEENS1_47radix_sort_onesweep_sort_config_static_selectorELNS0_4arch9wavefront6targetE1EEEvSG_.kd
    .uniform_work_group_size: 1
    .uses_dynamic_stack: false
    .vgpr_count:     88
    .vgpr_spill_count: 0
    .wavefront_size: 64
  - .agpr_count:     0
    .args:
      - .offset:         0
        .size:           88
        .value_kind:     by_value
    .group_segment_fixed_size: 0
    .kernarg_segment_align: 8
    .kernarg_segment_size: 88
    .language:       OpenCL C
    .language_version:
      - 2
      - 0
    .max_flat_workgroup_size: 512
    .name:           _ZN7rocprim17ROCPRIM_400000_NS6detail17trampoline_kernelINS0_14default_configENS1_35radix_sort_onesweep_config_selectorIilEEZZNS1_29radix_sort_onesweep_iterationIS3_Lb0EPiS7_N6thrust23THRUST_200600_302600_NS10device_ptrIlEESB_jNS0_19identity_decomposerENS1_16block_id_wrapperIjLb1EEEEE10hipError_tT1_PNSt15iterator_traitsISG_E10value_typeET2_T3_PNSH_ISM_E10value_typeET4_T5_PSR_SS_PNS1_23onesweep_lookback_stateEbbT6_jjT7_P12ihipStream_tbENKUlT_T0_SG_SL_E_clIS7_S7_SB_PlEEDaSZ_S10_SG_SL_EUlSZ_E_NS1_11comp_targetILNS1_3genE3ELNS1_11target_archE908ELNS1_3gpuE7ELNS1_3repE0EEENS1_47radix_sort_onesweep_sort_config_static_selectorELNS0_4arch9wavefront6targetE1EEEvSG_
    .private_segment_fixed_size: 0
    .sgpr_count:     4
    .sgpr_spill_count: 0
    .symbol:         _ZN7rocprim17ROCPRIM_400000_NS6detail17trampoline_kernelINS0_14default_configENS1_35radix_sort_onesweep_config_selectorIilEEZZNS1_29radix_sort_onesweep_iterationIS3_Lb0EPiS7_N6thrust23THRUST_200600_302600_NS10device_ptrIlEESB_jNS0_19identity_decomposerENS1_16block_id_wrapperIjLb1EEEEE10hipError_tT1_PNSt15iterator_traitsISG_E10value_typeET2_T3_PNSH_ISM_E10value_typeET4_T5_PSR_SS_PNS1_23onesweep_lookback_stateEbbT6_jjT7_P12ihipStream_tbENKUlT_T0_SG_SL_E_clIS7_S7_SB_PlEEDaSZ_S10_SG_SL_EUlSZ_E_NS1_11comp_targetILNS1_3genE3ELNS1_11target_archE908ELNS1_3gpuE7ELNS1_3repE0EEENS1_47radix_sort_onesweep_sort_config_static_selectorELNS0_4arch9wavefront6targetE1EEEvSG_.kd
    .uniform_work_group_size: 1
    .uses_dynamic_stack: false
    .vgpr_count:     0
    .vgpr_spill_count: 0
    .wavefront_size: 64
  - .agpr_count:     0
    .args:
      - .offset:         0
        .size:           88
        .value_kind:     by_value
    .group_segment_fixed_size: 0
    .kernarg_segment_align: 8
    .kernarg_segment_size: 88
    .language:       OpenCL C
    .language_version:
      - 2
      - 0
    .max_flat_workgroup_size: 1024
    .name:           _ZN7rocprim17ROCPRIM_400000_NS6detail17trampoline_kernelINS0_14default_configENS1_35radix_sort_onesweep_config_selectorIilEEZZNS1_29radix_sort_onesweep_iterationIS3_Lb0EPiS7_N6thrust23THRUST_200600_302600_NS10device_ptrIlEESB_jNS0_19identity_decomposerENS1_16block_id_wrapperIjLb1EEEEE10hipError_tT1_PNSt15iterator_traitsISG_E10value_typeET2_T3_PNSH_ISM_E10value_typeET4_T5_PSR_SS_PNS1_23onesweep_lookback_stateEbbT6_jjT7_P12ihipStream_tbENKUlT_T0_SG_SL_E_clIS7_S7_SB_PlEEDaSZ_S10_SG_SL_EUlSZ_E_NS1_11comp_targetILNS1_3genE10ELNS1_11target_archE1201ELNS1_3gpuE5ELNS1_3repE0EEENS1_47radix_sort_onesweep_sort_config_static_selectorELNS0_4arch9wavefront6targetE1EEEvSG_
    .private_segment_fixed_size: 0
    .sgpr_count:     4
    .sgpr_spill_count: 0
    .symbol:         _ZN7rocprim17ROCPRIM_400000_NS6detail17trampoline_kernelINS0_14default_configENS1_35radix_sort_onesweep_config_selectorIilEEZZNS1_29radix_sort_onesweep_iterationIS3_Lb0EPiS7_N6thrust23THRUST_200600_302600_NS10device_ptrIlEESB_jNS0_19identity_decomposerENS1_16block_id_wrapperIjLb1EEEEE10hipError_tT1_PNSt15iterator_traitsISG_E10value_typeET2_T3_PNSH_ISM_E10value_typeET4_T5_PSR_SS_PNS1_23onesweep_lookback_stateEbbT6_jjT7_P12ihipStream_tbENKUlT_T0_SG_SL_E_clIS7_S7_SB_PlEEDaSZ_S10_SG_SL_EUlSZ_E_NS1_11comp_targetILNS1_3genE10ELNS1_11target_archE1201ELNS1_3gpuE5ELNS1_3repE0EEENS1_47radix_sort_onesweep_sort_config_static_selectorELNS0_4arch9wavefront6targetE1EEEvSG_.kd
    .uniform_work_group_size: 1
    .uses_dynamic_stack: false
    .vgpr_count:     0
    .vgpr_spill_count: 0
    .wavefront_size: 64
  - .agpr_count:     0
    .args:
      - .offset:         0
        .size:           88
        .value_kind:     by_value
    .group_segment_fixed_size: 0
    .kernarg_segment_align: 8
    .kernarg_segment_size: 88
    .language:       OpenCL C
    .language_version:
      - 2
      - 0
    .max_flat_workgroup_size: 1024
    .name:           _ZN7rocprim17ROCPRIM_400000_NS6detail17trampoline_kernelINS0_14default_configENS1_35radix_sort_onesweep_config_selectorIilEEZZNS1_29radix_sort_onesweep_iterationIS3_Lb0EPiS7_N6thrust23THRUST_200600_302600_NS10device_ptrIlEESB_jNS0_19identity_decomposerENS1_16block_id_wrapperIjLb1EEEEE10hipError_tT1_PNSt15iterator_traitsISG_E10value_typeET2_T3_PNSH_ISM_E10value_typeET4_T5_PSR_SS_PNS1_23onesweep_lookback_stateEbbT6_jjT7_P12ihipStream_tbENKUlT_T0_SG_SL_E_clIS7_S7_SB_PlEEDaSZ_S10_SG_SL_EUlSZ_E_NS1_11comp_targetILNS1_3genE9ELNS1_11target_archE1100ELNS1_3gpuE3ELNS1_3repE0EEENS1_47radix_sort_onesweep_sort_config_static_selectorELNS0_4arch9wavefront6targetE1EEEvSG_
    .private_segment_fixed_size: 0
    .sgpr_count:     4
    .sgpr_spill_count: 0
    .symbol:         _ZN7rocprim17ROCPRIM_400000_NS6detail17trampoline_kernelINS0_14default_configENS1_35radix_sort_onesweep_config_selectorIilEEZZNS1_29radix_sort_onesweep_iterationIS3_Lb0EPiS7_N6thrust23THRUST_200600_302600_NS10device_ptrIlEESB_jNS0_19identity_decomposerENS1_16block_id_wrapperIjLb1EEEEE10hipError_tT1_PNSt15iterator_traitsISG_E10value_typeET2_T3_PNSH_ISM_E10value_typeET4_T5_PSR_SS_PNS1_23onesweep_lookback_stateEbbT6_jjT7_P12ihipStream_tbENKUlT_T0_SG_SL_E_clIS7_S7_SB_PlEEDaSZ_S10_SG_SL_EUlSZ_E_NS1_11comp_targetILNS1_3genE9ELNS1_11target_archE1100ELNS1_3gpuE3ELNS1_3repE0EEENS1_47radix_sort_onesweep_sort_config_static_selectorELNS0_4arch9wavefront6targetE1EEEvSG_.kd
    .uniform_work_group_size: 1
    .uses_dynamic_stack: false
    .vgpr_count:     0
    .vgpr_spill_count: 0
    .wavefront_size: 64
  - .agpr_count:     0
    .args:
      - .offset:         0
        .size:           88
        .value_kind:     by_value
    .group_segment_fixed_size: 0
    .kernarg_segment_align: 8
    .kernarg_segment_size: 88
    .language:       OpenCL C
    .language_version:
      - 2
      - 0
    .max_flat_workgroup_size: 1024
    .name:           _ZN7rocprim17ROCPRIM_400000_NS6detail17trampoline_kernelINS0_14default_configENS1_35radix_sort_onesweep_config_selectorIilEEZZNS1_29radix_sort_onesweep_iterationIS3_Lb0EPiS7_N6thrust23THRUST_200600_302600_NS10device_ptrIlEESB_jNS0_19identity_decomposerENS1_16block_id_wrapperIjLb1EEEEE10hipError_tT1_PNSt15iterator_traitsISG_E10value_typeET2_T3_PNSH_ISM_E10value_typeET4_T5_PSR_SS_PNS1_23onesweep_lookback_stateEbbT6_jjT7_P12ihipStream_tbENKUlT_T0_SG_SL_E_clIS7_S7_SB_PlEEDaSZ_S10_SG_SL_EUlSZ_E_NS1_11comp_targetILNS1_3genE8ELNS1_11target_archE1030ELNS1_3gpuE2ELNS1_3repE0EEENS1_47radix_sort_onesweep_sort_config_static_selectorELNS0_4arch9wavefront6targetE1EEEvSG_
    .private_segment_fixed_size: 0
    .sgpr_count:     4
    .sgpr_spill_count: 0
    .symbol:         _ZN7rocprim17ROCPRIM_400000_NS6detail17trampoline_kernelINS0_14default_configENS1_35radix_sort_onesweep_config_selectorIilEEZZNS1_29radix_sort_onesweep_iterationIS3_Lb0EPiS7_N6thrust23THRUST_200600_302600_NS10device_ptrIlEESB_jNS0_19identity_decomposerENS1_16block_id_wrapperIjLb1EEEEE10hipError_tT1_PNSt15iterator_traitsISG_E10value_typeET2_T3_PNSH_ISM_E10value_typeET4_T5_PSR_SS_PNS1_23onesweep_lookback_stateEbbT6_jjT7_P12ihipStream_tbENKUlT_T0_SG_SL_E_clIS7_S7_SB_PlEEDaSZ_S10_SG_SL_EUlSZ_E_NS1_11comp_targetILNS1_3genE8ELNS1_11target_archE1030ELNS1_3gpuE2ELNS1_3repE0EEENS1_47radix_sort_onesweep_sort_config_static_selectorELNS0_4arch9wavefront6targetE1EEEvSG_.kd
    .uniform_work_group_size: 1
    .uses_dynamic_stack: false
    .vgpr_count:     0
    .vgpr_spill_count: 0
    .wavefront_size: 64
  - .agpr_count:     0
    .args:
      - .offset:         0
        .size:           88
        .value_kind:     by_value
    .group_segment_fixed_size: 0
    .kernarg_segment_align: 8
    .kernarg_segment_size: 88
    .language:       OpenCL C
    .language_version:
      - 2
      - 0
    .max_flat_workgroup_size: 512
    .name:           _ZN7rocprim17ROCPRIM_400000_NS6detail17trampoline_kernelINS0_14default_configENS1_35radix_sort_onesweep_config_selectorIilEEZZNS1_29radix_sort_onesweep_iterationIS3_Lb0EPiS7_N6thrust23THRUST_200600_302600_NS10device_ptrIlEESB_jNS0_19identity_decomposerENS1_16block_id_wrapperIjLb1EEEEE10hipError_tT1_PNSt15iterator_traitsISG_E10value_typeET2_T3_PNSH_ISM_E10value_typeET4_T5_PSR_SS_PNS1_23onesweep_lookback_stateEbbT6_jjT7_P12ihipStream_tbENKUlT_T0_SG_SL_E_clIS7_S7_PlSB_EEDaSZ_S10_SG_SL_EUlSZ_E_NS1_11comp_targetILNS1_3genE0ELNS1_11target_archE4294967295ELNS1_3gpuE0ELNS1_3repE0EEENS1_47radix_sort_onesweep_sort_config_static_selectorELNS0_4arch9wavefront6targetE1EEEvSG_
    .private_segment_fixed_size: 0
    .sgpr_count:     4
    .sgpr_spill_count: 0
    .symbol:         _ZN7rocprim17ROCPRIM_400000_NS6detail17trampoline_kernelINS0_14default_configENS1_35radix_sort_onesweep_config_selectorIilEEZZNS1_29radix_sort_onesweep_iterationIS3_Lb0EPiS7_N6thrust23THRUST_200600_302600_NS10device_ptrIlEESB_jNS0_19identity_decomposerENS1_16block_id_wrapperIjLb1EEEEE10hipError_tT1_PNSt15iterator_traitsISG_E10value_typeET2_T3_PNSH_ISM_E10value_typeET4_T5_PSR_SS_PNS1_23onesweep_lookback_stateEbbT6_jjT7_P12ihipStream_tbENKUlT_T0_SG_SL_E_clIS7_S7_PlSB_EEDaSZ_S10_SG_SL_EUlSZ_E_NS1_11comp_targetILNS1_3genE0ELNS1_11target_archE4294967295ELNS1_3gpuE0ELNS1_3repE0EEENS1_47radix_sort_onesweep_sort_config_static_selectorELNS0_4arch9wavefront6targetE1EEEvSG_.kd
    .uniform_work_group_size: 1
    .uses_dynamic_stack: false
    .vgpr_count:     0
    .vgpr_spill_count: 0
    .wavefront_size: 64
  - .agpr_count:     0
    .args:
      - .offset:         0
        .size:           88
        .value_kind:     by_value
    .group_segment_fixed_size: 0
    .kernarg_segment_align: 8
    .kernarg_segment_size: 88
    .language:       OpenCL C
    .language_version:
      - 2
      - 0
    .max_flat_workgroup_size: 1024
    .name:           _ZN7rocprim17ROCPRIM_400000_NS6detail17trampoline_kernelINS0_14default_configENS1_35radix_sort_onesweep_config_selectorIilEEZZNS1_29radix_sort_onesweep_iterationIS3_Lb0EPiS7_N6thrust23THRUST_200600_302600_NS10device_ptrIlEESB_jNS0_19identity_decomposerENS1_16block_id_wrapperIjLb1EEEEE10hipError_tT1_PNSt15iterator_traitsISG_E10value_typeET2_T3_PNSH_ISM_E10value_typeET4_T5_PSR_SS_PNS1_23onesweep_lookback_stateEbbT6_jjT7_P12ihipStream_tbENKUlT_T0_SG_SL_E_clIS7_S7_PlSB_EEDaSZ_S10_SG_SL_EUlSZ_E_NS1_11comp_targetILNS1_3genE6ELNS1_11target_archE950ELNS1_3gpuE13ELNS1_3repE0EEENS1_47radix_sort_onesweep_sort_config_static_selectorELNS0_4arch9wavefront6targetE1EEEvSG_
    .private_segment_fixed_size: 0
    .sgpr_count:     4
    .sgpr_spill_count: 0
    .symbol:         _ZN7rocprim17ROCPRIM_400000_NS6detail17trampoline_kernelINS0_14default_configENS1_35radix_sort_onesweep_config_selectorIilEEZZNS1_29radix_sort_onesweep_iterationIS3_Lb0EPiS7_N6thrust23THRUST_200600_302600_NS10device_ptrIlEESB_jNS0_19identity_decomposerENS1_16block_id_wrapperIjLb1EEEEE10hipError_tT1_PNSt15iterator_traitsISG_E10value_typeET2_T3_PNSH_ISM_E10value_typeET4_T5_PSR_SS_PNS1_23onesweep_lookback_stateEbbT6_jjT7_P12ihipStream_tbENKUlT_T0_SG_SL_E_clIS7_S7_PlSB_EEDaSZ_S10_SG_SL_EUlSZ_E_NS1_11comp_targetILNS1_3genE6ELNS1_11target_archE950ELNS1_3gpuE13ELNS1_3repE0EEENS1_47radix_sort_onesweep_sort_config_static_selectorELNS0_4arch9wavefront6targetE1EEEvSG_.kd
    .uniform_work_group_size: 1
    .uses_dynamic_stack: false
    .vgpr_count:     0
    .vgpr_spill_count: 0
    .wavefront_size: 64
  - .agpr_count:     0
    .args:
      - .offset:         0
        .size:           88
        .value_kind:     by_value
    .group_segment_fixed_size: 0
    .kernarg_segment_align: 8
    .kernarg_segment_size: 88
    .language:       OpenCL C
    .language_version:
      - 2
      - 0
    .max_flat_workgroup_size: 1024
    .name:           _ZN7rocprim17ROCPRIM_400000_NS6detail17trampoline_kernelINS0_14default_configENS1_35radix_sort_onesweep_config_selectorIilEEZZNS1_29radix_sort_onesweep_iterationIS3_Lb0EPiS7_N6thrust23THRUST_200600_302600_NS10device_ptrIlEESB_jNS0_19identity_decomposerENS1_16block_id_wrapperIjLb1EEEEE10hipError_tT1_PNSt15iterator_traitsISG_E10value_typeET2_T3_PNSH_ISM_E10value_typeET4_T5_PSR_SS_PNS1_23onesweep_lookback_stateEbbT6_jjT7_P12ihipStream_tbENKUlT_T0_SG_SL_E_clIS7_S7_PlSB_EEDaSZ_S10_SG_SL_EUlSZ_E_NS1_11comp_targetILNS1_3genE5ELNS1_11target_archE942ELNS1_3gpuE9ELNS1_3repE0EEENS1_47radix_sort_onesweep_sort_config_static_selectorELNS0_4arch9wavefront6targetE1EEEvSG_
    .private_segment_fixed_size: 0
    .sgpr_count:     4
    .sgpr_spill_count: 0
    .symbol:         _ZN7rocprim17ROCPRIM_400000_NS6detail17trampoline_kernelINS0_14default_configENS1_35radix_sort_onesweep_config_selectorIilEEZZNS1_29radix_sort_onesweep_iterationIS3_Lb0EPiS7_N6thrust23THRUST_200600_302600_NS10device_ptrIlEESB_jNS0_19identity_decomposerENS1_16block_id_wrapperIjLb1EEEEE10hipError_tT1_PNSt15iterator_traitsISG_E10value_typeET2_T3_PNSH_ISM_E10value_typeET4_T5_PSR_SS_PNS1_23onesweep_lookback_stateEbbT6_jjT7_P12ihipStream_tbENKUlT_T0_SG_SL_E_clIS7_S7_PlSB_EEDaSZ_S10_SG_SL_EUlSZ_E_NS1_11comp_targetILNS1_3genE5ELNS1_11target_archE942ELNS1_3gpuE9ELNS1_3repE0EEENS1_47radix_sort_onesweep_sort_config_static_selectorELNS0_4arch9wavefront6targetE1EEEvSG_.kd
    .uniform_work_group_size: 1
    .uses_dynamic_stack: false
    .vgpr_count:     0
    .vgpr_spill_count: 0
    .wavefront_size: 64
  - .agpr_count:     0
    .args:
      - .offset:         0
        .size:           88
        .value_kind:     by_value
    .group_segment_fixed_size: 0
    .kernarg_segment_align: 8
    .kernarg_segment_size: 88
    .language:       OpenCL C
    .language_version:
      - 2
      - 0
    .max_flat_workgroup_size: 512
    .name:           _ZN7rocprim17ROCPRIM_400000_NS6detail17trampoline_kernelINS0_14default_configENS1_35radix_sort_onesweep_config_selectorIilEEZZNS1_29radix_sort_onesweep_iterationIS3_Lb0EPiS7_N6thrust23THRUST_200600_302600_NS10device_ptrIlEESB_jNS0_19identity_decomposerENS1_16block_id_wrapperIjLb1EEEEE10hipError_tT1_PNSt15iterator_traitsISG_E10value_typeET2_T3_PNSH_ISM_E10value_typeET4_T5_PSR_SS_PNS1_23onesweep_lookback_stateEbbT6_jjT7_P12ihipStream_tbENKUlT_T0_SG_SL_E_clIS7_S7_PlSB_EEDaSZ_S10_SG_SL_EUlSZ_E_NS1_11comp_targetILNS1_3genE2ELNS1_11target_archE906ELNS1_3gpuE6ELNS1_3repE0EEENS1_47radix_sort_onesweep_sort_config_static_selectorELNS0_4arch9wavefront6targetE1EEEvSG_
    .private_segment_fixed_size: 0
    .sgpr_count:     4
    .sgpr_spill_count: 0
    .symbol:         _ZN7rocprim17ROCPRIM_400000_NS6detail17trampoline_kernelINS0_14default_configENS1_35radix_sort_onesweep_config_selectorIilEEZZNS1_29radix_sort_onesweep_iterationIS3_Lb0EPiS7_N6thrust23THRUST_200600_302600_NS10device_ptrIlEESB_jNS0_19identity_decomposerENS1_16block_id_wrapperIjLb1EEEEE10hipError_tT1_PNSt15iterator_traitsISG_E10value_typeET2_T3_PNSH_ISM_E10value_typeET4_T5_PSR_SS_PNS1_23onesweep_lookback_stateEbbT6_jjT7_P12ihipStream_tbENKUlT_T0_SG_SL_E_clIS7_S7_PlSB_EEDaSZ_S10_SG_SL_EUlSZ_E_NS1_11comp_targetILNS1_3genE2ELNS1_11target_archE906ELNS1_3gpuE6ELNS1_3repE0EEENS1_47radix_sort_onesweep_sort_config_static_selectorELNS0_4arch9wavefront6targetE1EEEvSG_.kd
    .uniform_work_group_size: 1
    .uses_dynamic_stack: false
    .vgpr_count:     0
    .vgpr_spill_count: 0
    .wavefront_size: 64
  - .agpr_count:     0
    .args:
      - .offset:         0
        .size:           88
        .value_kind:     by_value
      - .offset:         88
        .size:           4
        .value_kind:     hidden_block_count_x
      - .offset:         92
        .size:           4
        .value_kind:     hidden_block_count_y
      - .offset:         96
        .size:           4
        .value_kind:     hidden_block_count_z
      - .offset:         100
        .size:           2
        .value_kind:     hidden_group_size_x
      - .offset:         102
        .size:           2
        .value_kind:     hidden_group_size_y
      - .offset:         104
        .size:           2
        .value_kind:     hidden_group_size_z
      - .offset:         106
        .size:           2
        .value_kind:     hidden_remainder_x
      - .offset:         108
        .size:           2
        .value_kind:     hidden_remainder_y
      - .offset:         110
        .size:           2
        .value_kind:     hidden_remainder_z
      - .offset:         128
        .size:           8
        .value_kind:     hidden_global_offset_x
      - .offset:         136
        .size:           8
        .value_kind:     hidden_global_offset_y
      - .offset:         144
        .size:           8
        .value_kind:     hidden_global_offset_z
      - .offset:         152
        .size:           2
        .value_kind:     hidden_grid_dims
    .group_segment_fixed_size: 10280
    .kernarg_segment_align: 8
    .kernarg_segment_size: 344
    .language:       OpenCL C
    .language_version:
      - 2
      - 0
    .max_flat_workgroup_size: 512
    .name:           _ZN7rocprim17ROCPRIM_400000_NS6detail17trampoline_kernelINS0_14default_configENS1_35radix_sort_onesweep_config_selectorIilEEZZNS1_29radix_sort_onesweep_iterationIS3_Lb0EPiS7_N6thrust23THRUST_200600_302600_NS10device_ptrIlEESB_jNS0_19identity_decomposerENS1_16block_id_wrapperIjLb1EEEEE10hipError_tT1_PNSt15iterator_traitsISG_E10value_typeET2_T3_PNSH_ISM_E10value_typeET4_T5_PSR_SS_PNS1_23onesweep_lookback_stateEbbT6_jjT7_P12ihipStream_tbENKUlT_T0_SG_SL_E_clIS7_S7_PlSB_EEDaSZ_S10_SG_SL_EUlSZ_E_NS1_11comp_targetILNS1_3genE4ELNS1_11target_archE910ELNS1_3gpuE8ELNS1_3repE0EEENS1_47radix_sort_onesweep_sort_config_static_selectorELNS0_4arch9wavefront6targetE1EEEvSG_
    .private_segment_fixed_size: 0
    .sgpr_count:     76
    .sgpr_spill_count: 0
    .symbol:         _ZN7rocprim17ROCPRIM_400000_NS6detail17trampoline_kernelINS0_14default_configENS1_35radix_sort_onesweep_config_selectorIilEEZZNS1_29radix_sort_onesweep_iterationIS3_Lb0EPiS7_N6thrust23THRUST_200600_302600_NS10device_ptrIlEESB_jNS0_19identity_decomposerENS1_16block_id_wrapperIjLb1EEEEE10hipError_tT1_PNSt15iterator_traitsISG_E10value_typeET2_T3_PNSH_ISM_E10value_typeET4_T5_PSR_SS_PNS1_23onesweep_lookback_stateEbbT6_jjT7_P12ihipStream_tbENKUlT_T0_SG_SL_E_clIS7_S7_PlSB_EEDaSZ_S10_SG_SL_EUlSZ_E_NS1_11comp_targetILNS1_3genE4ELNS1_11target_archE910ELNS1_3gpuE8ELNS1_3repE0EEENS1_47radix_sort_onesweep_sort_config_static_selectorELNS0_4arch9wavefront6targetE1EEEvSG_.kd
    .uniform_work_group_size: 1
    .uses_dynamic_stack: false
    .vgpr_count:     88
    .vgpr_spill_count: 0
    .wavefront_size: 64
  - .agpr_count:     0
    .args:
      - .offset:         0
        .size:           88
        .value_kind:     by_value
    .group_segment_fixed_size: 0
    .kernarg_segment_align: 8
    .kernarg_segment_size: 88
    .language:       OpenCL C
    .language_version:
      - 2
      - 0
    .max_flat_workgroup_size: 512
    .name:           _ZN7rocprim17ROCPRIM_400000_NS6detail17trampoline_kernelINS0_14default_configENS1_35radix_sort_onesweep_config_selectorIilEEZZNS1_29radix_sort_onesweep_iterationIS3_Lb0EPiS7_N6thrust23THRUST_200600_302600_NS10device_ptrIlEESB_jNS0_19identity_decomposerENS1_16block_id_wrapperIjLb1EEEEE10hipError_tT1_PNSt15iterator_traitsISG_E10value_typeET2_T3_PNSH_ISM_E10value_typeET4_T5_PSR_SS_PNS1_23onesweep_lookback_stateEbbT6_jjT7_P12ihipStream_tbENKUlT_T0_SG_SL_E_clIS7_S7_PlSB_EEDaSZ_S10_SG_SL_EUlSZ_E_NS1_11comp_targetILNS1_3genE3ELNS1_11target_archE908ELNS1_3gpuE7ELNS1_3repE0EEENS1_47radix_sort_onesweep_sort_config_static_selectorELNS0_4arch9wavefront6targetE1EEEvSG_
    .private_segment_fixed_size: 0
    .sgpr_count:     4
    .sgpr_spill_count: 0
    .symbol:         _ZN7rocprim17ROCPRIM_400000_NS6detail17trampoline_kernelINS0_14default_configENS1_35radix_sort_onesweep_config_selectorIilEEZZNS1_29radix_sort_onesweep_iterationIS3_Lb0EPiS7_N6thrust23THRUST_200600_302600_NS10device_ptrIlEESB_jNS0_19identity_decomposerENS1_16block_id_wrapperIjLb1EEEEE10hipError_tT1_PNSt15iterator_traitsISG_E10value_typeET2_T3_PNSH_ISM_E10value_typeET4_T5_PSR_SS_PNS1_23onesweep_lookback_stateEbbT6_jjT7_P12ihipStream_tbENKUlT_T0_SG_SL_E_clIS7_S7_PlSB_EEDaSZ_S10_SG_SL_EUlSZ_E_NS1_11comp_targetILNS1_3genE3ELNS1_11target_archE908ELNS1_3gpuE7ELNS1_3repE0EEENS1_47radix_sort_onesweep_sort_config_static_selectorELNS0_4arch9wavefront6targetE1EEEvSG_.kd
    .uniform_work_group_size: 1
    .uses_dynamic_stack: false
    .vgpr_count:     0
    .vgpr_spill_count: 0
    .wavefront_size: 64
  - .agpr_count:     0
    .args:
      - .offset:         0
        .size:           88
        .value_kind:     by_value
    .group_segment_fixed_size: 0
    .kernarg_segment_align: 8
    .kernarg_segment_size: 88
    .language:       OpenCL C
    .language_version:
      - 2
      - 0
    .max_flat_workgroup_size: 1024
    .name:           _ZN7rocprim17ROCPRIM_400000_NS6detail17trampoline_kernelINS0_14default_configENS1_35radix_sort_onesweep_config_selectorIilEEZZNS1_29radix_sort_onesweep_iterationIS3_Lb0EPiS7_N6thrust23THRUST_200600_302600_NS10device_ptrIlEESB_jNS0_19identity_decomposerENS1_16block_id_wrapperIjLb1EEEEE10hipError_tT1_PNSt15iterator_traitsISG_E10value_typeET2_T3_PNSH_ISM_E10value_typeET4_T5_PSR_SS_PNS1_23onesweep_lookback_stateEbbT6_jjT7_P12ihipStream_tbENKUlT_T0_SG_SL_E_clIS7_S7_PlSB_EEDaSZ_S10_SG_SL_EUlSZ_E_NS1_11comp_targetILNS1_3genE10ELNS1_11target_archE1201ELNS1_3gpuE5ELNS1_3repE0EEENS1_47radix_sort_onesweep_sort_config_static_selectorELNS0_4arch9wavefront6targetE1EEEvSG_
    .private_segment_fixed_size: 0
    .sgpr_count:     4
    .sgpr_spill_count: 0
    .symbol:         _ZN7rocprim17ROCPRIM_400000_NS6detail17trampoline_kernelINS0_14default_configENS1_35radix_sort_onesweep_config_selectorIilEEZZNS1_29radix_sort_onesweep_iterationIS3_Lb0EPiS7_N6thrust23THRUST_200600_302600_NS10device_ptrIlEESB_jNS0_19identity_decomposerENS1_16block_id_wrapperIjLb1EEEEE10hipError_tT1_PNSt15iterator_traitsISG_E10value_typeET2_T3_PNSH_ISM_E10value_typeET4_T5_PSR_SS_PNS1_23onesweep_lookback_stateEbbT6_jjT7_P12ihipStream_tbENKUlT_T0_SG_SL_E_clIS7_S7_PlSB_EEDaSZ_S10_SG_SL_EUlSZ_E_NS1_11comp_targetILNS1_3genE10ELNS1_11target_archE1201ELNS1_3gpuE5ELNS1_3repE0EEENS1_47radix_sort_onesweep_sort_config_static_selectorELNS0_4arch9wavefront6targetE1EEEvSG_.kd
    .uniform_work_group_size: 1
    .uses_dynamic_stack: false
    .vgpr_count:     0
    .vgpr_spill_count: 0
    .wavefront_size: 64
  - .agpr_count:     0
    .args:
      - .offset:         0
        .size:           88
        .value_kind:     by_value
    .group_segment_fixed_size: 0
    .kernarg_segment_align: 8
    .kernarg_segment_size: 88
    .language:       OpenCL C
    .language_version:
      - 2
      - 0
    .max_flat_workgroup_size: 1024
    .name:           _ZN7rocprim17ROCPRIM_400000_NS6detail17trampoline_kernelINS0_14default_configENS1_35radix_sort_onesweep_config_selectorIilEEZZNS1_29radix_sort_onesweep_iterationIS3_Lb0EPiS7_N6thrust23THRUST_200600_302600_NS10device_ptrIlEESB_jNS0_19identity_decomposerENS1_16block_id_wrapperIjLb1EEEEE10hipError_tT1_PNSt15iterator_traitsISG_E10value_typeET2_T3_PNSH_ISM_E10value_typeET4_T5_PSR_SS_PNS1_23onesweep_lookback_stateEbbT6_jjT7_P12ihipStream_tbENKUlT_T0_SG_SL_E_clIS7_S7_PlSB_EEDaSZ_S10_SG_SL_EUlSZ_E_NS1_11comp_targetILNS1_3genE9ELNS1_11target_archE1100ELNS1_3gpuE3ELNS1_3repE0EEENS1_47radix_sort_onesweep_sort_config_static_selectorELNS0_4arch9wavefront6targetE1EEEvSG_
    .private_segment_fixed_size: 0
    .sgpr_count:     4
    .sgpr_spill_count: 0
    .symbol:         _ZN7rocprim17ROCPRIM_400000_NS6detail17trampoline_kernelINS0_14default_configENS1_35radix_sort_onesweep_config_selectorIilEEZZNS1_29radix_sort_onesweep_iterationIS3_Lb0EPiS7_N6thrust23THRUST_200600_302600_NS10device_ptrIlEESB_jNS0_19identity_decomposerENS1_16block_id_wrapperIjLb1EEEEE10hipError_tT1_PNSt15iterator_traitsISG_E10value_typeET2_T3_PNSH_ISM_E10value_typeET4_T5_PSR_SS_PNS1_23onesweep_lookback_stateEbbT6_jjT7_P12ihipStream_tbENKUlT_T0_SG_SL_E_clIS7_S7_PlSB_EEDaSZ_S10_SG_SL_EUlSZ_E_NS1_11comp_targetILNS1_3genE9ELNS1_11target_archE1100ELNS1_3gpuE3ELNS1_3repE0EEENS1_47radix_sort_onesweep_sort_config_static_selectorELNS0_4arch9wavefront6targetE1EEEvSG_.kd
    .uniform_work_group_size: 1
    .uses_dynamic_stack: false
    .vgpr_count:     0
    .vgpr_spill_count: 0
    .wavefront_size: 64
  - .agpr_count:     0
    .args:
      - .offset:         0
        .size:           88
        .value_kind:     by_value
    .group_segment_fixed_size: 0
    .kernarg_segment_align: 8
    .kernarg_segment_size: 88
    .language:       OpenCL C
    .language_version:
      - 2
      - 0
    .max_flat_workgroup_size: 1024
    .name:           _ZN7rocprim17ROCPRIM_400000_NS6detail17trampoline_kernelINS0_14default_configENS1_35radix_sort_onesweep_config_selectorIilEEZZNS1_29radix_sort_onesweep_iterationIS3_Lb0EPiS7_N6thrust23THRUST_200600_302600_NS10device_ptrIlEESB_jNS0_19identity_decomposerENS1_16block_id_wrapperIjLb1EEEEE10hipError_tT1_PNSt15iterator_traitsISG_E10value_typeET2_T3_PNSH_ISM_E10value_typeET4_T5_PSR_SS_PNS1_23onesweep_lookback_stateEbbT6_jjT7_P12ihipStream_tbENKUlT_T0_SG_SL_E_clIS7_S7_PlSB_EEDaSZ_S10_SG_SL_EUlSZ_E_NS1_11comp_targetILNS1_3genE8ELNS1_11target_archE1030ELNS1_3gpuE2ELNS1_3repE0EEENS1_47radix_sort_onesweep_sort_config_static_selectorELNS0_4arch9wavefront6targetE1EEEvSG_
    .private_segment_fixed_size: 0
    .sgpr_count:     4
    .sgpr_spill_count: 0
    .symbol:         _ZN7rocprim17ROCPRIM_400000_NS6detail17trampoline_kernelINS0_14default_configENS1_35radix_sort_onesweep_config_selectorIilEEZZNS1_29radix_sort_onesweep_iterationIS3_Lb0EPiS7_N6thrust23THRUST_200600_302600_NS10device_ptrIlEESB_jNS0_19identity_decomposerENS1_16block_id_wrapperIjLb1EEEEE10hipError_tT1_PNSt15iterator_traitsISG_E10value_typeET2_T3_PNSH_ISM_E10value_typeET4_T5_PSR_SS_PNS1_23onesweep_lookback_stateEbbT6_jjT7_P12ihipStream_tbENKUlT_T0_SG_SL_E_clIS7_S7_PlSB_EEDaSZ_S10_SG_SL_EUlSZ_E_NS1_11comp_targetILNS1_3genE8ELNS1_11target_archE1030ELNS1_3gpuE2ELNS1_3repE0EEENS1_47radix_sort_onesweep_sort_config_static_selectorELNS0_4arch9wavefront6targetE1EEEvSG_.kd
    .uniform_work_group_size: 1
    .uses_dynamic_stack: false
    .vgpr_count:     0
    .vgpr_spill_count: 0
    .wavefront_size: 64
  - .agpr_count:     0
    .args:
      - .offset:         0
        .size:           88
        .value_kind:     by_value
    .group_segment_fixed_size: 0
    .kernarg_segment_align: 8
    .kernarg_segment_size: 88
    .language:       OpenCL C
    .language_version:
      - 2
      - 0
    .max_flat_workgroup_size: 512
    .name:           _ZN7rocprim17ROCPRIM_400000_NS6detail17trampoline_kernelINS0_14default_configENS1_35radix_sort_onesweep_config_selectorIilEEZZNS1_29radix_sort_onesweep_iterationIS3_Lb0EPiS7_N6thrust23THRUST_200600_302600_NS10device_ptrIlEESB_jNS0_19identity_decomposerENS1_16block_id_wrapperIjLb0EEEEE10hipError_tT1_PNSt15iterator_traitsISG_E10value_typeET2_T3_PNSH_ISM_E10value_typeET4_T5_PSR_SS_PNS1_23onesweep_lookback_stateEbbT6_jjT7_P12ihipStream_tbENKUlT_T0_SG_SL_E_clIS7_S7_SB_SB_EEDaSZ_S10_SG_SL_EUlSZ_E_NS1_11comp_targetILNS1_3genE0ELNS1_11target_archE4294967295ELNS1_3gpuE0ELNS1_3repE0EEENS1_47radix_sort_onesweep_sort_config_static_selectorELNS0_4arch9wavefront6targetE1EEEvSG_
    .private_segment_fixed_size: 0
    .sgpr_count:     4
    .sgpr_spill_count: 0
    .symbol:         _ZN7rocprim17ROCPRIM_400000_NS6detail17trampoline_kernelINS0_14default_configENS1_35radix_sort_onesweep_config_selectorIilEEZZNS1_29radix_sort_onesweep_iterationIS3_Lb0EPiS7_N6thrust23THRUST_200600_302600_NS10device_ptrIlEESB_jNS0_19identity_decomposerENS1_16block_id_wrapperIjLb0EEEEE10hipError_tT1_PNSt15iterator_traitsISG_E10value_typeET2_T3_PNSH_ISM_E10value_typeET4_T5_PSR_SS_PNS1_23onesweep_lookback_stateEbbT6_jjT7_P12ihipStream_tbENKUlT_T0_SG_SL_E_clIS7_S7_SB_SB_EEDaSZ_S10_SG_SL_EUlSZ_E_NS1_11comp_targetILNS1_3genE0ELNS1_11target_archE4294967295ELNS1_3gpuE0ELNS1_3repE0EEENS1_47radix_sort_onesweep_sort_config_static_selectorELNS0_4arch9wavefront6targetE1EEEvSG_.kd
    .uniform_work_group_size: 1
    .uses_dynamic_stack: false
    .vgpr_count:     0
    .vgpr_spill_count: 0
    .wavefront_size: 64
  - .agpr_count:     0
    .args:
      - .offset:         0
        .size:           88
        .value_kind:     by_value
    .group_segment_fixed_size: 0
    .kernarg_segment_align: 8
    .kernarg_segment_size: 88
    .language:       OpenCL C
    .language_version:
      - 2
      - 0
    .max_flat_workgroup_size: 1024
    .name:           _ZN7rocprim17ROCPRIM_400000_NS6detail17trampoline_kernelINS0_14default_configENS1_35radix_sort_onesweep_config_selectorIilEEZZNS1_29radix_sort_onesweep_iterationIS3_Lb0EPiS7_N6thrust23THRUST_200600_302600_NS10device_ptrIlEESB_jNS0_19identity_decomposerENS1_16block_id_wrapperIjLb0EEEEE10hipError_tT1_PNSt15iterator_traitsISG_E10value_typeET2_T3_PNSH_ISM_E10value_typeET4_T5_PSR_SS_PNS1_23onesweep_lookback_stateEbbT6_jjT7_P12ihipStream_tbENKUlT_T0_SG_SL_E_clIS7_S7_SB_SB_EEDaSZ_S10_SG_SL_EUlSZ_E_NS1_11comp_targetILNS1_3genE6ELNS1_11target_archE950ELNS1_3gpuE13ELNS1_3repE0EEENS1_47radix_sort_onesweep_sort_config_static_selectorELNS0_4arch9wavefront6targetE1EEEvSG_
    .private_segment_fixed_size: 0
    .sgpr_count:     4
    .sgpr_spill_count: 0
    .symbol:         _ZN7rocprim17ROCPRIM_400000_NS6detail17trampoline_kernelINS0_14default_configENS1_35radix_sort_onesweep_config_selectorIilEEZZNS1_29radix_sort_onesweep_iterationIS3_Lb0EPiS7_N6thrust23THRUST_200600_302600_NS10device_ptrIlEESB_jNS0_19identity_decomposerENS1_16block_id_wrapperIjLb0EEEEE10hipError_tT1_PNSt15iterator_traitsISG_E10value_typeET2_T3_PNSH_ISM_E10value_typeET4_T5_PSR_SS_PNS1_23onesweep_lookback_stateEbbT6_jjT7_P12ihipStream_tbENKUlT_T0_SG_SL_E_clIS7_S7_SB_SB_EEDaSZ_S10_SG_SL_EUlSZ_E_NS1_11comp_targetILNS1_3genE6ELNS1_11target_archE950ELNS1_3gpuE13ELNS1_3repE0EEENS1_47radix_sort_onesweep_sort_config_static_selectorELNS0_4arch9wavefront6targetE1EEEvSG_.kd
    .uniform_work_group_size: 1
    .uses_dynamic_stack: false
    .vgpr_count:     0
    .vgpr_spill_count: 0
    .wavefront_size: 64
  - .agpr_count:     0
    .args:
      - .offset:         0
        .size:           88
        .value_kind:     by_value
    .group_segment_fixed_size: 0
    .kernarg_segment_align: 8
    .kernarg_segment_size: 88
    .language:       OpenCL C
    .language_version:
      - 2
      - 0
    .max_flat_workgroup_size: 1024
    .name:           _ZN7rocprim17ROCPRIM_400000_NS6detail17trampoline_kernelINS0_14default_configENS1_35radix_sort_onesweep_config_selectorIilEEZZNS1_29radix_sort_onesweep_iterationIS3_Lb0EPiS7_N6thrust23THRUST_200600_302600_NS10device_ptrIlEESB_jNS0_19identity_decomposerENS1_16block_id_wrapperIjLb0EEEEE10hipError_tT1_PNSt15iterator_traitsISG_E10value_typeET2_T3_PNSH_ISM_E10value_typeET4_T5_PSR_SS_PNS1_23onesweep_lookback_stateEbbT6_jjT7_P12ihipStream_tbENKUlT_T0_SG_SL_E_clIS7_S7_SB_SB_EEDaSZ_S10_SG_SL_EUlSZ_E_NS1_11comp_targetILNS1_3genE5ELNS1_11target_archE942ELNS1_3gpuE9ELNS1_3repE0EEENS1_47radix_sort_onesweep_sort_config_static_selectorELNS0_4arch9wavefront6targetE1EEEvSG_
    .private_segment_fixed_size: 0
    .sgpr_count:     4
    .sgpr_spill_count: 0
    .symbol:         _ZN7rocprim17ROCPRIM_400000_NS6detail17trampoline_kernelINS0_14default_configENS1_35radix_sort_onesweep_config_selectorIilEEZZNS1_29radix_sort_onesweep_iterationIS3_Lb0EPiS7_N6thrust23THRUST_200600_302600_NS10device_ptrIlEESB_jNS0_19identity_decomposerENS1_16block_id_wrapperIjLb0EEEEE10hipError_tT1_PNSt15iterator_traitsISG_E10value_typeET2_T3_PNSH_ISM_E10value_typeET4_T5_PSR_SS_PNS1_23onesweep_lookback_stateEbbT6_jjT7_P12ihipStream_tbENKUlT_T0_SG_SL_E_clIS7_S7_SB_SB_EEDaSZ_S10_SG_SL_EUlSZ_E_NS1_11comp_targetILNS1_3genE5ELNS1_11target_archE942ELNS1_3gpuE9ELNS1_3repE0EEENS1_47radix_sort_onesweep_sort_config_static_selectorELNS0_4arch9wavefront6targetE1EEEvSG_.kd
    .uniform_work_group_size: 1
    .uses_dynamic_stack: false
    .vgpr_count:     0
    .vgpr_spill_count: 0
    .wavefront_size: 64
  - .agpr_count:     0
    .args:
      - .offset:         0
        .size:           88
        .value_kind:     by_value
    .group_segment_fixed_size: 0
    .kernarg_segment_align: 8
    .kernarg_segment_size: 88
    .language:       OpenCL C
    .language_version:
      - 2
      - 0
    .max_flat_workgroup_size: 512
    .name:           _ZN7rocprim17ROCPRIM_400000_NS6detail17trampoline_kernelINS0_14default_configENS1_35radix_sort_onesweep_config_selectorIilEEZZNS1_29radix_sort_onesweep_iterationIS3_Lb0EPiS7_N6thrust23THRUST_200600_302600_NS10device_ptrIlEESB_jNS0_19identity_decomposerENS1_16block_id_wrapperIjLb0EEEEE10hipError_tT1_PNSt15iterator_traitsISG_E10value_typeET2_T3_PNSH_ISM_E10value_typeET4_T5_PSR_SS_PNS1_23onesweep_lookback_stateEbbT6_jjT7_P12ihipStream_tbENKUlT_T0_SG_SL_E_clIS7_S7_SB_SB_EEDaSZ_S10_SG_SL_EUlSZ_E_NS1_11comp_targetILNS1_3genE2ELNS1_11target_archE906ELNS1_3gpuE6ELNS1_3repE0EEENS1_47radix_sort_onesweep_sort_config_static_selectorELNS0_4arch9wavefront6targetE1EEEvSG_
    .private_segment_fixed_size: 0
    .sgpr_count:     4
    .sgpr_spill_count: 0
    .symbol:         _ZN7rocprim17ROCPRIM_400000_NS6detail17trampoline_kernelINS0_14default_configENS1_35radix_sort_onesweep_config_selectorIilEEZZNS1_29radix_sort_onesweep_iterationIS3_Lb0EPiS7_N6thrust23THRUST_200600_302600_NS10device_ptrIlEESB_jNS0_19identity_decomposerENS1_16block_id_wrapperIjLb0EEEEE10hipError_tT1_PNSt15iterator_traitsISG_E10value_typeET2_T3_PNSH_ISM_E10value_typeET4_T5_PSR_SS_PNS1_23onesweep_lookback_stateEbbT6_jjT7_P12ihipStream_tbENKUlT_T0_SG_SL_E_clIS7_S7_SB_SB_EEDaSZ_S10_SG_SL_EUlSZ_E_NS1_11comp_targetILNS1_3genE2ELNS1_11target_archE906ELNS1_3gpuE6ELNS1_3repE0EEENS1_47radix_sort_onesweep_sort_config_static_selectorELNS0_4arch9wavefront6targetE1EEEvSG_.kd
    .uniform_work_group_size: 1
    .uses_dynamic_stack: false
    .vgpr_count:     0
    .vgpr_spill_count: 0
    .wavefront_size: 64
  - .agpr_count:     0
    .args:
      - .offset:         0
        .size:           88
        .value_kind:     by_value
      - .offset:         88
        .size:           4
        .value_kind:     hidden_block_count_x
      - .offset:         92
        .size:           4
        .value_kind:     hidden_block_count_y
      - .offset:         96
        .size:           4
        .value_kind:     hidden_block_count_z
      - .offset:         100
        .size:           2
        .value_kind:     hidden_group_size_x
      - .offset:         102
        .size:           2
        .value_kind:     hidden_group_size_y
      - .offset:         104
        .size:           2
        .value_kind:     hidden_group_size_z
      - .offset:         106
        .size:           2
        .value_kind:     hidden_remainder_x
      - .offset:         108
        .size:           2
        .value_kind:     hidden_remainder_y
      - .offset:         110
        .size:           2
        .value_kind:     hidden_remainder_z
      - .offset:         128
        .size:           8
        .value_kind:     hidden_global_offset_x
      - .offset:         136
        .size:           8
        .value_kind:     hidden_global_offset_y
      - .offset:         144
        .size:           8
        .value_kind:     hidden_global_offset_z
      - .offset:         152
        .size:           2
        .value_kind:     hidden_grid_dims
    .group_segment_fixed_size: 10280
    .kernarg_segment_align: 8
    .kernarg_segment_size: 344
    .language:       OpenCL C
    .language_version:
      - 2
      - 0
    .max_flat_workgroup_size: 512
    .name:           _ZN7rocprim17ROCPRIM_400000_NS6detail17trampoline_kernelINS0_14default_configENS1_35radix_sort_onesweep_config_selectorIilEEZZNS1_29radix_sort_onesweep_iterationIS3_Lb0EPiS7_N6thrust23THRUST_200600_302600_NS10device_ptrIlEESB_jNS0_19identity_decomposerENS1_16block_id_wrapperIjLb0EEEEE10hipError_tT1_PNSt15iterator_traitsISG_E10value_typeET2_T3_PNSH_ISM_E10value_typeET4_T5_PSR_SS_PNS1_23onesweep_lookback_stateEbbT6_jjT7_P12ihipStream_tbENKUlT_T0_SG_SL_E_clIS7_S7_SB_SB_EEDaSZ_S10_SG_SL_EUlSZ_E_NS1_11comp_targetILNS1_3genE4ELNS1_11target_archE910ELNS1_3gpuE8ELNS1_3repE0EEENS1_47radix_sort_onesweep_sort_config_static_selectorELNS0_4arch9wavefront6targetE1EEEvSG_
    .private_segment_fixed_size: 0
    .sgpr_count:     73
    .sgpr_spill_count: 0
    .symbol:         _ZN7rocprim17ROCPRIM_400000_NS6detail17trampoline_kernelINS0_14default_configENS1_35radix_sort_onesweep_config_selectorIilEEZZNS1_29radix_sort_onesweep_iterationIS3_Lb0EPiS7_N6thrust23THRUST_200600_302600_NS10device_ptrIlEESB_jNS0_19identity_decomposerENS1_16block_id_wrapperIjLb0EEEEE10hipError_tT1_PNSt15iterator_traitsISG_E10value_typeET2_T3_PNSH_ISM_E10value_typeET4_T5_PSR_SS_PNS1_23onesweep_lookback_stateEbbT6_jjT7_P12ihipStream_tbENKUlT_T0_SG_SL_E_clIS7_S7_SB_SB_EEDaSZ_S10_SG_SL_EUlSZ_E_NS1_11comp_targetILNS1_3genE4ELNS1_11target_archE910ELNS1_3gpuE8ELNS1_3repE0EEENS1_47radix_sort_onesweep_sort_config_static_selectorELNS0_4arch9wavefront6targetE1EEEvSG_.kd
    .uniform_work_group_size: 1
    .uses_dynamic_stack: false
    .vgpr_count:     88
    .vgpr_spill_count: 0
    .wavefront_size: 64
  - .agpr_count:     0
    .args:
      - .offset:         0
        .size:           88
        .value_kind:     by_value
    .group_segment_fixed_size: 0
    .kernarg_segment_align: 8
    .kernarg_segment_size: 88
    .language:       OpenCL C
    .language_version:
      - 2
      - 0
    .max_flat_workgroup_size: 512
    .name:           _ZN7rocprim17ROCPRIM_400000_NS6detail17trampoline_kernelINS0_14default_configENS1_35radix_sort_onesweep_config_selectorIilEEZZNS1_29radix_sort_onesweep_iterationIS3_Lb0EPiS7_N6thrust23THRUST_200600_302600_NS10device_ptrIlEESB_jNS0_19identity_decomposerENS1_16block_id_wrapperIjLb0EEEEE10hipError_tT1_PNSt15iterator_traitsISG_E10value_typeET2_T3_PNSH_ISM_E10value_typeET4_T5_PSR_SS_PNS1_23onesweep_lookback_stateEbbT6_jjT7_P12ihipStream_tbENKUlT_T0_SG_SL_E_clIS7_S7_SB_SB_EEDaSZ_S10_SG_SL_EUlSZ_E_NS1_11comp_targetILNS1_3genE3ELNS1_11target_archE908ELNS1_3gpuE7ELNS1_3repE0EEENS1_47radix_sort_onesweep_sort_config_static_selectorELNS0_4arch9wavefront6targetE1EEEvSG_
    .private_segment_fixed_size: 0
    .sgpr_count:     4
    .sgpr_spill_count: 0
    .symbol:         _ZN7rocprim17ROCPRIM_400000_NS6detail17trampoline_kernelINS0_14default_configENS1_35radix_sort_onesweep_config_selectorIilEEZZNS1_29radix_sort_onesweep_iterationIS3_Lb0EPiS7_N6thrust23THRUST_200600_302600_NS10device_ptrIlEESB_jNS0_19identity_decomposerENS1_16block_id_wrapperIjLb0EEEEE10hipError_tT1_PNSt15iterator_traitsISG_E10value_typeET2_T3_PNSH_ISM_E10value_typeET4_T5_PSR_SS_PNS1_23onesweep_lookback_stateEbbT6_jjT7_P12ihipStream_tbENKUlT_T0_SG_SL_E_clIS7_S7_SB_SB_EEDaSZ_S10_SG_SL_EUlSZ_E_NS1_11comp_targetILNS1_3genE3ELNS1_11target_archE908ELNS1_3gpuE7ELNS1_3repE0EEENS1_47radix_sort_onesweep_sort_config_static_selectorELNS0_4arch9wavefront6targetE1EEEvSG_.kd
    .uniform_work_group_size: 1
    .uses_dynamic_stack: false
    .vgpr_count:     0
    .vgpr_spill_count: 0
    .wavefront_size: 64
  - .agpr_count:     0
    .args:
      - .offset:         0
        .size:           88
        .value_kind:     by_value
    .group_segment_fixed_size: 0
    .kernarg_segment_align: 8
    .kernarg_segment_size: 88
    .language:       OpenCL C
    .language_version:
      - 2
      - 0
    .max_flat_workgroup_size: 1024
    .name:           _ZN7rocprim17ROCPRIM_400000_NS6detail17trampoline_kernelINS0_14default_configENS1_35radix_sort_onesweep_config_selectorIilEEZZNS1_29radix_sort_onesweep_iterationIS3_Lb0EPiS7_N6thrust23THRUST_200600_302600_NS10device_ptrIlEESB_jNS0_19identity_decomposerENS1_16block_id_wrapperIjLb0EEEEE10hipError_tT1_PNSt15iterator_traitsISG_E10value_typeET2_T3_PNSH_ISM_E10value_typeET4_T5_PSR_SS_PNS1_23onesweep_lookback_stateEbbT6_jjT7_P12ihipStream_tbENKUlT_T0_SG_SL_E_clIS7_S7_SB_SB_EEDaSZ_S10_SG_SL_EUlSZ_E_NS1_11comp_targetILNS1_3genE10ELNS1_11target_archE1201ELNS1_3gpuE5ELNS1_3repE0EEENS1_47radix_sort_onesweep_sort_config_static_selectorELNS0_4arch9wavefront6targetE1EEEvSG_
    .private_segment_fixed_size: 0
    .sgpr_count:     4
    .sgpr_spill_count: 0
    .symbol:         _ZN7rocprim17ROCPRIM_400000_NS6detail17trampoline_kernelINS0_14default_configENS1_35radix_sort_onesweep_config_selectorIilEEZZNS1_29radix_sort_onesweep_iterationIS3_Lb0EPiS7_N6thrust23THRUST_200600_302600_NS10device_ptrIlEESB_jNS0_19identity_decomposerENS1_16block_id_wrapperIjLb0EEEEE10hipError_tT1_PNSt15iterator_traitsISG_E10value_typeET2_T3_PNSH_ISM_E10value_typeET4_T5_PSR_SS_PNS1_23onesweep_lookback_stateEbbT6_jjT7_P12ihipStream_tbENKUlT_T0_SG_SL_E_clIS7_S7_SB_SB_EEDaSZ_S10_SG_SL_EUlSZ_E_NS1_11comp_targetILNS1_3genE10ELNS1_11target_archE1201ELNS1_3gpuE5ELNS1_3repE0EEENS1_47radix_sort_onesweep_sort_config_static_selectorELNS0_4arch9wavefront6targetE1EEEvSG_.kd
    .uniform_work_group_size: 1
    .uses_dynamic_stack: false
    .vgpr_count:     0
    .vgpr_spill_count: 0
    .wavefront_size: 64
  - .agpr_count:     0
    .args:
      - .offset:         0
        .size:           88
        .value_kind:     by_value
    .group_segment_fixed_size: 0
    .kernarg_segment_align: 8
    .kernarg_segment_size: 88
    .language:       OpenCL C
    .language_version:
      - 2
      - 0
    .max_flat_workgroup_size: 1024
    .name:           _ZN7rocprim17ROCPRIM_400000_NS6detail17trampoline_kernelINS0_14default_configENS1_35radix_sort_onesweep_config_selectorIilEEZZNS1_29radix_sort_onesweep_iterationIS3_Lb0EPiS7_N6thrust23THRUST_200600_302600_NS10device_ptrIlEESB_jNS0_19identity_decomposerENS1_16block_id_wrapperIjLb0EEEEE10hipError_tT1_PNSt15iterator_traitsISG_E10value_typeET2_T3_PNSH_ISM_E10value_typeET4_T5_PSR_SS_PNS1_23onesweep_lookback_stateEbbT6_jjT7_P12ihipStream_tbENKUlT_T0_SG_SL_E_clIS7_S7_SB_SB_EEDaSZ_S10_SG_SL_EUlSZ_E_NS1_11comp_targetILNS1_3genE9ELNS1_11target_archE1100ELNS1_3gpuE3ELNS1_3repE0EEENS1_47radix_sort_onesweep_sort_config_static_selectorELNS0_4arch9wavefront6targetE1EEEvSG_
    .private_segment_fixed_size: 0
    .sgpr_count:     4
    .sgpr_spill_count: 0
    .symbol:         _ZN7rocprim17ROCPRIM_400000_NS6detail17trampoline_kernelINS0_14default_configENS1_35radix_sort_onesweep_config_selectorIilEEZZNS1_29radix_sort_onesweep_iterationIS3_Lb0EPiS7_N6thrust23THRUST_200600_302600_NS10device_ptrIlEESB_jNS0_19identity_decomposerENS1_16block_id_wrapperIjLb0EEEEE10hipError_tT1_PNSt15iterator_traitsISG_E10value_typeET2_T3_PNSH_ISM_E10value_typeET4_T5_PSR_SS_PNS1_23onesweep_lookback_stateEbbT6_jjT7_P12ihipStream_tbENKUlT_T0_SG_SL_E_clIS7_S7_SB_SB_EEDaSZ_S10_SG_SL_EUlSZ_E_NS1_11comp_targetILNS1_3genE9ELNS1_11target_archE1100ELNS1_3gpuE3ELNS1_3repE0EEENS1_47radix_sort_onesweep_sort_config_static_selectorELNS0_4arch9wavefront6targetE1EEEvSG_.kd
    .uniform_work_group_size: 1
    .uses_dynamic_stack: false
    .vgpr_count:     0
    .vgpr_spill_count: 0
    .wavefront_size: 64
  - .agpr_count:     0
    .args:
      - .offset:         0
        .size:           88
        .value_kind:     by_value
    .group_segment_fixed_size: 0
    .kernarg_segment_align: 8
    .kernarg_segment_size: 88
    .language:       OpenCL C
    .language_version:
      - 2
      - 0
    .max_flat_workgroup_size: 1024
    .name:           _ZN7rocprim17ROCPRIM_400000_NS6detail17trampoline_kernelINS0_14default_configENS1_35radix_sort_onesweep_config_selectorIilEEZZNS1_29radix_sort_onesweep_iterationIS3_Lb0EPiS7_N6thrust23THRUST_200600_302600_NS10device_ptrIlEESB_jNS0_19identity_decomposerENS1_16block_id_wrapperIjLb0EEEEE10hipError_tT1_PNSt15iterator_traitsISG_E10value_typeET2_T3_PNSH_ISM_E10value_typeET4_T5_PSR_SS_PNS1_23onesweep_lookback_stateEbbT6_jjT7_P12ihipStream_tbENKUlT_T0_SG_SL_E_clIS7_S7_SB_SB_EEDaSZ_S10_SG_SL_EUlSZ_E_NS1_11comp_targetILNS1_3genE8ELNS1_11target_archE1030ELNS1_3gpuE2ELNS1_3repE0EEENS1_47radix_sort_onesweep_sort_config_static_selectorELNS0_4arch9wavefront6targetE1EEEvSG_
    .private_segment_fixed_size: 0
    .sgpr_count:     4
    .sgpr_spill_count: 0
    .symbol:         _ZN7rocprim17ROCPRIM_400000_NS6detail17trampoline_kernelINS0_14default_configENS1_35radix_sort_onesweep_config_selectorIilEEZZNS1_29radix_sort_onesweep_iterationIS3_Lb0EPiS7_N6thrust23THRUST_200600_302600_NS10device_ptrIlEESB_jNS0_19identity_decomposerENS1_16block_id_wrapperIjLb0EEEEE10hipError_tT1_PNSt15iterator_traitsISG_E10value_typeET2_T3_PNSH_ISM_E10value_typeET4_T5_PSR_SS_PNS1_23onesweep_lookback_stateEbbT6_jjT7_P12ihipStream_tbENKUlT_T0_SG_SL_E_clIS7_S7_SB_SB_EEDaSZ_S10_SG_SL_EUlSZ_E_NS1_11comp_targetILNS1_3genE8ELNS1_11target_archE1030ELNS1_3gpuE2ELNS1_3repE0EEENS1_47radix_sort_onesweep_sort_config_static_selectorELNS0_4arch9wavefront6targetE1EEEvSG_.kd
    .uniform_work_group_size: 1
    .uses_dynamic_stack: false
    .vgpr_count:     0
    .vgpr_spill_count: 0
    .wavefront_size: 64
  - .agpr_count:     0
    .args:
      - .offset:         0
        .size:           88
        .value_kind:     by_value
    .group_segment_fixed_size: 0
    .kernarg_segment_align: 8
    .kernarg_segment_size: 88
    .language:       OpenCL C
    .language_version:
      - 2
      - 0
    .max_flat_workgroup_size: 512
    .name:           _ZN7rocprim17ROCPRIM_400000_NS6detail17trampoline_kernelINS0_14default_configENS1_35radix_sort_onesweep_config_selectorIilEEZZNS1_29radix_sort_onesweep_iterationIS3_Lb0EPiS7_N6thrust23THRUST_200600_302600_NS10device_ptrIlEESB_jNS0_19identity_decomposerENS1_16block_id_wrapperIjLb0EEEEE10hipError_tT1_PNSt15iterator_traitsISG_E10value_typeET2_T3_PNSH_ISM_E10value_typeET4_T5_PSR_SS_PNS1_23onesweep_lookback_stateEbbT6_jjT7_P12ihipStream_tbENKUlT_T0_SG_SL_E_clIS7_S7_SB_PlEEDaSZ_S10_SG_SL_EUlSZ_E_NS1_11comp_targetILNS1_3genE0ELNS1_11target_archE4294967295ELNS1_3gpuE0ELNS1_3repE0EEENS1_47radix_sort_onesweep_sort_config_static_selectorELNS0_4arch9wavefront6targetE1EEEvSG_
    .private_segment_fixed_size: 0
    .sgpr_count:     4
    .sgpr_spill_count: 0
    .symbol:         _ZN7rocprim17ROCPRIM_400000_NS6detail17trampoline_kernelINS0_14default_configENS1_35radix_sort_onesweep_config_selectorIilEEZZNS1_29radix_sort_onesweep_iterationIS3_Lb0EPiS7_N6thrust23THRUST_200600_302600_NS10device_ptrIlEESB_jNS0_19identity_decomposerENS1_16block_id_wrapperIjLb0EEEEE10hipError_tT1_PNSt15iterator_traitsISG_E10value_typeET2_T3_PNSH_ISM_E10value_typeET4_T5_PSR_SS_PNS1_23onesweep_lookback_stateEbbT6_jjT7_P12ihipStream_tbENKUlT_T0_SG_SL_E_clIS7_S7_SB_PlEEDaSZ_S10_SG_SL_EUlSZ_E_NS1_11comp_targetILNS1_3genE0ELNS1_11target_archE4294967295ELNS1_3gpuE0ELNS1_3repE0EEENS1_47radix_sort_onesweep_sort_config_static_selectorELNS0_4arch9wavefront6targetE1EEEvSG_.kd
    .uniform_work_group_size: 1
    .uses_dynamic_stack: false
    .vgpr_count:     0
    .vgpr_spill_count: 0
    .wavefront_size: 64
  - .agpr_count:     0
    .args:
      - .offset:         0
        .size:           88
        .value_kind:     by_value
    .group_segment_fixed_size: 0
    .kernarg_segment_align: 8
    .kernarg_segment_size: 88
    .language:       OpenCL C
    .language_version:
      - 2
      - 0
    .max_flat_workgroup_size: 1024
    .name:           _ZN7rocprim17ROCPRIM_400000_NS6detail17trampoline_kernelINS0_14default_configENS1_35radix_sort_onesweep_config_selectorIilEEZZNS1_29radix_sort_onesweep_iterationIS3_Lb0EPiS7_N6thrust23THRUST_200600_302600_NS10device_ptrIlEESB_jNS0_19identity_decomposerENS1_16block_id_wrapperIjLb0EEEEE10hipError_tT1_PNSt15iterator_traitsISG_E10value_typeET2_T3_PNSH_ISM_E10value_typeET4_T5_PSR_SS_PNS1_23onesweep_lookback_stateEbbT6_jjT7_P12ihipStream_tbENKUlT_T0_SG_SL_E_clIS7_S7_SB_PlEEDaSZ_S10_SG_SL_EUlSZ_E_NS1_11comp_targetILNS1_3genE6ELNS1_11target_archE950ELNS1_3gpuE13ELNS1_3repE0EEENS1_47radix_sort_onesweep_sort_config_static_selectorELNS0_4arch9wavefront6targetE1EEEvSG_
    .private_segment_fixed_size: 0
    .sgpr_count:     4
    .sgpr_spill_count: 0
    .symbol:         _ZN7rocprim17ROCPRIM_400000_NS6detail17trampoline_kernelINS0_14default_configENS1_35radix_sort_onesweep_config_selectorIilEEZZNS1_29radix_sort_onesweep_iterationIS3_Lb0EPiS7_N6thrust23THRUST_200600_302600_NS10device_ptrIlEESB_jNS0_19identity_decomposerENS1_16block_id_wrapperIjLb0EEEEE10hipError_tT1_PNSt15iterator_traitsISG_E10value_typeET2_T3_PNSH_ISM_E10value_typeET4_T5_PSR_SS_PNS1_23onesweep_lookback_stateEbbT6_jjT7_P12ihipStream_tbENKUlT_T0_SG_SL_E_clIS7_S7_SB_PlEEDaSZ_S10_SG_SL_EUlSZ_E_NS1_11comp_targetILNS1_3genE6ELNS1_11target_archE950ELNS1_3gpuE13ELNS1_3repE0EEENS1_47radix_sort_onesweep_sort_config_static_selectorELNS0_4arch9wavefront6targetE1EEEvSG_.kd
    .uniform_work_group_size: 1
    .uses_dynamic_stack: false
    .vgpr_count:     0
    .vgpr_spill_count: 0
    .wavefront_size: 64
  - .agpr_count:     0
    .args:
      - .offset:         0
        .size:           88
        .value_kind:     by_value
    .group_segment_fixed_size: 0
    .kernarg_segment_align: 8
    .kernarg_segment_size: 88
    .language:       OpenCL C
    .language_version:
      - 2
      - 0
    .max_flat_workgroup_size: 1024
    .name:           _ZN7rocprim17ROCPRIM_400000_NS6detail17trampoline_kernelINS0_14default_configENS1_35radix_sort_onesweep_config_selectorIilEEZZNS1_29radix_sort_onesweep_iterationIS3_Lb0EPiS7_N6thrust23THRUST_200600_302600_NS10device_ptrIlEESB_jNS0_19identity_decomposerENS1_16block_id_wrapperIjLb0EEEEE10hipError_tT1_PNSt15iterator_traitsISG_E10value_typeET2_T3_PNSH_ISM_E10value_typeET4_T5_PSR_SS_PNS1_23onesweep_lookback_stateEbbT6_jjT7_P12ihipStream_tbENKUlT_T0_SG_SL_E_clIS7_S7_SB_PlEEDaSZ_S10_SG_SL_EUlSZ_E_NS1_11comp_targetILNS1_3genE5ELNS1_11target_archE942ELNS1_3gpuE9ELNS1_3repE0EEENS1_47radix_sort_onesweep_sort_config_static_selectorELNS0_4arch9wavefront6targetE1EEEvSG_
    .private_segment_fixed_size: 0
    .sgpr_count:     4
    .sgpr_spill_count: 0
    .symbol:         _ZN7rocprim17ROCPRIM_400000_NS6detail17trampoline_kernelINS0_14default_configENS1_35radix_sort_onesweep_config_selectorIilEEZZNS1_29radix_sort_onesweep_iterationIS3_Lb0EPiS7_N6thrust23THRUST_200600_302600_NS10device_ptrIlEESB_jNS0_19identity_decomposerENS1_16block_id_wrapperIjLb0EEEEE10hipError_tT1_PNSt15iterator_traitsISG_E10value_typeET2_T3_PNSH_ISM_E10value_typeET4_T5_PSR_SS_PNS1_23onesweep_lookback_stateEbbT6_jjT7_P12ihipStream_tbENKUlT_T0_SG_SL_E_clIS7_S7_SB_PlEEDaSZ_S10_SG_SL_EUlSZ_E_NS1_11comp_targetILNS1_3genE5ELNS1_11target_archE942ELNS1_3gpuE9ELNS1_3repE0EEENS1_47radix_sort_onesweep_sort_config_static_selectorELNS0_4arch9wavefront6targetE1EEEvSG_.kd
    .uniform_work_group_size: 1
    .uses_dynamic_stack: false
    .vgpr_count:     0
    .vgpr_spill_count: 0
    .wavefront_size: 64
  - .agpr_count:     0
    .args:
      - .offset:         0
        .size:           88
        .value_kind:     by_value
    .group_segment_fixed_size: 0
    .kernarg_segment_align: 8
    .kernarg_segment_size: 88
    .language:       OpenCL C
    .language_version:
      - 2
      - 0
    .max_flat_workgroup_size: 512
    .name:           _ZN7rocprim17ROCPRIM_400000_NS6detail17trampoline_kernelINS0_14default_configENS1_35radix_sort_onesweep_config_selectorIilEEZZNS1_29radix_sort_onesweep_iterationIS3_Lb0EPiS7_N6thrust23THRUST_200600_302600_NS10device_ptrIlEESB_jNS0_19identity_decomposerENS1_16block_id_wrapperIjLb0EEEEE10hipError_tT1_PNSt15iterator_traitsISG_E10value_typeET2_T3_PNSH_ISM_E10value_typeET4_T5_PSR_SS_PNS1_23onesweep_lookback_stateEbbT6_jjT7_P12ihipStream_tbENKUlT_T0_SG_SL_E_clIS7_S7_SB_PlEEDaSZ_S10_SG_SL_EUlSZ_E_NS1_11comp_targetILNS1_3genE2ELNS1_11target_archE906ELNS1_3gpuE6ELNS1_3repE0EEENS1_47radix_sort_onesweep_sort_config_static_selectorELNS0_4arch9wavefront6targetE1EEEvSG_
    .private_segment_fixed_size: 0
    .sgpr_count:     4
    .sgpr_spill_count: 0
    .symbol:         _ZN7rocprim17ROCPRIM_400000_NS6detail17trampoline_kernelINS0_14default_configENS1_35radix_sort_onesweep_config_selectorIilEEZZNS1_29radix_sort_onesweep_iterationIS3_Lb0EPiS7_N6thrust23THRUST_200600_302600_NS10device_ptrIlEESB_jNS0_19identity_decomposerENS1_16block_id_wrapperIjLb0EEEEE10hipError_tT1_PNSt15iterator_traitsISG_E10value_typeET2_T3_PNSH_ISM_E10value_typeET4_T5_PSR_SS_PNS1_23onesweep_lookback_stateEbbT6_jjT7_P12ihipStream_tbENKUlT_T0_SG_SL_E_clIS7_S7_SB_PlEEDaSZ_S10_SG_SL_EUlSZ_E_NS1_11comp_targetILNS1_3genE2ELNS1_11target_archE906ELNS1_3gpuE6ELNS1_3repE0EEENS1_47radix_sort_onesweep_sort_config_static_selectorELNS0_4arch9wavefront6targetE1EEEvSG_.kd
    .uniform_work_group_size: 1
    .uses_dynamic_stack: false
    .vgpr_count:     0
    .vgpr_spill_count: 0
    .wavefront_size: 64
  - .agpr_count:     0
    .args:
      - .offset:         0
        .size:           88
        .value_kind:     by_value
      - .offset:         88
        .size:           4
        .value_kind:     hidden_block_count_x
      - .offset:         92
        .size:           4
        .value_kind:     hidden_block_count_y
      - .offset:         96
        .size:           4
        .value_kind:     hidden_block_count_z
      - .offset:         100
        .size:           2
        .value_kind:     hidden_group_size_x
      - .offset:         102
        .size:           2
        .value_kind:     hidden_group_size_y
      - .offset:         104
        .size:           2
        .value_kind:     hidden_group_size_z
      - .offset:         106
        .size:           2
        .value_kind:     hidden_remainder_x
      - .offset:         108
        .size:           2
        .value_kind:     hidden_remainder_y
      - .offset:         110
        .size:           2
        .value_kind:     hidden_remainder_z
      - .offset:         128
        .size:           8
        .value_kind:     hidden_global_offset_x
      - .offset:         136
        .size:           8
        .value_kind:     hidden_global_offset_y
      - .offset:         144
        .size:           8
        .value_kind:     hidden_global_offset_z
      - .offset:         152
        .size:           2
        .value_kind:     hidden_grid_dims
    .group_segment_fixed_size: 10280
    .kernarg_segment_align: 8
    .kernarg_segment_size: 344
    .language:       OpenCL C
    .language_version:
      - 2
      - 0
    .max_flat_workgroup_size: 512
    .name:           _ZN7rocprim17ROCPRIM_400000_NS6detail17trampoline_kernelINS0_14default_configENS1_35radix_sort_onesweep_config_selectorIilEEZZNS1_29radix_sort_onesweep_iterationIS3_Lb0EPiS7_N6thrust23THRUST_200600_302600_NS10device_ptrIlEESB_jNS0_19identity_decomposerENS1_16block_id_wrapperIjLb0EEEEE10hipError_tT1_PNSt15iterator_traitsISG_E10value_typeET2_T3_PNSH_ISM_E10value_typeET4_T5_PSR_SS_PNS1_23onesweep_lookback_stateEbbT6_jjT7_P12ihipStream_tbENKUlT_T0_SG_SL_E_clIS7_S7_SB_PlEEDaSZ_S10_SG_SL_EUlSZ_E_NS1_11comp_targetILNS1_3genE4ELNS1_11target_archE910ELNS1_3gpuE8ELNS1_3repE0EEENS1_47radix_sort_onesweep_sort_config_static_selectorELNS0_4arch9wavefront6targetE1EEEvSG_
    .private_segment_fixed_size: 0
    .sgpr_count:     73
    .sgpr_spill_count: 0
    .symbol:         _ZN7rocprim17ROCPRIM_400000_NS6detail17trampoline_kernelINS0_14default_configENS1_35radix_sort_onesweep_config_selectorIilEEZZNS1_29radix_sort_onesweep_iterationIS3_Lb0EPiS7_N6thrust23THRUST_200600_302600_NS10device_ptrIlEESB_jNS0_19identity_decomposerENS1_16block_id_wrapperIjLb0EEEEE10hipError_tT1_PNSt15iterator_traitsISG_E10value_typeET2_T3_PNSH_ISM_E10value_typeET4_T5_PSR_SS_PNS1_23onesweep_lookback_stateEbbT6_jjT7_P12ihipStream_tbENKUlT_T0_SG_SL_E_clIS7_S7_SB_PlEEDaSZ_S10_SG_SL_EUlSZ_E_NS1_11comp_targetILNS1_3genE4ELNS1_11target_archE910ELNS1_3gpuE8ELNS1_3repE0EEENS1_47radix_sort_onesweep_sort_config_static_selectorELNS0_4arch9wavefront6targetE1EEEvSG_.kd
    .uniform_work_group_size: 1
    .uses_dynamic_stack: false
    .vgpr_count:     88
    .vgpr_spill_count: 0
    .wavefront_size: 64
  - .agpr_count:     0
    .args:
      - .offset:         0
        .size:           88
        .value_kind:     by_value
    .group_segment_fixed_size: 0
    .kernarg_segment_align: 8
    .kernarg_segment_size: 88
    .language:       OpenCL C
    .language_version:
      - 2
      - 0
    .max_flat_workgroup_size: 512
    .name:           _ZN7rocprim17ROCPRIM_400000_NS6detail17trampoline_kernelINS0_14default_configENS1_35radix_sort_onesweep_config_selectorIilEEZZNS1_29radix_sort_onesweep_iterationIS3_Lb0EPiS7_N6thrust23THRUST_200600_302600_NS10device_ptrIlEESB_jNS0_19identity_decomposerENS1_16block_id_wrapperIjLb0EEEEE10hipError_tT1_PNSt15iterator_traitsISG_E10value_typeET2_T3_PNSH_ISM_E10value_typeET4_T5_PSR_SS_PNS1_23onesweep_lookback_stateEbbT6_jjT7_P12ihipStream_tbENKUlT_T0_SG_SL_E_clIS7_S7_SB_PlEEDaSZ_S10_SG_SL_EUlSZ_E_NS1_11comp_targetILNS1_3genE3ELNS1_11target_archE908ELNS1_3gpuE7ELNS1_3repE0EEENS1_47radix_sort_onesweep_sort_config_static_selectorELNS0_4arch9wavefront6targetE1EEEvSG_
    .private_segment_fixed_size: 0
    .sgpr_count:     4
    .sgpr_spill_count: 0
    .symbol:         _ZN7rocprim17ROCPRIM_400000_NS6detail17trampoline_kernelINS0_14default_configENS1_35radix_sort_onesweep_config_selectorIilEEZZNS1_29radix_sort_onesweep_iterationIS3_Lb0EPiS7_N6thrust23THRUST_200600_302600_NS10device_ptrIlEESB_jNS0_19identity_decomposerENS1_16block_id_wrapperIjLb0EEEEE10hipError_tT1_PNSt15iterator_traitsISG_E10value_typeET2_T3_PNSH_ISM_E10value_typeET4_T5_PSR_SS_PNS1_23onesweep_lookback_stateEbbT6_jjT7_P12ihipStream_tbENKUlT_T0_SG_SL_E_clIS7_S7_SB_PlEEDaSZ_S10_SG_SL_EUlSZ_E_NS1_11comp_targetILNS1_3genE3ELNS1_11target_archE908ELNS1_3gpuE7ELNS1_3repE0EEENS1_47radix_sort_onesweep_sort_config_static_selectorELNS0_4arch9wavefront6targetE1EEEvSG_.kd
    .uniform_work_group_size: 1
    .uses_dynamic_stack: false
    .vgpr_count:     0
    .vgpr_spill_count: 0
    .wavefront_size: 64
  - .agpr_count:     0
    .args:
      - .offset:         0
        .size:           88
        .value_kind:     by_value
    .group_segment_fixed_size: 0
    .kernarg_segment_align: 8
    .kernarg_segment_size: 88
    .language:       OpenCL C
    .language_version:
      - 2
      - 0
    .max_flat_workgroup_size: 1024
    .name:           _ZN7rocprim17ROCPRIM_400000_NS6detail17trampoline_kernelINS0_14default_configENS1_35radix_sort_onesweep_config_selectorIilEEZZNS1_29radix_sort_onesweep_iterationIS3_Lb0EPiS7_N6thrust23THRUST_200600_302600_NS10device_ptrIlEESB_jNS0_19identity_decomposerENS1_16block_id_wrapperIjLb0EEEEE10hipError_tT1_PNSt15iterator_traitsISG_E10value_typeET2_T3_PNSH_ISM_E10value_typeET4_T5_PSR_SS_PNS1_23onesweep_lookback_stateEbbT6_jjT7_P12ihipStream_tbENKUlT_T0_SG_SL_E_clIS7_S7_SB_PlEEDaSZ_S10_SG_SL_EUlSZ_E_NS1_11comp_targetILNS1_3genE10ELNS1_11target_archE1201ELNS1_3gpuE5ELNS1_3repE0EEENS1_47radix_sort_onesweep_sort_config_static_selectorELNS0_4arch9wavefront6targetE1EEEvSG_
    .private_segment_fixed_size: 0
    .sgpr_count:     4
    .sgpr_spill_count: 0
    .symbol:         _ZN7rocprim17ROCPRIM_400000_NS6detail17trampoline_kernelINS0_14default_configENS1_35radix_sort_onesweep_config_selectorIilEEZZNS1_29radix_sort_onesweep_iterationIS3_Lb0EPiS7_N6thrust23THRUST_200600_302600_NS10device_ptrIlEESB_jNS0_19identity_decomposerENS1_16block_id_wrapperIjLb0EEEEE10hipError_tT1_PNSt15iterator_traitsISG_E10value_typeET2_T3_PNSH_ISM_E10value_typeET4_T5_PSR_SS_PNS1_23onesweep_lookback_stateEbbT6_jjT7_P12ihipStream_tbENKUlT_T0_SG_SL_E_clIS7_S7_SB_PlEEDaSZ_S10_SG_SL_EUlSZ_E_NS1_11comp_targetILNS1_3genE10ELNS1_11target_archE1201ELNS1_3gpuE5ELNS1_3repE0EEENS1_47radix_sort_onesweep_sort_config_static_selectorELNS0_4arch9wavefront6targetE1EEEvSG_.kd
    .uniform_work_group_size: 1
    .uses_dynamic_stack: false
    .vgpr_count:     0
    .vgpr_spill_count: 0
    .wavefront_size: 64
  - .agpr_count:     0
    .args:
      - .offset:         0
        .size:           88
        .value_kind:     by_value
    .group_segment_fixed_size: 0
    .kernarg_segment_align: 8
    .kernarg_segment_size: 88
    .language:       OpenCL C
    .language_version:
      - 2
      - 0
    .max_flat_workgroup_size: 1024
    .name:           _ZN7rocprim17ROCPRIM_400000_NS6detail17trampoline_kernelINS0_14default_configENS1_35radix_sort_onesweep_config_selectorIilEEZZNS1_29radix_sort_onesweep_iterationIS3_Lb0EPiS7_N6thrust23THRUST_200600_302600_NS10device_ptrIlEESB_jNS0_19identity_decomposerENS1_16block_id_wrapperIjLb0EEEEE10hipError_tT1_PNSt15iterator_traitsISG_E10value_typeET2_T3_PNSH_ISM_E10value_typeET4_T5_PSR_SS_PNS1_23onesweep_lookback_stateEbbT6_jjT7_P12ihipStream_tbENKUlT_T0_SG_SL_E_clIS7_S7_SB_PlEEDaSZ_S10_SG_SL_EUlSZ_E_NS1_11comp_targetILNS1_3genE9ELNS1_11target_archE1100ELNS1_3gpuE3ELNS1_3repE0EEENS1_47radix_sort_onesweep_sort_config_static_selectorELNS0_4arch9wavefront6targetE1EEEvSG_
    .private_segment_fixed_size: 0
    .sgpr_count:     4
    .sgpr_spill_count: 0
    .symbol:         _ZN7rocprim17ROCPRIM_400000_NS6detail17trampoline_kernelINS0_14default_configENS1_35radix_sort_onesweep_config_selectorIilEEZZNS1_29radix_sort_onesweep_iterationIS3_Lb0EPiS7_N6thrust23THRUST_200600_302600_NS10device_ptrIlEESB_jNS0_19identity_decomposerENS1_16block_id_wrapperIjLb0EEEEE10hipError_tT1_PNSt15iterator_traitsISG_E10value_typeET2_T3_PNSH_ISM_E10value_typeET4_T5_PSR_SS_PNS1_23onesweep_lookback_stateEbbT6_jjT7_P12ihipStream_tbENKUlT_T0_SG_SL_E_clIS7_S7_SB_PlEEDaSZ_S10_SG_SL_EUlSZ_E_NS1_11comp_targetILNS1_3genE9ELNS1_11target_archE1100ELNS1_3gpuE3ELNS1_3repE0EEENS1_47radix_sort_onesweep_sort_config_static_selectorELNS0_4arch9wavefront6targetE1EEEvSG_.kd
    .uniform_work_group_size: 1
    .uses_dynamic_stack: false
    .vgpr_count:     0
    .vgpr_spill_count: 0
    .wavefront_size: 64
  - .agpr_count:     0
    .args:
      - .offset:         0
        .size:           88
        .value_kind:     by_value
    .group_segment_fixed_size: 0
    .kernarg_segment_align: 8
    .kernarg_segment_size: 88
    .language:       OpenCL C
    .language_version:
      - 2
      - 0
    .max_flat_workgroup_size: 1024
    .name:           _ZN7rocprim17ROCPRIM_400000_NS6detail17trampoline_kernelINS0_14default_configENS1_35radix_sort_onesweep_config_selectorIilEEZZNS1_29radix_sort_onesweep_iterationIS3_Lb0EPiS7_N6thrust23THRUST_200600_302600_NS10device_ptrIlEESB_jNS0_19identity_decomposerENS1_16block_id_wrapperIjLb0EEEEE10hipError_tT1_PNSt15iterator_traitsISG_E10value_typeET2_T3_PNSH_ISM_E10value_typeET4_T5_PSR_SS_PNS1_23onesweep_lookback_stateEbbT6_jjT7_P12ihipStream_tbENKUlT_T0_SG_SL_E_clIS7_S7_SB_PlEEDaSZ_S10_SG_SL_EUlSZ_E_NS1_11comp_targetILNS1_3genE8ELNS1_11target_archE1030ELNS1_3gpuE2ELNS1_3repE0EEENS1_47radix_sort_onesweep_sort_config_static_selectorELNS0_4arch9wavefront6targetE1EEEvSG_
    .private_segment_fixed_size: 0
    .sgpr_count:     4
    .sgpr_spill_count: 0
    .symbol:         _ZN7rocprim17ROCPRIM_400000_NS6detail17trampoline_kernelINS0_14default_configENS1_35radix_sort_onesweep_config_selectorIilEEZZNS1_29radix_sort_onesweep_iterationIS3_Lb0EPiS7_N6thrust23THRUST_200600_302600_NS10device_ptrIlEESB_jNS0_19identity_decomposerENS1_16block_id_wrapperIjLb0EEEEE10hipError_tT1_PNSt15iterator_traitsISG_E10value_typeET2_T3_PNSH_ISM_E10value_typeET4_T5_PSR_SS_PNS1_23onesweep_lookback_stateEbbT6_jjT7_P12ihipStream_tbENKUlT_T0_SG_SL_E_clIS7_S7_SB_PlEEDaSZ_S10_SG_SL_EUlSZ_E_NS1_11comp_targetILNS1_3genE8ELNS1_11target_archE1030ELNS1_3gpuE2ELNS1_3repE0EEENS1_47radix_sort_onesweep_sort_config_static_selectorELNS0_4arch9wavefront6targetE1EEEvSG_.kd
    .uniform_work_group_size: 1
    .uses_dynamic_stack: false
    .vgpr_count:     0
    .vgpr_spill_count: 0
    .wavefront_size: 64
  - .agpr_count:     0
    .args:
      - .offset:         0
        .size:           88
        .value_kind:     by_value
    .group_segment_fixed_size: 0
    .kernarg_segment_align: 8
    .kernarg_segment_size: 88
    .language:       OpenCL C
    .language_version:
      - 2
      - 0
    .max_flat_workgroup_size: 512
    .name:           _ZN7rocprim17ROCPRIM_400000_NS6detail17trampoline_kernelINS0_14default_configENS1_35radix_sort_onesweep_config_selectorIilEEZZNS1_29radix_sort_onesweep_iterationIS3_Lb0EPiS7_N6thrust23THRUST_200600_302600_NS10device_ptrIlEESB_jNS0_19identity_decomposerENS1_16block_id_wrapperIjLb0EEEEE10hipError_tT1_PNSt15iterator_traitsISG_E10value_typeET2_T3_PNSH_ISM_E10value_typeET4_T5_PSR_SS_PNS1_23onesweep_lookback_stateEbbT6_jjT7_P12ihipStream_tbENKUlT_T0_SG_SL_E_clIS7_S7_PlSB_EEDaSZ_S10_SG_SL_EUlSZ_E_NS1_11comp_targetILNS1_3genE0ELNS1_11target_archE4294967295ELNS1_3gpuE0ELNS1_3repE0EEENS1_47radix_sort_onesweep_sort_config_static_selectorELNS0_4arch9wavefront6targetE1EEEvSG_
    .private_segment_fixed_size: 0
    .sgpr_count:     4
    .sgpr_spill_count: 0
    .symbol:         _ZN7rocprim17ROCPRIM_400000_NS6detail17trampoline_kernelINS0_14default_configENS1_35radix_sort_onesweep_config_selectorIilEEZZNS1_29radix_sort_onesweep_iterationIS3_Lb0EPiS7_N6thrust23THRUST_200600_302600_NS10device_ptrIlEESB_jNS0_19identity_decomposerENS1_16block_id_wrapperIjLb0EEEEE10hipError_tT1_PNSt15iterator_traitsISG_E10value_typeET2_T3_PNSH_ISM_E10value_typeET4_T5_PSR_SS_PNS1_23onesweep_lookback_stateEbbT6_jjT7_P12ihipStream_tbENKUlT_T0_SG_SL_E_clIS7_S7_PlSB_EEDaSZ_S10_SG_SL_EUlSZ_E_NS1_11comp_targetILNS1_3genE0ELNS1_11target_archE4294967295ELNS1_3gpuE0ELNS1_3repE0EEENS1_47radix_sort_onesweep_sort_config_static_selectorELNS0_4arch9wavefront6targetE1EEEvSG_.kd
    .uniform_work_group_size: 1
    .uses_dynamic_stack: false
    .vgpr_count:     0
    .vgpr_spill_count: 0
    .wavefront_size: 64
  - .agpr_count:     0
    .args:
      - .offset:         0
        .size:           88
        .value_kind:     by_value
    .group_segment_fixed_size: 0
    .kernarg_segment_align: 8
    .kernarg_segment_size: 88
    .language:       OpenCL C
    .language_version:
      - 2
      - 0
    .max_flat_workgroup_size: 1024
    .name:           _ZN7rocprim17ROCPRIM_400000_NS6detail17trampoline_kernelINS0_14default_configENS1_35radix_sort_onesweep_config_selectorIilEEZZNS1_29radix_sort_onesweep_iterationIS3_Lb0EPiS7_N6thrust23THRUST_200600_302600_NS10device_ptrIlEESB_jNS0_19identity_decomposerENS1_16block_id_wrapperIjLb0EEEEE10hipError_tT1_PNSt15iterator_traitsISG_E10value_typeET2_T3_PNSH_ISM_E10value_typeET4_T5_PSR_SS_PNS1_23onesweep_lookback_stateEbbT6_jjT7_P12ihipStream_tbENKUlT_T0_SG_SL_E_clIS7_S7_PlSB_EEDaSZ_S10_SG_SL_EUlSZ_E_NS1_11comp_targetILNS1_3genE6ELNS1_11target_archE950ELNS1_3gpuE13ELNS1_3repE0EEENS1_47radix_sort_onesweep_sort_config_static_selectorELNS0_4arch9wavefront6targetE1EEEvSG_
    .private_segment_fixed_size: 0
    .sgpr_count:     4
    .sgpr_spill_count: 0
    .symbol:         _ZN7rocprim17ROCPRIM_400000_NS6detail17trampoline_kernelINS0_14default_configENS1_35radix_sort_onesweep_config_selectorIilEEZZNS1_29radix_sort_onesweep_iterationIS3_Lb0EPiS7_N6thrust23THRUST_200600_302600_NS10device_ptrIlEESB_jNS0_19identity_decomposerENS1_16block_id_wrapperIjLb0EEEEE10hipError_tT1_PNSt15iterator_traitsISG_E10value_typeET2_T3_PNSH_ISM_E10value_typeET4_T5_PSR_SS_PNS1_23onesweep_lookback_stateEbbT6_jjT7_P12ihipStream_tbENKUlT_T0_SG_SL_E_clIS7_S7_PlSB_EEDaSZ_S10_SG_SL_EUlSZ_E_NS1_11comp_targetILNS1_3genE6ELNS1_11target_archE950ELNS1_3gpuE13ELNS1_3repE0EEENS1_47radix_sort_onesweep_sort_config_static_selectorELNS0_4arch9wavefront6targetE1EEEvSG_.kd
    .uniform_work_group_size: 1
    .uses_dynamic_stack: false
    .vgpr_count:     0
    .vgpr_spill_count: 0
    .wavefront_size: 64
  - .agpr_count:     0
    .args:
      - .offset:         0
        .size:           88
        .value_kind:     by_value
    .group_segment_fixed_size: 0
    .kernarg_segment_align: 8
    .kernarg_segment_size: 88
    .language:       OpenCL C
    .language_version:
      - 2
      - 0
    .max_flat_workgroup_size: 1024
    .name:           _ZN7rocprim17ROCPRIM_400000_NS6detail17trampoline_kernelINS0_14default_configENS1_35radix_sort_onesweep_config_selectorIilEEZZNS1_29radix_sort_onesweep_iterationIS3_Lb0EPiS7_N6thrust23THRUST_200600_302600_NS10device_ptrIlEESB_jNS0_19identity_decomposerENS1_16block_id_wrapperIjLb0EEEEE10hipError_tT1_PNSt15iterator_traitsISG_E10value_typeET2_T3_PNSH_ISM_E10value_typeET4_T5_PSR_SS_PNS1_23onesweep_lookback_stateEbbT6_jjT7_P12ihipStream_tbENKUlT_T0_SG_SL_E_clIS7_S7_PlSB_EEDaSZ_S10_SG_SL_EUlSZ_E_NS1_11comp_targetILNS1_3genE5ELNS1_11target_archE942ELNS1_3gpuE9ELNS1_3repE0EEENS1_47radix_sort_onesweep_sort_config_static_selectorELNS0_4arch9wavefront6targetE1EEEvSG_
    .private_segment_fixed_size: 0
    .sgpr_count:     4
    .sgpr_spill_count: 0
    .symbol:         _ZN7rocprim17ROCPRIM_400000_NS6detail17trampoline_kernelINS0_14default_configENS1_35radix_sort_onesweep_config_selectorIilEEZZNS1_29radix_sort_onesweep_iterationIS3_Lb0EPiS7_N6thrust23THRUST_200600_302600_NS10device_ptrIlEESB_jNS0_19identity_decomposerENS1_16block_id_wrapperIjLb0EEEEE10hipError_tT1_PNSt15iterator_traitsISG_E10value_typeET2_T3_PNSH_ISM_E10value_typeET4_T5_PSR_SS_PNS1_23onesweep_lookback_stateEbbT6_jjT7_P12ihipStream_tbENKUlT_T0_SG_SL_E_clIS7_S7_PlSB_EEDaSZ_S10_SG_SL_EUlSZ_E_NS1_11comp_targetILNS1_3genE5ELNS1_11target_archE942ELNS1_3gpuE9ELNS1_3repE0EEENS1_47radix_sort_onesweep_sort_config_static_selectorELNS0_4arch9wavefront6targetE1EEEvSG_.kd
    .uniform_work_group_size: 1
    .uses_dynamic_stack: false
    .vgpr_count:     0
    .vgpr_spill_count: 0
    .wavefront_size: 64
  - .agpr_count:     0
    .args:
      - .offset:         0
        .size:           88
        .value_kind:     by_value
    .group_segment_fixed_size: 0
    .kernarg_segment_align: 8
    .kernarg_segment_size: 88
    .language:       OpenCL C
    .language_version:
      - 2
      - 0
    .max_flat_workgroup_size: 512
    .name:           _ZN7rocprim17ROCPRIM_400000_NS6detail17trampoline_kernelINS0_14default_configENS1_35radix_sort_onesweep_config_selectorIilEEZZNS1_29radix_sort_onesweep_iterationIS3_Lb0EPiS7_N6thrust23THRUST_200600_302600_NS10device_ptrIlEESB_jNS0_19identity_decomposerENS1_16block_id_wrapperIjLb0EEEEE10hipError_tT1_PNSt15iterator_traitsISG_E10value_typeET2_T3_PNSH_ISM_E10value_typeET4_T5_PSR_SS_PNS1_23onesweep_lookback_stateEbbT6_jjT7_P12ihipStream_tbENKUlT_T0_SG_SL_E_clIS7_S7_PlSB_EEDaSZ_S10_SG_SL_EUlSZ_E_NS1_11comp_targetILNS1_3genE2ELNS1_11target_archE906ELNS1_3gpuE6ELNS1_3repE0EEENS1_47radix_sort_onesweep_sort_config_static_selectorELNS0_4arch9wavefront6targetE1EEEvSG_
    .private_segment_fixed_size: 0
    .sgpr_count:     4
    .sgpr_spill_count: 0
    .symbol:         _ZN7rocprim17ROCPRIM_400000_NS6detail17trampoline_kernelINS0_14default_configENS1_35radix_sort_onesweep_config_selectorIilEEZZNS1_29radix_sort_onesweep_iterationIS3_Lb0EPiS7_N6thrust23THRUST_200600_302600_NS10device_ptrIlEESB_jNS0_19identity_decomposerENS1_16block_id_wrapperIjLb0EEEEE10hipError_tT1_PNSt15iterator_traitsISG_E10value_typeET2_T3_PNSH_ISM_E10value_typeET4_T5_PSR_SS_PNS1_23onesweep_lookback_stateEbbT6_jjT7_P12ihipStream_tbENKUlT_T0_SG_SL_E_clIS7_S7_PlSB_EEDaSZ_S10_SG_SL_EUlSZ_E_NS1_11comp_targetILNS1_3genE2ELNS1_11target_archE906ELNS1_3gpuE6ELNS1_3repE0EEENS1_47radix_sort_onesweep_sort_config_static_selectorELNS0_4arch9wavefront6targetE1EEEvSG_.kd
    .uniform_work_group_size: 1
    .uses_dynamic_stack: false
    .vgpr_count:     0
    .vgpr_spill_count: 0
    .wavefront_size: 64
  - .agpr_count:     0
    .args:
      - .offset:         0
        .size:           88
        .value_kind:     by_value
      - .offset:         88
        .size:           4
        .value_kind:     hidden_block_count_x
      - .offset:         92
        .size:           4
        .value_kind:     hidden_block_count_y
      - .offset:         96
        .size:           4
        .value_kind:     hidden_block_count_z
      - .offset:         100
        .size:           2
        .value_kind:     hidden_group_size_x
      - .offset:         102
        .size:           2
        .value_kind:     hidden_group_size_y
      - .offset:         104
        .size:           2
        .value_kind:     hidden_group_size_z
      - .offset:         106
        .size:           2
        .value_kind:     hidden_remainder_x
      - .offset:         108
        .size:           2
        .value_kind:     hidden_remainder_y
      - .offset:         110
        .size:           2
        .value_kind:     hidden_remainder_z
      - .offset:         128
        .size:           8
        .value_kind:     hidden_global_offset_x
      - .offset:         136
        .size:           8
        .value_kind:     hidden_global_offset_y
      - .offset:         144
        .size:           8
        .value_kind:     hidden_global_offset_z
      - .offset:         152
        .size:           2
        .value_kind:     hidden_grid_dims
    .group_segment_fixed_size: 10280
    .kernarg_segment_align: 8
    .kernarg_segment_size: 344
    .language:       OpenCL C
    .language_version:
      - 2
      - 0
    .max_flat_workgroup_size: 512
    .name:           _ZN7rocprim17ROCPRIM_400000_NS6detail17trampoline_kernelINS0_14default_configENS1_35radix_sort_onesweep_config_selectorIilEEZZNS1_29radix_sort_onesweep_iterationIS3_Lb0EPiS7_N6thrust23THRUST_200600_302600_NS10device_ptrIlEESB_jNS0_19identity_decomposerENS1_16block_id_wrapperIjLb0EEEEE10hipError_tT1_PNSt15iterator_traitsISG_E10value_typeET2_T3_PNSH_ISM_E10value_typeET4_T5_PSR_SS_PNS1_23onesweep_lookback_stateEbbT6_jjT7_P12ihipStream_tbENKUlT_T0_SG_SL_E_clIS7_S7_PlSB_EEDaSZ_S10_SG_SL_EUlSZ_E_NS1_11comp_targetILNS1_3genE4ELNS1_11target_archE910ELNS1_3gpuE8ELNS1_3repE0EEENS1_47radix_sort_onesweep_sort_config_static_selectorELNS0_4arch9wavefront6targetE1EEEvSG_
    .private_segment_fixed_size: 0
    .sgpr_count:     73
    .sgpr_spill_count: 0
    .symbol:         _ZN7rocprim17ROCPRIM_400000_NS6detail17trampoline_kernelINS0_14default_configENS1_35radix_sort_onesweep_config_selectorIilEEZZNS1_29radix_sort_onesweep_iterationIS3_Lb0EPiS7_N6thrust23THRUST_200600_302600_NS10device_ptrIlEESB_jNS0_19identity_decomposerENS1_16block_id_wrapperIjLb0EEEEE10hipError_tT1_PNSt15iterator_traitsISG_E10value_typeET2_T3_PNSH_ISM_E10value_typeET4_T5_PSR_SS_PNS1_23onesweep_lookback_stateEbbT6_jjT7_P12ihipStream_tbENKUlT_T0_SG_SL_E_clIS7_S7_PlSB_EEDaSZ_S10_SG_SL_EUlSZ_E_NS1_11comp_targetILNS1_3genE4ELNS1_11target_archE910ELNS1_3gpuE8ELNS1_3repE0EEENS1_47radix_sort_onesweep_sort_config_static_selectorELNS0_4arch9wavefront6targetE1EEEvSG_.kd
    .uniform_work_group_size: 1
    .uses_dynamic_stack: false
    .vgpr_count:     88
    .vgpr_spill_count: 0
    .wavefront_size: 64
  - .agpr_count:     0
    .args:
      - .offset:         0
        .size:           88
        .value_kind:     by_value
    .group_segment_fixed_size: 0
    .kernarg_segment_align: 8
    .kernarg_segment_size: 88
    .language:       OpenCL C
    .language_version:
      - 2
      - 0
    .max_flat_workgroup_size: 512
    .name:           _ZN7rocprim17ROCPRIM_400000_NS6detail17trampoline_kernelINS0_14default_configENS1_35radix_sort_onesweep_config_selectorIilEEZZNS1_29radix_sort_onesweep_iterationIS3_Lb0EPiS7_N6thrust23THRUST_200600_302600_NS10device_ptrIlEESB_jNS0_19identity_decomposerENS1_16block_id_wrapperIjLb0EEEEE10hipError_tT1_PNSt15iterator_traitsISG_E10value_typeET2_T3_PNSH_ISM_E10value_typeET4_T5_PSR_SS_PNS1_23onesweep_lookback_stateEbbT6_jjT7_P12ihipStream_tbENKUlT_T0_SG_SL_E_clIS7_S7_PlSB_EEDaSZ_S10_SG_SL_EUlSZ_E_NS1_11comp_targetILNS1_3genE3ELNS1_11target_archE908ELNS1_3gpuE7ELNS1_3repE0EEENS1_47radix_sort_onesweep_sort_config_static_selectorELNS0_4arch9wavefront6targetE1EEEvSG_
    .private_segment_fixed_size: 0
    .sgpr_count:     4
    .sgpr_spill_count: 0
    .symbol:         _ZN7rocprim17ROCPRIM_400000_NS6detail17trampoline_kernelINS0_14default_configENS1_35radix_sort_onesweep_config_selectorIilEEZZNS1_29radix_sort_onesweep_iterationIS3_Lb0EPiS7_N6thrust23THRUST_200600_302600_NS10device_ptrIlEESB_jNS0_19identity_decomposerENS1_16block_id_wrapperIjLb0EEEEE10hipError_tT1_PNSt15iterator_traitsISG_E10value_typeET2_T3_PNSH_ISM_E10value_typeET4_T5_PSR_SS_PNS1_23onesweep_lookback_stateEbbT6_jjT7_P12ihipStream_tbENKUlT_T0_SG_SL_E_clIS7_S7_PlSB_EEDaSZ_S10_SG_SL_EUlSZ_E_NS1_11comp_targetILNS1_3genE3ELNS1_11target_archE908ELNS1_3gpuE7ELNS1_3repE0EEENS1_47radix_sort_onesweep_sort_config_static_selectorELNS0_4arch9wavefront6targetE1EEEvSG_.kd
    .uniform_work_group_size: 1
    .uses_dynamic_stack: false
    .vgpr_count:     0
    .vgpr_spill_count: 0
    .wavefront_size: 64
  - .agpr_count:     0
    .args:
      - .offset:         0
        .size:           88
        .value_kind:     by_value
    .group_segment_fixed_size: 0
    .kernarg_segment_align: 8
    .kernarg_segment_size: 88
    .language:       OpenCL C
    .language_version:
      - 2
      - 0
    .max_flat_workgroup_size: 1024
    .name:           _ZN7rocprim17ROCPRIM_400000_NS6detail17trampoline_kernelINS0_14default_configENS1_35radix_sort_onesweep_config_selectorIilEEZZNS1_29radix_sort_onesweep_iterationIS3_Lb0EPiS7_N6thrust23THRUST_200600_302600_NS10device_ptrIlEESB_jNS0_19identity_decomposerENS1_16block_id_wrapperIjLb0EEEEE10hipError_tT1_PNSt15iterator_traitsISG_E10value_typeET2_T3_PNSH_ISM_E10value_typeET4_T5_PSR_SS_PNS1_23onesweep_lookback_stateEbbT6_jjT7_P12ihipStream_tbENKUlT_T0_SG_SL_E_clIS7_S7_PlSB_EEDaSZ_S10_SG_SL_EUlSZ_E_NS1_11comp_targetILNS1_3genE10ELNS1_11target_archE1201ELNS1_3gpuE5ELNS1_3repE0EEENS1_47radix_sort_onesweep_sort_config_static_selectorELNS0_4arch9wavefront6targetE1EEEvSG_
    .private_segment_fixed_size: 0
    .sgpr_count:     4
    .sgpr_spill_count: 0
    .symbol:         _ZN7rocprim17ROCPRIM_400000_NS6detail17trampoline_kernelINS0_14default_configENS1_35radix_sort_onesweep_config_selectorIilEEZZNS1_29radix_sort_onesweep_iterationIS3_Lb0EPiS7_N6thrust23THRUST_200600_302600_NS10device_ptrIlEESB_jNS0_19identity_decomposerENS1_16block_id_wrapperIjLb0EEEEE10hipError_tT1_PNSt15iterator_traitsISG_E10value_typeET2_T3_PNSH_ISM_E10value_typeET4_T5_PSR_SS_PNS1_23onesweep_lookback_stateEbbT6_jjT7_P12ihipStream_tbENKUlT_T0_SG_SL_E_clIS7_S7_PlSB_EEDaSZ_S10_SG_SL_EUlSZ_E_NS1_11comp_targetILNS1_3genE10ELNS1_11target_archE1201ELNS1_3gpuE5ELNS1_3repE0EEENS1_47radix_sort_onesweep_sort_config_static_selectorELNS0_4arch9wavefront6targetE1EEEvSG_.kd
    .uniform_work_group_size: 1
    .uses_dynamic_stack: false
    .vgpr_count:     0
    .vgpr_spill_count: 0
    .wavefront_size: 64
  - .agpr_count:     0
    .args:
      - .offset:         0
        .size:           88
        .value_kind:     by_value
    .group_segment_fixed_size: 0
    .kernarg_segment_align: 8
    .kernarg_segment_size: 88
    .language:       OpenCL C
    .language_version:
      - 2
      - 0
    .max_flat_workgroup_size: 1024
    .name:           _ZN7rocprim17ROCPRIM_400000_NS6detail17trampoline_kernelINS0_14default_configENS1_35radix_sort_onesweep_config_selectorIilEEZZNS1_29radix_sort_onesweep_iterationIS3_Lb0EPiS7_N6thrust23THRUST_200600_302600_NS10device_ptrIlEESB_jNS0_19identity_decomposerENS1_16block_id_wrapperIjLb0EEEEE10hipError_tT1_PNSt15iterator_traitsISG_E10value_typeET2_T3_PNSH_ISM_E10value_typeET4_T5_PSR_SS_PNS1_23onesweep_lookback_stateEbbT6_jjT7_P12ihipStream_tbENKUlT_T0_SG_SL_E_clIS7_S7_PlSB_EEDaSZ_S10_SG_SL_EUlSZ_E_NS1_11comp_targetILNS1_3genE9ELNS1_11target_archE1100ELNS1_3gpuE3ELNS1_3repE0EEENS1_47radix_sort_onesweep_sort_config_static_selectorELNS0_4arch9wavefront6targetE1EEEvSG_
    .private_segment_fixed_size: 0
    .sgpr_count:     4
    .sgpr_spill_count: 0
    .symbol:         _ZN7rocprim17ROCPRIM_400000_NS6detail17trampoline_kernelINS0_14default_configENS1_35radix_sort_onesweep_config_selectorIilEEZZNS1_29radix_sort_onesweep_iterationIS3_Lb0EPiS7_N6thrust23THRUST_200600_302600_NS10device_ptrIlEESB_jNS0_19identity_decomposerENS1_16block_id_wrapperIjLb0EEEEE10hipError_tT1_PNSt15iterator_traitsISG_E10value_typeET2_T3_PNSH_ISM_E10value_typeET4_T5_PSR_SS_PNS1_23onesweep_lookback_stateEbbT6_jjT7_P12ihipStream_tbENKUlT_T0_SG_SL_E_clIS7_S7_PlSB_EEDaSZ_S10_SG_SL_EUlSZ_E_NS1_11comp_targetILNS1_3genE9ELNS1_11target_archE1100ELNS1_3gpuE3ELNS1_3repE0EEENS1_47radix_sort_onesweep_sort_config_static_selectorELNS0_4arch9wavefront6targetE1EEEvSG_.kd
    .uniform_work_group_size: 1
    .uses_dynamic_stack: false
    .vgpr_count:     0
    .vgpr_spill_count: 0
    .wavefront_size: 64
  - .agpr_count:     0
    .args:
      - .offset:         0
        .size:           88
        .value_kind:     by_value
    .group_segment_fixed_size: 0
    .kernarg_segment_align: 8
    .kernarg_segment_size: 88
    .language:       OpenCL C
    .language_version:
      - 2
      - 0
    .max_flat_workgroup_size: 1024
    .name:           _ZN7rocprim17ROCPRIM_400000_NS6detail17trampoline_kernelINS0_14default_configENS1_35radix_sort_onesweep_config_selectorIilEEZZNS1_29radix_sort_onesweep_iterationIS3_Lb0EPiS7_N6thrust23THRUST_200600_302600_NS10device_ptrIlEESB_jNS0_19identity_decomposerENS1_16block_id_wrapperIjLb0EEEEE10hipError_tT1_PNSt15iterator_traitsISG_E10value_typeET2_T3_PNSH_ISM_E10value_typeET4_T5_PSR_SS_PNS1_23onesweep_lookback_stateEbbT6_jjT7_P12ihipStream_tbENKUlT_T0_SG_SL_E_clIS7_S7_PlSB_EEDaSZ_S10_SG_SL_EUlSZ_E_NS1_11comp_targetILNS1_3genE8ELNS1_11target_archE1030ELNS1_3gpuE2ELNS1_3repE0EEENS1_47radix_sort_onesweep_sort_config_static_selectorELNS0_4arch9wavefront6targetE1EEEvSG_
    .private_segment_fixed_size: 0
    .sgpr_count:     4
    .sgpr_spill_count: 0
    .symbol:         _ZN7rocprim17ROCPRIM_400000_NS6detail17trampoline_kernelINS0_14default_configENS1_35radix_sort_onesweep_config_selectorIilEEZZNS1_29radix_sort_onesweep_iterationIS3_Lb0EPiS7_N6thrust23THRUST_200600_302600_NS10device_ptrIlEESB_jNS0_19identity_decomposerENS1_16block_id_wrapperIjLb0EEEEE10hipError_tT1_PNSt15iterator_traitsISG_E10value_typeET2_T3_PNSH_ISM_E10value_typeET4_T5_PSR_SS_PNS1_23onesweep_lookback_stateEbbT6_jjT7_P12ihipStream_tbENKUlT_T0_SG_SL_E_clIS7_S7_PlSB_EEDaSZ_S10_SG_SL_EUlSZ_E_NS1_11comp_targetILNS1_3genE8ELNS1_11target_archE1030ELNS1_3gpuE2ELNS1_3repE0EEENS1_47radix_sort_onesweep_sort_config_static_selectorELNS0_4arch9wavefront6targetE1EEEvSG_.kd
    .uniform_work_group_size: 1
    .uses_dynamic_stack: false
    .vgpr_count:     0
    .vgpr_spill_count: 0
    .wavefront_size: 64
  - .agpr_count:     0
    .args:
      - .offset:         0
        .size:           72
        .value_kind:     by_value
    .group_segment_fixed_size: 0
    .kernarg_segment_align: 8
    .kernarg_segment_size: 72
    .language:       OpenCL C
    .language_version:
      - 2
      - 0
    .max_flat_workgroup_size: 256
    .name:           _ZN7rocprim17ROCPRIM_400000_NS6detail17trampoline_kernelINS0_14default_configENS1_22reduce_config_selectorIiEEZNS1_11reduce_implILb1ES3_N6thrust23THRUST_200600_302600_NS11hip_rocprim35transform_pair_of_input_iterators_tIiPiSB_NS8_12not_equal_toIiEEEESB_iNS8_4plusIiEEEE10hipError_tPvRmT1_T2_T3_mT4_P12ihipStream_tbEUlT_E0_NS1_11comp_targetILNS1_3genE0ELNS1_11target_archE4294967295ELNS1_3gpuE0ELNS1_3repE0EEENS1_30default_config_static_selectorELNS0_4arch9wavefront6targetE1EEEvSK_
    .private_segment_fixed_size: 0
    .sgpr_count:     4
    .sgpr_spill_count: 0
    .symbol:         _ZN7rocprim17ROCPRIM_400000_NS6detail17trampoline_kernelINS0_14default_configENS1_22reduce_config_selectorIiEEZNS1_11reduce_implILb1ES3_N6thrust23THRUST_200600_302600_NS11hip_rocprim35transform_pair_of_input_iterators_tIiPiSB_NS8_12not_equal_toIiEEEESB_iNS8_4plusIiEEEE10hipError_tPvRmT1_T2_T3_mT4_P12ihipStream_tbEUlT_E0_NS1_11comp_targetILNS1_3genE0ELNS1_11target_archE4294967295ELNS1_3gpuE0ELNS1_3repE0EEENS1_30default_config_static_selectorELNS0_4arch9wavefront6targetE1EEEvSK_.kd
    .uniform_work_group_size: 1
    .uses_dynamic_stack: false
    .vgpr_count:     0
    .vgpr_spill_count: 0
    .wavefront_size: 64
  - .agpr_count:     0
    .args:
      - .offset:         0
        .size:           72
        .value_kind:     by_value
    .group_segment_fixed_size: 0
    .kernarg_segment_align: 8
    .kernarg_segment_size: 72
    .language:       OpenCL C
    .language_version:
      - 2
      - 0
    .max_flat_workgroup_size: 256
    .name:           _ZN7rocprim17ROCPRIM_400000_NS6detail17trampoline_kernelINS0_14default_configENS1_22reduce_config_selectorIiEEZNS1_11reduce_implILb1ES3_N6thrust23THRUST_200600_302600_NS11hip_rocprim35transform_pair_of_input_iterators_tIiPiSB_NS8_12not_equal_toIiEEEESB_iNS8_4plusIiEEEE10hipError_tPvRmT1_T2_T3_mT4_P12ihipStream_tbEUlT_E0_NS1_11comp_targetILNS1_3genE5ELNS1_11target_archE942ELNS1_3gpuE9ELNS1_3repE0EEENS1_30default_config_static_selectorELNS0_4arch9wavefront6targetE1EEEvSK_
    .private_segment_fixed_size: 0
    .sgpr_count:     4
    .sgpr_spill_count: 0
    .symbol:         _ZN7rocprim17ROCPRIM_400000_NS6detail17trampoline_kernelINS0_14default_configENS1_22reduce_config_selectorIiEEZNS1_11reduce_implILb1ES3_N6thrust23THRUST_200600_302600_NS11hip_rocprim35transform_pair_of_input_iterators_tIiPiSB_NS8_12not_equal_toIiEEEESB_iNS8_4plusIiEEEE10hipError_tPvRmT1_T2_T3_mT4_P12ihipStream_tbEUlT_E0_NS1_11comp_targetILNS1_3genE5ELNS1_11target_archE942ELNS1_3gpuE9ELNS1_3repE0EEENS1_30default_config_static_selectorELNS0_4arch9wavefront6targetE1EEEvSK_.kd
    .uniform_work_group_size: 1
    .uses_dynamic_stack: false
    .vgpr_count:     0
    .vgpr_spill_count: 0
    .wavefront_size: 64
  - .agpr_count:     0
    .args:
      - .offset:         0
        .size:           72
        .value_kind:     by_value
    .group_segment_fixed_size: 16
    .kernarg_segment_align: 8
    .kernarg_segment_size: 72
    .language:       OpenCL C
    .language_version:
      - 2
      - 0
    .max_flat_workgroup_size: 128
    .name:           _ZN7rocprim17ROCPRIM_400000_NS6detail17trampoline_kernelINS0_14default_configENS1_22reduce_config_selectorIiEEZNS1_11reduce_implILb1ES3_N6thrust23THRUST_200600_302600_NS11hip_rocprim35transform_pair_of_input_iterators_tIiPiSB_NS8_12not_equal_toIiEEEESB_iNS8_4plusIiEEEE10hipError_tPvRmT1_T2_T3_mT4_P12ihipStream_tbEUlT_E0_NS1_11comp_targetILNS1_3genE4ELNS1_11target_archE910ELNS1_3gpuE8ELNS1_3repE0EEENS1_30default_config_static_selectorELNS0_4arch9wavefront6targetE1EEEvSK_
    .private_segment_fixed_size: 0
    .sgpr_count:     34
    .sgpr_spill_count: 0
    .symbol:         _ZN7rocprim17ROCPRIM_400000_NS6detail17trampoline_kernelINS0_14default_configENS1_22reduce_config_selectorIiEEZNS1_11reduce_implILb1ES3_N6thrust23THRUST_200600_302600_NS11hip_rocprim35transform_pair_of_input_iterators_tIiPiSB_NS8_12not_equal_toIiEEEESB_iNS8_4plusIiEEEE10hipError_tPvRmT1_T2_T3_mT4_P12ihipStream_tbEUlT_E0_NS1_11comp_targetILNS1_3genE4ELNS1_11target_archE910ELNS1_3gpuE8ELNS1_3repE0EEENS1_30default_config_static_selectorELNS0_4arch9wavefront6targetE1EEEvSK_.kd
    .uniform_work_group_size: 1
    .uses_dynamic_stack: false
    .vgpr_count:     21
    .vgpr_spill_count: 0
    .wavefront_size: 64
  - .agpr_count:     0
    .args:
      - .offset:         0
        .size:           72
        .value_kind:     by_value
    .group_segment_fixed_size: 0
    .kernarg_segment_align: 8
    .kernarg_segment_size: 72
    .language:       OpenCL C
    .language_version:
      - 2
      - 0
    .max_flat_workgroup_size: 256
    .name:           _ZN7rocprim17ROCPRIM_400000_NS6detail17trampoline_kernelINS0_14default_configENS1_22reduce_config_selectorIiEEZNS1_11reduce_implILb1ES3_N6thrust23THRUST_200600_302600_NS11hip_rocprim35transform_pair_of_input_iterators_tIiPiSB_NS8_12not_equal_toIiEEEESB_iNS8_4plusIiEEEE10hipError_tPvRmT1_T2_T3_mT4_P12ihipStream_tbEUlT_E0_NS1_11comp_targetILNS1_3genE3ELNS1_11target_archE908ELNS1_3gpuE7ELNS1_3repE0EEENS1_30default_config_static_selectorELNS0_4arch9wavefront6targetE1EEEvSK_
    .private_segment_fixed_size: 0
    .sgpr_count:     4
    .sgpr_spill_count: 0
    .symbol:         _ZN7rocprim17ROCPRIM_400000_NS6detail17trampoline_kernelINS0_14default_configENS1_22reduce_config_selectorIiEEZNS1_11reduce_implILb1ES3_N6thrust23THRUST_200600_302600_NS11hip_rocprim35transform_pair_of_input_iterators_tIiPiSB_NS8_12not_equal_toIiEEEESB_iNS8_4plusIiEEEE10hipError_tPvRmT1_T2_T3_mT4_P12ihipStream_tbEUlT_E0_NS1_11comp_targetILNS1_3genE3ELNS1_11target_archE908ELNS1_3gpuE7ELNS1_3repE0EEENS1_30default_config_static_selectorELNS0_4arch9wavefront6targetE1EEEvSK_.kd
    .uniform_work_group_size: 1
    .uses_dynamic_stack: false
    .vgpr_count:     0
    .vgpr_spill_count: 0
    .wavefront_size: 64
  - .agpr_count:     0
    .args:
      - .offset:         0
        .size:           72
        .value_kind:     by_value
    .group_segment_fixed_size: 0
    .kernarg_segment_align: 8
    .kernarg_segment_size: 72
    .language:       OpenCL C
    .language_version:
      - 2
      - 0
    .max_flat_workgroup_size: 256
    .name:           _ZN7rocprim17ROCPRIM_400000_NS6detail17trampoline_kernelINS0_14default_configENS1_22reduce_config_selectorIiEEZNS1_11reduce_implILb1ES3_N6thrust23THRUST_200600_302600_NS11hip_rocprim35transform_pair_of_input_iterators_tIiPiSB_NS8_12not_equal_toIiEEEESB_iNS8_4plusIiEEEE10hipError_tPvRmT1_T2_T3_mT4_P12ihipStream_tbEUlT_E0_NS1_11comp_targetILNS1_3genE2ELNS1_11target_archE906ELNS1_3gpuE6ELNS1_3repE0EEENS1_30default_config_static_selectorELNS0_4arch9wavefront6targetE1EEEvSK_
    .private_segment_fixed_size: 0
    .sgpr_count:     4
    .sgpr_spill_count: 0
    .symbol:         _ZN7rocprim17ROCPRIM_400000_NS6detail17trampoline_kernelINS0_14default_configENS1_22reduce_config_selectorIiEEZNS1_11reduce_implILb1ES3_N6thrust23THRUST_200600_302600_NS11hip_rocprim35transform_pair_of_input_iterators_tIiPiSB_NS8_12not_equal_toIiEEEESB_iNS8_4plusIiEEEE10hipError_tPvRmT1_T2_T3_mT4_P12ihipStream_tbEUlT_E0_NS1_11comp_targetILNS1_3genE2ELNS1_11target_archE906ELNS1_3gpuE6ELNS1_3repE0EEENS1_30default_config_static_selectorELNS0_4arch9wavefront6targetE1EEEvSK_.kd
    .uniform_work_group_size: 1
    .uses_dynamic_stack: false
    .vgpr_count:     0
    .vgpr_spill_count: 0
    .wavefront_size: 64
  - .agpr_count:     0
    .args:
      - .offset:         0
        .size:           72
        .value_kind:     by_value
    .group_segment_fixed_size: 0
    .kernarg_segment_align: 8
    .kernarg_segment_size: 72
    .language:       OpenCL C
    .language_version:
      - 2
      - 0
    .max_flat_workgroup_size: 256
    .name:           _ZN7rocprim17ROCPRIM_400000_NS6detail17trampoline_kernelINS0_14default_configENS1_22reduce_config_selectorIiEEZNS1_11reduce_implILb1ES3_N6thrust23THRUST_200600_302600_NS11hip_rocprim35transform_pair_of_input_iterators_tIiPiSB_NS8_12not_equal_toIiEEEESB_iNS8_4plusIiEEEE10hipError_tPvRmT1_T2_T3_mT4_P12ihipStream_tbEUlT_E0_NS1_11comp_targetILNS1_3genE10ELNS1_11target_archE1201ELNS1_3gpuE5ELNS1_3repE0EEENS1_30default_config_static_selectorELNS0_4arch9wavefront6targetE1EEEvSK_
    .private_segment_fixed_size: 0
    .sgpr_count:     4
    .sgpr_spill_count: 0
    .symbol:         _ZN7rocprim17ROCPRIM_400000_NS6detail17trampoline_kernelINS0_14default_configENS1_22reduce_config_selectorIiEEZNS1_11reduce_implILb1ES3_N6thrust23THRUST_200600_302600_NS11hip_rocprim35transform_pair_of_input_iterators_tIiPiSB_NS8_12not_equal_toIiEEEESB_iNS8_4plusIiEEEE10hipError_tPvRmT1_T2_T3_mT4_P12ihipStream_tbEUlT_E0_NS1_11comp_targetILNS1_3genE10ELNS1_11target_archE1201ELNS1_3gpuE5ELNS1_3repE0EEENS1_30default_config_static_selectorELNS0_4arch9wavefront6targetE1EEEvSK_.kd
    .uniform_work_group_size: 1
    .uses_dynamic_stack: false
    .vgpr_count:     0
    .vgpr_spill_count: 0
    .wavefront_size: 64
  - .agpr_count:     0
    .args:
      - .offset:         0
        .size:           72
        .value_kind:     by_value
    .group_segment_fixed_size: 0
    .kernarg_segment_align: 8
    .kernarg_segment_size: 72
    .language:       OpenCL C
    .language_version:
      - 2
      - 0
    .max_flat_workgroup_size: 256
    .name:           _ZN7rocprim17ROCPRIM_400000_NS6detail17trampoline_kernelINS0_14default_configENS1_22reduce_config_selectorIiEEZNS1_11reduce_implILb1ES3_N6thrust23THRUST_200600_302600_NS11hip_rocprim35transform_pair_of_input_iterators_tIiPiSB_NS8_12not_equal_toIiEEEESB_iNS8_4plusIiEEEE10hipError_tPvRmT1_T2_T3_mT4_P12ihipStream_tbEUlT_E0_NS1_11comp_targetILNS1_3genE10ELNS1_11target_archE1200ELNS1_3gpuE4ELNS1_3repE0EEENS1_30default_config_static_selectorELNS0_4arch9wavefront6targetE1EEEvSK_
    .private_segment_fixed_size: 0
    .sgpr_count:     4
    .sgpr_spill_count: 0
    .symbol:         _ZN7rocprim17ROCPRIM_400000_NS6detail17trampoline_kernelINS0_14default_configENS1_22reduce_config_selectorIiEEZNS1_11reduce_implILb1ES3_N6thrust23THRUST_200600_302600_NS11hip_rocprim35transform_pair_of_input_iterators_tIiPiSB_NS8_12not_equal_toIiEEEESB_iNS8_4plusIiEEEE10hipError_tPvRmT1_T2_T3_mT4_P12ihipStream_tbEUlT_E0_NS1_11comp_targetILNS1_3genE10ELNS1_11target_archE1200ELNS1_3gpuE4ELNS1_3repE0EEENS1_30default_config_static_selectorELNS0_4arch9wavefront6targetE1EEEvSK_.kd
    .uniform_work_group_size: 1
    .uses_dynamic_stack: false
    .vgpr_count:     0
    .vgpr_spill_count: 0
    .wavefront_size: 64
  - .agpr_count:     0
    .args:
      - .offset:         0
        .size:           72
        .value_kind:     by_value
    .group_segment_fixed_size: 0
    .kernarg_segment_align: 8
    .kernarg_segment_size: 72
    .language:       OpenCL C
    .language_version:
      - 2
      - 0
    .max_flat_workgroup_size: 256
    .name:           _ZN7rocprim17ROCPRIM_400000_NS6detail17trampoline_kernelINS0_14default_configENS1_22reduce_config_selectorIiEEZNS1_11reduce_implILb1ES3_N6thrust23THRUST_200600_302600_NS11hip_rocprim35transform_pair_of_input_iterators_tIiPiSB_NS8_12not_equal_toIiEEEESB_iNS8_4plusIiEEEE10hipError_tPvRmT1_T2_T3_mT4_P12ihipStream_tbEUlT_E0_NS1_11comp_targetILNS1_3genE9ELNS1_11target_archE1100ELNS1_3gpuE3ELNS1_3repE0EEENS1_30default_config_static_selectorELNS0_4arch9wavefront6targetE1EEEvSK_
    .private_segment_fixed_size: 0
    .sgpr_count:     4
    .sgpr_spill_count: 0
    .symbol:         _ZN7rocprim17ROCPRIM_400000_NS6detail17trampoline_kernelINS0_14default_configENS1_22reduce_config_selectorIiEEZNS1_11reduce_implILb1ES3_N6thrust23THRUST_200600_302600_NS11hip_rocprim35transform_pair_of_input_iterators_tIiPiSB_NS8_12not_equal_toIiEEEESB_iNS8_4plusIiEEEE10hipError_tPvRmT1_T2_T3_mT4_P12ihipStream_tbEUlT_E0_NS1_11comp_targetILNS1_3genE9ELNS1_11target_archE1100ELNS1_3gpuE3ELNS1_3repE0EEENS1_30default_config_static_selectorELNS0_4arch9wavefront6targetE1EEEvSK_.kd
    .uniform_work_group_size: 1
    .uses_dynamic_stack: false
    .vgpr_count:     0
    .vgpr_spill_count: 0
    .wavefront_size: 64
  - .agpr_count:     0
    .args:
      - .offset:         0
        .size:           72
        .value_kind:     by_value
    .group_segment_fixed_size: 0
    .kernarg_segment_align: 8
    .kernarg_segment_size: 72
    .language:       OpenCL C
    .language_version:
      - 2
      - 0
    .max_flat_workgroup_size: 256
    .name:           _ZN7rocprim17ROCPRIM_400000_NS6detail17trampoline_kernelINS0_14default_configENS1_22reduce_config_selectorIiEEZNS1_11reduce_implILb1ES3_N6thrust23THRUST_200600_302600_NS11hip_rocprim35transform_pair_of_input_iterators_tIiPiSB_NS8_12not_equal_toIiEEEESB_iNS8_4plusIiEEEE10hipError_tPvRmT1_T2_T3_mT4_P12ihipStream_tbEUlT_E0_NS1_11comp_targetILNS1_3genE8ELNS1_11target_archE1030ELNS1_3gpuE2ELNS1_3repE0EEENS1_30default_config_static_selectorELNS0_4arch9wavefront6targetE1EEEvSK_
    .private_segment_fixed_size: 0
    .sgpr_count:     4
    .sgpr_spill_count: 0
    .symbol:         _ZN7rocprim17ROCPRIM_400000_NS6detail17trampoline_kernelINS0_14default_configENS1_22reduce_config_selectorIiEEZNS1_11reduce_implILb1ES3_N6thrust23THRUST_200600_302600_NS11hip_rocprim35transform_pair_of_input_iterators_tIiPiSB_NS8_12not_equal_toIiEEEESB_iNS8_4plusIiEEEE10hipError_tPvRmT1_T2_T3_mT4_P12ihipStream_tbEUlT_E0_NS1_11comp_targetILNS1_3genE8ELNS1_11target_archE1030ELNS1_3gpuE2ELNS1_3repE0EEENS1_30default_config_static_selectorELNS0_4arch9wavefront6targetE1EEEvSK_.kd
    .uniform_work_group_size: 1
    .uses_dynamic_stack: false
    .vgpr_count:     0
    .vgpr_spill_count: 0
    .wavefront_size: 64
  - .agpr_count:     0
    .args:
      - .offset:         0
        .size:           56
        .value_kind:     by_value
    .group_segment_fixed_size: 0
    .kernarg_segment_align: 8
    .kernarg_segment_size: 56
    .language:       OpenCL C
    .language_version:
      - 2
      - 0
    .max_flat_workgroup_size: 256
    .name:           _ZN7rocprim17ROCPRIM_400000_NS6detail17trampoline_kernelINS0_14default_configENS1_22reduce_config_selectorIiEEZNS1_11reduce_implILb1ES3_N6thrust23THRUST_200600_302600_NS11hip_rocprim35transform_pair_of_input_iterators_tIiPiSB_NS8_12not_equal_toIiEEEESB_iNS8_4plusIiEEEE10hipError_tPvRmT1_T2_T3_mT4_P12ihipStream_tbEUlT_E1_NS1_11comp_targetILNS1_3genE0ELNS1_11target_archE4294967295ELNS1_3gpuE0ELNS1_3repE0EEENS1_30default_config_static_selectorELNS0_4arch9wavefront6targetE1EEEvSK_
    .private_segment_fixed_size: 0
    .sgpr_count:     4
    .sgpr_spill_count: 0
    .symbol:         _ZN7rocprim17ROCPRIM_400000_NS6detail17trampoline_kernelINS0_14default_configENS1_22reduce_config_selectorIiEEZNS1_11reduce_implILb1ES3_N6thrust23THRUST_200600_302600_NS11hip_rocprim35transform_pair_of_input_iterators_tIiPiSB_NS8_12not_equal_toIiEEEESB_iNS8_4plusIiEEEE10hipError_tPvRmT1_T2_T3_mT4_P12ihipStream_tbEUlT_E1_NS1_11comp_targetILNS1_3genE0ELNS1_11target_archE4294967295ELNS1_3gpuE0ELNS1_3repE0EEENS1_30default_config_static_selectorELNS0_4arch9wavefront6targetE1EEEvSK_.kd
    .uniform_work_group_size: 1
    .uses_dynamic_stack: false
    .vgpr_count:     0
    .vgpr_spill_count: 0
    .wavefront_size: 64
  - .agpr_count:     0
    .args:
      - .offset:         0
        .size:           56
        .value_kind:     by_value
    .group_segment_fixed_size: 0
    .kernarg_segment_align: 8
    .kernarg_segment_size: 56
    .language:       OpenCL C
    .language_version:
      - 2
      - 0
    .max_flat_workgroup_size: 256
    .name:           _ZN7rocprim17ROCPRIM_400000_NS6detail17trampoline_kernelINS0_14default_configENS1_22reduce_config_selectorIiEEZNS1_11reduce_implILb1ES3_N6thrust23THRUST_200600_302600_NS11hip_rocprim35transform_pair_of_input_iterators_tIiPiSB_NS8_12not_equal_toIiEEEESB_iNS8_4plusIiEEEE10hipError_tPvRmT1_T2_T3_mT4_P12ihipStream_tbEUlT_E1_NS1_11comp_targetILNS1_3genE5ELNS1_11target_archE942ELNS1_3gpuE9ELNS1_3repE0EEENS1_30default_config_static_selectorELNS0_4arch9wavefront6targetE1EEEvSK_
    .private_segment_fixed_size: 0
    .sgpr_count:     4
    .sgpr_spill_count: 0
    .symbol:         _ZN7rocprim17ROCPRIM_400000_NS6detail17trampoline_kernelINS0_14default_configENS1_22reduce_config_selectorIiEEZNS1_11reduce_implILb1ES3_N6thrust23THRUST_200600_302600_NS11hip_rocprim35transform_pair_of_input_iterators_tIiPiSB_NS8_12not_equal_toIiEEEESB_iNS8_4plusIiEEEE10hipError_tPvRmT1_T2_T3_mT4_P12ihipStream_tbEUlT_E1_NS1_11comp_targetILNS1_3genE5ELNS1_11target_archE942ELNS1_3gpuE9ELNS1_3repE0EEENS1_30default_config_static_selectorELNS0_4arch9wavefront6targetE1EEEvSK_.kd
    .uniform_work_group_size: 1
    .uses_dynamic_stack: false
    .vgpr_count:     0
    .vgpr_spill_count: 0
    .wavefront_size: 64
  - .agpr_count:     0
    .args:
      - .offset:         0
        .size:           56
        .value_kind:     by_value
    .group_segment_fixed_size: 56
    .kernarg_segment_align: 8
    .kernarg_segment_size: 56
    .language:       OpenCL C
    .language_version:
      - 2
      - 0
    .max_flat_workgroup_size: 128
    .name:           _ZN7rocprim17ROCPRIM_400000_NS6detail17trampoline_kernelINS0_14default_configENS1_22reduce_config_selectorIiEEZNS1_11reduce_implILb1ES3_N6thrust23THRUST_200600_302600_NS11hip_rocprim35transform_pair_of_input_iterators_tIiPiSB_NS8_12not_equal_toIiEEEESB_iNS8_4plusIiEEEE10hipError_tPvRmT1_T2_T3_mT4_P12ihipStream_tbEUlT_E1_NS1_11comp_targetILNS1_3genE4ELNS1_11target_archE910ELNS1_3gpuE8ELNS1_3repE0EEENS1_30default_config_static_selectorELNS0_4arch9wavefront6targetE1EEEvSK_
    .private_segment_fixed_size: 0
    .sgpr_count:     53
    .sgpr_spill_count: 0
    .symbol:         _ZN7rocprim17ROCPRIM_400000_NS6detail17trampoline_kernelINS0_14default_configENS1_22reduce_config_selectorIiEEZNS1_11reduce_implILb1ES3_N6thrust23THRUST_200600_302600_NS11hip_rocprim35transform_pair_of_input_iterators_tIiPiSB_NS8_12not_equal_toIiEEEESB_iNS8_4plusIiEEEE10hipError_tPvRmT1_T2_T3_mT4_P12ihipStream_tbEUlT_E1_NS1_11comp_targetILNS1_3genE4ELNS1_11target_archE910ELNS1_3gpuE8ELNS1_3repE0EEENS1_30default_config_static_selectorELNS0_4arch9wavefront6targetE1EEEvSK_.kd
    .uniform_work_group_size: 1
    .uses_dynamic_stack: false
    .vgpr_count:     64
    .vgpr_spill_count: 0
    .wavefront_size: 64
  - .agpr_count:     0
    .args:
      - .offset:         0
        .size:           56
        .value_kind:     by_value
    .group_segment_fixed_size: 0
    .kernarg_segment_align: 8
    .kernarg_segment_size: 56
    .language:       OpenCL C
    .language_version:
      - 2
      - 0
    .max_flat_workgroup_size: 256
    .name:           _ZN7rocprim17ROCPRIM_400000_NS6detail17trampoline_kernelINS0_14default_configENS1_22reduce_config_selectorIiEEZNS1_11reduce_implILb1ES3_N6thrust23THRUST_200600_302600_NS11hip_rocprim35transform_pair_of_input_iterators_tIiPiSB_NS8_12not_equal_toIiEEEESB_iNS8_4plusIiEEEE10hipError_tPvRmT1_T2_T3_mT4_P12ihipStream_tbEUlT_E1_NS1_11comp_targetILNS1_3genE3ELNS1_11target_archE908ELNS1_3gpuE7ELNS1_3repE0EEENS1_30default_config_static_selectorELNS0_4arch9wavefront6targetE1EEEvSK_
    .private_segment_fixed_size: 0
    .sgpr_count:     4
    .sgpr_spill_count: 0
    .symbol:         _ZN7rocprim17ROCPRIM_400000_NS6detail17trampoline_kernelINS0_14default_configENS1_22reduce_config_selectorIiEEZNS1_11reduce_implILb1ES3_N6thrust23THRUST_200600_302600_NS11hip_rocprim35transform_pair_of_input_iterators_tIiPiSB_NS8_12not_equal_toIiEEEESB_iNS8_4plusIiEEEE10hipError_tPvRmT1_T2_T3_mT4_P12ihipStream_tbEUlT_E1_NS1_11comp_targetILNS1_3genE3ELNS1_11target_archE908ELNS1_3gpuE7ELNS1_3repE0EEENS1_30default_config_static_selectorELNS0_4arch9wavefront6targetE1EEEvSK_.kd
    .uniform_work_group_size: 1
    .uses_dynamic_stack: false
    .vgpr_count:     0
    .vgpr_spill_count: 0
    .wavefront_size: 64
  - .agpr_count:     0
    .args:
      - .offset:         0
        .size:           56
        .value_kind:     by_value
    .group_segment_fixed_size: 0
    .kernarg_segment_align: 8
    .kernarg_segment_size: 56
    .language:       OpenCL C
    .language_version:
      - 2
      - 0
    .max_flat_workgroup_size: 256
    .name:           _ZN7rocprim17ROCPRIM_400000_NS6detail17trampoline_kernelINS0_14default_configENS1_22reduce_config_selectorIiEEZNS1_11reduce_implILb1ES3_N6thrust23THRUST_200600_302600_NS11hip_rocprim35transform_pair_of_input_iterators_tIiPiSB_NS8_12not_equal_toIiEEEESB_iNS8_4plusIiEEEE10hipError_tPvRmT1_T2_T3_mT4_P12ihipStream_tbEUlT_E1_NS1_11comp_targetILNS1_3genE2ELNS1_11target_archE906ELNS1_3gpuE6ELNS1_3repE0EEENS1_30default_config_static_selectorELNS0_4arch9wavefront6targetE1EEEvSK_
    .private_segment_fixed_size: 0
    .sgpr_count:     4
    .sgpr_spill_count: 0
    .symbol:         _ZN7rocprim17ROCPRIM_400000_NS6detail17trampoline_kernelINS0_14default_configENS1_22reduce_config_selectorIiEEZNS1_11reduce_implILb1ES3_N6thrust23THRUST_200600_302600_NS11hip_rocprim35transform_pair_of_input_iterators_tIiPiSB_NS8_12not_equal_toIiEEEESB_iNS8_4plusIiEEEE10hipError_tPvRmT1_T2_T3_mT4_P12ihipStream_tbEUlT_E1_NS1_11comp_targetILNS1_3genE2ELNS1_11target_archE906ELNS1_3gpuE6ELNS1_3repE0EEENS1_30default_config_static_selectorELNS0_4arch9wavefront6targetE1EEEvSK_.kd
    .uniform_work_group_size: 1
    .uses_dynamic_stack: false
    .vgpr_count:     0
    .vgpr_spill_count: 0
    .wavefront_size: 64
  - .agpr_count:     0
    .args:
      - .offset:         0
        .size:           56
        .value_kind:     by_value
    .group_segment_fixed_size: 0
    .kernarg_segment_align: 8
    .kernarg_segment_size: 56
    .language:       OpenCL C
    .language_version:
      - 2
      - 0
    .max_flat_workgroup_size: 256
    .name:           _ZN7rocprim17ROCPRIM_400000_NS6detail17trampoline_kernelINS0_14default_configENS1_22reduce_config_selectorIiEEZNS1_11reduce_implILb1ES3_N6thrust23THRUST_200600_302600_NS11hip_rocprim35transform_pair_of_input_iterators_tIiPiSB_NS8_12not_equal_toIiEEEESB_iNS8_4plusIiEEEE10hipError_tPvRmT1_T2_T3_mT4_P12ihipStream_tbEUlT_E1_NS1_11comp_targetILNS1_3genE10ELNS1_11target_archE1201ELNS1_3gpuE5ELNS1_3repE0EEENS1_30default_config_static_selectorELNS0_4arch9wavefront6targetE1EEEvSK_
    .private_segment_fixed_size: 0
    .sgpr_count:     4
    .sgpr_spill_count: 0
    .symbol:         _ZN7rocprim17ROCPRIM_400000_NS6detail17trampoline_kernelINS0_14default_configENS1_22reduce_config_selectorIiEEZNS1_11reduce_implILb1ES3_N6thrust23THRUST_200600_302600_NS11hip_rocprim35transform_pair_of_input_iterators_tIiPiSB_NS8_12not_equal_toIiEEEESB_iNS8_4plusIiEEEE10hipError_tPvRmT1_T2_T3_mT4_P12ihipStream_tbEUlT_E1_NS1_11comp_targetILNS1_3genE10ELNS1_11target_archE1201ELNS1_3gpuE5ELNS1_3repE0EEENS1_30default_config_static_selectorELNS0_4arch9wavefront6targetE1EEEvSK_.kd
    .uniform_work_group_size: 1
    .uses_dynamic_stack: false
    .vgpr_count:     0
    .vgpr_spill_count: 0
    .wavefront_size: 64
  - .agpr_count:     0
    .args:
      - .offset:         0
        .size:           56
        .value_kind:     by_value
    .group_segment_fixed_size: 0
    .kernarg_segment_align: 8
    .kernarg_segment_size: 56
    .language:       OpenCL C
    .language_version:
      - 2
      - 0
    .max_flat_workgroup_size: 256
    .name:           _ZN7rocprim17ROCPRIM_400000_NS6detail17trampoline_kernelINS0_14default_configENS1_22reduce_config_selectorIiEEZNS1_11reduce_implILb1ES3_N6thrust23THRUST_200600_302600_NS11hip_rocprim35transform_pair_of_input_iterators_tIiPiSB_NS8_12not_equal_toIiEEEESB_iNS8_4plusIiEEEE10hipError_tPvRmT1_T2_T3_mT4_P12ihipStream_tbEUlT_E1_NS1_11comp_targetILNS1_3genE10ELNS1_11target_archE1200ELNS1_3gpuE4ELNS1_3repE0EEENS1_30default_config_static_selectorELNS0_4arch9wavefront6targetE1EEEvSK_
    .private_segment_fixed_size: 0
    .sgpr_count:     4
    .sgpr_spill_count: 0
    .symbol:         _ZN7rocprim17ROCPRIM_400000_NS6detail17trampoline_kernelINS0_14default_configENS1_22reduce_config_selectorIiEEZNS1_11reduce_implILb1ES3_N6thrust23THRUST_200600_302600_NS11hip_rocprim35transform_pair_of_input_iterators_tIiPiSB_NS8_12not_equal_toIiEEEESB_iNS8_4plusIiEEEE10hipError_tPvRmT1_T2_T3_mT4_P12ihipStream_tbEUlT_E1_NS1_11comp_targetILNS1_3genE10ELNS1_11target_archE1200ELNS1_3gpuE4ELNS1_3repE0EEENS1_30default_config_static_selectorELNS0_4arch9wavefront6targetE1EEEvSK_.kd
    .uniform_work_group_size: 1
    .uses_dynamic_stack: false
    .vgpr_count:     0
    .vgpr_spill_count: 0
    .wavefront_size: 64
  - .agpr_count:     0
    .args:
      - .offset:         0
        .size:           56
        .value_kind:     by_value
    .group_segment_fixed_size: 0
    .kernarg_segment_align: 8
    .kernarg_segment_size: 56
    .language:       OpenCL C
    .language_version:
      - 2
      - 0
    .max_flat_workgroup_size: 256
    .name:           _ZN7rocprim17ROCPRIM_400000_NS6detail17trampoline_kernelINS0_14default_configENS1_22reduce_config_selectorIiEEZNS1_11reduce_implILb1ES3_N6thrust23THRUST_200600_302600_NS11hip_rocprim35transform_pair_of_input_iterators_tIiPiSB_NS8_12not_equal_toIiEEEESB_iNS8_4plusIiEEEE10hipError_tPvRmT1_T2_T3_mT4_P12ihipStream_tbEUlT_E1_NS1_11comp_targetILNS1_3genE9ELNS1_11target_archE1100ELNS1_3gpuE3ELNS1_3repE0EEENS1_30default_config_static_selectorELNS0_4arch9wavefront6targetE1EEEvSK_
    .private_segment_fixed_size: 0
    .sgpr_count:     4
    .sgpr_spill_count: 0
    .symbol:         _ZN7rocprim17ROCPRIM_400000_NS6detail17trampoline_kernelINS0_14default_configENS1_22reduce_config_selectorIiEEZNS1_11reduce_implILb1ES3_N6thrust23THRUST_200600_302600_NS11hip_rocprim35transform_pair_of_input_iterators_tIiPiSB_NS8_12not_equal_toIiEEEESB_iNS8_4plusIiEEEE10hipError_tPvRmT1_T2_T3_mT4_P12ihipStream_tbEUlT_E1_NS1_11comp_targetILNS1_3genE9ELNS1_11target_archE1100ELNS1_3gpuE3ELNS1_3repE0EEENS1_30default_config_static_selectorELNS0_4arch9wavefront6targetE1EEEvSK_.kd
    .uniform_work_group_size: 1
    .uses_dynamic_stack: false
    .vgpr_count:     0
    .vgpr_spill_count: 0
    .wavefront_size: 64
  - .agpr_count:     0
    .args:
      - .offset:         0
        .size:           56
        .value_kind:     by_value
    .group_segment_fixed_size: 0
    .kernarg_segment_align: 8
    .kernarg_segment_size: 56
    .language:       OpenCL C
    .language_version:
      - 2
      - 0
    .max_flat_workgroup_size: 256
    .name:           _ZN7rocprim17ROCPRIM_400000_NS6detail17trampoline_kernelINS0_14default_configENS1_22reduce_config_selectorIiEEZNS1_11reduce_implILb1ES3_N6thrust23THRUST_200600_302600_NS11hip_rocprim35transform_pair_of_input_iterators_tIiPiSB_NS8_12not_equal_toIiEEEESB_iNS8_4plusIiEEEE10hipError_tPvRmT1_T2_T3_mT4_P12ihipStream_tbEUlT_E1_NS1_11comp_targetILNS1_3genE8ELNS1_11target_archE1030ELNS1_3gpuE2ELNS1_3repE0EEENS1_30default_config_static_selectorELNS0_4arch9wavefront6targetE1EEEvSK_
    .private_segment_fixed_size: 0
    .sgpr_count:     4
    .sgpr_spill_count: 0
    .symbol:         _ZN7rocprim17ROCPRIM_400000_NS6detail17trampoline_kernelINS0_14default_configENS1_22reduce_config_selectorIiEEZNS1_11reduce_implILb1ES3_N6thrust23THRUST_200600_302600_NS11hip_rocprim35transform_pair_of_input_iterators_tIiPiSB_NS8_12not_equal_toIiEEEESB_iNS8_4plusIiEEEE10hipError_tPvRmT1_T2_T3_mT4_P12ihipStream_tbEUlT_E1_NS1_11comp_targetILNS1_3genE8ELNS1_11target_archE1030ELNS1_3gpuE2ELNS1_3repE0EEENS1_30default_config_static_selectorELNS0_4arch9wavefront6targetE1EEEvSK_.kd
    .uniform_work_group_size: 1
    .uses_dynamic_stack: false
    .vgpr_count:     0
    .vgpr_spill_count: 0
    .wavefront_size: 64
  - .agpr_count:     0
    .args:
      - .offset:         0
        .size:           144
        .value_kind:     by_value
    .group_segment_fixed_size: 0
    .kernarg_segment_align: 8
    .kernarg_segment_size: 144
    .language:       OpenCL C
    .language_version:
      - 2
      - 0
    .max_flat_workgroup_size: 256
    .name:           _ZN7rocprim17ROCPRIM_400000_NS6detail17trampoline_kernelINS0_14default_configENS1_29reduce_by_key_config_selectorIilN6thrust23THRUST_200600_302600_NS4plusIlEEEEZZNS1_33reduce_by_key_impl_wrapped_configILNS1_25lookback_scan_determinismE0ES3_S9_PiNS6_17constant_iteratorIiNS6_11use_defaultESE_EENS6_10device_ptrIiEENSG_IlEEPmS8_NS6_8equal_toIiEEEE10hipError_tPvRmT2_T3_mT4_T5_T6_T7_T8_P12ihipStream_tbENKUlT_T0_E_clISt17integral_constantIbLb0EES13_EEDaSY_SZ_EUlSY_E_NS1_11comp_targetILNS1_3genE0ELNS1_11target_archE4294967295ELNS1_3gpuE0ELNS1_3repE0EEENS1_30default_config_static_selectorELNS0_4arch9wavefront6targetE1EEEvT1_
    .private_segment_fixed_size: 0
    .sgpr_count:     4
    .sgpr_spill_count: 0
    .symbol:         _ZN7rocprim17ROCPRIM_400000_NS6detail17trampoline_kernelINS0_14default_configENS1_29reduce_by_key_config_selectorIilN6thrust23THRUST_200600_302600_NS4plusIlEEEEZZNS1_33reduce_by_key_impl_wrapped_configILNS1_25lookback_scan_determinismE0ES3_S9_PiNS6_17constant_iteratorIiNS6_11use_defaultESE_EENS6_10device_ptrIiEENSG_IlEEPmS8_NS6_8equal_toIiEEEE10hipError_tPvRmT2_T3_mT4_T5_T6_T7_T8_P12ihipStream_tbENKUlT_T0_E_clISt17integral_constantIbLb0EES13_EEDaSY_SZ_EUlSY_E_NS1_11comp_targetILNS1_3genE0ELNS1_11target_archE4294967295ELNS1_3gpuE0ELNS1_3repE0EEENS1_30default_config_static_selectorELNS0_4arch9wavefront6targetE1EEEvT1_.kd
    .uniform_work_group_size: 1
    .uses_dynamic_stack: false
    .vgpr_count:     0
    .vgpr_spill_count: 0
    .wavefront_size: 64
  - .agpr_count:     0
    .args:
      - .offset:         0
        .size:           144
        .value_kind:     by_value
    .group_segment_fixed_size: 0
    .kernarg_segment_align: 8
    .kernarg_segment_size: 144
    .language:       OpenCL C
    .language_version:
      - 2
      - 0
    .max_flat_workgroup_size: 256
    .name:           _ZN7rocprim17ROCPRIM_400000_NS6detail17trampoline_kernelINS0_14default_configENS1_29reduce_by_key_config_selectorIilN6thrust23THRUST_200600_302600_NS4plusIlEEEEZZNS1_33reduce_by_key_impl_wrapped_configILNS1_25lookback_scan_determinismE0ES3_S9_PiNS6_17constant_iteratorIiNS6_11use_defaultESE_EENS6_10device_ptrIiEENSG_IlEEPmS8_NS6_8equal_toIiEEEE10hipError_tPvRmT2_T3_mT4_T5_T6_T7_T8_P12ihipStream_tbENKUlT_T0_E_clISt17integral_constantIbLb0EES13_EEDaSY_SZ_EUlSY_E_NS1_11comp_targetILNS1_3genE5ELNS1_11target_archE942ELNS1_3gpuE9ELNS1_3repE0EEENS1_30default_config_static_selectorELNS0_4arch9wavefront6targetE1EEEvT1_
    .private_segment_fixed_size: 0
    .sgpr_count:     4
    .sgpr_spill_count: 0
    .symbol:         _ZN7rocprim17ROCPRIM_400000_NS6detail17trampoline_kernelINS0_14default_configENS1_29reduce_by_key_config_selectorIilN6thrust23THRUST_200600_302600_NS4plusIlEEEEZZNS1_33reduce_by_key_impl_wrapped_configILNS1_25lookback_scan_determinismE0ES3_S9_PiNS6_17constant_iteratorIiNS6_11use_defaultESE_EENS6_10device_ptrIiEENSG_IlEEPmS8_NS6_8equal_toIiEEEE10hipError_tPvRmT2_T3_mT4_T5_T6_T7_T8_P12ihipStream_tbENKUlT_T0_E_clISt17integral_constantIbLb0EES13_EEDaSY_SZ_EUlSY_E_NS1_11comp_targetILNS1_3genE5ELNS1_11target_archE942ELNS1_3gpuE9ELNS1_3repE0EEENS1_30default_config_static_selectorELNS0_4arch9wavefront6targetE1EEEvT1_.kd
    .uniform_work_group_size: 1
    .uses_dynamic_stack: false
    .vgpr_count:     0
    .vgpr_spill_count: 0
    .wavefront_size: 64
  - .agpr_count:     0
    .args:
      - .offset:         0
        .size:           144
        .value_kind:     by_value
    .group_segment_fixed_size: 30720
    .kernarg_segment_align: 8
    .kernarg_segment_size: 144
    .language:       OpenCL C
    .language_version:
      - 2
      - 0
    .max_flat_workgroup_size: 256
    .name:           _ZN7rocprim17ROCPRIM_400000_NS6detail17trampoline_kernelINS0_14default_configENS1_29reduce_by_key_config_selectorIilN6thrust23THRUST_200600_302600_NS4plusIlEEEEZZNS1_33reduce_by_key_impl_wrapped_configILNS1_25lookback_scan_determinismE0ES3_S9_PiNS6_17constant_iteratorIiNS6_11use_defaultESE_EENS6_10device_ptrIiEENSG_IlEEPmS8_NS6_8equal_toIiEEEE10hipError_tPvRmT2_T3_mT4_T5_T6_T7_T8_P12ihipStream_tbENKUlT_T0_E_clISt17integral_constantIbLb0EES13_EEDaSY_SZ_EUlSY_E_NS1_11comp_targetILNS1_3genE4ELNS1_11target_archE910ELNS1_3gpuE8ELNS1_3repE0EEENS1_30default_config_static_selectorELNS0_4arch9wavefront6targetE1EEEvT1_
    .private_segment_fixed_size: 0
    .sgpr_count:     66
    .sgpr_spill_count: 0
    .symbol:         _ZN7rocprim17ROCPRIM_400000_NS6detail17trampoline_kernelINS0_14default_configENS1_29reduce_by_key_config_selectorIilN6thrust23THRUST_200600_302600_NS4plusIlEEEEZZNS1_33reduce_by_key_impl_wrapped_configILNS1_25lookback_scan_determinismE0ES3_S9_PiNS6_17constant_iteratorIiNS6_11use_defaultESE_EENS6_10device_ptrIiEENSG_IlEEPmS8_NS6_8equal_toIiEEEE10hipError_tPvRmT2_T3_mT4_T5_T6_T7_T8_P12ihipStream_tbENKUlT_T0_E_clISt17integral_constantIbLb0EES13_EEDaSY_SZ_EUlSY_E_NS1_11comp_targetILNS1_3genE4ELNS1_11target_archE910ELNS1_3gpuE8ELNS1_3repE0EEENS1_30default_config_static_selectorELNS0_4arch9wavefront6targetE1EEEvT1_.kd
    .uniform_work_group_size: 1
    .uses_dynamic_stack: false
    .vgpr_count:     122
    .vgpr_spill_count: 0
    .wavefront_size: 64
  - .agpr_count:     0
    .args:
      - .offset:         0
        .size:           144
        .value_kind:     by_value
    .group_segment_fixed_size: 0
    .kernarg_segment_align: 8
    .kernarg_segment_size: 144
    .language:       OpenCL C
    .language_version:
      - 2
      - 0
    .max_flat_workgroup_size: 256
    .name:           _ZN7rocprim17ROCPRIM_400000_NS6detail17trampoline_kernelINS0_14default_configENS1_29reduce_by_key_config_selectorIilN6thrust23THRUST_200600_302600_NS4plusIlEEEEZZNS1_33reduce_by_key_impl_wrapped_configILNS1_25lookback_scan_determinismE0ES3_S9_PiNS6_17constant_iteratorIiNS6_11use_defaultESE_EENS6_10device_ptrIiEENSG_IlEEPmS8_NS6_8equal_toIiEEEE10hipError_tPvRmT2_T3_mT4_T5_T6_T7_T8_P12ihipStream_tbENKUlT_T0_E_clISt17integral_constantIbLb0EES13_EEDaSY_SZ_EUlSY_E_NS1_11comp_targetILNS1_3genE3ELNS1_11target_archE908ELNS1_3gpuE7ELNS1_3repE0EEENS1_30default_config_static_selectorELNS0_4arch9wavefront6targetE1EEEvT1_
    .private_segment_fixed_size: 0
    .sgpr_count:     4
    .sgpr_spill_count: 0
    .symbol:         _ZN7rocprim17ROCPRIM_400000_NS6detail17trampoline_kernelINS0_14default_configENS1_29reduce_by_key_config_selectorIilN6thrust23THRUST_200600_302600_NS4plusIlEEEEZZNS1_33reduce_by_key_impl_wrapped_configILNS1_25lookback_scan_determinismE0ES3_S9_PiNS6_17constant_iteratorIiNS6_11use_defaultESE_EENS6_10device_ptrIiEENSG_IlEEPmS8_NS6_8equal_toIiEEEE10hipError_tPvRmT2_T3_mT4_T5_T6_T7_T8_P12ihipStream_tbENKUlT_T0_E_clISt17integral_constantIbLb0EES13_EEDaSY_SZ_EUlSY_E_NS1_11comp_targetILNS1_3genE3ELNS1_11target_archE908ELNS1_3gpuE7ELNS1_3repE0EEENS1_30default_config_static_selectorELNS0_4arch9wavefront6targetE1EEEvT1_.kd
    .uniform_work_group_size: 1
    .uses_dynamic_stack: false
    .vgpr_count:     0
    .vgpr_spill_count: 0
    .wavefront_size: 64
  - .agpr_count:     0
    .args:
      - .offset:         0
        .size:           144
        .value_kind:     by_value
    .group_segment_fixed_size: 0
    .kernarg_segment_align: 8
    .kernarg_segment_size: 144
    .language:       OpenCL C
    .language_version:
      - 2
      - 0
    .max_flat_workgroup_size: 256
    .name:           _ZN7rocprim17ROCPRIM_400000_NS6detail17trampoline_kernelINS0_14default_configENS1_29reduce_by_key_config_selectorIilN6thrust23THRUST_200600_302600_NS4plusIlEEEEZZNS1_33reduce_by_key_impl_wrapped_configILNS1_25lookback_scan_determinismE0ES3_S9_PiNS6_17constant_iteratorIiNS6_11use_defaultESE_EENS6_10device_ptrIiEENSG_IlEEPmS8_NS6_8equal_toIiEEEE10hipError_tPvRmT2_T3_mT4_T5_T6_T7_T8_P12ihipStream_tbENKUlT_T0_E_clISt17integral_constantIbLb0EES13_EEDaSY_SZ_EUlSY_E_NS1_11comp_targetILNS1_3genE2ELNS1_11target_archE906ELNS1_3gpuE6ELNS1_3repE0EEENS1_30default_config_static_selectorELNS0_4arch9wavefront6targetE1EEEvT1_
    .private_segment_fixed_size: 0
    .sgpr_count:     4
    .sgpr_spill_count: 0
    .symbol:         _ZN7rocprim17ROCPRIM_400000_NS6detail17trampoline_kernelINS0_14default_configENS1_29reduce_by_key_config_selectorIilN6thrust23THRUST_200600_302600_NS4plusIlEEEEZZNS1_33reduce_by_key_impl_wrapped_configILNS1_25lookback_scan_determinismE0ES3_S9_PiNS6_17constant_iteratorIiNS6_11use_defaultESE_EENS6_10device_ptrIiEENSG_IlEEPmS8_NS6_8equal_toIiEEEE10hipError_tPvRmT2_T3_mT4_T5_T6_T7_T8_P12ihipStream_tbENKUlT_T0_E_clISt17integral_constantIbLb0EES13_EEDaSY_SZ_EUlSY_E_NS1_11comp_targetILNS1_3genE2ELNS1_11target_archE906ELNS1_3gpuE6ELNS1_3repE0EEENS1_30default_config_static_selectorELNS0_4arch9wavefront6targetE1EEEvT1_.kd
    .uniform_work_group_size: 1
    .uses_dynamic_stack: false
    .vgpr_count:     0
    .vgpr_spill_count: 0
    .wavefront_size: 64
  - .agpr_count:     0
    .args:
      - .offset:         0
        .size:           144
        .value_kind:     by_value
    .group_segment_fixed_size: 0
    .kernarg_segment_align: 8
    .kernarg_segment_size: 144
    .language:       OpenCL C
    .language_version:
      - 2
      - 0
    .max_flat_workgroup_size: 256
    .name:           _ZN7rocprim17ROCPRIM_400000_NS6detail17trampoline_kernelINS0_14default_configENS1_29reduce_by_key_config_selectorIilN6thrust23THRUST_200600_302600_NS4plusIlEEEEZZNS1_33reduce_by_key_impl_wrapped_configILNS1_25lookback_scan_determinismE0ES3_S9_PiNS6_17constant_iteratorIiNS6_11use_defaultESE_EENS6_10device_ptrIiEENSG_IlEEPmS8_NS6_8equal_toIiEEEE10hipError_tPvRmT2_T3_mT4_T5_T6_T7_T8_P12ihipStream_tbENKUlT_T0_E_clISt17integral_constantIbLb0EES13_EEDaSY_SZ_EUlSY_E_NS1_11comp_targetILNS1_3genE10ELNS1_11target_archE1201ELNS1_3gpuE5ELNS1_3repE0EEENS1_30default_config_static_selectorELNS0_4arch9wavefront6targetE1EEEvT1_
    .private_segment_fixed_size: 0
    .sgpr_count:     4
    .sgpr_spill_count: 0
    .symbol:         _ZN7rocprim17ROCPRIM_400000_NS6detail17trampoline_kernelINS0_14default_configENS1_29reduce_by_key_config_selectorIilN6thrust23THRUST_200600_302600_NS4plusIlEEEEZZNS1_33reduce_by_key_impl_wrapped_configILNS1_25lookback_scan_determinismE0ES3_S9_PiNS6_17constant_iteratorIiNS6_11use_defaultESE_EENS6_10device_ptrIiEENSG_IlEEPmS8_NS6_8equal_toIiEEEE10hipError_tPvRmT2_T3_mT4_T5_T6_T7_T8_P12ihipStream_tbENKUlT_T0_E_clISt17integral_constantIbLb0EES13_EEDaSY_SZ_EUlSY_E_NS1_11comp_targetILNS1_3genE10ELNS1_11target_archE1201ELNS1_3gpuE5ELNS1_3repE0EEENS1_30default_config_static_selectorELNS0_4arch9wavefront6targetE1EEEvT1_.kd
    .uniform_work_group_size: 1
    .uses_dynamic_stack: false
    .vgpr_count:     0
    .vgpr_spill_count: 0
    .wavefront_size: 64
  - .agpr_count:     0
    .args:
      - .offset:         0
        .size:           144
        .value_kind:     by_value
    .group_segment_fixed_size: 0
    .kernarg_segment_align: 8
    .kernarg_segment_size: 144
    .language:       OpenCL C
    .language_version:
      - 2
      - 0
    .max_flat_workgroup_size: 256
    .name:           _ZN7rocprim17ROCPRIM_400000_NS6detail17trampoline_kernelINS0_14default_configENS1_29reduce_by_key_config_selectorIilN6thrust23THRUST_200600_302600_NS4plusIlEEEEZZNS1_33reduce_by_key_impl_wrapped_configILNS1_25lookback_scan_determinismE0ES3_S9_PiNS6_17constant_iteratorIiNS6_11use_defaultESE_EENS6_10device_ptrIiEENSG_IlEEPmS8_NS6_8equal_toIiEEEE10hipError_tPvRmT2_T3_mT4_T5_T6_T7_T8_P12ihipStream_tbENKUlT_T0_E_clISt17integral_constantIbLb0EES13_EEDaSY_SZ_EUlSY_E_NS1_11comp_targetILNS1_3genE10ELNS1_11target_archE1200ELNS1_3gpuE4ELNS1_3repE0EEENS1_30default_config_static_selectorELNS0_4arch9wavefront6targetE1EEEvT1_
    .private_segment_fixed_size: 0
    .sgpr_count:     4
    .sgpr_spill_count: 0
    .symbol:         _ZN7rocprim17ROCPRIM_400000_NS6detail17trampoline_kernelINS0_14default_configENS1_29reduce_by_key_config_selectorIilN6thrust23THRUST_200600_302600_NS4plusIlEEEEZZNS1_33reduce_by_key_impl_wrapped_configILNS1_25lookback_scan_determinismE0ES3_S9_PiNS6_17constant_iteratorIiNS6_11use_defaultESE_EENS6_10device_ptrIiEENSG_IlEEPmS8_NS6_8equal_toIiEEEE10hipError_tPvRmT2_T3_mT4_T5_T6_T7_T8_P12ihipStream_tbENKUlT_T0_E_clISt17integral_constantIbLb0EES13_EEDaSY_SZ_EUlSY_E_NS1_11comp_targetILNS1_3genE10ELNS1_11target_archE1200ELNS1_3gpuE4ELNS1_3repE0EEENS1_30default_config_static_selectorELNS0_4arch9wavefront6targetE1EEEvT1_.kd
    .uniform_work_group_size: 1
    .uses_dynamic_stack: false
    .vgpr_count:     0
    .vgpr_spill_count: 0
    .wavefront_size: 64
  - .agpr_count:     0
    .args:
      - .offset:         0
        .size:           144
        .value_kind:     by_value
    .group_segment_fixed_size: 0
    .kernarg_segment_align: 8
    .kernarg_segment_size: 144
    .language:       OpenCL C
    .language_version:
      - 2
      - 0
    .max_flat_workgroup_size: 256
    .name:           _ZN7rocprim17ROCPRIM_400000_NS6detail17trampoline_kernelINS0_14default_configENS1_29reduce_by_key_config_selectorIilN6thrust23THRUST_200600_302600_NS4plusIlEEEEZZNS1_33reduce_by_key_impl_wrapped_configILNS1_25lookback_scan_determinismE0ES3_S9_PiNS6_17constant_iteratorIiNS6_11use_defaultESE_EENS6_10device_ptrIiEENSG_IlEEPmS8_NS6_8equal_toIiEEEE10hipError_tPvRmT2_T3_mT4_T5_T6_T7_T8_P12ihipStream_tbENKUlT_T0_E_clISt17integral_constantIbLb0EES13_EEDaSY_SZ_EUlSY_E_NS1_11comp_targetILNS1_3genE9ELNS1_11target_archE1100ELNS1_3gpuE3ELNS1_3repE0EEENS1_30default_config_static_selectorELNS0_4arch9wavefront6targetE1EEEvT1_
    .private_segment_fixed_size: 0
    .sgpr_count:     4
    .sgpr_spill_count: 0
    .symbol:         _ZN7rocprim17ROCPRIM_400000_NS6detail17trampoline_kernelINS0_14default_configENS1_29reduce_by_key_config_selectorIilN6thrust23THRUST_200600_302600_NS4plusIlEEEEZZNS1_33reduce_by_key_impl_wrapped_configILNS1_25lookback_scan_determinismE0ES3_S9_PiNS6_17constant_iteratorIiNS6_11use_defaultESE_EENS6_10device_ptrIiEENSG_IlEEPmS8_NS6_8equal_toIiEEEE10hipError_tPvRmT2_T3_mT4_T5_T6_T7_T8_P12ihipStream_tbENKUlT_T0_E_clISt17integral_constantIbLb0EES13_EEDaSY_SZ_EUlSY_E_NS1_11comp_targetILNS1_3genE9ELNS1_11target_archE1100ELNS1_3gpuE3ELNS1_3repE0EEENS1_30default_config_static_selectorELNS0_4arch9wavefront6targetE1EEEvT1_.kd
    .uniform_work_group_size: 1
    .uses_dynamic_stack: false
    .vgpr_count:     0
    .vgpr_spill_count: 0
    .wavefront_size: 64
  - .agpr_count:     0
    .args:
      - .offset:         0
        .size:           144
        .value_kind:     by_value
    .group_segment_fixed_size: 0
    .kernarg_segment_align: 8
    .kernarg_segment_size: 144
    .language:       OpenCL C
    .language_version:
      - 2
      - 0
    .max_flat_workgroup_size: 256
    .name:           _ZN7rocprim17ROCPRIM_400000_NS6detail17trampoline_kernelINS0_14default_configENS1_29reduce_by_key_config_selectorIilN6thrust23THRUST_200600_302600_NS4plusIlEEEEZZNS1_33reduce_by_key_impl_wrapped_configILNS1_25lookback_scan_determinismE0ES3_S9_PiNS6_17constant_iteratorIiNS6_11use_defaultESE_EENS6_10device_ptrIiEENSG_IlEEPmS8_NS6_8equal_toIiEEEE10hipError_tPvRmT2_T3_mT4_T5_T6_T7_T8_P12ihipStream_tbENKUlT_T0_E_clISt17integral_constantIbLb0EES13_EEDaSY_SZ_EUlSY_E_NS1_11comp_targetILNS1_3genE8ELNS1_11target_archE1030ELNS1_3gpuE2ELNS1_3repE0EEENS1_30default_config_static_selectorELNS0_4arch9wavefront6targetE1EEEvT1_
    .private_segment_fixed_size: 0
    .sgpr_count:     4
    .sgpr_spill_count: 0
    .symbol:         _ZN7rocprim17ROCPRIM_400000_NS6detail17trampoline_kernelINS0_14default_configENS1_29reduce_by_key_config_selectorIilN6thrust23THRUST_200600_302600_NS4plusIlEEEEZZNS1_33reduce_by_key_impl_wrapped_configILNS1_25lookback_scan_determinismE0ES3_S9_PiNS6_17constant_iteratorIiNS6_11use_defaultESE_EENS6_10device_ptrIiEENSG_IlEEPmS8_NS6_8equal_toIiEEEE10hipError_tPvRmT2_T3_mT4_T5_T6_T7_T8_P12ihipStream_tbENKUlT_T0_E_clISt17integral_constantIbLb0EES13_EEDaSY_SZ_EUlSY_E_NS1_11comp_targetILNS1_3genE8ELNS1_11target_archE1030ELNS1_3gpuE2ELNS1_3repE0EEENS1_30default_config_static_selectorELNS0_4arch9wavefront6targetE1EEEvT1_.kd
    .uniform_work_group_size: 1
    .uses_dynamic_stack: false
    .vgpr_count:     0
    .vgpr_spill_count: 0
    .wavefront_size: 64
  - .agpr_count:     0
    .args:
      - .offset:         0
        .size:           144
        .value_kind:     by_value
    .group_segment_fixed_size: 0
    .kernarg_segment_align: 8
    .kernarg_segment_size: 144
    .language:       OpenCL C
    .language_version:
      - 2
      - 0
    .max_flat_workgroup_size: 256
    .name:           _ZN7rocprim17ROCPRIM_400000_NS6detail17trampoline_kernelINS0_14default_configENS1_29reduce_by_key_config_selectorIilN6thrust23THRUST_200600_302600_NS4plusIlEEEEZZNS1_33reduce_by_key_impl_wrapped_configILNS1_25lookback_scan_determinismE0ES3_S9_PiNS6_17constant_iteratorIiNS6_11use_defaultESE_EENS6_10device_ptrIiEENSG_IlEEPmS8_NS6_8equal_toIiEEEE10hipError_tPvRmT2_T3_mT4_T5_T6_T7_T8_P12ihipStream_tbENKUlT_T0_E_clISt17integral_constantIbLb1EES13_EEDaSY_SZ_EUlSY_E_NS1_11comp_targetILNS1_3genE0ELNS1_11target_archE4294967295ELNS1_3gpuE0ELNS1_3repE0EEENS1_30default_config_static_selectorELNS0_4arch9wavefront6targetE1EEEvT1_
    .private_segment_fixed_size: 0
    .sgpr_count:     4
    .sgpr_spill_count: 0
    .symbol:         _ZN7rocprim17ROCPRIM_400000_NS6detail17trampoline_kernelINS0_14default_configENS1_29reduce_by_key_config_selectorIilN6thrust23THRUST_200600_302600_NS4plusIlEEEEZZNS1_33reduce_by_key_impl_wrapped_configILNS1_25lookback_scan_determinismE0ES3_S9_PiNS6_17constant_iteratorIiNS6_11use_defaultESE_EENS6_10device_ptrIiEENSG_IlEEPmS8_NS6_8equal_toIiEEEE10hipError_tPvRmT2_T3_mT4_T5_T6_T7_T8_P12ihipStream_tbENKUlT_T0_E_clISt17integral_constantIbLb1EES13_EEDaSY_SZ_EUlSY_E_NS1_11comp_targetILNS1_3genE0ELNS1_11target_archE4294967295ELNS1_3gpuE0ELNS1_3repE0EEENS1_30default_config_static_selectorELNS0_4arch9wavefront6targetE1EEEvT1_.kd
    .uniform_work_group_size: 1
    .uses_dynamic_stack: false
    .vgpr_count:     0
    .vgpr_spill_count: 0
    .wavefront_size: 64
  - .agpr_count:     0
    .args:
      - .offset:         0
        .size:           144
        .value_kind:     by_value
    .group_segment_fixed_size: 0
    .kernarg_segment_align: 8
    .kernarg_segment_size: 144
    .language:       OpenCL C
    .language_version:
      - 2
      - 0
    .max_flat_workgroup_size: 256
    .name:           _ZN7rocprim17ROCPRIM_400000_NS6detail17trampoline_kernelINS0_14default_configENS1_29reduce_by_key_config_selectorIilN6thrust23THRUST_200600_302600_NS4plusIlEEEEZZNS1_33reduce_by_key_impl_wrapped_configILNS1_25lookback_scan_determinismE0ES3_S9_PiNS6_17constant_iteratorIiNS6_11use_defaultESE_EENS6_10device_ptrIiEENSG_IlEEPmS8_NS6_8equal_toIiEEEE10hipError_tPvRmT2_T3_mT4_T5_T6_T7_T8_P12ihipStream_tbENKUlT_T0_E_clISt17integral_constantIbLb1EES13_EEDaSY_SZ_EUlSY_E_NS1_11comp_targetILNS1_3genE5ELNS1_11target_archE942ELNS1_3gpuE9ELNS1_3repE0EEENS1_30default_config_static_selectorELNS0_4arch9wavefront6targetE1EEEvT1_
    .private_segment_fixed_size: 0
    .sgpr_count:     4
    .sgpr_spill_count: 0
    .symbol:         _ZN7rocprim17ROCPRIM_400000_NS6detail17trampoline_kernelINS0_14default_configENS1_29reduce_by_key_config_selectorIilN6thrust23THRUST_200600_302600_NS4plusIlEEEEZZNS1_33reduce_by_key_impl_wrapped_configILNS1_25lookback_scan_determinismE0ES3_S9_PiNS6_17constant_iteratorIiNS6_11use_defaultESE_EENS6_10device_ptrIiEENSG_IlEEPmS8_NS6_8equal_toIiEEEE10hipError_tPvRmT2_T3_mT4_T5_T6_T7_T8_P12ihipStream_tbENKUlT_T0_E_clISt17integral_constantIbLb1EES13_EEDaSY_SZ_EUlSY_E_NS1_11comp_targetILNS1_3genE5ELNS1_11target_archE942ELNS1_3gpuE9ELNS1_3repE0EEENS1_30default_config_static_selectorELNS0_4arch9wavefront6targetE1EEEvT1_.kd
    .uniform_work_group_size: 1
    .uses_dynamic_stack: false
    .vgpr_count:     0
    .vgpr_spill_count: 0
    .wavefront_size: 64
  - .agpr_count:     0
    .args:
      - .offset:         0
        .size:           144
        .value_kind:     by_value
    .group_segment_fixed_size: 30720
    .kernarg_segment_align: 8
    .kernarg_segment_size: 144
    .language:       OpenCL C
    .language_version:
      - 2
      - 0
    .max_flat_workgroup_size: 256
    .name:           _ZN7rocprim17ROCPRIM_400000_NS6detail17trampoline_kernelINS0_14default_configENS1_29reduce_by_key_config_selectorIilN6thrust23THRUST_200600_302600_NS4plusIlEEEEZZNS1_33reduce_by_key_impl_wrapped_configILNS1_25lookback_scan_determinismE0ES3_S9_PiNS6_17constant_iteratorIiNS6_11use_defaultESE_EENS6_10device_ptrIiEENSG_IlEEPmS8_NS6_8equal_toIiEEEE10hipError_tPvRmT2_T3_mT4_T5_T6_T7_T8_P12ihipStream_tbENKUlT_T0_E_clISt17integral_constantIbLb1EES13_EEDaSY_SZ_EUlSY_E_NS1_11comp_targetILNS1_3genE4ELNS1_11target_archE910ELNS1_3gpuE8ELNS1_3repE0EEENS1_30default_config_static_selectorELNS0_4arch9wavefront6targetE1EEEvT1_
    .private_segment_fixed_size: 0
    .sgpr_count:     68
    .sgpr_spill_count: 0
    .symbol:         _ZN7rocprim17ROCPRIM_400000_NS6detail17trampoline_kernelINS0_14default_configENS1_29reduce_by_key_config_selectorIilN6thrust23THRUST_200600_302600_NS4plusIlEEEEZZNS1_33reduce_by_key_impl_wrapped_configILNS1_25lookback_scan_determinismE0ES3_S9_PiNS6_17constant_iteratorIiNS6_11use_defaultESE_EENS6_10device_ptrIiEENSG_IlEEPmS8_NS6_8equal_toIiEEEE10hipError_tPvRmT2_T3_mT4_T5_T6_T7_T8_P12ihipStream_tbENKUlT_T0_E_clISt17integral_constantIbLb1EES13_EEDaSY_SZ_EUlSY_E_NS1_11comp_targetILNS1_3genE4ELNS1_11target_archE910ELNS1_3gpuE8ELNS1_3repE0EEENS1_30default_config_static_selectorELNS0_4arch9wavefront6targetE1EEEvT1_.kd
    .uniform_work_group_size: 1
    .uses_dynamic_stack: false
    .vgpr_count:     122
    .vgpr_spill_count: 0
    .wavefront_size: 64
  - .agpr_count:     0
    .args:
      - .offset:         0
        .size:           144
        .value_kind:     by_value
    .group_segment_fixed_size: 0
    .kernarg_segment_align: 8
    .kernarg_segment_size: 144
    .language:       OpenCL C
    .language_version:
      - 2
      - 0
    .max_flat_workgroup_size: 256
    .name:           _ZN7rocprim17ROCPRIM_400000_NS6detail17trampoline_kernelINS0_14default_configENS1_29reduce_by_key_config_selectorIilN6thrust23THRUST_200600_302600_NS4plusIlEEEEZZNS1_33reduce_by_key_impl_wrapped_configILNS1_25lookback_scan_determinismE0ES3_S9_PiNS6_17constant_iteratorIiNS6_11use_defaultESE_EENS6_10device_ptrIiEENSG_IlEEPmS8_NS6_8equal_toIiEEEE10hipError_tPvRmT2_T3_mT4_T5_T6_T7_T8_P12ihipStream_tbENKUlT_T0_E_clISt17integral_constantIbLb1EES13_EEDaSY_SZ_EUlSY_E_NS1_11comp_targetILNS1_3genE3ELNS1_11target_archE908ELNS1_3gpuE7ELNS1_3repE0EEENS1_30default_config_static_selectorELNS0_4arch9wavefront6targetE1EEEvT1_
    .private_segment_fixed_size: 0
    .sgpr_count:     4
    .sgpr_spill_count: 0
    .symbol:         _ZN7rocprim17ROCPRIM_400000_NS6detail17trampoline_kernelINS0_14default_configENS1_29reduce_by_key_config_selectorIilN6thrust23THRUST_200600_302600_NS4plusIlEEEEZZNS1_33reduce_by_key_impl_wrapped_configILNS1_25lookback_scan_determinismE0ES3_S9_PiNS6_17constant_iteratorIiNS6_11use_defaultESE_EENS6_10device_ptrIiEENSG_IlEEPmS8_NS6_8equal_toIiEEEE10hipError_tPvRmT2_T3_mT4_T5_T6_T7_T8_P12ihipStream_tbENKUlT_T0_E_clISt17integral_constantIbLb1EES13_EEDaSY_SZ_EUlSY_E_NS1_11comp_targetILNS1_3genE3ELNS1_11target_archE908ELNS1_3gpuE7ELNS1_3repE0EEENS1_30default_config_static_selectorELNS0_4arch9wavefront6targetE1EEEvT1_.kd
    .uniform_work_group_size: 1
    .uses_dynamic_stack: false
    .vgpr_count:     0
    .vgpr_spill_count: 0
    .wavefront_size: 64
  - .agpr_count:     0
    .args:
      - .offset:         0
        .size:           144
        .value_kind:     by_value
    .group_segment_fixed_size: 0
    .kernarg_segment_align: 8
    .kernarg_segment_size: 144
    .language:       OpenCL C
    .language_version:
      - 2
      - 0
    .max_flat_workgroup_size: 256
    .name:           _ZN7rocprim17ROCPRIM_400000_NS6detail17trampoline_kernelINS0_14default_configENS1_29reduce_by_key_config_selectorIilN6thrust23THRUST_200600_302600_NS4plusIlEEEEZZNS1_33reduce_by_key_impl_wrapped_configILNS1_25lookback_scan_determinismE0ES3_S9_PiNS6_17constant_iteratorIiNS6_11use_defaultESE_EENS6_10device_ptrIiEENSG_IlEEPmS8_NS6_8equal_toIiEEEE10hipError_tPvRmT2_T3_mT4_T5_T6_T7_T8_P12ihipStream_tbENKUlT_T0_E_clISt17integral_constantIbLb1EES13_EEDaSY_SZ_EUlSY_E_NS1_11comp_targetILNS1_3genE2ELNS1_11target_archE906ELNS1_3gpuE6ELNS1_3repE0EEENS1_30default_config_static_selectorELNS0_4arch9wavefront6targetE1EEEvT1_
    .private_segment_fixed_size: 0
    .sgpr_count:     4
    .sgpr_spill_count: 0
    .symbol:         _ZN7rocprim17ROCPRIM_400000_NS6detail17trampoline_kernelINS0_14default_configENS1_29reduce_by_key_config_selectorIilN6thrust23THRUST_200600_302600_NS4plusIlEEEEZZNS1_33reduce_by_key_impl_wrapped_configILNS1_25lookback_scan_determinismE0ES3_S9_PiNS6_17constant_iteratorIiNS6_11use_defaultESE_EENS6_10device_ptrIiEENSG_IlEEPmS8_NS6_8equal_toIiEEEE10hipError_tPvRmT2_T3_mT4_T5_T6_T7_T8_P12ihipStream_tbENKUlT_T0_E_clISt17integral_constantIbLb1EES13_EEDaSY_SZ_EUlSY_E_NS1_11comp_targetILNS1_3genE2ELNS1_11target_archE906ELNS1_3gpuE6ELNS1_3repE0EEENS1_30default_config_static_selectorELNS0_4arch9wavefront6targetE1EEEvT1_.kd
    .uniform_work_group_size: 1
    .uses_dynamic_stack: false
    .vgpr_count:     0
    .vgpr_spill_count: 0
    .wavefront_size: 64
  - .agpr_count:     0
    .args:
      - .offset:         0
        .size:           144
        .value_kind:     by_value
    .group_segment_fixed_size: 0
    .kernarg_segment_align: 8
    .kernarg_segment_size: 144
    .language:       OpenCL C
    .language_version:
      - 2
      - 0
    .max_flat_workgroup_size: 256
    .name:           _ZN7rocprim17ROCPRIM_400000_NS6detail17trampoline_kernelINS0_14default_configENS1_29reduce_by_key_config_selectorIilN6thrust23THRUST_200600_302600_NS4plusIlEEEEZZNS1_33reduce_by_key_impl_wrapped_configILNS1_25lookback_scan_determinismE0ES3_S9_PiNS6_17constant_iteratorIiNS6_11use_defaultESE_EENS6_10device_ptrIiEENSG_IlEEPmS8_NS6_8equal_toIiEEEE10hipError_tPvRmT2_T3_mT4_T5_T6_T7_T8_P12ihipStream_tbENKUlT_T0_E_clISt17integral_constantIbLb1EES13_EEDaSY_SZ_EUlSY_E_NS1_11comp_targetILNS1_3genE10ELNS1_11target_archE1201ELNS1_3gpuE5ELNS1_3repE0EEENS1_30default_config_static_selectorELNS0_4arch9wavefront6targetE1EEEvT1_
    .private_segment_fixed_size: 0
    .sgpr_count:     4
    .sgpr_spill_count: 0
    .symbol:         _ZN7rocprim17ROCPRIM_400000_NS6detail17trampoline_kernelINS0_14default_configENS1_29reduce_by_key_config_selectorIilN6thrust23THRUST_200600_302600_NS4plusIlEEEEZZNS1_33reduce_by_key_impl_wrapped_configILNS1_25lookback_scan_determinismE0ES3_S9_PiNS6_17constant_iteratorIiNS6_11use_defaultESE_EENS6_10device_ptrIiEENSG_IlEEPmS8_NS6_8equal_toIiEEEE10hipError_tPvRmT2_T3_mT4_T5_T6_T7_T8_P12ihipStream_tbENKUlT_T0_E_clISt17integral_constantIbLb1EES13_EEDaSY_SZ_EUlSY_E_NS1_11comp_targetILNS1_3genE10ELNS1_11target_archE1201ELNS1_3gpuE5ELNS1_3repE0EEENS1_30default_config_static_selectorELNS0_4arch9wavefront6targetE1EEEvT1_.kd
    .uniform_work_group_size: 1
    .uses_dynamic_stack: false
    .vgpr_count:     0
    .vgpr_spill_count: 0
    .wavefront_size: 64
  - .agpr_count:     0
    .args:
      - .offset:         0
        .size:           144
        .value_kind:     by_value
    .group_segment_fixed_size: 0
    .kernarg_segment_align: 8
    .kernarg_segment_size: 144
    .language:       OpenCL C
    .language_version:
      - 2
      - 0
    .max_flat_workgroup_size: 256
    .name:           _ZN7rocprim17ROCPRIM_400000_NS6detail17trampoline_kernelINS0_14default_configENS1_29reduce_by_key_config_selectorIilN6thrust23THRUST_200600_302600_NS4plusIlEEEEZZNS1_33reduce_by_key_impl_wrapped_configILNS1_25lookback_scan_determinismE0ES3_S9_PiNS6_17constant_iteratorIiNS6_11use_defaultESE_EENS6_10device_ptrIiEENSG_IlEEPmS8_NS6_8equal_toIiEEEE10hipError_tPvRmT2_T3_mT4_T5_T6_T7_T8_P12ihipStream_tbENKUlT_T0_E_clISt17integral_constantIbLb1EES13_EEDaSY_SZ_EUlSY_E_NS1_11comp_targetILNS1_3genE10ELNS1_11target_archE1200ELNS1_3gpuE4ELNS1_3repE0EEENS1_30default_config_static_selectorELNS0_4arch9wavefront6targetE1EEEvT1_
    .private_segment_fixed_size: 0
    .sgpr_count:     4
    .sgpr_spill_count: 0
    .symbol:         _ZN7rocprim17ROCPRIM_400000_NS6detail17trampoline_kernelINS0_14default_configENS1_29reduce_by_key_config_selectorIilN6thrust23THRUST_200600_302600_NS4plusIlEEEEZZNS1_33reduce_by_key_impl_wrapped_configILNS1_25lookback_scan_determinismE0ES3_S9_PiNS6_17constant_iteratorIiNS6_11use_defaultESE_EENS6_10device_ptrIiEENSG_IlEEPmS8_NS6_8equal_toIiEEEE10hipError_tPvRmT2_T3_mT4_T5_T6_T7_T8_P12ihipStream_tbENKUlT_T0_E_clISt17integral_constantIbLb1EES13_EEDaSY_SZ_EUlSY_E_NS1_11comp_targetILNS1_3genE10ELNS1_11target_archE1200ELNS1_3gpuE4ELNS1_3repE0EEENS1_30default_config_static_selectorELNS0_4arch9wavefront6targetE1EEEvT1_.kd
    .uniform_work_group_size: 1
    .uses_dynamic_stack: false
    .vgpr_count:     0
    .vgpr_spill_count: 0
    .wavefront_size: 64
  - .agpr_count:     0
    .args:
      - .offset:         0
        .size:           144
        .value_kind:     by_value
    .group_segment_fixed_size: 0
    .kernarg_segment_align: 8
    .kernarg_segment_size: 144
    .language:       OpenCL C
    .language_version:
      - 2
      - 0
    .max_flat_workgroup_size: 256
    .name:           _ZN7rocprim17ROCPRIM_400000_NS6detail17trampoline_kernelINS0_14default_configENS1_29reduce_by_key_config_selectorIilN6thrust23THRUST_200600_302600_NS4plusIlEEEEZZNS1_33reduce_by_key_impl_wrapped_configILNS1_25lookback_scan_determinismE0ES3_S9_PiNS6_17constant_iteratorIiNS6_11use_defaultESE_EENS6_10device_ptrIiEENSG_IlEEPmS8_NS6_8equal_toIiEEEE10hipError_tPvRmT2_T3_mT4_T5_T6_T7_T8_P12ihipStream_tbENKUlT_T0_E_clISt17integral_constantIbLb1EES13_EEDaSY_SZ_EUlSY_E_NS1_11comp_targetILNS1_3genE9ELNS1_11target_archE1100ELNS1_3gpuE3ELNS1_3repE0EEENS1_30default_config_static_selectorELNS0_4arch9wavefront6targetE1EEEvT1_
    .private_segment_fixed_size: 0
    .sgpr_count:     4
    .sgpr_spill_count: 0
    .symbol:         _ZN7rocprim17ROCPRIM_400000_NS6detail17trampoline_kernelINS0_14default_configENS1_29reduce_by_key_config_selectorIilN6thrust23THRUST_200600_302600_NS4plusIlEEEEZZNS1_33reduce_by_key_impl_wrapped_configILNS1_25lookback_scan_determinismE0ES3_S9_PiNS6_17constant_iteratorIiNS6_11use_defaultESE_EENS6_10device_ptrIiEENSG_IlEEPmS8_NS6_8equal_toIiEEEE10hipError_tPvRmT2_T3_mT4_T5_T6_T7_T8_P12ihipStream_tbENKUlT_T0_E_clISt17integral_constantIbLb1EES13_EEDaSY_SZ_EUlSY_E_NS1_11comp_targetILNS1_3genE9ELNS1_11target_archE1100ELNS1_3gpuE3ELNS1_3repE0EEENS1_30default_config_static_selectorELNS0_4arch9wavefront6targetE1EEEvT1_.kd
    .uniform_work_group_size: 1
    .uses_dynamic_stack: false
    .vgpr_count:     0
    .vgpr_spill_count: 0
    .wavefront_size: 64
  - .agpr_count:     0
    .args:
      - .offset:         0
        .size:           144
        .value_kind:     by_value
    .group_segment_fixed_size: 0
    .kernarg_segment_align: 8
    .kernarg_segment_size: 144
    .language:       OpenCL C
    .language_version:
      - 2
      - 0
    .max_flat_workgroup_size: 256
    .name:           _ZN7rocprim17ROCPRIM_400000_NS6detail17trampoline_kernelINS0_14default_configENS1_29reduce_by_key_config_selectorIilN6thrust23THRUST_200600_302600_NS4plusIlEEEEZZNS1_33reduce_by_key_impl_wrapped_configILNS1_25lookback_scan_determinismE0ES3_S9_PiNS6_17constant_iteratorIiNS6_11use_defaultESE_EENS6_10device_ptrIiEENSG_IlEEPmS8_NS6_8equal_toIiEEEE10hipError_tPvRmT2_T3_mT4_T5_T6_T7_T8_P12ihipStream_tbENKUlT_T0_E_clISt17integral_constantIbLb1EES13_EEDaSY_SZ_EUlSY_E_NS1_11comp_targetILNS1_3genE8ELNS1_11target_archE1030ELNS1_3gpuE2ELNS1_3repE0EEENS1_30default_config_static_selectorELNS0_4arch9wavefront6targetE1EEEvT1_
    .private_segment_fixed_size: 0
    .sgpr_count:     4
    .sgpr_spill_count: 0
    .symbol:         _ZN7rocprim17ROCPRIM_400000_NS6detail17trampoline_kernelINS0_14default_configENS1_29reduce_by_key_config_selectorIilN6thrust23THRUST_200600_302600_NS4plusIlEEEEZZNS1_33reduce_by_key_impl_wrapped_configILNS1_25lookback_scan_determinismE0ES3_S9_PiNS6_17constant_iteratorIiNS6_11use_defaultESE_EENS6_10device_ptrIiEENSG_IlEEPmS8_NS6_8equal_toIiEEEE10hipError_tPvRmT2_T3_mT4_T5_T6_T7_T8_P12ihipStream_tbENKUlT_T0_E_clISt17integral_constantIbLb1EES13_EEDaSY_SZ_EUlSY_E_NS1_11comp_targetILNS1_3genE8ELNS1_11target_archE1030ELNS1_3gpuE2ELNS1_3repE0EEENS1_30default_config_static_selectorELNS0_4arch9wavefront6targetE1EEEvT1_.kd
    .uniform_work_group_size: 1
    .uses_dynamic_stack: false
    .vgpr_count:     0
    .vgpr_spill_count: 0
    .wavefront_size: 64
  - .agpr_count:     0
    .args:
      - .offset:         0
        .size:           144
        .value_kind:     by_value
    .group_segment_fixed_size: 0
    .kernarg_segment_align: 8
    .kernarg_segment_size: 144
    .language:       OpenCL C
    .language_version:
      - 2
      - 0
    .max_flat_workgroup_size: 256
    .name:           _ZN7rocprim17ROCPRIM_400000_NS6detail17trampoline_kernelINS0_14default_configENS1_29reduce_by_key_config_selectorIilN6thrust23THRUST_200600_302600_NS4plusIlEEEEZZNS1_33reduce_by_key_impl_wrapped_configILNS1_25lookback_scan_determinismE0ES3_S9_PiNS6_17constant_iteratorIiNS6_11use_defaultESE_EENS6_10device_ptrIiEENSG_IlEEPmS8_NS6_8equal_toIiEEEE10hipError_tPvRmT2_T3_mT4_T5_T6_T7_T8_P12ihipStream_tbENKUlT_T0_E_clISt17integral_constantIbLb1EES12_IbLb0EEEEDaSY_SZ_EUlSY_E_NS1_11comp_targetILNS1_3genE0ELNS1_11target_archE4294967295ELNS1_3gpuE0ELNS1_3repE0EEENS1_30default_config_static_selectorELNS0_4arch9wavefront6targetE1EEEvT1_
    .private_segment_fixed_size: 0
    .sgpr_count:     4
    .sgpr_spill_count: 0
    .symbol:         _ZN7rocprim17ROCPRIM_400000_NS6detail17trampoline_kernelINS0_14default_configENS1_29reduce_by_key_config_selectorIilN6thrust23THRUST_200600_302600_NS4plusIlEEEEZZNS1_33reduce_by_key_impl_wrapped_configILNS1_25lookback_scan_determinismE0ES3_S9_PiNS6_17constant_iteratorIiNS6_11use_defaultESE_EENS6_10device_ptrIiEENSG_IlEEPmS8_NS6_8equal_toIiEEEE10hipError_tPvRmT2_T3_mT4_T5_T6_T7_T8_P12ihipStream_tbENKUlT_T0_E_clISt17integral_constantIbLb1EES12_IbLb0EEEEDaSY_SZ_EUlSY_E_NS1_11comp_targetILNS1_3genE0ELNS1_11target_archE4294967295ELNS1_3gpuE0ELNS1_3repE0EEENS1_30default_config_static_selectorELNS0_4arch9wavefront6targetE1EEEvT1_.kd
    .uniform_work_group_size: 1
    .uses_dynamic_stack: false
    .vgpr_count:     0
    .vgpr_spill_count: 0
    .wavefront_size: 64
  - .agpr_count:     0
    .args:
      - .offset:         0
        .size:           144
        .value_kind:     by_value
    .group_segment_fixed_size: 0
    .kernarg_segment_align: 8
    .kernarg_segment_size: 144
    .language:       OpenCL C
    .language_version:
      - 2
      - 0
    .max_flat_workgroup_size: 256
    .name:           _ZN7rocprim17ROCPRIM_400000_NS6detail17trampoline_kernelINS0_14default_configENS1_29reduce_by_key_config_selectorIilN6thrust23THRUST_200600_302600_NS4plusIlEEEEZZNS1_33reduce_by_key_impl_wrapped_configILNS1_25lookback_scan_determinismE0ES3_S9_PiNS6_17constant_iteratorIiNS6_11use_defaultESE_EENS6_10device_ptrIiEENSG_IlEEPmS8_NS6_8equal_toIiEEEE10hipError_tPvRmT2_T3_mT4_T5_T6_T7_T8_P12ihipStream_tbENKUlT_T0_E_clISt17integral_constantIbLb1EES12_IbLb0EEEEDaSY_SZ_EUlSY_E_NS1_11comp_targetILNS1_3genE5ELNS1_11target_archE942ELNS1_3gpuE9ELNS1_3repE0EEENS1_30default_config_static_selectorELNS0_4arch9wavefront6targetE1EEEvT1_
    .private_segment_fixed_size: 0
    .sgpr_count:     4
    .sgpr_spill_count: 0
    .symbol:         _ZN7rocprim17ROCPRIM_400000_NS6detail17trampoline_kernelINS0_14default_configENS1_29reduce_by_key_config_selectorIilN6thrust23THRUST_200600_302600_NS4plusIlEEEEZZNS1_33reduce_by_key_impl_wrapped_configILNS1_25lookback_scan_determinismE0ES3_S9_PiNS6_17constant_iteratorIiNS6_11use_defaultESE_EENS6_10device_ptrIiEENSG_IlEEPmS8_NS6_8equal_toIiEEEE10hipError_tPvRmT2_T3_mT4_T5_T6_T7_T8_P12ihipStream_tbENKUlT_T0_E_clISt17integral_constantIbLb1EES12_IbLb0EEEEDaSY_SZ_EUlSY_E_NS1_11comp_targetILNS1_3genE5ELNS1_11target_archE942ELNS1_3gpuE9ELNS1_3repE0EEENS1_30default_config_static_selectorELNS0_4arch9wavefront6targetE1EEEvT1_.kd
    .uniform_work_group_size: 1
    .uses_dynamic_stack: false
    .vgpr_count:     0
    .vgpr_spill_count: 0
    .wavefront_size: 64
  - .agpr_count:     0
    .args:
      - .offset:         0
        .size:           144
        .value_kind:     by_value
    .group_segment_fixed_size: 30720
    .kernarg_segment_align: 8
    .kernarg_segment_size: 144
    .language:       OpenCL C
    .language_version:
      - 2
      - 0
    .max_flat_workgroup_size: 256
    .name:           _ZN7rocprim17ROCPRIM_400000_NS6detail17trampoline_kernelINS0_14default_configENS1_29reduce_by_key_config_selectorIilN6thrust23THRUST_200600_302600_NS4plusIlEEEEZZNS1_33reduce_by_key_impl_wrapped_configILNS1_25lookback_scan_determinismE0ES3_S9_PiNS6_17constant_iteratorIiNS6_11use_defaultESE_EENS6_10device_ptrIiEENSG_IlEEPmS8_NS6_8equal_toIiEEEE10hipError_tPvRmT2_T3_mT4_T5_T6_T7_T8_P12ihipStream_tbENKUlT_T0_E_clISt17integral_constantIbLb1EES12_IbLb0EEEEDaSY_SZ_EUlSY_E_NS1_11comp_targetILNS1_3genE4ELNS1_11target_archE910ELNS1_3gpuE8ELNS1_3repE0EEENS1_30default_config_static_selectorELNS0_4arch9wavefront6targetE1EEEvT1_
    .private_segment_fixed_size: 0
    .sgpr_count:     66
    .sgpr_spill_count: 0
    .symbol:         _ZN7rocprim17ROCPRIM_400000_NS6detail17trampoline_kernelINS0_14default_configENS1_29reduce_by_key_config_selectorIilN6thrust23THRUST_200600_302600_NS4plusIlEEEEZZNS1_33reduce_by_key_impl_wrapped_configILNS1_25lookback_scan_determinismE0ES3_S9_PiNS6_17constant_iteratorIiNS6_11use_defaultESE_EENS6_10device_ptrIiEENSG_IlEEPmS8_NS6_8equal_toIiEEEE10hipError_tPvRmT2_T3_mT4_T5_T6_T7_T8_P12ihipStream_tbENKUlT_T0_E_clISt17integral_constantIbLb1EES12_IbLb0EEEEDaSY_SZ_EUlSY_E_NS1_11comp_targetILNS1_3genE4ELNS1_11target_archE910ELNS1_3gpuE8ELNS1_3repE0EEENS1_30default_config_static_selectorELNS0_4arch9wavefront6targetE1EEEvT1_.kd
    .uniform_work_group_size: 1
    .uses_dynamic_stack: false
    .vgpr_count:     122
    .vgpr_spill_count: 0
    .wavefront_size: 64
  - .agpr_count:     0
    .args:
      - .offset:         0
        .size:           144
        .value_kind:     by_value
    .group_segment_fixed_size: 0
    .kernarg_segment_align: 8
    .kernarg_segment_size: 144
    .language:       OpenCL C
    .language_version:
      - 2
      - 0
    .max_flat_workgroup_size: 256
    .name:           _ZN7rocprim17ROCPRIM_400000_NS6detail17trampoline_kernelINS0_14default_configENS1_29reduce_by_key_config_selectorIilN6thrust23THRUST_200600_302600_NS4plusIlEEEEZZNS1_33reduce_by_key_impl_wrapped_configILNS1_25lookback_scan_determinismE0ES3_S9_PiNS6_17constant_iteratorIiNS6_11use_defaultESE_EENS6_10device_ptrIiEENSG_IlEEPmS8_NS6_8equal_toIiEEEE10hipError_tPvRmT2_T3_mT4_T5_T6_T7_T8_P12ihipStream_tbENKUlT_T0_E_clISt17integral_constantIbLb1EES12_IbLb0EEEEDaSY_SZ_EUlSY_E_NS1_11comp_targetILNS1_3genE3ELNS1_11target_archE908ELNS1_3gpuE7ELNS1_3repE0EEENS1_30default_config_static_selectorELNS0_4arch9wavefront6targetE1EEEvT1_
    .private_segment_fixed_size: 0
    .sgpr_count:     4
    .sgpr_spill_count: 0
    .symbol:         _ZN7rocprim17ROCPRIM_400000_NS6detail17trampoline_kernelINS0_14default_configENS1_29reduce_by_key_config_selectorIilN6thrust23THRUST_200600_302600_NS4plusIlEEEEZZNS1_33reduce_by_key_impl_wrapped_configILNS1_25lookback_scan_determinismE0ES3_S9_PiNS6_17constant_iteratorIiNS6_11use_defaultESE_EENS6_10device_ptrIiEENSG_IlEEPmS8_NS6_8equal_toIiEEEE10hipError_tPvRmT2_T3_mT4_T5_T6_T7_T8_P12ihipStream_tbENKUlT_T0_E_clISt17integral_constantIbLb1EES12_IbLb0EEEEDaSY_SZ_EUlSY_E_NS1_11comp_targetILNS1_3genE3ELNS1_11target_archE908ELNS1_3gpuE7ELNS1_3repE0EEENS1_30default_config_static_selectorELNS0_4arch9wavefront6targetE1EEEvT1_.kd
    .uniform_work_group_size: 1
    .uses_dynamic_stack: false
    .vgpr_count:     0
    .vgpr_spill_count: 0
    .wavefront_size: 64
  - .agpr_count:     0
    .args:
      - .offset:         0
        .size:           144
        .value_kind:     by_value
    .group_segment_fixed_size: 0
    .kernarg_segment_align: 8
    .kernarg_segment_size: 144
    .language:       OpenCL C
    .language_version:
      - 2
      - 0
    .max_flat_workgroup_size: 256
    .name:           _ZN7rocprim17ROCPRIM_400000_NS6detail17trampoline_kernelINS0_14default_configENS1_29reduce_by_key_config_selectorIilN6thrust23THRUST_200600_302600_NS4plusIlEEEEZZNS1_33reduce_by_key_impl_wrapped_configILNS1_25lookback_scan_determinismE0ES3_S9_PiNS6_17constant_iteratorIiNS6_11use_defaultESE_EENS6_10device_ptrIiEENSG_IlEEPmS8_NS6_8equal_toIiEEEE10hipError_tPvRmT2_T3_mT4_T5_T6_T7_T8_P12ihipStream_tbENKUlT_T0_E_clISt17integral_constantIbLb1EES12_IbLb0EEEEDaSY_SZ_EUlSY_E_NS1_11comp_targetILNS1_3genE2ELNS1_11target_archE906ELNS1_3gpuE6ELNS1_3repE0EEENS1_30default_config_static_selectorELNS0_4arch9wavefront6targetE1EEEvT1_
    .private_segment_fixed_size: 0
    .sgpr_count:     4
    .sgpr_spill_count: 0
    .symbol:         _ZN7rocprim17ROCPRIM_400000_NS6detail17trampoline_kernelINS0_14default_configENS1_29reduce_by_key_config_selectorIilN6thrust23THRUST_200600_302600_NS4plusIlEEEEZZNS1_33reduce_by_key_impl_wrapped_configILNS1_25lookback_scan_determinismE0ES3_S9_PiNS6_17constant_iteratorIiNS6_11use_defaultESE_EENS6_10device_ptrIiEENSG_IlEEPmS8_NS6_8equal_toIiEEEE10hipError_tPvRmT2_T3_mT4_T5_T6_T7_T8_P12ihipStream_tbENKUlT_T0_E_clISt17integral_constantIbLb1EES12_IbLb0EEEEDaSY_SZ_EUlSY_E_NS1_11comp_targetILNS1_3genE2ELNS1_11target_archE906ELNS1_3gpuE6ELNS1_3repE0EEENS1_30default_config_static_selectorELNS0_4arch9wavefront6targetE1EEEvT1_.kd
    .uniform_work_group_size: 1
    .uses_dynamic_stack: false
    .vgpr_count:     0
    .vgpr_spill_count: 0
    .wavefront_size: 64
  - .agpr_count:     0
    .args:
      - .offset:         0
        .size:           144
        .value_kind:     by_value
    .group_segment_fixed_size: 0
    .kernarg_segment_align: 8
    .kernarg_segment_size: 144
    .language:       OpenCL C
    .language_version:
      - 2
      - 0
    .max_flat_workgroup_size: 256
    .name:           _ZN7rocprim17ROCPRIM_400000_NS6detail17trampoline_kernelINS0_14default_configENS1_29reduce_by_key_config_selectorIilN6thrust23THRUST_200600_302600_NS4plusIlEEEEZZNS1_33reduce_by_key_impl_wrapped_configILNS1_25lookback_scan_determinismE0ES3_S9_PiNS6_17constant_iteratorIiNS6_11use_defaultESE_EENS6_10device_ptrIiEENSG_IlEEPmS8_NS6_8equal_toIiEEEE10hipError_tPvRmT2_T3_mT4_T5_T6_T7_T8_P12ihipStream_tbENKUlT_T0_E_clISt17integral_constantIbLb1EES12_IbLb0EEEEDaSY_SZ_EUlSY_E_NS1_11comp_targetILNS1_3genE10ELNS1_11target_archE1201ELNS1_3gpuE5ELNS1_3repE0EEENS1_30default_config_static_selectorELNS0_4arch9wavefront6targetE1EEEvT1_
    .private_segment_fixed_size: 0
    .sgpr_count:     4
    .sgpr_spill_count: 0
    .symbol:         _ZN7rocprim17ROCPRIM_400000_NS6detail17trampoline_kernelINS0_14default_configENS1_29reduce_by_key_config_selectorIilN6thrust23THRUST_200600_302600_NS4plusIlEEEEZZNS1_33reduce_by_key_impl_wrapped_configILNS1_25lookback_scan_determinismE0ES3_S9_PiNS6_17constant_iteratorIiNS6_11use_defaultESE_EENS6_10device_ptrIiEENSG_IlEEPmS8_NS6_8equal_toIiEEEE10hipError_tPvRmT2_T3_mT4_T5_T6_T7_T8_P12ihipStream_tbENKUlT_T0_E_clISt17integral_constantIbLb1EES12_IbLb0EEEEDaSY_SZ_EUlSY_E_NS1_11comp_targetILNS1_3genE10ELNS1_11target_archE1201ELNS1_3gpuE5ELNS1_3repE0EEENS1_30default_config_static_selectorELNS0_4arch9wavefront6targetE1EEEvT1_.kd
    .uniform_work_group_size: 1
    .uses_dynamic_stack: false
    .vgpr_count:     0
    .vgpr_spill_count: 0
    .wavefront_size: 64
  - .agpr_count:     0
    .args:
      - .offset:         0
        .size:           144
        .value_kind:     by_value
    .group_segment_fixed_size: 0
    .kernarg_segment_align: 8
    .kernarg_segment_size: 144
    .language:       OpenCL C
    .language_version:
      - 2
      - 0
    .max_flat_workgroup_size: 256
    .name:           _ZN7rocprim17ROCPRIM_400000_NS6detail17trampoline_kernelINS0_14default_configENS1_29reduce_by_key_config_selectorIilN6thrust23THRUST_200600_302600_NS4plusIlEEEEZZNS1_33reduce_by_key_impl_wrapped_configILNS1_25lookback_scan_determinismE0ES3_S9_PiNS6_17constant_iteratorIiNS6_11use_defaultESE_EENS6_10device_ptrIiEENSG_IlEEPmS8_NS6_8equal_toIiEEEE10hipError_tPvRmT2_T3_mT4_T5_T6_T7_T8_P12ihipStream_tbENKUlT_T0_E_clISt17integral_constantIbLb1EES12_IbLb0EEEEDaSY_SZ_EUlSY_E_NS1_11comp_targetILNS1_3genE10ELNS1_11target_archE1200ELNS1_3gpuE4ELNS1_3repE0EEENS1_30default_config_static_selectorELNS0_4arch9wavefront6targetE1EEEvT1_
    .private_segment_fixed_size: 0
    .sgpr_count:     4
    .sgpr_spill_count: 0
    .symbol:         _ZN7rocprim17ROCPRIM_400000_NS6detail17trampoline_kernelINS0_14default_configENS1_29reduce_by_key_config_selectorIilN6thrust23THRUST_200600_302600_NS4plusIlEEEEZZNS1_33reduce_by_key_impl_wrapped_configILNS1_25lookback_scan_determinismE0ES3_S9_PiNS6_17constant_iteratorIiNS6_11use_defaultESE_EENS6_10device_ptrIiEENSG_IlEEPmS8_NS6_8equal_toIiEEEE10hipError_tPvRmT2_T3_mT4_T5_T6_T7_T8_P12ihipStream_tbENKUlT_T0_E_clISt17integral_constantIbLb1EES12_IbLb0EEEEDaSY_SZ_EUlSY_E_NS1_11comp_targetILNS1_3genE10ELNS1_11target_archE1200ELNS1_3gpuE4ELNS1_3repE0EEENS1_30default_config_static_selectorELNS0_4arch9wavefront6targetE1EEEvT1_.kd
    .uniform_work_group_size: 1
    .uses_dynamic_stack: false
    .vgpr_count:     0
    .vgpr_spill_count: 0
    .wavefront_size: 64
  - .agpr_count:     0
    .args:
      - .offset:         0
        .size:           144
        .value_kind:     by_value
    .group_segment_fixed_size: 0
    .kernarg_segment_align: 8
    .kernarg_segment_size: 144
    .language:       OpenCL C
    .language_version:
      - 2
      - 0
    .max_flat_workgroup_size: 256
    .name:           _ZN7rocprim17ROCPRIM_400000_NS6detail17trampoline_kernelINS0_14default_configENS1_29reduce_by_key_config_selectorIilN6thrust23THRUST_200600_302600_NS4plusIlEEEEZZNS1_33reduce_by_key_impl_wrapped_configILNS1_25lookback_scan_determinismE0ES3_S9_PiNS6_17constant_iteratorIiNS6_11use_defaultESE_EENS6_10device_ptrIiEENSG_IlEEPmS8_NS6_8equal_toIiEEEE10hipError_tPvRmT2_T3_mT4_T5_T6_T7_T8_P12ihipStream_tbENKUlT_T0_E_clISt17integral_constantIbLb1EES12_IbLb0EEEEDaSY_SZ_EUlSY_E_NS1_11comp_targetILNS1_3genE9ELNS1_11target_archE1100ELNS1_3gpuE3ELNS1_3repE0EEENS1_30default_config_static_selectorELNS0_4arch9wavefront6targetE1EEEvT1_
    .private_segment_fixed_size: 0
    .sgpr_count:     4
    .sgpr_spill_count: 0
    .symbol:         _ZN7rocprim17ROCPRIM_400000_NS6detail17trampoline_kernelINS0_14default_configENS1_29reduce_by_key_config_selectorIilN6thrust23THRUST_200600_302600_NS4plusIlEEEEZZNS1_33reduce_by_key_impl_wrapped_configILNS1_25lookback_scan_determinismE0ES3_S9_PiNS6_17constant_iteratorIiNS6_11use_defaultESE_EENS6_10device_ptrIiEENSG_IlEEPmS8_NS6_8equal_toIiEEEE10hipError_tPvRmT2_T3_mT4_T5_T6_T7_T8_P12ihipStream_tbENKUlT_T0_E_clISt17integral_constantIbLb1EES12_IbLb0EEEEDaSY_SZ_EUlSY_E_NS1_11comp_targetILNS1_3genE9ELNS1_11target_archE1100ELNS1_3gpuE3ELNS1_3repE0EEENS1_30default_config_static_selectorELNS0_4arch9wavefront6targetE1EEEvT1_.kd
    .uniform_work_group_size: 1
    .uses_dynamic_stack: false
    .vgpr_count:     0
    .vgpr_spill_count: 0
    .wavefront_size: 64
  - .agpr_count:     0
    .args:
      - .offset:         0
        .size:           144
        .value_kind:     by_value
    .group_segment_fixed_size: 0
    .kernarg_segment_align: 8
    .kernarg_segment_size: 144
    .language:       OpenCL C
    .language_version:
      - 2
      - 0
    .max_flat_workgroup_size: 256
    .name:           _ZN7rocprim17ROCPRIM_400000_NS6detail17trampoline_kernelINS0_14default_configENS1_29reduce_by_key_config_selectorIilN6thrust23THRUST_200600_302600_NS4plusIlEEEEZZNS1_33reduce_by_key_impl_wrapped_configILNS1_25lookback_scan_determinismE0ES3_S9_PiNS6_17constant_iteratorIiNS6_11use_defaultESE_EENS6_10device_ptrIiEENSG_IlEEPmS8_NS6_8equal_toIiEEEE10hipError_tPvRmT2_T3_mT4_T5_T6_T7_T8_P12ihipStream_tbENKUlT_T0_E_clISt17integral_constantIbLb1EES12_IbLb0EEEEDaSY_SZ_EUlSY_E_NS1_11comp_targetILNS1_3genE8ELNS1_11target_archE1030ELNS1_3gpuE2ELNS1_3repE0EEENS1_30default_config_static_selectorELNS0_4arch9wavefront6targetE1EEEvT1_
    .private_segment_fixed_size: 0
    .sgpr_count:     4
    .sgpr_spill_count: 0
    .symbol:         _ZN7rocprim17ROCPRIM_400000_NS6detail17trampoline_kernelINS0_14default_configENS1_29reduce_by_key_config_selectorIilN6thrust23THRUST_200600_302600_NS4plusIlEEEEZZNS1_33reduce_by_key_impl_wrapped_configILNS1_25lookback_scan_determinismE0ES3_S9_PiNS6_17constant_iteratorIiNS6_11use_defaultESE_EENS6_10device_ptrIiEENSG_IlEEPmS8_NS6_8equal_toIiEEEE10hipError_tPvRmT2_T3_mT4_T5_T6_T7_T8_P12ihipStream_tbENKUlT_T0_E_clISt17integral_constantIbLb1EES12_IbLb0EEEEDaSY_SZ_EUlSY_E_NS1_11comp_targetILNS1_3genE8ELNS1_11target_archE1030ELNS1_3gpuE2ELNS1_3repE0EEENS1_30default_config_static_selectorELNS0_4arch9wavefront6targetE1EEEvT1_.kd
    .uniform_work_group_size: 1
    .uses_dynamic_stack: false
    .vgpr_count:     0
    .vgpr_spill_count: 0
    .wavefront_size: 64
  - .agpr_count:     0
    .args:
      - .offset:         0
        .size:           144
        .value_kind:     by_value
    .group_segment_fixed_size: 0
    .kernarg_segment_align: 8
    .kernarg_segment_size: 144
    .language:       OpenCL C
    .language_version:
      - 2
      - 0
    .max_flat_workgroup_size: 256
    .name:           _ZN7rocprim17ROCPRIM_400000_NS6detail17trampoline_kernelINS0_14default_configENS1_29reduce_by_key_config_selectorIilN6thrust23THRUST_200600_302600_NS4plusIlEEEEZZNS1_33reduce_by_key_impl_wrapped_configILNS1_25lookback_scan_determinismE0ES3_S9_PiNS6_17constant_iteratorIiNS6_11use_defaultESE_EENS6_10device_ptrIiEENSG_IlEEPmS8_NS6_8equal_toIiEEEE10hipError_tPvRmT2_T3_mT4_T5_T6_T7_T8_P12ihipStream_tbENKUlT_T0_E_clISt17integral_constantIbLb0EES12_IbLb1EEEEDaSY_SZ_EUlSY_E_NS1_11comp_targetILNS1_3genE0ELNS1_11target_archE4294967295ELNS1_3gpuE0ELNS1_3repE0EEENS1_30default_config_static_selectorELNS0_4arch9wavefront6targetE1EEEvT1_
    .private_segment_fixed_size: 0
    .sgpr_count:     4
    .sgpr_spill_count: 0
    .symbol:         _ZN7rocprim17ROCPRIM_400000_NS6detail17trampoline_kernelINS0_14default_configENS1_29reduce_by_key_config_selectorIilN6thrust23THRUST_200600_302600_NS4plusIlEEEEZZNS1_33reduce_by_key_impl_wrapped_configILNS1_25lookback_scan_determinismE0ES3_S9_PiNS6_17constant_iteratorIiNS6_11use_defaultESE_EENS6_10device_ptrIiEENSG_IlEEPmS8_NS6_8equal_toIiEEEE10hipError_tPvRmT2_T3_mT4_T5_T6_T7_T8_P12ihipStream_tbENKUlT_T0_E_clISt17integral_constantIbLb0EES12_IbLb1EEEEDaSY_SZ_EUlSY_E_NS1_11comp_targetILNS1_3genE0ELNS1_11target_archE4294967295ELNS1_3gpuE0ELNS1_3repE0EEENS1_30default_config_static_selectorELNS0_4arch9wavefront6targetE1EEEvT1_.kd
    .uniform_work_group_size: 1
    .uses_dynamic_stack: false
    .vgpr_count:     0
    .vgpr_spill_count: 0
    .wavefront_size: 64
  - .agpr_count:     0
    .args:
      - .offset:         0
        .size:           144
        .value_kind:     by_value
    .group_segment_fixed_size: 0
    .kernarg_segment_align: 8
    .kernarg_segment_size: 144
    .language:       OpenCL C
    .language_version:
      - 2
      - 0
    .max_flat_workgroup_size: 256
    .name:           _ZN7rocprim17ROCPRIM_400000_NS6detail17trampoline_kernelINS0_14default_configENS1_29reduce_by_key_config_selectorIilN6thrust23THRUST_200600_302600_NS4plusIlEEEEZZNS1_33reduce_by_key_impl_wrapped_configILNS1_25lookback_scan_determinismE0ES3_S9_PiNS6_17constant_iteratorIiNS6_11use_defaultESE_EENS6_10device_ptrIiEENSG_IlEEPmS8_NS6_8equal_toIiEEEE10hipError_tPvRmT2_T3_mT4_T5_T6_T7_T8_P12ihipStream_tbENKUlT_T0_E_clISt17integral_constantIbLb0EES12_IbLb1EEEEDaSY_SZ_EUlSY_E_NS1_11comp_targetILNS1_3genE5ELNS1_11target_archE942ELNS1_3gpuE9ELNS1_3repE0EEENS1_30default_config_static_selectorELNS0_4arch9wavefront6targetE1EEEvT1_
    .private_segment_fixed_size: 0
    .sgpr_count:     4
    .sgpr_spill_count: 0
    .symbol:         _ZN7rocprim17ROCPRIM_400000_NS6detail17trampoline_kernelINS0_14default_configENS1_29reduce_by_key_config_selectorIilN6thrust23THRUST_200600_302600_NS4plusIlEEEEZZNS1_33reduce_by_key_impl_wrapped_configILNS1_25lookback_scan_determinismE0ES3_S9_PiNS6_17constant_iteratorIiNS6_11use_defaultESE_EENS6_10device_ptrIiEENSG_IlEEPmS8_NS6_8equal_toIiEEEE10hipError_tPvRmT2_T3_mT4_T5_T6_T7_T8_P12ihipStream_tbENKUlT_T0_E_clISt17integral_constantIbLb0EES12_IbLb1EEEEDaSY_SZ_EUlSY_E_NS1_11comp_targetILNS1_3genE5ELNS1_11target_archE942ELNS1_3gpuE9ELNS1_3repE0EEENS1_30default_config_static_selectorELNS0_4arch9wavefront6targetE1EEEvT1_.kd
    .uniform_work_group_size: 1
    .uses_dynamic_stack: false
    .vgpr_count:     0
    .vgpr_spill_count: 0
    .wavefront_size: 64
  - .agpr_count:     0
    .args:
      - .offset:         0
        .size:           144
        .value_kind:     by_value
    .group_segment_fixed_size: 30720
    .kernarg_segment_align: 8
    .kernarg_segment_size: 144
    .language:       OpenCL C
    .language_version:
      - 2
      - 0
    .max_flat_workgroup_size: 256
    .name:           _ZN7rocprim17ROCPRIM_400000_NS6detail17trampoline_kernelINS0_14default_configENS1_29reduce_by_key_config_selectorIilN6thrust23THRUST_200600_302600_NS4plusIlEEEEZZNS1_33reduce_by_key_impl_wrapped_configILNS1_25lookback_scan_determinismE0ES3_S9_PiNS6_17constant_iteratorIiNS6_11use_defaultESE_EENS6_10device_ptrIiEENSG_IlEEPmS8_NS6_8equal_toIiEEEE10hipError_tPvRmT2_T3_mT4_T5_T6_T7_T8_P12ihipStream_tbENKUlT_T0_E_clISt17integral_constantIbLb0EES12_IbLb1EEEEDaSY_SZ_EUlSY_E_NS1_11comp_targetILNS1_3genE4ELNS1_11target_archE910ELNS1_3gpuE8ELNS1_3repE0EEENS1_30default_config_static_selectorELNS0_4arch9wavefront6targetE1EEEvT1_
    .private_segment_fixed_size: 0
    .sgpr_count:     68
    .sgpr_spill_count: 0
    .symbol:         _ZN7rocprim17ROCPRIM_400000_NS6detail17trampoline_kernelINS0_14default_configENS1_29reduce_by_key_config_selectorIilN6thrust23THRUST_200600_302600_NS4plusIlEEEEZZNS1_33reduce_by_key_impl_wrapped_configILNS1_25lookback_scan_determinismE0ES3_S9_PiNS6_17constant_iteratorIiNS6_11use_defaultESE_EENS6_10device_ptrIiEENSG_IlEEPmS8_NS6_8equal_toIiEEEE10hipError_tPvRmT2_T3_mT4_T5_T6_T7_T8_P12ihipStream_tbENKUlT_T0_E_clISt17integral_constantIbLb0EES12_IbLb1EEEEDaSY_SZ_EUlSY_E_NS1_11comp_targetILNS1_3genE4ELNS1_11target_archE910ELNS1_3gpuE8ELNS1_3repE0EEENS1_30default_config_static_selectorELNS0_4arch9wavefront6targetE1EEEvT1_.kd
    .uniform_work_group_size: 1
    .uses_dynamic_stack: false
    .vgpr_count:     122
    .vgpr_spill_count: 0
    .wavefront_size: 64
  - .agpr_count:     0
    .args:
      - .offset:         0
        .size:           144
        .value_kind:     by_value
    .group_segment_fixed_size: 0
    .kernarg_segment_align: 8
    .kernarg_segment_size: 144
    .language:       OpenCL C
    .language_version:
      - 2
      - 0
    .max_flat_workgroup_size: 256
    .name:           _ZN7rocprim17ROCPRIM_400000_NS6detail17trampoline_kernelINS0_14default_configENS1_29reduce_by_key_config_selectorIilN6thrust23THRUST_200600_302600_NS4plusIlEEEEZZNS1_33reduce_by_key_impl_wrapped_configILNS1_25lookback_scan_determinismE0ES3_S9_PiNS6_17constant_iteratorIiNS6_11use_defaultESE_EENS6_10device_ptrIiEENSG_IlEEPmS8_NS6_8equal_toIiEEEE10hipError_tPvRmT2_T3_mT4_T5_T6_T7_T8_P12ihipStream_tbENKUlT_T0_E_clISt17integral_constantIbLb0EES12_IbLb1EEEEDaSY_SZ_EUlSY_E_NS1_11comp_targetILNS1_3genE3ELNS1_11target_archE908ELNS1_3gpuE7ELNS1_3repE0EEENS1_30default_config_static_selectorELNS0_4arch9wavefront6targetE1EEEvT1_
    .private_segment_fixed_size: 0
    .sgpr_count:     4
    .sgpr_spill_count: 0
    .symbol:         _ZN7rocprim17ROCPRIM_400000_NS6detail17trampoline_kernelINS0_14default_configENS1_29reduce_by_key_config_selectorIilN6thrust23THRUST_200600_302600_NS4plusIlEEEEZZNS1_33reduce_by_key_impl_wrapped_configILNS1_25lookback_scan_determinismE0ES3_S9_PiNS6_17constant_iteratorIiNS6_11use_defaultESE_EENS6_10device_ptrIiEENSG_IlEEPmS8_NS6_8equal_toIiEEEE10hipError_tPvRmT2_T3_mT4_T5_T6_T7_T8_P12ihipStream_tbENKUlT_T0_E_clISt17integral_constantIbLb0EES12_IbLb1EEEEDaSY_SZ_EUlSY_E_NS1_11comp_targetILNS1_3genE3ELNS1_11target_archE908ELNS1_3gpuE7ELNS1_3repE0EEENS1_30default_config_static_selectorELNS0_4arch9wavefront6targetE1EEEvT1_.kd
    .uniform_work_group_size: 1
    .uses_dynamic_stack: false
    .vgpr_count:     0
    .vgpr_spill_count: 0
    .wavefront_size: 64
  - .agpr_count:     0
    .args:
      - .offset:         0
        .size:           144
        .value_kind:     by_value
    .group_segment_fixed_size: 0
    .kernarg_segment_align: 8
    .kernarg_segment_size: 144
    .language:       OpenCL C
    .language_version:
      - 2
      - 0
    .max_flat_workgroup_size: 256
    .name:           _ZN7rocprim17ROCPRIM_400000_NS6detail17trampoline_kernelINS0_14default_configENS1_29reduce_by_key_config_selectorIilN6thrust23THRUST_200600_302600_NS4plusIlEEEEZZNS1_33reduce_by_key_impl_wrapped_configILNS1_25lookback_scan_determinismE0ES3_S9_PiNS6_17constant_iteratorIiNS6_11use_defaultESE_EENS6_10device_ptrIiEENSG_IlEEPmS8_NS6_8equal_toIiEEEE10hipError_tPvRmT2_T3_mT4_T5_T6_T7_T8_P12ihipStream_tbENKUlT_T0_E_clISt17integral_constantIbLb0EES12_IbLb1EEEEDaSY_SZ_EUlSY_E_NS1_11comp_targetILNS1_3genE2ELNS1_11target_archE906ELNS1_3gpuE6ELNS1_3repE0EEENS1_30default_config_static_selectorELNS0_4arch9wavefront6targetE1EEEvT1_
    .private_segment_fixed_size: 0
    .sgpr_count:     4
    .sgpr_spill_count: 0
    .symbol:         _ZN7rocprim17ROCPRIM_400000_NS6detail17trampoline_kernelINS0_14default_configENS1_29reduce_by_key_config_selectorIilN6thrust23THRUST_200600_302600_NS4plusIlEEEEZZNS1_33reduce_by_key_impl_wrapped_configILNS1_25lookback_scan_determinismE0ES3_S9_PiNS6_17constant_iteratorIiNS6_11use_defaultESE_EENS6_10device_ptrIiEENSG_IlEEPmS8_NS6_8equal_toIiEEEE10hipError_tPvRmT2_T3_mT4_T5_T6_T7_T8_P12ihipStream_tbENKUlT_T0_E_clISt17integral_constantIbLb0EES12_IbLb1EEEEDaSY_SZ_EUlSY_E_NS1_11comp_targetILNS1_3genE2ELNS1_11target_archE906ELNS1_3gpuE6ELNS1_3repE0EEENS1_30default_config_static_selectorELNS0_4arch9wavefront6targetE1EEEvT1_.kd
    .uniform_work_group_size: 1
    .uses_dynamic_stack: false
    .vgpr_count:     0
    .vgpr_spill_count: 0
    .wavefront_size: 64
  - .agpr_count:     0
    .args:
      - .offset:         0
        .size:           144
        .value_kind:     by_value
    .group_segment_fixed_size: 0
    .kernarg_segment_align: 8
    .kernarg_segment_size: 144
    .language:       OpenCL C
    .language_version:
      - 2
      - 0
    .max_flat_workgroup_size: 256
    .name:           _ZN7rocprim17ROCPRIM_400000_NS6detail17trampoline_kernelINS0_14default_configENS1_29reduce_by_key_config_selectorIilN6thrust23THRUST_200600_302600_NS4plusIlEEEEZZNS1_33reduce_by_key_impl_wrapped_configILNS1_25lookback_scan_determinismE0ES3_S9_PiNS6_17constant_iteratorIiNS6_11use_defaultESE_EENS6_10device_ptrIiEENSG_IlEEPmS8_NS6_8equal_toIiEEEE10hipError_tPvRmT2_T3_mT4_T5_T6_T7_T8_P12ihipStream_tbENKUlT_T0_E_clISt17integral_constantIbLb0EES12_IbLb1EEEEDaSY_SZ_EUlSY_E_NS1_11comp_targetILNS1_3genE10ELNS1_11target_archE1201ELNS1_3gpuE5ELNS1_3repE0EEENS1_30default_config_static_selectorELNS0_4arch9wavefront6targetE1EEEvT1_
    .private_segment_fixed_size: 0
    .sgpr_count:     4
    .sgpr_spill_count: 0
    .symbol:         _ZN7rocprim17ROCPRIM_400000_NS6detail17trampoline_kernelINS0_14default_configENS1_29reduce_by_key_config_selectorIilN6thrust23THRUST_200600_302600_NS4plusIlEEEEZZNS1_33reduce_by_key_impl_wrapped_configILNS1_25lookback_scan_determinismE0ES3_S9_PiNS6_17constant_iteratorIiNS6_11use_defaultESE_EENS6_10device_ptrIiEENSG_IlEEPmS8_NS6_8equal_toIiEEEE10hipError_tPvRmT2_T3_mT4_T5_T6_T7_T8_P12ihipStream_tbENKUlT_T0_E_clISt17integral_constantIbLb0EES12_IbLb1EEEEDaSY_SZ_EUlSY_E_NS1_11comp_targetILNS1_3genE10ELNS1_11target_archE1201ELNS1_3gpuE5ELNS1_3repE0EEENS1_30default_config_static_selectorELNS0_4arch9wavefront6targetE1EEEvT1_.kd
    .uniform_work_group_size: 1
    .uses_dynamic_stack: false
    .vgpr_count:     0
    .vgpr_spill_count: 0
    .wavefront_size: 64
  - .agpr_count:     0
    .args:
      - .offset:         0
        .size:           144
        .value_kind:     by_value
    .group_segment_fixed_size: 0
    .kernarg_segment_align: 8
    .kernarg_segment_size: 144
    .language:       OpenCL C
    .language_version:
      - 2
      - 0
    .max_flat_workgroup_size: 256
    .name:           _ZN7rocprim17ROCPRIM_400000_NS6detail17trampoline_kernelINS0_14default_configENS1_29reduce_by_key_config_selectorIilN6thrust23THRUST_200600_302600_NS4plusIlEEEEZZNS1_33reduce_by_key_impl_wrapped_configILNS1_25lookback_scan_determinismE0ES3_S9_PiNS6_17constant_iteratorIiNS6_11use_defaultESE_EENS6_10device_ptrIiEENSG_IlEEPmS8_NS6_8equal_toIiEEEE10hipError_tPvRmT2_T3_mT4_T5_T6_T7_T8_P12ihipStream_tbENKUlT_T0_E_clISt17integral_constantIbLb0EES12_IbLb1EEEEDaSY_SZ_EUlSY_E_NS1_11comp_targetILNS1_3genE10ELNS1_11target_archE1200ELNS1_3gpuE4ELNS1_3repE0EEENS1_30default_config_static_selectorELNS0_4arch9wavefront6targetE1EEEvT1_
    .private_segment_fixed_size: 0
    .sgpr_count:     4
    .sgpr_spill_count: 0
    .symbol:         _ZN7rocprim17ROCPRIM_400000_NS6detail17trampoline_kernelINS0_14default_configENS1_29reduce_by_key_config_selectorIilN6thrust23THRUST_200600_302600_NS4plusIlEEEEZZNS1_33reduce_by_key_impl_wrapped_configILNS1_25lookback_scan_determinismE0ES3_S9_PiNS6_17constant_iteratorIiNS6_11use_defaultESE_EENS6_10device_ptrIiEENSG_IlEEPmS8_NS6_8equal_toIiEEEE10hipError_tPvRmT2_T3_mT4_T5_T6_T7_T8_P12ihipStream_tbENKUlT_T0_E_clISt17integral_constantIbLb0EES12_IbLb1EEEEDaSY_SZ_EUlSY_E_NS1_11comp_targetILNS1_3genE10ELNS1_11target_archE1200ELNS1_3gpuE4ELNS1_3repE0EEENS1_30default_config_static_selectorELNS0_4arch9wavefront6targetE1EEEvT1_.kd
    .uniform_work_group_size: 1
    .uses_dynamic_stack: false
    .vgpr_count:     0
    .vgpr_spill_count: 0
    .wavefront_size: 64
  - .agpr_count:     0
    .args:
      - .offset:         0
        .size:           144
        .value_kind:     by_value
    .group_segment_fixed_size: 0
    .kernarg_segment_align: 8
    .kernarg_segment_size: 144
    .language:       OpenCL C
    .language_version:
      - 2
      - 0
    .max_flat_workgroup_size: 256
    .name:           _ZN7rocprim17ROCPRIM_400000_NS6detail17trampoline_kernelINS0_14default_configENS1_29reduce_by_key_config_selectorIilN6thrust23THRUST_200600_302600_NS4plusIlEEEEZZNS1_33reduce_by_key_impl_wrapped_configILNS1_25lookback_scan_determinismE0ES3_S9_PiNS6_17constant_iteratorIiNS6_11use_defaultESE_EENS6_10device_ptrIiEENSG_IlEEPmS8_NS6_8equal_toIiEEEE10hipError_tPvRmT2_T3_mT4_T5_T6_T7_T8_P12ihipStream_tbENKUlT_T0_E_clISt17integral_constantIbLb0EES12_IbLb1EEEEDaSY_SZ_EUlSY_E_NS1_11comp_targetILNS1_3genE9ELNS1_11target_archE1100ELNS1_3gpuE3ELNS1_3repE0EEENS1_30default_config_static_selectorELNS0_4arch9wavefront6targetE1EEEvT1_
    .private_segment_fixed_size: 0
    .sgpr_count:     4
    .sgpr_spill_count: 0
    .symbol:         _ZN7rocprim17ROCPRIM_400000_NS6detail17trampoline_kernelINS0_14default_configENS1_29reduce_by_key_config_selectorIilN6thrust23THRUST_200600_302600_NS4plusIlEEEEZZNS1_33reduce_by_key_impl_wrapped_configILNS1_25lookback_scan_determinismE0ES3_S9_PiNS6_17constant_iteratorIiNS6_11use_defaultESE_EENS6_10device_ptrIiEENSG_IlEEPmS8_NS6_8equal_toIiEEEE10hipError_tPvRmT2_T3_mT4_T5_T6_T7_T8_P12ihipStream_tbENKUlT_T0_E_clISt17integral_constantIbLb0EES12_IbLb1EEEEDaSY_SZ_EUlSY_E_NS1_11comp_targetILNS1_3genE9ELNS1_11target_archE1100ELNS1_3gpuE3ELNS1_3repE0EEENS1_30default_config_static_selectorELNS0_4arch9wavefront6targetE1EEEvT1_.kd
    .uniform_work_group_size: 1
    .uses_dynamic_stack: false
    .vgpr_count:     0
    .vgpr_spill_count: 0
    .wavefront_size: 64
  - .agpr_count:     0
    .args:
      - .offset:         0
        .size:           144
        .value_kind:     by_value
    .group_segment_fixed_size: 0
    .kernarg_segment_align: 8
    .kernarg_segment_size: 144
    .language:       OpenCL C
    .language_version:
      - 2
      - 0
    .max_flat_workgroup_size: 256
    .name:           _ZN7rocprim17ROCPRIM_400000_NS6detail17trampoline_kernelINS0_14default_configENS1_29reduce_by_key_config_selectorIilN6thrust23THRUST_200600_302600_NS4plusIlEEEEZZNS1_33reduce_by_key_impl_wrapped_configILNS1_25lookback_scan_determinismE0ES3_S9_PiNS6_17constant_iteratorIiNS6_11use_defaultESE_EENS6_10device_ptrIiEENSG_IlEEPmS8_NS6_8equal_toIiEEEE10hipError_tPvRmT2_T3_mT4_T5_T6_T7_T8_P12ihipStream_tbENKUlT_T0_E_clISt17integral_constantIbLb0EES12_IbLb1EEEEDaSY_SZ_EUlSY_E_NS1_11comp_targetILNS1_3genE8ELNS1_11target_archE1030ELNS1_3gpuE2ELNS1_3repE0EEENS1_30default_config_static_selectorELNS0_4arch9wavefront6targetE1EEEvT1_
    .private_segment_fixed_size: 0
    .sgpr_count:     4
    .sgpr_spill_count: 0
    .symbol:         _ZN7rocprim17ROCPRIM_400000_NS6detail17trampoline_kernelINS0_14default_configENS1_29reduce_by_key_config_selectorIilN6thrust23THRUST_200600_302600_NS4plusIlEEEEZZNS1_33reduce_by_key_impl_wrapped_configILNS1_25lookback_scan_determinismE0ES3_S9_PiNS6_17constant_iteratorIiNS6_11use_defaultESE_EENS6_10device_ptrIiEENSG_IlEEPmS8_NS6_8equal_toIiEEEE10hipError_tPvRmT2_T3_mT4_T5_T6_T7_T8_P12ihipStream_tbENKUlT_T0_E_clISt17integral_constantIbLb0EES12_IbLb1EEEEDaSY_SZ_EUlSY_E_NS1_11comp_targetILNS1_3genE8ELNS1_11target_archE1030ELNS1_3gpuE2ELNS1_3repE0EEENS1_30default_config_static_selectorELNS0_4arch9wavefront6targetE1EEEvT1_.kd
    .uniform_work_group_size: 1
    .uses_dynamic_stack: false
    .vgpr_count:     0
    .vgpr_spill_count: 0
    .wavefront_size: 64
  - .agpr_count:     0
    .args:
      - .offset:         0
        .size:           88
        .value_kind:     by_value
    .group_segment_fixed_size: 0
    .kernarg_segment_align: 8
    .kernarg_segment_size: 88
    .language:       OpenCL C
    .language_version:
      - 2
      - 0
    .max_flat_workgroup_size: 128
    .name:           _ZN7rocprim17ROCPRIM_400000_NS6detail17trampoline_kernelINS0_14default_configENS1_22reduce_config_selectorIN6thrust23THRUST_200600_302600_NS5tupleIblNS6_9null_typeES8_S8_S8_S8_S8_S8_S8_EEEEZNS1_11reduce_implILb1ES3_NS6_12zip_iteratorINS7_INS6_11hip_rocprim26transform_input_iterator_tIbPiNS6_6detail10functional5actorINSH_9compositeIJNSH_27transparent_binary_operatorINS6_8equal_toIvEEEENSI_INSH_8argumentILj0EEEEENSH_5valueIiEEEEEEEEENSD_19counting_iterator_tIlEES8_S8_S8_S8_S8_S8_S8_S8_EEEEPS9_S9_NSD_9__find_if7functorIS9_EEEE10hipError_tPvRmT1_T2_T3_mT4_P12ihipStream_tbEUlT_E0_NS1_11comp_targetILNS1_3genE0ELNS1_11target_archE4294967295ELNS1_3gpuE0ELNS1_3repE0EEENS1_30default_config_static_selectorELNS0_4arch9wavefront6targetE1EEEvS17_
    .private_segment_fixed_size: 0
    .sgpr_count:     4
    .sgpr_spill_count: 0
    .symbol:         _ZN7rocprim17ROCPRIM_400000_NS6detail17trampoline_kernelINS0_14default_configENS1_22reduce_config_selectorIN6thrust23THRUST_200600_302600_NS5tupleIblNS6_9null_typeES8_S8_S8_S8_S8_S8_S8_EEEEZNS1_11reduce_implILb1ES3_NS6_12zip_iteratorINS7_INS6_11hip_rocprim26transform_input_iterator_tIbPiNS6_6detail10functional5actorINSH_9compositeIJNSH_27transparent_binary_operatorINS6_8equal_toIvEEEENSI_INSH_8argumentILj0EEEEENSH_5valueIiEEEEEEEEENSD_19counting_iterator_tIlEES8_S8_S8_S8_S8_S8_S8_S8_EEEEPS9_S9_NSD_9__find_if7functorIS9_EEEE10hipError_tPvRmT1_T2_T3_mT4_P12ihipStream_tbEUlT_E0_NS1_11comp_targetILNS1_3genE0ELNS1_11target_archE4294967295ELNS1_3gpuE0ELNS1_3repE0EEENS1_30default_config_static_selectorELNS0_4arch9wavefront6targetE1EEEvS17_.kd
    .uniform_work_group_size: 1
    .uses_dynamic_stack: false
    .vgpr_count:     0
    .vgpr_spill_count: 0
    .wavefront_size: 64
  - .agpr_count:     0
    .args:
      - .offset:         0
        .size:           88
        .value_kind:     by_value
    .group_segment_fixed_size: 0
    .kernarg_segment_align: 8
    .kernarg_segment_size: 88
    .language:       OpenCL C
    .language_version:
      - 2
      - 0
    .max_flat_workgroup_size: 256
    .name:           _ZN7rocprim17ROCPRIM_400000_NS6detail17trampoline_kernelINS0_14default_configENS1_22reduce_config_selectorIN6thrust23THRUST_200600_302600_NS5tupleIblNS6_9null_typeES8_S8_S8_S8_S8_S8_S8_EEEEZNS1_11reduce_implILb1ES3_NS6_12zip_iteratorINS7_INS6_11hip_rocprim26transform_input_iterator_tIbPiNS6_6detail10functional5actorINSH_9compositeIJNSH_27transparent_binary_operatorINS6_8equal_toIvEEEENSI_INSH_8argumentILj0EEEEENSH_5valueIiEEEEEEEEENSD_19counting_iterator_tIlEES8_S8_S8_S8_S8_S8_S8_S8_EEEEPS9_S9_NSD_9__find_if7functorIS9_EEEE10hipError_tPvRmT1_T2_T3_mT4_P12ihipStream_tbEUlT_E0_NS1_11comp_targetILNS1_3genE5ELNS1_11target_archE942ELNS1_3gpuE9ELNS1_3repE0EEENS1_30default_config_static_selectorELNS0_4arch9wavefront6targetE1EEEvS17_
    .private_segment_fixed_size: 0
    .sgpr_count:     4
    .sgpr_spill_count: 0
    .symbol:         _ZN7rocprim17ROCPRIM_400000_NS6detail17trampoline_kernelINS0_14default_configENS1_22reduce_config_selectorIN6thrust23THRUST_200600_302600_NS5tupleIblNS6_9null_typeES8_S8_S8_S8_S8_S8_S8_EEEEZNS1_11reduce_implILb1ES3_NS6_12zip_iteratorINS7_INS6_11hip_rocprim26transform_input_iterator_tIbPiNS6_6detail10functional5actorINSH_9compositeIJNSH_27transparent_binary_operatorINS6_8equal_toIvEEEENSI_INSH_8argumentILj0EEEEENSH_5valueIiEEEEEEEEENSD_19counting_iterator_tIlEES8_S8_S8_S8_S8_S8_S8_S8_EEEEPS9_S9_NSD_9__find_if7functorIS9_EEEE10hipError_tPvRmT1_T2_T3_mT4_P12ihipStream_tbEUlT_E0_NS1_11comp_targetILNS1_3genE5ELNS1_11target_archE942ELNS1_3gpuE9ELNS1_3repE0EEENS1_30default_config_static_selectorELNS0_4arch9wavefront6targetE1EEEvS17_.kd
    .uniform_work_group_size: 1
    .uses_dynamic_stack: false
    .vgpr_count:     0
    .vgpr_spill_count: 0
    .wavefront_size: 64
  - .agpr_count:     0
    .args:
      - .offset:         0
        .size:           88
        .value_kind:     by_value
    .group_segment_fixed_size: 128
    .kernarg_segment_align: 8
    .kernarg_segment_size: 88
    .language:       OpenCL C
    .language_version:
      - 2
      - 0
    .max_flat_workgroup_size: 256
    .name:           _ZN7rocprim17ROCPRIM_400000_NS6detail17trampoline_kernelINS0_14default_configENS1_22reduce_config_selectorIN6thrust23THRUST_200600_302600_NS5tupleIblNS6_9null_typeES8_S8_S8_S8_S8_S8_S8_EEEEZNS1_11reduce_implILb1ES3_NS6_12zip_iteratorINS7_INS6_11hip_rocprim26transform_input_iterator_tIbPiNS6_6detail10functional5actorINSH_9compositeIJNSH_27transparent_binary_operatorINS6_8equal_toIvEEEENSI_INSH_8argumentILj0EEEEENSH_5valueIiEEEEEEEEENSD_19counting_iterator_tIlEES8_S8_S8_S8_S8_S8_S8_S8_EEEEPS9_S9_NSD_9__find_if7functorIS9_EEEE10hipError_tPvRmT1_T2_T3_mT4_P12ihipStream_tbEUlT_E0_NS1_11comp_targetILNS1_3genE4ELNS1_11target_archE910ELNS1_3gpuE8ELNS1_3repE0EEENS1_30default_config_static_selectorELNS0_4arch9wavefront6targetE1EEEvS17_
    .private_segment_fixed_size: 0
    .sgpr_count:     29
    .sgpr_spill_count: 0
    .symbol:         _ZN7rocprim17ROCPRIM_400000_NS6detail17trampoline_kernelINS0_14default_configENS1_22reduce_config_selectorIN6thrust23THRUST_200600_302600_NS5tupleIblNS6_9null_typeES8_S8_S8_S8_S8_S8_S8_EEEEZNS1_11reduce_implILb1ES3_NS6_12zip_iteratorINS7_INS6_11hip_rocprim26transform_input_iterator_tIbPiNS6_6detail10functional5actorINSH_9compositeIJNSH_27transparent_binary_operatorINS6_8equal_toIvEEEENSI_INSH_8argumentILj0EEEEENSH_5valueIiEEEEEEEEENSD_19counting_iterator_tIlEES8_S8_S8_S8_S8_S8_S8_S8_EEEEPS9_S9_NSD_9__find_if7functorIS9_EEEE10hipError_tPvRmT1_T2_T3_mT4_P12ihipStream_tbEUlT_E0_NS1_11comp_targetILNS1_3genE4ELNS1_11target_archE910ELNS1_3gpuE8ELNS1_3repE0EEENS1_30default_config_static_selectorELNS0_4arch9wavefront6targetE1EEEvS17_.kd
    .uniform_work_group_size: 1
    .uses_dynamic_stack: false
    .vgpr_count:     12
    .vgpr_spill_count: 0
    .wavefront_size: 64
  - .agpr_count:     0
    .args:
      - .offset:         0
        .size:           88
        .value_kind:     by_value
    .group_segment_fixed_size: 0
    .kernarg_segment_align: 8
    .kernarg_segment_size: 88
    .language:       OpenCL C
    .language_version:
      - 2
      - 0
    .max_flat_workgroup_size: 128
    .name:           _ZN7rocprim17ROCPRIM_400000_NS6detail17trampoline_kernelINS0_14default_configENS1_22reduce_config_selectorIN6thrust23THRUST_200600_302600_NS5tupleIblNS6_9null_typeES8_S8_S8_S8_S8_S8_S8_EEEEZNS1_11reduce_implILb1ES3_NS6_12zip_iteratorINS7_INS6_11hip_rocprim26transform_input_iterator_tIbPiNS6_6detail10functional5actorINSH_9compositeIJNSH_27transparent_binary_operatorINS6_8equal_toIvEEEENSI_INSH_8argumentILj0EEEEENSH_5valueIiEEEEEEEEENSD_19counting_iterator_tIlEES8_S8_S8_S8_S8_S8_S8_S8_EEEEPS9_S9_NSD_9__find_if7functorIS9_EEEE10hipError_tPvRmT1_T2_T3_mT4_P12ihipStream_tbEUlT_E0_NS1_11comp_targetILNS1_3genE3ELNS1_11target_archE908ELNS1_3gpuE7ELNS1_3repE0EEENS1_30default_config_static_selectorELNS0_4arch9wavefront6targetE1EEEvS17_
    .private_segment_fixed_size: 0
    .sgpr_count:     4
    .sgpr_spill_count: 0
    .symbol:         _ZN7rocprim17ROCPRIM_400000_NS6detail17trampoline_kernelINS0_14default_configENS1_22reduce_config_selectorIN6thrust23THRUST_200600_302600_NS5tupleIblNS6_9null_typeES8_S8_S8_S8_S8_S8_S8_EEEEZNS1_11reduce_implILb1ES3_NS6_12zip_iteratorINS7_INS6_11hip_rocprim26transform_input_iterator_tIbPiNS6_6detail10functional5actorINSH_9compositeIJNSH_27transparent_binary_operatorINS6_8equal_toIvEEEENSI_INSH_8argumentILj0EEEEENSH_5valueIiEEEEEEEEENSD_19counting_iterator_tIlEES8_S8_S8_S8_S8_S8_S8_S8_EEEEPS9_S9_NSD_9__find_if7functorIS9_EEEE10hipError_tPvRmT1_T2_T3_mT4_P12ihipStream_tbEUlT_E0_NS1_11comp_targetILNS1_3genE3ELNS1_11target_archE908ELNS1_3gpuE7ELNS1_3repE0EEENS1_30default_config_static_selectorELNS0_4arch9wavefront6targetE1EEEvS17_.kd
    .uniform_work_group_size: 1
    .uses_dynamic_stack: false
    .vgpr_count:     0
    .vgpr_spill_count: 0
    .wavefront_size: 64
  - .agpr_count:     0
    .args:
      - .offset:         0
        .size:           88
        .value_kind:     by_value
    .group_segment_fixed_size: 0
    .kernarg_segment_align: 8
    .kernarg_segment_size: 88
    .language:       OpenCL C
    .language_version:
      - 2
      - 0
    .max_flat_workgroup_size: 128
    .name:           _ZN7rocprim17ROCPRIM_400000_NS6detail17trampoline_kernelINS0_14default_configENS1_22reduce_config_selectorIN6thrust23THRUST_200600_302600_NS5tupleIblNS6_9null_typeES8_S8_S8_S8_S8_S8_S8_EEEEZNS1_11reduce_implILb1ES3_NS6_12zip_iteratorINS7_INS6_11hip_rocprim26transform_input_iterator_tIbPiNS6_6detail10functional5actorINSH_9compositeIJNSH_27transparent_binary_operatorINS6_8equal_toIvEEEENSI_INSH_8argumentILj0EEEEENSH_5valueIiEEEEEEEEENSD_19counting_iterator_tIlEES8_S8_S8_S8_S8_S8_S8_S8_EEEEPS9_S9_NSD_9__find_if7functorIS9_EEEE10hipError_tPvRmT1_T2_T3_mT4_P12ihipStream_tbEUlT_E0_NS1_11comp_targetILNS1_3genE2ELNS1_11target_archE906ELNS1_3gpuE6ELNS1_3repE0EEENS1_30default_config_static_selectorELNS0_4arch9wavefront6targetE1EEEvS17_
    .private_segment_fixed_size: 0
    .sgpr_count:     4
    .sgpr_spill_count: 0
    .symbol:         _ZN7rocprim17ROCPRIM_400000_NS6detail17trampoline_kernelINS0_14default_configENS1_22reduce_config_selectorIN6thrust23THRUST_200600_302600_NS5tupleIblNS6_9null_typeES8_S8_S8_S8_S8_S8_S8_EEEEZNS1_11reduce_implILb1ES3_NS6_12zip_iteratorINS7_INS6_11hip_rocprim26transform_input_iterator_tIbPiNS6_6detail10functional5actorINSH_9compositeIJNSH_27transparent_binary_operatorINS6_8equal_toIvEEEENSI_INSH_8argumentILj0EEEEENSH_5valueIiEEEEEEEEENSD_19counting_iterator_tIlEES8_S8_S8_S8_S8_S8_S8_S8_EEEEPS9_S9_NSD_9__find_if7functorIS9_EEEE10hipError_tPvRmT1_T2_T3_mT4_P12ihipStream_tbEUlT_E0_NS1_11comp_targetILNS1_3genE2ELNS1_11target_archE906ELNS1_3gpuE6ELNS1_3repE0EEENS1_30default_config_static_selectorELNS0_4arch9wavefront6targetE1EEEvS17_.kd
    .uniform_work_group_size: 1
    .uses_dynamic_stack: false
    .vgpr_count:     0
    .vgpr_spill_count: 0
    .wavefront_size: 64
  - .agpr_count:     0
    .args:
      - .offset:         0
        .size:           88
        .value_kind:     by_value
    .group_segment_fixed_size: 0
    .kernarg_segment_align: 8
    .kernarg_segment_size: 88
    .language:       OpenCL C
    .language_version:
      - 2
      - 0
    .max_flat_workgroup_size: 256
    .name:           _ZN7rocprim17ROCPRIM_400000_NS6detail17trampoline_kernelINS0_14default_configENS1_22reduce_config_selectorIN6thrust23THRUST_200600_302600_NS5tupleIblNS6_9null_typeES8_S8_S8_S8_S8_S8_S8_EEEEZNS1_11reduce_implILb1ES3_NS6_12zip_iteratorINS7_INS6_11hip_rocprim26transform_input_iterator_tIbPiNS6_6detail10functional5actorINSH_9compositeIJNSH_27transparent_binary_operatorINS6_8equal_toIvEEEENSI_INSH_8argumentILj0EEEEENSH_5valueIiEEEEEEEEENSD_19counting_iterator_tIlEES8_S8_S8_S8_S8_S8_S8_S8_EEEEPS9_S9_NSD_9__find_if7functorIS9_EEEE10hipError_tPvRmT1_T2_T3_mT4_P12ihipStream_tbEUlT_E0_NS1_11comp_targetILNS1_3genE10ELNS1_11target_archE1201ELNS1_3gpuE5ELNS1_3repE0EEENS1_30default_config_static_selectorELNS0_4arch9wavefront6targetE1EEEvS17_
    .private_segment_fixed_size: 0
    .sgpr_count:     4
    .sgpr_spill_count: 0
    .symbol:         _ZN7rocprim17ROCPRIM_400000_NS6detail17trampoline_kernelINS0_14default_configENS1_22reduce_config_selectorIN6thrust23THRUST_200600_302600_NS5tupleIblNS6_9null_typeES8_S8_S8_S8_S8_S8_S8_EEEEZNS1_11reduce_implILb1ES3_NS6_12zip_iteratorINS7_INS6_11hip_rocprim26transform_input_iterator_tIbPiNS6_6detail10functional5actorINSH_9compositeIJNSH_27transparent_binary_operatorINS6_8equal_toIvEEEENSI_INSH_8argumentILj0EEEEENSH_5valueIiEEEEEEEEENSD_19counting_iterator_tIlEES8_S8_S8_S8_S8_S8_S8_S8_EEEEPS9_S9_NSD_9__find_if7functorIS9_EEEE10hipError_tPvRmT1_T2_T3_mT4_P12ihipStream_tbEUlT_E0_NS1_11comp_targetILNS1_3genE10ELNS1_11target_archE1201ELNS1_3gpuE5ELNS1_3repE0EEENS1_30default_config_static_selectorELNS0_4arch9wavefront6targetE1EEEvS17_.kd
    .uniform_work_group_size: 1
    .uses_dynamic_stack: false
    .vgpr_count:     0
    .vgpr_spill_count: 0
    .wavefront_size: 64
  - .agpr_count:     0
    .args:
      - .offset:         0
        .size:           88
        .value_kind:     by_value
    .group_segment_fixed_size: 0
    .kernarg_segment_align: 8
    .kernarg_segment_size: 88
    .language:       OpenCL C
    .language_version:
      - 2
      - 0
    .max_flat_workgroup_size: 256
    .name:           _ZN7rocprim17ROCPRIM_400000_NS6detail17trampoline_kernelINS0_14default_configENS1_22reduce_config_selectorIN6thrust23THRUST_200600_302600_NS5tupleIblNS6_9null_typeES8_S8_S8_S8_S8_S8_S8_EEEEZNS1_11reduce_implILb1ES3_NS6_12zip_iteratorINS7_INS6_11hip_rocprim26transform_input_iterator_tIbPiNS6_6detail10functional5actorINSH_9compositeIJNSH_27transparent_binary_operatorINS6_8equal_toIvEEEENSI_INSH_8argumentILj0EEEEENSH_5valueIiEEEEEEEEENSD_19counting_iterator_tIlEES8_S8_S8_S8_S8_S8_S8_S8_EEEEPS9_S9_NSD_9__find_if7functorIS9_EEEE10hipError_tPvRmT1_T2_T3_mT4_P12ihipStream_tbEUlT_E0_NS1_11comp_targetILNS1_3genE10ELNS1_11target_archE1200ELNS1_3gpuE4ELNS1_3repE0EEENS1_30default_config_static_selectorELNS0_4arch9wavefront6targetE1EEEvS17_
    .private_segment_fixed_size: 0
    .sgpr_count:     4
    .sgpr_spill_count: 0
    .symbol:         _ZN7rocprim17ROCPRIM_400000_NS6detail17trampoline_kernelINS0_14default_configENS1_22reduce_config_selectorIN6thrust23THRUST_200600_302600_NS5tupleIblNS6_9null_typeES8_S8_S8_S8_S8_S8_S8_EEEEZNS1_11reduce_implILb1ES3_NS6_12zip_iteratorINS7_INS6_11hip_rocprim26transform_input_iterator_tIbPiNS6_6detail10functional5actorINSH_9compositeIJNSH_27transparent_binary_operatorINS6_8equal_toIvEEEENSI_INSH_8argumentILj0EEEEENSH_5valueIiEEEEEEEEENSD_19counting_iterator_tIlEES8_S8_S8_S8_S8_S8_S8_S8_EEEEPS9_S9_NSD_9__find_if7functorIS9_EEEE10hipError_tPvRmT1_T2_T3_mT4_P12ihipStream_tbEUlT_E0_NS1_11comp_targetILNS1_3genE10ELNS1_11target_archE1200ELNS1_3gpuE4ELNS1_3repE0EEENS1_30default_config_static_selectorELNS0_4arch9wavefront6targetE1EEEvS17_.kd
    .uniform_work_group_size: 1
    .uses_dynamic_stack: false
    .vgpr_count:     0
    .vgpr_spill_count: 0
    .wavefront_size: 64
  - .agpr_count:     0
    .args:
      - .offset:         0
        .size:           88
        .value_kind:     by_value
    .group_segment_fixed_size: 0
    .kernarg_segment_align: 8
    .kernarg_segment_size: 88
    .language:       OpenCL C
    .language_version:
      - 2
      - 0
    .max_flat_workgroup_size: 256
    .name:           _ZN7rocprim17ROCPRIM_400000_NS6detail17trampoline_kernelINS0_14default_configENS1_22reduce_config_selectorIN6thrust23THRUST_200600_302600_NS5tupleIblNS6_9null_typeES8_S8_S8_S8_S8_S8_S8_EEEEZNS1_11reduce_implILb1ES3_NS6_12zip_iteratorINS7_INS6_11hip_rocprim26transform_input_iterator_tIbPiNS6_6detail10functional5actorINSH_9compositeIJNSH_27transparent_binary_operatorINS6_8equal_toIvEEEENSI_INSH_8argumentILj0EEEEENSH_5valueIiEEEEEEEEENSD_19counting_iterator_tIlEES8_S8_S8_S8_S8_S8_S8_S8_EEEEPS9_S9_NSD_9__find_if7functorIS9_EEEE10hipError_tPvRmT1_T2_T3_mT4_P12ihipStream_tbEUlT_E0_NS1_11comp_targetILNS1_3genE9ELNS1_11target_archE1100ELNS1_3gpuE3ELNS1_3repE0EEENS1_30default_config_static_selectorELNS0_4arch9wavefront6targetE1EEEvS17_
    .private_segment_fixed_size: 0
    .sgpr_count:     4
    .sgpr_spill_count: 0
    .symbol:         _ZN7rocprim17ROCPRIM_400000_NS6detail17trampoline_kernelINS0_14default_configENS1_22reduce_config_selectorIN6thrust23THRUST_200600_302600_NS5tupleIblNS6_9null_typeES8_S8_S8_S8_S8_S8_S8_EEEEZNS1_11reduce_implILb1ES3_NS6_12zip_iteratorINS7_INS6_11hip_rocprim26transform_input_iterator_tIbPiNS6_6detail10functional5actorINSH_9compositeIJNSH_27transparent_binary_operatorINS6_8equal_toIvEEEENSI_INSH_8argumentILj0EEEEENSH_5valueIiEEEEEEEEENSD_19counting_iterator_tIlEES8_S8_S8_S8_S8_S8_S8_S8_EEEEPS9_S9_NSD_9__find_if7functorIS9_EEEE10hipError_tPvRmT1_T2_T3_mT4_P12ihipStream_tbEUlT_E0_NS1_11comp_targetILNS1_3genE9ELNS1_11target_archE1100ELNS1_3gpuE3ELNS1_3repE0EEENS1_30default_config_static_selectorELNS0_4arch9wavefront6targetE1EEEvS17_.kd
    .uniform_work_group_size: 1
    .uses_dynamic_stack: false
    .vgpr_count:     0
    .vgpr_spill_count: 0
    .wavefront_size: 64
  - .agpr_count:     0
    .args:
      - .offset:         0
        .size:           88
        .value_kind:     by_value
    .group_segment_fixed_size: 0
    .kernarg_segment_align: 8
    .kernarg_segment_size: 88
    .language:       OpenCL C
    .language_version:
      - 2
      - 0
    .max_flat_workgroup_size: 256
    .name:           _ZN7rocprim17ROCPRIM_400000_NS6detail17trampoline_kernelINS0_14default_configENS1_22reduce_config_selectorIN6thrust23THRUST_200600_302600_NS5tupleIblNS6_9null_typeES8_S8_S8_S8_S8_S8_S8_EEEEZNS1_11reduce_implILb1ES3_NS6_12zip_iteratorINS7_INS6_11hip_rocprim26transform_input_iterator_tIbPiNS6_6detail10functional5actorINSH_9compositeIJNSH_27transparent_binary_operatorINS6_8equal_toIvEEEENSI_INSH_8argumentILj0EEEEENSH_5valueIiEEEEEEEEENSD_19counting_iterator_tIlEES8_S8_S8_S8_S8_S8_S8_S8_EEEEPS9_S9_NSD_9__find_if7functorIS9_EEEE10hipError_tPvRmT1_T2_T3_mT4_P12ihipStream_tbEUlT_E0_NS1_11comp_targetILNS1_3genE8ELNS1_11target_archE1030ELNS1_3gpuE2ELNS1_3repE0EEENS1_30default_config_static_selectorELNS0_4arch9wavefront6targetE1EEEvS17_
    .private_segment_fixed_size: 0
    .sgpr_count:     4
    .sgpr_spill_count: 0
    .symbol:         _ZN7rocprim17ROCPRIM_400000_NS6detail17trampoline_kernelINS0_14default_configENS1_22reduce_config_selectorIN6thrust23THRUST_200600_302600_NS5tupleIblNS6_9null_typeES8_S8_S8_S8_S8_S8_S8_EEEEZNS1_11reduce_implILb1ES3_NS6_12zip_iteratorINS7_INS6_11hip_rocprim26transform_input_iterator_tIbPiNS6_6detail10functional5actorINSH_9compositeIJNSH_27transparent_binary_operatorINS6_8equal_toIvEEEENSI_INSH_8argumentILj0EEEEENSH_5valueIiEEEEEEEEENSD_19counting_iterator_tIlEES8_S8_S8_S8_S8_S8_S8_S8_EEEEPS9_S9_NSD_9__find_if7functorIS9_EEEE10hipError_tPvRmT1_T2_T3_mT4_P12ihipStream_tbEUlT_E0_NS1_11comp_targetILNS1_3genE8ELNS1_11target_archE1030ELNS1_3gpuE2ELNS1_3repE0EEENS1_30default_config_static_selectorELNS0_4arch9wavefront6targetE1EEEvS17_.kd
    .uniform_work_group_size: 1
    .uses_dynamic_stack: false
    .vgpr_count:     0
    .vgpr_spill_count: 0
    .wavefront_size: 64
  - .agpr_count:     0
    .args:
      - .offset:         0
        .size:           72
        .value_kind:     by_value
    .group_segment_fixed_size: 0
    .kernarg_segment_align: 8
    .kernarg_segment_size: 72
    .language:       OpenCL C
    .language_version:
      - 2
      - 0
    .max_flat_workgroup_size: 128
    .name:           _ZN7rocprim17ROCPRIM_400000_NS6detail17trampoline_kernelINS0_14default_configENS1_22reduce_config_selectorIN6thrust23THRUST_200600_302600_NS5tupleIblNS6_9null_typeES8_S8_S8_S8_S8_S8_S8_EEEEZNS1_11reduce_implILb1ES3_NS6_12zip_iteratorINS7_INS6_11hip_rocprim26transform_input_iterator_tIbPiNS6_6detail10functional5actorINSH_9compositeIJNSH_27transparent_binary_operatorINS6_8equal_toIvEEEENSI_INSH_8argumentILj0EEEEENSH_5valueIiEEEEEEEEENSD_19counting_iterator_tIlEES8_S8_S8_S8_S8_S8_S8_S8_EEEEPS9_S9_NSD_9__find_if7functorIS9_EEEE10hipError_tPvRmT1_T2_T3_mT4_P12ihipStream_tbEUlT_E1_NS1_11comp_targetILNS1_3genE0ELNS1_11target_archE4294967295ELNS1_3gpuE0ELNS1_3repE0EEENS1_30default_config_static_selectorELNS0_4arch9wavefront6targetE1EEEvS17_
    .private_segment_fixed_size: 0
    .sgpr_count:     4
    .sgpr_spill_count: 0
    .symbol:         _ZN7rocprim17ROCPRIM_400000_NS6detail17trampoline_kernelINS0_14default_configENS1_22reduce_config_selectorIN6thrust23THRUST_200600_302600_NS5tupleIblNS6_9null_typeES8_S8_S8_S8_S8_S8_S8_EEEEZNS1_11reduce_implILb1ES3_NS6_12zip_iteratorINS7_INS6_11hip_rocprim26transform_input_iterator_tIbPiNS6_6detail10functional5actorINSH_9compositeIJNSH_27transparent_binary_operatorINS6_8equal_toIvEEEENSI_INSH_8argumentILj0EEEEENSH_5valueIiEEEEEEEEENSD_19counting_iterator_tIlEES8_S8_S8_S8_S8_S8_S8_S8_EEEEPS9_S9_NSD_9__find_if7functorIS9_EEEE10hipError_tPvRmT1_T2_T3_mT4_P12ihipStream_tbEUlT_E1_NS1_11comp_targetILNS1_3genE0ELNS1_11target_archE4294967295ELNS1_3gpuE0ELNS1_3repE0EEENS1_30default_config_static_selectorELNS0_4arch9wavefront6targetE1EEEvS17_.kd
    .uniform_work_group_size: 1
    .uses_dynamic_stack: false
    .vgpr_count:     0
    .vgpr_spill_count: 0
    .wavefront_size: 64
  - .agpr_count:     0
    .args:
      - .offset:         0
        .size:           72
        .value_kind:     by_value
    .group_segment_fixed_size: 0
    .kernarg_segment_align: 8
    .kernarg_segment_size: 72
    .language:       OpenCL C
    .language_version:
      - 2
      - 0
    .max_flat_workgroup_size: 256
    .name:           _ZN7rocprim17ROCPRIM_400000_NS6detail17trampoline_kernelINS0_14default_configENS1_22reduce_config_selectorIN6thrust23THRUST_200600_302600_NS5tupleIblNS6_9null_typeES8_S8_S8_S8_S8_S8_S8_EEEEZNS1_11reduce_implILb1ES3_NS6_12zip_iteratorINS7_INS6_11hip_rocprim26transform_input_iterator_tIbPiNS6_6detail10functional5actorINSH_9compositeIJNSH_27transparent_binary_operatorINS6_8equal_toIvEEEENSI_INSH_8argumentILj0EEEEENSH_5valueIiEEEEEEEEENSD_19counting_iterator_tIlEES8_S8_S8_S8_S8_S8_S8_S8_EEEEPS9_S9_NSD_9__find_if7functorIS9_EEEE10hipError_tPvRmT1_T2_T3_mT4_P12ihipStream_tbEUlT_E1_NS1_11comp_targetILNS1_3genE5ELNS1_11target_archE942ELNS1_3gpuE9ELNS1_3repE0EEENS1_30default_config_static_selectorELNS0_4arch9wavefront6targetE1EEEvS17_
    .private_segment_fixed_size: 0
    .sgpr_count:     4
    .sgpr_spill_count: 0
    .symbol:         _ZN7rocprim17ROCPRIM_400000_NS6detail17trampoline_kernelINS0_14default_configENS1_22reduce_config_selectorIN6thrust23THRUST_200600_302600_NS5tupleIblNS6_9null_typeES8_S8_S8_S8_S8_S8_S8_EEEEZNS1_11reduce_implILb1ES3_NS6_12zip_iteratorINS7_INS6_11hip_rocprim26transform_input_iterator_tIbPiNS6_6detail10functional5actorINSH_9compositeIJNSH_27transparent_binary_operatorINS6_8equal_toIvEEEENSI_INSH_8argumentILj0EEEEENSH_5valueIiEEEEEEEEENSD_19counting_iterator_tIlEES8_S8_S8_S8_S8_S8_S8_S8_EEEEPS9_S9_NSD_9__find_if7functorIS9_EEEE10hipError_tPvRmT1_T2_T3_mT4_P12ihipStream_tbEUlT_E1_NS1_11comp_targetILNS1_3genE5ELNS1_11target_archE942ELNS1_3gpuE9ELNS1_3repE0EEENS1_30default_config_static_selectorELNS0_4arch9wavefront6targetE1EEEvS17_.kd
    .uniform_work_group_size: 1
    .uses_dynamic_stack: false
    .vgpr_count:     0
    .vgpr_spill_count: 0
    .wavefront_size: 64
  - .agpr_count:     0
    .args:
      - .offset:         0
        .size:           72
        .value_kind:     by_value
    .group_segment_fixed_size: 320
    .kernarg_segment_align: 8
    .kernarg_segment_size: 72
    .language:       OpenCL C
    .language_version:
      - 2
      - 0
    .max_flat_workgroup_size: 256
    .name:           _ZN7rocprim17ROCPRIM_400000_NS6detail17trampoline_kernelINS0_14default_configENS1_22reduce_config_selectorIN6thrust23THRUST_200600_302600_NS5tupleIblNS6_9null_typeES8_S8_S8_S8_S8_S8_S8_EEEEZNS1_11reduce_implILb1ES3_NS6_12zip_iteratorINS7_INS6_11hip_rocprim26transform_input_iterator_tIbPiNS6_6detail10functional5actorINSH_9compositeIJNSH_27transparent_binary_operatorINS6_8equal_toIvEEEENSI_INSH_8argumentILj0EEEEENSH_5valueIiEEEEEEEEENSD_19counting_iterator_tIlEES8_S8_S8_S8_S8_S8_S8_S8_EEEEPS9_S9_NSD_9__find_if7functorIS9_EEEE10hipError_tPvRmT1_T2_T3_mT4_P12ihipStream_tbEUlT_E1_NS1_11comp_targetILNS1_3genE4ELNS1_11target_archE910ELNS1_3gpuE8ELNS1_3repE0EEENS1_30default_config_static_selectorELNS0_4arch9wavefront6targetE1EEEvS17_
    .private_segment_fixed_size: 0
    .sgpr_count:     41
    .sgpr_spill_count: 0
    .symbol:         _ZN7rocprim17ROCPRIM_400000_NS6detail17trampoline_kernelINS0_14default_configENS1_22reduce_config_selectorIN6thrust23THRUST_200600_302600_NS5tupleIblNS6_9null_typeES8_S8_S8_S8_S8_S8_S8_EEEEZNS1_11reduce_implILb1ES3_NS6_12zip_iteratorINS7_INS6_11hip_rocprim26transform_input_iterator_tIbPiNS6_6detail10functional5actorINSH_9compositeIJNSH_27transparent_binary_operatorINS6_8equal_toIvEEEENSI_INSH_8argumentILj0EEEEENSH_5valueIiEEEEEEEEENSD_19counting_iterator_tIlEES8_S8_S8_S8_S8_S8_S8_S8_EEEEPS9_S9_NSD_9__find_if7functorIS9_EEEE10hipError_tPvRmT1_T2_T3_mT4_P12ihipStream_tbEUlT_E1_NS1_11comp_targetILNS1_3genE4ELNS1_11target_archE910ELNS1_3gpuE8ELNS1_3repE0EEENS1_30default_config_static_selectorELNS0_4arch9wavefront6targetE1EEEvS17_.kd
    .uniform_work_group_size: 1
    .uses_dynamic_stack: false
    .vgpr_count:     27
    .vgpr_spill_count: 0
    .wavefront_size: 64
  - .agpr_count:     0
    .args:
      - .offset:         0
        .size:           72
        .value_kind:     by_value
    .group_segment_fixed_size: 0
    .kernarg_segment_align: 8
    .kernarg_segment_size: 72
    .language:       OpenCL C
    .language_version:
      - 2
      - 0
    .max_flat_workgroup_size: 128
    .name:           _ZN7rocprim17ROCPRIM_400000_NS6detail17trampoline_kernelINS0_14default_configENS1_22reduce_config_selectorIN6thrust23THRUST_200600_302600_NS5tupleIblNS6_9null_typeES8_S8_S8_S8_S8_S8_S8_EEEEZNS1_11reduce_implILb1ES3_NS6_12zip_iteratorINS7_INS6_11hip_rocprim26transform_input_iterator_tIbPiNS6_6detail10functional5actorINSH_9compositeIJNSH_27transparent_binary_operatorINS6_8equal_toIvEEEENSI_INSH_8argumentILj0EEEEENSH_5valueIiEEEEEEEEENSD_19counting_iterator_tIlEES8_S8_S8_S8_S8_S8_S8_S8_EEEEPS9_S9_NSD_9__find_if7functorIS9_EEEE10hipError_tPvRmT1_T2_T3_mT4_P12ihipStream_tbEUlT_E1_NS1_11comp_targetILNS1_3genE3ELNS1_11target_archE908ELNS1_3gpuE7ELNS1_3repE0EEENS1_30default_config_static_selectorELNS0_4arch9wavefront6targetE1EEEvS17_
    .private_segment_fixed_size: 0
    .sgpr_count:     4
    .sgpr_spill_count: 0
    .symbol:         _ZN7rocprim17ROCPRIM_400000_NS6detail17trampoline_kernelINS0_14default_configENS1_22reduce_config_selectorIN6thrust23THRUST_200600_302600_NS5tupleIblNS6_9null_typeES8_S8_S8_S8_S8_S8_S8_EEEEZNS1_11reduce_implILb1ES3_NS6_12zip_iteratorINS7_INS6_11hip_rocprim26transform_input_iterator_tIbPiNS6_6detail10functional5actorINSH_9compositeIJNSH_27transparent_binary_operatorINS6_8equal_toIvEEEENSI_INSH_8argumentILj0EEEEENSH_5valueIiEEEEEEEEENSD_19counting_iterator_tIlEES8_S8_S8_S8_S8_S8_S8_S8_EEEEPS9_S9_NSD_9__find_if7functorIS9_EEEE10hipError_tPvRmT1_T2_T3_mT4_P12ihipStream_tbEUlT_E1_NS1_11comp_targetILNS1_3genE3ELNS1_11target_archE908ELNS1_3gpuE7ELNS1_3repE0EEENS1_30default_config_static_selectorELNS0_4arch9wavefront6targetE1EEEvS17_.kd
    .uniform_work_group_size: 1
    .uses_dynamic_stack: false
    .vgpr_count:     0
    .vgpr_spill_count: 0
    .wavefront_size: 64
  - .agpr_count:     0
    .args:
      - .offset:         0
        .size:           72
        .value_kind:     by_value
    .group_segment_fixed_size: 0
    .kernarg_segment_align: 8
    .kernarg_segment_size: 72
    .language:       OpenCL C
    .language_version:
      - 2
      - 0
    .max_flat_workgroup_size: 128
    .name:           _ZN7rocprim17ROCPRIM_400000_NS6detail17trampoline_kernelINS0_14default_configENS1_22reduce_config_selectorIN6thrust23THRUST_200600_302600_NS5tupleIblNS6_9null_typeES8_S8_S8_S8_S8_S8_S8_EEEEZNS1_11reduce_implILb1ES3_NS6_12zip_iteratorINS7_INS6_11hip_rocprim26transform_input_iterator_tIbPiNS6_6detail10functional5actorINSH_9compositeIJNSH_27transparent_binary_operatorINS6_8equal_toIvEEEENSI_INSH_8argumentILj0EEEEENSH_5valueIiEEEEEEEEENSD_19counting_iterator_tIlEES8_S8_S8_S8_S8_S8_S8_S8_EEEEPS9_S9_NSD_9__find_if7functorIS9_EEEE10hipError_tPvRmT1_T2_T3_mT4_P12ihipStream_tbEUlT_E1_NS1_11comp_targetILNS1_3genE2ELNS1_11target_archE906ELNS1_3gpuE6ELNS1_3repE0EEENS1_30default_config_static_selectorELNS0_4arch9wavefront6targetE1EEEvS17_
    .private_segment_fixed_size: 0
    .sgpr_count:     4
    .sgpr_spill_count: 0
    .symbol:         _ZN7rocprim17ROCPRIM_400000_NS6detail17trampoline_kernelINS0_14default_configENS1_22reduce_config_selectorIN6thrust23THRUST_200600_302600_NS5tupleIblNS6_9null_typeES8_S8_S8_S8_S8_S8_S8_EEEEZNS1_11reduce_implILb1ES3_NS6_12zip_iteratorINS7_INS6_11hip_rocprim26transform_input_iterator_tIbPiNS6_6detail10functional5actorINSH_9compositeIJNSH_27transparent_binary_operatorINS6_8equal_toIvEEEENSI_INSH_8argumentILj0EEEEENSH_5valueIiEEEEEEEEENSD_19counting_iterator_tIlEES8_S8_S8_S8_S8_S8_S8_S8_EEEEPS9_S9_NSD_9__find_if7functorIS9_EEEE10hipError_tPvRmT1_T2_T3_mT4_P12ihipStream_tbEUlT_E1_NS1_11comp_targetILNS1_3genE2ELNS1_11target_archE906ELNS1_3gpuE6ELNS1_3repE0EEENS1_30default_config_static_selectorELNS0_4arch9wavefront6targetE1EEEvS17_.kd
    .uniform_work_group_size: 1
    .uses_dynamic_stack: false
    .vgpr_count:     0
    .vgpr_spill_count: 0
    .wavefront_size: 64
  - .agpr_count:     0
    .args:
      - .offset:         0
        .size:           72
        .value_kind:     by_value
    .group_segment_fixed_size: 0
    .kernarg_segment_align: 8
    .kernarg_segment_size: 72
    .language:       OpenCL C
    .language_version:
      - 2
      - 0
    .max_flat_workgroup_size: 256
    .name:           _ZN7rocprim17ROCPRIM_400000_NS6detail17trampoline_kernelINS0_14default_configENS1_22reduce_config_selectorIN6thrust23THRUST_200600_302600_NS5tupleIblNS6_9null_typeES8_S8_S8_S8_S8_S8_S8_EEEEZNS1_11reduce_implILb1ES3_NS6_12zip_iteratorINS7_INS6_11hip_rocprim26transform_input_iterator_tIbPiNS6_6detail10functional5actorINSH_9compositeIJNSH_27transparent_binary_operatorINS6_8equal_toIvEEEENSI_INSH_8argumentILj0EEEEENSH_5valueIiEEEEEEEEENSD_19counting_iterator_tIlEES8_S8_S8_S8_S8_S8_S8_S8_EEEEPS9_S9_NSD_9__find_if7functorIS9_EEEE10hipError_tPvRmT1_T2_T3_mT4_P12ihipStream_tbEUlT_E1_NS1_11comp_targetILNS1_3genE10ELNS1_11target_archE1201ELNS1_3gpuE5ELNS1_3repE0EEENS1_30default_config_static_selectorELNS0_4arch9wavefront6targetE1EEEvS17_
    .private_segment_fixed_size: 0
    .sgpr_count:     4
    .sgpr_spill_count: 0
    .symbol:         _ZN7rocprim17ROCPRIM_400000_NS6detail17trampoline_kernelINS0_14default_configENS1_22reduce_config_selectorIN6thrust23THRUST_200600_302600_NS5tupleIblNS6_9null_typeES8_S8_S8_S8_S8_S8_S8_EEEEZNS1_11reduce_implILb1ES3_NS6_12zip_iteratorINS7_INS6_11hip_rocprim26transform_input_iterator_tIbPiNS6_6detail10functional5actorINSH_9compositeIJNSH_27transparent_binary_operatorINS6_8equal_toIvEEEENSI_INSH_8argumentILj0EEEEENSH_5valueIiEEEEEEEEENSD_19counting_iterator_tIlEES8_S8_S8_S8_S8_S8_S8_S8_EEEEPS9_S9_NSD_9__find_if7functorIS9_EEEE10hipError_tPvRmT1_T2_T3_mT4_P12ihipStream_tbEUlT_E1_NS1_11comp_targetILNS1_3genE10ELNS1_11target_archE1201ELNS1_3gpuE5ELNS1_3repE0EEENS1_30default_config_static_selectorELNS0_4arch9wavefront6targetE1EEEvS17_.kd
    .uniform_work_group_size: 1
    .uses_dynamic_stack: false
    .vgpr_count:     0
    .vgpr_spill_count: 0
    .wavefront_size: 64
  - .agpr_count:     0
    .args:
      - .offset:         0
        .size:           72
        .value_kind:     by_value
    .group_segment_fixed_size: 0
    .kernarg_segment_align: 8
    .kernarg_segment_size: 72
    .language:       OpenCL C
    .language_version:
      - 2
      - 0
    .max_flat_workgroup_size: 256
    .name:           _ZN7rocprim17ROCPRIM_400000_NS6detail17trampoline_kernelINS0_14default_configENS1_22reduce_config_selectorIN6thrust23THRUST_200600_302600_NS5tupleIblNS6_9null_typeES8_S8_S8_S8_S8_S8_S8_EEEEZNS1_11reduce_implILb1ES3_NS6_12zip_iteratorINS7_INS6_11hip_rocprim26transform_input_iterator_tIbPiNS6_6detail10functional5actorINSH_9compositeIJNSH_27transparent_binary_operatorINS6_8equal_toIvEEEENSI_INSH_8argumentILj0EEEEENSH_5valueIiEEEEEEEEENSD_19counting_iterator_tIlEES8_S8_S8_S8_S8_S8_S8_S8_EEEEPS9_S9_NSD_9__find_if7functorIS9_EEEE10hipError_tPvRmT1_T2_T3_mT4_P12ihipStream_tbEUlT_E1_NS1_11comp_targetILNS1_3genE10ELNS1_11target_archE1200ELNS1_3gpuE4ELNS1_3repE0EEENS1_30default_config_static_selectorELNS0_4arch9wavefront6targetE1EEEvS17_
    .private_segment_fixed_size: 0
    .sgpr_count:     4
    .sgpr_spill_count: 0
    .symbol:         _ZN7rocprim17ROCPRIM_400000_NS6detail17trampoline_kernelINS0_14default_configENS1_22reduce_config_selectorIN6thrust23THRUST_200600_302600_NS5tupleIblNS6_9null_typeES8_S8_S8_S8_S8_S8_S8_EEEEZNS1_11reduce_implILb1ES3_NS6_12zip_iteratorINS7_INS6_11hip_rocprim26transform_input_iterator_tIbPiNS6_6detail10functional5actorINSH_9compositeIJNSH_27transparent_binary_operatorINS6_8equal_toIvEEEENSI_INSH_8argumentILj0EEEEENSH_5valueIiEEEEEEEEENSD_19counting_iterator_tIlEES8_S8_S8_S8_S8_S8_S8_S8_EEEEPS9_S9_NSD_9__find_if7functorIS9_EEEE10hipError_tPvRmT1_T2_T3_mT4_P12ihipStream_tbEUlT_E1_NS1_11comp_targetILNS1_3genE10ELNS1_11target_archE1200ELNS1_3gpuE4ELNS1_3repE0EEENS1_30default_config_static_selectorELNS0_4arch9wavefront6targetE1EEEvS17_.kd
    .uniform_work_group_size: 1
    .uses_dynamic_stack: false
    .vgpr_count:     0
    .vgpr_spill_count: 0
    .wavefront_size: 64
  - .agpr_count:     0
    .args:
      - .offset:         0
        .size:           72
        .value_kind:     by_value
    .group_segment_fixed_size: 0
    .kernarg_segment_align: 8
    .kernarg_segment_size: 72
    .language:       OpenCL C
    .language_version:
      - 2
      - 0
    .max_flat_workgroup_size: 256
    .name:           _ZN7rocprim17ROCPRIM_400000_NS6detail17trampoline_kernelINS0_14default_configENS1_22reduce_config_selectorIN6thrust23THRUST_200600_302600_NS5tupleIblNS6_9null_typeES8_S8_S8_S8_S8_S8_S8_EEEEZNS1_11reduce_implILb1ES3_NS6_12zip_iteratorINS7_INS6_11hip_rocprim26transform_input_iterator_tIbPiNS6_6detail10functional5actorINSH_9compositeIJNSH_27transparent_binary_operatorINS6_8equal_toIvEEEENSI_INSH_8argumentILj0EEEEENSH_5valueIiEEEEEEEEENSD_19counting_iterator_tIlEES8_S8_S8_S8_S8_S8_S8_S8_EEEEPS9_S9_NSD_9__find_if7functorIS9_EEEE10hipError_tPvRmT1_T2_T3_mT4_P12ihipStream_tbEUlT_E1_NS1_11comp_targetILNS1_3genE9ELNS1_11target_archE1100ELNS1_3gpuE3ELNS1_3repE0EEENS1_30default_config_static_selectorELNS0_4arch9wavefront6targetE1EEEvS17_
    .private_segment_fixed_size: 0
    .sgpr_count:     4
    .sgpr_spill_count: 0
    .symbol:         _ZN7rocprim17ROCPRIM_400000_NS6detail17trampoline_kernelINS0_14default_configENS1_22reduce_config_selectorIN6thrust23THRUST_200600_302600_NS5tupleIblNS6_9null_typeES8_S8_S8_S8_S8_S8_S8_EEEEZNS1_11reduce_implILb1ES3_NS6_12zip_iteratorINS7_INS6_11hip_rocprim26transform_input_iterator_tIbPiNS6_6detail10functional5actorINSH_9compositeIJNSH_27transparent_binary_operatorINS6_8equal_toIvEEEENSI_INSH_8argumentILj0EEEEENSH_5valueIiEEEEEEEEENSD_19counting_iterator_tIlEES8_S8_S8_S8_S8_S8_S8_S8_EEEEPS9_S9_NSD_9__find_if7functorIS9_EEEE10hipError_tPvRmT1_T2_T3_mT4_P12ihipStream_tbEUlT_E1_NS1_11comp_targetILNS1_3genE9ELNS1_11target_archE1100ELNS1_3gpuE3ELNS1_3repE0EEENS1_30default_config_static_selectorELNS0_4arch9wavefront6targetE1EEEvS17_.kd
    .uniform_work_group_size: 1
    .uses_dynamic_stack: false
    .vgpr_count:     0
    .vgpr_spill_count: 0
    .wavefront_size: 64
  - .agpr_count:     0
    .args:
      - .offset:         0
        .size:           72
        .value_kind:     by_value
    .group_segment_fixed_size: 0
    .kernarg_segment_align: 8
    .kernarg_segment_size: 72
    .language:       OpenCL C
    .language_version:
      - 2
      - 0
    .max_flat_workgroup_size: 256
    .name:           _ZN7rocprim17ROCPRIM_400000_NS6detail17trampoline_kernelINS0_14default_configENS1_22reduce_config_selectorIN6thrust23THRUST_200600_302600_NS5tupleIblNS6_9null_typeES8_S8_S8_S8_S8_S8_S8_EEEEZNS1_11reduce_implILb1ES3_NS6_12zip_iteratorINS7_INS6_11hip_rocprim26transform_input_iterator_tIbPiNS6_6detail10functional5actorINSH_9compositeIJNSH_27transparent_binary_operatorINS6_8equal_toIvEEEENSI_INSH_8argumentILj0EEEEENSH_5valueIiEEEEEEEEENSD_19counting_iterator_tIlEES8_S8_S8_S8_S8_S8_S8_S8_EEEEPS9_S9_NSD_9__find_if7functorIS9_EEEE10hipError_tPvRmT1_T2_T3_mT4_P12ihipStream_tbEUlT_E1_NS1_11comp_targetILNS1_3genE8ELNS1_11target_archE1030ELNS1_3gpuE2ELNS1_3repE0EEENS1_30default_config_static_selectorELNS0_4arch9wavefront6targetE1EEEvS17_
    .private_segment_fixed_size: 0
    .sgpr_count:     4
    .sgpr_spill_count: 0
    .symbol:         _ZN7rocprim17ROCPRIM_400000_NS6detail17trampoline_kernelINS0_14default_configENS1_22reduce_config_selectorIN6thrust23THRUST_200600_302600_NS5tupleIblNS6_9null_typeES8_S8_S8_S8_S8_S8_S8_EEEEZNS1_11reduce_implILb1ES3_NS6_12zip_iteratorINS7_INS6_11hip_rocprim26transform_input_iterator_tIbPiNS6_6detail10functional5actorINSH_9compositeIJNSH_27transparent_binary_operatorINS6_8equal_toIvEEEENSI_INSH_8argumentILj0EEEEENSH_5valueIiEEEEEEEEENSD_19counting_iterator_tIlEES8_S8_S8_S8_S8_S8_S8_S8_EEEEPS9_S9_NSD_9__find_if7functorIS9_EEEE10hipError_tPvRmT1_T2_T3_mT4_P12ihipStream_tbEUlT_E1_NS1_11comp_targetILNS1_3genE8ELNS1_11target_archE1030ELNS1_3gpuE2ELNS1_3repE0EEENS1_30default_config_static_selectorELNS0_4arch9wavefront6targetE1EEEvS17_.kd
    .uniform_work_group_size: 1
    .uses_dynamic_stack: false
    .vgpr_count:     0
    .vgpr_spill_count: 0
    .wavefront_size: 64
  - .agpr_count:     0
    .args:
      - .offset:         0
        .size:           48
        .value_kind:     by_value
    .group_segment_fixed_size: 0
    .kernarg_segment_align: 8
    .kernarg_segment_size: 48
    .language:       OpenCL C
    .language_version:
      - 2
      - 0
    .max_flat_workgroup_size: 256
    .name:           _ZN7rocprim17ROCPRIM_400000_NS6detail17trampoline_kernelINS0_13kernel_configILj256ELj4ELj4294967295EEENS1_37radix_sort_block_sort_config_selectorIllEEZNS1_21radix_sort_block_sortIS4_Lb0EPlS8_N6thrust23THRUST_200600_302600_NS10device_ptrIlEESC_NS0_19identity_decomposerEEE10hipError_tT1_T2_T3_T4_jRjT5_jjP12ihipStream_tbEUlT_E_NS1_11comp_targetILNS1_3genE0ELNS1_11target_archE4294967295ELNS1_3gpuE0ELNS1_3repE0EEENS1_44radix_sort_block_sort_config_static_selectorELNS0_4arch9wavefront6targetE1EEEvSF_
    .private_segment_fixed_size: 0
    .sgpr_count:     4
    .sgpr_spill_count: 0
    .symbol:         _ZN7rocprim17ROCPRIM_400000_NS6detail17trampoline_kernelINS0_13kernel_configILj256ELj4ELj4294967295EEENS1_37radix_sort_block_sort_config_selectorIllEEZNS1_21radix_sort_block_sortIS4_Lb0EPlS8_N6thrust23THRUST_200600_302600_NS10device_ptrIlEESC_NS0_19identity_decomposerEEE10hipError_tT1_T2_T3_T4_jRjT5_jjP12ihipStream_tbEUlT_E_NS1_11comp_targetILNS1_3genE0ELNS1_11target_archE4294967295ELNS1_3gpuE0ELNS1_3repE0EEENS1_44radix_sort_block_sort_config_static_selectorELNS0_4arch9wavefront6targetE1EEEvSF_.kd
    .uniform_work_group_size: 1
    .uses_dynamic_stack: false
    .vgpr_count:     0
    .vgpr_spill_count: 0
    .wavefront_size: 64
  - .agpr_count:     0
    .args:
      - .offset:         0
        .size:           48
        .value_kind:     by_value
    .group_segment_fixed_size: 0
    .kernarg_segment_align: 8
    .kernarg_segment_size: 48
    .language:       OpenCL C
    .language_version:
      - 2
      - 0
    .max_flat_workgroup_size: 256
    .name:           _ZN7rocprim17ROCPRIM_400000_NS6detail17trampoline_kernelINS0_13kernel_configILj256ELj4ELj4294967295EEENS1_37radix_sort_block_sort_config_selectorIllEEZNS1_21radix_sort_block_sortIS4_Lb0EPlS8_N6thrust23THRUST_200600_302600_NS10device_ptrIlEESC_NS0_19identity_decomposerEEE10hipError_tT1_T2_T3_T4_jRjT5_jjP12ihipStream_tbEUlT_E_NS1_11comp_targetILNS1_3genE5ELNS1_11target_archE942ELNS1_3gpuE9ELNS1_3repE0EEENS1_44radix_sort_block_sort_config_static_selectorELNS0_4arch9wavefront6targetE1EEEvSF_
    .private_segment_fixed_size: 0
    .sgpr_count:     4
    .sgpr_spill_count: 0
    .symbol:         _ZN7rocprim17ROCPRIM_400000_NS6detail17trampoline_kernelINS0_13kernel_configILj256ELj4ELj4294967295EEENS1_37radix_sort_block_sort_config_selectorIllEEZNS1_21radix_sort_block_sortIS4_Lb0EPlS8_N6thrust23THRUST_200600_302600_NS10device_ptrIlEESC_NS0_19identity_decomposerEEE10hipError_tT1_T2_T3_T4_jRjT5_jjP12ihipStream_tbEUlT_E_NS1_11comp_targetILNS1_3genE5ELNS1_11target_archE942ELNS1_3gpuE9ELNS1_3repE0EEENS1_44radix_sort_block_sort_config_static_selectorELNS0_4arch9wavefront6targetE1EEEvSF_.kd
    .uniform_work_group_size: 1
    .uses_dynamic_stack: false
    .vgpr_count:     0
    .vgpr_spill_count: 0
    .wavefront_size: 64
  - .agpr_count:     0
    .args:
      - .offset:         0
        .size:           48
        .value_kind:     by_value
      - .offset:         48
        .size:           4
        .value_kind:     hidden_block_count_x
      - .offset:         52
        .size:           4
        .value_kind:     hidden_block_count_y
      - .offset:         56
        .size:           4
        .value_kind:     hidden_block_count_z
      - .offset:         60
        .size:           2
        .value_kind:     hidden_group_size_x
      - .offset:         62
        .size:           2
        .value_kind:     hidden_group_size_y
      - .offset:         64
        .size:           2
        .value_kind:     hidden_group_size_z
      - .offset:         66
        .size:           2
        .value_kind:     hidden_remainder_x
      - .offset:         68
        .size:           2
        .value_kind:     hidden_remainder_y
      - .offset:         70
        .size:           2
        .value_kind:     hidden_remainder_z
      - .offset:         88
        .size:           8
        .value_kind:     hidden_global_offset_x
      - .offset:         96
        .size:           8
        .value_kind:     hidden_global_offset_y
      - .offset:         104
        .size:           8
        .value_kind:     hidden_global_offset_z
      - .offset:         112
        .size:           2
        .value_kind:     hidden_grid_dims
    .group_segment_fixed_size: 8192
    .kernarg_segment_align: 8
    .kernarg_segment_size: 304
    .language:       OpenCL C
    .language_version:
      - 2
      - 0
    .max_flat_workgroup_size: 256
    .name:           _ZN7rocprim17ROCPRIM_400000_NS6detail17trampoline_kernelINS0_13kernel_configILj256ELj4ELj4294967295EEENS1_37radix_sort_block_sort_config_selectorIllEEZNS1_21radix_sort_block_sortIS4_Lb0EPlS8_N6thrust23THRUST_200600_302600_NS10device_ptrIlEESC_NS0_19identity_decomposerEEE10hipError_tT1_T2_T3_T4_jRjT5_jjP12ihipStream_tbEUlT_E_NS1_11comp_targetILNS1_3genE4ELNS1_11target_archE910ELNS1_3gpuE8ELNS1_3repE0EEENS1_44radix_sort_block_sort_config_static_selectorELNS0_4arch9wavefront6targetE1EEEvSF_
    .private_segment_fixed_size: 0
    .sgpr_count:     50
    .sgpr_spill_count: 0
    .symbol:         _ZN7rocprim17ROCPRIM_400000_NS6detail17trampoline_kernelINS0_13kernel_configILj256ELj4ELj4294967295EEENS1_37radix_sort_block_sort_config_selectorIllEEZNS1_21radix_sort_block_sortIS4_Lb0EPlS8_N6thrust23THRUST_200600_302600_NS10device_ptrIlEESC_NS0_19identity_decomposerEEE10hipError_tT1_T2_T3_T4_jRjT5_jjP12ihipStream_tbEUlT_E_NS1_11comp_targetILNS1_3genE4ELNS1_11target_archE910ELNS1_3gpuE8ELNS1_3repE0EEENS1_44radix_sort_block_sort_config_static_selectorELNS0_4arch9wavefront6targetE1EEEvSF_.kd
    .uniform_work_group_size: 1
    .uses_dynamic_stack: false
    .vgpr_count:     53
    .vgpr_spill_count: 0
    .wavefront_size: 64
  - .agpr_count:     0
    .args:
      - .offset:         0
        .size:           48
        .value_kind:     by_value
    .group_segment_fixed_size: 0
    .kernarg_segment_align: 8
    .kernarg_segment_size: 48
    .language:       OpenCL C
    .language_version:
      - 2
      - 0
    .max_flat_workgroup_size: 256
    .name:           _ZN7rocprim17ROCPRIM_400000_NS6detail17trampoline_kernelINS0_13kernel_configILj256ELj4ELj4294967295EEENS1_37radix_sort_block_sort_config_selectorIllEEZNS1_21radix_sort_block_sortIS4_Lb0EPlS8_N6thrust23THRUST_200600_302600_NS10device_ptrIlEESC_NS0_19identity_decomposerEEE10hipError_tT1_T2_T3_T4_jRjT5_jjP12ihipStream_tbEUlT_E_NS1_11comp_targetILNS1_3genE3ELNS1_11target_archE908ELNS1_3gpuE7ELNS1_3repE0EEENS1_44radix_sort_block_sort_config_static_selectorELNS0_4arch9wavefront6targetE1EEEvSF_
    .private_segment_fixed_size: 0
    .sgpr_count:     4
    .sgpr_spill_count: 0
    .symbol:         _ZN7rocprim17ROCPRIM_400000_NS6detail17trampoline_kernelINS0_13kernel_configILj256ELj4ELj4294967295EEENS1_37radix_sort_block_sort_config_selectorIllEEZNS1_21radix_sort_block_sortIS4_Lb0EPlS8_N6thrust23THRUST_200600_302600_NS10device_ptrIlEESC_NS0_19identity_decomposerEEE10hipError_tT1_T2_T3_T4_jRjT5_jjP12ihipStream_tbEUlT_E_NS1_11comp_targetILNS1_3genE3ELNS1_11target_archE908ELNS1_3gpuE7ELNS1_3repE0EEENS1_44radix_sort_block_sort_config_static_selectorELNS0_4arch9wavefront6targetE1EEEvSF_.kd
    .uniform_work_group_size: 1
    .uses_dynamic_stack: false
    .vgpr_count:     0
    .vgpr_spill_count: 0
    .wavefront_size: 64
  - .agpr_count:     0
    .args:
      - .offset:         0
        .size:           48
        .value_kind:     by_value
    .group_segment_fixed_size: 0
    .kernarg_segment_align: 8
    .kernarg_segment_size: 48
    .language:       OpenCL C
    .language_version:
      - 2
      - 0
    .max_flat_workgroup_size: 256
    .name:           _ZN7rocprim17ROCPRIM_400000_NS6detail17trampoline_kernelINS0_13kernel_configILj256ELj4ELj4294967295EEENS1_37radix_sort_block_sort_config_selectorIllEEZNS1_21radix_sort_block_sortIS4_Lb0EPlS8_N6thrust23THRUST_200600_302600_NS10device_ptrIlEESC_NS0_19identity_decomposerEEE10hipError_tT1_T2_T3_T4_jRjT5_jjP12ihipStream_tbEUlT_E_NS1_11comp_targetILNS1_3genE2ELNS1_11target_archE906ELNS1_3gpuE6ELNS1_3repE0EEENS1_44radix_sort_block_sort_config_static_selectorELNS0_4arch9wavefront6targetE1EEEvSF_
    .private_segment_fixed_size: 0
    .sgpr_count:     4
    .sgpr_spill_count: 0
    .symbol:         _ZN7rocprim17ROCPRIM_400000_NS6detail17trampoline_kernelINS0_13kernel_configILj256ELj4ELj4294967295EEENS1_37radix_sort_block_sort_config_selectorIllEEZNS1_21radix_sort_block_sortIS4_Lb0EPlS8_N6thrust23THRUST_200600_302600_NS10device_ptrIlEESC_NS0_19identity_decomposerEEE10hipError_tT1_T2_T3_T4_jRjT5_jjP12ihipStream_tbEUlT_E_NS1_11comp_targetILNS1_3genE2ELNS1_11target_archE906ELNS1_3gpuE6ELNS1_3repE0EEENS1_44radix_sort_block_sort_config_static_selectorELNS0_4arch9wavefront6targetE1EEEvSF_.kd
    .uniform_work_group_size: 1
    .uses_dynamic_stack: false
    .vgpr_count:     0
    .vgpr_spill_count: 0
    .wavefront_size: 64
  - .agpr_count:     0
    .args:
      - .offset:         0
        .size:           48
        .value_kind:     by_value
    .group_segment_fixed_size: 0
    .kernarg_segment_align: 8
    .kernarg_segment_size: 48
    .language:       OpenCL C
    .language_version:
      - 2
      - 0
    .max_flat_workgroup_size: 256
    .name:           _ZN7rocprim17ROCPRIM_400000_NS6detail17trampoline_kernelINS0_13kernel_configILj256ELj4ELj4294967295EEENS1_37radix_sort_block_sort_config_selectorIllEEZNS1_21radix_sort_block_sortIS4_Lb0EPlS8_N6thrust23THRUST_200600_302600_NS10device_ptrIlEESC_NS0_19identity_decomposerEEE10hipError_tT1_T2_T3_T4_jRjT5_jjP12ihipStream_tbEUlT_E_NS1_11comp_targetILNS1_3genE10ELNS1_11target_archE1201ELNS1_3gpuE5ELNS1_3repE0EEENS1_44radix_sort_block_sort_config_static_selectorELNS0_4arch9wavefront6targetE1EEEvSF_
    .private_segment_fixed_size: 0
    .sgpr_count:     4
    .sgpr_spill_count: 0
    .symbol:         _ZN7rocprim17ROCPRIM_400000_NS6detail17trampoline_kernelINS0_13kernel_configILj256ELj4ELj4294967295EEENS1_37radix_sort_block_sort_config_selectorIllEEZNS1_21radix_sort_block_sortIS4_Lb0EPlS8_N6thrust23THRUST_200600_302600_NS10device_ptrIlEESC_NS0_19identity_decomposerEEE10hipError_tT1_T2_T3_T4_jRjT5_jjP12ihipStream_tbEUlT_E_NS1_11comp_targetILNS1_3genE10ELNS1_11target_archE1201ELNS1_3gpuE5ELNS1_3repE0EEENS1_44radix_sort_block_sort_config_static_selectorELNS0_4arch9wavefront6targetE1EEEvSF_.kd
    .uniform_work_group_size: 1
    .uses_dynamic_stack: false
    .vgpr_count:     0
    .vgpr_spill_count: 0
    .wavefront_size: 64
  - .agpr_count:     0
    .args:
      - .offset:         0
        .size:           48
        .value_kind:     by_value
    .group_segment_fixed_size: 0
    .kernarg_segment_align: 8
    .kernarg_segment_size: 48
    .language:       OpenCL C
    .language_version:
      - 2
      - 0
    .max_flat_workgroup_size: 256
    .name:           _ZN7rocprim17ROCPRIM_400000_NS6detail17trampoline_kernelINS0_13kernel_configILj256ELj4ELj4294967295EEENS1_37radix_sort_block_sort_config_selectorIllEEZNS1_21radix_sort_block_sortIS4_Lb0EPlS8_N6thrust23THRUST_200600_302600_NS10device_ptrIlEESC_NS0_19identity_decomposerEEE10hipError_tT1_T2_T3_T4_jRjT5_jjP12ihipStream_tbEUlT_E_NS1_11comp_targetILNS1_3genE10ELNS1_11target_archE1200ELNS1_3gpuE4ELNS1_3repE0EEENS1_44radix_sort_block_sort_config_static_selectorELNS0_4arch9wavefront6targetE1EEEvSF_
    .private_segment_fixed_size: 0
    .sgpr_count:     4
    .sgpr_spill_count: 0
    .symbol:         _ZN7rocprim17ROCPRIM_400000_NS6detail17trampoline_kernelINS0_13kernel_configILj256ELj4ELj4294967295EEENS1_37radix_sort_block_sort_config_selectorIllEEZNS1_21radix_sort_block_sortIS4_Lb0EPlS8_N6thrust23THRUST_200600_302600_NS10device_ptrIlEESC_NS0_19identity_decomposerEEE10hipError_tT1_T2_T3_T4_jRjT5_jjP12ihipStream_tbEUlT_E_NS1_11comp_targetILNS1_3genE10ELNS1_11target_archE1200ELNS1_3gpuE4ELNS1_3repE0EEENS1_44radix_sort_block_sort_config_static_selectorELNS0_4arch9wavefront6targetE1EEEvSF_.kd
    .uniform_work_group_size: 1
    .uses_dynamic_stack: false
    .vgpr_count:     0
    .vgpr_spill_count: 0
    .wavefront_size: 64
  - .agpr_count:     0
    .args:
      - .offset:         0
        .size:           48
        .value_kind:     by_value
    .group_segment_fixed_size: 0
    .kernarg_segment_align: 8
    .kernarg_segment_size: 48
    .language:       OpenCL C
    .language_version:
      - 2
      - 0
    .max_flat_workgroup_size: 256
    .name:           _ZN7rocprim17ROCPRIM_400000_NS6detail17trampoline_kernelINS0_13kernel_configILj256ELj4ELj4294967295EEENS1_37radix_sort_block_sort_config_selectorIllEEZNS1_21radix_sort_block_sortIS4_Lb0EPlS8_N6thrust23THRUST_200600_302600_NS10device_ptrIlEESC_NS0_19identity_decomposerEEE10hipError_tT1_T2_T3_T4_jRjT5_jjP12ihipStream_tbEUlT_E_NS1_11comp_targetILNS1_3genE9ELNS1_11target_archE1100ELNS1_3gpuE3ELNS1_3repE0EEENS1_44radix_sort_block_sort_config_static_selectorELNS0_4arch9wavefront6targetE1EEEvSF_
    .private_segment_fixed_size: 0
    .sgpr_count:     4
    .sgpr_spill_count: 0
    .symbol:         _ZN7rocprim17ROCPRIM_400000_NS6detail17trampoline_kernelINS0_13kernel_configILj256ELj4ELj4294967295EEENS1_37radix_sort_block_sort_config_selectorIllEEZNS1_21radix_sort_block_sortIS4_Lb0EPlS8_N6thrust23THRUST_200600_302600_NS10device_ptrIlEESC_NS0_19identity_decomposerEEE10hipError_tT1_T2_T3_T4_jRjT5_jjP12ihipStream_tbEUlT_E_NS1_11comp_targetILNS1_3genE9ELNS1_11target_archE1100ELNS1_3gpuE3ELNS1_3repE0EEENS1_44radix_sort_block_sort_config_static_selectorELNS0_4arch9wavefront6targetE1EEEvSF_.kd
    .uniform_work_group_size: 1
    .uses_dynamic_stack: false
    .vgpr_count:     0
    .vgpr_spill_count: 0
    .wavefront_size: 64
  - .agpr_count:     0
    .args:
      - .offset:         0
        .size:           48
        .value_kind:     by_value
    .group_segment_fixed_size: 0
    .kernarg_segment_align: 8
    .kernarg_segment_size: 48
    .language:       OpenCL C
    .language_version:
      - 2
      - 0
    .max_flat_workgroup_size: 256
    .name:           _ZN7rocprim17ROCPRIM_400000_NS6detail17trampoline_kernelINS0_13kernel_configILj256ELj4ELj4294967295EEENS1_37radix_sort_block_sort_config_selectorIllEEZNS1_21radix_sort_block_sortIS4_Lb0EPlS8_N6thrust23THRUST_200600_302600_NS10device_ptrIlEESC_NS0_19identity_decomposerEEE10hipError_tT1_T2_T3_T4_jRjT5_jjP12ihipStream_tbEUlT_E_NS1_11comp_targetILNS1_3genE8ELNS1_11target_archE1030ELNS1_3gpuE2ELNS1_3repE0EEENS1_44radix_sort_block_sort_config_static_selectorELNS0_4arch9wavefront6targetE1EEEvSF_
    .private_segment_fixed_size: 0
    .sgpr_count:     4
    .sgpr_spill_count: 0
    .symbol:         _ZN7rocprim17ROCPRIM_400000_NS6detail17trampoline_kernelINS0_13kernel_configILj256ELj4ELj4294967295EEENS1_37radix_sort_block_sort_config_selectorIllEEZNS1_21radix_sort_block_sortIS4_Lb0EPlS8_N6thrust23THRUST_200600_302600_NS10device_ptrIlEESC_NS0_19identity_decomposerEEE10hipError_tT1_T2_T3_T4_jRjT5_jjP12ihipStream_tbEUlT_E_NS1_11comp_targetILNS1_3genE8ELNS1_11target_archE1030ELNS1_3gpuE2ELNS1_3repE0EEENS1_44radix_sort_block_sort_config_static_selectorELNS0_4arch9wavefront6targetE1EEEvSF_.kd
    .uniform_work_group_size: 1
    .uses_dynamic_stack: false
    .vgpr_count:     0
    .vgpr_spill_count: 0
    .wavefront_size: 64
  - .agpr_count:     0
    .args:           []
    .group_segment_fixed_size: 0
    .kernarg_segment_align: 4
    .kernarg_segment_size: 0
    .language:       OpenCL C
    .language_version:
      - 2
      - 0
    .max_flat_workgroup_size: 1024
    .name:           _ZN7rocprim17ROCPRIM_400000_NS6detail44device_merge_sort_compile_time_verifier_archINS1_11comp_targetILNS1_3genE0ELNS1_11target_archE4294967295ELNS1_3gpuE0ELNS1_3repE0EEES8_NS1_28merge_sort_block_sort_configILj256ELj4ELNS0_20block_sort_algorithmE0EEENS0_14default_configENS1_37merge_sort_block_sort_config_selectorIllEENS1_38merge_sort_block_merge_config_selectorIllEEEEvv
    .private_segment_fixed_size: 0
    .sgpr_count:     4
    .sgpr_spill_count: 0
    .symbol:         _ZN7rocprim17ROCPRIM_400000_NS6detail44device_merge_sort_compile_time_verifier_archINS1_11comp_targetILNS1_3genE0ELNS1_11target_archE4294967295ELNS1_3gpuE0ELNS1_3repE0EEES8_NS1_28merge_sort_block_sort_configILj256ELj4ELNS0_20block_sort_algorithmE0EEENS0_14default_configENS1_37merge_sort_block_sort_config_selectorIllEENS1_38merge_sort_block_merge_config_selectorIllEEEEvv.kd
    .uniform_work_group_size: 1
    .uses_dynamic_stack: false
    .vgpr_count:     0
    .vgpr_spill_count: 0
    .wavefront_size: 64
  - .agpr_count:     0
    .args:           []
    .group_segment_fixed_size: 0
    .kernarg_segment_align: 4
    .kernarg_segment_size: 0
    .language:       OpenCL C
    .language_version:
      - 2
      - 0
    .max_flat_workgroup_size: 1024
    .name:           _ZN7rocprim17ROCPRIM_400000_NS6detail44device_merge_sort_compile_time_verifier_archINS1_11comp_targetILNS1_3genE5ELNS1_11target_archE942ELNS1_3gpuE9ELNS1_3repE0EEES8_NS1_28merge_sort_block_sort_configILj256ELj4ELNS0_20block_sort_algorithmE0EEENS0_14default_configENS1_37merge_sort_block_sort_config_selectorIllEENS1_38merge_sort_block_merge_config_selectorIllEEEEvv
    .private_segment_fixed_size: 0
    .sgpr_count:     4
    .sgpr_spill_count: 0
    .symbol:         _ZN7rocprim17ROCPRIM_400000_NS6detail44device_merge_sort_compile_time_verifier_archINS1_11comp_targetILNS1_3genE5ELNS1_11target_archE942ELNS1_3gpuE9ELNS1_3repE0EEES8_NS1_28merge_sort_block_sort_configILj256ELj4ELNS0_20block_sort_algorithmE0EEENS0_14default_configENS1_37merge_sort_block_sort_config_selectorIllEENS1_38merge_sort_block_merge_config_selectorIllEEEEvv.kd
    .uniform_work_group_size: 1
    .uses_dynamic_stack: false
    .vgpr_count:     0
    .vgpr_spill_count: 0
    .wavefront_size: 64
  - .agpr_count:     0
    .args:           []
    .group_segment_fixed_size: 0
    .kernarg_segment_align: 4
    .kernarg_segment_size: 0
    .language:       OpenCL C
    .language_version:
      - 2
      - 0
    .max_flat_workgroup_size: 1024
    .name:           _ZN7rocprim17ROCPRIM_400000_NS6detail44device_merge_sort_compile_time_verifier_archINS1_11comp_targetILNS1_3genE4ELNS1_11target_archE910ELNS1_3gpuE8ELNS1_3repE0EEES8_NS1_28merge_sort_block_sort_configILj256ELj4ELNS0_20block_sort_algorithmE0EEENS0_14default_configENS1_37merge_sort_block_sort_config_selectorIllEENS1_38merge_sort_block_merge_config_selectorIllEEEEvv
    .private_segment_fixed_size: 0
    .sgpr_count:     4
    .sgpr_spill_count: 0
    .symbol:         _ZN7rocprim17ROCPRIM_400000_NS6detail44device_merge_sort_compile_time_verifier_archINS1_11comp_targetILNS1_3genE4ELNS1_11target_archE910ELNS1_3gpuE8ELNS1_3repE0EEES8_NS1_28merge_sort_block_sort_configILj256ELj4ELNS0_20block_sort_algorithmE0EEENS0_14default_configENS1_37merge_sort_block_sort_config_selectorIllEENS1_38merge_sort_block_merge_config_selectorIllEEEEvv.kd
    .uniform_work_group_size: 1
    .uses_dynamic_stack: false
    .vgpr_count:     0
    .vgpr_spill_count: 0
    .wavefront_size: 64
  - .agpr_count:     0
    .args:           []
    .group_segment_fixed_size: 0
    .kernarg_segment_align: 4
    .kernarg_segment_size: 0
    .language:       OpenCL C
    .language_version:
      - 2
      - 0
    .max_flat_workgroup_size: 1024
    .name:           _ZN7rocprim17ROCPRIM_400000_NS6detail44device_merge_sort_compile_time_verifier_archINS1_11comp_targetILNS1_3genE3ELNS1_11target_archE908ELNS1_3gpuE7ELNS1_3repE0EEES8_NS1_28merge_sort_block_sort_configILj256ELj4ELNS0_20block_sort_algorithmE0EEENS0_14default_configENS1_37merge_sort_block_sort_config_selectorIllEENS1_38merge_sort_block_merge_config_selectorIllEEEEvv
    .private_segment_fixed_size: 0
    .sgpr_count:     4
    .sgpr_spill_count: 0
    .symbol:         _ZN7rocprim17ROCPRIM_400000_NS6detail44device_merge_sort_compile_time_verifier_archINS1_11comp_targetILNS1_3genE3ELNS1_11target_archE908ELNS1_3gpuE7ELNS1_3repE0EEES8_NS1_28merge_sort_block_sort_configILj256ELj4ELNS0_20block_sort_algorithmE0EEENS0_14default_configENS1_37merge_sort_block_sort_config_selectorIllEENS1_38merge_sort_block_merge_config_selectorIllEEEEvv.kd
    .uniform_work_group_size: 1
    .uses_dynamic_stack: false
    .vgpr_count:     0
    .vgpr_spill_count: 0
    .wavefront_size: 64
  - .agpr_count:     0
    .args:           []
    .group_segment_fixed_size: 0
    .kernarg_segment_align: 4
    .kernarg_segment_size: 0
    .language:       OpenCL C
    .language_version:
      - 2
      - 0
    .max_flat_workgroup_size: 1024
    .name:           _ZN7rocprim17ROCPRIM_400000_NS6detail44device_merge_sort_compile_time_verifier_archINS1_11comp_targetILNS1_3genE2ELNS1_11target_archE906ELNS1_3gpuE6ELNS1_3repE0EEES8_NS1_28merge_sort_block_sort_configILj256ELj4ELNS0_20block_sort_algorithmE0EEENS0_14default_configENS1_37merge_sort_block_sort_config_selectorIllEENS1_38merge_sort_block_merge_config_selectorIllEEEEvv
    .private_segment_fixed_size: 0
    .sgpr_count:     4
    .sgpr_spill_count: 0
    .symbol:         _ZN7rocprim17ROCPRIM_400000_NS6detail44device_merge_sort_compile_time_verifier_archINS1_11comp_targetILNS1_3genE2ELNS1_11target_archE906ELNS1_3gpuE6ELNS1_3repE0EEES8_NS1_28merge_sort_block_sort_configILj256ELj4ELNS0_20block_sort_algorithmE0EEENS0_14default_configENS1_37merge_sort_block_sort_config_selectorIllEENS1_38merge_sort_block_merge_config_selectorIllEEEEvv.kd
    .uniform_work_group_size: 1
    .uses_dynamic_stack: false
    .vgpr_count:     0
    .vgpr_spill_count: 0
    .wavefront_size: 64
  - .agpr_count:     0
    .args:           []
    .group_segment_fixed_size: 0
    .kernarg_segment_align: 4
    .kernarg_segment_size: 0
    .language:       OpenCL C
    .language_version:
      - 2
      - 0
    .max_flat_workgroup_size: 1024
    .name:           _ZN7rocprim17ROCPRIM_400000_NS6detail44device_merge_sort_compile_time_verifier_archINS1_11comp_targetILNS1_3genE10ELNS1_11target_archE1201ELNS1_3gpuE5ELNS1_3repE0EEES8_NS1_28merge_sort_block_sort_configILj256ELj4ELNS0_20block_sort_algorithmE0EEENS0_14default_configENS1_37merge_sort_block_sort_config_selectorIllEENS1_38merge_sort_block_merge_config_selectorIllEEEEvv
    .private_segment_fixed_size: 0
    .sgpr_count:     4
    .sgpr_spill_count: 0
    .symbol:         _ZN7rocprim17ROCPRIM_400000_NS6detail44device_merge_sort_compile_time_verifier_archINS1_11comp_targetILNS1_3genE10ELNS1_11target_archE1201ELNS1_3gpuE5ELNS1_3repE0EEES8_NS1_28merge_sort_block_sort_configILj256ELj4ELNS0_20block_sort_algorithmE0EEENS0_14default_configENS1_37merge_sort_block_sort_config_selectorIllEENS1_38merge_sort_block_merge_config_selectorIllEEEEvv.kd
    .uniform_work_group_size: 1
    .uses_dynamic_stack: false
    .vgpr_count:     0
    .vgpr_spill_count: 0
    .wavefront_size: 64
  - .agpr_count:     0
    .args:           []
    .group_segment_fixed_size: 0
    .kernarg_segment_align: 4
    .kernarg_segment_size: 0
    .language:       OpenCL C
    .language_version:
      - 2
      - 0
    .max_flat_workgroup_size: 1024
    .name:           _ZN7rocprim17ROCPRIM_400000_NS6detail44device_merge_sort_compile_time_verifier_archINS1_11comp_targetILNS1_3genE10ELNS1_11target_archE1200ELNS1_3gpuE4ELNS1_3repE0EEENS3_ILS4_10ELS5_1201ELS6_5ELS7_0EEENS1_28merge_sort_block_sort_configILj256ELj4ELNS0_20block_sort_algorithmE0EEENS0_14default_configENS1_37merge_sort_block_sort_config_selectorIllEENS1_38merge_sort_block_merge_config_selectorIllEEEEvv
    .private_segment_fixed_size: 0
    .sgpr_count:     4
    .sgpr_spill_count: 0
    .symbol:         _ZN7rocprim17ROCPRIM_400000_NS6detail44device_merge_sort_compile_time_verifier_archINS1_11comp_targetILNS1_3genE10ELNS1_11target_archE1200ELNS1_3gpuE4ELNS1_3repE0EEENS3_ILS4_10ELS5_1201ELS6_5ELS7_0EEENS1_28merge_sort_block_sort_configILj256ELj4ELNS0_20block_sort_algorithmE0EEENS0_14default_configENS1_37merge_sort_block_sort_config_selectorIllEENS1_38merge_sort_block_merge_config_selectorIllEEEEvv.kd
    .uniform_work_group_size: 1
    .uses_dynamic_stack: false
    .vgpr_count:     0
    .vgpr_spill_count: 0
    .wavefront_size: 64
  - .agpr_count:     0
    .args:           []
    .group_segment_fixed_size: 0
    .kernarg_segment_align: 4
    .kernarg_segment_size: 0
    .language:       OpenCL C
    .language_version:
      - 2
      - 0
    .max_flat_workgroup_size: 1024
    .name:           _ZN7rocprim17ROCPRIM_400000_NS6detail44device_merge_sort_compile_time_verifier_archINS1_11comp_targetILNS1_3genE9ELNS1_11target_archE1100ELNS1_3gpuE3ELNS1_3repE0EEES8_NS1_28merge_sort_block_sort_configILj256ELj4ELNS0_20block_sort_algorithmE0EEENS0_14default_configENS1_37merge_sort_block_sort_config_selectorIllEENS1_38merge_sort_block_merge_config_selectorIllEEEEvv
    .private_segment_fixed_size: 0
    .sgpr_count:     4
    .sgpr_spill_count: 0
    .symbol:         _ZN7rocprim17ROCPRIM_400000_NS6detail44device_merge_sort_compile_time_verifier_archINS1_11comp_targetILNS1_3genE9ELNS1_11target_archE1100ELNS1_3gpuE3ELNS1_3repE0EEES8_NS1_28merge_sort_block_sort_configILj256ELj4ELNS0_20block_sort_algorithmE0EEENS0_14default_configENS1_37merge_sort_block_sort_config_selectorIllEENS1_38merge_sort_block_merge_config_selectorIllEEEEvv.kd
    .uniform_work_group_size: 1
    .uses_dynamic_stack: false
    .vgpr_count:     0
    .vgpr_spill_count: 0
    .wavefront_size: 64
  - .agpr_count:     0
    .args:           []
    .group_segment_fixed_size: 0
    .kernarg_segment_align: 4
    .kernarg_segment_size: 0
    .language:       OpenCL C
    .language_version:
      - 2
      - 0
    .max_flat_workgroup_size: 1024
    .name:           _ZN7rocprim17ROCPRIM_400000_NS6detail44device_merge_sort_compile_time_verifier_archINS1_11comp_targetILNS1_3genE8ELNS1_11target_archE1030ELNS1_3gpuE2ELNS1_3repE0EEES8_NS1_28merge_sort_block_sort_configILj256ELj4ELNS0_20block_sort_algorithmE0EEENS0_14default_configENS1_37merge_sort_block_sort_config_selectorIllEENS1_38merge_sort_block_merge_config_selectorIllEEEEvv
    .private_segment_fixed_size: 0
    .sgpr_count:     4
    .sgpr_spill_count: 0
    .symbol:         _ZN7rocprim17ROCPRIM_400000_NS6detail44device_merge_sort_compile_time_verifier_archINS1_11comp_targetILNS1_3genE8ELNS1_11target_archE1030ELNS1_3gpuE2ELNS1_3repE0EEES8_NS1_28merge_sort_block_sort_configILj256ELj4ELNS0_20block_sort_algorithmE0EEENS0_14default_configENS1_37merge_sort_block_sort_config_selectorIllEENS1_38merge_sort_block_merge_config_selectorIllEEEEvv.kd
    .uniform_work_group_size: 1
    .uses_dynamic_stack: false
    .vgpr_count:     0
    .vgpr_spill_count: 0
    .wavefront_size: 64
  - .agpr_count:     0
    .args:
      - .offset:         0
        .size:           40
        .value_kind:     by_value
    .group_segment_fixed_size: 0
    .kernarg_segment_align: 8
    .kernarg_segment_size: 40
    .language:       OpenCL C
    .language_version:
      - 2
      - 0
    .max_flat_workgroup_size: 128
    .name:           _ZN7rocprim17ROCPRIM_400000_NS6detail17trampoline_kernelINS0_14default_configENS1_38merge_sort_block_merge_config_selectorIllEEZZNS1_27merge_sort_block_merge_implIS3_PlN6thrust23THRUST_200600_302600_NS10device_ptrIlEEjNS1_19radix_merge_compareILb0ELb0ElNS0_19identity_decomposerEEEEE10hipError_tT0_T1_T2_jT3_P12ihipStream_tbPNSt15iterator_traitsISG_E10value_typeEPNSM_ISH_E10value_typeEPSI_NS1_7vsmem_tEENKUlT_SG_SH_SI_E_clIS7_S7_S7_SB_EESF_SV_SG_SH_SI_EUlSV_E_NS1_11comp_targetILNS1_3genE0ELNS1_11target_archE4294967295ELNS1_3gpuE0ELNS1_3repE0EEENS1_48merge_mergepath_partition_config_static_selectorELNS0_4arch9wavefront6targetE1EEEvSH_
    .private_segment_fixed_size: 0
    .sgpr_count:     4
    .sgpr_spill_count: 0
    .symbol:         _ZN7rocprim17ROCPRIM_400000_NS6detail17trampoline_kernelINS0_14default_configENS1_38merge_sort_block_merge_config_selectorIllEEZZNS1_27merge_sort_block_merge_implIS3_PlN6thrust23THRUST_200600_302600_NS10device_ptrIlEEjNS1_19radix_merge_compareILb0ELb0ElNS0_19identity_decomposerEEEEE10hipError_tT0_T1_T2_jT3_P12ihipStream_tbPNSt15iterator_traitsISG_E10value_typeEPNSM_ISH_E10value_typeEPSI_NS1_7vsmem_tEENKUlT_SG_SH_SI_E_clIS7_S7_S7_SB_EESF_SV_SG_SH_SI_EUlSV_E_NS1_11comp_targetILNS1_3genE0ELNS1_11target_archE4294967295ELNS1_3gpuE0ELNS1_3repE0EEENS1_48merge_mergepath_partition_config_static_selectorELNS0_4arch9wavefront6targetE1EEEvSH_.kd
    .uniform_work_group_size: 1
    .uses_dynamic_stack: false
    .vgpr_count:     0
    .vgpr_spill_count: 0
    .wavefront_size: 64
  - .agpr_count:     0
    .args:
      - .offset:         0
        .size:           40
        .value_kind:     by_value
    .group_segment_fixed_size: 0
    .kernarg_segment_align: 8
    .kernarg_segment_size: 40
    .language:       OpenCL C
    .language_version:
      - 2
      - 0
    .max_flat_workgroup_size: 128
    .name:           _ZN7rocprim17ROCPRIM_400000_NS6detail17trampoline_kernelINS0_14default_configENS1_38merge_sort_block_merge_config_selectorIllEEZZNS1_27merge_sort_block_merge_implIS3_PlN6thrust23THRUST_200600_302600_NS10device_ptrIlEEjNS1_19radix_merge_compareILb0ELb0ElNS0_19identity_decomposerEEEEE10hipError_tT0_T1_T2_jT3_P12ihipStream_tbPNSt15iterator_traitsISG_E10value_typeEPNSM_ISH_E10value_typeEPSI_NS1_7vsmem_tEENKUlT_SG_SH_SI_E_clIS7_S7_S7_SB_EESF_SV_SG_SH_SI_EUlSV_E_NS1_11comp_targetILNS1_3genE10ELNS1_11target_archE1201ELNS1_3gpuE5ELNS1_3repE0EEENS1_48merge_mergepath_partition_config_static_selectorELNS0_4arch9wavefront6targetE1EEEvSH_
    .private_segment_fixed_size: 0
    .sgpr_count:     4
    .sgpr_spill_count: 0
    .symbol:         _ZN7rocprim17ROCPRIM_400000_NS6detail17trampoline_kernelINS0_14default_configENS1_38merge_sort_block_merge_config_selectorIllEEZZNS1_27merge_sort_block_merge_implIS3_PlN6thrust23THRUST_200600_302600_NS10device_ptrIlEEjNS1_19radix_merge_compareILb0ELb0ElNS0_19identity_decomposerEEEEE10hipError_tT0_T1_T2_jT3_P12ihipStream_tbPNSt15iterator_traitsISG_E10value_typeEPNSM_ISH_E10value_typeEPSI_NS1_7vsmem_tEENKUlT_SG_SH_SI_E_clIS7_S7_S7_SB_EESF_SV_SG_SH_SI_EUlSV_E_NS1_11comp_targetILNS1_3genE10ELNS1_11target_archE1201ELNS1_3gpuE5ELNS1_3repE0EEENS1_48merge_mergepath_partition_config_static_selectorELNS0_4arch9wavefront6targetE1EEEvSH_.kd
    .uniform_work_group_size: 1
    .uses_dynamic_stack: false
    .vgpr_count:     0
    .vgpr_spill_count: 0
    .wavefront_size: 64
  - .agpr_count:     0
    .args:
      - .offset:         0
        .size:           40
        .value_kind:     by_value
    .group_segment_fixed_size: 0
    .kernarg_segment_align: 8
    .kernarg_segment_size: 40
    .language:       OpenCL C
    .language_version:
      - 2
      - 0
    .max_flat_workgroup_size: 128
    .name:           _ZN7rocprim17ROCPRIM_400000_NS6detail17trampoline_kernelINS0_14default_configENS1_38merge_sort_block_merge_config_selectorIllEEZZNS1_27merge_sort_block_merge_implIS3_PlN6thrust23THRUST_200600_302600_NS10device_ptrIlEEjNS1_19radix_merge_compareILb0ELb0ElNS0_19identity_decomposerEEEEE10hipError_tT0_T1_T2_jT3_P12ihipStream_tbPNSt15iterator_traitsISG_E10value_typeEPNSM_ISH_E10value_typeEPSI_NS1_7vsmem_tEENKUlT_SG_SH_SI_E_clIS7_S7_S7_SB_EESF_SV_SG_SH_SI_EUlSV_E_NS1_11comp_targetILNS1_3genE5ELNS1_11target_archE942ELNS1_3gpuE9ELNS1_3repE0EEENS1_48merge_mergepath_partition_config_static_selectorELNS0_4arch9wavefront6targetE1EEEvSH_
    .private_segment_fixed_size: 0
    .sgpr_count:     4
    .sgpr_spill_count: 0
    .symbol:         _ZN7rocprim17ROCPRIM_400000_NS6detail17trampoline_kernelINS0_14default_configENS1_38merge_sort_block_merge_config_selectorIllEEZZNS1_27merge_sort_block_merge_implIS3_PlN6thrust23THRUST_200600_302600_NS10device_ptrIlEEjNS1_19radix_merge_compareILb0ELb0ElNS0_19identity_decomposerEEEEE10hipError_tT0_T1_T2_jT3_P12ihipStream_tbPNSt15iterator_traitsISG_E10value_typeEPNSM_ISH_E10value_typeEPSI_NS1_7vsmem_tEENKUlT_SG_SH_SI_E_clIS7_S7_S7_SB_EESF_SV_SG_SH_SI_EUlSV_E_NS1_11comp_targetILNS1_3genE5ELNS1_11target_archE942ELNS1_3gpuE9ELNS1_3repE0EEENS1_48merge_mergepath_partition_config_static_selectorELNS0_4arch9wavefront6targetE1EEEvSH_.kd
    .uniform_work_group_size: 1
    .uses_dynamic_stack: false
    .vgpr_count:     0
    .vgpr_spill_count: 0
    .wavefront_size: 64
  - .agpr_count:     0
    .args:
      - .offset:         0
        .size:           40
        .value_kind:     by_value
    .group_segment_fixed_size: 0
    .kernarg_segment_align: 8
    .kernarg_segment_size: 40
    .language:       OpenCL C
    .language_version:
      - 2
      - 0
    .max_flat_workgroup_size: 128
    .name:           _ZN7rocprim17ROCPRIM_400000_NS6detail17trampoline_kernelINS0_14default_configENS1_38merge_sort_block_merge_config_selectorIllEEZZNS1_27merge_sort_block_merge_implIS3_PlN6thrust23THRUST_200600_302600_NS10device_ptrIlEEjNS1_19radix_merge_compareILb0ELb0ElNS0_19identity_decomposerEEEEE10hipError_tT0_T1_T2_jT3_P12ihipStream_tbPNSt15iterator_traitsISG_E10value_typeEPNSM_ISH_E10value_typeEPSI_NS1_7vsmem_tEENKUlT_SG_SH_SI_E_clIS7_S7_S7_SB_EESF_SV_SG_SH_SI_EUlSV_E_NS1_11comp_targetILNS1_3genE4ELNS1_11target_archE910ELNS1_3gpuE8ELNS1_3repE0EEENS1_48merge_mergepath_partition_config_static_selectorELNS0_4arch9wavefront6targetE1EEEvSH_
    .private_segment_fixed_size: 0
    .sgpr_count:     12
    .sgpr_spill_count: 0
    .symbol:         _ZN7rocprim17ROCPRIM_400000_NS6detail17trampoline_kernelINS0_14default_configENS1_38merge_sort_block_merge_config_selectorIllEEZZNS1_27merge_sort_block_merge_implIS3_PlN6thrust23THRUST_200600_302600_NS10device_ptrIlEEjNS1_19radix_merge_compareILb0ELb0ElNS0_19identity_decomposerEEEEE10hipError_tT0_T1_T2_jT3_P12ihipStream_tbPNSt15iterator_traitsISG_E10value_typeEPNSM_ISH_E10value_typeEPSI_NS1_7vsmem_tEENKUlT_SG_SH_SI_E_clIS7_S7_S7_SB_EESF_SV_SG_SH_SI_EUlSV_E_NS1_11comp_targetILNS1_3genE4ELNS1_11target_archE910ELNS1_3gpuE8ELNS1_3repE0EEENS1_48merge_mergepath_partition_config_static_selectorELNS0_4arch9wavefront6targetE1EEEvSH_.kd
    .uniform_work_group_size: 1
    .uses_dynamic_stack: false
    .vgpr_count:     20
    .vgpr_spill_count: 0
    .wavefront_size: 64
  - .agpr_count:     0
    .args:
      - .offset:         0
        .size:           40
        .value_kind:     by_value
    .group_segment_fixed_size: 0
    .kernarg_segment_align: 8
    .kernarg_segment_size: 40
    .language:       OpenCL C
    .language_version:
      - 2
      - 0
    .max_flat_workgroup_size: 128
    .name:           _ZN7rocprim17ROCPRIM_400000_NS6detail17trampoline_kernelINS0_14default_configENS1_38merge_sort_block_merge_config_selectorIllEEZZNS1_27merge_sort_block_merge_implIS3_PlN6thrust23THRUST_200600_302600_NS10device_ptrIlEEjNS1_19radix_merge_compareILb0ELb0ElNS0_19identity_decomposerEEEEE10hipError_tT0_T1_T2_jT3_P12ihipStream_tbPNSt15iterator_traitsISG_E10value_typeEPNSM_ISH_E10value_typeEPSI_NS1_7vsmem_tEENKUlT_SG_SH_SI_E_clIS7_S7_S7_SB_EESF_SV_SG_SH_SI_EUlSV_E_NS1_11comp_targetILNS1_3genE3ELNS1_11target_archE908ELNS1_3gpuE7ELNS1_3repE0EEENS1_48merge_mergepath_partition_config_static_selectorELNS0_4arch9wavefront6targetE1EEEvSH_
    .private_segment_fixed_size: 0
    .sgpr_count:     4
    .sgpr_spill_count: 0
    .symbol:         _ZN7rocprim17ROCPRIM_400000_NS6detail17trampoline_kernelINS0_14default_configENS1_38merge_sort_block_merge_config_selectorIllEEZZNS1_27merge_sort_block_merge_implIS3_PlN6thrust23THRUST_200600_302600_NS10device_ptrIlEEjNS1_19radix_merge_compareILb0ELb0ElNS0_19identity_decomposerEEEEE10hipError_tT0_T1_T2_jT3_P12ihipStream_tbPNSt15iterator_traitsISG_E10value_typeEPNSM_ISH_E10value_typeEPSI_NS1_7vsmem_tEENKUlT_SG_SH_SI_E_clIS7_S7_S7_SB_EESF_SV_SG_SH_SI_EUlSV_E_NS1_11comp_targetILNS1_3genE3ELNS1_11target_archE908ELNS1_3gpuE7ELNS1_3repE0EEENS1_48merge_mergepath_partition_config_static_selectorELNS0_4arch9wavefront6targetE1EEEvSH_.kd
    .uniform_work_group_size: 1
    .uses_dynamic_stack: false
    .vgpr_count:     0
    .vgpr_spill_count: 0
    .wavefront_size: 64
  - .agpr_count:     0
    .args:
      - .offset:         0
        .size:           40
        .value_kind:     by_value
    .group_segment_fixed_size: 0
    .kernarg_segment_align: 8
    .kernarg_segment_size: 40
    .language:       OpenCL C
    .language_version:
      - 2
      - 0
    .max_flat_workgroup_size: 128
    .name:           _ZN7rocprim17ROCPRIM_400000_NS6detail17trampoline_kernelINS0_14default_configENS1_38merge_sort_block_merge_config_selectorIllEEZZNS1_27merge_sort_block_merge_implIS3_PlN6thrust23THRUST_200600_302600_NS10device_ptrIlEEjNS1_19radix_merge_compareILb0ELb0ElNS0_19identity_decomposerEEEEE10hipError_tT0_T1_T2_jT3_P12ihipStream_tbPNSt15iterator_traitsISG_E10value_typeEPNSM_ISH_E10value_typeEPSI_NS1_7vsmem_tEENKUlT_SG_SH_SI_E_clIS7_S7_S7_SB_EESF_SV_SG_SH_SI_EUlSV_E_NS1_11comp_targetILNS1_3genE2ELNS1_11target_archE906ELNS1_3gpuE6ELNS1_3repE0EEENS1_48merge_mergepath_partition_config_static_selectorELNS0_4arch9wavefront6targetE1EEEvSH_
    .private_segment_fixed_size: 0
    .sgpr_count:     4
    .sgpr_spill_count: 0
    .symbol:         _ZN7rocprim17ROCPRIM_400000_NS6detail17trampoline_kernelINS0_14default_configENS1_38merge_sort_block_merge_config_selectorIllEEZZNS1_27merge_sort_block_merge_implIS3_PlN6thrust23THRUST_200600_302600_NS10device_ptrIlEEjNS1_19radix_merge_compareILb0ELb0ElNS0_19identity_decomposerEEEEE10hipError_tT0_T1_T2_jT3_P12ihipStream_tbPNSt15iterator_traitsISG_E10value_typeEPNSM_ISH_E10value_typeEPSI_NS1_7vsmem_tEENKUlT_SG_SH_SI_E_clIS7_S7_S7_SB_EESF_SV_SG_SH_SI_EUlSV_E_NS1_11comp_targetILNS1_3genE2ELNS1_11target_archE906ELNS1_3gpuE6ELNS1_3repE0EEENS1_48merge_mergepath_partition_config_static_selectorELNS0_4arch9wavefront6targetE1EEEvSH_.kd
    .uniform_work_group_size: 1
    .uses_dynamic_stack: false
    .vgpr_count:     0
    .vgpr_spill_count: 0
    .wavefront_size: 64
  - .agpr_count:     0
    .args:
      - .offset:         0
        .size:           40
        .value_kind:     by_value
    .group_segment_fixed_size: 0
    .kernarg_segment_align: 8
    .kernarg_segment_size: 40
    .language:       OpenCL C
    .language_version:
      - 2
      - 0
    .max_flat_workgroup_size: 128
    .name:           _ZN7rocprim17ROCPRIM_400000_NS6detail17trampoline_kernelINS0_14default_configENS1_38merge_sort_block_merge_config_selectorIllEEZZNS1_27merge_sort_block_merge_implIS3_PlN6thrust23THRUST_200600_302600_NS10device_ptrIlEEjNS1_19radix_merge_compareILb0ELb0ElNS0_19identity_decomposerEEEEE10hipError_tT0_T1_T2_jT3_P12ihipStream_tbPNSt15iterator_traitsISG_E10value_typeEPNSM_ISH_E10value_typeEPSI_NS1_7vsmem_tEENKUlT_SG_SH_SI_E_clIS7_S7_S7_SB_EESF_SV_SG_SH_SI_EUlSV_E_NS1_11comp_targetILNS1_3genE9ELNS1_11target_archE1100ELNS1_3gpuE3ELNS1_3repE0EEENS1_48merge_mergepath_partition_config_static_selectorELNS0_4arch9wavefront6targetE1EEEvSH_
    .private_segment_fixed_size: 0
    .sgpr_count:     4
    .sgpr_spill_count: 0
    .symbol:         _ZN7rocprim17ROCPRIM_400000_NS6detail17trampoline_kernelINS0_14default_configENS1_38merge_sort_block_merge_config_selectorIllEEZZNS1_27merge_sort_block_merge_implIS3_PlN6thrust23THRUST_200600_302600_NS10device_ptrIlEEjNS1_19radix_merge_compareILb0ELb0ElNS0_19identity_decomposerEEEEE10hipError_tT0_T1_T2_jT3_P12ihipStream_tbPNSt15iterator_traitsISG_E10value_typeEPNSM_ISH_E10value_typeEPSI_NS1_7vsmem_tEENKUlT_SG_SH_SI_E_clIS7_S7_S7_SB_EESF_SV_SG_SH_SI_EUlSV_E_NS1_11comp_targetILNS1_3genE9ELNS1_11target_archE1100ELNS1_3gpuE3ELNS1_3repE0EEENS1_48merge_mergepath_partition_config_static_selectorELNS0_4arch9wavefront6targetE1EEEvSH_.kd
    .uniform_work_group_size: 1
    .uses_dynamic_stack: false
    .vgpr_count:     0
    .vgpr_spill_count: 0
    .wavefront_size: 64
  - .agpr_count:     0
    .args:
      - .offset:         0
        .size:           40
        .value_kind:     by_value
    .group_segment_fixed_size: 0
    .kernarg_segment_align: 8
    .kernarg_segment_size: 40
    .language:       OpenCL C
    .language_version:
      - 2
      - 0
    .max_flat_workgroup_size: 128
    .name:           _ZN7rocprim17ROCPRIM_400000_NS6detail17trampoline_kernelINS0_14default_configENS1_38merge_sort_block_merge_config_selectorIllEEZZNS1_27merge_sort_block_merge_implIS3_PlN6thrust23THRUST_200600_302600_NS10device_ptrIlEEjNS1_19radix_merge_compareILb0ELb0ElNS0_19identity_decomposerEEEEE10hipError_tT0_T1_T2_jT3_P12ihipStream_tbPNSt15iterator_traitsISG_E10value_typeEPNSM_ISH_E10value_typeEPSI_NS1_7vsmem_tEENKUlT_SG_SH_SI_E_clIS7_S7_S7_SB_EESF_SV_SG_SH_SI_EUlSV_E_NS1_11comp_targetILNS1_3genE8ELNS1_11target_archE1030ELNS1_3gpuE2ELNS1_3repE0EEENS1_48merge_mergepath_partition_config_static_selectorELNS0_4arch9wavefront6targetE1EEEvSH_
    .private_segment_fixed_size: 0
    .sgpr_count:     4
    .sgpr_spill_count: 0
    .symbol:         _ZN7rocprim17ROCPRIM_400000_NS6detail17trampoline_kernelINS0_14default_configENS1_38merge_sort_block_merge_config_selectorIllEEZZNS1_27merge_sort_block_merge_implIS3_PlN6thrust23THRUST_200600_302600_NS10device_ptrIlEEjNS1_19radix_merge_compareILb0ELb0ElNS0_19identity_decomposerEEEEE10hipError_tT0_T1_T2_jT3_P12ihipStream_tbPNSt15iterator_traitsISG_E10value_typeEPNSM_ISH_E10value_typeEPSI_NS1_7vsmem_tEENKUlT_SG_SH_SI_E_clIS7_S7_S7_SB_EESF_SV_SG_SH_SI_EUlSV_E_NS1_11comp_targetILNS1_3genE8ELNS1_11target_archE1030ELNS1_3gpuE2ELNS1_3repE0EEENS1_48merge_mergepath_partition_config_static_selectorELNS0_4arch9wavefront6targetE1EEEvSH_.kd
    .uniform_work_group_size: 1
    .uses_dynamic_stack: false
    .vgpr_count:     0
    .vgpr_spill_count: 0
    .wavefront_size: 64
  - .agpr_count:     0
    .args:
      - .offset:         0
        .size:           64
        .value_kind:     by_value
    .group_segment_fixed_size: 0
    .kernarg_segment_align: 8
    .kernarg_segment_size: 64
    .language:       OpenCL C
    .language_version:
      - 2
      - 0
    .max_flat_workgroup_size: 512
    .name:           _ZN7rocprim17ROCPRIM_400000_NS6detail17trampoline_kernelINS0_14default_configENS1_38merge_sort_block_merge_config_selectorIllEEZZNS1_27merge_sort_block_merge_implIS3_PlN6thrust23THRUST_200600_302600_NS10device_ptrIlEEjNS1_19radix_merge_compareILb0ELb0ElNS0_19identity_decomposerEEEEE10hipError_tT0_T1_T2_jT3_P12ihipStream_tbPNSt15iterator_traitsISG_E10value_typeEPNSM_ISH_E10value_typeEPSI_NS1_7vsmem_tEENKUlT_SG_SH_SI_E_clIS7_S7_S7_SB_EESF_SV_SG_SH_SI_EUlSV_E0_NS1_11comp_targetILNS1_3genE0ELNS1_11target_archE4294967295ELNS1_3gpuE0ELNS1_3repE0EEENS1_38merge_mergepath_config_static_selectorELNS0_4arch9wavefront6targetE1EEEvSH_
    .private_segment_fixed_size: 0
    .sgpr_count:     4
    .sgpr_spill_count: 0
    .symbol:         _ZN7rocprim17ROCPRIM_400000_NS6detail17trampoline_kernelINS0_14default_configENS1_38merge_sort_block_merge_config_selectorIllEEZZNS1_27merge_sort_block_merge_implIS3_PlN6thrust23THRUST_200600_302600_NS10device_ptrIlEEjNS1_19radix_merge_compareILb0ELb0ElNS0_19identity_decomposerEEEEE10hipError_tT0_T1_T2_jT3_P12ihipStream_tbPNSt15iterator_traitsISG_E10value_typeEPNSM_ISH_E10value_typeEPSI_NS1_7vsmem_tEENKUlT_SG_SH_SI_E_clIS7_S7_S7_SB_EESF_SV_SG_SH_SI_EUlSV_E0_NS1_11comp_targetILNS1_3genE0ELNS1_11target_archE4294967295ELNS1_3gpuE0ELNS1_3repE0EEENS1_38merge_mergepath_config_static_selectorELNS0_4arch9wavefront6targetE1EEEvSH_.kd
    .uniform_work_group_size: 1
    .uses_dynamic_stack: false
    .vgpr_count:     0
    .vgpr_spill_count: 0
    .wavefront_size: 64
  - .agpr_count:     0
    .args:
      - .offset:         0
        .size:           64
        .value_kind:     by_value
    .group_segment_fixed_size: 0
    .kernarg_segment_align: 8
    .kernarg_segment_size: 64
    .language:       OpenCL C
    .language_version:
      - 2
      - 0
    .max_flat_workgroup_size: 512
    .name:           _ZN7rocprim17ROCPRIM_400000_NS6detail17trampoline_kernelINS0_14default_configENS1_38merge_sort_block_merge_config_selectorIllEEZZNS1_27merge_sort_block_merge_implIS3_PlN6thrust23THRUST_200600_302600_NS10device_ptrIlEEjNS1_19radix_merge_compareILb0ELb0ElNS0_19identity_decomposerEEEEE10hipError_tT0_T1_T2_jT3_P12ihipStream_tbPNSt15iterator_traitsISG_E10value_typeEPNSM_ISH_E10value_typeEPSI_NS1_7vsmem_tEENKUlT_SG_SH_SI_E_clIS7_S7_S7_SB_EESF_SV_SG_SH_SI_EUlSV_E0_NS1_11comp_targetILNS1_3genE10ELNS1_11target_archE1201ELNS1_3gpuE5ELNS1_3repE0EEENS1_38merge_mergepath_config_static_selectorELNS0_4arch9wavefront6targetE1EEEvSH_
    .private_segment_fixed_size: 0
    .sgpr_count:     4
    .sgpr_spill_count: 0
    .symbol:         _ZN7rocprim17ROCPRIM_400000_NS6detail17trampoline_kernelINS0_14default_configENS1_38merge_sort_block_merge_config_selectorIllEEZZNS1_27merge_sort_block_merge_implIS3_PlN6thrust23THRUST_200600_302600_NS10device_ptrIlEEjNS1_19radix_merge_compareILb0ELb0ElNS0_19identity_decomposerEEEEE10hipError_tT0_T1_T2_jT3_P12ihipStream_tbPNSt15iterator_traitsISG_E10value_typeEPNSM_ISH_E10value_typeEPSI_NS1_7vsmem_tEENKUlT_SG_SH_SI_E_clIS7_S7_S7_SB_EESF_SV_SG_SH_SI_EUlSV_E0_NS1_11comp_targetILNS1_3genE10ELNS1_11target_archE1201ELNS1_3gpuE5ELNS1_3repE0EEENS1_38merge_mergepath_config_static_selectorELNS0_4arch9wavefront6targetE1EEEvSH_.kd
    .uniform_work_group_size: 1
    .uses_dynamic_stack: false
    .vgpr_count:     0
    .vgpr_spill_count: 0
    .wavefront_size: 64
  - .agpr_count:     0
    .args:
      - .offset:         0
        .size:           64
        .value_kind:     by_value
    .group_segment_fixed_size: 0
    .kernarg_segment_align: 8
    .kernarg_segment_size: 64
    .language:       OpenCL C
    .language_version:
      - 2
      - 0
    .max_flat_workgroup_size: 256
    .name:           _ZN7rocprim17ROCPRIM_400000_NS6detail17trampoline_kernelINS0_14default_configENS1_38merge_sort_block_merge_config_selectorIllEEZZNS1_27merge_sort_block_merge_implIS3_PlN6thrust23THRUST_200600_302600_NS10device_ptrIlEEjNS1_19radix_merge_compareILb0ELb0ElNS0_19identity_decomposerEEEEE10hipError_tT0_T1_T2_jT3_P12ihipStream_tbPNSt15iterator_traitsISG_E10value_typeEPNSM_ISH_E10value_typeEPSI_NS1_7vsmem_tEENKUlT_SG_SH_SI_E_clIS7_S7_S7_SB_EESF_SV_SG_SH_SI_EUlSV_E0_NS1_11comp_targetILNS1_3genE5ELNS1_11target_archE942ELNS1_3gpuE9ELNS1_3repE0EEENS1_38merge_mergepath_config_static_selectorELNS0_4arch9wavefront6targetE1EEEvSH_
    .private_segment_fixed_size: 0
    .sgpr_count:     4
    .sgpr_spill_count: 0
    .symbol:         _ZN7rocprim17ROCPRIM_400000_NS6detail17trampoline_kernelINS0_14default_configENS1_38merge_sort_block_merge_config_selectorIllEEZZNS1_27merge_sort_block_merge_implIS3_PlN6thrust23THRUST_200600_302600_NS10device_ptrIlEEjNS1_19radix_merge_compareILb0ELb0ElNS0_19identity_decomposerEEEEE10hipError_tT0_T1_T2_jT3_P12ihipStream_tbPNSt15iterator_traitsISG_E10value_typeEPNSM_ISH_E10value_typeEPSI_NS1_7vsmem_tEENKUlT_SG_SH_SI_E_clIS7_S7_S7_SB_EESF_SV_SG_SH_SI_EUlSV_E0_NS1_11comp_targetILNS1_3genE5ELNS1_11target_archE942ELNS1_3gpuE9ELNS1_3repE0EEENS1_38merge_mergepath_config_static_selectorELNS0_4arch9wavefront6targetE1EEEvSH_.kd
    .uniform_work_group_size: 1
    .uses_dynamic_stack: false
    .vgpr_count:     0
    .vgpr_spill_count: 0
    .wavefront_size: 64
  - .agpr_count:     0
    .args:
      - .offset:         0
        .size:           64
        .value_kind:     by_value
      - .offset:         64
        .size:           4
        .value_kind:     hidden_block_count_x
      - .offset:         68
        .size:           4
        .value_kind:     hidden_block_count_y
      - .offset:         72
        .size:           4
        .value_kind:     hidden_block_count_z
      - .offset:         76
        .size:           2
        .value_kind:     hidden_group_size_x
      - .offset:         78
        .size:           2
        .value_kind:     hidden_group_size_y
      - .offset:         80
        .size:           2
        .value_kind:     hidden_group_size_z
      - .offset:         82
        .size:           2
        .value_kind:     hidden_remainder_x
      - .offset:         84
        .size:           2
        .value_kind:     hidden_remainder_y
      - .offset:         86
        .size:           2
        .value_kind:     hidden_remainder_z
      - .offset:         104
        .size:           8
        .value_kind:     hidden_global_offset_x
      - .offset:         112
        .size:           8
        .value_kind:     hidden_global_offset_y
      - .offset:         120
        .size:           8
        .value_kind:     hidden_global_offset_z
      - .offset:         128
        .size:           2
        .value_kind:     hidden_grid_dims
    .group_segment_fixed_size: 8448
    .kernarg_segment_align: 8
    .kernarg_segment_size: 320
    .language:       OpenCL C
    .language_version:
      - 2
      - 0
    .max_flat_workgroup_size: 512
    .name:           _ZN7rocprim17ROCPRIM_400000_NS6detail17trampoline_kernelINS0_14default_configENS1_38merge_sort_block_merge_config_selectorIllEEZZNS1_27merge_sort_block_merge_implIS3_PlN6thrust23THRUST_200600_302600_NS10device_ptrIlEEjNS1_19radix_merge_compareILb0ELb0ElNS0_19identity_decomposerEEEEE10hipError_tT0_T1_T2_jT3_P12ihipStream_tbPNSt15iterator_traitsISG_E10value_typeEPNSM_ISH_E10value_typeEPSI_NS1_7vsmem_tEENKUlT_SG_SH_SI_E_clIS7_S7_S7_SB_EESF_SV_SG_SH_SI_EUlSV_E0_NS1_11comp_targetILNS1_3genE4ELNS1_11target_archE910ELNS1_3gpuE8ELNS1_3repE0EEENS1_38merge_mergepath_config_static_selectorELNS0_4arch9wavefront6targetE1EEEvSH_
    .private_segment_fixed_size: 0
    .sgpr_count:     35
    .sgpr_spill_count: 0
    .symbol:         _ZN7rocprim17ROCPRIM_400000_NS6detail17trampoline_kernelINS0_14default_configENS1_38merge_sort_block_merge_config_selectorIllEEZZNS1_27merge_sort_block_merge_implIS3_PlN6thrust23THRUST_200600_302600_NS10device_ptrIlEEjNS1_19radix_merge_compareILb0ELb0ElNS0_19identity_decomposerEEEEE10hipError_tT0_T1_T2_jT3_P12ihipStream_tbPNSt15iterator_traitsISG_E10value_typeEPNSM_ISH_E10value_typeEPSI_NS1_7vsmem_tEENKUlT_SG_SH_SI_E_clIS7_S7_S7_SB_EESF_SV_SG_SH_SI_EUlSV_E0_NS1_11comp_targetILNS1_3genE4ELNS1_11target_archE910ELNS1_3gpuE8ELNS1_3repE0EEENS1_38merge_mergepath_config_static_selectorELNS0_4arch9wavefront6targetE1EEEvSH_.kd
    .uniform_work_group_size: 1
    .uses_dynamic_stack: false
    .vgpr_count:     21
    .vgpr_spill_count: 0
    .wavefront_size: 64
  - .agpr_count:     0
    .args:
      - .offset:         0
        .size:           64
        .value_kind:     by_value
    .group_segment_fixed_size: 0
    .kernarg_segment_align: 8
    .kernarg_segment_size: 64
    .language:       OpenCL C
    .language_version:
      - 2
      - 0
    .max_flat_workgroup_size: 512
    .name:           _ZN7rocprim17ROCPRIM_400000_NS6detail17trampoline_kernelINS0_14default_configENS1_38merge_sort_block_merge_config_selectorIllEEZZNS1_27merge_sort_block_merge_implIS3_PlN6thrust23THRUST_200600_302600_NS10device_ptrIlEEjNS1_19radix_merge_compareILb0ELb0ElNS0_19identity_decomposerEEEEE10hipError_tT0_T1_T2_jT3_P12ihipStream_tbPNSt15iterator_traitsISG_E10value_typeEPNSM_ISH_E10value_typeEPSI_NS1_7vsmem_tEENKUlT_SG_SH_SI_E_clIS7_S7_S7_SB_EESF_SV_SG_SH_SI_EUlSV_E0_NS1_11comp_targetILNS1_3genE3ELNS1_11target_archE908ELNS1_3gpuE7ELNS1_3repE0EEENS1_38merge_mergepath_config_static_selectorELNS0_4arch9wavefront6targetE1EEEvSH_
    .private_segment_fixed_size: 0
    .sgpr_count:     4
    .sgpr_spill_count: 0
    .symbol:         _ZN7rocprim17ROCPRIM_400000_NS6detail17trampoline_kernelINS0_14default_configENS1_38merge_sort_block_merge_config_selectorIllEEZZNS1_27merge_sort_block_merge_implIS3_PlN6thrust23THRUST_200600_302600_NS10device_ptrIlEEjNS1_19radix_merge_compareILb0ELb0ElNS0_19identity_decomposerEEEEE10hipError_tT0_T1_T2_jT3_P12ihipStream_tbPNSt15iterator_traitsISG_E10value_typeEPNSM_ISH_E10value_typeEPSI_NS1_7vsmem_tEENKUlT_SG_SH_SI_E_clIS7_S7_S7_SB_EESF_SV_SG_SH_SI_EUlSV_E0_NS1_11comp_targetILNS1_3genE3ELNS1_11target_archE908ELNS1_3gpuE7ELNS1_3repE0EEENS1_38merge_mergepath_config_static_selectorELNS0_4arch9wavefront6targetE1EEEvSH_.kd
    .uniform_work_group_size: 1
    .uses_dynamic_stack: false
    .vgpr_count:     0
    .vgpr_spill_count: 0
    .wavefront_size: 64
  - .agpr_count:     0
    .args:
      - .offset:         0
        .size:           64
        .value_kind:     by_value
    .group_segment_fixed_size: 0
    .kernarg_segment_align: 8
    .kernarg_segment_size: 64
    .language:       OpenCL C
    .language_version:
      - 2
      - 0
    .max_flat_workgroup_size: 128
    .name:           _ZN7rocprim17ROCPRIM_400000_NS6detail17trampoline_kernelINS0_14default_configENS1_38merge_sort_block_merge_config_selectorIllEEZZNS1_27merge_sort_block_merge_implIS3_PlN6thrust23THRUST_200600_302600_NS10device_ptrIlEEjNS1_19radix_merge_compareILb0ELb0ElNS0_19identity_decomposerEEEEE10hipError_tT0_T1_T2_jT3_P12ihipStream_tbPNSt15iterator_traitsISG_E10value_typeEPNSM_ISH_E10value_typeEPSI_NS1_7vsmem_tEENKUlT_SG_SH_SI_E_clIS7_S7_S7_SB_EESF_SV_SG_SH_SI_EUlSV_E0_NS1_11comp_targetILNS1_3genE2ELNS1_11target_archE906ELNS1_3gpuE6ELNS1_3repE0EEENS1_38merge_mergepath_config_static_selectorELNS0_4arch9wavefront6targetE1EEEvSH_
    .private_segment_fixed_size: 0
    .sgpr_count:     4
    .sgpr_spill_count: 0
    .symbol:         _ZN7rocprim17ROCPRIM_400000_NS6detail17trampoline_kernelINS0_14default_configENS1_38merge_sort_block_merge_config_selectorIllEEZZNS1_27merge_sort_block_merge_implIS3_PlN6thrust23THRUST_200600_302600_NS10device_ptrIlEEjNS1_19radix_merge_compareILb0ELb0ElNS0_19identity_decomposerEEEEE10hipError_tT0_T1_T2_jT3_P12ihipStream_tbPNSt15iterator_traitsISG_E10value_typeEPNSM_ISH_E10value_typeEPSI_NS1_7vsmem_tEENKUlT_SG_SH_SI_E_clIS7_S7_S7_SB_EESF_SV_SG_SH_SI_EUlSV_E0_NS1_11comp_targetILNS1_3genE2ELNS1_11target_archE906ELNS1_3gpuE6ELNS1_3repE0EEENS1_38merge_mergepath_config_static_selectorELNS0_4arch9wavefront6targetE1EEEvSH_.kd
    .uniform_work_group_size: 1
    .uses_dynamic_stack: false
    .vgpr_count:     0
    .vgpr_spill_count: 0
    .wavefront_size: 64
  - .agpr_count:     0
    .args:
      - .offset:         0
        .size:           64
        .value_kind:     by_value
    .group_segment_fixed_size: 0
    .kernarg_segment_align: 8
    .kernarg_segment_size: 64
    .language:       OpenCL C
    .language_version:
      - 2
      - 0
    .max_flat_workgroup_size: 1024
    .name:           _ZN7rocprim17ROCPRIM_400000_NS6detail17trampoline_kernelINS0_14default_configENS1_38merge_sort_block_merge_config_selectorIllEEZZNS1_27merge_sort_block_merge_implIS3_PlN6thrust23THRUST_200600_302600_NS10device_ptrIlEEjNS1_19radix_merge_compareILb0ELb0ElNS0_19identity_decomposerEEEEE10hipError_tT0_T1_T2_jT3_P12ihipStream_tbPNSt15iterator_traitsISG_E10value_typeEPNSM_ISH_E10value_typeEPSI_NS1_7vsmem_tEENKUlT_SG_SH_SI_E_clIS7_S7_S7_SB_EESF_SV_SG_SH_SI_EUlSV_E0_NS1_11comp_targetILNS1_3genE9ELNS1_11target_archE1100ELNS1_3gpuE3ELNS1_3repE0EEENS1_38merge_mergepath_config_static_selectorELNS0_4arch9wavefront6targetE1EEEvSH_
    .private_segment_fixed_size: 0
    .sgpr_count:     4
    .sgpr_spill_count: 0
    .symbol:         _ZN7rocprim17ROCPRIM_400000_NS6detail17trampoline_kernelINS0_14default_configENS1_38merge_sort_block_merge_config_selectorIllEEZZNS1_27merge_sort_block_merge_implIS3_PlN6thrust23THRUST_200600_302600_NS10device_ptrIlEEjNS1_19radix_merge_compareILb0ELb0ElNS0_19identity_decomposerEEEEE10hipError_tT0_T1_T2_jT3_P12ihipStream_tbPNSt15iterator_traitsISG_E10value_typeEPNSM_ISH_E10value_typeEPSI_NS1_7vsmem_tEENKUlT_SG_SH_SI_E_clIS7_S7_S7_SB_EESF_SV_SG_SH_SI_EUlSV_E0_NS1_11comp_targetILNS1_3genE9ELNS1_11target_archE1100ELNS1_3gpuE3ELNS1_3repE0EEENS1_38merge_mergepath_config_static_selectorELNS0_4arch9wavefront6targetE1EEEvSH_.kd
    .uniform_work_group_size: 1
    .uses_dynamic_stack: false
    .vgpr_count:     0
    .vgpr_spill_count: 0
    .wavefront_size: 64
  - .agpr_count:     0
    .args:
      - .offset:         0
        .size:           64
        .value_kind:     by_value
    .group_segment_fixed_size: 0
    .kernarg_segment_align: 8
    .kernarg_segment_size: 64
    .language:       OpenCL C
    .language_version:
      - 2
      - 0
    .max_flat_workgroup_size: 1024
    .name:           _ZN7rocprim17ROCPRIM_400000_NS6detail17trampoline_kernelINS0_14default_configENS1_38merge_sort_block_merge_config_selectorIllEEZZNS1_27merge_sort_block_merge_implIS3_PlN6thrust23THRUST_200600_302600_NS10device_ptrIlEEjNS1_19radix_merge_compareILb0ELb0ElNS0_19identity_decomposerEEEEE10hipError_tT0_T1_T2_jT3_P12ihipStream_tbPNSt15iterator_traitsISG_E10value_typeEPNSM_ISH_E10value_typeEPSI_NS1_7vsmem_tEENKUlT_SG_SH_SI_E_clIS7_S7_S7_SB_EESF_SV_SG_SH_SI_EUlSV_E0_NS1_11comp_targetILNS1_3genE8ELNS1_11target_archE1030ELNS1_3gpuE2ELNS1_3repE0EEENS1_38merge_mergepath_config_static_selectorELNS0_4arch9wavefront6targetE1EEEvSH_
    .private_segment_fixed_size: 0
    .sgpr_count:     4
    .sgpr_spill_count: 0
    .symbol:         _ZN7rocprim17ROCPRIM_400000_NS6detail17trampoline_kernelINS0_14default_configENS1_38merge_sort_block_merge_config_selectorIllEEZZNS1_27merge_sort_block_merge_implIS3_PlN6thrust23THRUST_200600_302600_NS10device_ptrIlEEjNS1_19radix_merge_compareILb0ELb0ElNS0_19identity_decomposerEEEEE10hipError_tT0_T1_T2_jT3_P12ihipStream_tbPNSt15iterator_traitsISG_E10value_typeEPNSM_ISH_E10value_typeEPSI_NS1_7vsmem_tEENKUlT_SG_SH_SI_E_clIS7_S7_S7_SB_EESF_SV_SG_SH_SI_EUlSV_E0_NS1_11comp_targetILNS1_3genE8ELNS1_11target_archE1030ELNS1_3gpuE2ELNS1_3repE0EEENS1_38merge_mergepath_config_static_selectorELNS0_4arch9wavefront6targetE1EEEvSH_.kd
    .uniform_work_group_size: 1
    .uses_dynamic_stack: false
    .vgpr_count:     0
    .vgpr_spill_count: 0
    .wavefront_size: 64
  - .agpr_count:     0
    .args:
      - .offset:         0
        .size:           48
        .value_kind:     by_value
    .group_segment_fixed_size: 0
    .kernarg_segment_align: 8
    .kernarg_segment_size: 48
    .language:       OpenCL C
    .language_version:
      - 2
      - 0
    .max_flat_workgroup_size: 256
    .name:           _ZN7rocprim17ROCPRIM_400000_NS6detail17trampoline_kernelINS0_14default_configENS1_38merge_sort_block_merge_config_selectorIllEEZZNS1_27merge_sort_block_merge_implIS3_PlN6thrust23THRUST_200600_302600_NS10device_ptrIlEEjNS1_19radix_merge_compareILb0ELb0ElNS0_19identity_decomposerEEEEE10hipError_tT0_T1_T2_jT3_P12ihipStream_tbPNSt15iterator_traitsISG_E10value_typeEPNSM_ISH_E10value_typeEPSI_NS1_7vsmem_tEENKUlT_SG_SH_SI_E_clIS7_S7_S7_SB_EESF_SV_SG_SH_SI_EUlSV_E1_NS1_11comp_targetILNS1_3genE0ELNS1_11target_archE4294967295ELNS1_3gpuE0ELNS1_3repE0EEENS1_36merge_oddeven_config_static_selectorELNS0_4arch9wavefront6targetE1EEEvSH_
    .private_segment_fixed_size: 0
    .sgpr_count:     4
    .sgpr_spill_count: 0
    .symbol:         _ZN7rocprim17ROCPRIM_400000_NS6detail17trampoline_kernelINS0_14default_configENS1_38merge_sort_block_merge_config_selectorIllEEZZNS1_27merge_sort_block_merge_implIS3_PlN6thrust23THRUST_200600_302600_NS10device_ptrIlEEjNS1_19radix_merge_compareILb0ELb0ElNS0_19identity_decomposerEEEEE10hipError_tT0_T1_T2_jT3_P12ihipStream_tbPNSt15iterator_traitsISG_E10value_typeEPNSM_ISH_E10value_typeEPSI_NS1_7vsmem_tEENKUlT_SG_SH_SI_E_clIS7_S7_S7_SB_EESF_SV_SG_SH_SI_EUlSV_E1_NS1_11comp_targetILNS1_3genE0ELNS1_11target_archE4294967295ELNS1_3gpuE0ELNS1_3repE0EEENS1_36merge_oddeven_config_static_selectorELNS0_4arch9wavefront6targetE1EEEvSH_.kd
    .uniform_work_group_size: 1
    .uses_dynamic_stack: false
    .vgpr_count:     0
    .vgpr_spill_count: 0
    .wavefront_size: 64
  - .agpr_count:     0
    .args:
      - .offset:         0
        .size:           48
        .value_kind:     by_value
    .group_segment_fixed_size: 0
    .kernarg_segment_align: 8
    .kernarg_segment_size: 48
    .language:       OpenCL C
    .language_version:
      - 2
      - 0
    .max_flat_workgroup_size: 256
    .name:           _ZN7rocprim17ROCPRIM_400000_NS6detail17trampoline_kernelINS0_14default_configENS1_38merge_sort_block_merge_config_selectorIllEEZZNS1_27merge_sort_block_merge_implIS3_PlN6thrust23THRUST_200600_302600_NS10device_ptrIlEEjNS1_19radix_merge_compareILb0ELb0ElNS0_19identity_decomposerEEEEE10hipError_tT0_T1_T2_jT3_P12ihipStream_tbPNSt15iterator_traitsISG_E10value_typeEPNSM_ISH_E10value_typeEPSI_NS1_7vsmem_tEENKUlT_SG_SH_SI_E_clIS7_S7_S7_SB_EESF_SV_SG_SH_SI_EUlSV_E1_NS1_11comp_targetILNS1_3genE10ELNS1_11target_archE1201ELNS1_3gpuE5ELNS1_3repE0EEENS1_36merge_oddeven_config_static_selectorELNS0_4arch9wavefront6targetE1EEEvSH_
    .private_segment_fixed_size: 0
    .sgpr_count:     4
    .sgpr_spill_count: 0
    .symbol:         _ZN7rocprim17ROCPRIM_400000_NS6detail17trampoline_kernelINS0_14default_configENS1_38merge_sort_block_merge_config_selectorIllEEZZNS1_27merge_sort_block_merge_implIS3_PlN6thrust23THRUST_200600_302600_NS10device_ptrIlEEjNS1_19radix_merge_compareILb0ELb0ElNS0_19identity_decomposerEEEEE10hipError_tT0_T1_T2_jT3_P12ihipStream_tbPNSt15iterator_traitsISG_E10value_typeEPNSM_ISH_E10value_typeEPSI_NS1_7vsmem_tEENKUlT_SG_SH_SI_E_clIS7_S7_S7_SB_EESF_SV_SG_SH_SI_EUlSV_E1_NS1_11comp_targetILNS1_3genE10ELNS1_11target_archE1201ELNS1_3gpuE5ELNS1_3repE0EEENS1_36merge_oddeven_config_static_selectorELNS0_4arch9wavefront6targetE1EEEvSH_.kd
    .uniform_work_group_size: 1
    .uses_dynamic_stack: false
    .vgpr_count:     0
    .vgpr_spill_count: 0
    .wavefront_size: 64
  - .agpr_count:     0
    .args:
      - .offset:         0
        .size:           48
        .value_kind:     by_value
    .group_segment_fixed_size: 0
    .kernarg_segment_align: 8
    .kernarg_segment_size: 48
    .language:       OpenCL C
    .language_version:
      - 2
      - 0
    .max_flat_workgroup_size: 256
    .name:           _ZN7rocprim17ROCPRIM_400000_NS6detail17trampoline_kernelINS0_14default_configENS1_38merge_sort_block_merge_config_selectorIllEEZZNS1_27merge_sort_block_merge_implIS3_PlN6thrust23THRUST_200600_302600_NS10device_ptrIlEEjNS1_19radix_merge_compareILb0ELb0ElNS0_19identity_decomposerEEEEE10hipError_tT0_T1_T2_jT3_P12ihipStream_tbPNSt15iterator_traitsISG_E10value_typeEPNSM_ISH_E10value_typeEPSI_NS1_7vsmem_tEENKUlT_SG_SH_SI_E_clIS7_S7_S7_SB_EESF_SV_SG_SH_SI_EUlSV_E1_NS1_11comp_targetILNS1_3genE5ELNS1_11target_archE942ELNS1_3gpuE9ELNS1_3repE0EEENS1_36merge_oddeven_config_static_selectorELNS0_4arch9wavefront6targetE1EEEvSH_
    .private_segment_fixed_size: 0
    .sgpr_count:     4
    .sgpr_spill_count: 0
    .symbol:         _ZN7rocprim17ROCPRIM_400000_NS6detail17trampoline_kernelINS0_14default_configENS1_38merge_sort_block_merge_config_selectorIllEEZZNS1_27merge_sort_block_merge_implIS3_PlN6thrust23THRUST_200600_302600_NS10device_ptrIlEEjNS1_19radix_merge_compareILb0ELb0ElNS0_19identity_decomposerEEEEE10hipError_tT0_T1_T2_jT3_P12ihipStream_tbPNSt15iterator_traitsISG_E10value_typeEPNSM_ISH_E10value_typeEPSI_NS1_7vsmem_tEENKUlT_SG_SH_SI_E_clIS7_S7_S7_SB_EESF_SV_SG_SH_SI_EUlSV_E1_NS1_11comp_targetILNS1_3genE5ELNS1_11target_archE942ELNS1_3gpuE9ELNS1_3repE0EEENS1_36merge_oddeven_config_static_selectorELNS0_4arch9wavefront6targetE1EEEvSH_.kd
    .uniform_work_group_size: 1
    .uses_dynamic_stack: false
    .vgpr_count:     0
    .vgpr_spill_count: 0
    .wavefront_size: 64
  - .agpr_count:     0
    .args:
      - .offset:         0
        .size:           48
        .value_kind:     by_value
    .group_segment_fixed_size: 0
    .kernarg_segment_align: 8
    .kernarg_segment_size: 48
    .language:       OpenCL C
    .language_version:
      - 2
      - 0
    .max_flat_workgroup_size: 256
    .name:           _ZN7rocprim17ROCPRIM_400000_NS6detail17trampoline_kernelINS0_14default_configENS1_38merge_sort_block_merge_config_selectorIllEEZZNS1_27merge_sort_block_merge_implIS3_PlN6thrust23THRUST_200600_302600_NS10device_ptrIlEEjNS1_19radix_merge_compareILb0ELb0ElNS0_19identity_decomposerEEEEE10hipError_tT0_T1_T2_jT3_P12ihipStream_tbPNSt15iterator_traitsISG_E10value_typeEPNSM_ISH_E10value_typeEPSI_NS1_7vsmem_tEENKUlT_SG_SH_SI_E_clIS7_S7_S7_SB_EESF_SV_SG_SH_SI_EUlSV_E1_NS1_11comp_targetILNS1_3genE4ELNS1_11target_archE910ELNS1_3gpuE8ELNS1_3repE0EEENS1_36merge_oddeven_config_static_selectorELNS0_4arch9wavefront6targetE1EEEvSH_
    .private_segment_fixed_size: 0
    .sgpr_count:     28
    .sgpr_spill_count: 0
    .symbol:         _ZN7rocprim17ROCPRIM_400000_NS6detail17trampoline_kernelINS0_14default_configENS1_38merge_sort_block_merge_config_selectorIllEEZZNS1_27merge_sort_block_merge_implIS3_PlN6thrust23THRUST_200600_302600_NS10device_ptrIlEEjNS1_19radix_merge_compareILb0ELb0ElNS0_19identity_decomposerEEEEE10hipError_tT0_T1_T2_jT3_P12ihipStream_tbPNSt15iterator_traitsISG_E10value_typeEPNSM_ISH_E10value_typeEPSI_NS1_7vsmem_tEENKUlT_SG_SH_SI_E_clIS7_S7_S7_SB_EESF_SV_SG_SH_SI_EUlSV_E1_NS1_11comp_targetILNS1_3genE4ELNS1_11target_archE910ELNS1_3gpuE8ELNS1_3repE0EEENS1_36merge_oddeven_config_static_selectorELNS0_4arch9wavefront6targetE1EEEvSH_.kd
    .uniform_work_group_size: 1
    .uses_dynamic_stack: false
    .vgpr_count:     14
    .vgpr_spill_count: 0
    .wavefront_size: 64
  - .agpr_count:     0
    .args:
      - .offset:         0
        .size:           48
        .value_kind:     by_value
    .group_segment_fixed_size: 0
    .kernarg_segment_align: 8
    .kernarg_segment_size: 48
    .language:       OpenCL C
    .language_version:
      - 2
      - 0
    .max_flat_workgroup_size: 256
    .name:           _ZN7rocprim17ROCPRIM_400000_NS6detail17trampoline_kernelINS0_14default_configENS1_38merge_sort_block_merge_config_selectorIllEEZZNS1_27merge_sort_block_merge_implIS3_PlN6thrust23THRUST_200600_302600_NS10device_ptrIlEEjNS1_19radix_merge_compareILb0ELb0ElNS0_19identity_decomposerEEEEE10hipError_tT0_T1_T2_jT3_P12ihipStream_tbPNSt15iterator_traitsISG_E10value_typeEPNSM_ISH_E10value_typeEPSI_NS1_7vsmem_tEENKUlT_SG_SH_SI_E_clIS7_S7_S7_SB_EESF_SV_SG_SH_SI_EUlSV_E1_NS1_11comp_targetILNS1_3genE3ELNS1_11target_archE908ELNS1_3gpuE7ELNS1_3repE0EEENS1_36merge_oddeven_config_static_selectorELNS0_4arch9wavefront6targetE1EEEvSH_
    .private_segment_fixed_size: 0
    .sgpr_count:     4
    .sgpr_spill_count: 0
    .symbol:         _ZN7rocprim17ROCPRIM_400000_NS6detail17trampoline_kernelINS0_14default_configENS1_38merge_sort_block_merge_config_selectorIllEEZZNS1_27merge_sort_block_merge_implIS3_PlN6thrust23THRUST_200600_302600_NS10device_ptrIlEEjNS1_19radix_merge_compareILb0ELb0ElNS0_19identity_decomposerEEEEE10hipError_tT0_T1_T2_jT3_P12ihipStream_tbPNSt15iterator_traitsISG_E10value_typeEPNSM_ISH_E10value_typeEPSI_NS1_7vsmem_tEENKUlT_SG_SH_SI_E_clIS7_S7_S7_SB_EESF_SV_SG_SH_SI_EUlSV_E1_NS1_11comp_targetILNS1_3genE3ELNS1_11target_archE908ELNS1_3gpuE7ELNS1_3repE0EEENS1_36merge_oddeven_config_static_selectorELNS0_4arch9wavefront6targetE1EEEvSH_.kd
    .uniform_work_group_size: 1
    .uses_dynamic_stack: false
    .vgpr_count:     0
    .vgpr_spill_count: 0
    .wavefront_size: 64
  - .agpr_count:     0
    .args:
      - .offset:         0
        .size:           48
        .value_kind:     by_value
    .group_segment_fixed_size: 0
    .kernarg_segment_align: 8
    .kernarg_segment_size: 48
    .language:       OpenCL C
    .language_version:
      - 2
      - 0
    .max_flat_workgroup_size: 256
    .name:           _ZN7rocprim17ROCPRIM_400000_NS6detail17trampoline_kernelINS0_14default_configENS1_38merge_sort_block_merge_config_selectorIllEEZZNS1_27merge_sort_block_merge_implIS3_PlN6thrust23THRUST_200600_302600_NS10device_ptrIlEEjNS1_19radix_merge_compareILb0ELb0ElNS0_19identity_decomposerEEEEE10hipError_tT0_T1_T2_jT3_P12ihipStream_tbPNSt15iterator_traitsISG_E10value_typeEPNSM_ISH_E10value_typeEPSI_NS1_7vsmem_tEENKUlT_SG_SH_SI_E_clIS7_S7_S7_SB_EESF_SV_SG_SH_SI_EUlSV_E1_NS1_11comp_targetILNS1_3genE2ELNS1_11target_archE906ELNS1_3gpuE6ELNS1_3repE0EEENS1_36merge_oddeven_config_static_selectorELNS0_4arch9wavefront6targetE1EEEvSH_
    .private_segment_fixed_size: 0
    .sgpr_count:     4
    .sgpr_spill_count: 0
    .symbol:         _ZN7rocprim17ROCPRIM_400000_NS6detail17trampoline_kernelINS0_14default_configENS1_38merge_sort_block_merge_config_selectorIllEEZZNS1_27merge_sort_block_merge_implIS3_PlN6thrust23THRUST_200600_302600_NS10device_ptrIlEEjNS1_19radix_merge_compareILb0ELb0ElNS0_19identity_decomposerEEEEE10hipError_tT0_T1_T2_jT3_P12ihipStream_tbPNSt15iterator_traitsISG_E10value_typeEPNSM_ISH_E10value_typeEPSI_NS1_7vsmem_tEENKUlT_SG_SH_SI_E_clIS7_S7_S7_SB_EESF_SV_SG_SH_SI_EUlSV_E1_NS1_11comp_targetILNS1_3genE2ELNS1_11target_archE906ELNS1_3gpuE6ELNS1_3repE0EEENS1_36merge_oddeven_config_static_selectorELNS0_4arch9wavefront6targetE1EEEvSH_.kd
    .uniform_work_group_size: 1
    .uses_dynamic_stack: false
    .vgpr_count:     0
    .vgpr_spill_count: 0
    .wavefront_size: 64
  - .agpr_count:     0
    .args:
      - .offset:         0
        .size:           48
        .value_kind:     by_value
    .group_segment_fixed_size: 0
    .kernarg_segment_align: 8
    .kernarg_segment_size: 48
    .language:       OpenCL C
    .language_version:
      - 2
      - 0
    .max_flat_workgroup_size: 256
    .name:           _ZN7rocprim17ROCPRIM_400000_NS6detail17trampoline_kernelINS0_14default_configENS1_38merge_sort_block_merge_config_selectorIllEEZZNS1_27merge_sort_block_merge_implIS3_PlN6thrust23THRUST_200600_302600_NS10device_ptrIlEEjNS1_19radix_merge_compareILb0ELb0ElNS0_19identity_decomposerEEEEE10hipError_tT0_T1_T2_jT3_P12ihipStream_tbPNSt15iterator_traitsISG_E10value_typeEPNSM_ISH_E10value_typeEPSI_NS1_7vsmem_tEENKUlT_SG_SH_SI_E_clIS7_S7_S7_SB_EESF_SV_SG_SH_SI_EUlSV_E1_NS1_11comp_targetILNS1_3genE9ELNS1_11target_archE1100ELNS1_3gpuE3ELNS1_3repE0EEENS1_36merge_oddeven_config_static_selectorELNS0_4arch9wavefront6targetE1EEEvSH_
    .private_segment_fixed_size: 0
    .sgpr_count:     4
    .sgpr_spill_count: 0
    .symbol:         _ZN7rocprim17ROCPRIM_400000_NS6detail17trampoline_kernelINS0_14default_configENS1_38merge_sort_block_merge_config_selectorIllEEZZNS1_27merge_sort_block_merge_implIS3_PlN6thrust23THRUST_200600_302600_NS10device_ptrIlEEjNS1_19radix_merge_compareILb0ELb0ElNS0_19identity_decomposerEEEEE10hipError_tT0_T1_T2_jT3_P12ihipStream_tbPNSt15iterator_traitsISG_E10value_typeEPNSM_ISH_E10value_typeEPSI_NS1_7vsmem_tEENKUlT_SG_SH_SI_E_clIS7_S7_S7_SB_EESF_SV_SG_SH_SI_EUlSV_E1_NS1_11comp_targetILNS1_3genE9ELNS1_11target_archE1100ELNS1_3gpuE3ELNS1_3repE0EEENS1_36merge_oddeven_config_static_selectorELNS0_4arch9wavefront6targetE1EEEvSH_.kd
    .uniform_work_group_size: 1
    .uses_dynamic_stack: false
    .vgpr_count:     0
    .vgpr_spill_count: 0
    .wavefront_size: 64
  - .agpr_count:     0
    .args:
      - .offset:         0
        .size:           48
        .value_kind:     by_value
    .group_segment_fixed_size: 0
    .kernarg_segment_align: 8
    .kernarg_segment_size: 48
    .language:       OpenCL C
    .language_version:
      - 2
      - 0
    .max_flat_workgroup_size: 256
    .name:           _ZN7rocprim17ROCPRIM_400000_NS6detail17trampoline_kernelINS0_14default_configENS1_38merge_sort_block_merge_config_selectorIllEEZZNS1_27merge_sort_block_merge_implIS3_PlN6thrust23THRUST_200600_302600_NS10device_ptrIlEEjNS1_19radix_merge_compareILb0ELb0ElNS0_19identity_decomposerEEEEE10hipError_tT0_T1_T2_jT3_P12ihipStream_tbPNSt15iterator_traitsISG_E10value_typeEPNSM_ISH_E10value_typeEPSI_NS1_7vsmem_tEENKUlT_SG_SH_SI_E_clIS7_S7_S7_SB_EESF_SV_SG_SH_SI_EUlSV_E1_NS1_11comp_targetILNS1_3genE8ELNS1_11target_archE1030ELNS1_3gpuE2ELNS1_3repE0EEENS1_36merge_oddeven_config_static_selectorELNS0_4arch9wavefront6targetE1EEEvSH_
    .private_segment_fixed_size: 0
    .sgpr_count:     4
    .sgpr_spill_count: 0
    .symbol:         _ZN7rocprim17ROCPRIM_400000_NS6detail17trampoline_kernelINS0_14default_configENS1_38merge_sort_block_merge_config_selectorIllEEZZNS1_27merge_sort_block_merge_implIS3_PlN6thrust23THRUST_200600_302600_NS10device_ptrIlEEjNS1_19radix_merge_compareILb0ELb0ElNS0_19identity_decomposerEEEEE10hipError_tT0_T1_T2_jT3_P12ihipStream_tbPNSt15iterator_traitsISG_E10value_typeEPNSM_ISH_E10value_typeEPSI_NS1_7vsmem_tEENKUlT_SG_SH_SI_E_clIS7_S7_S7_SB_EESF_SV_SG_SH_SI_EUlSV_E1_NS1_11comp_targetILNS1_3genE8ELNS1_11target_archE1030ELNS1_3gpuE2ELNS1_3repE0EEENS1_36merge_oddeven_config_static_selectorELNS0_4arch9wavefront6targetE1EEEvSH_.kd
    .uniform_work_group_size: 1
    .uses_dynamic_stack: false
    .vgpr_count:     0
    .vgpr_spill_count: 0
    .wavefront_size: 64
  - .agpr_count:     0
    .args:
      - .offset:         0
        .size:           40
        .value_kind:     by_value
    .group_segment_fixed_size: 0
    .kernarg_segment_align: 8
    .kernarg_segment_size: 40
    .language:       OpenCL C
    .language_version:
      - 2
      - 0
    .max_flat_workgroup_size: 128
    .name:           _ZN7rocprim17ROCPRIM_400000_NS6detail17trampoline_kernelINS0_14default_configENS1_38merge_sort_block_merge_config_selectorIllEEZZNS1_27merge_sort_block_merge_implIS3_PlN6thrust23THRUST_200600_302600_NS10device_ptrIlEEjNS1_19radix_merge_compareILb0ELb0ElNS0_19identity_decomposerEEEEE10hipError_tT0_T1_T2_jT3_P12ihipStream_tbPNSt15iterator_traitsISG_E10value_typeEPNSM_ISH_E10value_typeEPSI_NS1_7vsmem_tEENKUlT_SG_SH_SI_E_clIS7_S7_SB_S7_EESF_SV_SG_SH_SI_EUlSV_E_NS1_11comp_targetILNS1_3genE0ELNS1_11target_archE4294967295ELNS1_3gpuE0ELNS1_3repE0EEENS1_48merge_mergepath_partition_config_static_selectorELNS0_4arch9wavefront6targetE1EEEvSH_
    .private_segment_fixed_size: 0
    .sgpr_count:     4
    .sgpr_spill_count: 0
    .symbol:         _ZN7rocprim17ROCPRIM_400000_NS6detail17trampoline_kernelINS0_14default_configENS1_38merge_sort_block_merge_config_selectorIllEEZZNS1_27merge_sort_block_merge_implIS3_PlN6thrust23THRUST_200600_302600_NS10device_ptrIlEEjNS1_19radix_merge_compareILb0ELb0ElNS0_19identity_decomposerEEEEE10hipError_tT0_T1_T2_jT3_P12ihipStream_tbPNSt15iterator_traitsISG_E10value_typeEPNSM_ISH_E10value_typeEPSI_NS1_7vsmem_tEENKUlT_SG_SH_SI_E_clIS7_S7_SB_S7_EESF_SV_SG_SH_SI_EUlSV_E_NS1_11comp_targetILNS1_3genE0ELNS1_11target_archE4294967295ELNS1_3gpuE0ELNS1_3repE0EEENS1_48merge_mergepath_partition_config_static_selectorELNS0_4arch9wavefront6targetE1EEEvSH_.kd
    .uniform_work_group_size: 1
    .uses_dynamic_stack: false
    .vgpr_count:     0
    .vgpr_spill_count: 0
    .wavefront_size: 64
  - .agpr_count:     0
    .args:
      - .offset:         0
        .size:           40
        .value_kind:     by_value
    .group_segment_fixed_size: 0
    .kernarg_segment_align: 8
    .kernarg_segment_size: 40
    .language:       OpenCL C
    .language_version:
      - 2
      - 0
    .max_flat_workgroup_size: 128
    .name:           _ZN7rocprim17ROCPRIM_400000_NS6detail17trampoline_kernelINS0_14default_configENS1_38merge_sort_block_merge_config_selectorIllEEZZNS1_27merge_sort_block_merge_implIS3_PlN6thrust23THRUST_200600_302600_NS10device_ptrIlEEjNS1_19radix_merge_compareILb0ELb0ElNS0_19identity_decomposerEEEEE10hipError_tT0_T1_T2_jT3_P12ihipStream_tbPNSt15iterator_traitsISG_E10value_typeEPNSM_ISH_E10value_typeEPSI_NS1_7vsmem_tEENKUlT_SG_SH_SI_E_clIS7_S7_SB_S7_EESF_SV_SG_SH_SI_EUlSV_E_NS1_11comp_targetILNS1_3genE10ELNS1_11target_archE1201ELNS1_3gpuE5ELNS1_3repE0EEENS1_48merge_mergepath_partition_config_static_selectorELNS0_4arch9wavefront6targetE1EEEvSH_
    .private_segment_fixed_size: 0
    .sgpr_count:     4
    .sgpr_spill_count: 0
    .symbol:         _ZN7rocprim17ROCPRIM_400000_NS6detail17trampoline_kernelINS0_14default_configENS1_38merge_sort_block_merge_config_selectorIllEEZZNS1_27merge_sort_block_merge_implIS3_PlN6thrust23THRUST_200600_302600_NS10device_ptrIlEEjNS1_19radix_merge_compareILb0ELb0ElNS0_19identity_decomposerEEEEE10hipError_tT0_T1_T2_jT3_P12ihipStream_tbPNSt15iterator_traitsISG_E10value_typeEPNSM_ISH_E10value_typeEPSI_NS1_7vsmem_tEENKUlT_SG_SH_SI_E_clIS7_S7_SB_S7_EESF_SV_SG_SH_SI_EUlSV_E_NS1_11comp_targetILNS1_3genE10ELNS1_11target_archE1201ELNS1_3gpuE5ELNS1_3repE0EEENS1_48merge_mergepath_partition_config_static_selectorELNS0_4arch9wavefront6targetE1EEEvSH_.kd
    .uniform_work_group_size: 1
    .uses_dynamic_stack: false
    .vgpr_count:     0
    .vgpr_spill_count: 0
    .wavefront_size: 64
  - .agpr_count:     0
    .args:
      - .offset:         0
        .size:           40
        .value_kind:     by_value
    .group_segment_fixed_size: 0
    .kernarg_segment_align: 8
    .kernarg_segment_size: 40
    .language:       OpenCL C
    .language_version:
      - 2
      - 0
    .max_flat_workgroup_size: 128
    .name:           _ZN7rocprim17ROCPRIM_400000_NS6detail17trampoline_kernelINS0_14default_configENS1_38merge_sort_block_merge_config_selectorIllEEZZNS1_27merge_sort_block_merge_implIS3_PlN6thrust23THRUST_200600_302600_NS10device_ptrIlEEjNS1_19radix_merge_compareILb0ELb0ElNS0_19identity_decomposerEEEEE10hipError_tT0_T1_T2_jT3_P12ihipStream_tbPNSt15iterator_traitsISG_E10value_typeEPNSM_ISH_E10value_typeEPSI_NS1_7vsmem_tEENKUlT_SG_SH_SI_E_clIS7_S7_SB_S7_EESF_SV_SG_SH_SI_EUlSV_E_NS1_11comp_targetILNS1_3genE5ELNS1_11target_archE942ELNS1_3gpuE9ELNS1_3repE0EEENS1_48merge_mergepath_partition_config_static_selectorELNS0_4arch9wavefront6targetE1EEEvSH_
    .private_segment_fixed_size: 0
    .sgpr_count:     4
    .sgpr_spill_count: 0
    .symbol:         _ZN7rocprim17ROCPRIM_400000_NS6detail17trampoline_kernelINS0_14default_configENS1_38merge_sort_block_merge_config_selectorIllEEZZNS1_27merge_sort_block_merge_implIS3_PlN6thrust23THRUST_200600_302600_NS10device_ptrIlEEjNS1_19radix_merge_compareILb0ELb0ElNS0_19identity_decomposerEEEEE10hipError_tT0_T1_T2_jT3_P12ihipStream_tbPNSt15iterator_traitsISG_E10value_typeEPNSM_ISH_E10value_typeEPSI_NS1_7vsmem_tEENKUlT_SG_SH_SI_E_clIS7_S7_SB_S7_EESF_SV_SG_SH_SI_EUlSV_E_NS1_11comp_targetILNS1_3genE5ELNS1_11target_archE942ELNS1_3gpuE9ELNS1_3repE0EEENS1_48merge_mergepath_partition_config_static_selectorELNS0_4arch9wavefront6targetE1EEEvSH_.kd
    .uniform_work_group_size: 1
    .uses_dynamic_stack: false
    .vgpr_count:     0
    .vgpr_spill_count: 0
    .wavefront_size: 64
  - .agpr_count:     0
    .args:
      - .offset:         0
        .size:           40
        .value_kind:     by_value
    .group_segment_fixed_size: 0
    .kernarg_segment_align: 8
    .kernarg_segment_size: 40
    .language:       OpenCL C
    .language_version:
      - 2
      - 0
    .max_flat_workgroup_size: 128
    .name:           _ZN7rocprim17ROCPRIM_400000_NS6detail17trampoline_kernelINS0_14default_configENS1_38merge_sort_block_merge_config_selectorIllEEZZNS1_27merge_sort_block_merge_implIS3_PlN6thrust23THRUST_200600_302600_NS10device_ptrIlEEjNS1_19radix_merge_compareILb0ELb0ElNS0_19identity_decomposerEEEEE10hipError_tT0_T1_T2_jT3_P12ihipStream_tbPNSt15iterator_traitsISG_E10value_typeEPNSM_ISH_E10value_typeEPSI_NS1_7vsmem_tEENKUlT_SG_SH_SI_E_clIS7_S7_SB_S7_EESF_SV_SG_SH_SI_EUlSV_E_NS1_11comp_targetILNS1_3genE4ELNS1_11target_archE910ELNS1_3gpuE8ELNS1_3repE0EEENS1_48merge_mergepath_partition_config_static_selectorELNS0_4arch9wavefront6targetE1EEEvSH_
    .private_segment_fixed_size: 0
    .sgpr_count:     12
    .sgpr_spill_count: 0
    .symbol:         _ZN7rocprim17ROCPRIM_400000_NS6detail17trampoline_kernelINS0_14default_configENS1_38merge_sort_block_merge_config_selectorIllEEZZNS1_27merge_sort_block_merge_implIS3_PlN6thrust23THRUST_200600_302600_NS10device_ptrIlEEjNS1_19radix_merge_compareILb0ELb0ElNS0_19identity_decomposerEEEEE10hipError_tT0_T1_T2_jT3_P12ihipStream_tbPNSt15iterator_traitsISG_E10value_typeEPNSM_ISH_E10value_typeEPSI_NS1_7vsmem_tEENKUlT_SG_SH_SI_E_clIS7_S7_SB_S7_EESF_SV_SG_SH_SI_EUlSV_E_NS1_11comp_targetILNS1_3genE4ELNS1_11target_archE910ELNS1_3gpuE8ELNS1_3repE0EEENS1_48merge_mergepath_partition_config_static_selectorELNS0_4arch9wavefront6targetE1EEEvSH_.kd
    .uniform_work_group_size: 1
    .uses_dynamic_stack: false
    .vgpr_count:     20
    .vgpr_spill_count: 0
    .wavefront_size: 64
  - .agpr_count:     0
    .args:
      - .offset:         0
        .size:           40
        .value_kind:     by_value
    .group_segment_fixed_size: 0
    .kernarg_segment_align: 8
    .kernarg_segment_size: 40
    .language:       OpenCL C
    .language_version:
      - 2
      - 0
    .max_flat_workgroup_size: 128
    .name:           _ZN7rocprim17ROCPRIM_400000_NS6detail17trampoline_kernelINS0_14default_configENS1_38merge_sort_block_merge_config_selectorIllEEZZNS1_27merge_sort_block_merge_implIS3_PlN6thrust23THRUST_200600_302600_NS10device_ptrIlEEjNS1_19radix_merge_compareILb0ELb0ElNS0_19identity_decomposerEEEEE10hipError_tT0_T1_T2_jT3_P12ihipStream_tbPNSt15iterator_traitsISG_E10value_typeEPNSM_ISH_E10value_typeEPSI_NS1_7vsmem_tEENKUlT_SG_SH_SI_E_clIS7_S7_SB_S7_EESF_SV_SG_SH_SI_EUlSV_E_NS1_11comp_targetILNS1_3genE3ELNS1_11target_archE908ELNS1_3gpuE7ELNS1_3repE0EEENS1_48merge_mergepath_partition_config_static_selectorELNS0_4arch9wavefront6targetE1EEEvSH_
    .private_segment_fixed_size: 0
    .sgpr_count:     4
    .sgpr_spill_count: 0
    .symbol:         _ZN7rocprim17ROCPRIM_400000_NS6detail17trampoline_kernelINS0_14default_configENS1_38merge_sort_block_merge_config_selectorIllEEZZNS1_27merge_sort_block_merge_implIS3_PlN6thrust23THRUST_200600_302600_NS10device_ptrIlEEjNS1_19radix_merge_compareILb0ELb0ElNS0_19identity_decomposerEEEEE10hipError_tT0_T1_T2_jT3_P12ihipStream_tbPNSt15iterator_traitsISG_E10value_typeEPNSM_ISH_E10value_typeEPSI_NS1_7vsmem_tEENKUlT_SG_SH_SI_E_clIS7_S7_SB_S7_EESF_SV_SG_SH_SI_EUlSV_E_NS1_11comp_targetILNS1_3genE3ELNS1_11target_archE908ELNS1_3gpuE7ELNS1_3repE0EEENS1_48merge_mergepath_partition_config_static_selectorELNS0_4arch9wavefront6targetE1EEEvSH_.kd
    .uniform_work_group_size: 1
    .uses_dynamic_stack: false
    .vgpr_count:     0
    .vgpr_spill_count: 0
    .wavefront_size: 64
  - .agpr_count:     0
    .args:
      - .offset:         0
        .size:           40
        .value_kind:     by_value
    .group_segment_fixed_size: 0
    .kernarg_segment_align: 8
    .kernarg_segment_size: 40
    .language:       OpenCL C
    .language_version:
      - 2
      - 0
    .max_flat_workgroup_size: 128
    .name:           _ZN7rocprim17ROCPRIM_400000_NS6detail17trampoline_kernelINS0_14default_configENS1_38merge_sort_block_merge_config_selectorIllEEZZNS1_27merge_sort_block_merge_implIS3_PlN6thrust23THRUST_200600_302600_NS10device_ptrIlEEjNS1_19radix_merge_compareILb0ELb0ElNS0_19identity_decomposerEEEEE10hipError_tT0_T1_T2_jT3_P12ihipStream_tbPNSt15iterator_traitsISG_E10value_typeEPNSM_ISH_E10value_typeEPSI_NS1_7vsmem_tEENKUlT_SG_SH_SI_E_clIS7_S7_SB_S7_EESF_SV_SG_SH_SI_EUlSV_E_NS1_11comp_targetILNS1_3genE2ELNS1_11target_archE906ELNS1_3gpuE6ELNS1_3repE0EEENS1_48merge_mergepath_partition_config_static_selectorELNS0_4arch9wavefront6targetE1EEEvSH_
    .private_segment_fixed_size: 0
    .sgpr_count:     4
    .sgpr_spill_count: 0
    .symbol:         _ZN7rocprim17ROCPRIM_400000_NS6detail17trampoline_kernelINS0_14default_configENS1_38merge_sort_block_merge_config_selectorIllEEZZNS1_27merge_sort_block_merge_implIS3_PlN6thrust23THRUST_200600_302600_NS10device_ptrIlEEjNS1_19radix_merge_compareILb0ELb0ElNS0_19identity_decomposerEEEEE10hipError_tT0_T1_T2_jT3_P12ihipStream_tbPNSt15iterator_traitsISG_E10value_typeEPNSM_ISH_E10value_typeEPSI_NS1_7vsmem_tEENKUlT_SG_SH_SI_E_clIS7_S7_SB_S7_EESF_SV_SG_SH_SI_EUlSV_E_NS1_11comp_targetILNS1_3genE2ELNS1_11target_archE906ELNS1_3gpuE6ELNS1_3repE0EEENS1_48merge_mergepath_partition_config_static_selectorELNS0_4arch9wavefront6targetE1EEEvSH_.kd
    .uniform_work_group_size: 1
    .uses_dynamic_stack: false
    .vgpr_count:     0
    .vgpr_spill_count: 0
    .wavefront_size: 64
  - .agpr_count:     0
    .args:
      - .offset:         0
        .size:           40
        .value_kind:     by_value
    .group_segment_fixed_size: 0
    .kernarg_segment_align: 8
    .kernarg_segment_size: 40
    .language:       OpenCL C
    .language_version:
      - 2
      - 0
    .max_flat_workgroup_size: 128
    .name:           _ZN7rocprim17ROCPRIM_400000_NS6detail17trampoline_kernelINS0_14default_configENS1_38merge_sort_block_merge_config_selectorIllEEZZNS1_27merge_sort_block_merge_implIS3_PlN6thrust23THRUST_200600_302600_NS10device_ptrIlEEjNS1_19radix_merge_compareILb0ELb0ElNS0_19identity_decomposerEEEEE10hipError_tT0_T1_T2_jT3_P12ihipStream_tbPNSt15iterator_traitsISG_E10value_typeEPNSM_ISH_E10value_typeEPSI_NS1_7vsmem_tEENKUlT_SG_SH_SI_E_clIS7_S7_SB_S7_EESF_SV_SG_SH_SI_EUlSV_E_NS1_11comp_targetILNS1_3genE9ELNS1_11target_archE1100ELNS1_3gpuE3ELNS1_3repE0EEENS1_48merge_mergepath_partition_config_static_selectorELNS0_4arch9wavefront6targetE1EEEvSH_
    .private_segment_fixed_size: 0
    .sgpr_count:     4
    .sgpr_spill_count: 0
    .symbol:         _ZN7rocprim17ROCPRIM_400000_NS6detail17trampoline_kernelINS0_14default_configENS1_38merge_sort_block_merge_config_selectorIllEEZZNS1_27merge_sort_block_merge_implIS3_PlN6thrust23THRUST_200600_302600_NS10device_ptrIlEEjNS1_19radix_merge_compareILb0ELb0ElNS0_19identity_decomposerEEEEE10hipError_tT0_T1_T2_jT3_P12ihipStream_tbPNSt15iterator_traitsISG_E10value_typeEPNSM_ISH_E10value_typeEPSI_NS1_7vsmem_tEENKUlT_SG_SH_SI_E_clIS7_S7_SB_S7_EESF_SV_SG_SH_SI_EUlSV_E_NS1_11comp_targetILNS1_3genE9ELNS1_11target_archE1100ELNS1_3gpuE3ELNS1_3repE0EEENS1_48merge_mergepath_partition_config_static_selectorELNS0_4arch9wavefront6targetE1EEEvSH_.kd
    .uniform_work_group_size: 1
    .uses_dynamic_stack: false
    .vgpr_count:     0
    .vgpr_spill_count: 0
    .wavefront_size: 64
  - .agpr_count:     0
    .args:
      - .offset:         0
        .size:           40
        .value_kind:     by_value
    .group_segment_fixed_size: 0
    .kernarg_segment_align: 8
    .kernarg_segment_size: 40
    .language:       OpenCL C
    .language_version:
      - 2
      - 0
    .max_flat_workgroup_size: 128
    .name:           _ZN7rocprim17ROCPRIM_400000_NS6detail17trampoline_kernelINS0_14default_configENS1_38merge_sort_block_merge_config_selectorIllEEZZNS1_27merge_sort_block_merge_implIS3_PlN6thrust23THRUST_200600_302600_NS10device_ptrIlEEjNS1_19radix_merge_compareILb0ELb0ElNS0_19identity_decomposerEEEEE10hipError_tT0_T1_T2_jT3_P12ihipStream_tbPNSt15iterator_traitsISG_E10value_typeEPNSM_ISH_E10value_typeEPSI_NS1_7vsmem_tEENKUlT_SG_SH_SI_E_clIS7_S7_SB_S7_EESF_SV_SG_SH_SI_EUlSV_E_NS1_11comp_targetILNS1_3genE8ELNS1_11target_archE1030ELNS1_3gpuE2ELNS1_3repE0EEENS1_48merge_mergepath_partition_config_static_selectorELNS0_4arch9wavefront6targetE1EEEvSH_
    .private_segment_fixed_size: 0
    .sgpr_count:     4
    .sgpr_spill_count: 0
    .symbol:         _ZN7rocprim17ROCPRIM_400000_NS6detail17trampoline_kernelINS0_14default_configENS1_38merge_sort_block_merge_config_selectorIllEEZZNS1_27merge_sort_block_merge_implIS3_PlN6thrust23THRUST_200600_302600_NS10device_ptrIlEEjNS1_19radix_merge_compareILb0ELb0ElNS0_19identity_decomposerEEEEE10hipError_tT0_T1_T2_jT3_P12ihipStream_tbPNSt15iterator_traitsISG_E10value_typeEPNSM_ISH_E10value_typeEPSI_NS1_7vsmem_tEENKUlT_SG_SH_SI_E_clIS7_S7_SB_S7_EESF_SV_SG_SH_SI_EUlSV_E_NS1_11comp_targetILNS1_3genE8ELNS1_11target_archE1030ELNS1_3gpuE2ELNS1_3repE0EEENS1_48merge_mergepath_partition_config_static_selectorELNS0_4arch9wavefront6targetE1EEEvSH_.kd
    .uniform_work_group_size: 1
    .uses_dynamic_stack: false
    .vgpr_count:     0
    .vgpr_spill_count: 0
    .wavefront_size: 64
  - .agpr_count:     0
    .args:
      - .offset:         0
        .size:           64
        .value_kind:     by_value
    .group_segment_fixed_size: 0
    .kernarg_segment_align: 8
    .kernarg_segment_size: 64
    .language:       OpenCL C
    .language_version:
      - 2
      - 0
    .max_flat_workgroup_size: 512
    .name:           _ZN7rocprim17ROCPRIM_400000_NS6detail17trampoline_kernelINS0_14default_configENS1_38merge_sort_block_merge_config_selectorIllEEZZNS1_27merge_sort_block_merge_implIS3_PlN6thrust23THRUST_200600_302600_NS10device_ptrIlEEjNS1_19radix_merge_compareILb0ELb0ElNS0_19identity_decomposerEEEEE10hipError_tT0_T1_T2_jT3_P12ihipStream_tbPNSt15iterator_traitsISG_E10value_typeEPNSM_ISH_E10value_typeEPSI_NS1_7vsmem_tEENKUlT_SG_SH_SI_E_clIS7_S7_SB_S7_EESF_SV_SG_SH_SI_EUlSV_E0_NS1_11comp_targetILNS1_3genE0ELNS1_11target_archE4294967295ELNS1_3gpuE0ELNS1_3repE0EEENS1_38merge_mergepath_config_static_selectorELNS0_4arch9wavefront6targetE1EEEvSH_
    .private_segment_fixed_size: 0
    .sgpr_count:     4
    .sgpr_spill_count: 0
    .symbol:         _ZN7rocprim17ROCPRIM_400000_NS6detail17trampoline_kernelINS0_14default_configENS1_38merge_sort_block_merge_config_selectorIllEEZZNS1_27merge_sort_block_merge_implIS3_PlN6thrust23THRUST_200600_302600_NS10device_ptrIlEEjNS1_19radix_merge_compareILb0ELb0ElNS0_19identity_decomposerEEEEE10hipError_tT0_T1_T2_jT3_P12ihipStream_tbPNSt15iterator_traitsISG_E10value_typeEPNSM_ISH_E10value_typeEPSI_NS1_7vsmem_tEENKUlT_SG_SH_SI_E_clIS7_S7_SB_S7_EESF_SV_SG_SH_SI_EUlSV_E0_NS1_11comp_targetILNS1_3genE0ELNS1_11target_archE4294967295ELNS1_3gpuE0ELNS1_3repE0EEENS1_38merge_mergepath_config_static_selectorELNS0_4arch9wavefront6targetE1EEEvSH_.kd
    .uniform_work_group_size: 1
    .uses_dynamic_stack: false
    .vgpr_count:     0
    .vgpr_spill_count: 0
    .wavefront_size: 64
  - .agpr_count:     0
    .args:
      - .offset:         0
        .size:           64
        .value_kind:     by_value
    .group_segment_fixed_size: 0
    .kernarg_segment_align: 8
    .kernarg_segment_size: 64
    .language:       OpenCL C
    .language_version:
      - 2
      - 0
    .max_flat_workgroup_size: 512
    .name:           _ZN7rocprim17ROCPRIM_400000_NS6detail17trampoline_kernelINS0_14default_configENS1_38merge_sort_block_merge_config_selectorIllEEZZNS1_27merge_sort_block_merge_implIS3_PlN6thrust23THRUST_200600_302600_NS10device_ptrIlEEjNS1_19radix_merge_compareILb0ELb0ElNS0_19identity_decomposerEEEEE10hipError_tT0_T1_T2_jT3_P12ihipStream_tbPNSt15iterator_traitsISG_E10value_typeEPNSM_ISH_E10value_typeEPSI_NS1_7vsmem_tEENKUlT_SG_SH_SI_E_clIS7_S7_SB_S7_EESF_SV_SG_SH_SI_EUlSV_E0_NS1_11comp_targetILNS1_3genE10ELNS1_11target_archE1201ELNS1_3gpuE5ELNS1_3repE0EEENS1_38merge_mergepath_config_static_selectorELNS0_4arch9wavefront6targetE1EEEvSH_
    .private_segment_fixed_size: 0
    .sgpr_count:     4
    .sgpr_spill_count: 0
    .symbol:         _ZN7rocprim17ROCPRIM_400000_NS6detail17trampoline_kernelINS0_14default_configENS1_38merge_sort_block_merge_config_selectorIllEEZZNS1_27merge_sort_block_merge_implIS3_PlN6thrust23THRUST_200600_302600_NS10device_ptrIlEEjNS1_19radix_merge_compareILb0ELb0ElNS0_19identity_decomposerEEEEE10hipError_tT0_T1_T2_jT3_P12ihipStream_tbPNSt15iterator_traitsISG_E10value_typeEPNSM_ISH_E10value_typeEPSI_NS1_7vsmem_tEENKUlT_SG_SH_SI_E_clIS7_S7_SB_S7_EESF_SV_SG_SH_SI_EUlSV_E0_NS1_11comp_targetILNS1_3genE10ELNS1_11target_archE1201ELNS1_3gpuE5ELNS1_3repE0EEENS1_38merge_mergepath_config_static_selectorELNS0_4arch9wavefront6targetE1EEEvSH_.kd
    .uniform_work_group_size: 1
    .uses_dynamic_stack: false
    .vgpr_count:     0
    .vgpr_spill_count: 0
    .wavefront_size: 64
  - .agpr_count:     0
    .args:
      - .offset:         0
        .size:           64
        .value_kind:     by_value
    .group_segment_fixed_size: 0
    .kernarg_segment_align: 8
    .kernarg_segment_size: 64
    .language:       OpenCL C
    .language_version:
      - 2
      - 0
    .max_flat_workgroup_size: 256
    .name:           _ZN7rocprim17ROCPRIM_400000_NS6detail17trampoline_kernelINS0_14default_configENS1_38merge_sort_block_merge_config_selectorIllEEZZNS1_27merge_sort_block_merge_implIS3_PlN6thrust23THRUST_200600_302600_NS10device_ptrIlEEjNS1_19radix_merge_compareILb0ELb0ElNS0_19identity_decomposerEEEEE10hipError_tT0_T1_T2_jT3_P12ihipStream_tbPNSt15iterator_traitsISG_E10value_typeEPNSM_ISH_E10value_typeEPSI_NS1_7vsmem_tEENKUlT_SG_SH_SI_E_clIS7_S7_SB_S7_EESF_SV_SG_SH_SI_EUlSV_E0_NS1_11comp_targetILNS1_3genE5ELNS1_11target_archE942ELNS1_3gpuE9ELNS1_3repE0EEENS1_38merge_mergepath_config_static_selectorELNS0_4arch9wavefront6targetE1EEEvSH_
    .private_segment_fixed_size: 0
    .sgpr_count:     4
    .sgpr_spill_count: 0
    .symbol:         _ZN7rocprim17ROCPRIM_400000_NS6detail17trampoline_kernelINS0_14default_configENS1_38merge_sort_block_merge_config_selectorIllEEZZNS1_27merge_sort_block_merge_implIS3_PlN6thrust23THRUST_200600_302600_NS10device_ptrIlEEjNS1_19radix_merge_compareILb0ELb0ElNS0_19identity_decomposerEEEEE10hipError_tT0_T1_T2_jT3_P12ihipStream_tbPNSt15iterator_traitsISG_E10value_typeEPNSM_ISH_E10value_typeEPSI_NS1_7vsmem_tEENKUlT_SG_SH_SI_E_clIS7_S7_SB_S7_EESF_SV_SG_SH_SI_EUlSV_E0_NS1_11comp_targetILNS1_3genE5ELNS1_11target_archE942ELNS1_3gpuE9ELNS1_3repE0EEENS1_38merge_mergepath_config_static_selectorELNS0_4arch9wavefront6targetE1EEEvSH_.kd
    .uniform_work_group_size: 1
    .uses_dynamic_stack: false
    .vgpr_count:     0
    .vgpr_spill_count: 0
    .wavefront_size: 64
  - .agpr_count:     0
    .args:
      - .offset:         0
        .size:           64
        .value_kind:     by_value
      - .offset:         64
        .size:           4
        .value_kind:     hidden_block_count_x
      - .offset:         68
        .size:           4
        .value_kind:     hidden_block_count_y
      - .offset:         72
        .size:           4
        .value_kind:     hidden_block_count_z
      - .offset:         76
        .size:           2
        .value_kind:     hidden_group_size_x
      - .offset:         78
        .size:           2
        .value_kind:     hidden_group_size_y
      - .offset:         80
        .size:           2
        .value_kind:     hidden_group_size_z
      - .offset:         82
        .size:           2
        .value_kind:     hidden_remainder_x
      - .offset:         84
        .size:           2
        .value_kind:     hidden_remainder_y
      - .offset:         86
        .size:           2
        .value_kind:     hidden_remainder_z
      - .offset:         104
        .size:           8
        .value_kind:     hidden_global_offset_x
      - .offset:         112
        .size:           8
        .value_kind:     hidden_global_offset_y
      - .offset:         120
        .size:           8
        .value_kind:     hidden_global_offset_z
      - .offset:         128
        .size:           2
        .value_kind:     hidden_grid_dims
    .group_segment_fixed_size: 8448
    .kernarg_segment_align: 8
    .kernarg_segment_size: 320
    .language:       OpenCL C
    .language_version:
      - 2
      - 0
    .max_flat_workgroup_size: 512
    .name:           _ZN7rocprim17ROCPRIM_400000_NS6detail17trampoline_kernelINS0_14default_configENS1_38merge_sort_block_merge_config_selectorIllEEZZNS1_27merge_sort_block_merge_implIS3_PlN6thrust23THRUST_200600_302600_NS10device_ptrIlEEjNS1_19radix_merge_compareILb0ELb0ElNS0_19identity_decomposerEEEEE10hipError_tT0_T1_T2_jT3_P12ihipStream_tbPNSt15iterator_traitsISG_E10value_typeEPNSM_ISH_E10value_typeEPSI_NS1_7vsmem_tEENKUlT_SG_SH_SI_E_clIS7_S7_SB_S7_EESF_SV_SG_SH_SI_EUlSV_E0_NS1_11comp_targetILNS1_3genE4ELNS1_11target_archE910ELNS1_3gpuE8ELNS1_3repE0EEENS1_38merge_mergepath_config_static_selectorELNS0_4arch9wavefront6targetE1EEEvSH_
    .private_segment_fixed_size: 0
    .sgpr_count:     35
    .sgpr_spill_count: 0
    .symbol:         _ZN7rocprim17ROCPRIM_400000_NS6detail17trampoline_kernelINS0_14default_configENS1_38merge_sort_block_merge_config_selectorIllEEZZNS1_27merge_sort_block_merge_implIS3_PlN6thrust23THRUST_200600_302600_NS10device_ptrIlEEjNS1_19radix_merge_compareILb0ELb0ElNS0_19identity_decomposerEEEEE10hipError_tT0_T1_T2_jT3_P12ihipStream_tbPNSt15iterator_traitsISG_E10value_typeEPNSM_ISH_E10value_typeEPSI_NS1_7vsmem_tEENKUlT_SG_SH_SI_E_clIS7_S7_SB_S7_EESF_SV_SG_SH_SI_EUlSV_E0_NS1_11comp_targetILNS1_3genE4ELNS1_11target_archE910ELNS1_3gpuE8ELNS1_3repE0EEENS1_38merge_mergepath_config_static_selectorELNS0_4arch9wavefront6targetE1EEEvSH_.kd
    .uniform_work_group_size: 1
    .uses_dynamic_stack: false
    .vgpr_count:     22
    .vgpr_spill_count: 0
    .wavefront_size: 64
  - .agpr_count:     0
    .args:
      - .offset:         0
        .size:           64
        .value_kind:     by_value
    .group_segment_fixed_size: 0
    .kernarg_segment_align: 8
    .kernarg_segment_size: 64
    .language:       OpenCL C
    .language_version:
      - 2
      - 0
    .max_flat_workgroup_size: 512
    .name:           _ZN7rocprim17ROCPRIM_400000_NS6detail17trampoline_kernelINS0_14default_configENS1_38merge_sort_block_merge_config_selectorIllEEZZNS1_27merge_sort_block_merge_implIS3_PlN6thrust23THRUST_200600_302600_NS10device_ptrIlEEjNS1_19radix_merge_compareILb0ELb0ElNS0_19identity_decomposerEEEEE10hipError_tT0_T1_T2_jT3_P12ihipStream_tbPNSt15iterator_traitsISG_E10value_typeEPNSM_ISH_E10value_typeEPSI_NS1_7vsmem_tEENKUlT_SG_SH_SI_E_clIS7_S7_SB_S7_EESF_SV_SG_SH_SI_EUlSV_E0_NS1_11comp_targetILNS1_3genE3ELNS1_11target_archE908ELNS1_3gpuE7ELNS1_3repE0EEENS1_38merge_mergepath_config_static_selectorELNS0_4arch9wavefront6targetE1EEEvSH_
    .private_segment_fixed_size: 0
    .sgpr_count:     4
    .sgpr_spill_count: 0
    .symbol:         _ZN7rocprim17ROCPRIM_400000_NS6detail17trampoline_kernelINS0_14default_configENS1_38merge_sort_block_merge_config_selectorIllEEZZNS1_27merge_sort_block_merge_implIS3_PlN6thrust23THRUST_200600_302600_NS10device_ptrIlEEjNS1_19radix_merge_compareILb0ELb0ElNS0_19identity_decomposerEEEEE10hipError_tT0_T1_T2_jT3_P12ihipStream_tbPNSt15iterator_traitsISG_E10value_typeEPNSM_ISH_E10value_typeEPSI_NS1_7vsmem_tEENKUlT_SG_SH_SI_E_clIS7_S7_SB_S7_EESF_SV_SG_SH_SI_EUlSV_E0_NS1_11comp_targetILNS1_3genE3ELNS1_11target_archE908ELNS1_3gpuE7ELNS1_3repE0EEENS1_38merge_mergepath_config_static_selectorELNS0_4arch9wavefront6targetE1EEEvSH_.kd
    .uniform_work_group_size: 1
    .uses_dynamic_stack: false
    .vgpr_count:     0
    .vgpr_spill_count: 0
    .wavefront_size: 64
  - .agpr_count:     0
    .args:
      - .offset:         0
        .size:           64
        .value_kind:     by_value
    .group_segment_fixed_size: 0
    .kernarg_segment_align: 8
    .kernarg_segment_size: 64
    .language:       OpenCL C
    .language_version:
      - 2
      - 0
    .max_flat_workgroup_size: 128
    .name:           _ZN7rocprim17ROCPRIM_400000_NS6detail17trampoline_kernelINS0_14default_configENS1_38merge_sort_block_merge_config_selectorIllEEZZNS1_27merge_sort_block_merge_implIS3_PlN6thrust23THRUST_200600_302600_NS10device_ptrIlEEjNS1_19radix_merge_compareILb0ELb0ElNS0_19identity_decomposerEEEEE10hipError_tT0_T1_T2_jT3_P12ihipStream_tbPNSt15iterator_traitsISG_E10value_typeEPNSM_ISH_E10value_typeEPSI_NS1_7vsmem_tEENKUlT_SG_SH_SI_E_clIS7_S7_SB_S7_EESF_SV_SG_SH_SI_EUlSV_E0_NS1_11comp_targetILNS1_3genE2ELNS1_11target_archE906ELNS1_3gpuE6ELNS1_3repE0EEENS1_38merge_mergepath_config_static_selectorELNS0_4arch9wavefront6targetE1EEEvSH_
    .private_segment_fixed_size: 0
    .sgpr_count:     4
    .sgpr_spill_count: 0
    .symbol:         _ZN7rocprim17ROCPRIM_400000_NS6detail17trampoline_kernelINS0_14default_configENS1_38merge_sort_block_merge_config_selectorIllEEZZNS1_27merge_sort_block_merge_implIS3_PlN6thrust23THRUST_200600_302600_NS10device_ptrIlEEjNS1_19radix_merge_compareILb0ELb0ElNS0_19identity_decomposerEEEEE10hipError_tT0_T1_T2_jT3_P12ihipStream_tbPNSt15iterator_traitsISG_E10value_typeEPNSM_ISH_E10value_typeEPSI_NS1_7vsmem_tEENKUlT_SG_SH_SI_E_clIS7_S7_SB_S7_EESF_SV_SG_SH_SI_EUlSV_E0_NS1_11comp_targetILNS1_3genE2ELNS1_11target_archE906ELNS1_3gpuE6ELNS1_3repE0EEENS1_38merge_mergepath_config_static_selectorELNS0_4arch9wavefront6targetE1EEEvSH_.kd
    .uniform_work_group_size: 1
    .uses_dynamic_stack: false
    .vgpr_count:     0
    .vgpr_spill_count: 0
    .wavefront_size: 64
  - .agpr_count:     0
    .args:
      - .offset:         0
        .size:           64
        .value_kind:     by_value
    .group_segment_fixed_size: 0
    .kernarg_segment_align: 8
    .kernarg_segment_size: 64
    .language:       OpenCL C
    .language_version:
      - 2
      - 0
    .max_flat_workgroup_size: 1024
    .name:           _ZN7rocprim17ROCPRIM_400000_NS6detail17trampoline_kernelINS0_14default_configENS1_38merge_sort_block_merge_config_selectorIllEEZZNS1_27merge_sort_block_merge_implIS3_PlN6thrust23THRUST_200600_302600_NS10device_ptrIlEEjNS1_19radix_merge_compareILb0ELb0ElNS0_19identity_decomposerEEEEE10hipError_tT0_T1_T2_jT3_P12ihipStream_tbPNSt15iterator_traitsISG_E10value_typeEPNSM_ISH_E10value_typeEPSI_NS1_7vsmem_tEENKUlT_SG_SH_SI_E_clIS7_S7_SB_S7_EESF_SV_SG_SH_SI_EUlSV_E0_NS1_11comp_targetILNS1_3genE9ELNS1_11target_archE1100ELNS1_3gpuE3ELNS1_3repE0EEENS1_38merge_mergepath_config_static_selectorELNS0_4arch9wavefront6targetE1EEEvSH_
    .private_segment_fixed_size: 0
    .sgpr_count:     4
    .sgpr_spill_count: 0
    .symbol:         _ZN7rocprim17ROCPRIM_400000_NS6detail17trampoline_kernelINS0_14default_configENS1_38merge_sort_block_merge_config_selectorIllEEZZNS1_27merge_sort_block_merge_implIS3_PlN6thrust23THRUST_200600_302600_NS10device_ptrIlEEjNS1_19radix_merge_compareILb0ELb0ElNS0_19identity_decomposerEEEEE10hipError_tT0_T1_T2_jT3_P12ihipStream_tbPNSt15iterator_traitsISG_E10value_typeEPNSM_ISH_E10value_typeEPSI_NS1_7vsmem_tEENKUlT_SG_SH_SI_E_clIS7_S7_SB_S7_EESF_SV_SG_SH_SI_EUlSV_E0_NS1_11comp_targetILNS1_3genE9ELNS1_11target_archE1100ELNS1_3gpuE3ELNS1_3repE0EEENS1_38merge_mergepath_config_static_selectorELNS0_4arch9wavefront6targetE1EEEvSH_.kd
    .uniform_work_group_size: 1
    .uses_dynamic_stack: false
    .vgpr_count:     0
    .vgpr_spill_count: 0
    .wavefront_size: 64
  - .agpr_count:     0
    .args:
      - .offset:         0
        .size:           64
        .value_kind:     by_value
    .group_segment_fixed_size: 0
    .kernarg_segment_align: 8
    .kernarg_segment_size: 64
    .language:       OpenCL C
    .language_version:
      - 2
      - 0
    .max_flat_workgroup_size: 1024
    .name:           _ZN7rocprim17ROCPRIM_400000_NS6detail17trampoline_kernelINS0_14default_configENS1_38merge_sort_block_merge_config_selectorIllEEZZNS1_27merge_sort_block_merge_implIS3_PlN6thrust23THRUST_200600_302600_NS10device_ptrIlEEjNS1_19radix_merge_compareILb0ELb0ElNS0_19identity_decomposerEEEEE10hipError_tT0_T1_T2_jT3_P12ihipStream_tbPNSt15iterator_traitsISG_E10value_typeEPNSM_ISH_E10value_typeEPSI_NS1_7vsmem_tEENKUlT_SG_SH_SI_E_clIS7_S7_SB_S7_EESF_SV_SG_SH_SI_EUlSV_E0_NS1_11comp_targetILNS1_3genE8ELNS1_11target_archE1030ELNS1_3gpuE2ELNS1_3repE0EEENS1_38merge_mergepath_config_static_selectorELNS0_4arch9wavefront6targetE1EEEvSH_
    .private_segment_fixed_size: 0
    .sgpr_count:     4
    .sgpr_spill_count: 0
    .symbol:         _ZN7rocprim17ROCPRIM_400000_NS6detail17trampoline_kernelINS0_14default_configENS1_38merge_sort_block_merge_config_selectorIllEEZZNS1_27merge_sort_block_merge_implIS3_PlN6thrust23THRUST_200600_302600_NS10device_ptrIlEEjNS1_19radix_merge_compareILb0ELb0ElNS0_19identity_decomposerEEEEE10hipError_tT0_T1_T2_jT3_P12ihipStream_tbPNSt15iterator_traitsISG_E10value_typeEPNSM_ISH_E10value_typeEPSI_NS1_7vsmem_tEENKUlT_SG_SH_SI_E_clIS7_S7_SB_S7_EESF_SV_SG_SH_SI_EUlSV_E0_NS1_11comp_targetILNS1_3genE8ELNS1_11target_archE1030ELNS1_3gpuE2ELNS1_3repE0EEENS1_38merge_mergepath_config_static_selectorELNS0_4arch9wavefront6targetE1EEEvSH_.kd
    .uniform_work_group_size: 1
    .uses_dynamic_stack: false
    .vgpr_count:     0
    .vgpr_spill_count: 0
    .wavefront_size: 64
  - .agpr_count:     0
    .args:
      - .offset:         0
        .size:           48
        .value_kind:     by_value
    .group_segment_fixed_size: 0
    .kernarg_segment_align: 8
    .kernarg_segment_size: 48
    .language:       OpenCL C
    .language_version:
      - 2
      - 0
    .max_flat_workgroup_size: 256
    .name:           _ZN7rocprim17ROCPRIM_400000_NS6detail17trampoline_kernelINS0_14default_configENS1_38merge_sort_block_merge_config_selectorIllEEZZNS1_27merge_sort_block_merge_implIS3_PlN6thrust23THRUST_200600_302600_NS10device_ptrIlEEjNS1_19radix_merge_compareILb0ELb0ElNS0_19identity_decomposerEEEEE10hipError_tT0_T1_T2_jT3_P12ihipStream_tbPNSt15iterator_traitsISG_E10value_typeEPNSM_ISH_E10value_typeEPSI_NS1_7vsmem_tEENKUlT_SG_SH_SI_E_clIS7_S7_SB_S7_EESF_SV_SG_SH_SI_EUlSV_E1_NS1_11comp_targetILNS1_3genE0ELNS1_11target_archE4294967295ELNS1_3gpuE0ELNS1_3repE0EEENS1_36merge_oddeven_config_static_selectorELNS0_4arch9wavefront6targetE1EEEvSH_
    .private_segment_fixed_size: 0
    .sgpr_count:     4
    .sgpr_spill_count: 0
    .symbol:         _ZN7rocprim17ROCPRIM_400000_NS6detail17trampoline_kernelINS0_14default_configENS1_38merge_sort_block_merge_config_selectorIllEEZZNS1_27merge_sort_block_merge_implIS3_PlN6thrust23THRUST_200600_302600_NS10device_ptrIlEEjNS1_19radix_merge_compareILb0ELb0ElNS0_19identity_decomposerEEEEE10hipError_tT0_T1_T2_jT3_P12ihipStream_tbPNSt15iterator_traitsISG_E10value_typeEPNSM_ISH_E10value_typeEPSI_NS1_7vsmem_tEENKUlT_SG_SH_SI_E_clIS7_S7_SB_S7_EESF_SV_SG_SH_SI_EUlSV_E1_NS1_11comp_targetILNS1_3genE0ELNS1_11target_archE4294967295ELNS1_3gpuE0ELNS1_3repE0EEENS1_36merge_oddeven_config_static_selectorELNS0_4arch9wavefront6targetE1EEEvSH_.kd
    .uniform_work_group_size: 1
    .uses_dynamic_stack: false
    .vgpr_count:     0
    .vgpr_spill_count: 0
    .wavefront_size: 64
  - .agpr_count:     0
    .args:
      - .offset:         0
        .size:           48
        .value_kind:     by_value
    .group_segment_fixed_size: 0
    .kernarg_segment_align: 8
    .kernarg_segment_size: 48
    .language:       OpenCL C
    .language_version:
      - 2
      - 0
    .max_flat_workgroup_size: 256
    .name:           _ZN7rocprim17ROCPRIM_400000_NS6detail17trampoline_kernelINS0_14default_configENS1_38merge_sort_block_merge_config_selectorIllEEZZNS1_27merge_sort_block_merge_implIS3_PlN6thrust23THRUST_200600_302600_NS10device_ptrIlEEjNS1_19radix_merge_compareILb0ELb0ElNS0_19identity_decomposerEEEEE10hipError_tT0_T1_T2_jT3_P12ihipStream_tbPNSt15iterator_traitsISG_E10value_typeEPNSM_ISH_E10value_typeEPSI_NS1_7vsmem_tEENKUlT_SG_SH_SI_E_clIS7_S7_SB_S7_EESF_SV_SG_SH_SI_EUlSV_E1_NS1_11comp_targetILNS1_3genE10ELNS1_11target_archE1201ELNS1_3gpuE5ELNS1_3repE0EEENS1_36merge_oddeven_config_static_selectorELNS0_4arch9wavefront6targetE1EEEvSH_
    .private_segment_fixed_size: 0
    .sgpr_count:     4
    .sgpr_spill_count: 0
    .symbol:         _ZN7rocprim17ROCPRIM_400000_NS6detail17trampoline_kernelINS0_14default_configENS1_38merge_sort_block_merge_config_selectorIllEEZZNS1_27merge_sort_block_merge_implIS3_PlN6thrust23THRUST_200600_302600_NS10device_ptrIlEEjNS1_19radix_merge_compareILb0ELb0ElNS0_19identity_decomposerEEEEE10hipError_tT0_T1_T2_jT3_P12ihipStream_tbPNSt15iterator_traitsISG_E10value_typeEPNSM_ISH_E10value_typeEPSI_NS1_7vsmem_tEENKUlT_SG_SH_SI_E_clIS7_S7_SB_S7_EESF_SV_SG_SH_SI_EUlSV_E1_NS1_11comp_targetILNS1_3genE10ELNS1_11target_archE1201ELNS1_3gpuE5ELNS1_3repE0EEENS1_36merge_oddeven_config_static_selectorELNS0_4arch9wavefront6targetE1EEEvSH_.kd
    .uniform_work_group_size: 1
    .uses_dynamic_stack: false
    .vgpr_count:     0
    .vgpr_spill_count: 0
    .wavefront_size: 64
  - .agpr_count:     0
    .args:
      - .offset:         0
        .size:           48
        .value_kind:     by_value
    .group_segment_fixed_size: 0
    .kernarg_segment_align: 8
    .kernarg_segment_size: 48
    .language:       OpenCL C
    .language_version:
      - 2
      - 0
    .max_flat_workgroup_size: 256
    .name:           _ZN7rocprim17ROCPRIM_400000_NS6detail17trampoline_kernelINS0_14default_configENS1_38merge_sort_block_merge_config_selectorIllEEZZNS1_27merge_sort_block_merge_implIS3_PlN6thrust23THRUST_200600_302600_NS10device_ptrIlEEjNS1_19radix_merge_compareILb0ELb0ElNS0_19identity_decomposerEEEEE10hipError_tT0_T1_T2_jT3_P12ihipStream_tbPNSt15iterator_traitsISG_E10value_typeEPNSM_ISH_E10value_typeEPSI_NS1_7vsmem_tEENKUlT_SG_SH_SI_E_clIS7_S7_SB_S7_EESF_SV_SG_SH_SI_EUlSV_E1_NS1_11comp_targetILNS1_3genE5ELNS1_11target_archE942ELNS1_3gpuE9ELNS1_3repE0EEENS1_36merge_oddeven_config_static_selectorELNS0_4arch9wavefront6targetE1EEEvSH_
    .private_segment_fixed_size: 0
    .sgpr_count:     4
    .sgpr_spill_count: 0
    .symbol:         _ZN7rocprim17ROCPRIM_400000_NS6detail17trampoline_kernelINS0_14default_configENS1_38merge_sort_block_merge_config_selectorIllEEZZNS1_27merge_sort_block_merge_implIS3_PlN6thrust23THRUST_200600_302600_NS10device_ptrIlEEjNS1_19radix_merge_compareILb0ELb0ElNS0_19identity_decomposerEEEEE10hipError_tT0_T1_T2_jT3_P12ihipStream_tbPNSt15iterator_traitsISG_E10value_typeEPNSM_ISH_E10value_typeEPSI_NS1_7vsmem_tEENKUlT_SG_SH_SI_E_clIS7_S7_SB_S7_EESF_SV_SG_SH_SI_EUlSV_E1_NS1_11comp_targetILNS1_3genE5ELNS1_11target_archE942ELNS1_3gpuE9ELNS1_3repE0EEENS1_36merge_oddeven_config_static_selectorELNS0_4arch9wavefront6targetE1EEEvSH_.kd
    .uniform_work_group_size: 1
    .uses_dynamic_stack: false
    .vgpr_count:     0
    .vgpr_spill_count: 0
    .wavefront_size: 64
  - .agpr_count:     0
    .args:
      - .offset:         0
        .size:           48
        .value_kind:     by_value
    .group_segment_fixed_size: 0
    .kernarg_segment_align: 8
    .kernarg_segment_size: 48
    .language:       OpenCL C
    .language_version:
      - 2
      - 0
    .max_flat_workgroup_size: 256
    .name:           _ZN7rocprim17ROCPRIM_400000_NS6detail17trampoline_kernelINS0_14default_configENS1_38merge_sort_block_merge_config_selectorIllEEZZNS1_27merge_sort_block_merge_implIS3_PlN6thrust23THRUST_200600_302600_NS10device_ptrIlEEjNS1_19radix_merge_compareILb0ELb0ElNS0_19identity_decomposerEEEEE10hipError_tT0_T1_T2_jT3_P12ihipStream_tbPNSt15iterator_traitsISG_E10value_typeEPNSM_ISH_E10value_typeEPSI_NS1_7vsmem_tEENKUlT_SG_SH_SI_E_clIS7_S7_SB_S7_EESF_SV_SG_SH_SI_EUlSV_E1_NS1_11comp_targetILNS1_3genE4ELNS1_11target_archE910ELNS1_3gpuE8ELNS1_3repE0EEENS1_36merge_oddeven_config_static_selectorELNS0_4arch9wavefront6targetE1EEEvSH_
    .private_segment_fixed_size: 0
    .sgpr_count:     28
    .sgpr_spill_count: 0
    .symbol:         _ZN7rocprim17ROCPRIM_400000_NS6detail17trampoline_kernelINS0_14default_configENS1_38merge_sort_block_merge_config_selectorIllEEZZNS1_27merge_sort_block_merge_implIS3_PlN6thrust23THRUST_200600_302600_NS10device_ptrIlEEjNS1_19radix_merge_compareILb0ELb0ElNS0_19identity_decomposerEEEEE10hipError_tT0_T1_T2_jT3_P12ihipStream_tbPNSt15iterator_traitsISG_E10value_typeEPNSM_ISH_E10value_typeEPSI_NS1_7vsmem_tEENKUlT_SG_SH_SI_E_clIS7_S7_SB_S7_EESF_SV_SG_SH_SI_EUlSV_E1_NS1_11comp_targetILNS1_3genE4ELNS1_11target_archE910ELNS1_3gpuE8ELNS1_3repE0EEENS1_36merge_oddeven_config_static_selectorELNS0_4arch9wavefront6targetE1EEEvSH_.kd
    .uniform_work_group_size: 1
    .uses_dynamic_stack: false
    .vgpr_count:     14
    .vgpr_spill_count: 0
    .wavefront_size: 64
  - .agpr_count:     0
    .args:
      - .offset:         0
        .size:           48
        .value_kind:     by_value
    .group_segment_fixed_size: 0
    .kernarg_segment_align: 8
    .kernarg_segment_size: 48
    .language:       OpenCL C
    .language_version:
      - 2
      - 0
    .max_flat_workgroup_size: 256
    .name:           _ZN7rocprim17ROCPRIM_400000_NS6detail17trampoline_kernelINS0_14default_configENS1_38merge_sort_block_merge_config_selectorIllEEZZNS1_27merge_sort_block_merge_implIS3_PlN6thrust23THRUST_200600_302600_NS10device_ptrIlEEjNS1_19radix_merge_compareILb0ELb0ElNS0_19identity_decomposerEEEEE10hipError_tT0_T1_T2_jT3_P12ihipStream_tbPNSt15iterator_traitsISG_E10value_typeEPNSM_ISH_E10value_typeEPSI_NS1_7vsmem_tEENKUlT_SG_SH_SI_E_clIS7_S7_SB_S7_EESF_SV_SG_SH_SI_EUlSV_E1_NS1_11comp_targetILNS1_3genE3ELNS1_11target_archE908ELNS1_3gpuE7ELNS1_3repE0EEENS1_36merge_oddeven_config_static_selectorELNS0_4arch9wavefront6targetE1EEEvSH_
    .private_segment_fixed_size: 0
    .sgpr_count:     4
    .sgpr_spill_count: 0
    .symbol:         _ZN7rocprim17ROCPRIM_400000_NS6detail17trampoline_kernelINS0_14default_configENS1_38merge_sort_block_merge_config_selectorIllEEZZNS1_27merge_sort_block_merge_implIS3_PlN6thrust23THRUST_200600_302600_NS10device_ptrIlEEjNS1_19radix_merge_compareILb0ELb0ElNS0_19identity_decomposerEEEEE10hipError_tT0_T1_T2_jT3_P12ihipStream_tbPNSt15iterator_traitsISG_E10value_typeEPNSM_ISH_E10value_typeEPSI_NS1_7vsmem_tEENKUlT_SG_SH_SI_E_clIS7_S7_SB_S7_EESF_SV_SG_SH_SI_EUlSV_E1_NS1_11comp_targetILNS1_3genE3ELNS1_11target_archE908ELNS1_3gpuE7ELNS1_3repE0EEENS1_36merge_oddeven_config_static_selectorELNS0_4arch9wavefront6targetE1EEEvSH_.kd
    .uniform_work_group_size: 1
    .uses_dynamic_stack: false
    .vgpr_count:     0
    .vgpr_spill_count: 0
    .wavefront_size: 64
  - .agpr_count:     0
    .args:
      - .offset:         0
        .size:           48
        .value_kind:     by_value
    .group_segment_fixed_size: 0
    .kernarg_segment_align: 8
    .kernarg_segment_size: 48
    .language:       OpenCL C
    .language_version:
      - 2
      - 0
    .max_flat_workgroup_size: 256
    .name:           _ZN7rocprim17ROCPRIM_400000_NS6detail17trampoline_kernelINS0_14default_configENS1_38merge_sort_block_merge_config_selectorIllEEZZNS1_27merge_sort_block_merge_implIS3_PlN6thrust23THRUST_200600_302600_NS10device_ptrIlEEjNS1_19radix_merge_compareILb0ELb0ElNS0_19identity_decomposerEEEEE10hipError_tT0_T1_T2_jT3_P12ihipStream_tbPNSt15iterator_traitsISG_E10value_typeEPNSM_ISH_E10value_typeEPSI_NS1_7vsmem_tEENKUlT_SG_SH_SI_E_clIS7_S7_SB_S7_EESF_SV_SG_SH_SI_EUlSV_E1_NS1_11comp_targetILNS1_3genE2ELNS1_11target_archE906ELNS1_3gpuE6ELNS1_3repE0EEENS1_36merge_oddeven_config_static_selectorELNS0_4arch9wavefront6targetE1EEEvSH_
    .private_segment_fixed_size: 0
    .sgpr_count:     4
    .sgpr_spill_count: 0
    .symbol:         _ZN7rocprim17ROCPRIM_400000_NS6detail17trampoline_kernelINS0_14default_configENS1_38merge_sort_block_merge_config_selectorIllEEZZNS1_27merge_sort_block_merge_implIS3_PlN6thrust23THRUST_200600_302600_NS10device_ptrIlEEjNS1_19radix_merge_compareILb0ELb0ElNS0_19identity_decomposerEEEEE10hipError_tT0_T1_T2_jT3_P12ihipStream_tbPNSt15iterator_traitsISG_E10value_typeEPNSM_ISH_E10value_typeEPSI_NS1_7vsmem_tEENKUlT_SG_SH_SI_E_clIS7_S7_SB_S7_EESF_SV_SG_SH_SI_EUlSV_E1_NS1_11comp_targetILNS1_3genE2ELNS1_11target_archE906ELNS1_3gpuE6ELNS1_3repE0EEENS1_36merge_oddeven_config_static_selectorELNS0_4arch9wavefront6targetE1EEEvSH_.kd
    .uniform_work_group_size: 1
    .uses_dynamic_stack: false
    .vgpr_count:     0
    .vgpr_spill_count: 0
    .wavefront_size: 64
  - .agpr_count:     0
    .args:
      - .offset:         0
        .size:           48
        .value_kind:     by_value
    .group_segment_fixed_size: 0
    .kernarg_segment_align: 8
    .kernarg_segment_size: 48
    .language:       OpenCL C
    .language_version:
      - 2
      - 0
    .max_flat_workgroup_size: 256
    .name:           _ZN7rocprim17ROCPRIM_400000_NS6detail17trampoline_kernelINS0_14default_configENS1_38merge_sort_block_merge_config_selectorIllEEZZNS1_27merge_sort_block_merge_implIS3_PlN6thrust23THRUST_200600_302600_NS10device_ptrIlEEjNS1_19radix_merge_compareILb0ELb0ElNS0_19identity_decomposerEEEEE10hipError_tT0_T1_T2_jT3_P12ihipStream_tbPNSt15iterator_traitsISG_E10value_typeEPNSM_ISH_E10value_typeEPSI_NS1_7vsmem_tEENKUlT_SG_SH_SI_E_clIS7_S7_SB_S7_EESF_SV_SG_SH_SI_EUlSV_E1_NS1_11comp_targetILNS1_3genE9ELNS1_11target_archE1100ELNS1_3gpuE3ELNS1_3repE0EEENS1_36merge_oddeven_config_static_selectorELNS0_4arch9wavefront6targetE1EEEvSH_
    .private_segment_fixed_size: 0
    .sgpr_count:     4
    .sgpr_spill_count: 0
    .symbol:         _ZN7rocprim17ROCPRIM_400000_NS6detail17trampoline_kernelINS0_14default_configENS1_38merge_sort_block_merge_config_selectorIllEEZZNS1_27merge_sort_block_merge_implIS3_PlN6thrust23THRUST_200600_302600_NS10device_ptrIlEEjNS1_19radix_merge_compareILb0ELb0ElNS0_19identity_decomposerEEEEE10hipError_tT0_T1_T2_jT3_P12ihipStream_tbPNSt15iterator_traitsISG_E10value_typeEPNSM_ISH_E10value_typeEPSI_NS1_7vsmem_tEENKUlT_SG_SH_SI_E_clIS7_S7_SB_S7_EESF_SV_SG_SH_SI_EUlSV_E1_NS1_11comp_targetILNS1_3genE9ELNS1_11target_archE1100ELNS1_3gpuE3ELNS1_3repE0EEENS1_36merge_oddeven_config_static_selectorELNS0_4arch9wavefront6targetE1EEEvSH_.kd
    .uniform_work_group_size: 1
    .uses_dynamic_stack: false
    .vgpr_count:     0
    .vgpr_spill_count: 0
    .wavefront_size: 64
  - .agpr_count:     0
    .args:
      - .offset:         0
        .size:           48
        .value_kind:     by_value
    .group_segment_fixed_size: 0
    .kernarg_segment_align: 8
    .kernarg_segment_size: 48
    .language:       OpenCL C
    .language_version:
      - 2
      - 0
    .max_flat_workgroup_size: 256
    .name:           _ZN7rocprim17ROCPRIM_400000_NS6detail17trampoline_kernelINS0_14default_configENS1_38merge_sort_block_merge_config_selectorIllEEZZNS1_27merge_sort_block_merge_implIS3_PlN6thrust23THRUST_200600_302600_NS10device_ptrIlEEjNS1_19radix_merge_compareILb0ELb0ElNS0_19identity_decomposerEEEEE10hipError_tT0_T1_T2_jT3_P12ihipStream_tbPNSt15iterator_traitsISG_E10value_typeEPNSM_ISH_E10value_typeEPSI_NS1_7vsmem_tEENKUlT_SG_SH_SI_E_clIS7_S7_SB_S7_EESF_SV_SG_SH_SI_EUlSV_E1_NS1_11comp_targetILNS1_3genE8ELNS1_11target_archE1030ELNS1_3gpuE2ELNS1_3repE0EEENS1_36merge_oddeven_config_static_selectorELNS0_4arch9wavefront6targetE1EEEvSH_
    .private_segment_fixed_size: 0
    .sgpr_count:     4
    .sgpr_spill_count: 0
    .symbol:         _ZN7rocprim17ROCPRIM_400000_NS6detail17trampoline_kernelINS0_14default_configENS1_38merge_sort_block_merge_config_selectorIllEEZZNS1_27merge_sort_block_merge_implIS3_PlN6thrust23THRUST_200600_302600_NS10device_ptrIlEEjNS1_19radix_merge_compareILb0ELb0ElNS0_19identity_decomposerEEEEE10hipError_tT0_T1_T2_jT3_P12ihipStream_tbPNSt15iterator_traitsISG_E10value_typeEPNSM_ISH_E10value_typeEPSI_NS1_7vsmem_tEENKUlT_SG_SH_SI_E_clIS7_S7_SB_S7_EESF_SV_SG_SH_SI_EUlSV_E1_NS1_11comp_targetILNS1_3genE8ELNS1_11target_archE1030ELNS1_3gpuE2ELNS1_3repE0EEENS1_36merge_oddeven_config_static_selectorELNS0_4arch9wavefront6targetE1EEEvSH_.kd
    .uniform_work_group_size: 1
    .uses_dynamic_stack: false
    .vgpr_count:     0
    .vgpr_spill_count: 0
    .wavefront_size: 64
  - .agpr_count:     0
    .args:
      - .offset:         0
        .size:           40
        .value_kind:     by_value
    .group_segment_fixed_size: 0
    .kernarg_segment_align: 8
    .kernarg_segment_size: 40
    .language:       OpenCL C
    .language_version:
      - 2
      - 0
    .max_flat_workgroup_size: 128
    .name:           _ZN7rocprim17ROCPRIM_400000_NS6detail17trampoline_kernelINS0_14default_configENS1_25transform_config_selectorIlLb1EEEZNS1_14transform_implILb1ES3_S5_PlS7_NS0_8identityIlEEEE10hipError_tT2_T3_mT4_P12ihipStream_tbEUlT_E_NS1_11comp_targetILNS1_3genE0ELNS1_11target_archE4294967295ELNS1_3gpuE0ELNS1_3repE0EEENS1_30default_config_static_selectorELNS0_4arch9wavefront6targetE1EEEvT1_
    .private_segment_fixed_size: 0
    .sgpr_count:     4
    .sgpr_spill_count: 0
    .symbol:         _ZN7rocprim17ROCPRIM_400000_NS6detail17trampoline_kernelINS0_14default_configENS1_25transform_config_selectorIlLb1EEEZNS1_14transform_implILb1ES3_S5_PlS7_NS0_8identityIlEEEE10hipError_tT2_T3_mT4_P12ihipStream_tbEUlT_E_NS1_11comp_targetILNS1_3genE0ELNS1_11target_archE4294967295ELNS1_3gpuE0ELNS1_3repE0EEENS1_30default_config_static_selectorELNS0_4arch9wavefront6targetE1EEEvT1_.kd
    .uniform_work_group_size: 1
    .uses_dynamic_stack: false
    .vgpr_count:     0
    .vgpr_spill_count: 0
    .wavefront_size: 64
  - .agpr_count:     0
    .args:
      - .offset:         0
        .size:           40
        .value_kind:     by_value
    .group_segment_fixed_size: 0
    .kernarg_segment_align: 8
    .kernarg_segment_size: 40
    .language:       OpenCL C
    .language_version:
      - 2
      - 0
    .max_flat_workgroup_size: 1024
    .name:           _ZN7rocprim17ROCPRIM_400000_NS6detail17trampoline_kernelINS0_14default_configENS1_25transform_config_selectorIlLb1EEEZNS1_14transform_implILb1ES3_S5_PlS7_NS0_8identityIlEEEE10hipError_tT2_T3_mT4_P12ihipStream_tbEUlT_E_NS1_11comp_targetILNS1_3genE10ELNS1_11target_archE1201ELNS1_3gpuE5ELNS1_3repE0EEENS1_30default_config_static_selectorELNS0_4arch9wavefront6targetE1EEEvT1_
    .private_segment_fixed_size: 0
    .sgpr_count:     4
    .sgpr_spill_count: 0
    .symbol:         _ZN7rocprim17ROCPRIM_400000_NS6detail17trampoline_kernelINS0_14default_configENS1_25transform_config_selectorIlLb1EEEZNS1_14transform_implILb1ES3_S5_PlS7_NS0_8identityIlEEEE10hipError_tT2_T3_mT4_P12ihipStream_tbEUlT_E_NS1_11comp_targetILNS1_3genE10ELNS1_11target_archE1201ELNS1_3gpuE5ELNS1_3repE0EEENS1_30default_config_static_selectorELNS0_4arch9wavefront6targetE1EEEvT1_.kd
    .uniform_work_group_size: 1
    .uses_dynamic_stack: false
    .vgpr_count:     0
    .vgpr_spill_count: 0
    .wavefront_size: 64
  - .agpr_count:     0
    .args:
      - .offset:         0
        .size:           40
        .value_kind:     by_value
    .group_segment_fixed_size: 0
    .kernarg_segment_align: 8
    .kernarg_segment_size: 40
    .language:       OpenCL C
    .language_version:
      - 2
      - 0
    .max_flat_workgroup_size: 512
    .name:           _ZN7rocprim17ROCPRIM_400000_NS6detail17trampoline_kernelINS0_14default_configENS1_25transform_config_selectorIlLb1EEEZNS1_14transform_implILb1ES3_S5_PlS7_NS0_8identityIlEEEE10hipError_tT2_T3_mT4_P12ihipStream_tbEUlT_E_NS1_11comp_targetILNS1_3genE5ELNS1_11target_archE942ELNS1_3gpuE9ELNS1_3repE0EEENS1_30default_config_static_selectorELNS0_4arch9wavefront6targetE1EEEvT1_
    .private_segment_fixed_size: 0
    .sgpr_count:     4
    .sgpr_spill_count: 0
    .symbol:         _ZN7rocprim17ROCPRIM_400000_NS6detail17trampoline_kernelINS0_14default_configENS1_25transform_config_selectorIlLb1EEEZNS1_14transform_implILb1ES3_S5_PlS7_NS0_8identityIlEEEE10hipError_tT2_T3_mT4_P12ihipStream_tbEUlT_E_NS1_11comp_targetILNS1_3genE5ELNS1_11target_archE942ELNS1_3gpuE9ELNS1_3repE0EEENS1_30default_config_static_selectorELNS0_4arch9wavefront6targetE1EEEvT1_.kd
    .uniform_work_group_size: 1
    .uses_dynamic_stack: false
    .vgpr_count:     0
    .vgpr_spill_count: 0
    .wavefront_size: 64
  - .agpr_count:     0
    .args:
      - .offset:         0
        .size:           40
        .value_kind:     by_value
      - .offset:         40
        .size:           4
        .value_kind:     hidden_block_count_x
      - .offset:         44
        .size:           4
        .value_kind:     hidden_block_count_y
      - .offset:         48
        .size:           4
        .value_kind:     hidden_block_count_z
      - .offset:         52
        .size:           2
        .value_kind:     hidden_group_size_x
      - .offset:         54
        .size:           2
        .value_kind:     hidden_group_size_y
      - .offset:         56
        .size:           2
        .value_kind:     hidden_group_size_z
      - .offset:         58
        .size:           2
        .value_kind:     hidden_remainder_x
      - .offset:         60
        .size:           2
        .value_kind:     hidden_remainder_y
      - .offset:         62
        .size:           2
        .value_kind:     hidden_remainder_z
      - .offset:         80
        .size:           8
        .value_kind:     hidden_global_offset_x
      - .offset:         88
        .size:           8
        .value_kind:     hidden_global_offset_y
      - .offset:         96
        .size:           8
        .value_kind:     hidden_global_offset_z
      - .offset:         104
        .size:           2
        .value_kind:     hidden_grid_dims
    .group_segment_fixed_size: 0
    .kernarg_segment_align: 8
    .kernarg_segment_size: 296
    .language:       OpenCL C
    .language_version:
      - 2
      - 0
    .max_flat_workgroup_size: 1024
    .name:           _ZN7rocprim17ROCPRIM_400000_NS6detail17trampoline_kernelINS0_14default_configENS1_25transform_config_selectorIlLb1EEEZNS1_14transform_implILb1ES3_S5_PlS7_NS0_8identityIlEEEE10hipError_tT2_T3_mT4_P12ihipStream_tbEUlT_E_NS1_11comp_targetILNS1_3genE4ELNS1_11target_archE910ELNS1_3gpuE8ELNS1_3repE0EEENS1_30default_config_static_selectorELNS0_4arch9wavefront6targetE1EEEvT1_
    .private_segment_fixed_size: 0
    .sgpr_count:     20
    .sgpr_spill_count: 0
    .symbol:         _ZN7rocprim17ROCPRIM_400000_NS6detail17trampoline_kernelINS0_14default_configENS1_25transform_config_selectorIlLb1EEEZNS1_14transform_implILb1ES3_S5_PlS7_NS0_8identityIlEEEE10hipError_tT2_T3_mT4_P12ihipStream_tbEUlT_E_NS1_11comp_targetILNS1_3genE4ELNS1_11target_archE910ELNS1_3gpuE8ELNS1_3repE0EEENS1_30default_config_static_selectorELNS0_4arch9wavefront6targetE1EEEvT1_.kd
    .uniform_work_group_size: 1
    .uses_dynamic_stack: false
    .vgpr_count:     7
    .vgpr_spill_count: 0
    .wavefront_size: 64
  - .agpr_count:     0
    .args:
      - .offset:         0
        .size:           40
        .value_kind:     by_value
    .group_segment_fixed_size: 0
    .kernarg_segment_align: 8
    .kernarg_segment_size: 40
    .language:       OpenCL C
    .language_version:
      - 2
      - 0
    .max_flat_workgroup_size: 128
    .name:           _ZN7rocprim17ROCPRIM_400000_NS6detail17trampoline_kernelINS0_14default_configENS1_25transform_config_selectorIlLb1EEEZNS1_14transform_implILb1ES3_S5_PlS7_NS0_8identityIlEEEE10hipError_tT2_T3_mT4_P12ihipStream_tbEUlT_E_NS1_11comp_targetILNS1_3genE3ELNS1_11target_archE908ELNS1_3gpuE7ELNS1_3repE0EEENS1_30default_config_static_selectorELNS0_4arch9wavefront6targetE1EEEvT1_
    .private_segment_fixed_size: 0
    .sgpr_count:     4
    .sgpr_spill_count: 0
    .symbol:         _ZN7rocprim17ROCPRIM_400000_NS6detail17trampoline_kernelINS0_14default_configENS1_25transform_config_selectorIlLb1EEEZNS1_14transform_implILb1ES3_S5_PlS7_NS0_8identityIlEEEE10hipError_tT2_T3_mT4_P12ihipStream_tbEUlT_E_NS1_11comp_targetILNS1_3genE3ELNS1_11target_archE908ELNS1_3gpuE7ELNS1_3repE0EEENS1_30default_config_static_selectorELNS0_4arch9wavefront6targetE1EEEvT1_.kd
    .uniform_work_group_size: 1
    .uses_dynamic_stack: false
    .vgpr_count:     0
    .vgpr_spill_count: 0
    .wavefront_size: 64
  - .agpr_count:     0
    .args:
      - .offset:         0
        .size:           40
        .value_kind:     by_value
    .group_segment_fixed_size: 0
    .kernarg_segment_align: 8
    .kernarg_segment_size: 40
    .language:       OpenCL C
    .language_version:
      - 2
      - 0
    .max_flat_workgroup_size: 512
    .name:           _ZN7rocprim17ROCPRIM_400000_NS6detail17trampoline_kernelINS0_14default_configENS1_25transform_config_selectorIlLb1EEEZNS1_14transform_implILb1ES3_S5_PlS7_NS0_8identityIlEEEE10hipError_tT2_T3_mT4_P12ihipStream_tbEUlT_E_NS1_11comp_targetILNS1_3genE2ELNS1_11target_archE906ELNS1_3gpuE6ELNS1_3repE0EEENS1_30default_config_static_selectorELNS0_4arch9wavefront6targetE1EEEvT1_
    .private_segment_fixed_size: 0
    .sgpr_count:     4
    .sgpr_spill_count: 0
    .symbol:         _ZN7rocprim17ROCPRIM_400000_NS6detail17trampoline_kernelINS0_14default_configENS1_25transform_config_selectorIlLb1EEEZNS1_14transform_implILb1ES3_S5_PlS7_NS0_8identityIlEEEE10hipError_tT2_T3_mT4_P12ihipStream_tbEUlT_E_NS1_11comp_targetILNS1_3genE2ELNS1_11target_archE906ELNS1_3gpuE6ELNS1_3repE0EEENS1_30default_config_static_selectorELNS0_4arch9wavefront6targetE1EEEvT1_.kd
    .uniform_work_group_size: 1
    .uses_dynamic_stack: false
    .vgpr_count:     0
    .vgpr_spill_count: 0
    .wavefront_size: 64
  - .agpr_count:     0
    .args:
      - .offset:         0
        .size:           40
        .value_kind:     by_value
    .group_segment_fixed_size: 0
    .kernarg_segment_align: 8
    .kernarg_segment_size: 40
    .language:       OpenCL C
    .language_version:
      - 2
      - 0
    .max_flat_workgroup_size: 1024
    .name:           _ZN7rocprim17ROCPRIM_400000_NS6detail17trampoline_kernelINS0_14default_configENS1_25transform_config_selectorIlLb1EEEZNS1_14transform_implILb1ES3_S5_PlS7_NS0_8identityIlEEEE10hipError_tT2_T3_mT4_P12ihipStream_tbEUlT_E_NS1_11comp_targetILNS1_3genE9ELNS1_11target_archE1100ELNS1_3gpuE3ELNS1_3repE0EEENS1_30default_config_static_selectorELNS0_4arch9wavefront6targetE1EEEvT1_
    .private_segment_fixed_size: 0
    .sgpr_count:     4
    .sgpr_spill_count: 0
    .symbol:         _ZN7rocprim17ROCPRIM_400000_NS6detail17trampoline_kernelINS0_14default_configENS1_25transform_config_selectorIlLb1EEEZNS1_14transform_implILb1ES3_S5_PlS7_NS0_8identityIlEEEE10hipError_tT2_T3_mT4_P12ihipStream_tbEUlT_E_NS1_11comp_targetILNS1_3genE9ELNS1_11target_archE1100ELNS1_3gpuE3ELNS1_3repE0EEENS1_30default_config_static_selectorELNS0_4arch9wavefront6targetE1EEEvT1_.kd
    .uniform_work_group_size: 1
    .uses_dynamic_stack: false
    .vgpr_count:     0
    .vgpr_spill_count: 0
    .wavefront_size: 64
  - .agpr_count:     0
    .args:
      - .offset:         0
        .size:           40
        .value_kind:     by_value
    .group_segment_fixed_size: 0
    .kernarg_segment_align: 8
    .kernarg_segment_size: 40
    .language:       OpenCL C
    .language_version:
      - 2
      - 0
    .max_flat_workgroup_size: 1024
    .name:           _ZN7rocprim17ROCPRIM_400000_NS6detail17trampoline_kernelINS0_14default_configENS1_25transform_config_selectorIlLb1EEEZNS1_14transform_implILb1ES3_S5_PlS7_NS0_8identityIlEEEE10hipError_tT2_T3_mT4_P12ihipStream_tbEUlT_E_NS1_11comp_targetILNS1_3genE8ELNS1_11target_archE1030ELNS1_3gpuE2ELNS1_3repE0EEENS1_30default_config_static_selectorELNS0_4arch9wavefront6targetE1EEEvT1_
    .private_segment_fixed_size: 0
    .sgpr_count:     4
    .sgpr_spill_count: 0
    .symbol:         _ZN7rocprim17ROCPRIM_400000_NS6detail17trampoline_kernelINS0_14default_configENS1_25transform_config_selectorIlLb1EEEZNS1_14transform_implILb1ES3_S5_PlS7_NS0_8identityIlEEEE10hipError_tT2_T3_mT4_P12ihipStream_tbEUlT_E_NS1_11comp_targetILNS1_3genE8ELNS1_11target_archE1030ELNS1_3gpuE2ELNS1_3repE0EEENS1_30default_config_static_selectorELNS0_4arch9wavefront6targetE1EEEvT1_.kd
    .uniform_work_group_size: 1
    .uses_dynamic_stack: false
    .vgpr_count:     0
    .vgpr_spill_count: 0
    .wavefront_size: 64
  - .agpr_count:     0
    .args:
      - .offset:         0
        .size:           40
        .value_kind:     by_value
    .group_segment_fixed_size: 0
    .kernarg_segment_align: 8
    .kernarg_segment_size: 40
    .language:       OpenCL C
    .language_version:
      - 2
      - 0
    .max_flat_workgroup_size: 128
    .name:           _ZN7rocprim17ROCPRIM_400000_NS6detail17trampoline_kernelINS0_14default_configENS1_38merge_sort_block_merge_config_selectorIllEEZZNS1_27merge_sort_block_merge_implIS3_PlN6thrust23THRUST_200600_302600_NS10device_ptrIlEEjNS1_19radix_merge_compareILb0ELb1ElNS0_19identity_decomposerEEEEE10hipError_tT0_T1_T2_jT3_P12ihipStream_tbPNSt15iterator_traitsISG_E10value_typeEPNSM_ISH_E10value_typeEPSI_NS1_7vsmem_tEENKUlT_SG_SH_SI_E_clIS7_S7_S7_SB_EESF_SV_SG_SH_SI_EUlSV_E_NS1_11comp_targetILNS1_3genE0ELNS1_11target_archE4294967295ELNS1_3gpuE0ELNS1_3repE0EEENS1_48merge_mergepath_partition_config_static_selectorELNS0_4arch9wavefront6targetE1EEEvSH_
    .private_segment_fixed_size: 0
    .sgpr_count:     4
    .sgpr_spill_count: 0
    .symbol:         _ZN7rocprim17ROCPRIM_400000_NS6detail17trampoline_kernelINS0_14default_configENS1_38merge_sort_block_merge_config_selectorIllEEZZNS1_27merge_sort_block_merge_implIS3_PlN6thrust23THRUST_200600_302600_NS10device_ptrIlEEjNS1_19radix_merge_compareILb0ELb1ElNS0_19identity_decomposerEEEEE10hipError_tT0_T1_T2_jT3_P12ihipStream_tbPNSt15iterator_traitsISG_E10value_typeEPNSM_ISH_E10value_typeEPSI_NS1_7vsmem_tEENKUlT_SG_SH_SI_E_clIS7_S7_S7_SB_EESF_SV_SG_SH_SI_EUlSV_E_NS1_11comp_targetILNS1_3genE0ELNS1_11target_archE4294967295ELNS1_3gpuE0ELNS1_3repE0EEENS1_48merge_mergepath_partition_config_static_selectorELNS0_4arch9wavefront6targetE1EEEvSH_.kd
    .uniform_work_group_size: 1
    .uses_dynamic_stack: false
    .vgpr_count:     0
    .vgpr_spill_count: 0
    .wavefront_size: 64
  - .agpr_count:     0
    .args:
      - .offset:         0
        .size:           40
        .value_kind:     by_value
    .group_segment_fixed_size: 0
    .kernarg_segment_align: 8
    .kernarg_segment_size: 40
    .language:       OpenCL C
    .language_version:
      - 2
      - 0
    .max_flat_workgroup_size: 128
    .name:           _ZN7rocprim17ROCPRIM_400000_NS6detail17trampoline_kernelINS0_14default_configENS1_38merge_sort_block_merge_config_selectorIllEEZZNS1_27merge_sort_block_merge_implIS3_PlN6thrust23THRUST_200600_302600_NS10device_ptrIlEEjNS1_19radix_merge_compareILb0ELb1ElNS0_19identity_decomposerEEEEE10hipError_tT0_T1_T2_jT3_P12ihipStream_tbPNSt15iterator_traitsISG_E10value_typeEPNSM_ISH_E10value_typeEPSI_NS1_7vsmem_tEENKUlT_SG_SH_SI_E_clIS7_S7_S7_SB_EESF_SV_SG_SH_SI_EUlSV_E_NS1_11comp_targetILNS1_3genE10ELNS1_11target_archE1201ELNS1_3gpuE5ELNS1_3repE0EEENS1_48merge_mergepath_partition_config_static_selectorELNS0_4arch9wavefront6targetE1EEEvSH_
    .private_segment_fixed_size: 0
    .sgpr_count:     4
    .sgpr_spill_count: 0
    .symbol:         _ZN7rocprim17ROCPRIM_400000_NS6detail17trampoline_kernelINS0_14default_configENS1_38merge_sort_block_merge_config_selectorIllEEZZNS1_27merge_sort_block_merge_implIS3_PlN6thrust23THRUST_200600_302600_NS10device_ptrIlEEjNS1_19radix_merge_compareILb0ELb1ElNS0_19identity_decomposerEEEEE10hipError_tT0_T1_T2_jT3_P12ihipStream_tbPNSt15iterator_traitsISG_E10value_typeEPNSM_ISH_E10value_typeEPSI_NS1_7vsmem_tEENKUlT_SG_SH_SI_E_clIS7_S7_S7_SB_EESF_SV_SG_SH_SI_EUlSV_E_NS1_11comp_targetILNS1_3genE10ELNS1_11target_archE1201ELNS1_3gpuE5ELNS1_3repE0EEENS1_48merge_mergepath_partition_config_static_selectorELNS0_4arch9wavefront6targetE1EEEvSH_.kd
    .uniform_work_group_size: 1
    .uses_dynamic_stack: false
    .vgpr_count:     0
    .vgpr_spill_count: 0
    .wavefront_size: 64
  - .agpr_count:     0
    .args:
      - .offset:         0
        .size:           40
        .value_kind:     by_value
    .group_segment_fixed_size: 0
    .kernarg_segment_align: 8
    .kernarg_segment_size: 40
    .language:       OpenCL C
    .language_version:
      - 2
      - 0
    .max_flat_workgroup_size: 128
    .name:           _ZN7rocprim17ROCPRIM_400000_NS6detail17trampoline_kernelINS0_14default_configENS1_38merge_sort_block_merge_config_selectorIllEEZZNS1_27merge_sort_block_merge_implIS3_PlN6thrust23THRUST_200600_302600_NS10device_ptrIlEEjNS1_19radix_merge_compareILb0ELb1ElNS0_19identity_decomposerEEEEE10hipError_tT0_T1_T2_jT3_P12ihipStream_tbPNSt15iterator_traitsISG_E10value_typeEPNSM_ISH_E10value_typeEPSI_NS1_7vsmem_tEENKUlT_SG_SH_SI_E_clIS7_S7_S7_SB_EESF_SV_SG_SH_SI_EUlSV_E_NS1_11comp_targetILNS1_3genE5ELNS1_11target_archE942ELNS1_3gpuE9ELNS1_3repE0EEENS1_48merge_mergepath_partition_config_static_selectorELNS0_4arch9wavefront6targetE1EEEvSH_
    .private_segment_fixed_size: 0
    .sgpr_count:     4
    .sgpr_spill_count: 0
    .symbol:         _ZN7rocprim17ROCPRIM_400000_NS6detail17trampoline_kernelINS0_14default_configENS1_38merge_sort_block_merge_config_selectorIllEEZZNS1_27merge_sort_block_merge_implIS3_PlN6thrust23THRUST_200600_302600_NS10device_ptrIlEEjNS1_19radix_merge_compareILb0ELb1ElNS0_19identity_decomposerEEEEE10hipError_tT0_T1_T2_jT3_P12ihipStream_tbPNSt15iterator_traitsISG_E10value_typeEPNSM_ISH_E10value_typeEPSI_NS1_7vsmem_tEENKUlT_SG_SH_SI_E_clIS7_S7_S7_SB_EESF_SV_SG_SH_SI_EUlSV_E_NS1_11comp_targetILNS1_3genE5ELNS1_11target_archE942ELNS1_3gpuE9ELNS1_3repE0EEENS1_48merge_mergepath_partition_config_static_selectorELNS0_4arch9wavefront6targetE1EEEvSH_.kd
    .uniform_work_group_size: 1
    .uses_dynamic_stack: false
    .vgpr_count:     0
    .vgpr_spill_count: 0
    .wavefront_size: 64
  - .agpr_count:     0
    .args:
      - .offset:         0
        .size:           40
        .value_kind:     by_value
    .group_segment_fixed_size: 0
    .kernarg_segment_align: 8
    .kernarg_segment_size: 40
    .language:       OpenCL C
    .language_version:
      - 2
      - 0
    .max_flat_workgroup_size: 128
    .name:           _ZN7rocprim17ROCPRIM_400000_NS6detail17trampoline_kernelINS0_14default_configENS1_38merge_sort_block_merge_config_selectorIllEEZZNS1_27merge_sort_block_merge_implIS3_PlN6thrust23THRUST_200600_302600_NS10device_ptrIlEEjNS1_19radix_merge_compareILb0ELb1ElNS0_19identity_decomposerEEEEE10hipError_tT0_T1_T2_jT3_P12ihipStream_tbPNSt15iterator_traitsISG_E10value_typeEPNSM_ISH_E10value_typeEPSI_NS1_7vsmem_tEENKUlT_SG_SH_SI_E_clIS7_S7_S7_SB_EESF_SV_SG_SH_SI_EUlSV_E_NS1_11comp_targetILNS1_3genE4ELNS1_11target_archE910ELNS1_3gpuE8ELNS1_3repE0EEENS1_48merge_mergepath_partition_config_static_selectorELNS0_4arch9wavefront6targetE1EEEvSH_
    .private_segment_fixed_size: 0
    .sgpr_count:     14
    .sgpr_spill_count: 0
    .symbol:         _ZN7rocprim17ROCPRIM_400000_NS6detail17trampoline_kernelINS0_14default_configENS1_38merge_sort_block_merge_config_selectorIllEEZZNS1_27merge_sort_block_merge_implIS3_PlN6thrust23THRUST_200600_302600_NS10device_ptrIlEEjNS1_19radix_merge_compareILb0ELb1ElNS0_19identity_decomposerEEEEE10hipError_tT0_T1_T2_jT3_P12ihipStream_tbPNSt15iterator_traitsISG_E10value_typeEPNSM_ISH_E10value_typeEPSI_NS1_7vsmem_tEENKUlT_SG_SH_SI_E_clIS7_S7_S7_SB_EESF_SV_SG_SH_SI_EUlSV_E_NS1_11comp_targetILNS1_3genE4ELNS1_11target_archE910ELNS1_3gpuE8ELNS1_3repE0EEENS1_48merge_mergepath_partition_config_static_selectorELNS0_4arch9wavefront6targetE1EEEvSH_.kd
    .uniform_work_group_size: 1
    .uses_dynamic_stack: false
    .vgpr_count:     16
    .vgpr_spill_count: 0
    .wavefront_size: 64
  - .agpr_count:     0
    .args:
      - .offset:         0
        .size:           40
        .value_kind:     by_value
    .group_segment_fixed_size: 0
    .kernarg_segment_align: 8
    .kernarg_segment_size: 40
    .language:       OpenCL C
    .language_version:
      - 2
      - 0
    .max_flat_workgroup_size: 128
    .name:           _ZN7rocprim17ROCPRIM_400000_NS6detail17trampoline_kernelINS0_14default_configENS1_38merge_sort_block_merge_config_selectorIllEEZZNS1_27merge_sort_block_merge_implIS3_PlN6thrust23THRUST_200600_302600_NS10device_ptrIlEEjNS1_19radix_merge_compareILb0ELb1ElNS0_19identity_decomposerEEEEE10hipError_tT0_T1_T2_jT3_P12ihipStream_tbPNSt15iterator_traitsISG_E10value_typeEPNSM_ISH_E10value_typeEPSI_NS1_7vsmem_tEENKUlT_SG_SH_SI_E_clIS7_S7_S7_SB_EESF_SV_SG_SH_SI_EUlSV_E_NS1_11comp_targetILNS1_3genE3ELNS1_11target_archE908ELNS1_3gpuE7ELNS1_3repE0EEENS1_48merge_mergepath_partition_config_static_selectorELNS0_4arch9wavefront6targetE1EEEvSH_
    .private_segment_fixed_size: 0
    .sgpr_count:     4
    .sgpr_spill_count: 0
    .symbol:         _ZN7rocprim17ROCPRIM_400000_NS6detail17trampoline_kernelINS0_14default_configENS1_38merge_sort_block_merge_config_selectorIllEEZZNS1_27merge_sort_block_merge_implIS3_PlN6thrust23THRUST_200600_302600_NS10device_ptrIlEEjNS1_19radix_merge_compareILb0ELb1ElNS0_19identity_decomposerEEEEE10hipError_tT0_T1_T2_jT3_P12ihipStream_tbPNSt15iterator_traitsISG_E10value_typeEPNSM_ISH_E10value_typeEPSI_NS1_7vsmem_tEENKUlT_SG_SH_SI_E_clIS7_S7_S7_SB_EESF_SV_SG_SH_SI_EUlSV_E_NS1_11comp_targetILNS1_3genE3ELNS1_11target_archE908ELNS1_3gpuE7ELNS1_3repE0EEENS1_48merge_mergepath_partition_config_static_selectorELNS0_4arch9wavefront6targetE1EEEvSH_.kd
    .uniform_work_group_size: 1
    .uses_dynamic_stack: false
    .vgpr_count:     0
    .vgpr_spill_count: 0
    .wavefront_size: 64
  - .agpr_count:     0
    .args:
      - .offset:         0
        .size:           40
        .value_kind:     by_value
    .group_segment_fixed_size: 0
    .kernarg_segment_align: 8
    .kernarg_segment_size: 40
    .language:       OpenCL C
    .language_version:
      - 2
      - 0
    .max_flat_workgroup_size: 128
    .name:           _ZN7rocprim17ROCPRIM_400000_NS6detail17trampoline_kernelINS0_14default_configENS1_38merge_sort_block_merge_config_selectorIllEEZZNS1_27merge_sort_block_merge_implIS3_PlN6thrust23THRUST_200600_302600_NS10device_ptrIlEEjNS1_19radix_merge_compareILb0ELb1ElNS0_19identity_decomposerEEEEE10hipError_tT0_T1_T2_jT3_P12ihipStream_tbPNSt15iterator_traitsISG_E10value_typeEPNSM_ISH_E10value_typeEPSI_NS1_7vsmem_tEENKUlT_SG_SH_SI_E_clIS7_S7_S7_SB_EESF_SV_SG_SH_SI_EUlSV_E_NS1_11comp_targetILNS1_3genE2ELNS1_11target_archE906ELNS1_3gpuE6ELNS1_3repE0EEENS1_48merge_mergepath_partition_config_static_selectorELNS0_4arch9wavefront6targetE1EEEvSH_
    .private_segment_fixed_size: 0
    .sgpr_count:     4
    .sgpr_spill_count: 0
    .symbol:         _ZN7rocprim17ROCPRIM_400000_NS6detail17trampoline_kernelINS0_14default_configENS1_38merge_sort_block_merge_config_selectorIllEEZZNS1_27merge_sort_block_merge_implIS3_PlN6thrust23THRUST_200600_302600_NS10device_ptrIlEEjNS1_19radix_merge_compareILb0ELb1ElNS0_19identity_decomposerEEEEE10hipError_tT0_T1_T2_jT3_P12ihipStream_tbPNSt15iterator_traitsISG_E10value_typeEPNSM_ISH_E10value_typeEPSI_NS1_7vsmem_tEENKUlT_SG_SH_SI_E_clIS7_S7_S7_SB_EESF_SV_SG_SH_SI_EUlSV_E_NS1_11comp_targetILNS1_3genE2ELNS1_11target_archE906ELNS1_3gpuE6ELNS1_3repE0EEENS1_48merge_mergepath_partition_config_static_selectorELNS0_4arch9wavefront6targetE1EEEvSH_.kd
    .uniform_work_group_size: 1
    .uses_dynamic_stack: false
    .vgpr_count:     0
    .vgpr_spill_count: 0
    .wavefront_size: 64
  - .agpr_count:     0
    .args:
      - .offset:         0
        .size:           40
        .value_kind:     by_value
    .group_segment_fixed_size: 0
    .kernarg_segment_align: 8
    .kernarg_segment_size: 40
    .language:       OpenCL C
    .language_version:
      - 2
      - 0
    .max_flat_workgroup_size: 128
    .name:           _ZN7rocprim17ROCPRIM_400000_NS6detail17trampoline_kernelINS0_14default_configENS1_38merge_sort_block_merge_config_selectorIllEEZZNS1_27merge_sort_block_merge_implIS3_PlN6thrust23THRUST_200600_302600_NS10device_ptrIlEEjNS1_19radix_merge_compareILb0ELb1ElNS0_19identity_decomposerEEEEE10hipError_tT0_T1_T2_jT3_P12ihipStream_tbPNSt15iterator_traitsISG_E10value_typeEPNSM_ISH_E10value_typeEPSI_NS1_7vsmem_tEENKUlT_SG_SH_SI_E_clIS7_S7_S7_SB_EESF_SV_SG_SH_SI_EUlSV_E_NS1_11comp_targetILNS1_3genE9ELNS1_11target_archE1100ELNS1_3gpuE3ELNS1_3repE0EEENS1_48merge_mergepath_partition_config_static_selectorELNS0_4arch9wavefront6targetE1EEEvSH_
    .private_segment_fixed_size: 0
    .sgpr_count:     4
    .sgpr_spill_count: 0
    .symbol:         _ZN7rocprim17ROCPRIM_400000_NS6detail17trampoline_kernelINS0_14default_configENS1_38merge_sort_block_merge_config_selectorIllEEZZNS1_27merge_sort_block_merge_implIS3_PlN6thrust23THRUST_200600_302600_NS10device_ptrIlEEjNS1_19radix_merge_compareILb0ELb1ElNS0_19identity_decomposerEEEEE10hipError_tT0_T1_T2_jT3_P12ihipStream_tbPNSt15iterator_traitsISG_E10value_typeEPNSM_ISH_E10value_typeEPSI_NS1_7vsmem_tEENKUlT_SG_SH_SI_E_clIS7_S7_S7_SB_EESF_SV_SG_SH_SI_EUlSV_E_NS1_11comp_targetILNS1_3genE9ELNS1_11target_archE1100ELNS1_3gpuE3ELNS1_3repE0EEENS1_48merge_mergepath_partition_config_static_selectorELNS0_4arch9wavefront6targetE1EEEvSH_.kd
    .uniform_work_group_size: 1
    .uses_dynamic_stack: false
    .vgpr_count:     0
    .vgpr_spill_count: 0
    .wavefront_size: 64
  - .agpr_count:     0
    .args:
      - .offset:         0
        .size:           40
        .value_kind:     by_value
    .group_segment_fixed_size: 0
    .kernarg_segment_align: 8
    .kernarg_segment_size: 40
    .language:       OpenCL C
    .language_version:
      - 2
      - 0
    .max_flat_workgroup_size: 128
    .name:           _ZN7rocprim17ROCPRIM_400000_NS6detail17trampoline_kernelINS0_14default_configENS1_38merge_sort_block_merge_config_selectorIllEEZZNS1_27merge_sort_block_merge_implIS3_PlN6thrust23THRUST_200600_302600_NS10device_ptrIlEEjNS1_19radix_merge_compareILb0ELb1ElNS0_19identity_decomposerEEEEE10hipError_tT0_T1_T2_jT3_P12ihipStream_tbPNSt15iterator_traitsISG_E10value_typeEPNSM_ISH_E10value_typeEPSI_NS1_7vsmem_tEENKUlT_SG_SH_SI_E_clIS7_S7_S7_SB_EESF_SV_SG_SH_SI_EUlSV_E_NS1_11comp_targetILNS1_3genE8ELNS1_11target_archE1030ELNS1_3gpuE2ELNS1_3repE0EEENS1_48merge_mergepath_partition_config_static_selectorELNS0_4arch9wavefront6targetE1EEEvSH_
    .private_segment_fixed_size: 0
    .sgpr_count:     4
    .sgpr_spill_count: 0
    .symbol:         _ZN7rocprim17ROCPRIM_400000_NS6detail17trampoline_kernelINS0_14default_configENS1_38merge_sort_block_merge_config_selectorIllEEZZNS1_27merge_sort_block_merge_implIS3_PlN6thrust23THRUST_200600_302600_NS10device_ptrIlEEjNS1_19radix_merge_compareILb0ELb1ElNS0_19identity_decomposerEEEEE10hipError_tT0_T1_T2_jT3_P12ihipStream_tbPNSt15iterator_traitsISG_E10value_typeEPNSM_ISH_E10value_typeEPSI_NS1_7vsmem_tEENKUlT_SG_SH_SI_E_clIS7_S7_S7_SB_EESF_SV_SG_SH_SI_EUlSV_E_NS1_11comp_targetILNS1_3genE8ELNS1_11target_archE1030ELNS1_3gpuE2ELNS1_3repE0EEENS1_48merge_mergepath_partition_config_static_selectorELNS0_4arch9wavefront6targetE1EEEvSH_.kd
    .uniform_work_group_size: 1
    .uses_dynamic_stack: false
    .vgpr_count:     0
    .vgpr_spill_count: 0
    .wavefront_size: 64
  - .agpr_count:     0
    .args:
      - .offset:         0
        .size:           72
        .value_kind:     by_value
    .group_segment_fixed_size: 0
    .kernarg_segment_align: 8
    .kernarg_segment_size: 72
    .language:       OpenCL C
    .language_version:
      - 2
      - 0
    .max_flat_workgroup_size: 512
    .name:           _ZN7rocprim17ROCPRIM_400000_NS6detail17trampoline_kernelINS0_14default_configENS1_38merge_sort_block_merge_config_selectorIllEEZZNS1_27merge_sort_block_merge_implIS3_PlN6thrust23THRUST_200600_302600_NS10device_ptrIlEEjNS1_19radix_merge_compareILb0ELb1ElNS0_19identity_decomposerEEEEE10hipError_tT0_T1_T2_jT3_P12ihipStream_tbPNSt15iterator_traitsISG_E10value_typeEPNSM_ISH_E10value_typeEPSI_NS1_7vsmem_tEENKUlT_SG_SH_SI_E_clIS7_S7_S7_SB_EESF_SV_SG_SH_SI_EUlSV_E0_NS1_11comp_targetILNS1_3genE0ELNS1_11target_archE4294967295ELNS1_3gpuE0ELNS1_3repE0EEENS1_38merge_mergepath_config_static_selectorELNS0_4arch9wavefront6targetE1EEEvSH_
    .private_segment_fixed_size: 0
    .sgpr_count:     4
    .sgpr_spill_count: 0
    .symbol:         _ZN7rocprim17ROCPRIM_400000_NS6detail17trampoline_kernelINS0_14default_configENS1_38merge_sort_block_merge_config_selectorIllEEZZNS1_27merge_sort_block_merge_implIS3_PlN6thrust23THRUST_200600_302600_NS10device_ptrIlEEjNS1_19radix_merge_compareILb0ELb1ElNS0_19identity_decomposerEEEEE10hipError_tT0_T1_T2_jT3_P12ihipStream_tbPNSt15iterator_traitsISG_E10value_typeEPNSM_ISH_E10value_typeEPSI_NS1_7vsmem_tEENKUlT_SG_SH_SI_E_clIS7_S7_S7_SB_EESF_SV_SG_SH_SI_EUlSV_E0_NS1_11comp_targetILNS1_3genE0ELNS1_11target_archE4294967295ELNS1_3gpuE0ELNS1_3repE0EEENS1_38merge_mergepath_config_static_selectorELNS0_4arch9wavefront6targetE1EEEvSH_.kd
    .uniform_work_group_size: 1
    .uses_dynamic_stack: false
    .vgpr_count:     0
    .vgpr_spill_count: 0
    .wavefront_size: 64
  - .agpr_count:     0
    .args:
      - .offset:         0
        .size:           72
        .value_kind:     by_value
    .group_segment_fixed_size: 0
    .kernarg_segment_align: 8
    .kernarg_segment_size: 72
    .language:       OpenCL C
    .language_version:
      - 2
      - 0
    .max_flat_workgroup_size: 512
    .name:           _ZN7rocprim17ROCPRIM_400000_NS6detail17trampoline_kernelINS0_14default_configENS1_38merge_sort_block_merge_config_selectorIllEEZZNS1_27merge_sort_block_merge_implIS3_PlN6thrust23THRUST_200600_302600_NS10device_ptrIlEEjNS1_19radix_merge_compareILb0ELb1ElNS0_19identity_decomposerEEEEE10hipError_tT0_T1_T2_jT3_P12ihipStream_tbPNSt15iterator_traitsISG_E10value_typeEPNSM_ISH_E10value_typeEPSI_NS1_7vsmem_tEENKUlT_SG_SH_SI_E_clIS7_S7_S7_SB_EESF_SV_SG_SH_SI_EUlSV_E0_NS1_11comp_targetILNS1_3genE10ELNS1_11target_archE1201ELNS1_3gpuE5ELNS1_3repE0EEENS1_38merge_mergepath_config_static_selectorELNS0_4arch9wavefront6targetE1EEEvSH_
    .private_segment_fixed_size: 0
    .sgpr_count:     4
    .sgpr_spill_count: 0
    .symbol:         _ZN7rocprim17ROCPRIM_400000_NS6detail17trampoline_kernelINS0_14default_configENS1_38merge_sort_block_merge_config_selectorIllEEZZNS1_27merge_sort_block_merge_implIS3_PlN6thrust23THRUST_200600_302600_NS10device_ptrIlEEjNS1_19radix_merge_compareILb0ELb1ElNS0_19identity_decomposerEEEEE10hipError_tT0_T1_T2_jT3_P12ihipStream_tbPNSt15iterator_traitsISG_E10value_typeEPNSM_ISH_E10value_typeEPSI_NS1_7vsmem_tEENKUlT_SG_SH_SI_E_clIS7_S7_S7_SB_EESF_SV_SG_SH_SI_EUlSV_E0_NS1_11comp_targetILNS1_3genE10ELNS1_11target_archE1201ELNS1_3gpuE5ELNS1_3repE0EEENS1_38merge_mergepath_config_static_selectorELNS0_4arch9wavefront6targetE1EEEvSH_.kd
    .uniform_work_group_size: 1
    .uses_dynamic_stack: false
    .vgpr_count:     0
    .vgpr_spill_count: 0
    .wavefront_size: 64
  - .agpr_count:     0
    .args:
      - .offset:         0
        .size:           72
        .value_kind:     by_value
    .group_segment_fixed_size: 0
    .kernarg_segment_align: 8
    .kernarg_segment_size: 72
    .language:       OpenCL C
    .language_version:
      - 2
      - 0
    .max_flat_workgroup_size: 256
    .name:           _ZN7rocprim17ROCPRIM_400000_NS6detail17trampoline_kernelINS0_14default_configENS1_38merge_sort_block_merge_config_selectorIllEEZZNS1_27merge_sort_block_merge_implIS3_PlN6thrust23THRUST_200600_302600_NS10device_ptrIlEEjNS1_19radix_merge_compareILb0ELb1ElNS0_19identity_decomposerEEEEE10hipError_tT0_T1_T2_jT3_P12ihipStream_tbPNSt15iterator_traitsISG_E10value_typeEPNSM_ISH_E10value_typeEPSI_NS1_7vsmem_tEENKUlT_SG_SH_SI_E_clIS7_S7_S7_SB_EESF_SV_SG_SH_SI_EUlSV_E0_NS1_11comp_targetILNS1_3genE5ELNS1_11target_archE942ELNS1_3gpuE9ELNS1_3repE0EEENS1_38merge_mergepath_config_static_selectorELNS0_4arch9wavefront6targetE1EEEvSH_
    .private_segment_fixed_size: 0
    .sgpr_count:     4
    .sgpr_spill_count: 0
    .symbol:         _ZN7rocprim17ROCPRIM_400000_NS6detail17trampoline_kernelINS0_14default_configENS1_38merge_sort_block_merge_config_selectorIllEEZZNS1_27merge_sort_block_merge_implIS3_PlN6thrust23THRUST_200600_302600_NS10device_ptrIlEEjNS1_19radix_merge_compareILb0ELb1ElNS0_19identity_decomposerEEEEE10hipError_tT0_T1_T2_jT3_P12ihipStream_tbPNSt15iterator_traitsISG_E10value_typeEPNSM_ISH_E10value_typeEPSI_NS1_7vsmem_tEENKUlT_SG_SH_SI_E_clIS7_S7_S7_SB_EESF_SV_SG_SH_SI_EUlSV_E0_NS1_11comp_targetILNS1_3genE5ELNS1_11target_archE942ELNS1_3gpuE9ELNS1_3repE0EEENS1_38merge_mergepath_config_static_selectorELNS0_4arch9wavefront6targetE1EEEvSH_.kd
    .uniform_work_group_size: 1
    .uses_dynamic_stack: false
    .vgpr_count:     0
    .vgpr_spill_count: 0
    .wavefront_size: 64
  - .agpr_count:     0
    .args:
      - .offset:         0
        .size:           72
        .value_kind:     by_value
      - .offset:         72
        .size:           4
        .value_kind:     hidden_block_count_x
      - .offset:         76
        .size:           4
        .value_kind:     hidden_block_count_y
      - .offset:         80
        .size:           4
        .value_kind:     hidden_block_count_z
      - .offset:         84
        .size:           2
        .value_kind:     hidden_group_size_x
      - .offset:         86
        .size:           2
        .value_kind:     hidden_group_size_y
      - .offset:         88
        .size:           2
        .value_kind:     hidden_group_size_z
      - .offset:         90
        .size:           2
        .value_kind:     hidden_remainder_x
      - .offset:         92
        .size:           2
        .value_kind:     hidden_remainder_y
      - .offset:         94
        .size:           2
        .value_kind:     hidden_remainder_z
      - .offset:         112
        .size:           8
        .value_kind:     hidden_global_offset_x
      - .offset:         120
        .size:           8
        .value_kind:     hidden_global_offset_y
      - .offset:         128
        .size:           8
        .value_kind:     hidden_global_offset_z
      - .offset:         136
        .size:           2
        .value_kind:     hidden_grid_dims
    .group_segment_fixed_size: 8448
    .kernarg_segment_align: 8
    .kernarg_segment_size: 328
    .language:       OpenCL C
    .language_version:
      - 2
      - 0
    .max_flat_workgroup_size: 512
    .name:           _ZN7rocprim17ROCPRIM_400000_NS6detail17trampoline_kernelINS0_14default_configENS1_38merge_sort_block_merge_config_selectorIllEEZZNS1_27merge_sort_block_merge_implIS3_PlN6thrust23THRUST_200600_302600_NS10device_ptrIlEEjNS1_19radix_merge_compareILb0ELb1ElNS0_19identity_decomposerEEEEE10hipError_tT0_T1_T2_jT3_P12ihipStream_tbPNSt15iterator_traitsISG_E10value_typeEPNSM_ISH_E10value_typeEPSI_NS1_7vsmem_tEENKUlT_SG_SH_SI_E_clIS7_S7_S7_SB_EESF_SV_SG_SH_SI_EUlSV_E0_NS1_11comp_targetILNS1_3genE4ELNS1_11target_archE910ELNS1_3gpuE8ELNS1_3repE0EEENS1_38merge_mergepath_config_static_selectorELNS0_4arch9wavefront6targetE1EEEvSH_
    .private_segment_fixed_size: 0
    .sgpr_count:     38
    .sgpr_spill_count: 0
    .symbol:         _ZN7rocprim17ROCPRIM_400000_NS6detail17trampoline_kernelINS0_14default_configENS1_38merge_sort_block_merge_config_selectorIllEEZZNS1_27merge_sort_block_merge_implIS3_PlN6thrust23THRUST_200600_302600_NS10device_ptrIlEEjNS1_19radix_merge_compareILb0ELb1ElNS0_19identity_decomposerEEEEE10hipError_tT0_T1_T2_jT3_P12ihipStream_tbPNSt15iterator_traitsISG_E10value_typeEPNSM_ISH_E10value_typeEPSI_NS1_7vsmem_tEENKUlT_SG_SH_SI_E_clIS7_S7_S7_SB_EESF_SV_SG_SH_SI_EUlSV_E0_NS1_11comp_targetILNS1_3genE4ELNS1_11target_archE910ELNS1_3gpuE8ELNS1_3repE0EEENS1_38merge_mergepath_config_static_selectorELNS0_4arch9wavefront6targetE1EEEvSH_.kd
    .uniform_work_group_size: 1
    .uses_dynamic_stack: false
    .vgpr_count:     21
    .vgpr_spill_count: 0
    .wavefront_size: 64
  - .agpr_count:     0
    .args:
      - .offset:         0
        .size:           72
        .value_kind:     by_value
    .group_segment_fixed_size: 0
    .kernarg_segment_align: 8
    .kernarg_segment_size: 72
    .language:       OpenCL C
    .language_version:
      - 2
      - 0
    .max_flat_workgroup_size: 512
    .name:           _ZN7rocprim17ROCPRIM_400000_NS6detail17trampoline_kernelINS0_14default_configENS1_38merge_sort_block_merge_config_selectorIllEEZZNS1_27merge_sort_block_merge_implIS3_PlN6thrust23THRUST_200600_302600_NS10device_ptrIlEEjNS1_19radix_merge_compareILb0ELb1ElNS0_19identity_decomposerEEEEE10hipError_tT0_T1_T2_jT3_P12ihipStream_tbPNSt15iterator_traitsISG_E10value_typeEPNSM_ISH_E10value_typeEPSI_NS1_7vsmem_tEENKUlT_SG_SH_SI_E_clIS7_S7_S7_SB_EESF_SV_SG_SH_SI_EUlSV_E0_NS1_11comp_targetILNS1_3genE3ELNS1_11target_archE908ELNS1_3gpuE7ELNS1_3repE0EEENS1_38merge_mergepath_config_static_selectorELNS0_4arch9wavefront6targetE1EEEvSH_
    .private_segment_fixed_size: 0
    .sgpr_count:     4
    .sgpr_spill_count: 0
    .symbol:         _ZN7rocprim17ROCPRIM_400000_NS6detail17trampoline_kernelINS0_14default_configENS1_38merge_sort_block_merge_config_selectorIllEEZZNS1_27merge_sort_block_merge_implIS3_PlN6thrust23THRUST_200600_302600_NS10device_ptrIlEEjNS1_19radix_merge_compareILb0ELb1ElNS0_19identity_decomposerEEEEE10hipError_tT0_T1_T2_jT3_P12ihipStream_tbPNSt15iterator_traitsISG_E10value_typeEPNSM_ISH_E10value_typeEPSI_NS1_7vsmem_tEENKUlT_SG_SH_SI_E_clIS7_S7_S7_SB_EESF_SV_SG_SH_SI_EUlSV_E0_NS1_11comp_targetILNS1_3genE3ELNS1_11target_archE908ELNS1_3gpuE7ELNS1_3repE0EEENS1_38merge_mergepath_config_static_selectorELNS0_4arch9wavefront6targetE1EEEvSH_.kd
    .uniform_work_group_size: 1
    .uses_dynamic_stack: false
    .vgpr_count:     0
    .vgpr_spill_count: 0
    .wavefront_size: 64
  - .agpr_count:     0
    .args:
      - .offset:         0
        .size:           72
        .value_kind:     by_value
    .group_segment_fixed_size: 0
    .kernarg_segment_align: 8
    .kernarg_segment_size: 72
    .language:       OpenCL C
    .language_version:
      - 2
      - 0
    .max_flat_workgroup_size: 128
    .name:           _ZN7rocprim17ROCPRIM_400000_NS6detail17trampoline_kernelINS0_14default_configENS1_38merge_sort_block_merge_config_selectorIllEEZZNS1_27merge_sort_block_merge_implIS3_PlN6thrust23THRUST_200600_302600_NS10device_ptrIlEEjNS1_19radix_merge_compareILb0ELb1ElNS0_19identity_decomposerEEEEE10hipError_tT0_T1_T2_jT3_P12ihipStream_tbPNSt15iterator_traitsISG_E10value_typeEPNSM_ISH_E10value_typeEPSI_NS1_7vsmem_tEENKUlT_SG_SH_SI_E_clIS7_S7_S7_SB_EESF_SV_SG_SH_SI_EUlSV_E0_NS1_11comp_targetILNS1_3genE2ELNS1_11target_archE906ELNS1_3gpuE6ELNS1_3repE0EEENS1_38merge_mergepath_config_static_selectorELNS0_4arch9wavefront6targetE1EEEvSH_
    .private_segment_fixed_size: 0
    .sgpr_count:     4
    .sgpr_spill_count: 0
    .symbol:         _ZN7rocprim17ROCPRIM_400000_NS6detail17trampoline_kernelINS0_14default_configENS1_38merge_sort_block_merge_config_selectorIllEEZZNS1_27merge_sort_block_merge_implIS3_PlN6thrust23THRUST_200600_302600_NS10device_ptrIlEEjNS1_19radix_merge_compareILb0ELb1ElNS0_19identity_decomposerEEEEE10hipError_tT0_T1_T2_jT3_P12ihipStream_tbPNSt15iterator_traitsISG_E10value_typeEPNSM_ISH_E10value_typeEPSI_NS1_7vsmem_tEENKUlT_SG_SH_SI_E_clIS7_S7_S7_SB_EESF_SV_SG_SH_SI_EUlSV_E0_NS1_11comp_targetILNS1_3genE2ELNS1_11target_archE906ELNS1_3gpuE6ELNS1_3repE0EEENS1_38merge_mergepath_config_static_selectorELNS0_4arch9wavefront6targetE1EEEvSH_.kd
    .uniform_work_group_size: 1
    .uses_dynamic_stack: false
    .vgpr_count:     0
    .vgpr_spill_count: 0
    .wavefront_size: 64
  - .agpr_count:     0
    .args:
      - .offset:         0
        .size:           72
        .value_kind:     by_value
    .group_segment_fixed_size: 0
    .kernarg_segment_align: 8
    .kernarg_segment_size: 72
    .language:       OpenCL C
    .language_version:
      - 2
      - 0
    .max_flat_workgroup_size: 1024
    .name:           _ZN7rocprim17ROCPRIM_400000_NS6detail17trampoline_kernelINS0_14default_configENS1_38merge_sort_block_merge_config_selectorIllEEZZNS1_27merge_sort_block_merge_implIS3_PlN6thrust23THRUST_200600_302600_NS10device_ptrIlEEjNS1_19radix_merge_compareILb0ELb1ElNS0_19identity_decomposerEEEEE10hipError_tT0_T1_T2_jT3_P12ihipStream_tbPNSt15iterator_traitsISG_E10value_typeEPNSM_ISH_E10value_typeEPSI_NS1_7vsmem_tEENKUlT_SG_SH_SI_E_clIS7_S7_S7_SB_EESF_SV_SG_SH_SI_EUlSV_E0_NS1_11comp_targetILNS1_3genE9ELNS1_11target_archE1100ELNS1_3gpuE3ELNS1_3repE0EEENS1_38merge_mergepath_config_static_selectorELNS0_4arch9wavefront6targetE1EEEvSH_
    .private_segment_fixed_size: 0
    .sgpr_count:     4
    .sgpr_spill_count: 0
    .symbol:         _ZN7rocprim17ROCPRIM_400000_NS6detail17trampoline_kernelINS0_14default_configENS1_38merge_sort_block_merge_config_selectorIllEEZZNS1_27merge_sort_block_merge_implIS3_PlN6thrust23THRUST_200600_302600_NS10device_ptrIlEEjNS1_19radix_merge_compareILb0ELb1ElNS0_19identity_decomposerEEEEE10hipError_tT0_T1_T2_jT3_P12ihipStream_tbPNSt15iterator_traitsISG_E10value_typeEPNSM_ISH_E10value_typeEPSI_NS1_7vsmem_tEENKUlT_SG_SH_SI_E_clIS7_S7_S7_SB_EESF_SV_SG_SH_SI_EUlSV_E0_NS1_11comp_targetILNS1_3genE9ELNS1_11target_archE1100ELNS1_3gpuE3ELNS1_3repE0EEENS1_38merge_mergepath_config_static_selectorELNS0_4arch9wavefront6targetE1EEEvSH_.kd
    .uniform_work_group_size: 1
    .uses_dynamic_stack: false
    .vgpr_count:     0
    .vgpr_spill_count: 0
    .wavefront_size: 64
  - .agpr_count:     0
    .args:
      - .offset:         0
        .size:           72
        .value_kind:     by_value
    .group_segment_fixed_size: 0
    .kernarg_segment_align: 8
    .kernarg_segment_size: 72
    .language:       OpenCL C
    .language_version:
      - 2
      - 0
    .max_flat_workgroup_size: 1024
    .name:           _ZN7rocprim17ROCPRIM_400000_NS6detail17trampoline_kernelINS0_14default_configENS1_38merge_sort_block_merge_config_selectorIllEEZZNS1_27merge_sort_block_merge_implIS3_PlN6thrust23THRUST_200600_302600_NS10device_ptrIlEEjNS1_19radix_merge_compareILb0ELb1ElNS0_19identity_decomposerEEEEE10hipError_tT0_T1_T2_jT3_P12ihipStream_tbPNSt15iterator_traitsISG_E10value_typeEPNSM_ISH_E10value_typeEPSI_NS1_7vsmem_tEENKUlT_SG_SH_SI_E_clIS7_S7_S7_SB_EESF_SV_SG_SH_SI_EUlSV_E0_NS1_11comp_targetILNS1_3genE8ELNS1_11target_archE1030ELNS1_3gpuE2ELNS1_3repE0EEENS1_38merge_mergepath_config_static_selectorELNS0_4arch9wavefront6targetE1EEEvSH_
    .private_segment_fixed_size: 0
    .sgpr_count:     4
    .sgpr_spill_count: 0
    .symbol:         _ZN7rocprim17ROCPRIM_400000_NS6detail17trampoline_kernelINS0_14default_configENS1_38merge_sort_block_merge_config_selectorIllEEZZNS1_27merge_sort_block_merge_implIS3_PlN6thrust23THRUST_200600_302600_NS10device_ptrIlEEjNS1_19radix_merge_compareILb0ELb1ElNS0_19identity_decomposerEEEEE10hipError_tT0_T1_T2_jT3_P12ihipStream_tbPNSt15iterator_traitsISG_E10value_typeEPNSM_ISH_E10value_typeEPSI_NS1_7vsmem_tEENKUlT_SG_SH_SI_E_clIS7_S7_S7_SB_EESF_SV_SG_SH_SI_EUlSV_E0_NS1_11comp_targetILNS1_3genE8ELNS1_11target_archE1030ELNS1_3gpuE2ELNS1_3repE0EEENS1_38merge_mergepath_config_static_selectorELNS0_4arch9wavefront6targetE1EEEvSH_.kd
    .uniform_work_group_size: 1
    .uses_dynamic_stack: false
    .vgpr_count:     0
    .vgpr_spill_count: 0
    .wavefront_size: 64
  - .agpr_count:     0
    .args:
      - .offset:         0
        .size:           48
        .value_kind:     by_value
    .group_segment_fixed_size: 0
    .kernarg_segment_align: 8
    .kernarg_segment_size: 48
    .language:       OpenCL C
    .language_version:
      - 2
      - 0
    .max_flat_workgroup_size: 256
    .name:           _ZN7rocprim17ROCPRIM_400000_NS6detail17trampoline_kernelINS0_14default_configENS1_38merge_sort_block_merge_config_selectorIllEEZZNS1_27merge_sort_block_merge_implIS3_PlN6thrust23THRUST_200600_302600_NS10device_ptrIlEEjNS1_19radix_merge_compareILb0ELb1ElNS0_19identity_decomposerEEEEE10hipError_tT0_T1_T2_jT3_P12ihipStream_tbPNSt15iterator_traitsISG_E10value_typeEPNSM_ISH_E10value_typeEPSI_NS1_7vsmem_tEENKUlT_SG_SH_SI_E_clIS7_S7_S7_SB_EESF_SV_SG_SH_SI_EUlSV_E1_NS1_11comp_targetILNS1_3genE0ELNS1_11target_archE4294967295ELNS1_3gpuE0ELNS1_3repE0EEENS1_36merge_oddeven_config_static_selectorELNS0_4arch9wavefront6targetE1EEEvSH_
    .private_segment_fixed_size: 0
    .sgpr_count:     4
    .sgpr_spill_count: 0
    .symbol:         _ZN7rocprim17ROCPRIM_400000_NS6detail17trampoline_kernelINS0_14default_configENS1_38merge_sort_block_merge_config_selectorIllEEZZNS1_27merge_sort_block_merge_implIS3_PlN6thrust23THRUST_200600_302600_NS10device_ptrIlEEjNS1_19radix_merge_compareILb0ELb1ElNS0_19identity_decomposerEEEEE10hipError_tT0_T1_T2_jT3_P12ihipStream_tbPNSt15iterator_traitsISG_E10value_typeEPNSM_ISH_E10value_typeEPSI_NS1_7vsmem_tEENKUlT_SG_SH_SI_E_clIS7_S7_S7_SB_EESF_SV_SG_SH_SI_EUlSV_E1_NS1_11comp_targetILNS1_3genE0ELNS1_11target_archE4294967295ELNS1_3gpuE0ELNS1_3repE0EEENS1_36merge_oddeven_config_static_selectorELNS0_4arch9wavefront6targetE1EEEvSH_.kd
    .uniform_work_group_size: 1
    .uses_dynamic_stack: false
    .vgpr_count:     0
    .vgpr_spill_count: 0
    .wavefront_size: 64
  - .agpr_count:     0
    .args:
      - .offset:         0
        .size:           48
        .value_kind:     by_value
    .group_segment_fixed_size: 0
    .kernarg_segment_align: 8
    .kernarg_segment_size: 48
    .language:       OpenCL C
    .language_version:
      - 2
      - 0
    .max_flat_workgroup_size: 256
    .name:           _ZN7rocprim17ROCPRIM_400000_NS6detail17trampoline_kernelINS0_14default_configENS1_38merge_sort_block_merge_config_selectorIllEEZZNS1_27merge_sort_block_merge_implIS3_PlN6thrust23THRUST_200600_302600_NS10device_ptrIlEEjNS1_19radix_merge_compareILb0ELb1ElNS0_19identity_decomposerEEEEE10hipError_tT0_T1_T2_jT3_P12ihipStream_tbPNSt15iterator_traitsISG_E10value_typeEPNSM_ISH_E10value_typeEPSI_NS1_7vsmem_tEENKUlT_SG_SH_SI_E_clIS7_S7_S7_SB_EESF_SV_SG_SH_SI_EUlSV_E1_NS1_11comp_targetILNS1_3genE10ELNS1_11target_archE1201ELNS1_3gpuE5ELNS1_3repE0EEENS1_36merge_oddeven_config_static_selectorELNS0_4arch9wavefront6targetE1EEEvSH_
    .private_segment_fixed_size: 0
    .sgpr_count:     4
    .sgpr_spill_count: 0
    .symbol:         _ZN7rocprim17ROCPRIM_400000_NS6detail17trampoline_kernelINS0_14default_configENS1_38merge_sort_block_merge_config_selectorIllEEZZNS1_27merge_sort_block_merge_implIS3_PlN6thrust23THRUST_200600_302600_NS10device_ptrIlEEjNS1_19radix_merge_compareILb0ELb1ElNS0_19identity_decomposerEEEEE10hipError_tT0_T1_T2_jT3_P12ihipStream_tbPNSt15iterator_traitsISG_E10value_typeEPNSM_ISH_E10value_typeEPSI_NS1_7vsmem_tEENKUlT_SG_SH_SI_E_clIS7_S7_S7_SB_EESF_SV_SG_SH_SI_EUlSV_E1_NS1_11comp_targetILNS1_3genE10ELNS1_11target_archE1201ELNS1_3gpuE5ELNS1_3repE0EEENS1_36merge_oddeven_config_static_selectorELNS0_4arch9wavefront6targetE1EEEvSH_.kd
    .uniform_work_group_size: 1
    .uses_dynamic_stack: false
    .vgpr_count:     0
    .vgpr_spill_count: 0
    .wavefront_size: 64
  - .agpr_count:     0
    .args:
      - .offset:         0
        .size:           48
        .value_kind:     by_value
    .group_segment_fixed_size: 0
    .kernarg_segment_align: 8
    .kernarg_segment_size: 48
    .language:       OpenCL C
    .language_version:
      - 2
      - 0
    .max_flat_workgroup_size: 256
    .name:           _ZN7rocprim17ROCPRIM_400000_NS6detail17trampoline_kernelINS0_14default_configENS1_38merge_sort_block_merge_config_selectorIllEEZZNS1_27merge_sort_block_merge_implIS3_PlN6thrust23THRUST_200600_302600_NS10device_ptrIlEEjNS1_19radix_merge_compareILb0ELb1ElNS0_19identity_decomposerEEEEE10hipError_tT0_T1_T2_jT3_P12ihipStream_tbPNSt15iterator_traitsISG_E10value_typeEPNSM_ISH_E10value_typeEPSI_NS1_7vsmem_tEENKUlT_SG_SH_SI_E_clIS7_S7_S7_SB_EESF_SV_SG_SH_SI_EUlSV_E1_NS1_11comp_targetILNS1_3genE5ELNS1_11target_archE942ELNS1_3gpuE9ELNS1_3repE0EEENS1_36merge_oddeven_config_static_selectorELNS0_4arch9wavefront6targetE1EEEvSH_
    .private_segment_fixed_size: 0
    .sgpr_count:     4
    .sgpr_spill_count: 0
    .symbol:         _ZN7rocprim17ROCPRIM_400000_NS6detail17trampoline_kernelINS0_14default_configENS1_38merge_sort_block_merge_config_selectorIllEEZZNS1_27merge_sort_block_merge_implIS3_PlN6thrust23THRUST_200600_302600_NS10device_ptrIlEEjNS1_19radix_merge_compareILb0ELb1ElNS0_19identity_decomposerEEEEE10hipError_tT0_T1_T2_jT3_P12ihipStream_tbPNSt15iterator_traitsISG_E10value_typeEPNSM_ISH_E10value_typeEPSI_NS1_7vsmem_tEENKUlT_SG_SH_SI_E_clIS7_S7_S7_SB_EESF_SV_SG_SH_SI_EUlSV_E1_NS1_11comp_targetILNS1_3genE5ELNS1_11target_archE942ELNS1_3gpuE9ELNS1_3repE0EEENS1_36merge_oddeven_config_static_selectorELNS0_4arch9wavefront6targetE1EEEvSH_.kd
    .uniform_work_group_size: 1
    .uses_dynamic_stack: false
    .vgpr_count:     0
    .vgpr_spill_count: 0
    .wavefront_size: 64
  - .agpr_count:     0
    .args:
      - .offset:         0
        .size:           48
        .value_kind:     by_value
    .group_segment_fixed_size: 0
    .kernarg_segment_align: 8
    .kernarg_segment_size: 48
    .language:       OpenCL C
    .language_version:
      - 2
      - 0
    .max_flat_workgroup_size: 256
    .name:           _ZN7rocprim17ROCPRIM_400000_NS6detail17trampoline_kernelINS0_14default_configENS1_38merge_sort_block_merge_config_selectorIllEEZZNS1_27merge_sort_block_merge_implIS3_PlN6thrust23THRUST_200600_302600_NS10device_ptrIlEEjNS1_19radix_merge_compareILb0ELb1ElNS0_19identity_decomposerEEEEE10hipError_tT0_T1_T2_jT3_P12ihipStream_tbPNSt15iterator_traitsISG_E10value_typeEPNSM_ISH_E10value_typeEPSI_NS1_7vsmem_tEENKUlT_SG_SH_SI_E_clIS7_S7_S7_SB_EESF_SV_SG_SH_SI_EUlSV_E1_NS1_11comp_targetILNS1_3genE4ELNS1_11target_archE910ELNS1_3gpuE8ELNS1_3repE0EEENS1_36merge_oddeven_config_static_selectorELNS0_4arch9wavefront6targetE1EEEvSH_
    .private_segment_fixed_size: 0
    .sgpr_count:     28
    .sgpr_spill_count: 0
    .symbol:         _ZN7rocprim17ROCPRIM_400000_NS6detail17trampoline_kernelINS0_14default_configENS1_38merge_sort_block_merge_config_selectorIllEEZZNS1_27merge_sort_block_merge_implIS3_PlN6thrust23THRUST_200600_302600_NS10device_ptrIlEEjNS1_19radix_merge_compareILb0ELb1ElNS0_19identity_decomposerEEEEE10hipError_tT0_T1_T2_jT3_P12ihipStream_tbPNSt15iterator_traitsISG_E10value_typeEPNSM_ISH_E10value_typeEPSI_NS1_7vsmem_tEENKUlT_SG_SH_SI_E_clIS7_S7_S7_SB_EESF_SV_SG_SH_SI_EUlSV_E1_NS1_11comp_targetILNS1_3genE4ELNS1_11target_archE910ELNS1_3gpuE8ELNS1_3repE0EEENS1_36merge_oddeven_config_static_selectorELNS0_4arch9wavefront6targetE1EEEvSH_.kd
    .uniform_work_group_size: 1
    .uses_dynamic_stack: false
    .vgpr_count:     16
    .vgpr_spill_count: 0
    .wavefront_size: 64
  - .agpr_count:     0
    .args:
      - .offset:         0
        .size:           48
        .value_kind:     by_value
    .group_segment_fixed_size: 0
    .kernarg_segment_align: 8
    .kernarg_segment_size: 48
    .language:       OpenCL C
    .language_version:
      - 2
      - 0
    .max_flat_workgroup_size: 256
    .name:           _ZN7rocprim17ROCPRIM_400000_NS6detail17trampoline_kernelINS0_14default_configENS1_38merge_sort_block_merge_config_selectorIllEEZZNS1_27merge_sort_block_merge_implIS3_PlN6thrust23THRUST_200600_302600_NS10device_ptrIlEEjNS1_19radix_merge_compareILb0ELb1ElNS0_19identity_decomposerEEEEE10hipError_tT0_T1_T2_jT3_P12ihipStream_tbPNSt15iterator_traitsISG_E10value_typeEPNSM_ISH_E10value_typeEPSI_NS1_7vsmem_tEENKUlT_SG_SH_SI_E_clIS7_S7_S7_SB_EESF_SV_SG_SH_SI_EUlSV_E1_NS1_11comp_targetILNS1_3genE3ELNS1_11target_archE908ELNS1_3gpuE7ELNS1_3repE0EEENS1_36merge_oddeven_config_static_selectorELNS0_4arch9wavefront6targetE1EEEvSH_
    .private_segment_fixed_size: 0
    .sgpr_count:     4
    .sgpr_spill_count: 0
    .symbol:         _ZN7rocprim17ROCPRIM_400000_NS6detail17trampoline_kernelINS0_14default_configENS1_38merge_sort_block_merge_config_selectorIllEEZZNS1_27merge_sort_block_merge_implIS3_PlN6thrust23THRUST_200600_302600_NS10device_ptrIlEEjNS1_19radix_merge_compareILb0ELb1ElNS0_19identity_decomposerEEEEE10hipError_tT0_T1_T2_jT3_P12ihipStream_tbPNSt15iterator_traitsISG_E10value_typeEPNSM_ISH_E10value_typeEPSI_NS1_7vsmem_tEENKUlT_SG_SH_SI_E_clIS7_S7_S7_SB_EESF_SV_SG_SH_SI_EUlSV_E1_NS1_11comp_targetILNS1_3genE3ELNS1_11target_archE908ELNS1_3gpuE7ELNS1_3repE0EEENS1_36merge_oddeven_config_static_selectorELNS0_4arch9wavefront6targetE1EEEvSH_.kd
    .uniform_work_group_size: 1
    .uses_dynamic_stack: false
    .vgpr_count:     0
    .vgpr_spill_count: 0
    .wavefront_size: 64
  - .agpr_count:     0
    .args:
      - .offset:         0
        .size:           48
        .value_kind:     by_value
    .group_segment_fixed_size: 0
    .kernarg_segment_align: 8
    .kernarg_segment_size: 48
    .language:       OpenCL C
    .language_version:
      - 2
      - 0
    .max_flat_workgroup_size: 256
    .name:           _ZN7rocprim17ROCPRIM_400000_NS6detail17trampoline_kernelINS0_14default_configENS1_38merge_sort_block_merge_config_selectorIllEEZZNS1_27merge_sort_block_merge_implIS3_PlN6thrust23THRUST_200600_302600_NS10device_ptrIlEEjNS1_19radix_merge_compareILb0ELb1ElNS0_19identity_decomposerEEEEE10hipError_tT0_T1_T2_jT3_P12ihipStream_tbPNSt15iterator_traitsISG_E10value_typeEPNSM_ISH_E10value_typeEPSI_NS1_7vsmem_tEENKUlT_SG_SH_SI_E_clIS7_S7_S7_SB_EESF_SV_SG_SH_SI_EUlSV_E1_NS1_11comp_targetILNS1_3genE2ELNS1_11target_archE906ELNS1_3gpuE6ELNS1_3repE0EEENS1_36merge_oddeven_config_static_selectorELNS0_4arch9wavefront6targetE1EEEvSH_
    .private_segment_fixed_size: 0
    .sgpr_count:     4
    .sgpr_spill_count: 0
    .symbol:         _ZN7rocprim17ROCPRIM_400000_NS6detail17trampoline_kernelINS0_14default_configENS1_38merge_sort_block_merge_config_selectorIllEEZZNS1_27merge_sort_block_merge_implIS3_PlN6thrust23THRUST_200600_302600_NS10device_ptrIlEEjNS1_19radix_merge_compareILb0ELb1ElNS0_19identity_decomposerEEEEE10hipError_tT0_T1_T2_jT3_P12ihipStream_tbPNSt15iterator_traitsISG_E10value_typeEPNSM_ISH_E10value_typeEPSI_NS1_7vsmem_tEENKUlT_SG_SH_SI_E_clIS7_S7_S7_SB_EESF_SV_SG_SH_SI_EUlSV_E1_NS1_11comp_targetILNS1_3genE2ELNS1_11target_archE906ELNS1_3gpuE6ELNS1_3repE0EEENS1_36merge_oddeven_config_static_selectorELNS0_4arch9wavefront6targetE1EEEvSH_.kd
    .uniform_work_group_size: 1
    .uses_dynamic_stack: false
    .vgpr_count:     0
    .vgpr_spill_count: 0
    .wavefront_size: 64
  - .agpr_count:     0
    .args:
      - .offset:         0
        .size:           48
        .value_kind:     by_value
    .group_segment_fixed_size: 0
    .kernarg_segment_align: 8
    .kernarg_segment_size: 48
    .language:       OpenCL C
    .language_version:
      - 2
      - 0
    .max_flat_workgroup_size: 256
    .name:           _ZN7rocprim17ROCPRIM_400000_NS6detail17trampoline_kernelINS0_14default_configENS1_38merge_sort_block_merge_config_selectorIllEEZZNS1_27merge_sort_block_merge_implIS3_PlN6thrust23THRUST_200600_302600_NS10device_ptrIlEEjNS1_19radix_merge_compareILb0ELb1ElNS0_19identity_decomposerEEEEE10hipError_tT0_T1_T2_jT3_P12ihipStream_tbPNSt15iterator_traitsISG_E10value_typeEPNSM_ISH_E10value_typeEPSI_NS1_7vsmem_tEENKUlT_SG_SH_SI_E_clIS7_S7_S7_SB_EESF_SV_SG_SH_SI_EUlSV_E1_NS1_11comp_targetILNS1_3genE9ELNS1_11target_archE1100ELNS1_3gpuE3ELNS1_3repE0EEENS1_36merge_oddeven_config_static_selectorELNS0_4arch9wavefront6targetE1EEEvSH_
    .private_segment_fixed_size: 0
    .sgpr_count:     4
    .sgpr_spill_count: 0
    .symbol:         _ZN7rocprim17ROCPRIM_400000_NS6detail17trampoline_kernelINS0_14default_configENS1_38merge_sort_block_merge_config_selectorIllEEZZNS1_27merge_sort_block_merge_implIS3_PlN6thrust23THRUST_200600_302600_NS10device_ptrIlEEjNS1_19radix_merge_compareILb0ELb1ElNS0_19identity_decomposerEEEEE10hipError_tT0_T1_T2_jT3_P12ihipStream_tbPNSt15iterator_traitsISG_E10value_typeEPNSM_ISH_E10value_typeEPSI_NS1_7vsmem_tEENKUlT_SG_SH_SI_E_clIS7_S7_S7_SB_EESF_SV_SG_SH_SI_EUlSV_E1_NS1_11comp_targetILNS1_3genE9ELNS1_11target_archE1100ELNS1_3gpuE3ELNS1_3repE0EEENS1_36merge_oddeven_config_static_selectorELNS0_4arch9wavefront6targetE1EEEvSH_.kd
    .uniform_work_group_size: 1
    .uses_dynamic_stack: false
    .vgpr_count:     0
    .vgpr_spill_count: 0
    .wavefront_size: 64
  - .agpr_count:     0
    .args:
      - .offset:         0
        .size:           48
        .value_kind:     by_value
    .group_segment_fixed_size: 0
    .kernarg_segment_align: 8
    .kernarg_segment_size: 48
    .language:       OpenCL C
    .language_version:
      - 2
      - 0
    .max_flat_workgroup_size: 256
    .name:           _ZN7rocprim17ROCPRIM_400000_NS6detail17trampoline_kernelINS0_14default_configENS1_38merge_sort_block_merge_config_selectorIllEEZZNS1_27merge_sort_block_merge_implIS3_PlN6thrust23THRUST_200600_302600_NS10device_ptrIlEEjNS1_19radix_merge_compareILb0ELb1ElNS0_19identity_decomposerEEEEE10hipError_tT0_T1_T2_jT3_P12ihipStream_tbPNSt15iterator_traitsISG_E10value_typeEPNSM_ISH_E10value_typeEPSI_NS1_7vsmem_tEENKUlT_SG_SH_SI_E_clIS7_S7_S7_SB_EESF_SV_SG_SH_SI_EUlSV_E1_NS1_11comp_targetILNS1_3genE8ELNS1_11target_archE1030ELNS1_3gpuE2ELNS1_3repE0EEENS1_36merge_oddeven_config_static_selectorELNS0_4arch9wavefront6targetE1EEEvSH_
    .private_segment_fixed_size: 0
    .sgpr_count:     4
    .sgpr_spill_count: 0
    .symbol:         _ZN7rocprim17ROCPRIM_400000_NS6detail17trampoline_kernelINS0_14default_configENS1_38merge_sort_block_merge_config_selectorIllEEZZNS1_27merge_sort_block_merge_implIS3_PlN6thrust23THRUST_200600_302600_NS10device_ptrIlEEjNS1_19radix_merge_compareILb0ELb1ElNS0_19identity_decomposerEEEEE10hipError_tT0_T1_T2_jT3_P12ihipStream_tbPNSt15iterator_traitsISG_E10value_typeEPNSM_ISH_E10value_typeEPSI_NS1_7vsmem_tEENKUlT_SG_SH_SI_E_clIS7_S7_S7_SB_EESF_SV_SG_SH_SI_EUlSV_E1_NS1_11comp_targetILNS1_3genE8ELNS1_11target_archE1030ELNS1_3gpuE2ELNS1_3repE0EEENS1_36merge_oddeven_config_static_selectorELNS0_4arch9wavefront6targetE1EEEvSH_.kd
    .uniform_work_group_size: 1
    .uses_dynamic_stack: false
    .vgpr_count:     0
    .vgpr_spill_count: 0
    .wavefront_size: 64
  - .agpr_count:     0
    .args:
      - .offset:         0
        .size:           40
        .value_kind:     by_value
    .group_segment_fixed_size: 0
    .kernarg_segment_align: 8
    .kernarg_segment_size: 40
    .language:       OpenCL C
    .language_version:
      - 2
      - 0
    .max_flat_workgroup_size: 128
    .name:           _ZN7rocprim17ROCPRIM_400000_NS6detail17trampoline_kernelINS0_14default_configENS1_38merge_sort_block_merge_config_selectorIllEEZZNS1_27merge_sort_block_merge_implIS3_PlN6thrust23THRUST_200600_302600_NS10device_ptrIlEEjNS1_19radix_merge_compareILb0ELb1ElNS0_19identity_decomposerEEEEE10hipError_tT0_T1_T2_jT3_P12ihipStream_tbPNSt15iterator_traitsISG_E10value_typeEPNSM_ISH_E10value_typeEPSI_NS1_7vsmem_tEENKUlT_SG_SH_SI_E_clIS7_S7_SB_S7_EESF_SV_SG_SH_SI_EUlSV_E_NS1_11comp_targetILNS1_3genE0ELNS1_11target_archE4294967295ELNS1_3gpuE0ELNS1_3repE0EEENS1_48merge_mergepath_partition_config_static_selectorELNS0_4arch9wavefront6targetE1EEEvSH_
    .private_segment_fixed_size: 0
    .sgpr_count:     4
    .sgpr_spill_count: 0
    .symbol:         _ZN7rocprim17ROCPRIM_400000_NS6detail17trampoline_kernelINS0_14default_configENS1_38merge_sort_block_merge_config_selectorIllEEZZNS1_27merge_sort_block_merge_implIS3_PlN6thrust23THRUST_200600_302600_NS10device_ptrIlEEjNS1_19radix_merge_compareILb0ELb1ElNS0_19identity_decomposerEEEEE10hipError_tT0_T1_T2_jT3_P12ihipStream_tbPNSt15iterator_traitsISG_E10value_typeEPNSM_ISH_E10value_typeEPSI_NS1_7vsmem_tEENKUlT_SG_SH_SI_E_clIS7_S7_SB_S7_EESF_SV_SG_SH_SI_EUlSV_E_NS1_11comp_targetILNS1_3genE0ELNS1_11target_archE4294967295ELNS1_3gpuE0ELNS1_3repE0EEENS1_48merge_mergepath_partition_config_static_selectorELNS0_4arch9wavefront6targetE1EEEvSH_.kd
    .uniform_work_group_size: 1
    .uses_dynamic_stack: false
    .vgpr_count:     0
    .vgpr_spill_count: 0
    .wavefront_size: 64
  - .agpr_count:     0
    .args:
      - .offset:         0
        .size:           40
        .value_kind:     by_value
    .group_segment_fixed_size: 0
    .kernarg_segment_align: 8
    .kernarg_segment_size: 40
    .language:       OpenCL C
    .language_version:
      - 2
      - 0
    .max_flat_workgroup_size: 128
    .name:           _ZN7rocprim17ROCPRIM_400000_NS6detail17trampoline_kernelINS0_14default_configENS1_38merge_sort_block_merge_config_selectorIllEEZZNS1_27merge_sort_block_merge_implIS3_PlN6thrust23THRUST_200600_302600_NS10device_ptrIlEEjNS1_19radix_merge_compareILb0ELb1ElNS0_19identity_decomposerEEEEE10hipError_tT0_T1_T2_jT3_P12ihipStream_tbPNSt15iterator_traitsISG_E10value_typeEPNSM_ISH_E10value_typeEPSI_NS1_7vsmem_tEENKUlT_SG_SH_SI_E_clIS7_S7_SB_S7_EESF_SV_SG_SH_SI_EUlSV_E_NS1_11comp_targetILNS1_3genE10ELNS1_11target_archE1201ELNS1_3gpuE5ELNS1_3repE0EEENS1_48merge_mergepath_partition_config_static_selectorELNS0_4arch9wavefront6targetE1EEEvSH_
    .private_segment_fixed_size: 0
    .sgpr_count:     4
    .sgpr_spill_count: 0
    .symbol:         _ZN7rocprim17ROCPRIM_400000_NS6detail17trampoline_kernelINS0_14default_configENS1_38merge_sort_block_merge_config_selectorIllEEZZNS1_27merge_sort_block_merge_implIS3_PlN6thrust23THRUST_200600_302600_NS10device_ptrIlEEjNS1_19radix_merge_compareILb0ELb1ElNS0_19identity_decomposerEEEEE10hipError_tT0_T1_T2_jT3_P12ihipStream_tbPNSt15iterator_traitsISG_E10value_typeEPNSM_ISH_E10value_typeEPSI_NS1_7vsmem_tEENKUlT_SG_SH_SI_E_clIS7_S7_SB_S7_EESF_SV_SG_SH_SI_EUlSV_E_NS1_11comp_targetILNS1_3genE10ELNS1_11target_archE1201ELNS1_3gpuE5ELNS1_3repE0EEENS1_48merge_mergepath_partition_config_static_selectorELNS0_4arch9wavefront6targetE1EEEvSH_.kd
    .uniform_work_group_size: 1
    .uses_dynamic_stack: false
    .vgpr_count:     0
    .vgpr_spill_count: 0
    .wavefront_size: 64
  - .agpr_count:     0
    .args:
      - .offset:         0
        .size:           40
        .value_kind:     by_value
    .group_segment_fixed_size: 0
    .kernarg_segment_align: 8
    .kernarg_segment_size: 40
    .language:       OpenCL C
    .language_version:
      - 2
      - 0
    .max_flat_workgroup_size: 128
    .name:           _ZN7rocprim17ROCPRIM_400000_NS6detail17trampoline_kernelINS0_14default_configENS1_38merge_sort_block_merge_config_selectorIllEEZZNS1_27merge_sort_block_merge_implIS3_PlN6thrust23THRUST_200600_302600_NS10device_ptrIlEEjNS1_19radix_merge_compareILb0ELb1ElNS0_19identity_decomposerEEEEE10hipError_tT0_T1_T2_jT3_P12ihipStream_tbPNSt15iterator_traitsISG_E10value_typeEPNSM_ISH_E10value_typeEPSI_NS1_7vsmem_tEENKUlT_SG_SH_SI_E_clIS7_S7_SB_S7_EESF_SV_SG_SH_SI_EUlSV_E_NS1_11comp_targetILNS1_3genE5ELNS1_11target_archE942ELNS1_3gpuE9ELNS1_3repE0EEENS1_48merge_mergepath_partition_config_static_selectorELNS0_4arch9wavefront6targetE1EEEvSH_
    .private_segment_fixed_size: 0
    .sgpr_count:     4
    .sgpr_spill_count: 0
    .symbol:         _ZN7rocprim17ROCPRIM_400000_NS6detail17trampoline_kernelINS0_14default_configENS1_38merge_sort_block_merge_config_selectorIllEEZZNS1_27merge_sort_block_merge_implIS3_PlN6thrust23THRUST_200600_302600_NS10device_ptrIlEEjNS1_19radix_merge_compareILb0ELb1ElNS0_19identity_decomposerEEEEE10hipError_tT0_T1_T2_jT3_P12ihipStream_tbPNSt15iterator_traitsISG_E10value_typeEPNSM_ISH_E10value_typeEPSI_NS1_7vsmem_tEENKUlT_SG_SH_SI_E_clIS7_S7_SB_S7_EESF_SV_SG_SH_SI_EUlSV_E_NS1_11comp_targetILNS1_3genE5ELNS1_11target_archE942ELNS1_3gpuE9ELNS1_3repE0EEENS1_48merge_mergepath_partition_config_static_selectorELNS0_4arch9wavefront6targetE1EEEvSH_.kd
    .uniform_work_group_size: 1
    .uses_dynamic_stack: false
    .vgpr_count:     0
    .vgpr_spill_count: 0
    .wavefront_size: 64
  - .agpr_count:     0
    .args:
      - .offset:         0
        .size:           40
        .value_kind:     by_value
    .group_segment_fixed_size: 0
    .kernarg_segment_align: 8
    .kernarg_segment_size: 40
    .language:       OpenCL C
    .language_version:
      - 2
      - 0
    .max_flat_workgroup_size: 128
    .name:           _ZN7rocprim17ROCPRIM_400000_NS6detail17trampoline_kernelINS0_14default_configENS1_38merge_sort_block_merge_config_selectorIllEEZZNS1_27merge_sort_block_merge_implIS3_PlN6thrust23THRUST_200600_302600_NS10device_ptrIlEEjNS1_19radix_merge_compareILb0ELb1ElNS0_19identity_decomposerEEEEE10hipError_tT0_T1_T2_jT3_P12ihipStream_tbPNSt15iterator_traitsISG_E10value_typeEPNSM_ISH_E10value_typeEPSI_NS1_7vsmem_tEENKUlT_SG_SH_SI_E_clIS7_S7_SB_S7_EESF_SV_SG_SH_SI_EUlSV_E_NS1_11comp_targetILNS1_3genE4ELNS1_11target_archE910ELNS1_3gpuE8ELNS1_3repE0EEENS1_48merge_mergepath_partition_config_static_selectorELNS0_4arch9wavefront6targetE1EEEvSH_
    .private_segment_fixed_size: 0
    .sgpr_count:     14
    .sgpr_spill_count: 0
    .symbol:         _ZN7rocprim17ROCPRIM_400000_NS6detail17trampoline_kernelINS0_14default_configENS1_38merge_sort_block_merge_config_selectorIllEEZZNS1_27merge_sort_block_merge_implIS3_PlN6thrust23THRUST_200600_302600_NS10device_ptrIlEEjNS1_19radix_merge_compareILb0ELb1ElNS0_19identity_decomposerEEEEE10hipError_tT0_T1_T2_jT3_P12ihipStream_tbPNSt15iterator_traitsISG_E10value_typeEPNSM_ISH_E10value_typeEPSI_NS1_7vsmem_tEENKUlT_SG_SH_SI_E_clIS7_S7_SB_S7_EESF_SV_SG_SH_SI_EUlSV_E_NS1_11comp_targetILNS1_3genE4ELNS1_11target_archE910ELNS1_3gpuE8ELNS1_3repE0EEENS1_48merge_mergepath_partition_config_static_selectorELNS0_4arch9wavefront6targetE1EEEvSH_.kd
    .uniform_work_group_size: 1
    .uses_dynamic_stack: false
    .vgpr_count:     16
    .vgpr_spill_count: 0
    .wavefront_size: 64
  - .agpr_count:     0
    .args:
      - .offset:         0
        .size:           40
        .value_kind:     by_value
    .group_segment_fixed_size: 0
    .kernarg_segment_align: 8
    .kernarg_segment_size: 40
    .language:       OpenCL C
    .language_version:
      - 2
      - 0
    .max_flat_workgroup_size: 128
    .name:           _ZN7rocprim17ROCPRIM_400000_NS6detail17trampoline_kernelINS0_14default_configENS1_38merge_sort_block_merge_config_selectorIllEEZZNS1_27merge_sort_block_merge_implIS3_PlN6thrust23THRUST_200600_302600_NS10device_ptrIlEEjNS1_19radix_merge_compareILb0ELb1ElNS0_19identity_decomposerEEEEE10hipError_tT0_T1_T2_jT3_P12ihipStream_tbPNSt15iterator_traitsISG_E10value_typeEPNSM_ISH_E10value_typeEPSI_NS1_7vsmem_tEENKUlT_SG_SH_SI_E_clIS7_S7_SB_S7_EESF_SV_SG_SH_SI_EUlSV_E_NS1_11comp_targetILNS1_3genE3ELNS1_11target_archE908ELNS1_3gpuE7ELNS1_3repE0EEENS1_48merge_mergepath_partition_config_static_selectorELNS0_4arch9wavefront6targetE1EEEvSH_
    .private_segment_fixed_size: 0
    .sgpr_count:     4
    .sgpr_spill_count: 0
    .symbol:         _ZN7rocprim17ROCPRIM_400000_NS6detail17trampoline_kernelINS0_14default_configENS1_38merge_sort_block_merge_config_selectorIllEEZZNS1_27merge_sort_block_merge_implIS3_PlN6thrust23THRUST_200600_302600_NS10device_ptrIlEEjNS1_19radix_merge_compareILb0ELb1ElNS0_19identity_decomposerEEEEE10hipError_tT0_T1_T2_jT3_P12ihipStream_tbPNSt15iterator_traitsISG_E10value_typeEPNSM_ISH_E10value_typeEPSI_NS1_7vsmem_tEENKUlT_SG_SH_SI_E_clIS7_S7_SB_S7_EESF_SV_SG_SH_SI_EUlSV_E_NS1_11comp_targetILNS1_3genE3ELNS1_11target_archE908ELNS1_3gpuE7ELNS1_3repE0EEENS1_48merge_mergepath_partition_config_static_selectorELNS0_4arch9wavefront6targetE1EEEvSH_.kd
    .uniform_work_group_size: 1
    .uses_dynamic_stack: false
    .vgpr_count:     0
    .vgpr_spill_count: 0
    .wavefront_size: 64
  - .agpr_count:     0
    .args:
      - .offset:         0
        .size:           40
        .value_kind:     by_value
    .group_segment_fixed_size: 0
    .kernarg_segment_align: 8
    .kernarg_segment_size: 40
    .language:       OpenCL C
    .language_version:
      - 2
      - 0
    .max_flat_workgroup_size: 128
    .name:           _ZN7rocprim17ROCPRIM_400000_NS6detail17trampoline_kernelINS0_14default_configENS1_38merge_sort_block_merge_config_selectorIllEEZZNS1_27merge_sort_block_merge_implIS3_PlN6thrust23THRUST_200600_302600_NS10device_ptrIlEEjNS1_19radix_merge_compareILb0ELb1ElNS0_19identity_decomposerEEEEE10hipError_tT0_T1_T2_jT3_P12ihipStream_tbPNSt15iterator_traitsISG_E10value_typeEPNSM_ISH_E10value_typeEPSI_NS1_7vsmem_tEENKUlT_SG_SH_SI_E_clIS7_S7_SB_S7_EESF_SV_SG_SH_SI_EUlSV_E_NS1_11comp_targetILNS1_3genE2ELNS1_11target_archE906ELNS1_3gpuE6ELNS1_3repE0EEENS1_48merge_mergepath_partition_config_static_selectorELNS0_4arch9wavefront6targetE1EEEvSH_
    .private_segment_fixed_size: 0
    .sgpr_count:     4
    .sgpr_spill_count: 0
    .symbol:         _ZN7rocprim17ROCPRIM_400000_NS6detail17trampoline_kernelINS0_14default_configENS1_38merge_sort_block_merge_config_selectorIllEEZZNS1_27merge_sort_block_merge_implIS3_PlN6thrust23THRUST_200600_302600_NS10device_ptrIlEEjNS1_19radix_merge_compareILb0ELb1ElNS0_19identity_decomposerEEEEE10hipError_tT0_T1_T2_jT3_P12ihipStream_tbPNSt15iterator_traitsISG_E10value_typeEPNSM_ISH_E10value_typeEPSI_NS1_7vsmem_tEENKUlT_SG_SH_SI_E_clIS7_S7_SB_S7_EESF_SV_SG_SH_SI_EUlSV_E_NS1_11comp_targetILNS1_3genE2ELNS1_11target_archE906ELNS1_3gpuE6ELNS1_3repE0EEENS1_48merge_mergepath_partition_config_static_selectorELNS0_4arch9wavefront6targetE1EEEvSH_.kd
    .uniform_work_group_size: 1
    .uses_dynamic_stack: false
    .vgpr_count:     0
    .vgpr_spill_count: 0
    .wavefront_size: 64
  - .agpr_count:     0
    .args:
      - .offset:         0
        .size:           40
        .value_kind:     by_value
    .group_segment_fixed_size: 0
    .kernarg_segment_align: 8
    .kernarg_segment_size: 40
    .language:       OpenCL C
    .language_version:
      - 2
      - 0
    .max_flat_workgroup_size: 128
    .name:           _ZN7rocprim17ROCPRIM_400000_NS6detail17trampoline_kernelINS0_14default_configENS1_38merge_sort_block_merge_config_selectorIllEEZZNS1_27merge_sort_block_merge_implIS3_PlN6thrust23THRUST_200600_302600_NS10device_ptrIlEEjNS1_19radix_merge_compareILb0ELb1ElNS0_19identity_decomposerEEEEE10hipError_tT0_T1_T2_jT3_P12ihipStream_tbPNSt15iterator_traitsISG_E10value_typeEPNSM_ISH_E10value_typeEPSI_NS1_7vsmem_tEENKUlT_SG_SH_SI_E_clIS7_S7_SB_S7_EESF_SV_SG_SH_SI_EUlSV_E_NS1_11comp_targetILNS1_3genE9ELNS1_11target_archE1100ELNS1_3gpuE3ELNS1_3repE0EEENS1_48merge_mergepath_partition_config_static_selectorELNS0_4arch9wavefront6targetE1EEEvSH_
    .private_segment_fixed_size: 0
    .sgpr_count:     4
    .sgpr_spill_count: 0
    .symbol:         _ZN7rocprim17ROCPRIM_400000_NS6detail17trampoline_kernelINS0_14default_configENS1_38merge_sort_block_merge_config_selectorIllEEZZNS1_27merge_sort_block_merge_implIS3_PlN6thrust23THRUST_200600_302600_NS10device_ptrIlEEjNS1_19radix_merge_compareILb0ELb1ElNS0_19identity_decomposerEEEEE10hipError_tT0_T1_T2_jT3_P12ihipStream_tbPNSt15iterator_traitsISG_E10value_typeEPNSM_ISH_E10value_typeEPSI_NS1_7vsmem_tEENKUlT_SG_SH_SI_E_clIS7_S7_SB_S7_EESF_SV_SG_SH_SI_EUlSV_E_NS1_11comp_targetILNS1_3genE9ELNS1_11target_archE1100ELNS1_3gpuE3ELNS1_3repE0EEENS1_48merge_mergepath_partition_config_static_selectorELNS0_4arch9wavefront6targetE1EEEvSH_.kd
    .uniform_work_group_size: 1
    .uses_dynamic_stack: false
    .vgpr_count:     0
    .vgpr_spill_count: 0
    .wavefront_size: 64
  - .agpr_count:     0
    .args:
      - .offset:         0
        .size:           40
        .value_kind:     by_value
    .group_segment_fixed_size: 0
    .kernarg_segment_align: 8
    .kernarg_segment_size: 40
    .language:       OpenCL C
    .language_version:
      - 2
      - 0
    .max_flat_workgroup_size: 128
    .name:           _ZN7rocprim17ROCPRIM_400000_NS6detail17trampoline_kernelINS0_14default_configENS1_38merge_sort_block_merge_config_selectorIllEEZZNS1_27merge_sort_block_merge_implIS3_PlN6thrust23THRUST_200600_302600_NS10device_ptrIlEEjNS1_19radix_merge_compareILb0ELb1ElNS0_19identity_decomposerEEEEE10hipError_tT0_T1_T2_jT3_P12ihipStream_tbPNSt15iterator_traitsISG_E10value_typeEPNSM_ISH_E10value_typeEPSI_NS1_7vsmem_tEENKUlT_SG_SH_SI_E_clIS7_S7_SB_S7_EESF_SV_SG_SH_SI_EUlSV_E_NS1_11comp_targetILNS1_3genE8ELNS1_11target_archE1030ELNS1_3gpuE2ELNS1_3repE0EEENS1_48merge_mergepath_partition_config_static_selectorELNS0_4arch9wavefront6targetE1EEEvSH_
    .private_segment_fixed_size: 0
    .sgpr_count:     4
    .sgpr_spill_count: 0
    .symbol:         _ZN7rocprim17ROCPRIM_400000_NS6detail17trampoline_kernelINS0_14default_configENS1_38merge_sort_block_merge_config_selectorIllEEZZNS1_27merge_sort_block_merge_implIS3_PlN6thrust23THRUST_200600_302600_NS10device_ptrIlEEjNS1_19radix_merge_compareILb0ELb1ElNS0_19identity_decomposerEEEEE10hipError_tT0_T1_T2_jT3_P12ihipStream_tbPNSt15iterator_traitsISG_E10value_typeEPNSM_ISH_E10value_typeEPSI_NS1_7vsmem_tEENKUlT_SG_SH_SI_E_clIS7_S7_SB_S7_EESF_SV_SG_SH_SI_EUlSV_E_NS1_11comp_targetILNS1_3genE8ELNS1_11target_archE1030ELNS1_3gpuE2ELNS1_3repE0EEENS1_48merge_mergepath_partition_config_static_selectorELNS0_4arch9wavefront6targetE1EEEvSH_.kd
    .uniform_work_group_size: 1
    .uses_dynamic_stack: false
    .vgpr_count:     0
    .vgpr_spill_count: 0
    .wavefront_size: 64
  - .agpr_count:     0
    .args:
      - .offset:         0
        .size:           72
        .value_kind:     by_value
    .group_segment_fixed_size: 0
    .kernarg_segment_align: 8
    .kernarg_segment_size: 72
    .language:       OpenCL C
    .language_version:
      - 2
      - 0
    .max_flat_workgroup_size: 512
    .name:           _ZN7rocprim17ROCPRIM_400000_NS6detail17trampoline_kernelINS0_14default_configENS1_38merge_sort_block_merge_config_selectorIllEEZZNS1_27merge_sort_block_merge_implIS3_PlN6thrust23THRUST_200600_302600_NS10device_ptrIlEEjNS1_19radix_merge_compareILb0ELb1ElNS0_19identity_decomposerEEEEE10hipError_tT0_T1_T2_jT3_P12ihipStream_tbPNSt15iterator_traitsISG_E10value_typeEPNSM_ISH_E10value_typeEPSI_NS1_7vsmem_tEENKUlT_SG_SH_SI_E_clIS7_S7_SB_S7_EESF_SV_SG_SH_SI_EUlSV_E0_NS1_11comp_targetILNS1_3genE0ELNS1_11target_archE4294967295ELNS1_3gpuE0ELNS1_3repE0EEENS1_38merge_mergepath_config_static_selectorELNS0_4arch9wavefront6targetE1EEEvSH_
    .private_segment_fixed_size: 0
    .sgpr_count:     4
    .sgpr_spill_count: 0
    .symbol:         _ZN7rocprim17ROCPRIM_400000_NS6detail17trampoline_kernelINS0_14default_configENS1_38merge_sort_block_merge_config_selectorIllEEZZNS1_27merge_sort_block_merge_implIS3_PlN6thrust23THRUST_200600_302600_NS10device_ptrIlEEjNS1_19radix_merge_compareILb0ELb1ElNS0_19identity_decomposerEEEEE10hipError_tT0_T1_T2_jT3_P12ihipStream_tbPNSt15iterator_traitsISG_E10value_typeEPNSM_ISH_E10value_typeEPSI_NS1_7vsmem_tEENKUlT_SG_SH_SI_E_clIS7_S7_SB_S7_EESF_SV_SG_SH_SI_EUlSV_E0_NS1_11comp_targetILNS1_3genE0ELNS1_11target_archE4294967295ELNS1_3gpuE0ELNS1_3repE0EEENS1_38merge_mergepath_config_static_selectorELNS0_4arch9wavefront6targetE1EEEvSH_.kd
    .uniform_work_group_size: 1
    .uses_dynamic_stack: false
    .vgpr_count:     0
    .vgpr_spill_count: 0
    .wavefront_size: 64
  - .agpr_count:     0
    .args:
      - .offset:         0
        .size:           72
        .value_kind:     by_value
    .group_segment_fixed_size: 0
    .kernarg_segment_align: 8
    .kernarg_segment_size: 72
    .language:       OpenCL C
    .language_version:
      - 2
      - 0
    .max_flat_workgroup_size: 512
    .name:           _ZN7rocprim17ROCPRIM_400000_NS6detail17trampoline_kernelINS0_14default_configENS1_38merge_sort_block_merge_config_selectorIllEEZZNS1_27merge_sort_block_merge_implIS3_PlN6thrust23THRUST_200600_302600_NS10device_ptrIlEEjNS1_19radix_merge_compareILb0ELb1ElNS0_19identity_decomposerEEEEE10hipError_tT0_T1_T2_jT3_P12ihipStream_tbPNSt15iterator_traitsISG_E10value_typeEPNSM_ISH_E10value_typeEPSI_NS1_7vsmem_tEENKUlT_SG_SH_SI_E_clIS7_S7_SB_S7_EESF_SV_SG_SH_SI_EUlSV_E0_NS1_11comp_targetILNS1_3genE10ELNS1_11target_archE1201ELNS1_3gpuE5ELNS1_3repE0EEENS1_38merge_mergepath_config_static_selectorELNS0_4arch9wavefront6targetE1EEEvSH_
    .private_segment_fixed_size: 0
    .sgpr_count:     4
    .sgpr_spill_count: 0
    .symbol:         _ZN7rocprim17ROCPRIM_400000_NS6detail17trampoline_kernelINS0_14default_configENS1_38merge_sort_block_merge_config_selectorIllEEZZNS1_27merge_sort_block_merge_implIS3_PlN6thrust23THRUST_200600_302600_NS10device_ptrIlEEjNS1_19radix_merge_compareILb0ELb1ElNS0_19identity_decomposerEEEEE10hipError_tT0_T1_T2_jT3_P12ihipStream_tbPNSt15iterator_traitsISG_E10value_typeEPNSM_ISH_E10value_typeEPSI_NS1_7vsmem_tEENKUlT_SG_SH_SI_E_clIS7_S7_SB_S7_EESF_SV_SG_SH_SI_EUlSV_E0_NS1_11comp_targetILNS1_3genE10ELNS1_11target_archE1201ELNS1_3gpuE5ELNS1_3repE0EEENS1_38merge_mergepath_config_static_selectorELNS0_4arch9wavefront6targetE1EEEvSH_.kd
    .uniform_work_group_size: 1
    .uses_dynamic_stack: false
    .vgpr_count:     0
    .vgpr_spill_count: 0
    .wavefront_size: 64
  - .agpr_count:     0
    .args:
      - .offset:         0
        .size:           72
        .value_kind:     by_value
    .group_segment_fixed_size: 0
    .kernarg_segment_align: 8
    .kernarg_segment_size: 72
    .language:       OpenCL C
    .language_version:
      - 2
      - 0
    .max_flat_workgroup_size: 256
    .name:           _ZN7rocprim17ROCPRIM_400000_NS6detail17trampoline_kernelINS0_14default_configENS1_38merge_sort_block_merge_config_selectorIllEEZZNS1_27merge_sort_block_merge_implIS3_PlN6thrust23THRUST_200600_302600_NS10device_ptrIlEEjNS1_19radix_merge_compareILb0ELb1ElNS0_19identity_decomposerEEEEE10hipError_tT0_T1_T2_jT3_P12ihipStream_tbPNSt15iterator_traitsISG_E10value_typeEPNSM_ISH_E10value_typeEPSI_NS1_7vsmem_tEENKUlT_SG_SH_SI_E_clIS7_S7_SB_S7_EESF_SV_SG_SH_SI_EUlSV_E0_NS1_11comp_targetILNS1_3genE5ELNS1_11target_archE942ELNS1_3gpuE9ELNS1_3repE0EEENS1_38merge_mergepath_config_static_selectorELNS0_4arch9wavefront6targetE1EEEvSH_
    .private_segment_fixed_size: 0
    .sgpr_count:     4
    .sgpr_spill_count: 0
    .symbol:         _ZN7rocprim17ROCPRIM_400000_NS6detail17trampoline_kernelINS0_14default_configENS1_38merge_sort_block_merge_config_selectorIllEEZZNS1_27merge_sort_block_merge_implIS3_PlN6thrust23THRUST_200600_302600_NS10device_ptrIlEEjNS1_19radix_merge_compareILb0ELb1ElNS0_19identity_decomposerEEEEE10hipError_tT0_T1_T2_jT3_P12ihipStream_tbPNSt15iterator_traitsISG_E10value_typeEPNSM_ISH_E10value_typeEPSI_NS1_7vsmem_tEENKUlT_SG_SH_SI_E_clIS7_S7_SB_S7_EESF_SV_SG_SH_SI_EUlSV_E0_NS1_11comp_targetILNS1_3genE5ELNS1_11target_archE942ELNS1_3gpuE9ELNS1_3repE0EEENS1_38merge_mergepath_config_static_selectorELNS0_4arch9wavefront6targetE1EEEvSH_.kd
    .uniform_work_group_size: 1
    .uses_dynamic_stack: false
    .vgpr_count:     0
    .vgpr_spill_count: 0
    .wavefront_size: 64
  - .agpr_count:     0
    .args:
      - .offset:         0
        .size:           72
        .value_kind:     by_value
      - .offset:         72
        .size:           4
        .value_kind:     hidden_block_count_x
      - .offset:         76
        .size:           4
        .value_kind:     hidden_block_count_y
      - .offset:         80
        .size:           4
        .value_kind:     hidden_block_count_z
      - .offset:         84
        .size:           2
        .value_kind:     hidden_group_size_x
      - .offset:         86
        .size:           2
        .value_kind:     hidden_group_size_y
      - .offset:         88
        .size:           2
        .value_kind:     hidden_group_size_z
      - .offset:         90
        .size:           2
        .value_kind:     hidden_remainder_x
      - .offset:         92
        .size:           2
        .value_kind:     hidden_remainder_y
      - .offset:         94
        .size:           2
        .value_kind:     hidden_remainder_z
      - .offset:         112
        .size:           8
        .value_kind:     hidden_global_offset_x
      - .offset:         120
        .size:           8
        .value_kind:     hidden_global_offset_y
      - .offset:         128
        .size:           8
        .value_kind:     hidden_global_offset_z
      - .offset:         136
        .size:           2
        .value_kind:     hidden_grid_dims
    .group_segment_fixed_size: 8448
    .kernarg_segment_align: 8
    .kernarg_segment_size: 328
    .language:       OpenCL C
    .language_version:
      - 2
      - 0
    .max_flat_workgroup_size: 512
    .name:           _ZN7rocprim17ROCPRIM_400000_NS6detail17trampoline_kernelINS0_14default_configENS1_38merge_sort_block_merge_config_selectorIllEEZZNS1_27merge_sort_block_merge_implIS3_PlN6thrust23THRUST_200600_302600_NS10device_ptrIlEEjNS1_19radix_merge_compareILb0ELb1ElNS0_19identity_decomposerEEEEE10hipError_tT0_T1_T2_jT3_P12ihipStream_tbPNSt15iterator_traitsISG_E10value_typeEPNSM_ISH_E10value_typeEPSI_NS1_7vsmem_tEENKUlT_SG_SH_SI_E_clIS7_S7_SB_S7_EESF_SV_SG_SH_SI_EUlSV_E0_NS1_11comp_targetILNS1_3genE4ELNS1_11target_archE910ELNS1_3gpuE8ELNS1_3repE0EEENS1_38merge_mergepath_config_static_selectorELNS0_4arch9wavefront6targetE1EEEvSH_
    .private_segment_fixed_size: 0
    .sgpr_count:     38
    .sgpr_spill_count: 0
    .symbol:         _ZN7rocprim17ROCPRIM_400000_NS6detail17trampoline_kernelINS0_14default_configENS1_38merge_sort_block_merge_config_selectorIllEEZZNS1_27merge_sort_block_merge_implIS3_PlN6thrust23THRUST_200600_302600_NS10device_ptrIlEEjNS1_19radix_merge_compareILb0ELb1ElNS0_19identity_decomposerEEEEE10hipError_tT0_T1_T2_jT3_P12ihipStream_tbPNSt15iterator_traitsISG_E10value_typeEPNSM_ISH_E10value_typeEPSI_NS1_7vsmem_tEENKUlT_SG_SH_SI_E_clIS7_S7_SB_S7_EESF_SV_SG_SH_SI_EUlSV_E0_NS1_11comp_targetILNS1_3genE4ELNS1_11target_archE910ELNS1_3gpuE8ELNS1_3repE0EEENS1_38merge_mergepath_config_static_selectorELNS0_4arch9wavefront6targetE1EEEvSH_.kd
    .uniform_work_group_size: 1
    .uses_dynamic_stack: false
    .vgpr_count:     22
    .vgpr_spill_count: 0
    .wavefront_size: 64
  - .agpr_count:     0
    .args:
      - .offset:         0
        .size:           72
        .value_kind:     by_value
    .group_segment_fixed_size: 0
    .kernarg_segment_align: 8
    .kernarg_segment_size: 72
    .language:       OpenCL C
    .language_version:
      - 2
      - 0
    .max_flat_workgroup_size: 512
    .name:           _ZN7rocprim17ROCPRIM_400000_NS6detail17trampoline_kernelINS0_14default_configENS1_38merge_sort_block_merge_config_selectorIllEEZZNS1_27merge_sort_block_merge_implIS3_PlN6thrust23THRUST_200600_302600_NS10device_ptrIlEEjNS1_19radix_merge_compareILb0ELb1ElNS0_19identity_decomposerEEEEE10hipError_tT0_T1_T2_jT3_P12ihipStream_tbPNSt15iterator_traitsISG_E10value_typeEPNSM_ISH_E10value_typeEPSI_NS1_7vsmem_tEENKUlT_SG_SH_SI_E_clIS7_S7_SB_S7_EESF_SV_SG_SH_SI_EUlSV_E0_NS1_11comp_targetILNS1_3genE3ELNS1_11target_archE908ELNS1_3gpuE7ELNS1_3repE0EEENS1_38merge_mergepath_config_static_selectorELNS0_4arch9wavefront6targetE1EEEvSH_
    .private_segment_fixed_size: 0
    .sgpr_count:     4
    .sgpr_spill_count: 0
    .symbol:         _ZN7rocprim17ROCPRIM_400000_NS6detail17trampoline_kernelINS0_14default_configENS1_38merge_sort_block_merge_config_selectorIllEEZZNS1_27merge_sort_block_merge_implIS3_PlN6thrust23THRUST_200600_302600_NS10device_ptrIlEEjNS1_19radix_merge_compareILb0ELb1ElNS0_19identity_decomposerEEEEE10hipError_tT0_T1_T2_jT3_P12ihipStream_tbPNSt15iterator_traitsISG_E10value_typeEPNSM_ISH_E10value_typeEPSI_NS1_7vsmem_tEENKUlT_SG_SH_SI_E_clIS7_S7_SB_S7_EESF_SV_SG_SH_SI_EUlSV_E0_NS1_11comp_targetILNS1_3genE3ELNS1_11target_archE908ELNS1_3gpuE7ELNS1_3repE0EEENS1_38merge_mergepath_config_static_selectorELNS0_4arch9wavefront6targetE1EEEvSH_.kd
    .uniform_work_group_size: 1
    .uses_dynamic_stack: false
    .vgpr_count:     0
    .vgpr_spill_count: 0
    .wavefront_size: 64
  - .agpr_count:     0
    .args:
      - .offset:         0
        .size:           72
        .value_kind:     by_value
    .group_segment_fixed_size: 0
    .kernarg_segment_align: 8
    .kernarg_segment_size: 72
    .language:       OpenCL C
    .language_version:
      - 2
      - 0
    .max_flat_workgroup_size: 128
    .name:           _ZN7rocprim17ROCPRIM_400000_NS6detail17trampoline_kernelINS0_14default_configENS1_38merge_sort_block_merge_config_selectorIllEEZZNS1_27merge_sort_block_merge_implIS3_PlN6thrust23THRUST_200600_302600_NS10device_ptrIlEEjNS1_19radix_merge_compareILb0ELb1ElNS0_19identity_decomposerEEEEE10hipError_tT0_T1_T2_jT3_P12ihipStream_tbPNSt15iterator_traitsISG_E10value_typeEPNSM_ISH_E10value_typeEPSI_NS1_7vsmem_tEENKUlT_SG_SH_SI_E_clIS7_S7_SB_S7_EESF_SV_SG_SH_SI_EUlSV_E0_NS1_11comp_targetILNS1_3genE2ELNS1_11target_archE906ELNS1_3gpuE6ELNS1_3repE0EEENS1_38merge_mergepath_config_static_selectorELNS0_4arch9wavefront6targetE1EEEvSH_
    .private_segment_fixed_size: 0
    .sgpr_count:     4
    .sgpr_spill_count: 0
    .symbol:         _ZN7rocprim17ROCPRIM_400000_NS6detail17trampoline_kernelINS0_14default_configENS1_38merge_sort_block_merge_config_selectorIllEEZZNS1_27merge_sort_block_merge_implIS3_PlN6thrust23THRUST_200600_302600_NS10device_ptrIlEEjNS1_19radix_merge_compareILb0ELb1ElNS0_19identity_decomposerEEEEE10hipError_tT0_T1_T2_jT3_P12ihipStream_tbPNSt15iterator_traitsISG_E10value_typeEPNSM_ISH_E10value_typeEPSI_NS1_7vsmem_tEENKUlT_SG_SH_SI_E_clIS7_S7_SB_S7_EESF_SV_SG_SH_SI_EUlSV_E0_NS1_11comp_targetILNS1_3genE2ELNS1_11target_archE906ELNS1_3gpuE6ELNS1_3repE0EEENS1_38merge_mergepath_config_static_selectorELNS0_4arch9wavefront6targetE1EEEvSH_.kd
    .uniform_work_group_size: 1
    .uses_dynamic_stack: false
    .vgpr_count:     0
    .vgpr_spill_count: 0
    .wavefront_size: 64
  - .agpr_count:     0
    .args:
      - .offset:         0
        .size:           72
        .value_kind:     by_value
    .group_segment_fixed_size: 0
    .kernarg_segment_align: 8
    .kernarg_segment_size: 72
    .language:       OpenCL C
    .language_version:
      - 2
      - 0
    .max_flat_workgroup_size: 1024
    .name:           _ZN7rocprim17ROCPRIM_400000_NS6detail17trampoline_kernelINS0_14default_configENS1_38merge_sort_block_merge_config_selectorIllEEZZNS1_27merge_sort_block_merge_implIS3_PlN6thrust23THRUST_200600_302600_NS10device_ptrIlEEjNS1_19radix_merge_compareILb0ELb1ElNS0_19identity_decomposerEEEEE10hipError_tT0_T1_T2_jT3_P12ihipStream_tbPNSt15iterator_traitsISG_E10value_typeEPNSM_ISH_E10value_typeEPSI_NS1_7vsmem_tEENKUlT_SG_SH_SI_E_clIS7_S7_SB_S7_EESF_SV_SG_SH_SI_EUlSV_E0_NS1_11comp_targetILNS1_3genE9ELNS1_11target_archE1100ELNS1_3gpuE3ELNS1_3repE0EEENS1_38merge_mergepath_config_static_selectorELNS0_4arch9wavefront6targetE1EEEvSH_
    .private_segment_fixed_size: 0
    .sgpr_count:     4
    .sgpr_spill_count: 0
    .symbol:         _ZN7rocprim17ROCPRIM_400000_NS6detail17trampoline_kernelINS0_14default_configENS1_38merge_sort_block_merge_config_selectorIllEEZZNS1_27merge_sort_block_merge_implIS3_PlN6thrust23THRUST_200600_302600_NS10device_ptrIlEEjNS1_19radix_merge_compareILb0ELb1ElNS0_19identity_decomposerEEEEE10hipError_tT0_T1_T2_jT3_P12ihipStream_tbPNSt15iterator_traitsISG_E10value_typeEPNSM_ISH_E10value_typeEPSI_NS1_7vsmem_tEENKUlT_SG_SH_SI_E_clIS7_S7_SB_S7_EESF_SV_SG_SH_SI_EUlSV_E0_NS1_11comp_targetILNS1_3genE9ELNS1_11target_archE1100ELNS1_3gpuE3ELNS1_3repE0EEENS1_38merge_mergepath_config_static_selectorELNS0_4arch9wavefront6targetE1EEEvSH_.kd
    .uniform_work_group_size: 1
    .uses_dynamic_stack: false
    .vgpr_count:     0
    .vgpr_spill_count: 0
    .wavefront_size: 64
  - .agpr_count:     0
    .args:
      - .offset:         0
        .size:           72
        .value_kind:     by_value
    .group_segment_fixed_size: 0
    .kernarg_segment_align: 8
    .kernarg_segment_size: 72
    .language:       OpenCL C
    .language_version:
      - 2
      - 0
    .max_flat_workgroup_size: 1024
    .name:           _ZN7rocprim17ROCPRIM_400000_NS6detail17trampoline_kernelINS0_14default_configENS1_38merge_sort_block_merge_config_selectorIllEEZZNS1_27merge_sort_block_merge_implIS3_PlN6thrust23THRUST_200600_302600_NS10device_ptrIlEEjNS1_19radix_merge_compareILb0ELb1ElNS0_19identity_decomposerEEEEE10hipError_tT0_T1_T2_jT3_P12ihipStream_tbPNSt15iterator_traitsISG_E10value_typeEPNSM_ISH_E10value_typeEPSI_NS1_7vsmem_tEENKUlT_SG_SH_SI_E_clIS7_S7_SB_S7_EESF_SV_SG_SH_SI_EUlSV_E0_NS1_11comp_targetILNS1_3genE8ELNS1_11target_archE1030ELNS1_3gpuE2ELNS1_3repE0EEENS1_38merge_mergepath_config_static_selectorELNS0_4arch9wavefront6targetE1EEEvSH_
    .private_segment_fixed_size: 0
    .sgpr_count:     4
    .sgpr_spill_count: 0
    .symbol:         _ZN7rocprim17ROCPRIM_400000_NS6detail17trampoline_kernelINS0_14default_configENS1_38merge_sort_block_merge_config_selectorIllEEZZNS1_27merge_sort_block_merge_implIS3_PlN6thrust23THRUST_200600_302600_NS10device_ptrIlEEjNS1_19radix_merge_compareILb0ELb1ElNS0_19identity_decomposerEEEEE10hipError_tT0_T1_T2_jT3_P12ihipStream_tbPNSt15iterator_traitsISG_E10value_typeEPNSM_ISH_E10value_typeEPSI_NS1_7vsmem_tEENKUlT_SG_SH_SI_E_clIS7_S7_SB_S7_EESF_SV_SG_SH_SI_EUlSV_E0_NS1_11comp_targetILNS1_3genE8ELNS1_11target_archE1030ELNS1_3gpuE2ELNS1_3repE0EEENS1_38merge_mergepath_config_static_selectorELNS0_4arch9wavefront6targetE1EEEvSH_.kd
    .uniform_work_group_size: 1
    .uses_dynamic_stack: false
    .vgpr_count:     0
    .vgpr_spill_count: 0
    .wavefront_size: 64
  - .agpr_count:     0
    .args:
      - .offset:         0
        .size:           48
        .value_kind:     by_value
    .group_segment_fixed_size: 0
    .kernarg_segment_align: 8
    .kernarg_segment_size: 48
    .language:       OpenCL C
    .language_version:
      - 2
      - 0
    .max_flat_workgroup_size: 256
    .name:           _ZN7rocprim17ROCPRIM_400000_NS6detail17trampoline_kernelINS0_14default_configENS1_38merge_sort_block_merge_config_selectorIllEEZZNS1_27merge_sort_block_merge_implIS3_PlN6thrust23THRUST_200600_302600_NS10device_ptrIlEEjNS1_19radix_merge_compareILb0ELb1ElNS0_19identity_decomposerEEEEE10hipError_tT0_T1_T2_jT3_P12ihipStream_tbPNSt15iterator_traitsISG_E10value_typeEPNSM_ISH_E10value_typeEPSI_NS1_7vsmem_tEENKUlT_SG_SH_SI_E_clIS7_S7_SB_S7_EESF_SV_SG_SH_SI_EUlSV_E1_NS1_11comp_targetILNS1_3genE0ELNS1_11target_archE4294967295ELNS1_3gpuE0ELNS1_3repE0EEENS1_36merge_oddeven_config_static_selectorELNS0_4arch9wavefront6targetE1EEEvSH_
    .private_segment_fixed_size: 0
    .sgpr_count:     4
    .sgpr_spill_count: 0
    .symbol:         _ZN7rocprim17ROCPRIM_400000_NS6detail17trampoline_kernelINS0_14default_configENS1_38merge_sort_block_merge_config_selectorIllEEZZNS1_27merge_sort_block_merge_implIS3_PlN6thrust23THRUST_200600_302600_NS10device_ptrIlEEjNS1_19radix_merge_compareILb0ELb1ElNS0_19identity_decomposerEEEEE10hipError_tT0_T1_T2_jT3_P12ihipStream_tbPNSt15iterator_traitsISG_E10value_typeEPNSM_ISH_E10value_typeEPSI_NS1_7vsmem_tEENKUlT_SG_SH_SI_E_clIS7_S7_SB_S7_EESF_SV_SG_SH_SI_EUlSV_E1_NS1_11comp_targetILNS1_3genE0ELNS1_11target_archE4294967295ELNS1_3gpuE0ELNS1_3repE0EEENS1_36merge_oddeven_config_static_selectorELNS0_4arch9wavefront6targetE1EEEvSH_.kd
    .uniform_work_group_size: 1
    .uses_dynamic_stack: false
    .vgpr_count:     0
    .vgpr_spill_count: 0
    .wavefront_size: 64
  - .agpr_count:     0
    .args:
      - .offset:         0
        .size:           48
        .value_kind:     by_value
    .group_segment_fixed_size: 0
    .kernarg_segment_align: 8
    .kernarg_segment_size: 48
    .language:       OpenCL C
    .language_version:
      - 2
      - 0
    .max_flat_workgroup_size: 256
    .name:           _ZN7rocprim17ROCPRIM_400000_NS6detail17trampoline_kernelINS0_14default_configENS1_38merge_sort_block_merge_config_selectorIllEEZZNS1_27merge_sort_block_merge_implIS3_PlN6thrust23THRUST_200600_302600_NS10device_ptrIlEEjNS1_19radix_merge_compareILb0ELb1ElNS0_19identity_decomposerEEEEE10hipError_tT0_T1_T2_jT3_P12ihipStream_tbPNSt15iterator_traitsISG_E10value_typeEPNSM_ISH_E10value_typeEPSI_NS1_7vsmem_tEENKUlT_SG_SH_SI_E_clIS7_S7_SB_S7_EESF_SV_SG_SH_SI_EUlSV_E1_NS1_11comp_targetILNS1_3genE10ELNS1_11target_archE1201ELNS1_3gpuE5ELNS1_3repE0EEENS1_36merge_oddeven_config_static_selectorELNS0_4arch9wavefront6targetE1EEEvSH_
    .private_segment_fixed_size: 0
    .sgpr_count:     4
    .sgpr_spill_count: 0
    .symbol:         _ZN7rocprim17ROCPRIM_400000_NS6detail17trampoline_kernelINS0_14default_configENS1_38merge_sort_block_merge_config_selectorIllEEZZNS1_27merge_sort_block_merge_implIS3_PlN6thrust23THRUST_200600_302600_NS10device_ptrIlEEjNS1_19radix_merge_compareILb0ELb1ElNS0_19identity_decomposerEEEEE10hipError_tT0_T1_T2_jT3_P12ihipStream_tbPNSt15iterator_traitsISG_E10value_typeEPNSM_ISH_E10value_typeEPSI_NS1_7vsmem_tEENKUlT_SG_SH_SI_E_clIS7_S7_SB_S7_EESF_SV_SG_SH_SI_EUlSV_E1_NS1_11comp_targetILNS1_3genE10ELNS1_11target_archE1201ELNS1_3gpuE5ELNS1_3repE0EEENS1_36merge_oddeven_config_static_selectorELNS0_4arch9wavefront6targetE1EEEvSH_.kd
    .uniform_work_group_size: 1
    .uses_dynamic_stack: false
    .vgpr_count:     0
    .vgpr_spill_count: 0
    .wavefront_size: 64
  - .agpr_count:     0
    .args:
      - .offset:         0
        .size:           48
        .value_kind:     by_value
    .group_segment_fixed_size: 0
    .kernarg_segment_align: 8
    .kernarg_segment_size: 48
    .language:       OpenCL C
    .language_version:
      - 2
      - 0
    .max_flat_workgroup_size: 256
    .name:           _ZN7rocprim17ROCPRIM_400000_NS6detail17trampoline_kernelINS0_14default_configENS1_38merge_sort_block_merge_config_selectorIllEEZZNS1_27merge_sort_block_merge_implIS3_PlN6thrust23THRUST_200600_302600_NS10device_ptrIlEEjNS1_19radix_merge_compareILb0ELb1ElNS0_19identity_decomposerEEEEE10hipError_tT0_T1_T2_jT3_P12ihipStream_tbPNSt15iterator_traitsISG_E10value_typeEPNSM_ISH_E10value_typeEPSI_NS1_7vsmem_tEENKUlT_SG_SH_SI_E_clIS7_S7_SB_S7_EESF_SV_SG_SH_SI_EUlSV_E1_NS1_11comp_targetILNS1_3genE5ELNS1_11target_archE942ELNS1_3gpuE9ELNS1_3repE0EEENS1_36merge_oddeven_config_static_selectorELNS0_4arch9wavefront6targetE1EEEvSH_
    .private_segment_fixed_size: 0
    .sgpr_count:     4
    .sgpr_spill_count: 0
    .symbol:         _ZN7rocprim17ROCPRIM_400000_NS6detail17trampoline_kernelINS0_14default_configENS1_38merge_sort_block_merge_config_selectorIllEEZZNS1_27merge_sort_block_merge_implIS3_PlN6thrust23THRUST_200600_302600_NS10device_ptrIlEEjNS1_19radix_merge_compareILb0ELb1ElNS0_19identity_decomposerEEEEE10hipError_tT0_T1_T2_jT3_P12ihipStream_tbPNSt15iterator_traitsISG_E10value_typeEPNSM_ISH_E10value_typeEPSI_NS1_7vsmem_tEENKUlT_SG_SH_SI_E_clIS7_S7_SB_S7_EESF_SV_SG_SH_SI_EUlSV_E1_NS1_11comp_targetILNS1_3genE5ELNS1_11target_archE942ELNS1_3gpuE9ELNS1_3repE0EEENS1_36merge_oddeven_config_static_selectorELNS0_4arch9wavefront6targetE1EEEvSH_.kd
    .uniform_work_group_size: 1
    .uses_dynamic_stack: false
    .vgpr_count:     0
    .vgpr_spill_count: 0
    .wavefront_size: 64
  - .agpr_count:     0
    .args:
      - .offset:         0
        .size:           48
        .value_kind:     by_value
    .group_segment_fixed_size: 0
    .kernarg_segment_align: 8
    .kernarg_segment_size: 48
    .language:       OpenCL C
    .language_version:
      - 2
      - 0
    .max_flat_workgroup_size: 256
    .name:           _ZN7rocprim17ROCPRIM_400000_NS6detail17trampoline_kernelINS0_14default_configENS1_38merge_sort_block_merge_config_selectorIllEEZZNS1_27merge_sort_block_merge_implIS3_PlN6thrust23THRUST_200600_302600_NS10device_ptrIlEEjNS1_19radix_merge_compareILb0ELb1ElNS0_19identity_decomposerEEEEE10hipError_tT0_T1_T2_jT3_P12ihipStream_tbPNSt15iterator_traitsISG_E10value_typeEPNSM_ISH_E10value_typeEPSI_NS1_7vsmem_tEENKUlT_SG_SH_SI_E_clIS7_S7_SB_S7_EESF_SV_SG_SH_SI_EUlSV_E1_NS1_11comp_targetILNS1_3genE4ELNS1_11target_archE910ELNS1_3gpuE8ELNS1_3repE0EEENS1_36merge_oddeven_config_static_selectorELNS0_4arch9wavefront6targetE1EEEvSH_
    .private_segment_fixed_size: 0
    .sgpr_count:     28
    .sgpr_spill_count: 0
    .symbol:         _ZN7rocprim17ROCPRIM_400000_NS6detail17trampoline_kernelINS0_14default_configENS1_38merge_sort_block_merge_config_selectorIllEEZZNS1_27merge_sort_block_merge_implIS3_PlN6thrust23THRUST_200600_302600_NS10device_ptrIlEEjNS1_19radix_merge_compareILb0ELb1ElNS0_19identity_decomposerEEEEE10hipError_tT0_T1_T2_jT3_P12ihipStream_tbPNSt15iterator_traitsISG_E10value_typeEPNSM_ISH_E10value_typeEPSI_NS1_7vsmem_tEENKUlT_SG_SH_SI_E_clIS7_S7_SB_S7_EESF_SV_SG_SH_SI_EUlSV_E1_NS1_11comp_targetILNS1_3genE4ELNS1_11target_archE910ELNS1_3gpuE8ELNS1_3repE0EEENS1_36merge_oddeven_config_static_selectorELNS0_4arch9wavefront6targetE1EEEvSH_.kd
    .uniform_work_group_size: 1
    .uses_dynamic_stack: false
    .vgpr_count:     16
    .vgpr_spill_count: 0
    .wavefront_size: 64
  - .agpr_count:     0
    .args:
      - .offset:         0
        .size:           48
        .value_kind:     by_value
    .group_segment_fixed_size: 0
    .kernarg_segment_align: 8
    .kernarg_segment_size: 48
    .language:       OpenCL C
    .language_version:
      - 2
      - 0
    .max_flat_workgroup_size: 256
    .name:           _ZN7rocprim17ROCPRIM_400000_NS6detail17trampoline_kernelINS0_14default_configENS1_38merge_sort_block_merge_config_selectorIllEEZZNS1_27merge_sort_block_merge_implIS3_PlN6thrust23THRUST_200600_302600_NS10device_ptrIlEEjNS1_19radix_merge_compareILb0ELb1ElNS0_19identity_decomposerEEEEE10hipError_tT0_T1_T2_jT3_P12ihipStream_tbPNSt15iterator_traitsISG_E10value_typeEPNSM_ISH_E10value_typeEPSI_NS1_7vsmem_tEENKUlT_SG_SH_SI_E_clIS7_S7_SB_S7_EESF_SV_SG_SH_SI_EUlSV_E1_NS1_11comp_targetILNS1_3genE3ELNS1_11target_archE908ELNS1_3gpuE7ELNS1_3repE0EEENS1_36merge_oddeven_config_static_selectorELNS0_4arch9wavefront6targetE1EEEvSH_
    .private_segment_fixed_size: 0
    .sgpr_count:     4
    .sgpr_spill_count: 0
    .symbol:         _ZN7rocprim17ROCPRIM_400000_NS6detail17trampoline_kernelINS0_14default_configENS1_38merge_sort_block_merge_config_selectorIllEEZZNS1_27merge_sort_block_merge_implIS3_PlN6thrust23THRUST_200600_302600_NS10device_ptrIlEEjNS1_19radix_merge_compareILb0ELb1ElNS0_19identity_decomposerEEEEE10hipError_tT0_T1_T2_jT3_P12ihipStream_tbPNSt15iterator_traitsISG_E10value_typeEPNSM_ISH_E10value_typeEPSI_NS1_7vsmem_tEENKUlT_SG_SH_SI_E_clIS7_S7_SB_S7_EESF_SV_SG_SH_SI_EUlSV_E1_NS1_11comp_targetILNS1_3genE3ELNS1_11target_archE908ELNS1_3gpuE7ELNS1_3repE0EEENS1_36merge_oddeven_config_static_selectorELNS0_4arch9wavefront6targetE1EEEvSH_.kd
    .uniform_work_group_size: 1
    .uses_dynamic_stack: false
    .vgpr_count:     0
    .vgpr_spill_count: 0
    .wavefront_size: 64
  - .agpr_count:     0
    .args:
      - .offset:         0
        .size:           48
        .value_kind:     by_value
    .group_segment_fixed_size: 0
    .kernarg_segment_align: 8
    .kernarg_segment_size: 48
    .language:       OpenCL C
    .language_version:
      - 2
      - 0
    .max_flat_workgroup_size: 256
    .name:           _ZN7rocprim17ROCPRIM_400000_NS6detail17trampoline_kernelINS0_14default_configENS1_38merge_sort_block_merge_config_selectorIllEEZZNS1_27merge_sort_block_merge_implIS3_PlN6thrust23THRUST_200600_302600_NS10device_ptrIlEEjNS1_19radix_merge_compareILb0ELb1ElNS0_19identity_decomposerEEEEE10hipError_tT0_T1_T2_jT3_P12ihipStream_tbPNSt15iterator_traitsISG_E10value_typeEPNSM_ISH_E10value_typeEPSI_NS1_7vsmem_tEENKUlT_SG_SH_SI_E_clIS7_S7_SB_S7_EESF_SV_SG_SH_SI_EUlSV_E1_NS1_11comp_targetILNS1_3genE2ELNS1_11target_archE906ELNS1_3gpuE6ELNS1_3repE0EEENS1_36merge_oddeven_config_static_selectorELNS0_4arch9wavefront6targetE1EEEvSH_
    .private_segment_fixed_size: 0
    .sgpr_count:     4
    .sgpr_spill_count: 0
    .symbol:         _ZN7rocprim17ROCPRIM_400000_NS6detail17trampoline_kernelINS0_14default_configENS1_38merge_sort_block_merge_config_selectorIllEEZZNS1_27merge_sort_block_merge_implIS3_PlN6thrust23THRUST_200600_302600_NS10device_ptrIlEEjNS1_19radix_merge_compareILb0ELb1ElNS0_19identity_decomposerEEEEE10hipError_tT0_T1_T2_jT3_P12ihipStream_tbPNSt15iterator_traitsISG_E10value_typeEPNSM_ISH_E10value_typeEPSI_NS1_7vsmem_tEENKUlT_SG_SH_SI_E_clIS7_S7_SB_S7_EESF_SV_SG_SH_SI_EUlSV_E1_NS1_11comp_targetILNS1_3genE2ELNS1_11target_archE906ELNS1_3gpuE6ELNS1_3repE0EEENS1_36merge_oddeven_config_static_selectorELNS0_4arch9wavefront6targetE1EEEvSH_.kd
    .uniform_work_group_size: 1
    .uses_dynamic_stack: false
    .vgpr_count:     0
    .vgpr_spill_count: 0
    .wavefront_size: 64
  - .agpr_count:     0
    .args:
      - .offset:         0
        .size:           48
        .value_kind:     by_value
    .group_segment_fixed_size: 0
    .kernarg_segment_align: 8
    .kernarg_segment_size: 48
    .language:       OpenCL C
    .language_version:
      - 2
      - 0
    .max_flat_workgroup_size: 256
    .name:           _ZN7rocprim17ROCPRIM_400000_NS6detail17trampoline_kernelINS0_14default_configENS1_38merge_sort_block_merge_config_selectorIllEEZZNS1_27merge_sort_block_merge_implIS3_PlN6thrust23THRUST_200600_302600_NS10device_ptrIlEEjNS1_19radix_merge_compareILb0ELb1ElNS0_19identity_decomposerEEEEE10hipError_tT0_T1_T2_jT3_P12ihipStream_tbPNSt15iterator_traitsISG_E10value_typeEPNSM_ISH_E10value_typeEPSI_NS1_7vsmem_tEENKUlT_SG_SH_SI_E_clIS7_S7_SB_S7_EESF_SV_SG_SH_SI_EUlSV_E1_NS1_11comp_targetILNS1_3genE9ELNS1_11target_archE1100ELNS1_3gpuE3ELNS1_3repE0EEENS1_36merge_oddeven_config_static_selectorELNS0_4arch9wavefront6targetE1EEEvSH_
    .private_segment_fixed_size: 0
    .sgpr_count:     4
    .sgpr_spill_count: 0
    .symbol:         _ZN7rocprim17ROCPRIM_400000_NS6detail17trampoline_kernelINS0_14default_configENS1_38merge_sort_block_merge_config_selectorIllEEZZNS1_27merge_sort_block_merge_implIS3_PlN6thrust23THRUST_200600_302600_NS10device_ptrIlEEjNS1_19radix_merge_compareILb0ELb1ElNS0_19identity_decomposerEEEEE10hipError_tT0_T1_T2_jT3_P12ihipStream_tbPNSt15iterator_traitsISG_E10value_typeEPNSM_ISH_E10value_typeEPSI_NS1_7vsmem_tEENKUlT_SG_SH_SI_E_clIS7_S7_SB_S7_EESF_SV_SG_SH_SI_EUlSV_E1_NS1_11comp_targetILNS1_3genE9ELNS1_11target_archE1100ELNS1_3gpuE3ELNS1_3repE0EEENS1_36merge_oddeven_config_static_selectorELNS0_4arch9wavefront6targetE1EEEvSH_.kd
    .uniform_work_group_size: 1
    .uses_dynamic_stack: false
    .vgpr_count:     0
    .vgpr_spill_count: 0
    .wavefront_size: 64
  - .agpr_count:     0
    .args:
      - .offset:         0
        .size:           48
        .value_kind:     by_value
    .group_segment_fixed_size: 0
    .kernarg_segment_align: 8
    .kernarg_segment_size: 48
    .language:       OpenCL C
    .language_version:
      - 2
      - 0
    .max_flat_workgroup_size: 256
    .name:           _ZN7rocprim17ROCPRIM_400000_NS6detail17trampoline_kernelINS0_14default_configENS1_38merge_sort_block_merge_config_selectorIllEEZZNS1_27merge_sort_block_merge_implIS3_PlN6thrust23THRUST_200600_302600_NS10device_ptrIlEEjNS1_19radix_merge_compareILb0ELb1ElNS0_19identity_decomposerEEEEE10hipError_tT0_T1_T2_jT3_P12ihipStream_tbPNSt15iterator_traitsISG_E10value_typeEPNSM_ISH_E10value_typeEPSI_NS1_7vsmem_tEENKUlT_SG_SH_SI_E_clIS7_S7_SB_S7_EESF_SV_SG_SH_SI_EUlSV_E1_NS1_11comp_targetILNS1_3genE8ELNS1_11target_archE1030ELNS1_3gpuE2ELNS1_3repE0EEENS1_36merge_oddeven_config_static_selectorELNS0_4arch9wavefront6targetE1EEEvSH_
    .private_segment_fixed_size: 0
    .sgpr_count:     4
    .sgpr_spill_count: 0
    .symbol:         _ZN7rocprim17ROCPRIM_400000_NS6detail17trampoline_kernelINS0_14default_configENS1_38merge_sort_block_merge_config_selectorIllEEZZNS1_27merge_sort_block_merge_implIS3_PlN6thrust23THRUST_200600_302600_NS10device_ptrIlEEjNS1_19radix_merge_compareILb0ELb1ElNS0_19identity_decomposerEEEEE10hipError_tT0_T1_T2_jT3_P12ihipStream_tbPNSt15iterator_traitsISG_E10value_typeEPNSM_ISH_E10value_typeEPSI_NS1_7vsmem_tEENKUlT_SG_SH_SI_E_clIS7_S7_SB_S7_EESF_SV_SG_SH_SI_EUlSV_E1_NS1_11comp_targetILNS1_3genE8ELNS1_11target_archE1030ELNS1_3gpuE2ELNS1_3repE0EEENS1_36merge_oddeven_config_static_selectorELNS0_4arch9wavefront6targetE1EEEvSH_.kd
    .uniform_work_group_size: 1
    .uses_dynamic_stack: false
    .vgpr_count:     0
    .vgpr_spill_count: 0
    .wavefront_size: 64
  - .agpr_count:     0
    .args:
      - .offset:         0
        .size:           40
        .value_kind:     by_value
    .group_segment_fixed_size: 0
    .kernarg_segment_align: 8
    .kernarg_segment_size: 40
    .language:       OpenCL C
    .language_version:
      - 2
      - 0
    .max_flat_workgroup_size: 512
    .name:           _ZN7rocprim17ROCPRIM_400000_NS6detail17trampoline_kernelINS0_14default_configENS1_35radix_sort_onesweep_config_selectorIllEEZNS1_34radix_sort_onesweep_global_offsetsIS3_Lb0EPlN6thrust23THRUST_200600_302600_NS10device_ptrIlEEjNS0_19identity_decomposerEEE10hipError_tT1_T2_PT3_SG_jT4_jjP12ihipStream_tbEUlT_E_NS1_11comp_targetILNS1_3genE0ELNS1_11target_archE4294967295ELNS1_3gpuE0ELNS1_3repE0EEENS1_52radix_sort_onesweep_histogram_config_static_selectorELNS0_4arch9wavefront6targetE1EEEvSE_
    .private_segment_fixed_size: 0
    .sgpr_count:     4
    .sgpr_spill_count: 0
    .symbol:         _ZN7rocprim17ROCPRIM_400000_NS6detail17trampoline_kernelINS0_14default_configENS1_35radix_sort_onesweep_config_selectorIllEEZNS1_34radix_sort_onesweep_global_offsetsIS3_Lb0EPlN6thrust23THRUST_200600_302600_NS10device_ptrIlEEjNS0_19identity_decomposerEEE10hipError_tT1_T2_PT3_SG_jT4_jjP12ihipStream_tbEUlT_E_NS1_11comp_targetILNS1_3genE0ELNS1_11target_archE4294967295ELNS1_3gpuE0ELNS1_3repE0EEENS1_52radix_sort_onesweep_histogram_config_static_selectorELNS0_4arch9wavefront6targetE1EEEvSE_.kd
    .uniform_work_group_size: 1
    .uses_dynamic_stack: false
    .vgpr_count:     0
    .vgpr_spill_count: 0
    .wavefront_size: 64
  - .agpr_count:     0
    .args:
      - .offset:         0
        .size:           40
        .value_kind:     by_value
    .group_segment_fixed_size: 0
    .kernarg_segment_align: 8
    .kernarg_segment_size: 40
    .language:       OpenCL C
    .language_version:
      - 2
      - 0
    .max_flat_workgroup_size: 1024
    .name:           _ZN7rocprim17ROCPRIM_400000_NS6detail17trampoline_kernelINS0_14default_configENS1_35radix_sort_onesweep_config_selectorIllEEZNS1_34radix_sort_onesweep_global_offsetsIS3_Lb0EPlN6thrust23THRUST_200600_302600_NS10device_ptrIlEEjNS0_19identity_decomposerEEE10hipError_tT1_T2_PT3_SG_jT4_jjP12ihipStream_tbEUlT_E_NS1_11comp_targetILNS1_3genE6ELNS1_11target_archE950ELNS1_3gpuE13ELNS1_3repE0EEENS1_52radix_sort_onesweep_histogram_config_static_selectorELNS0_4arch9wavefront6targetE1EEEvSE_
    .private_segment_fixed_size: 0
    .sgpr_count:     4
    .sgpr_spill_count: 0
    .symbol:         _ZN7rocprim17ROCPRIM_400000_NS6detail17trampoline_kernelINS0_14default_configENS1_35radix_sort_onesweep_config_selectorIllEEZNS1_34radix_sort_onesweep_global_offsetsIS3_Lb0EPlN6thrust23THRUST_200600_302600_NS10device_ptrIlEEjNS0_19identity_decomposerEEE10hipError_tT1_T2_PT3_SG_jT4_jjP12ihipStream_tbEUlT_E_NS1_11comp_targetILNS1_3genE6ELNS1_11target_archE950ELNS1_3gpuE13ELNS1_3repE0EEENS1_52radix_sort_onesweep_histogram_config_static_selectorELNS0_4arch9wavefront6targetE1EEEvSE_.kd
    .uniform_work_group_size: 1
    .uses_dynamic_stack: false
    .vgpr_count:     0
    .vgpr_spill_count: 0
    .wavefront_size: 64
  - .agpr_count:     0
    .args:
      - .offset:         0
        .size:           40
        .value_kind:     by_value
    .group_segment_fixed_size: 0
    .kernarg_segment_align: 8
    .kernarg_segment_size: 40
    .language:       OpenCL C
    .language_version:
      - 2
      - 0
    .max_flat_workgroup_size: 1024
    .name:           _ZN7rocprim17ROCPRIM_400000_NS6detail17trampoline_kernelINS0_14default_configENS1_35radix_sort_onesweep_config_selectorIllEEZNS1_34radix_sort_onesweep_global_offsetsIS3_Lb0EPlN6thrust23THRUST_200600_302600_NS10device_ptrIlEEjNS0_19identity_decomposerEEE10hipError_tT1_T2_PT3_SG_jT4_jjP12ihipStream_tbEUlT_E_NS1_11comp_targetILNS1_3genE5ELNS1_11target_archE942ELNS1_3gpuE9ELNS1_3repE0EEENS1_52radix_sort_onesweep_histogram_config_static_selectorELNS0_4arch9wavefront6targetE1EEEvSE_
    .private_segment_fixed_size: 0
    .sgpr_count:     4
    .sgpr_spill_count: 0
    .symbol:         _ZN7rocprim17ROCPRIM_400000_NS6detail17trampoline_kernelINS0_14default_configENS1_35radix_sort_onesweep_config_selectorIllEEZNS1_34radix_sort_onesweep_global_offsetsIS3_Lb0EPlN6thrust23THRUST_200600_302600_NS10device_ptrIlEEjNS0_19identity_decomposerEEE10hipError_tT1_T2_PT3_SG_jT4_jjP12ihipStream_tbEUlT_E_NS1_11comp_targetILNS1_3genE5ELNS1_11target_archE942ELNS1_3gpuE9ELNS1_3repE0EEENS1_52radix_sort_onesweep_histogram_config_static_selectorELNS0_4arch9wavefront6targetE1EEEvSE_.kd
    .uniform_work_group_size: 1
    .uses_dynamic_stack: false
    .vgpr_count:     0
    .vgpr_spill_count: 0
    .wavefront_size: 64
  - .agpr_count:     0
    .args:
      - .offset:         0
        .size:           40
        .value_kind:     by_value
    .group_segment_fixed_size: 0
    .kernarg_segment_align: 8
    .kernarg_segment_size: 40
    .language:       OpenCL C
    .language_version:
      - 2
      - 0
    .max_flat_workgroup_size: 512
    .name:           _ZN7rocprim17ROCPRIM_400000_NS6detail17trampoline_kernelINS0_14default_configENS1_35radix_sort_onesweep_config_selectorIllEEZNS1_34radix_sort_onesweep_global_offsetsIS3_Lb0EPlN6thrust23THRUST_200600_302600_NS10device_ptrIlEEjNS0_19identity_decomposerEEE10hipError_tT1_T2_PT3_SG_jT4_jjP12ihipStream_tbEUlT_E_NS1_11comp_targetILNS1_3genE2ELNS1_11target_archE906ELNS1_3gpuE6ELNS1_3repE0EEENS1_52radix_sort_onesweep_histogram_config_static_selectorELNS0_4arch9wavefront6targetE1EEEvSE_
    .private_segment_fixed_size: 0
    .sgpr_count:     4
    .sgpr_spill_count: 0
    .symbol:         _ZN7rocprim17ROCPRIM_400000_NS6detail17trampoline_kernelINS0_14default_configENS1_35radix_sort_onesweep_config_selectorIllEEZNS1_34radix_sort_onesweep_global_offsetsIS3_Lb0EPlN6thrust23THRUST_200600_302600_NS10device_ptrIlEEjNS0_19identity_decomposerEEE10hipError_tT1_T2_PT3_SG_jT4_jjP12ihipStream_tbEUlT_E_NS1_11comp_targetILNS1_3genE2ELNS1_11target_archE906ELNS1_3gpuE6ELNS1_3repE0EEENS1_52radix_sort_onesweep_histogram_config_static_selectorELNS0_4arch9wavefront6targetE1EEEvSE_.kd
    .uniform_work_group_size: 1
    .uses_dynamic_stack: false
    .vgpr_count:     0
    .vgpr_spill_count: 0
    .wavefront_size: 64
  - .agpr_count:     0
    .args:
      - .offset:         0
        .size:           40
        .value_kind:     by_value
    .group_segment_fixed_size: 32768
    .kernarg_segment_align: 8
    .kernarg_segment_size: 40
    .language:       OpenCL C
    .language_version:
      - 2
      - 0
    .max_flat_workgroup_size: 1024
    .name:           _ZN7rocprim17ROCPRIM_400000_NS6detail17trampoline_kernelINS0_14default_configENS1_35radix_sort_onesweep_config_selectorIllEEZNS1_34radix_sort_onesweep_global_offsetsIS3_Lb0EPlN6thrust23THRUST_200600_302600_NS10device_ptrIlEEjNS0_19identity_decomposerEEE10hipError_tT1_T2_PT3_SG_jT4_jjP12ihipStream_tbEUlT_E_NS1_11comp_targetILNS1_3genE4ELNS1_11target_archE910ELNS1_3gpuE8ELNS1_3repE0EEENS1_52radix_sort_onesweep_histogram_config_static_selectorELNS0_4arch9wavefront6targetE1EEEvSE_
    .private_segment_fixed_size: 0
    .sgpr_count:     23
    .sgpr_spill_count: 0
    .symbol:         _ZN7rocprim17ROCPRIM_400000_NS6detail17trampoline_kernelINS0_14default_configENS1_35radix_sort_onesweep_config_selectorIllEEZNS1_34radix_sort_onesweep_global_offsetsIS3_Lb0EPlN6thrust23THRUST_200600_302600_NS10device_ptrIlEEjNS0_19identity_decomposerEEE10hipError_tT1_T2_PT3_SG_jT4_jjP12ihipStream_tbEUlT_E_NS1_11comp_targetILNS1_3genE4ELNS1_11target_archE910ELNS1_3gpuE8ELNS1_3repE0EEENS1_52radix_sort_onesweep_histogram_config_static_selectorELNS0_4arch9wavefront6targetE1EEEvSE_.kd
    .uniform_work_group_size: 1
    .uses_dynamic_stack: false
    .vgpr_count:     26
    .vgpr_spill_count: 0
    .wavefront_size: 64
  - .agpr_count:     0
    .args:
      - .offset:         0
        .size:           40
        .value_kind:     by_value
    .group_segment_fixed_size: 0
    .kernarg_segment_align: 8
    .kernarg_segment_size: 40
    .language:       OpenCL C
    .language_version:
      - 2
      - 0
    .max_flat_workgroup_size: 512
    .name:           _ZN7rocprim17ROCPRIM_400000_NS6detail17trampoline_kernelINS0_14default_configENS1_35radix_sort_onesweep_config_selectorIllEEZNS1_34radix_sort_onesweep_global_offsetsIS3_Lb0EPlN6thrust23THRUST_200600_302600_NS10device_ptrIlEEjNS0_19identity_decomposerEEE10hipError_tT1_T2_PT3_SG_jT4_jjP12ihipStream_tbEUlT_E_NS1_11comp_targetILNS1_3genE3ELNS1_11target_archE908ELNS1_3gpuE7ELNS1_3repE0EEENS1_52radix_sort_onesweep_histogram_config_static_selectorELNS0_4arch9wavefront6targetE1EEEvSE_
    .private_segment_fixed_size: 0
    .sgpr_count:     4
    .sgpr_spill_count: 0
    .symbol:         _ZN7rocprim17ROCPRIM_400000_NS6detail17trampoline_kernelINS0_14default_configENS1_35radix_sort_onesweep_config_selectorIllEEZNS1_34radix_sort_onesweep_global_offsetsIS3_Lb0EPlN6thrust23THRUST_200600_302600_NS10device_ptrIlEEjNS0_19identity_decomposerEEE10hipError_tT1_T2_PT3_SG_jT4_jjP12ihipStream_tbEUlT_E_NS1_11comp_targetILNS1_3genE3ELNS1_11target_archE908ELNS1_3gpuE7ELNS1_3repE0EEENS1_52radix_sort_onesweep_histogram_config_static_selectorELNS0_4arch9wavefront6targetE1EEEvSE_.kd
    .uniform_work_group_size: 1
    .uses_dynamic_stack: false
    .vgpr_count:     0
    .vgpr_spill_count: 0
    .wavefront_size: 64
  - .agpr_count:     0
    .args:
      - .offset:         0
        .size:           40
        .value_kind:     by_value
    .group_segment_fixed_size: 0
    .kernarg_segment_align: 8
    .kernarg_segment_size: 40
    .language:       OpenCL C
    .language_version:
      - 2
      - 0
    .max_flat_workgroup_size: 1024
    .name:           _ZN7rocprim17ROCPRIM_400000_NS6detail17trampoline_kernelINS0_14default_configENS1_35radix_sort_onesweep_config_selectorIllEEZNS1_34radix_sort_onesweep_global_offsetsIS3_Lb0EPlN6thrust23THRUST_200600_302600_NS10device_ptrIlEEjNS0_19identity_decomposerEEE10hipError_tT1_T2_PT3_SG_jT4_jjP12ihipStream_tbEUlT_E_NS1_11comp_targetILNS1_3genE10ELNS1_11target_archE1201ELNS1_3gpuE5ELNS1_3repE0EEENS1_52radix_sort_onesweep_histogram_config_static_selectorELNS0_4arch9wavefront6targetE1EEEvSE_
    .private_segment_fixed_size: 0
    .sgpr_count:     4
    .sgpr_spill_count: 0
    .symbol:         _ZN7rocprim17ROCPRIM_400000_NS6detail17trampoline_kernelINS0_14default_configENS1_35radix_sort_onesweep_config_selectorIllEEZNS1_34radix_sort_onesweep_global_offsetsIS3_Lb0EPlN6thrust23THRUST_200600_302600_NS10device_ptrIlEEjNS0_19identity_decomposerEEE10hipError_tT1_T2_PT3_SG_jT4_jjP12ihipStream_tbEUlT_E_NS1_11comp_targetILNS1_3genE10ELNS1_11target_archE1201ELNS1_3gpuE5ELNS1_3repE0EEENS1_52radix_sort_onesweep_histogram_config_static_selectorELNS0_4arch9wavefront6targetE1EEEvSE_.kd
    .uniform_work_group_size: 1
    .uses_dynamic_stack: false
    .vgpr_count:     0
    .vgpr_spill_count: 0
    .wavefront_size: 64
  - .agpr_count:     0
    .args:
      - .offset:         0
        .size:           40
        .value_kind:     by_value
    .group_segment_fixed_size: 0
    .kernarg_segment_align: 8
    .kernarg_segment_size: 40
    .language:       OpenCL C
    .language_version:
      - 2
      - 0
    .max_flat_workgroup_size: 1024
    .name:           _ZN7rocprim17ROCPRIM_400000_NS6detail17trampoline_kernelINS0_14default_configENS1_35radix_sort_onesweep_config_selectorIllEEZNS1_34radix_sort_onesweep_global_offsetsIS3_Lb0EPlN6thrust23THRUST_200600_302600_NS10device_ptrIlEEjNS0_19identity_decomposerEEE10hipError_tT1_T2_PT3_SG_jT4_jjP12ihipStream_tbEUlT_E_NS1_11comp_targetILNS1_3genE9ELNS1_11target_archE1100ELNS1_3gpuE3ELNS1_3repE0EEENS1_52radix_sort_onesweep_histogram_config_static_selectorELNS0_4arch9wavefront6targetE1EEEvSE_
    .private_segment_fixed_size: 0
    .sgpr_count:     4
    .sgpr_spill_count: 0
    .symbol:         _ZN7rocprim17ROCPRIM_400000_NS6detail17trampoline_kernelINS0_14default_configENS1_35radix_sort_onesweep_config_selectorIllEEZNS1_34radix_sort_onesweep_global_offsetsIS3_Lb0EPlN6thrust23THRUST_200600_302600_NS10device_ptrIlEEjNS0_19identity_decomposerEEE10hipError_tT1_T2_PT3_SG_jT4_jjP12ihipStream_tbEUlT_E_NS1_11comp_targetILNS1_3genE9ELNS1_11target_archE1100ELNS1_3gpuE3ELNS1_3repE0EEENS1_52radix_sort_onesweep_histogram_config_static_selectorELNS0_4arch9wavefront6targetE1EEEvSE_.kd
    .uniform_work_group_size: 1
    .uses_dynamic_stack: false
    .vgpr_count:     0
    .vgpr_spill_count: 0
    .wavefront_size: 64
  - .agpr_count:     0
    .args:
      - .offset:         0
        .size:           40
        .value_kind:     by_value
    .group_segment_fixed_size: 0
    .kernarg_segment_align: 8
    .kernarg_segment_size: 40
    .language:       OpenCL C
    .language_version:
      - 2
      - 0
    .max_flat_workgroup_size: 1024
    .name:           _ZN7rocprim17ROCPRIM_400000_NS6detail17trampoline_kernelINS0_14default_configENS1_35radix_sort_onesweep_config_selectorIllEEZNS1_34radix_sort_onesweep_global_offsetsIS3_Lb0EPlN6thrust23THRUST_200600_302600_NS10device_ptrIlEEjNS0_19identity_decomposerEEE10hipError_tT1_T2_PT3_SG_jT4_jjP12ihipStream_tbEUlT_E_NS1_11comp_targetILNS1_3genE8ELNS1_11target_archE1030ELNS1_3gpuE2ELNS1_3repE0EEENS1_52radix_sort_onesweep_histogram_config_static_selectorELNS0_4arch9wavefront6targetE1EEEvSE_
    .private_segment_fixed_size: 0
    .sgpr_count:     4
    .sgpr_spill_count: 0
    .symbol:         _ZN7rocprim17ROCPRIM_400000_NS6detail17trampoline_kernelINS0_14default_configENS1_35radix_sort_onesweep_config_selectorIllEEZNS1_34radix_sort_onesweep_global_offsetsIS3_Lb0EPlN6thrust23THRUST_200600_302600_NS10device_ptrIlEEjNS0_19identity_decomposerEEE10hipError_tT1_T2_PT3_SG_jT4_jjP12ihipStream_tbEUlT_E_NS1_11comp_targetILNS1_3genE8ELNS1_11target_archE1030ELNS1_3gpuE2ELNS1_3repE0EEENS1_52radix_sort_onesweep_histogram_config_static_selectorELNS0_4arch9wavefront6targetE1EEEvSE_.kd
    .uniform_work_group_size: 1
    .uses_dynamic_stack: false
    .vgpr_count:     0
    .vgpr_spill_count: 0
    .wavefront_size: 64
  - .agpr_count:     0
    .args:
      - .address_space:  global
        .offset:         0
        .size:           8
        .value_kind:     global_buffer
    .group_segment_fixed_size: 0
    .kernarg_segment_align: 8
    .kernarg_segment_size: 8
    .language:       OpenCL C
    .language_version:
      - 2
      - 0
    .max_flat_workgroup_size: 512
    .name:           _ZN7rocprim17ROCPRIM_400000_NS6detail17trampoline_kernelINS0_14default_configENS1_35radix_sort_onesweep_config_selectorIllEEZNS1_34radix_sort_onesweep_global_offsetsIS3_Lb0EPlN6thrust23THRUST_200600_302600_NS10device_ptrIlEEjNS0_19identity_decomposerEEE10hipError_tT1_T2_PT3_SG_jT4_jjP12ihipStream_tbEUlT_E0_NS1_11comp_targetILNS1_3genE0ELNS1_11target_archE4294967295ELNS1_3gpuE0ELNS1_3repE0EEENS1_52radix_sort_onesweep_histogram_config_static_selectorELNS0_4arch9wavefront6targetE1EEEvSE_
    .private_segment_fixed_size: 0
    .sgpr_count:     4
    .sgpr_spill_count: 0
    .symbol:         _ZN7rocprim17ROCPRIM_400000_NS6detail17trampoline_kernelINS0_14default_configENS1_35radix_sort_onesweep_config_selectorIllEEZNS1_34radix_sort_onesweep_global_offsetsIS3_Lb0EPlN6thrust23THRUST_200600_302600_NS10device_ptrIlEEjNS0_19identity_decomposerEEE10hipError_tT1_T2_PT3_SG_jT4_jjP12ihipStream_tbEUlT_E0_NS1_11comp_targetILNS1_3genE0ELNS1_11target_archE4294967295ELNS1_3gpuE0ELNS1_3repE0EEENS1_52radix_sort_onesweep_histogram_config_static_selectorELNS0_4arch9wavefront6targetE1EEEvSE_.kd
    .uniform_work_group_size: 1
    .uses_dynamic_stack: false
    .vgpr_count:     0
    .vgpr_spill_count: 0
    .wavefront_size: 64
  - .agpr_count:     0
    .args:
      - .address_space:  global
        .offset:         0
        .size:           8
        .value_kind:     global_buffer
    .group_segment_fixed_size: 0
    .kernarg_segment_align: 8
    .kernarg_segment_size: 8
    .language:       OpenCL C
    .language_version:
      - 2
      - 0
    .max_flat_workgroup_size: 1024
    .name:           _ZN7rocprim17ROCPRIM_400000_NS6detail17trampoline_kernelINS0_14default_configENS1_35radix_sort_onesweep_config_selectorIllEEZNS1_34radix_sort_onesweep_global_offsetsIS3_Lb0EPlN6thrust23THRUST_200600_302600_NS10device_ptrIlEEjNS0_19identity_decomposerEEE10hipError_tT1_T2_PT3_SG_jT4_jjP12ihipStream_tbEUlT_E0_NS1_11comp_targetILNS1_3genE6ELNS1_11target_archE950ELNS1_3gpuE13ELNS1_3repE0EEENS1_52radix_sort_onesweep_histogram_config_static_selectorELNS0_4arch9wavefront6targetE1EEEvSE_
    .private_segment_fixed_size: 0
    .sgpr_count:     4
    .sgpr_spill_count: 0
    .symbol:         _ZN7rocprim17ROCPRIM_400000_NS6detail17trampoline_kernelINS0_14default_configENS1_35radix_sort_onesweep_config_selectorIllEEZNS1_34radix_sort_onesweep_global_offsetsIS3_Lb0EPlN6thrust23THRUST_200600_302600_NS10device_ptrIlEEjNS0_19identity_decomposerEEE10hipError_tT1_T2_PT3_SG_jT4_jjP12ihipStream_tbEUlT_E0_NS1_11comp_targetILNS1_3genE6ELNS1_11target_archE950ELNS1_3gpuE13ELNS1_3repE0EEENS1_52radix_sort_onesweep_histogram_config_static_selectorELNS0_4arch9wavefront6targetE1EEEvSE_.kd
    .uniform_work_group_size: 1
    .uses_dynamic_stack: false
    .vgpr_count:     0
    .vgpr_spill_count: 0
    .wavefront_size: 64
  - .agpr_count:     0
    .args:
      - .address_space:  global
        .offset:         0
        .size:           8
        .value_kind:     global_buffer
    .group_segment_fixed_size: 0
    .kernarg_segment_align: 8
    .kernarg_segment_size: 8
    .language:       OpenCL C
    .language_version:
      - 2
      - 0
    .max_flat_workgroup_size: 1024
    .name:           _ZN7rocprim17ROCPRIM_400000_NS6detail17trampoline_kernelINS0_14default_configENS1_35radix_sort_onesweep_config_selectorIllEEZNS1_34radix_sort_onesweep_global_offsetsIS3_Lb0EPlN6thrust23THRUST_200600_302600_NS10device_ptrIlEEjNS0_19identity_decomposerEEE10hipError_tT1_T2_PT3_SG_jT4_jjP12ihipStream_tbEUlT_E0_NS1_11comp_targetILNS1_3genE5ELNS1_11target_archE942ELNS1_3gpuE9ELNS1_3repE0EEENS1_52radix_sort_onesweep_histogram_config_static_selectorELNS0_4arch9wavefront6targetE1EEEvSE_
    .private_segment_fixed_size: 0
    .sgpr_count:     4
    .sgpr_spill_count: 0
    .symbol:         _ZN7rocprim17ROCPRIM_400000_NS6detail17trampoline_kernelINS0_14default_configENS1_35radix_sort_onesweep_config_selectorIllEEZNS1_34radix_sort_onesweep_global_offsetsIS3_Lb0EPlN6thrust23THRUST_200600_302600_NS10device_ptrIlEEjNS0_19identity_decomposerEEE10hipError_tT1_T2_PT3_SG_jT4_jjP12ihipStream_tbEUlT_E0_NS1_11comp_targetILNS1_3genE5ELNS1_11target_archE942ELNS1_3gpuE9ELNS1_3repE0EEENS1_52radix_sort_onesweep_histogram_config_static_selectorELNS0_4arch9wavefront6targetE1EEEvSE_.kd
    .uniform_work_group_size: 1
    .uses_dynamic_stack: false
    .vgpr_count:     0
    .vgpr_spill_count: 0
    .wavefront_size: 64
  - .agpr_count:     0
    .args:
      - .address_space:  global
        .offset:         0
        .size:           8
        .value_kind:     global_buffer
    .group_segment_fixed_size: 0
    .kernarg_segment_align: 8
    .kernarg_segment_size: 8
    .language:       OpenCL C
    .language_version:
      - 2
      - 0
    .max_flat_workgroup_size: 512
    .name:           _ZN7rocprim17ROCPRIM_400000_NS6detail17trampoline_kernelINS0_14default_configENS1_35radix_sort_onesweep_config_selectorIllEEZNS1_34radix_sort_onesweep_global_offsetsIS3_Lb0EPlN6thrust23THRUST_200600_302600_NS10device_ptrIlEEjNS0_19identity_decomposerEEE10hipError_tT1_T2_PT3_SG_jT4_jjP12ihipStream_tbEUlT_E0_NS1_11comp_targetILNS1_3genE2ELNS1_11target_archE906ELNS1_3gpuE6ELNS1_3repE0EEENS1_52radix_sort_onesweep_histogram_config_static_selectorELNS0_4arch9wavefront6targetE1EEEvSE_
    .private_segment_fixed_size: 0
    .sgpr_count:     4
    .sgpr_spill_count: 0
    .symbol:         _ZN7rocprim17ROCPRIM_400000_NS6detail17trampoline_kernelINS0_14default_configENS1_35radix_sort_onesweep_config_selectorIllEEZNS1_34radix_sort_onesweep_global_offsetsIS3_Lb0EPlN6thrust23THRUST_200600_302600_NS10device_ptrIlEEjNS0_19identity_decomposerEEE10hipError_tT1_T2_PT3_SG_jT4_jjP12ihipStream_tbEUlT_E0_NS1_11comp_targetILNS1_3genE2ELNS1_11target_archE906ELNS1_3gpuE6ELNS1_3repE0EEENS1_52radix_sort_onesweep_histogram_config_static_selectorELNS0_4arch9wavefront6targetE1EEEvSE_.kd
    .uniform_work_group_size: 1
    .uses_dynamic_stack: false
    .vgpr_count:     0
    .vgpr_spill_count: 0
    .wavefront_size: 64
  - .agpr_count:     0
    .args:
      - .address_space:  global
        .offset:         0
        .size:           8
        .value_kind:     global_buffer
    .group_segment_fixed_size: 64
    .kernarg_segment_align: 8
    .kernarg_segment_size: 8
    .language:       OpenCL C
    .language_version:
      - 2
      - 0
    .max_flat_workgroup_size: 1024
    .name:           _ZN7rocprim17ROCPRIM_400000_NS6detail17trampoline_kernelINS0_14default_configENS1_35radix_sort_onesweep_config_selectorIllEEZNS1_34radix_sort_onesweep_global_offsetsIS3_Lb0EPlN6thrust23THRUST_200600_302600_NS10device_ptrIlEEjNS0_19identity_decomposerEEE10hipError_tT1_T2_PT3_SG_jT4_jjP12ihipStream_tbEUlT_E0_NS1_11comp_targetILNS1_3genE4ELNS1_11target_archE910ELNS1_3gpuE8ELNS1_3repE0EEENS1_52radix_sort_onesweep_histogram_config_static_selectorELNS0_4arch9wavefront6targetE1EEEvSE_
    .private_segment_fixed_size: 0
    .sgpr_count:     18
    .sgpr_spill_count: 0
    .symbol:         _ZN7rocprim17ROCPRIM_400000_NS6detail17trampoline_kernelINS0_14default_configENS1_35radix_sort_onesweep_config_selectorIllEEZNS1_34radix_sort_onesweep_global_offsetsIS3_Lb0EPlN6thrust23THRUST_200600_302600_NS10device_ptrIlEEjNS0_19identity_decomposerEEE10hipError_tT1_T2_PT3_SG_jT4_jjP12ihipStream_tbEUlT_E0_NS1_11comp_targetILNS1_3genE4ELNS1_11target_archE910ELNS1_3gpuE8ELNS1_3repE0EEENS1_52radix_sort_onesweep_histogram_config_static_selectorELNS0_4arch9wavefront6targetE1EEEvSE_.kd
    .uniform_work_group_size: 1
    .uses_dynamic_stack: false
    .vgpr_count:     7
    .vgpr_spill_count: 0
    .wavefront_size: 64
  - .agpr_count:     0
    .args:
      - .address_space:  global
        .offset:         0
        .size:           8
        .value_kind:     global_buffer
    .group_segment_fixed_size: 0
    .kernarg_segment_align: 8
    .kernarg_segment_size: 8
    .language:       OpenCL C
    .language_version:
      - 2
      - 0
    .max_flat_workgroup_size: 512
    .name:           _ZN7rocprim17ROCPRIM_400000_NS6detail17trampoline_kernelINS0_14default_configENS1_35radix_sort_onesweep_config_selectorIllEEZNS1_34radix_sort_onesweep_global_offsetsIS3_Lb0EPlN6thrust23THRUST_200600_302600_NS10device_ptrIlEEjNS0_19identity_decomposerEEE10hipError_tT1_T2_PT3_SG_jT4_jjP12ihipStream_tbEUlT_E0_NS1_11comp_targetILNS1_3genE3ELNS1_11target_archE908ELNS1_3gpuE7ELNS1_3repE0EEENS1_52radix_sort_onesweep_histogram_config_static_selectorELNS0_4arch9wavefront6targetE1EEEvSE_
    .private_segment_fixed_size: 0
    .sgpr_count:     4
    .sgpr_spill_count: 0
    .symbol:         _ZN7rocprim17ROCPRIM_400000_NS6detail17trampoline_kernelINS0_14default_configENS1_35radix_sort_onesweep_config_selectorIllEEZNS1_34radix_sort_onesweep_global_offsetsIS3_Lb0EPlN6thrust23THRUST_200600_302600_NS10device_ptrIlEEjNS0_19identity_decomposerEEE10hipError_tT1_T2_PT3_SG_jT4_jjP12ihipStream_tbEUlT_E0_NS1_11comp_targetILNS1_3genE3ELNS1_11target_archE908ELNS1_3gpuE7ELNS1_3repE0EEENS1_52radix_sort_onesweep_histogram_config_static_selectorELNS0_4arch9wavefront6targetE1EEEvSE_.kd
    .uniform_work_group_size: 1
    .uses_dynamic_stack: false
    .vgpr_count:     0
    .vgpr_spill_count: 0
    .wavefront_size: 64
  - .agpr_count:     0
    .args:
      - .address_space:  global
        .offset:         0
        .size:           8
        .value_kind:     global_buffer
    .group_segment_fixed_size: 0
    .kernarg_segment_align: 8
    .kernarg_segment_size: 8
    .language:       OpenCL C
    .language_version:
      - 2
      - 0
    .max_flat_workgroup_size: 1024
    .name:           _ZN7rocprim17ROCPRIM_400000_NS6detail17trampoline_kernelINS0_14default_configENS1_35radix_sort_onesweep_config_selectorIllEEZNS1_34radix_sort_onesweep_global_offsetsIS3_Lb0EPlN6thrust23THRUST_200600_302600_NS10device_ptrIlEEjNS0_19identity_decomposerEEE10hipError_tT1_T2_PT3_SG_jT4_jjP12ihipStream_tbEUlT_E0_NS1_11comp_targetILNS1_3genE10ELNS1_11target_archE1201ELNS1_3gpuE5ELNS1_3repE0EEENS1_52radix_sort_onesweep_histogram_config_static_selectorELNS0_4arch9wavefront6targetE1EEEvSE_
    .private_segment_fixed_size: 0
    .sgpr_count:     4
    .sgpr_spill_count: 0
    .symbol:         _ZN7rocprim17ROCPRIM_400000_NS6detail17trampoline_kernelINS0_14default_configENS1_35radix_sort_onesweep_config_selectorIllEEZNS1_34radix_sort_onesweep_global_offsetsIS3_Lb0EPlN6thrust23THRUST_200600_302600_NS10device_ptrIlEEjNS0_19identity_decomposerEEE10hipError_tT1_T2_PT3_SG_jT4_jjP12ihipStream_tbEUlT_E0_NS1_11comp_targetILNS1_3genE10ELNS1_11target_archE1201ELNS1_3gpuE5ELNS1_3repE0EEENS1_52radix_sort_onesweep_histogram_config_static_selectorELNS0_4arch9wavefront6targetE1EEEvSE_.kd
    .uniform_work_group_size: 1
    .uses_dynamic_stack: false
    .vgpr_count:     0
    .vgpr_spill_count: 0
    .wavefront_size: 64
  - .agpr_count:     0
    .args:
      - .address_space:  global
        .offset:         0
        .size:           8
        .value_kind:     global_buffer
    .group_segment_fixed_size: 0
    .kernarg_segment_align: 8
    .kernarg_segment_size: 8
    .language:       OpenCL C
    .language_version:
      - 2
      - 0
    .max_flat_workgroup_size: 1024
    .name:           _ZN7rocprim17ROCPRIM_400000_NS6detail17trampoline_kernelINS0_14default_configENS1_35radix_sort_onesweep_config_selectorIllEEZNS1_34radix_sort_onesweep_global_offsetsIS3_Lb0EPlN6thrust23THRUST_200600_302600_NS10device_ptrIlEEjNS0_19identity_decomposerEEE10hipError_tT1_T2_PT3_SG_jT4_jjP12ihipStream_tbEUlT_E0_NS1_11comp_targetILNS1_3genE9ELNS1_11target_archE1100ELNS1_3gpuE3ELNS1_3repE0EEENS1_52radix_sort_onesweep_histogram_config_static_selectorELNS0_4arch9wavefront6targetE1EEEvSE_
    .private_segment_fixed_size: 0
    .sgpr_count:     4
    .sgpr_spill_count: 0
    .symbol:         _ZN7rocprim17ROCPRIM_400000_NS6detail17trampoline_kernelINS0_14default_configENS1_35radix_sort_onesweep_config_selectorIllEEZNS1_34radix_sort_onesweep_global_offsetsIS3_Lb0EPlN6thrust23THRUST_200600_302600_NS10device_ptrIlEEjNS0_19identity_decomposerEEE10hipError_tT1_T2_PT3_SG_jT4_jjP12ihipStream_tbEUlT_E0_NS1_11comp_targetILNS1_3genE9ELNS1_11target_archE1100ELNS1_3gpuE3ELNS1_3repE0EEENS1_52radix_sort_onesweep_histogram_config_static_selectorELNS0_4arch9wavefront6targetE1EEEvSE_.kd
    .uniform_work_group_size: 1
    .uses_dynamic_stack: false
    .vgpr_count:     0
    .vgpr_spill_count: 0
    .wavefront_size: 64
  - .agpr_count:     0
    .args:
      - .address_space:  global
        .offset:         0
        .size:           8
        .value_kind:     global_buffer
    .group_segment_fixed_size: 0
    .kernarg_segment_align: 8
    .kernarg_segment_size: 8
    .language:       OpenCL C
    .language_version:
      - 2
      - 0
    .max_flat_workgroup_size: 1024
    .name:           _ZN7rocprim17ROCPRIM_400000_NS6detail17trampoline_kernelINS0_14default_configENS1_35radix_sort_onesweep_config_selectorIllEEZNS1_34radix_sort_onesweep_global_offsetsIS3_Lb0EPlN6thrust23THRUST_200600_302600_NS10device_ptrIlEEjNS0_19identity_decomposerEEE10hipError_tT1_T2_PT3_SG_jT4_jjP12ihipStream_tbEUlT_E0_NS1_11comp_targetILNS1_3genE8ELNS1_11target_archE1030ELNS1_3gpuE2ELNS1_3repE0EEENS1_52radix_sort_onesweep_histogram_config_static_selectorELNS0_4arch9wavefront6targetE1EEEvSE_
    .private_segment_fixed_size: 0
    .sgpr_count:     4
    .sgpr_spill_count: 0
    .symbol:         _ZN7rocprim17ROCPRIM_400000_NS6detail17trampoline_kernelINS0_14default_configENS1_35radix_sort_onesweep_config_selectorIllEEZNS1_34radix_sort_onesweep_global_offsetsIS3_Lb0EPlN6thrust23THRUST_200600_302600_NS10device_ptrIlEEjNS0_19identity_decomposerEEE10hipError_tT1_T2_PT3_SG_jT4_jjP12ihipStream_tbEUlT_E0_NS1_11comp_targetILNS1_3genE8ELNS1_11target_archE1030ELNS1_3gpuE2ELNS1_3repE0EEENS1_52radix_sort_onesweep_histogram_config_static_selectorELNS0_4arch9wavefront6targetE1EEEvSE_.kd
    .uniform_work_group_size: 1
    .uses_dynamic_stack: false
    .vgpr_count:     0
    .vgpr_spill_count: 0
    .wavefront_size: 64
  - .agpr_count:     0
    .args:
      - .offset:         0
        .size:           88
        .value_kind:     by_value
    .group_segment_fixed_size: 0
    .kernarg_segment_align: 8
    .kernarg_segment_size: 88
    .language:       OpenCL C
    .language_version:
      - 2
      - 0
    .max_flat_workgroup_size: 512
    .name:           _ZN7rocprim17ROCPRIM_400000_NS6detail17trampoline_kernelINS0_14default_configENS1_35radix_sort_onesweep_config_selectorIllEEZZNS1_29radix_sort_onesweep_iterationIS3_Lb0EPlS7_N6thrust23THRUST_200600_302600_NS10device_ptrIlEESB_jNS0_19identity_decomposerENS1_16block_id_wrapperIjLb1EEEEE10hipError_tT1_PNSt15iterator_traitsISG_E10value_typeET2_T3_PNSH_ISM_E10value_typeET4_T5_PSR_SS_PNS1_23onesweep_lookback_stateEbbT6_jjT7_P12ihipStream_tbENKUlT_T0_SG_SL_E_clIS7_S7_SB_SB_EEDaSZ_S10_SG_SL_EUlSZ_E_NS1_11comp_targetILNS1_3genE0ELNS1_11target_archE4294967295ELNS1_3gpuE0ELNS1_3repE0EEENS1_47radix_sort_onesweep_sort_config_static_selectorELNS0_4arch9wavefront6targetE1EEEvSG_
    .private_segment_fixed_size: 0
    .sgpr_count:     4
    .sgpr_spill_count: 0
    .symbol:         _ZN7rocprim17ROCPRIM_400000_NS6detail17trampoline_kernelINS0_14default_configENS1_35radix_sort_onesweep_config_selectorIllEEZZNS1_29radix_sort_onesweep_iterationIS3_Lb0EPlS7_N6thrust23THRUST_200600_302600_NS10device_ptrIlEESB_jNS0_19identity_decomposerENS1_16block_id_wrapperIjLb1EEEEE10hipError_tT1_PNSt15iterator_traitsISG_E10value_typeET2_T3_PNSH_ISM_E10value_typeET4_T5_PSR_SS_PNS1_23onesweep_lookback_stateEbbT6_jjT7_P12ihipStream_tbENKUlT_T0_SG_SL_E_clIS7_S7_SB_SB_EEDaSZ_S10_SG_SL_EUlSZ_E_NS1_11comp_targetILNS1_3genE0ELNS1_11target_archE4294967295ELNS1_3gpuE0ELNS1_3repE0EEENS1_47radix_sort_onesweep_sort_config_static_selectorELNS0_4arch9wavefront6targetE1EEEvSG_.kd
    .uniform_work_group_size: 1
    .uses_dynamic_stack: false
    .vgpr_count:     0
    .vgpr_spill_count: 0
    .wavefront_size: 64
  - .agpr_count:     0
    .args:
      - .offset:         0
        .size:           88
        .value_kind:     by_value
    .group_segment_fixed_size: 0
    .kernarg_segment_align: 8
    .kernarg_segment_size: 88
    .language:       OpenCL C
    .language_version:
      - 2
      - 0
    .max_flat_workgroup_size: 1024
    .name:           _ZN7rocprim17ROCPRIM_400000_NS6detail17trampoline_kernelINS0_14default_configENS1_35radix_sort_onesweep_config_selectorIllEEZZNS1_29radix_sort_onesweep_iterationIS3_Lb0EPlS7_N6thrust23THRUST_200600_302600_NS10device_ptrIlEESB_jNS0_19identity_decomposerENS1_16block_id_wrapperIjLb1EEEEE10hipError_tT1_PNSt15iterator_traitsISG_E10value_typeET2_T3_PNSH_ISM_E10value_typeET4_T5_PSR_SS_PNS1_23onesweep_lookback_stateEbbT6_jjT7_P12ihipStream_tbENKUlT_T0_SG_SL_E_clIS7_S7_SB_SB_EEDaSZ_S10_SG_SL_EUlSZ_E_NS1_11comp_targetILNS1_3genE6ELNS1_11target_archE950ELNS1_3gpuE13ELNS1_3repE0EEENS1_47radix_sort_onesweep_sort_config_static_selectorELNS0_4arch9wavefront6targetE1EEEvSG_
    .private_segment_fixed_size: 0
    .sgpr_count:     4
    .sgpr_spill_count: 0
    .symbol:         _ZN7rocprim17ROCPRIM_400000_NS6detail17trampoline_kernelINS0_14default_configENS1_35radix_sort_onesweep_config_selectorIllEEZZNS1_29radix_sort_onesweep_iterationIS3_Lb0EPlS7_N6thrust23THRUST_200600_302600_NS10device_ptrIlEESB_jNS0_19identity_decomposerENS1_16block_id_wrapperIjLb1EEEEE10hipError_tT1_PNSt15iterator_traitsISG_E10value_typeET2_T3_PNSH_ISM_E10value_typeET4_T5_PSR_SS_PNS1_23onesweep_lookback_stateEbbT6_jjT7_P12ihipStream_tbENKUlT_T0_SG_SL_E_clIS7_S7_SB_SB_EEDaSZ_S10_SG_SL_EUlSZ_E_NS1_11comp_targetILNS1_3genE6ELNS1_11target_archE950ELNS1_3gpuE13ELNS1_3repE0EEENS1_47radix_sort_onesweep_sort_config_static_selectorELNS0_4arch9wavefront6targetE1EEEvSG_.kd
    .uniform_work_group_size: 1
    .uses_dynamic_stack: false
    .vgpr_count:     0
    .vgpr_spill_count: 0
    .wavefront_size: 64
  - .agpr_count:     0
    .args:
      - .offset:         0
        .size:           88
        .value_kind:     by_value
    .group_segment_fixed_size: 0
    .kernarg_segment_align: 8
    .kernarg_segment_size: 88
    .language:       OpenCL C
    .language_version:
      - 2
      - 0
    .max_flat_workgroup_size: 1024
    .name:           _ZN7rocprim17ROCPRIM_400000_NS6detail17trampoline_kernelINS0_14default_configENS1_35radix_sort_onesweep_config_selectorIllEEZZNS1_29radix_sort_onesweep_iterationIS3_Lb0EPlS7_N6thrust23THRUST_200600_302600_NS10device_ptrIlEESB_jNS0_19identity_decomposerENS1_16block_id_wrapperIjLb1EEEEE10hipError_tT1_PNSt15iterator_traitsISG_E10value_typeET2_T3_PNSH_ISM_E10value_typeET4_T5_PSR_SS_PNS1_23onesweep_lookback_stateEbbT6_jjT7_P12ihipStream_tbENKUlT_T0_SG_SL_E_clIS7_S7_SB_SB_EEDaSZ_S10_SG_SL_EUlSZ_E_NS1_11comp_targetILNS1_3genE5ELNS1_11target_archE942ELNS1_3gpuE9ELNS1_3repE0EEENS1_47radix_sort_onesweep_sort_config_static_selectorELNS0_4arch9wavefront6targetE1EEEvSG_
    .private_segment_fixed_size: 0
    .sgpr_count:     4
    .sgpr_spill_count: 0
    .symbol:         _ZN7rocprim17ROCPRIM_400000_NS6detail17trampoline_kernelINS0_14default_configENS1_35radix_sort_onesweep_config_selectorIllEEZZNS1_29radix_sort_onesweep_iterationIS3_Lb0EPlS7_N6thrust23THRUST_200600_302600_NS10device_ptrIlEESB_jNS0_19identity_decomposerENS1_16block_id_wrapperIjLb1EEEEE10hipError_tT1_PNSt15iterator_traitsISG_E10value_typeET2_T3_PNSH_ISM_E10value_typeET4_T5_PSR_SS_PNS1_23onesweep_lookback_stateEbbT6_jjT7_P12ihipStream_tbENKUlT_T0_SG_SL_E_clIS7_S7_SB_SB_EEDaSZ_S10_SG_SL_EUlSZ_E_NS1_11comp_targetILNS1_3genE5ELNS1_11target_archE942ELNS1_3gpuE9ELNS1_3repE0EEENS1_47radix_sort_onesweep_sort_config_static_selectorELNS0_4arch9wavefront6targetE1EEEvSG_.kd
    .uniform_work_group_size: 1
    .uses_dynamic_stack: false
    .vgpr_count:     0
    .vgpr_spill_count: 0
    .wavefront_size: 64
  - .agpr_count:     0
    .args:
      - .offset:         0
        .size:           88
        .value_kind:     by_value
    .group_segment_fixed_size: 0
    .kernarg_segment_align: 8
    .kernarg_segment_size: 88
    .language:       OpenCL C
    .language_version:
      - 2
      - 0
    .max_flat_workgroup_size: 512
    .name:           _ZN7rocprim17ROCPRIM_400000_NS6detail17trampoline_kernelINS0_14default_configENS1_35radix_sort_onesweep_config_selectorIllEEZZNS1_29radix_sort_onesweep_iterationIS3_Lb0EPlS7_N6thrust23THRUST_200600_302600_NS10device_ptrIlEESB_jNS0_19identity_decomposerENS1_16block_id_wrapperIjLb1EEEEE10hipError_tT1_PNSt15iterator_traitsISG_E10value_typeET2_T3_PNSH_ISM_E10value_typeET4_T5_PSR_SS_PNS1_23onesweep_lookback_stateEbbT6_jjT7_P12ihipStream_tbENKUlT_T0_SG_SL_E_clIS7_S7_SB_SB_EEDaSZ_S10_SG_SL_EUlSZ_E_NS1_11comp_targetILNS1_3genE2ELNS1_11target_archE906ELNS1_3gpuE6ELNS1_3repE0EEENS1_47radix_sort_onesweep_sort_config_static_selectorELNS0_4arch9wavefront6targetE1EEEvSG_
    .private_segment_fixed_size: 0
    .sgpr_count:     4
    .sgpr_spill_count: 0
    .symbol:         _ZN7rocprim17ROCPRIM_400000_NS6detail17trampoline_kernelINS0_14default_configENS1_35radix_sort_onesweep_config_selectorIllEEZZNS1_29radix_sort_onesweep_iterationIS3_Lb0EPlS7_N6thrust23THRUST_200600_302600_NS10device_ptrIlEESB_jNS0_19identity_decomposerENS1_16block_id_wrapperIjLb1EEEEE10hipError_tT1_PNSt15iterator_traitsISG_E10value_typeET2_T3_PNSH_ISM_E10value_typeET4_T5_PSR_SS_PNS1_23onesweep_lookback_stateEbbT6_jjT7_P12ihipStream_tbENKUlT_T0_SG_SL_E_clIS7_S7_SB_SB_EEDaSZ_S10_SG_SL_EUlSZ_E_NS1_11comp_targetILNS1_3genE2ELNS1_11target_archE906ELNS1_3gpuE6ELNS1_3repE0EEENS1_47radix_sort_onesweep_sort_config_static_selectorELNS0_4arch9wavefront6targetE1EEEvSG_.kd
    .uniform_work_group_size: 1
    .uses_dynamic_stack: false
    .vgpr_count:     0
    .vgpr_spill_count: 0
    .wavefront_size: 64
  - .agpr_count:     0
    .args:
      - .offset:         0
        .size:           88
        .value_kind:     by_value
      - .offset:         88
        .size:           4
        .value_kind:     hidden_block_count_x
      - .offset:         92
        .size:           4
        .value_kind:     hidden_block_count_y
      - .offset:         96
        .size:           4
        .value_kind:     hidden_block_count_z
      - .offset:         100
        .size:           2
        .value_kind:     hidden_group_size_x
      - .offset:         102
        .size:           2
        .value_kind:     hidden_group_size_y
      - .offset:         104
        .size:           2
        .value_kind:     hidden_group_size_z
      - .offset:         106
        .size:           2
        .value_kind:     hidden_remainder_x
      - .offset:         108
        .size:           2
        .value_kind:     hidden_remainder_y
      - .offset:         110
        .size:           2
        .value_kind:     hidden_remainder_z
      - .offset:         128
        .size:           8
        .value_kind:     hidden_global_offset_x
      - .offset:         136
        .size:           8
        .value_kind:     hidden_global_offset_y
      - .offset:         144
        .size:           8
        .value_kind:     hidden_global_offset_z
      - .offset:         152
        .size:           2
        .value_kind:     hidden_grid_dims
    .group_segment_fixed_size: 20552
    .kernarg_segment_align: 8
    .kernarg_segment_size: 344
    .language:       OpenCL C
    .language_version:
      - 2
      - 0
    .max_flat_workgroup_size: 1024
    .name:           _ZN7rocprim17ROCPRIM_400000_NS6detail17trampoline_kernelINS0_14default_configENS1_35radix_sort_onesweep_config_selectorIllEEZZNS1_29radix_sort_onesweep_iterationIS3_Lb0EPlS7_N6thrust23THRUST_200600_302600_NS10device_ptrIlEESB_jNS0_19identity_decomposerENS1_16block_id_wrapperIjLb1EEEEE10hipError_tT1_PNSt15iterator_traitsISG_E10value_typeET2_T3_PNSH_ISM_E10value_typeET4_T5_PSR_SS_PNS1_23onesweep_lookback_stateEbbT6_jjT7_P12ihipStream_tbENKUlT_T0_SG_SL_E_clIS7_S7_SB_SB_EEDaSZ_S10_SG_SL_EUlSZ_E_NS1_11comp_targetILNS1_3genE4ELNS1_11target_archE910ELNS1_3gpuE8ELNS1_3repE0EEENS1_47radix_sort_onesweep_sort_config_static_selectorELNS0_4arch9wavefront6targetE1EEEvSG_
    .private_segment_fixed_size: 0
    .sgpr_count:     57
    .sgpr_spill_count: 0
    .symbol:         _ZN7rocprim17ROCPRIM_400000_NS6detail17trampoline_kernelINS0_14default_configENS1_35radix_sort_onesweep_config_selectorIllEEZZNS1_29radix_sort_onesweep_iterationIS3_Lb0EPlS7_N6thrust23THRUST_200600_302600_NS10device_ptrIlEESB_jNS0_19identity_decomposerENS1_16block_id_wrapperIjLb1EEEEE10hipError_tT1_PNSt15iterator_traitsISG_E10value_typeET2_T3_PNSH_ISM_E10value_typeET4_T5_PSR_SS_PNS1_23onesweep_lookback_stateEbbT6_jjT7_P12ihipStream_tbENKUlT_T0_SG_SL_E_clIS7_S7_SB_SB_EEDaSZ_S10_SG_SL_EUlSZ_E_NS1_11comp_targetILNS1_3genE4ELNS1_11target_archE910ELNS1_3gpuE8ELNS1_3repE0EEENS1_47radix_sort_onesweep_sort_config_static_selectorELNS0_4arch9wavefront6targetE1EEEvSG_.kd
    .uniform_work_group_size: 1
    .uses_dynamic_stack: false
    .vgpr_count:     46
    .vgpr_spill_count: 0
    .wavefront_size: 64
  - .agpr_count:     0
    .args:
      - .offset:         0
        .size:           88
        .value_kind:     by_value
    .group_segment_fixed_size: 0
    .kernarg_segment_align: 8
    .kernarg_segment_size: 88
    .language:       OpenCL C
    .language_version:
      - 2
      - 0
    .max_flat_workgroup_size: 512
    .name:           _ZN7rocprim17ROCPRIM_400000_NS6detail17trampoline_kernelINS0_14default_configENS1_35radix_sort_onesweep_config_selectorIllEEZZNS1_29radix_sort_onesweep_iterationIS3_Lb0EPlS7_N6thrust23THRUST_200600_302600_NS10device_ptrIlEESB_jNS0_19identity_decomposerENS1_16block_id_wrapperIjLb1EEEEE10hipError_tT1_PNSt15iterator_traitsISG_E10value_typeET2_T3_PNSH_ISM_E10value_typeET4_T5_PSR_SS_PNS1_23onesweep_lookback_stateEbbT6_jjT7_P12ihipStream_tbENKUlT_T0_SG_SL_E_clIS7_S7_SB_SB_EEDaSZ_S10_SG_SL_EUlSZ_E_NS1_11comp_targetILNS1_3genE3ELNS1_11target_archE908ELNS1_3gpuE7ELNS1_3repE0EEENS1_47radix_sort_onesweep_sort_config_static_selectorELNS0_4arch9wavefront6targetE1EEEvSG_
    .private_segment_fixed_size: 0
    .sgpr_count:     4
    .sgpr_spill_count: 0
    .symbol:         _ZN7rocprim17ROCPRIM_400000_NS6detail17trampoline_kernelINS0_14default_configENS1_35radix_sort_onesweep_config_selectorIllEEZZNS1_29radix_sort_onesweep_iterationIS3_Lb0EPlS7_N6thrust23THRUST_200600_302600_NS10device_ptrIlEESB_jNS0_19identity_decomposerENS1_16block_id_wrapperIjLb1EEEEE10hipError_tT1_PNSt15iterator_traitsISG_E10value_typeET2_T3_PNSH_ISM_E10value_typeET4_T5_PSR_SS_PNS1_23onesweep_lookback_stateEbbT6_jjT7_P12ihipStream_tbENKUlT_T0_SG_SL_E_clIS7_S7_SB_SB_EEDaSZ_S10_SG_SL_EUlSZ_E_NS1_11comp_targetILNS1_3genE3ELNS1_11target_archE908ELNS1_3gpuE7ELNS1_3repE0EEENS1_47radix_sort_onesweep_sort_config_static_selectorELNS0_4arch9wavefront6targetE1EEEvSG_.kd
    .uniform_work_group_size: 1
    .uses_dynamic_stack: false
    .vgpr_count:     0
    .vgpr_spill_count: 0
    .wavefront_size: 64
  - .agpr_count:     0
    .args:
      - .offset:         0
        .size:           88
        .value_kind:     by_value
    .group_segment_fixed_size: 0
    .kernarg_segment_align: 8
    .kernarg_segment_size: 88
    .language:       OpenCL C
    .language_version:
      - 2
      - 0
    .max_flat_workgroup_size: 1024
    .name:           _ZN7rocprim17ROCPRIM_400000_NS6detail17trampoline_kernelINS0_14default_configENS1_35radix_sort_onesweep_config_selectorIllEEZZNS1_29radix_sort_onesweep_iterationIS3_Lb0EPlS7_N6thrust23THRUST_200600_302600_NS10device_ptrIlEESB_jNS0_19identity_decomposerENS1_16block_id_wrapperIjLb1EEEEE10hipError_tT1_PNSt15iterator_traitsISG_E10value_typeET2_T3_PNSH_ISM_E10value_typeET4_T5_PSR_SS_PNS1_23onesweep_lookback_stateEbbT6_jjT7_P12ihipStream_tbENKUlT_T0_SG_SL_E_clIS7_S7_SB_SB_EEDaSZ_S10_SG_SL_EUlSZ_E_NS1_11comp_targetILNS1_3genE10ELNS1_11target_archE1201ELNS1_3gpuE5ELNS1_3repE0EEENS1_47radix_sort_onesweep_sort_config_static_selectorELNS0_4arch9wavefront6targetE1EEEvSG_
    .private_segment_fixed_size: 0
    .sgpr_count:     4
    .sgpr_spill_count: 0
    .symbol:         _ZN7rocprim17ROCPRIM_400000_NS6detail17trampoline_kernelINS0_14default_configENS1_35radix_sort_onesweep_config_selectorIllEEZZNS1_29radix_sort_onesweep_iterationIS3_Lb0EPlS7_N6thrust23THRUST_200600_302600_NS10device_ptrIlEESB_jNS0_19identity_decomposerENS1_16block_id_wrapperIjLb1EEEEE10hipError_tT1_PNSt15iterator_traitsISG_E10value_typeET2_T3_PNSH_ISM_E10value_typeET4_T5_PSR_SS_PNS1_23onesweep_lookback_stateEbbT6_jjT7_P12ihipStream_tbENKUlT_T0_SG_SL_E_clIS7_S7_SB_SB_EEDaSZ_S10_SG_SL_EUlSZ_E_NS1_11comp_targetILNS1_3genE10ELNS1_11target_archE1201ELNS1_3gpuE5ELNS1_3repE0EEENS1_47radix_sort_onesweep_sort_config_static_selectorELNS0_4arch9wavefront6targetE1EEEvSG_.kd
    .uniform_work_group_size: 1
    .uses_dynamic_stack: false
    .vgpr_count:     0
    .vgpr_spill_count: 0
    .wavefront_size: 64
  - .agpr_count:     0
    .args:
      - .offset:         0
        .size:           88
        .value_kind:     by_value
    .group_segment_fixed_size: 0
    .kernarg_segment_align: 8
    .kernarg_segment_size: 88
    .language:       OpenCL C
    .language_version:
      - 2
      - 0
    .max_flat_workgroup_size: 1024
    .name:           _ZN7rocprim17ROCPRIM_400000_NS6detail17trampoline_kernelINS0_14default_configENS1_35radix_sort_onesweep_config_selectorIllEEZZNS1_29radix_sort_onesweep_iterationIS3_Lb0EPlS7_N6thrust23THRUST_200600_302600_NS10device_ptrIlEESB_jNS0_19identity_decomposerENS1_16block_id_wrapperIjLb1EEEEE10hipError_tT1_PNSt15iterator_traitsISG_E10value_typeET2_T3_PNSH_ISM_E10value_typeET4_T5_PSR_SS_PNS1_23onesweep_lookback_stateEbbT6_jjT7_P12ihipStream_tbENKUlT_T0_SG_SL_E_clIS7_S7_SB_SB_EEDaSZ_S10_SG_SL_EUlSZ_E_NS1_11comp_targetILNS1_3genE9ELNS1_11target_archE1100ELNS1_3gpuE3ELNS1_3repE0EEENS1_47radix_sort_onesweep_sort_config_static_selectorELNS0_4arch9wavefront6targetE1EEEvSG_
    .private_segment_fixed_size: 0
    .sgpr_count:     4
    .sgpr_spill_count: 0
    .symbol:         _ZN7rocprim17ROCPRIM_400000_NS6detail17trampoline_kernelINS0_14default_configENS1_35radix_sort_onesweep_config_selectorIllEEZZNS1_29radix_sort_onesweep_iterationIS3_Lb0EPlS7_N6thrust23THRUST_200600_302600_NS10device_ptrIlEESB_jNS0_19identity_decomposerENS1_16block_id_wrapperIjLb1EEEEE10hipError_tT1_PNSt15iterator_traitsISG_E10value_typeET2_T3_PNSH_ISM_E10value_typeET4_T5_PSR_SS_PNS1_23onesweep_lookback_stateEbbT6_jjT7_P12ihipStream_tbENKUlT_T0_SG_SL_E_clIS7_S7_SB_SB_EEDaSZ_S10_SG_SL_EUlSZ_E_NS1_11comp_targetILNS1_3genE9ELNS1_11target_archE1100ELNS1_3gpuE3ELNS1_3repE0EEENS1_47radix_sort_onesweep_sort_config_static_selectorELNS0_4arch9wavefront6targetE1EEEvSG_.kd
    .uniform_work_group_size: 1
    .uses_dynamic_stack: false
    .vgpr_count:     0
    .vgpr_spill_count: 0
    .wavefront_size: 64
  - .agpr_count:     0
    .args:
      - .offset:         0
        .size:           88
        .value_kind:     by_value
    .group_segment_fixed_size: 0
    .kernarg_segment_align: 8
    .kernarg_segment_size: 88
    .language:       OpenCL C
    .language_version:
      - 2
      - 0
    .max_flat_workgroup_size: 1024
    .name:           _ZN7rocprim17ROCPRIM_400000_NS6detail17trampoline_kernelINS0_14default_configENS1_35radix_sort_onesweep_config_selectorIllEEZZNS1_29radix_sort_onesweep_iterationIS3_Lb0EPlS7_N6thrust23THRUST_200600_302600_NS10device_ptrIlEESB_jNS0_19identity_decomposerENS1_16block_id_wrapperIjLb1EEEEE10hipError_tT1_PNSt15iterator_traitsISG_E10value_typeET2_T3_PNSH_ISM_E10value_typeET4_T5_PSR_SS_PNS1_23onesweep_lookback_stateEbbT6_jjT7_P12ihipStream_tbENKUlT_T0_SG_SL_E_clIS7_S7_SB_SB_EEDaSZ_S10_SG_SL_EUlSZ_E_NS1_11comp_targetILNS1_3genE8ELNS1_11target_archE1030ELNS1_3gpuE2ELNS1_3repE0EEENS1_47radix_sort_onesweep_sort_config_static_selectorELNS0_4arch9wavefront6targetE1EEEvSG_
    .private_segment_fixed_size: 0
    .sgpr_count:     4
    .sgpr_spill_count: 0
    .symbol:         _ZN7rocprim17ROCPRIM_400000_NS6detail17trampoline_kernelINS0_14default_configENS1_35radix_sort_onesweep_config_selectorIllEEZZNS1_29radix_sort_onesweep_iterationIS3_Lb0EPlS7_N6thrust23THRUST_200600_302600_NS10device_ptrIlEESB_jNS0_19identity_decomposerENS1_16block_id_wrapperIjLb1EEEEE10hipError_tT1_PNSt15iterator_traitsISG_E10value_typeET2_T3_PNSH_ISM_E10value_typeET4_T5_PSR_SS_PNS1_23onesweep_lookback_stateEbbT6_jjT7_P12ihipStream_tbENKUlT_T0_SG_SL_E_clIS7_S7_SB_SB_EEDaSZ_S10_SG_SL_EUlSZ_E_NS1_11comp_targetILNS1_3genE8ELNS1_11target_archE1030ELNS1_3gpuE2ELNS1_3repE0EEENS1_47radix_sort_onesweep_sort_config_static_selectorELNS0_4arch9wavefront6targetE1EEEvSG_.kd
    .uniform_work_group_size: 1
    .uses_dynamic_stack: false
    .vgpr_count:     0
    .vgpr_spill_count: 0
    .wavefront_size: 64
  - .agpr_count:     0
    .args:
      - .offset:         0
        .size:           88
        .value_kind:     by_value
    .group_segment_fixed_size: 0
    .kernarg_segment_align: 8
    .kernarg_segment_size: 88
    .language:       OpenCL C
    .language_version:
      - 2
      - 0
    .max_flat_workgroup_size: 512
    .name:           _ZN7rocprim17ROCPRIM_400000_NS6detail17trampoline_kernelINS0_14default_configENS1_35radix_sort_onesweep_config_selectorIllEEZZNS1_29radix_sort_onesweep_iterationIS3_Lb0EPlS7_N6thrust23THRUST_200600_302600_NS10device_ptrIlEESB_jNS0_19identity_decomposerENS1_16block_id_wrapperIjLb1EEEEE10hipError_tT1_PNSt15iterator_traitsISG_E10value_typeET2_T3_PNSH_ISM_E10value_typeET4_T5_PSR_SS_PNS1_23onesweep_lookback_stateEbbT6_jjT7_P12ihipStream_tbENKUlT_T0_SG_SL_E_clIS7_S7_SB_S7_EEDaSZ_S10_SG_SL_EUlSZ_E_NS1_11comp_targetILNS1_3genE0ELNS1_11target_archE4294967295ELNS1_3gpuE0ELNS1_3repE0EEENS1_47radix_sort_onesweep_sort_config_static_selectorELNS0_4arch9wavefront6targetE1EEEvSG_
    .private_segment_fixed_size: 0
    .sgpr_count:     4
    .sgpr_spill_count: 0
    .symbol:         _ZN7rocprim17ROCPRIM_400000_NS6detail17trampoline_kernelINS0_14default_configENS1_35radix_sort_onesweep_config_selectorIllEEZZNS1_29radix_sort_onesweep_iterationIS3_Lb0EPlS7_N6thrust23THRUST_200600_302600_NS10device_ptrIlEESB_jNS0_19identity_decomposerENS1_16block_id_wrapperIjLb1EEEEE10hipError_tT1_PNSt15iterator_traitsISG_E10value_typeET2_T3_PNSH_ISM_E10value_typeET4_T5_PSR_SS_PNS1_23onesweep_lookback_stateEbbT6_jjT7_P12ihipStream_tbENKUlT_T0_SG_SL_E_clIS7_S7_SB_S7_EEDaSZ_S10_SG_SL_EUlSZ_E_NS1_11comp_targetILNS1_3genE0ELNS1_11target_archE4294967295ELNS1_3gpuE0ELNS1_3repE0EEENS1_47radix_sort_onesweep_sort_config_static_selectorELNS0_4arch9wavefront6targetE1EEEvSG_.kd
    .uniform_work_group_size: 1
    .uses_dynamic_stack: false
    .vgpr_count:     0
    .vgpr_spill_count: 0
    .wavefront_size: 64
  - .agpr_count:     0
    .args:
      - .offset:         0
        .size:           88
        .value_kind:     by_value
    .group_segment_fixed_size: 0
    .kernarg_segment_align: 8
    .kernarg_segment_size: 88
    .language:       OpenCL C
    .language_version:
      - 2
      - 0
    .max_flat_workgroup_size: 1024
    .name:           _ZN7rocprim17ROCPRIM_400000_NS6detail17trampoline_kernelINS0_14default_configENS1_35radix_sort_onesweep_config_selectorIllEEZZNS1_29radix_sort_onesweep_iterationIS3_Lb0EPlS7_N6thrust23THRUST_200600_302600_NS10device_ptrIlEESB_jNS0_19identity_decomposerENS1_16block_id_wrapperIjLb1EEEEE10hipError_tT1_PNSt15iterator_traitsISG_E10value_typeET2_T3_PNSH_ISM_E10value_typeET4_T5_PSR_SS_PNS1_23onesweep_lookback_stateEbbT6_jjT7_P12ihipStream_tbENKUlT_T0_SG_SL_E_clIS7_S7_SB_S7_EEDaSZ_S10_SG_SL_EUlSZ_E_NS1_11comp_targetILNS1_3genE6ELNS1_11target_archE950ELNS1_3gpuE13ELNS1_3repE0EEENS1_47radix_sort_onesweep_sort_config_static_selectorELNS0_4arch9wavefront6targetE1EEEvSG_
    .private_segment_fixed_size: 0
    .sgpr_count:     4
    .sgpr_spill_count: 0
    .symbol:         _ZN7rocprim17ROCPRIM_400000_NS6detail17trampoline_kernelINS0_14default_configENS1_35radix_sort_onesweep_config_selectorIllEEZZNS1_29radix_sort_onesweep_iterationIS3_Lb0EPlS7_N6thrust23THRUST_200600_302600_NS10device_ptrIlEESB_jNS0_19identity_decomposerENS1_16block_id_wrapperIjLb1EEEEE10hipError_tT1_PNSt15iterator_traitsISG_E10value_typeET2_T3_PNSH_ISM_E10value_typeET4_T5_PSR_SS_PNS1_23onesweep_lookback_stateEbbT6_jjT7_P12ihipStream_tbENKUlT_T0_SG_SL_E_clIS7_S7_SB_S7_EEDaSZ_S10_SG_SL_EUlSZ_E_NS1_11comp_targetILNS1_3genE6ELNS1_11target_archE950ELNS1_3gpuE13ELNS1_3repE0EEENS1_47radix_sort_onesweep_sort_config_static_selectorELNS0_4arch9wavefront6targetE1EEEvSG_.kd
    .uniform_work_group_size: 1
    .uses_dynamic_stack: false
    .vgpr_count:     0
    .vgpr_spill_count: 0
    .wavefront_size: 64
  - .agpr_count:     0
    .args:
      - .offset:         0
        .size:           88
        .value_kind:     by_value
    .group_segment_fixed_size: 0
    .kernarg_segment_align: 8
    .kernarg_segment_size: 88
    .language:       OpenCL C
    .language_version:
      - 2
      - 0
    .max_flat_workgroup_size: 1024
    .name:           _ZN7rocprim17ROCPRIM_400000_NS6detail17trampoline_kernelINS0_14default_configENS1_35radix_sort_onesweep_config_selectorIllEEZZNS1_29radix_sort_onesweep_iterationIS3_Lb0EPlS7_N6thrust23THRUST_200600_302600_NS10device_ptrIlEESB_jNS0_19identity_decomposerENS1_16block_id_wrapperIjLb1EEEEE10hipError_tT1_PNSt15iterator_traitsISG_E10value_typeET2_T3_PNSH_ISM_E10value_typeET4_T5_PSR_SS_PNS1_23onesweep_lookback_stateEbbT6_jjT7_P12ihipStream_tbENKUlT_T0_SG_SL_E_clIS7_S7_SB_S7_EEDaSZ_S10_SG_SL_EUlSZ_E_NS1_11comp_targetILNS1_3genE5ELNS1_11target_archE942ELNS1_3gpuE9ELNS1_3repE0EEENS1_47radix_sort_onesweep_sort_config_static_selectorELNS0_4arch9wavefront6targetE1EEEvSG_
    .private_segment_fixed_size: 0
    .sgpr_count:     4
    .sgpr_spill_count: 0
    .symbol:         _ZN7rocprim17ROCPRIM_400000_NS6detail17trampoline_kernelINS0_14default_configENS1_35radix_sort_onesweep_config_selectorIllEEZZNS1_29radix_sort_onesweep_iterationIS3_Lb0EPlS7_N6thrust23THRUST_200600_302600_NS10device_ptrIlEESB_jNS0_19identity_decomposerENS1_16block_id_wrapperIjLb1EEEEE10hipError_tT1_PNSt15iterator_traitsISG_E10value_typeET2_T3_PNSH_ISM_E10value_typeET4_T5_PSR_SS_PNS1_23onesweep_lookback_stateEbbT6_jjT7_P12ihipStream_tbENKUlT_T0_SG_SL_E_clIS7_S7_SB_S7_EEDaSZ_S10_SG_SL_EUlSZ_E_NS1_11comp_targetILNS1_3genE5ELNS1_11target_archE942ELNS1_3gpuE9ELNS1_3repE0EEENS1_47radix_sort_onesweep_sort_config_static_selectorELNS0_4arch9wavefront6targetE1EEEvSG_.kd
    .uniform_work_group_size: 1
    .uses_dynamic_stack: false
    .vgpr_count:     0
    .vgpr_spill_count: 0
    .wavefront_size: 64
  - .agpr_count:     0
    .args:
      - .offset:         0
        .size:           88
        .value_kind:     by_value
    .group_segment_fixed_size: 0
    .kernarg_segment_align: 8
    .kernarg_segment_size: 88
    .language:       OpenCL C
    .language_version:
      - 2
      - 0
    .max_flat_workgroup_size: 512
    .name:           _ZN7rocprim17ROCPRIM_400000_NS6detail17trampoline_kernelINS0_14default_configENS1_35radix_sort_onesweep_config_selectorIllEEZZNS1_29radix_sort_onesweep_iterationIS3_Lb0EPlS7_N6thrust23THRUST_200600_302600_NS10device_ptrIlEESB_jNS0_19identity_decomposerENS1_16block_id_wrapperIjLb1EEEEE10hipError_tT1_PNSt15iterator_traitsISG_E10value_typeET2_T3_PNSH_ISM_E10value_typeET4_T5_PSR_SS_PNS1_23onesweep_lookback_stateEbbT6_jjT7_P12ihipStream_tbENKUlT_T0_SG_SL_E_clIS7_S7_SB_S7_EEDaSZ_S10_SG_SL_EUlSZ_E_NS1_11comp_targetILNS1_3genE2ELNS1_11target_archE906ELNS1_3gpuE6ELNS1_3repE0EEENS1_47radix_sort_onesweep_sort_config_static_selectorELNS0_4arch9wavefront6targetE1EEEvSG_
    .private_segment_fixed_size: 0
    .sgpr_count:     4
    .sgpr_spill_count: 0
    .symbol:         _ZN7rocprim17ROCPRIM_400000_NS6detail17trampoline_kernelINS0_14default_configENS1_35radix_sort_onesweep_config_selectorIllEEZZNS1_29radix_sort_onesweep_iterationIS3_Lb0EPlS7_N6thrust23THRUST_200600_302600_NS10device_ptrIlEESB_jNS0_19identity_decomposerENS1_16block_id_wrapperIjLb1EEEEE10hipError_tT1_PNSt15iterator_traitsISG_E10value_typeET2_T3_PNSH_ISM_E10value_typeET4_T5_PSR_SS_PNS1_23onesweep_lookback_stateEbbT6_jjT7_P12ihipStream_tbENKUlT_T0_SG_SL_E_clIS7_S7_SB_S7_EEDaSZ_S10_SG_SL_EUlSZ_E_NS1_11comp_targetILNS1_3genE2ELNS1_11target_archE906ELNS1_3gpuE6ELNS1_3repE0EEENS1_47radix_sort_onesweep_sort_config_static_selectorELNS0_4arch9wavefront6targetE1EEEvSG_.kd
    .uniform_work_group_size: 1
    .uses_dynamic_stack: false
    .vgpr_count:     0
    .vgpr_spill_count: 0
    .wavefront_size: 64
  - .agpr_count:     0
    .args:
      - .offset:         0
        .size:           88
        .value_kind:     by_value
      - .offset:         88
        .size:           4
        .value_kind:     hidden_block_count_x
      - .offset:         92
        .size:           4
        .value_kind:     hidden_block_count_y
      - .offset:         96
        .size:           4
        .value_kind:     hidden_block_count_z
      - .offset:         100
        .size:           2
        .value_kind:     hidden_group_size_x
      - .offset:         102
        .size:           2
        .value_kind:     hidden_group_size_y
      - .offset:         104
        .size:           2
        .value_kind:     hidden_group_size_z
      - .offset:         106
        .size:           2
        .value_kind:     hidden_remainder_x
      - .offset:         108
        .size:           2
        .value_kind:     hidden_remainder_y
      - .offset:         110
        .size:           2
        .value_kind:     hidden_remainder_z
      - .offset:         128
        .size:           8
        .value_kind:     hidden_global_offset_x
      - .offset:         136
        .size:           8
        .value_kind:     hidden_global_offset_y
      - .offset:         144
        .size:           8
        .value_kind:     hidden_global_offset_z
      - .offset:         152
        .size:           2
        .value_kind:     hidden_grid_dims
    .group_segment_fixed_size: 20552
    .kernarg_segment_align: 8
    .kernarg_segment_size: 344
    .language:       OpenCL C
    .language_version:
      - 2
      - 0
    .max_flat_workgroup_size: 1024
    .name:           _ZN7rocprim17ROCPRIM_400000_NS6detail17trampoline_kernelINS0_14default_configENS1_35radix_sort_onesweep_config_selectorIllEEZZNS1_29radix_sort_onesweep_iterationIS3_Lb0EPlS7_N6thrust23THRUST_200600_302600_NS10device_ptrIlEESB_jNS0_19identity_decomposerENS1_16block_id_wrapperIjLb1EEEEE10hipError_tT1_PNSt15iterator_traitsISG_E10value_typeET2_T3_PNSH_ISM_E10value_typeET4_T5_PSR_SS_PNS1_23onesweep_lookback_stateEbbT6_jjT7_P12ihipStream_tbENKUlT_T0_SG_SL_E_clIS7_S7_SB_S7_EEDaSZ_S10_SG_SL_EUlSZ_E_NS1_11comp_targetILNS1_3genE4ELNS1_11target_archE910ELNS1_3gpuE8ELNS1_3repE0EEENS1_47radix_sort_onesweep_sort_config_static_selectorELNS0_4arch9wavefront6targetE1EEEvSG_
    .private_segment_fixed_size: 0
    .sgpr_count:     57
    .sgpr_spill_count: 0
    .symbol:         _ZN7rocprim17ROCPRIM_400000_NS6detail17trampoline_kernelINS0_14default_configENS1_35radix_sort_onesweep_config_selectorIllEEZZNS1_29radix_sort_onesweep_iterationIS3_Lb0EPlS7_N6thrust23THRUST_200600_302600_NS10device_ptrIlEESB_jNS0_19identity_decomposerENS1_16block_id_wrapperIjLb1EEEEE10hipError_tT1_PNSt15iterator_traitsISG_E10value_typeET2_T3_PNSH_ISM_E10value_typeET4_T5_PSR_SS_PNS1_23onesweep_lookback_stateEbbT6_jjT7_P12ihipStream_tbENKUlT_T0_SG_SL_E_clIS7_S7_SB_S7_EEDaSZ_S10_SG_SL_EUlSZ_E_NS1_11comp_targetILNS1_3genE4ELNS1_11target_archE910ELNS1_3gpuE8ELNS1_3repE0EEENS1_47radix_sort_onesweep_sort_config_static_selectorELNS0_4arch9wavefront6targetE1EEEvSG_.kd
    .uniform_work_group_size: 1
    .uses_dynamic_stack: false
    .vgpr_count:     46
    .vgpr_spill_count: 0
    .wavefront_size: 64
  - .agpr_count:     0
    .args:
      - .offset:         0
        .size:           88
        .value_kind:     by_value
    .group_segment_fixed_size: 0
    .kernarg_segment_align: 8
    .kernarg_segment_size: 88
    .language:       OpenCL C
    .language_version:
      - 2
      - 0
    .max_flat_workgroup_size: 512
    .name:           _ZN7rocprim17ROCPRIM_400000_NS6detail17trampoline_kernelINS0_14default_configENS1_35radix_sort_onesweep_config_selectorIllEEZZNS1_29radix_sort_onesweep_iterationIS3_Lb0EPlS7_N6thrust23THRUST_200600_302600_NS10device_ptrIlEESB_jNS0_19identity_decomposerENS1_16block_id_wrapperIjLb1EEEEE10hipError_tT1_PNSt15iterator_traitsISG_E10value_typeET2_T3_PNSH_ISM_E10value_typeET4_T5_PSR_SS_PNS1_23onesweep_lookback_stateEbbT6_jjT7_P12ihipStream_tbENKUlT_T0_SG_SL_E_clIS7_S7_SB_S7_EEDaSZ_S10_SG_SL_EUlSZ_E_NS1_11comp_targetILNS1_3genE3ELNS1_11target_archE908ELNS1_3gpuE7ELNS1_3repE0EEENS1_47radix_sort_onesweep_sort_config_static_selectorELNS0_4arch9wavefront6targetE1EEEvSG_
    .private_segment_fixed_size: 0
    .sgpr_count:     4
    .sgpr_spill_count: 0
    .symbol:         _ZN7rocprim17ROCPRIM_400000_NS6detail17trampoline_kernelINS0_14default_configENS1_35radix_sort_onesweep_config_selectorIllEEZZNS1_29radix_sort_onesweep_iterationIS3_Lb0EPlS7_N6thrust23THRUST_200600_302600_NS10device_ptrIlEESB_jNS0_19identity_decomposerENS1_16block_id_wrapperIjLb1EEEEE10hipError_tT1_PNSt15iterator_traitsISG_E10value_typeET2_T3_PNSH_ISM_E10value_typeET4_T5_PSR_SS_PNS1_23onesweep_lookback_stateEbbT6_jjT7_P12ihipStream_tbENKUlT_T0_SG_SL_E_clIS7_S7_SB_S7_EEDaSZ_S10_SG_SL_EUlSZ_E_NS1_11comp_targetILNS1_3genE3ELNS1_11target_archE908ELNS1_3gpuE7ELNS1_3repE0EEENS1_47radix_sort_onesweep_sort_config_static_selectorELNS0_4arch9wavefront6targetE1EEEvSG_.kd
    .uniform_work_group_size: 1
    .uses_dynamic_stack: false
    .vgpr_count:     0
    .vgpr_spill_count: 0
    .wavefront_size: 64
  - .agpr_count:     0
    .args:
      - .offset:         0
        .size:           88
        .value_kind:     by_value
    .group_segment_fixed_size: 0
    .kernarg_segment_align: 8
    .kernarg_segment_size: 88
    .language:       OpenCL C
    .language_version:
      - 2
      - 0
    .max_flat_workgroup_size: 1024
    .name:           _ZN7rocprim17ROCPRIM_400000_NS6detail17trampoline_kernelINS0_14default_configENS1_35radix_sort_onesweep_config_selectorIllEEZZNS1_29radix_sort_onesweep_iterationIS3_Lb0EPlS7_N6thrust23THRUST_200600_302600_NS10device_ptrIlEESB_jNS0_19identity_decomposerENS1_16block_id_wrapperIjLb1EEEEE10hipError_tT1_PNSt15iterator_traitsISG_E10value_typeET2_T3_PNSH_ISM_E10value_typeET4_T5_PSR_SS_PNS1_23onesweep_lookback_stateEbbT6_jjT7_P12ihipStream_tbENKUlT_T0_SG_SL_E_clIS7_S7_SB_S7_EEDaSZ_S10_SG_SL_EUlSZ_E_NS1_11comp_targetILNS1_3genE10ELNS1_11target_archE1201ELNS1_3gpuE5ELNS1_3repE0EEENS1_47radix_sort_onesweep_sort_config_static_selectorELNS0_4arch9wavefront6targetE1EEEvSG_
    .private_segment_fixed_size: 0
    .sgpr_count:     4
    .sgpr_spill_count: 0
    .symbol:         _ZN7rocprim17ROCPRIM_400000_NS6detail17trampoline_kernelINS0_14default_configENS1_35radix_sort_onesweep_config_selectorIllEEZZNS1_29radix_sort_onesweep_iterationIS3_Lb0EPlS7_N6thrust23THRUST_200600_302600_NS10device_ptrIlEESB_jNS0_19identity_decomposerENS1_16block_id_wrapperIjLb1EEEEE10hipError_tT1_PNSt15iterator_traitsISG_E10value_typeET2_T3_PNSH_ISM_E10value_typeET4_T5_PSR_SS_PNS1_23onesweep_lookback_stateEbbT6_jjT7_P12ihipStream_tbENKUlT_T0_SG_SL_E_clIS7_S7_SB_S7_EEDaSZ_S10_SG_SL_EUlSZ_E_NS1_11comp_targetILNS1_3genE10ELNS1_11target_archE1201ELNS1_3gpuE5ELNS1_3repE0EEENS1_47radix_sort_onesweep_sort_config_static_selectorELNS0_4arch9wavefront6targetE1EEEvSG_.kd
    .uniform_work_group_size: 1
    .uses_dynamic_stack: false
    .vgpr_count:     0
    .vgpr_spill_count: 0
    .wavefront_size: 64
  - .agpr_count:     0
    .args:
      - .offset:         0
        .size:           88
        .value_kind:     by_value
    .group_segment_fixed_size: 0
    .kernarg_segment_align: 8
    .kernarg_segment_size: 88
    .language:       OpenCL C
    .language_version:
      - 2
      - 0
    .max_flat_workgroup_size: 1024
    .name:           _ZN7rocprim17ROCPRIM_400000_NS6detail17trampoline_kernelINS0_14default_configENS1_35radix_sort_onesweep_config_selectorIllEEZZNS1_29radix_sort_onesweep_iterationIS3_Lb0EPlS7_N6thrust23THRUST_200600_302600_NS10device_ptrIlEESB_jNS0_19identity_decomposerENS1_16block_id_wrapperIjLb1EEEEE10hipError_tT1_PNSt15iterator_traitsISG_E10value_typeET2_T3_PNSH_ISM_E10value_typeET4_T5_PSR_SS_PNS1_23onesweep_lookback_stateEbbT6_jjT7_P12ihipStream_tbENKUlT_T0_SG_SL_E_clIS7_S7_SB_S7_EEDaSZ_S10_SG_SL_EUlSZ_E_NS1_11comp_targetILNS1_3genE9ELNS1_11target_archE1100ELNS1_3gpuE3ELNS1_3repE0EEENS1_47radix_sort_onesweep_sort_config_static_selectorELNS0_4arch9wavefront6targetE1EEEvSG_
    .private_segment_fixed_size: 0
    .sgpr_count:     4
    .sgpr_spill_count: 0
    .symbol:         _ZN7rocprim17ROCPRIM_400000_NS6detail17trampoline_kernelINS0_14default_configENS1_35radix_sort_onesweep_config_selectorIllEEZZNS1_29radix_sort_onesweep_iterationIS3_Lb0EPlS7_N6thrust23THRUST_200600_302600_NS10device_ptrIlEESB_jNS0_19identity_decomposerENS1_16block_id_wrapperIjLb1EEEEE10hipError_tT1_PNSt15iterator_traitsISG_E10value_typeET2_T3_PNSH_ISM_E10value_typeET4_T5_PSR_SS_PNS1_23onesweep_lookback_stateEbbT6_jjT7_P12ihipStream_tbENKUlT_T0_SG_SL_E_clIS7_S7_SB_S7_EEDaSZ_S10_SG_SL_EUlSZ_E_NS1_11comp_targetILNS1_3genE9ELNS1_11target_archE1100ELNS1_3gpuE3ELNS1_3repE0EEENS1_47radix_sort_onesweep_sort_config_static_selectorELNS0_4arch9wavefront6targetE1EEEvSG_.kd
    .uniform_work_group_size: 1
    .uses_dynamic_stack: false
    .vgpr_count:     0
    .vgpr_spill_count: 0
    .wavefront_size: 64
  - .agpr_count:     0
    .args:
      - .offset:         0
        .size:           88
        .value_kind:     by_value
    .group_segment_fixed_size: 0
    .kernarg_segment_align: 8
    .kernarg_segment_size: 88
    .language:       OpenCL C
    .language_version:
      - 2
      - 0
    .max_flat_workgroup_size: 1024
    .name:           _ZN7rocprim17ROCPRIM_400000_NS6detail17trampoline_kernelINS0_14default_configENS1_35radix_sort_onesweep_config_selectorIllEEZZNS1_29radix_sort_onesweep_iterationIS3_Lb0EPlS7_N6thrust23THRUST_200600_302600_NS10device_ptrIlEESB_jNS0_19identity_decomposerENS1_16block_id_wrapperIjLb1EEEEE10hipError_tT1_PNSt15iterator_traitsISG_E10value_typeET2_T3_PNSH_ISM_E10value_typeET4_T5_PSR_SS_PNS1_23onesweep_lookback_stateEbbT6_jjT7_P12ihipStream_tbENKUlT_T0_SG_SL_E_clIS7_S7_SB_S7_EEDaSZ_S10_SG_SL_EUlSZ_E_NS1_11comp_targetILNS1_3genE8ELNS1_11target_archE1030ELNS1_3gpuE2ELNS1_3repE0EEENS1_47radix_sort_onesweep_sort_config_static_selectorELNS0_4arch9wavefront6targetE1EEEvSG_
    .private_segment_fixed_size: 0
    .sgpr_count:     4
    .sgpr_spill_count: 0
    .symbol:         _ZN7rocprim17ROCPRIM_400000_NS6detail17trampoline_kernelINS0_14default_configENS1_35radix_sort_onesweep_config_selectorIllEEZZNS1_29radix_sort_onesweep_iterationIS3_Lb0EPlS7_N6thrust23THRUST_200600_302600_NS10device_ptrIlEESB_jNS0_19identity_decomposerENS1_16block_id_wrapperIjLb1EEEEE10hipError_tT1_PNSt15iterator_traitsISG_E10value_typeET2_T3_PNSH_ISM_E10value_typeET4_T5_PSR_SS_PNS1_23onesweep_lookback_stateEbbT6_jjT7_P12ihipStream_tbENKUlT_T0_SG_SL_E_clIS7_S7_SB_S7_EEDaSZ_S10_SG_SL_EUlSZ_E_NS1_11comp_targetILNS1_3genE8ELNS1_11target_archE1030ELNS1_3gpuE2ELNS1_3repE0EEENS1_47radix_sort_onesweep_sort_config_static_selectorELNS0_4arch9wavefront6targetE1EEEvSG_.kd
    .uniform_work_group_size: 1
    .uses_dynamic_stack: false
    .vgpr_count:     0
    .vgpr_spill_count: 0
    .wavefront_size: 64
  - .agpr_count:     0
    .args:
      - .offset:         0
        .size:           88
        .value_kind:     by_value
    .group_segment_fixed_size: 0
    .kernarg_segment_align: 8
    .kernarg_segment_size: 88
    .language:       OpenCL C
    .language_version:
      - 2
      - 0
    .max_flat_workgroup_size: 512
    .name:           _ZN7rocprim17ROCPRIM_400000_NS6detail17trampoline_kernelINS0_14default_configENS1_35radix_sort_onesweep_config_selectorIllEEZZNS1_29radix_sort_onesweep_iterationIS3_Lb0EPlS7_N6thrust23THRUST_200600_302600_NS10device_ptrIlEESB_jNS0_19identity_decomposerENS1_16block_id_wrapperIjLb1EEEEE10hipError_tT1_PNSt15iterator_traitsISG_E10value_typeET2_T3_PNSH_ISM_E10value_typeET4_T5_PSR_SS_PNS1_23onesweep_lookback_stateEbbT6_jjT7_P12ihipStream_tbENKUlT_T0_SG_SL_E_clIS7_S7_S7_SB_EEDaSZ_S10_SG_SL_EUlSZ_E_NS1_11comp_targetILNS1_3genE0ELNS1_11target_archE4294967295ELNS1_3gpuE0ELNS1_3repE0EEENS1_47radix_sort_onesweep_sort_config_static_selectorELNS0_4arch9wavefront6targetE1EEEvSG_
    .private_segment_fixed_size: 0
    .sgpr_count:     4
    .sgpr_spill_count: 0
    .symbol:         _ZN7rocprim17ROCPRIM_400000_NS6detail17trampoline_kernelINS0_14default_configENS1_35radix_sort_onesweep_config_selectorIllEEZZNS1_29radix_sort_onesweep_iterationIS3_Lb0EPlS7_N6thrust23THRUST_200600_302600_NS10device_ptrIlEESB_jNS0_19identity_decomposerENS1_16block_id_wrapperIjLb1EEEEE10hipError_tT1_PNSt15iterator_traitsISG_E10value_typeET2_T3_PNSH_ISM_E10value_typeET4_T5_PSR_SS_PNS1_23onesweep_lookback_stateEbbT6_jjT7_P12ihipStream_tbENKUlT_T0_SG_SL_E_clIS7_S7_S7_SB_EEDaSZ_S10_SG_SL_EUlSZ_E_NS1_11comp_targetILNS1_3genE0ELNS1_11target_archE4294967295ELNS1_3gpuE0ELNS1_3repE0EEENS1_47radix_sort_onesweep_sort_config_static_selectorELNS0_4arch9wavefront6targetE1EEEvSG_.kd
    .uniform_work_group_size: 1
    .uses_dynamic_stack: false
    .vgpr_count:     0
    .vgpr_spill_count: 0
    .wavefront_size: 64
  - .agpr_count:     0
    .args:
      - .offset:         0
        .size:           88
        .value_kind:     by_value
    .group_segment_fixed_size: 0
    .kernarg_segment_align: 8
    .kernarg_segment_size: 88
    .language:       OpenCL C
    .language_version:
      - 2
      - 0
    .max_flat_workgroup_size: 1024
    .name:           _ZN7rocprim17ROCPRIM_400000_NS6detail17trampoline_kernelINS0_14default_configENS1_35radix_sort_onesweep_config_selectorIllEEZZNS1_29radix_sort_onesweep_iterationIS3_Lb0EPlS7_N6thrust23THRUST_200600_302600_NS10device_ptrIlEESB_jNS0_19identity_decomposerENS1_16block_id_wrapperIjLb1EEEEE10hipError_tT1_PNSt15iterator_traitsISG_E10value_typeET2_T3_PNSH_ISM_E10value_typeET4_T5_PSR_SS_PNS1_23onesweep_lookback_stateEbbT6_jjT7_P12ihipStream_tbENKUlT_T0_SG_SL_E_clIS7_S7_S7_SB_EEDaSZ_S10_SG_SL_EUlSZ_E_NS1_11comp_targetILNS1_3genE6ELNS1_11target_archE950ELNS1_3gpuE13ELNS1_3repE0EEENS1_47radix_sort_onesweep_sort_config_static_selectorELNS0_4arch9wavefront6targetE1EEEvSG_
    .private_segment_fixed_size: 0
    .sgpr_count:     4
    .sgpr_spill_count: 0
    .symbol:         _ZN7rocprim17ROCPRIM_400000_NS6detail17trampoline_kernelINS0_14default_configENS1_35radix_sort_onesweep_config_selectorIllEEZZNS1_29radix_sort_onesweep_iterationIS3_Lb0EPlS7_N6thrust23THRUST_200600_302600_NS10device_ptrIlEESB_jNS0_19identity_decomposerENS1_16block_id_wrapperIjLb1EEEEE10hipError_tT1_PNSt15iterator_traitsISG_E10value_typeET2_T3_PNSH_ISM_E10value_typeET4_T5_PSR_SS_PNS1_23onesweep_lookback_stateEbbT6_jjT7_P12ihipStream_tbENKUlT_T0_SG_SL_E_clIS7_S7_S7_SB_EEDaSZ_S10_SG_SL_EUlSZ_E_NS1_11comp_targetILNS1_3genE6ELNS1_11target_archE950ELNS1_3gpuE13ELNS1_3repE0EEENS1_47radix_sort_onesweep_sort_config_static_selectorELNS0_4arch9wavefront6targetE1EEEvSG_.kd
    .uniform_work_group_size: 1
    .uses_dynamic_stack: false
    .vgpr_count:     0
    .vgpr_spill_count: 0
    .wavefront_size: 64
  - .agpr_count:     0
    .args:
      - .offset:         0
        .size:           88
        .value_kind:     by_value
    .group_segment_fixed_size: 0
    .kernarg_segment_align: 8
    .kernarg_segment_size: 88
    .language:       OpenCL C
    .language_version:
      - 2
      - 0
    .max_flat_workgroup_size: 1024
    .name:           _ZN7rocprim17ROCPRIM_400000_NS6detail17trampoline_kernelINS0_14default_configENS1_35radix_sort_onesweep_config_selectorIllEEZZNS1_29radix_sort_onesweep_iterationIS3_Lb0EPlS7_N6thrust23THRUST_200600_302600_NS10device_ptrIlEESB_jNS0_19identity_decomposerENS1_16block_id_wrapperIjLb1EEEEE10hipError_tT1_PNSt15iterator_traitsISG_E10value_typeET2_T3_PNSH_ISM_E10value_typeET4_T5_PSR_SS_PNS1_23onesweep_lookback_stateEbbT6_jjT7_P12ihipStream_tbENKUlT_T0_SG_SL_E_clIS7_S7_S7_SB_EEDaSZ_S10_SG_SL_EUlSZ_E_NS1_11comp_targetILNS1_3genE5ELNS1_11target_archE942ELNS1_3gpuE9ELNS1_3repE0EEENS1_47radix_sort_onesweep_sort_config_static_selectorELNS0_4arch9wavefront6targetE1EEEvSG_
    .private_segment_fixed_size: 0
    .sgpr_count:     4
    .sgpr_spill_count: 0
    .symbol:         _ZN7rocprim17ROCPRIM_400000_NS6detail17trampoline_kernelINS0_14default_configENS1_35radix_sort_onesweep_config_selectorIllEEZZNS1_29radix_sort_onesweep_iterationIS3_Lb0EPlS7_N6thrust23THRUST_200600_302600_NS10device_ptrIlEESB_jNS0_19identity_decomposerENS1_16block_id_wrapperIjLb1EEEEE10hipError_tT1_PNSt15iterator_traitsISG_E10value_typeET2_T3_PNSH_ISM_E10value_typeET4_T5_PSR_SS_PNS1_23onesweep_lookback_stateEbbT6_jjT7_P12ihipStream_tbENKUlT_T0_SG_SL_E_clIS7_S7_S7_SB_EEDaSZ_S10_SG_SL_EUlSZ_E_NS1_11comp_targetILNS1_3genE5ELNS1_11target_archE942ELNS1_3gpuE9ELNS1_3repE0EEENS1_47radix_sort_onesweep_sort_config_static_selectorELNS0_4arch9wavefront6targetE1EEEvSG_.kd
    .uniform_work_group_size: 1
    .uses_dynamic_stack: false
    .vgpr_count:     0
    .vgpr_spill_count: 0
    .wavefront_size: 64
  - .agpr_count:     0
    .args:
      - .offset:         0
        .size:           88
        .value_kind:     by_value
    .group_segment_fixed_size: 0
    .kernarg_segment_align: 8
    .kernarg_segment_size: 88
    .language:       OpenCL C
    .language_version:
      - 2
      - 0
    .max_flat_workgroup_size: 512
    .name:           _ZN7rocprim17ROCPRIM_400000_NS6detail17trampoline_kernelINS0_14default_configENS1_35radix_sort_onesweep_config_selectorIllEEZZNS1_29radix_sort_onesweep_iterationIS3_Lb0EPlS7_N6thrust23THRUST_200600_302600_NS10device_ptrIlEESB_jNS0_19identity_decomposerENS1_16block_id_wrapperIjLb1EEEEE10hipError_tT1_PNSt15iterator_traitsISG_E10value_typeET2_T3_PNSH_ISM_E10value_typeET4_T5_PSR_SS_PNS1_23onesweep_lookback_stateEbbT6_jjT7_P12ihipStream_tbENKUlT_T0_SG_SL_E_clIS7_S7_S7_SB_EEDaSZ_S10_SG_SL_EUlSZ_E_NS1_11comp_targetILNS1_3genE2ELNS1_11target_archE906ELNS1_3gpuE6ELNS1_3repE0EEENS1_47radix_sort_onesweep_sort_config_static_selectorELNS0_4arch9wavefront6targetE1EEEvSG_
    .private_segment_fixed_size: 0
    .sgpr_count:     4
    .sgpr_spill_count: 0
    .symbol:         _ZN7rocprim17ROCPRIM_400000_NS6detail17trampoline_kernelINS0_14default_configENS1_35radix_sort_onesweep_config_selectorIllEEZZNS1_29radix_sort_onesweep_iterationIS3_Lb0EPlS7_N6thrust23THRUST_200600_302600_NS10device_ptrIlEESB_jNS0_19identity_decomposerENS1_16block_id_wrapperIjLb1EEEEE10hipError_tT1_PNSt15iterator_traitsISG_E10value_typeET2_T3_PNSH_ISM_E10value_typeET4_T5_PSR_SS_PNS1_23onesweep_lookback_stateEbbT6_jjT7_P12ihipStream_tbENKUlT_T0_SG_SL_E_clIS7_S7_S7_SB_EEDaSZ_S10_SG_SL_EUlSZ_E_NS1_11comp_targetILNS1_3genE2ELNS1_11target_archE906ELNS1_3gpuE6ELNS1_3repE0EEENS1_47radix_sort_onesweep_sort_config_static_selectorELNS0_4arch9wavefront6targetE1EEEvSG_.kd
    .uniform_work_group_size: 1
    .uses_dynamic_stack: false
    .vgpr_count:     0
    .vgpr_spill_count: 0
    .wavefront_size: 64
  - .agpr_count:     0
    .args:
      - .offset:         0
        .size:           88
        .value_kind:     by_value
      - .offset:         88
        .size:           4
        .value_kind:     hidden_block_count_x
      - .offset:         92
        .size:           4
        .value_kind:     hidden_block_count_y
      - .offset:         96
        .size:           4
        .value_kind:     hidden_block_count_z
      - .offset:         100
        .size:           2
        .value_kind:     hidden_group_size_x
      - .offset:         102
        .size:           2
        .value_kind:     hidden_group_size_y
      - .offset:         104
        .size:           2
        .value_kind:     hidden_group_size_z
      - .offset:         106
        .size:           2
        .value_kind:     hidden_remainder_x
      - .offset:         108
        .size:           2
        .value_kind:     hidden_remainder_y
      - .offset:         110
        .size:           2
        .value_kind:     hidden_remainder_z
      - .offset:         128
        .size:           8
        .value_kind:     hidden_global_offset_x
      - .offset:         136
        .size:           8
        .value_kind:     hidden_global_offset_y
      - .offset:         144
        .size:           8
        .value_kind:     hidden_global_offset_z
      - .offset:         152
        .size:           2
        .value_kind:     hidden_grid_dims
    .group_segment_fixed_size: 20552
    .kernarg_segment_align: 8
    .kernarg_segment_size: 344
    .language:       OpenCL C
    .language_version:
      - 2
      - 0
    .max_flat_workgroup_size: 1024
    .name:           _ZN7rocprim17ROCPRIM_400000_NS6detail17trampoline_kernelINS0_14default_configENS1_35radix_sort_onesweep_config_selectorIllEEZZNS1_29radix_sort_onesweep_iterationIS3_Lb0EPlS7_N6thrust23THRUST_200600_302600_NS10device_ptrIlEESB_jNS0_19identity_decomposerENS1_16block_id_wrapperIjLb1EEEEE10hipError_tT1_PNSt15iterator_traitsISG_E10value_typeET2_T3_PNSH_ISM_E10value_typeET4_T5_PSR_SS_PNS1_23onesweep_lookback_stateEbbT6_jjT7_P12ihipStream_tbENKUlT_T0_SG_SL_E_clIS7_S7_S7_SB_EEDaSZ_S10_SG_SL_EUlSZ_E_NS1_11comp_targetILNS1_3genE4ELNS1_11target_archE910ELNS1_3gpuE8ELNS1_3repE0EEENS1_47radix_sort_onesweep_sort_config_static_selectorELNS0_4arch9wavefront6targetE1EEEvSG_
    .private_segment_fixed_size: 0
    .sgpr_count:     57
    .sgpr_spill_count: 0
    .symbol:         _ZN7rocprim17ROCPRIM_400000_NS6detail17trampoline_kernelINS0_14default_configENS1_35radix_sort_onesweep_config_selectorIllEEZZNS1_29radix_sort_onesweep_iterationIS3_Lb0EPlS7_N6thrust23THRUST_200600_302600_NS10device_ptrIlEESB_jNS0_19identity_decomposerENS1_16block_id_wrapperIjLb1EEEEE10hipError_tT1_PNSt15iterator_traitsISG_E10value_typeET2_T3_PNSH_ISM_E10value_typeET4_T5_PSR_SS_PNS1_23onesweep_lookback_stateEbbT6_jjT7_P12ihipStream_tbENKUlT_T0_SG_SL_E_clIS7_S7_S7_SB_EEDaSZ_S10_SG_SL_EUlSZ_E_NS1_11comp_targetILNS1_3genE4ELNS1_11target_archE910ELNS1_3gpuE8ELNS1_3repE0EEENS1_47radix_sort_onesweep_sort_config_static_selectorELNS0_4arch9wavefront6targetE1EEEvSG_.kd
    .uniform_work_group_size: 1
    .uses_dynamic_stack: false
    .vgpr_count:     46
    .vgpr_spill_count: 0
    .wavefront_size: 64
  - .agpr_count:     0
    .args:
      - .offset:         0
        .size:           88
        .value_kind:     by_value
    .group_segment_fixed_size: 0
    .kernarg_segment_align: 8
    .kernarg_segment_size: 88
    .language:       OpenCL C
    .language_version:
      - 2
      - 0
    .max_flat_workgroup_size: 512
    .name:           _ZN7rocprim17ROCPRIM_400000_NS6detail17trampoline_kernelINS0_14default_configENS1_35radix_sort_onesweep_config_selectorIllEEZZNS1_29radix_sort_onesweep_iterationIS3_Lb0EPlS7_N6thrust23THRUST_200600_302600_NS10device_ptrIlEESB_jNS0_19identity_decomposerENS1_16block_id_wrapperIjLb1EEEEE10hipError_tT1_PNSt15iterator_traitsISG_E10value_typeET2_T3_PNSH_ISM_E10value_typeET4_T5_PSR_SS_PNS1_23onesweep_lookback_stateEbbT6_jjT7_P12ihipStream_tbENKUlT_T0_SG_SL_E_clIS7_S7_S7_SB_EEDaSZ_S10_SG_SL_EUlSZ_E_NS1_11comp_targetILNS1_3genE3ELNS1_11target_archE908ELNS1_3gpuE7ELNS1_3repE0EEENS1_47radix_sort_onesweep_sort_config_static_selectorELNS0_4arch9wavefront6targetE1EEEvSG_
    .private_segment_fixed_size: 0
    .sgpr_count:     4
    .sgpr_spill_count: 0
    .symbol:         _ZN7rocprim17ROCPRIM_400000_NS6detail17trampoline_kernelINS0_14default_configENS1_35radix_sort_onesweep_config_selectorIllEEZZNS1_29radix_sort_onesweep_iterationIS3_Lb0EPlS7_N6thrust23THRUST_200600_302600_NS10device_ptrIlEESB_jNS0_19identity_decomposerENS1_16block_id_wrapperIjLb1EEEEE10hipError_tT1_PNSt15iterator_traitsISG_E10value_typeET2_T3_PNSH_ISM_E10value_typeET4_T5_PSR_SS_PNS1_23onesweep_lookback_stateEbbT6_jjT7_P12ihipStream_tbENKUlT_T0_SG_SL_E_clIS7_S7_S7_SB_EEDaSZ_S10_SG_SL_EUlSZ_E_NS1_11comp_targetILNS1_3genE3ELNS1_11target_archE908ELNS1_3gpuE7ELNS1_3repE0EEENS1_47radix_sort_onesweep_sort_config_static_selectorELNS0_4arch9wavefront6targetE1EEEvSG_.kd
    .uniform_work_group_size: 1
    .uses_dynamic_stack: false
    .vgpr_count:     0
    .vgpr_spill_count: 0
    .wavefront_size: 64
  - .agpr_count:     0
    .args:
      - .offset:         0
        .size:           88
        .value_kind:     by_value
    .group_segment_fixed_size: 0
    .kernarg_segment_align: 8
    .kernarg_segment_size: 88
    .language:       OpenCL C
    .language_version:
      - 2
      - 0
    .max_flat_workgroup_size: 1024
    .name:           _ZN7rocprim17ROCPRIM_400000_NS6detail17trampoline_kernelINS0_14default_configENS1_35radix_sort_onesweep_config_selectorIllEEZZNS1_29radix_sort_onesweep_iterationIS3_Lb0EPlS7_N6thrust23THRUST_200600_302600_NS10device_ptrIlEESB_jNS0_19identity_decomposerENS1_16block_id_wrapperIjLb1EEEEE10hipError_tT1_PNSt15iterator_traitsISG_E10value_typeET2_T3_PNSH_ISM_E10value_typeET4_T5_PSR_SS_PNS1_23onesweep_lookback_stateEbbT6_jjT7_P12ihipStream_tbENKUlT_T0_SG_SL_E_clIS7_S7_S7_SB_EEDaSZ_S10_SG_SL_EUlSZ_E_NS1_11comp_targetILNS1_3genE10ELNS1_11target_archE1201ELNS1_3gpuE5ELNS1_3repE0EEENS1_47radix_sort_onesweep_sort_config_static_selectorELNS0_4arch9wavefront6targetE1EEEvSG_
    .private_segment_fixed_size: 0
    .sgpr_count:     4
    .sgpr_spill_count: 0
    .symbol:         _ZN7rocprim17ROCPRIM_400000_NS6detail17trampoline_kernelINS0_14default_configENS1_35radix_sort_onesweep_config_selectorIllEEZZNS1_29radix_sort_onesweep_iterationIS3_Lb0EPlS7_N6thrust23THRUST_200600_302600_NS10device_ptrIlEESB_jNS0_19identity_decomposerENS1_16block_id_wrapperIjLb1EEEEE10hipError_tT1_PNSt15iterator_traitsISG_E10value_typeET2_T3_PNSH_ISM_E10value_typeET4_T5_PSR_SS_PNS1_23onesweep_lookback_stateEbbT6_jjT7_P12ihipStream_tbENKUlT_T0_SG_SL_E_clIS7_S7_S7_SB_EEDaSZ_S10_SG_SL_EUlSZ_E_NS1_11comp_targetILNS1_3genE10ELNS1_11target_archE1201ELNS1_3gpuE5ELNS1_3repE0EEENS1_47radix_sort_onesweep_sort_config_static_selectorELNS0_4arch9wavefront6targetE1EEEvSG_.kd
    .uniform_work_group_size: 1
    .uses_dynamic_stack: false
    .vgpr_count:     0
    .vgpr_spill_count: 0
    .wavefront_size: 64
  - .agpr_count:     0
    .args:
      - .offset:         0
        .size:           88
        .value_kind:     by_value
    .group_segment_fixed_size: 0
    .kernarg_segment_align: 8
    .kernarg_segment_size: 88
    .language:       OpenCL C
    .language_version:
      - 2
      - 0
    .max_flat_workgroup_size: 1024
    .name:           _ZN7rocprim17ROCPRIM_400000_NS6detail17trampoline_kernelINS0_14default_configENS1_35radix_sort_onesweep_config_selectorIllEEZZNS1_29radix_sort_onesweep_iterationIS3_Lb0EPlS7_N6thrust23THRUST_200600_302600_NS10device_ptrIlEESB_jNS0_19identity_decomposerENS1_16block_id_wrapperIjLb1EEEEE10hipError_tT1_PNSt15iterator_traitsISG_E10value_typeET2_T3_PNSH_ISM_E10value_typeET4_T5_PSR_SS_PNS1_23onesweep_lookback_stateEbbT6_jjT7_P12ihipStream_tbENKUlT_T0_SG_SL_E_clIS7_S7_S7_SB_EEDaSZ_S10_SG_SL_EUlSZ_E_NS1_11comp_targetILNS1_3genE9ELNS1_11target_archE1100ELNS1_3gpuE3ELNS1_3repE0EEENS1_47radix_sort_onesweep_sort_config_static_selectorELNS0_4arch9wavefront6targetE1EEEvSG_
    .private_segment_fixed_size: 0
    .sgpr_count:     4
    .sgpr_spill_count: 0
    .symbol:         _ZN7rocprim17ROCPRIM_400000_NS6detail17trampoline_kernelINS0_14default_configENS1_35radix_sort_onesweep_config_selectorIllEEZZNS1_29radix_sort_onesweep_iterationIS3_Lb0EPlS7_N6thrust23THRUST_200600_302600_NS10device_ptrIlEESB_jNS0_19identity_decomposerENS1_16block_id_wrapperIjLb1EEEEE10hipError_tT1_PNSt15iterator_traitsISG_E10value_typeET2_T3_PNSH_ISM_E10value_typeET4_T5_PSR_SS_PNS1_23onesweep_lookback_stateEbbT6_jjT7_P12ihipStream_tbENKUlT_T0_SG_SL_E_clIS7_S7_S7_SB_EEDaSZ_S10_SG_SL_EUlSZ_E_NS1_11comp_targetILNS1_3genE9ELNS1_11target_archE1100ELNS1_3gpuE3ELNS1_3repE0EEENS1_47radix_sort_onesweep_sort_config_static_selectorELNS0_4arch9wavefront6targetE1EEEvSG_.kd
    .uniform_work_group_size: 1
    .uses_dynamic_stack: false
    .vgpr_count:     0
    .vgpr_spill_count: 0
    .wavefront_size: 64
  - .agpr_count:     0
    .args:
      - .offset:         0
        .size:           88
        .value_kind:     by_value
    .group_segment_fixed_size: 0
    .kernarg_segment_align: 8
    .kernarg_segment_size: 88
    .language:       OpenCL C
    .language_version:
      - 2
      - 0
    .max_flat_workgroup_size: 1024
    .name:           _ZN7rocprim17ROCPRIM_400000_NS6detail17trampoline_kernelINS0_14default_configENS1_35radix_sort_onesweep_config_selectorIllEEZZNS1_29radix_sort_onesweep_iterationIS3_Lb0EPlS7_N6thrust23THRUST_200600_302600_NS10device_ptrIlEESB_jNS0_19identity_decomposerENS1_16block_id_wrapperIjLb1EEEEE10hipError_tT1_PNSt15iterator_traitsISG_E10value_typeET2_T3_PNSH_ISM_E10value_typeET4_T5_PSR_SS_PNS1_23onesweep_lookback_stateEbbT6_jjT7_P12ihipStream_tbENKUlT_T0_SG_SL_E_clIS7_S7_S7_SB_EEDaSZ_S10_SG_SL_EUlSZ_E_NS1_11comp_targetILNS1_3genE8ELNS1_11target_archE1030ELNS1_3gpuE2ELNS1_3repE0EEENS1_47radix_sort_onesweep_sort_config_static_selectorELNS0_4arch9wavefront6targetE1EEEvSG_
    .private_segment_fixed_size: 0
    .sgpr_count:     4
    .sgpr_spill_count: 0
    .symbol:         _ZN7rocprim17ROCPRIM_400000_NS6detail17trampoline_kernelINS0_14default_configENS1_35radix_sort_onesweep_config_selectorIllEEZZNS1_29radix_sort_onesweep_iterationIS3_Lb0EPlS7_N6thrust23THRUST_200600_302600_NS10device_ptrIlEESB_jNS0_19identity_decomposerENS1_16block_id_wrapperIjLb1EEEEE10hipError_tT1_PNSt15iterator_traitsISG_E10value_typeET2_T3_PNSH_ISM_E10value_typeET4_T5_PSR_SS_PNS1_23onesweep_lookback_stateEbbT6_jjT7_P12ihipStream_tbENKUlT_T0_SG_SL_E_clIS7_S7_S7_SB_EEDaSZ_S10_SG_SL_EUlSZ_E_NS1_11comp_targetILNS1_3genE8ELNS1_11target_archE1030ELNS1_3gpuE2ELNS1_3repE0EEENS1_47radix_sort_onesweep_sort_config_static_selectorELNS0_4arch9wavefront6targetE1EEEvSG_.kd
    .uniform_work_group_size: 1
    .uses_dynamic_stack: false
    .vgpr_count:     0
    .vgpr_spill_count: 0
    .wavefront_size: 64
  - .agpr_count:     0
    .args:
      - .offset:         0
        .size:           88
        .value_kind:     by_value
    .group_segment_fixed_size: 0
    .kernarg_segment_align: 8
    .kernarg_segment_size: 88
    .language:       OpenCL C
    .language_version:
      - 2
      - 0
    .max_flat_workgroup_size: 512
    .name:           _ZN7rocprim17ROCPRIM_400000_NS6detail17trampoline_kernelINS0_14default_configENS1_35radix_sort_onesweep_config_selectorIllEEZZNS1_29radix_sort_onesweep_iterationIS3_Lb0EPlS7_N6thrust23THRUST_200600_302600_NS10device_ptrIlEESB_jNS0_19identity_decomposerENS1_16block_id_wrapperIjLb0EEEEE10hipError_tT1_PNSt15iterator_traitsISG_E10value_typeET2_T3_PNSH_ISM_E10value_typeET4_T5_PSR_SS_PNS1_23onesweep_lookback_stateEbbT6_jjT7_P12ihipStream_tbENKUlT_T0_SG_SL_E_clIS7_S7_SB_SB_EEDaSZ_S10_SG_SL_EUlSZ_E_NS1_11comp_targetILNS1_3genE0ELNS1_11target_archE4294967295ELNS1_3gpuE0ELNS1_3repE0EEENS1_47radix_sort_onesweep_sort_config_static_selectorELNS0_4arch9wavefront6targetE1EEEvSG_
    .private_segment_fixed_size: 0
    .sgpr_count:     4
    .sgpr_spill_count: 0
    .symbol:         _ZN7rocprim17ROCPRIM_400000_NS6detail17trampoline_kernelINS0_14default_configENS1_35radix_sort_onesweep_config_selectorIllEEZZNS1_29radix_sort_onesweep_iterationIS3_Lb0EPlS7_N6thrust23THRUST_200600_302600_NS10device_ptrIlEESB_jNS0_19identity_decomposerENS1_16block_id_wrapperIjLb0EEEEE10hipError_tT1_PNSt15iterator_traitsISG_E10value_typeET2_T3_PNSH_ISM_E10value_typeET4_T5_PSR_SS_PNS1_23onesweep_lookback_stateEbbT6_jjT7_P12ihipStream_tbENKUlT_T0_SG_SL_E_clIS7_S7_SB_SB_EEDaSZ_S10_SG_SL_EUlSZ_E_NS1_11comp_targetILNS1_3genE0ELNS1_11target_archE4294967295ELNS1_3gpuE0ELNS1_3repE0EEENS1_47radix_sort_onesweep_sort_config_static_selectorELNS0_4arch9wavefront6targetE1EEEvSG_.kd
    .uniform_work_group_size: 1
    .uses_dynamic_stack: false
    .vgpr_count:     0
    .vgpr_spill_count: 0
    .wavefront_size: 64
  - .agpr_count:     0
    .args:
      - .offset:         0
        .size:           88
        .value_kind:     by_value
    .group_segment_fixed_size: 0
    .kernarg_segment_align: 8
    .kernarg_segment_size: 88
    .language:       OpenCL C
    .language_version:
      - 2
      - 0
    .max_flat_workgroup_size: 1024
    .name:           _ZN7rocprim17ROCPRIM_400000_NS6detail17trampoline_kernelINS0_14default_configENS1_35radix_sort_onesweep_config_selectorIllEEZZNS1_29radix_sort_onesweep_iterationIS3_Lb0EPlS7_N6thrust23THRUST_200600_302600_NS10device_ptrIlEESB_jNS0_19identity_decomposerENS1_16block_id_wrapperIjLb0EEEEE10hipError_tT1_PNSt15iterator_traitsISG_E10value_typeET2_T3_PNSH_ISM_E10value_typeET4_T5_PSR_SS_PNS1_23onesweep_lookback_stateEbbT6_jjT7_P12ihipStream_tbENKUlT_T0_SG_SL_E_clIS7_S7_SB_SB_EEDaSZ_S10_SG_SL_EUlSZ_E_NS1_11comp_targetILNS1_3genE6ELNS1_11target_archE950ELNS1_3gpuE13ELNS1_3repE0EEENS1_47radix_sort_onesweep_sort_config_static_selectorELNS0_4arch9wavefront6targetE1EEEvSG_
    .private_segment_fixed_size: 0
    .sgpr_count:     4
    .sgpr_spill_count: 0
    .symbol:         _ZN7rocprim17ROCPRIM_400000_NS6detail17trampoline_kernelINS0_14default_configENS1_35radix_sort_onesweep_config_selectorIllEEZZNS1_29radix_sort_onesweep_iterationIS3_Lb0EPlS7_N6thrust23THRUST_200600_302600_NS10device_ptrIlEESB_jNS0_19identity_decomposerENS1_16block_id_wrapperIjLb0EEEEE10hipError_tT1_PNSt15iterator_traitsISG_E10value_typeET2_T3_PNSH_ISM_E10value_typeET4_T5_PSR_SS_PNS1_23onesweep_lookback_stateEbbT6_jjT7_P12ihipStream_tbENKUlT_T0_SG_SL_E_clIS7_S7_SB_SB_EEDaSZ_S10_SG_SL_EUlSZ_E_NS1_11comp_targetILNS1_3genE6ELNS1_11target_archE950ELNS1_3gpuE13ELNS1_3repE0EEENS1_47radix_sort_onesweep_sort_config_static_selectorELNS0_4arch9wavefront6targetE1EEEvSG_.kd
    .uniform_work_group_size: 1
    .uses_dynamic_stack: false
    .vgpr_count:     0
    .vgpr_spill_count: 0
    .wavefront_size: 64
  - .agpr_count:     0
    .args:
      - .offset:         0
        .size:           88
        .value_kind:     by_value
    .group_segment_fixed_size: 0
    .kernarg_segment_align: 8
    .kernarg_segment_size: 88
    .language:       OpenCL C
    .language_version:
      - 2
      - 0
    .max_flat_workgroup_size: 1024
    .name:           _ZN7rocprim17ROCPRIM_400000_NS6detail17trampoline_kernelINS0_14default_configENS1_35radix_sort_onesweep_config_selectorIllEEZZNS1_29radix_sort_onesweep_iterationIS3_Lb0EPlS7_N6thrust23THRUST_200600_302600_NS10device_ptrIlEESB_jNS0_19identity_decomposerENS1_16block_id_wrapperIjLb0EEEEE10hipError_tT1_PNSt15iterator_traitsISG_E10value_typeET2_T3_PNSH_ISM_E10value_typeET4_T5_PSR_SS_PNS1_23onesweep_lookback_stateEbbT6_jjT7_P12ihipStream_tbENKUlT_T0_SG_SL_E_clIS7_S7_SB_SB_EEDaSZ_S10_SG_SL_EUlSZ_E_NS1_11comp_targetILNS1_3genE5ELNS1_11target_archE942ELNS1_3gpuE9ELNS1_3repE0EEENS1_47radix_sort_onesweep_sort_config_static_selectorELNS0_4arch9wavefront6targetE1EEEvSG_
    .private_segment_fixed_size: 0
    .sgpr_count:     4
    .sgpr_spill_count: 0
    .symbol:         _ZN7rocprim17ROCPRIM_400000_NS6detail17trampoline_kernelINS0_14default_configENS1_35radix_sort_onesweep_config_selectorIllEEZZNS1_29radix_sort_onesweep_iterationIS3_Lb0EPlS7_N6thrust23THRUST_200600_302600_NS10device_ptrIlEESB_jNS0_19identity_decomposerENS1_16block_id_wrapperIjLb0EEEEE10hipError_tT1_PNSt15iterator_traitsISG_E10value_typeET2_T3_PNSH_ISM_E10value_typeET4_T5_PSR_SS_PNS1_23onesweep_lookback_stateEbbT6_jjT7_P12ihipStream_tbENKUlT_T0_SG_SL_E_clIS7_S7_SB_SB_EEDaSZ_S10_SG_SL_EUlSZ_E_NS1_11comp_targetILNS1_3genE5ELNS1_11target_archE942ELNS1_3gpuE9ELNS1_3repE0EEENS1_47radix_sort_onesweep_sort_config_static_selectorELNS0_4arch9wavefront6targetE1EEEvSG_.kd
    .uniform_work_group_size: 1
    .uses_dynamic_stack: false
    .vgpr_count:     0
    .vgpr_spill_count: 0
    .wavefront_size: 64
  - .agpr_count:     0
    .args:
      - .offset:         0
        .size:           88
        .value_kind:     by_value
    .group_segment_fixed_size: 0
    .kernarg_segment_align: 8
    .kernarg_segment_size: 88
    .language:       OpenCL C
    .language_version:
      - 2
      - 0
    .max_flat_workgroup_size: 512
    .name:           _ZN7rocprim17ROCPRIM_400000_NS6detail17trampoline_kernelINS0_14default_configENS1_35radix_sort_onesweep_config_selectorIllEEZZNS1_29radix_sort_onesweep_iterationIS3_Lb0EPlS7_N6thrust23THRUST_200600_302600_NS10device_ptrIlEESB_jNS0_19identity_decomposerENS1_16block_id_wrapperIjLb0EEEEE10hipError_tT1_PNSt15iterator_traitsISG_E10value_typeET2_T3_PNSH_ISM_E10value_typeET4_T5_PSR_SS_PNS1_23onesweep_lookback_stateEbbT6_jjT7_P12ihipStream_tbENKUlT_T0_SG_SL_E_clIS7_S7_SB_SB_EEDaSZ_S10_SG_SL_EUlSZ_E_NS1_11comp_targetILNS1_3genE2ELNS1_11target_archE906ELNS1_3gpuE6ELNS1_3repE0EEENS1_47radix_sort_onesweep_sort_config_static_selectorELNS0_4arch9wavefront6targetE1EEEvSG_
    .private_segment_fixed_size: 0
    .sgpr_count:     4
    .sgpr_spill_count: 0
    .symbol:         _ZN7rocprim17ROCPRIM_400000_NS6detail17trampoline_kernelINS0_14default_configENS1_35radix_sort_onesweep_config_selectorIllEEZZNS1_29radix_sort_onesweep_iterationIS3_Lb0EPlS7_N6thrust23THRUST_200600_302600_NS10device_ptrIlEESB_jNS0_19identity_decomposerENS1_16block_id_wrapperIjLb0EEEEE10hipError_tT1_PNSt15iterator_traitsISG_E10value_typeET2_T3_PNSH_ISM_E10value_typeET4_T5_PSR_SS_PNS1_23onesweep_lookback_stateEbbT6_jjT7_P12ihipStream_tbENKUlT_T0_SG_SL_E_clIS7_S7_SB_SB_EEDaSZ_S10_SG_SL_EUlSZ_E_NS1_11comp_targetILNS1_3genE2ELNS1_11target_archE906ELNS1_3gpuE6ELNS1_3repE0EEENS1_47radix_sort_onesweep_sort_config_static_selectorELNS0_4arch9wavefront6targetE1EEEvSG_.kd
    .uniform_work_group_size: 1
    .uses_dynamic_stack: false
    .vgpr_count:     0
    .vgpr_spill_count: 0
    .wavefront_size: 64
  - .agpr_count:     0
    .args:
      - .offset:         0
        .size:           88
        .value_kind:     by_value
      - .offset:         88
        .size:           4
        .value_kind:     hidden_block_count_x
      - .offset:         92
        .size:           4
        .value_kind:     hidden_block_count_y
      - .offset:         96
        .size:           4
        .value_kind:     hidden_block_count_z
      - .offset:         100
        .size:           2
        .value_kind:     hidden_group_size_x
      - .offset:         102
        .size:           2
        .value_kind:     hidden_group_size_y
      - .offset:         104
        .size:           2
        .value_kind:     hidden_group_size_z
      - .offset:         106
        .size:           2
        .value_kind:     hidden_remainder_x
      - .offset:         108
        .size:           2
        .value_kind:     hidden_remainder_y
      - .offset:         110
        .size:           2
        .value_kind:     hidden_remainder_z
      - .offset:         128
        .size:           8
        .value_kind:     hidden_global_offset_x
      - .offset:         136
        .size:           8
        .value_kind:     hidden_global_offset_y
      - .offset:         144
        .size:           8
        .value_kind:     hidden_global_offset_z
      - .offset:         152
        .size:           2
        .value_kind:     hidden_grid_dims
    .group_segment_fixed_size: 20552
    .kernarg_segment_align: 8
    .kernarg_segment_size: 344
    .language:       OpenCL C
    .language_version:
      - 2
      - 0
    .max_flat_workgroup_size: 1024
    .name:           _ZN7rocprim17ROCPRIM_400000_NS6detail17trampoline_kernelINS0_14default_configENS1_35radix_sort_onesweep_config_selectorIllEEZZNS1_29radix_sort_onesweep_iterationIS3_Lb0EPlS7_N6thrust23THRUST_200600_302600_NS10device_ptrIlEESB_jNS0_19identity_decomposerENS1_16block_id_wrapperIjLb0EEEEE10hipError_tT1_PNSt15iterator_traitsISG_E10value_typeET2_T3_PNSH_ISM_E10value_typeET4_T5_PSR_SS_PNS1_23onesweep_lookback_stateEbbT6_jjT7_P12ihipStream_tbENKUlT_T0_SG_SL_E_clIS7_S7_SB_SB_EEDaSZ_S10_SG_SL_EUlSZ_E_NS1_11comp_targetILNS1_3genE4ELNS1_11target_archE910ELNS1_3gpuE8ELNS1_3repE0EEENS1_47radix_sort_onesweep_sort_config_static_selectorELNS0_4arch9wavefront6targetE1EEEvSG_
    .private_segment_fixed_size: 0
    .sgpr_count:     54
    .sgpr_spill_count: 0
    .symbol:         _ZN7rocprim17ROCPRIM_400000_NS6detail17trampoline_kernelINS0_14default_configENS1_35radix_sort_onesweep_config_selectorIllEEZZNS1_29radix_sort_onesweep_iterationIS3_Lb0EPlS7_N6thrust23THRUST_200600_302600_NS10device_ptrIlEESB_jNS0_19identity_decomposerENS1_16block_id_wrapperIjLb0EEEEE10hipError_tT1_PNSt15iterator_traitsISG_E10value_typeET2_T3_PNSH_ISM_E10value_typeET4_T5_PSR_SS_PNS1_23onesweep_lookback_stateEbbT6_jjT7_P12ihipStream_tbENKUlT_T0_SG_SL_E_clIS7_S7_SB_SB_EEDaSZ_S10_SG_SL_EUlSZ_E_NS1_11comp_targetILNS1_3genE4ELNS1_11target_archE910ELNS1_3gpuE8ELNS1_3repE0EEENS1_47radix_sort_onesweep_sort_config_static_selectorELNS0_4arch9wavefront6targetE1EEEvSG_.kd
    .uniform_work_group_size: 1
    .uses_dynamic_stack: false
    .vgpr_count:     46
    .vgpr_spill_count: 0
    .wavefront_size: 64
  - .agpr_count:     0
    .args:
      - .offset:         0
        .size:           88
        .value_kind:     by_value
    .group_segment_fixed_size: 0
    .kernarg_segment_align: 8
    .kernarg_segment_size: 88
    .language:       OpenCL C
    .language_version:
      - 2
      - 0
    .max_flat_workgroup_size: 512
    .name:           _ZN7rocprim17ROCPRIM_400000_NS6detail17trampoline_kernelINS0_14default_configENS1_35radix_sort_onesweep_config_selectorIllEEZZNS1_29radix_sort_onesweep_iterationIS3_Lb0EPlS7_N6thrust23THRUST_200600_302600_NS10device_ptrIlEESB_jNS0_19identity_decomposerENS1_16block_id_wrapperIjLb0EEEEE10hipError_tT1_PNSt15iterator_traitsISG_E10value_typeET2_T3_PNSH_ISM_E10value_typeET4_T5_PSR_SS_PNS1_23onesweep_lookback_stateEbbT6_jjT7_P12ihipStream_tbENKUlT_T0_SG_SL_E_clIS7_S7_SB_SB_EEDaSZ_S10_SG_SL_EUlSZ_E_NS1_11comp_targetILNS1_3genE3ELNS1_11target_archE908ELNS1_3gpuE7ELNS1_3repE0EEENS1_47radix_sort_onesweep_sort_config_static_selectorELNS0_4arch9wavefront6targetE1EEEvSG_
    .private_segment_fixed_size: 0
    .sgpr_count:     4
    .sgpr_spill_count: 0
    .symbol:         _ZN7rocprim17ROCPRIM_400000_NS6detail17trampoline_kernelINS0_14default_configENS1_35radix_sort_onesweep_config_selectorIllEEZZNS1_29radix_sort_onesweep_iterationIS3_Lb0EPlS7_N6thrust23THRUST_200600_302600_NS10device_ptrIlEESB_jNS0_19identity_decomposerENS1_16block_id_wrapperIjLb0EEEEE10hipError_tT1_PNSt15iterator_traitsISG_E10value_typeET2_T3_PNSH_ISM_E10value_typeET4_T5_PSR_SS_PNS1_23onesweep_lookback_stateEbbT6_jjT7_P12ihipStream_tbENKUlT_T0_SG_SL_E_clIS7_S7_SB_SB_EEDaSZ_S10_SG_SL_EUlSZ_E_NS1_11comp_targetILNS1_3genE3ELNS1_11target_archE908ELNS1_3gpuE7ELNS1_3repE0EEENS1_47radix_sort_onesweep_sort_config_static_selectorELNS0_4arch9wavefront6targetE1EEEvSG_.kd
    .uniform_work_group_size: 1
    .uses_dynamic_stack: false
    .vgpr_count:     0
    .vgpr_spill_count: 0
    .wavefront_size: 64
  - .agpr_count:     0
    .args:
      - .offset:         0
        .size:           88
        .value_kind:     by_value
    .group_segment_fixed_size: 0
    .kernarg_segment_align: 8
    .kernarg_segment_size: 88
    .language:       OpenCL C
    .language_version:
      - 2
      - 0
    .max_flat_workgroup_size: 1024
    .name:           _ZN7rocprim17ROCPRIM_400000_NS6detail17trampoline_kernelINS0_14default_configENS1_35radix_sort_onesweep_config_selectorIllEEZZNS1_29radix_sort_onesweep_iterationIS3_Lb0EPlS7_N6thrust23THRUST_200600_302600_NS10device_ptrIlEESB_jNS0_19identity_decomposerENS1_16block_id_wrapperIjLb0EEEEE10hipError_tT1_PNSt15iterator_traitsISG_E10value_typeET2_T3_PNSH_ISM_E10value_typeET4_T5_PSR_SS_PNS1_23onesweep_lookback_stateEbbT6_jjT7_P12ihipStream_tbENKUlT_T0_SG_SL_E_clIS7_S7_SB_SB_EEDaSZ_S10_SG_SL_EUlSZ_E_NS1_11comp_targetILNS1_3genE10ELNS1_11target_archE1201ELNS1_3gpuE5ELNS1_3repE0EEENS1_47radix_sort_onesweep_sort_config_static_selectorELNS0_4arch9wavefront6targetE1EEEvSG_
    .private_segment_fixed_size: 0
    .sgpr_count:     4
    .sgpr_spill_count: 0
    .symbol:         _ZN7rocprim17ROCPRIM_400000_NS6detail17trampoline_kernelINS0_14default_configENS1_35radix_sort_onesweep_config_selectorIllEEZZNS1_29radix_sort_onesweep_iterationIS3_Lb0EPlS7_N6thrust23THRUST_200600_302600_NS10device_ptrIlEESB_jNS0_19identity_decomposerENS1_16block_id_wrapperIjLb0EEEEE10hipError_tT1_PNSt15iterator_traitsISG_E10value_typeET2_T3_PNSH_ISM_E10value_typeET4_T5_PSR_SS_PNS1_23onesweep_lookback_stateEbbT6_jjT7_P12ihipStream_tbENKUlT_T0_SG_SL_E_clIS7_S7_SB_SB_EEDaSZ_S10_SG_SL_EUlSZ_E_NS1_11comp_targetILNS1_3genE10ELNS1_11target_archE1201ELNS1_3gpuE5ELNS1_3repE0EEENS1_47radix_sort_onesweep_sort_config_static_selectorELNS0_4arch9wavefront6targetE1EEEvSG_.kd
    .uniform_work_group_size: 1
    .uses_dynamic_stack: false
    .vgpr_count:     0
    .vgpr_spill_count: 0
    .wavefront_size: 64
  - .agpr_count:     0
    .args:
      - .offset:         0
        .size:           88
        .value_kind:     by_value
    .group_segment_fixed_size: 0
    .kernarg_segment_align: 8
    .kernarg_segment_size: 88
    .language:       OpenCL C
    .language_version:
      - 2
      - 0
    .max_flat_workgroup_size: 1024
    .name:           _ZN7rocprim17ROCPRIM_400000_NS6detail17trampoline_kernelINS0_14default_configENS1_35radix_sort_onesweep_config_selectorIllEEZZNS1_29radix_sort_onesweep_iterationIS3_Lb0EPlS7_N6thrust23THRUST_200600_302600_NS10device_ptrIlEESB_jNS0_19identity_decomposerENS1_16block_id_wrapperIjLb0EEEEE10hipError_tT1_PNSt15iterator_traitsISG_E10value_typeET2_T3_PNSH_ISM_E10value_typeET4_T5_PSR_SS_PNS1_23onesweep_lookback_stateEbbT6_jjT7_P12ihipStream_tbENKUlT_T0_SG_SL_E_clIS7_S7_SB_SB_EEDaSZ_S10_SG_SL_EUlSZ_E_NS1_11comp_targetILNS1_3genE9ELNS1_11target_archE1100ELNS1_3gpuE3ELNS1_3repE0EEENS1_47radix_sort_onesweep_sort_config_static_selectorELNS0_4arch9wavefront6targetE1EEEvSG_
    .private_segment_fixed_size: 0
    .sgpr_count:     4
    .sgpr_spill_count: 0
    .symbol:         _ZN7rocprim17ROCPRIM_400000_NS6detail17trampoline_kernelINS0_14default_configENS1_35radix_sort_onesweep_config_selectorIllEEZZNS1_29radix_sort_onesweep_iterationIS3_Lb0EPlS7_N6thrust23THRUST_200600_302600_NS10device_ptrIlEESB_jNS0_19identity_decomposerENS1_16block_id_wrapperIjLb0EEEEE10hipError_tT1_PNSt15iterator_traitsISG_E10value_typeET2_T3_PNSH_ISM_E10value_typeET4_T5_PSR_SS_PNS1_23onesweep_lookback_stateEbbT6_jjT7_P12ihipStream_tbENKUlT_T0_SG_SL_E_clIS7_S7_SB_SB_EEDaSZ_S10_SG_SL_EUlSZ_E_NS1_11comp_targetILNS1_3genE9ELNS1_11target_archE1100ELNS1_3gpuE3ELNS1_3repE0EEENS1_47radix_sort_onesweep_sort_config_static_selectorELNS0_4arch9wavefront6targetE1EEEvSG_.kd
    .uniform_work_group_size: 1
    .uses_dynamic_stack: false
    .vgpr_count:     0
    .vgpr_spill_count: 0
    .wavefront_size: 64
  - .agpr_count:     0
    .args:
      - .offset:         0
        .size:           88
        .value_kind:     by_value
    .group_segment_fixed_size: 0
    .kernarg_segment_align: 8
    .kernarg_segment_size: 88
    .language:       OpenCL C
    .language_version:
      - 2
      - 0
    .max_flat_workgroup_size: 1024
    .name:           _ZN7rocprim17ROCPRIM_400000_NS6detail17trampoline_kernelINS0_14default_configENS1_35radix_sort_onesweep_config_selectorIllEEZZNS1_29radix_sort_onesweep_iterationIS3_Lb0EPlS7_N6thrust23THRUST_200600_302600_NS10device_ptrIlEESB_jNS0_19identity_decomposerENS1_16block_id_wrapperIjLb0EEEEE10hipError_tT1_PNSt15iterator_traitsISG_E10value_typeET2_T3_PNSH_ISM_E10value_typeET4_T5_PSR_SS_PNS1_23onesweep_lookback_stateEbbT6_jjT7_P12ihipStream_tbENKUlT_T0_SG_SL_E_clIS7_S7_SB_SB_EEDaSZ_S10_SG_SL_EUlSZ_E_NS1_11comp_targetILNS1_3genE8ELNS1_11target_archE1030ELNS1_3gpuE2ELNS1_3repE0EEENS1_47radix_sort_onesweep_sort_config_static_selectorELNS0_4arch9wavefront6targetE1EEEvSG_
    .private_segment_fixed_size: 0
    .sgpr_count:     4
    .sgpr_spill_count: 0
    .symbol:         _ZN7rocprim17ROCPRIM_400000_NS6detail17trampoline_kernelINS0_14default_configENS1_35radix_sort_onesweep_config_selectorIllEEZZNS1_29radix_sort_onesweep_iterationIS3_Lb0EPlS7_N6thrust23THRUST_200600_302600_NS10device_ptrIlEESB_jNS0_19identity_decomposerENS1_16block_id_wrapperIjLb0EEEEE10hipError_tT1_PNSt15iterator_traitsISG_E10value_typeET2_T3_PNSH_ISM_E10value_typeET4_T5_PSR_SS_PNS1_23onesweep_lookback_stateEbbT6_jjT7_P12ihipStream_tbENKUlT_T0_SG_SL_E_clIS7_S7_SB_SB_EEDaSZ_S10_SG_SL_EUlSZ_E_NS1_11comp_targetILNS1_3genE8ELNS1_11target_archE1030ELNS1_3gpuE2ELNS1_3repE0EEENS1_47radix_sort_onesweep_sort_config_static_selectorELNS0_4arch9wavefront6targetE1EEEvSG_.kd
    .uniform_work_group_size: 1
    .uses_dynamic_stack: false
    .vgpr_count:     0
    .vgpr_spill_count: 0
    .wavefront_size: 64
  - .agpr_count:     0
    .args:
      - .offset:         0
        .size:           88
        .value_kind:     by_value
    .group_segment_fixed_size: 0
    .kernarg_segment_align: 8
    .kernarg_segment_size: 88
    .language:       OpenCL C
    .language_version:
      - 2
      - 0
    .max_flat_workgroup_size: 512
    .name:           _ZN7rocprim17ROCPRIM_400000_NS6detail17trampoline_kernelINS0_14default_configENS1_35radix_sort_onesweep_config_selectorIllEEZZNS1_29radix_sort_onesweep_iterationIS3_Lb0EPlS7_N6thrust23THRUST_200600_302600_NS10device_ptrIlEESB_jNS0_19identity_decomposerENS1_16block_id_wrapperIjLb0EEEEE10hipError_tT1_PNSt15iterator_traitsISG_E10value_typeET2_T3_PNSH_ISM_E10value_typeET4_T5_PSR_SS_PNS1_23onesweep_lookback_stateEbbT6_jjT7_P12ihipStream_tbENKUlT_T0_SG_SL_E_clIS7_S7_SB_S7_EEDaSZ_S10_SG_SL_EUlSZ_E_NS1_11comp_targetILNS1_3genE0ELNS1_11target_archE4294967295ELNS1_3gpuE0ELNS1_3repE0EEENS1_47radix_sort_onesweep_sort_config_static_selectorELNS0_4arch9wavefront6targetE1EEEvSG_
    .private_segment_fixed_size: 0
    .sgpr_count:     4
    .sgpr_spill_count: 0
    .symbol:         _ZN7rocprim17ROCPRIM_400000_NS6detail17trampoline_kernelINS0_14default_configENS1_35radix_sort_onesweep_config_selectorIllEEZZNS1_29radix_sort_onesweep_iterationIS3_Lb0EPlS7_N6thrust23THRUST_200600_302600_NS10device_ptrIlEESB_jNS0_19identity_decomposerENS1_16block_id_wrapperIjLb0EEEEE10hipError_tT1_PNSt15iterator_traitsISG_E10value_typeET2_T3_PNSH_ISM_E10value_typeET4_T5_PSR_SS_PNS1_23onesweep_lookback_stateEbbT6_jjT7_P12ihipStream_tbENKUlT_T0_SG_SL_E_clIS7_S7_SB_S7_EEDaSZ_S10_SG_SL_EUlSZ_E_NS1_11comp_targetILNS1_3genE0ELNS1_11target_archE4294967295ELNS1_3gpuE0ELNS1_3repE0EEENS1_47radix_sort_onesweep_sort_config_static_selectorELNS0_4arch9wavefront6targetE1EEEvSG_.kd
    .uniform_work_group_size: 1
    .uses_dynamic_stack: false
    .vgpr_count:     0
    .vgpr_spill_count: 0
    .wavefront_size: 64
  - .agpr_count:     0
    .args:
      - .offset:         0
        .size:           88
        .value_kind:     by_value
    .group_segment_fixed_size: 0
    .kernarg_segment_align: 8
    .kernarg_segment_size: 88
    .language:       OpenCL C
    .language_version:
      - 2
      - 0
    .max_flat_workgroup_size: 1024
    .name:           _ZN7rocprim17ROCPRIM_400000_NS6detail17trampoline_kernelINS0_14default_configENS1_35radix_sort_onesweep_config_selectorIllEEZZNS1_29radix_sort_onesweep_iterationIS3_Lb0EPlS7_N6thrust23THRUST_200600_302600_NS10device_ptrIlEESB_jNS0_19identity_decomposerENS1_16block_id_wrapperIjLb0EEEEE10hipError_tT1_PNSt15iterator_traitsISG_E10value_typeET2_T3_PNSH_ISM_E10value_typeET4_T5_PSR_SS_PNS1_23onesweep_lookback_stateEbbT6_jjT7_P12ihipStream_tbENKUlT_T0_SG_SL_E_clIS7_S7_SB_S7_EEDaSZ_S10_SG_SL_EUlSZ_E_NS1_11comp_targetILNS1_3genE6ELNS1_11target_archE950ELNS1_3gpuE13ELNS1_3repE0EEENS1_47radix_sort_onesweep_sort_config_static_selectorELNS0_4arch9wavefront6targetE1EEEvSG_
    .private_segment_fixed_size: 0
    .sgpr_count:     4
    .sgpr_spill_count: 0
    .symbol:         _ZN7rocprim17ROCPRIM_400000_NS6detail17trampoline_kernelINS0_14default_configENS1_35radix_sort_onesweep_config_selectorIllEEZZNS1_29radix_sort_onesweep_iterationIS3_Lb0EPlS7_N6thrust23THRUST_200600_302600_NS10device_ptrIlEESB_jNS0_19identity_decomposerENS1_16block_id_wrapperIjLb0EEEEE10hipError_tT1_PNSt15iterator_traitsISG_E10value_typeET2_T3_PNSH_ISM_E10value_typeET4_T5_PSR_SS_PNS1_23onesweep_lookback_stateEbbT6_jjT7_P12ihipStream_tbENKUlT_T0_SG_SL_E_clIS7_S7_SB_S7_EEDaSZ_S10_SG_SL_EUlSZ_E_NS1_11comp_targetILNS1_3genE6ELNS1_11target_archE950ELNS1_3gpuE13ELNS1_3repE0EEENS1_47radix_sort_onesweep_sort_config_static_selectorELNS0_4arch9wavefront6targetE1EEEvSG_.kd
    .uniform_work_group_size: 1
    .uses_dynamic_stack: false
    .vgpr_count:     0
    .vgpr_spill_count: 0
    .wavefront_size: 64
  - .agpr_count:     0
    .args:
      - .offset:         0
        .size:           88
        .value_kind:     by_value
    .group_segment_fixed_size: 0
    .kernarg_segment_align: 8
    .kernarg_segment_size: 88
    .language:       OpenCL C
    .language_version:
      - 2
      - 0
    .max_flat_workgroup_size: 1024
    .name:           _ZN7rocprim17ROCPRIM_400000_NS6detail17trampoline_kernelINS0_14default_configENS1_35radix_sort_onesweep_config_selectorIllEEZZNS1_29radix_sort_onesweep_iterationIS3_Lb0EPlS7_N6thrust23THRUST_200600_302600_NS10device_ptrIlEESB_jNS0_19identity_decomposerENS1_16block_id_wrapperIjLb0EEEEE10hipError_tT1_PNSt15iterator_traitsISG_E10value_typeET2_T3_PNSH_ISM_E10value_typeET4_T5_PSR_SS_PNS1_23onesweep_lookback_stateEbbT6_jjT7_P12ihipStream_tbENKUlT_T0_SG_SL_E_clIS7_S7_SB_S7_EEDaSZ_S10_SG_SL_EUlSZ_E_NS1_11comp_targetILNS1_3genE5ELNS1_11target_archE942ELNS1_3gpuE9ELNS1_3repE0EEENS1_47radix_sort_onesweep_sort_config_static_selectorELNS0_4arch9wavefront6targetE1EEEvSG_
    .private_segment_fixed_size: 0
    .sgpr_count:     4
    .sgpr_spill_count: 0
    .symbol:         _ZN7rocprim17ROCPRIM_400000_NS6detail17trampoline_kernelINS0_14default_configENS1_35radix_sort_onesweep_config_selectorIllEEZZNS1_29radix_sort_onesweep_iterationIS3_Lb0EPlS7_N6thrust23THRUST_200600_302600_NS10device_ptrIlEESB_jNS0_19identity_decomposerENS1_16block_id_wrapperIjLb0EEEEE10hipError_tT1_PNSt15iterator_traitsISG_E10value_typeET2_T3_PNSH_ISM_E10value_typeET4_T5_PSR_SS_PNS1_23onesweep_lookback_stateEbbT6_jjT7_P12ihipStream_tbENKUlT_T0_SG_SL_E_clIS7_S7_SB_S7_EEDaSZ_S10_SG_SL_EUlSZ_E_NS1_11comp_targetILNS1_3genE5ELNS1_11target_archE942ELNS1_3gpuE9ELNS1_3repE0EEENS1_47radix_sort_onesweep_sort_config_static_selectorELNS0_4arch9wavefront6targetE1EEEvSG_.kd
    .uniform_work_group_size: 1
    .uses_dynamic_stack: false
    .vgpr_count:     0
    .vgpr_spill_count: 0
    .wavefront_size: 64
  - .agpr_count:     0
    .args:
      - .offset:         0
        .size:           88
        .value_kind:     by_value
    .group_segment_fixed_size: 0
    .kernarg_segment_align: 8
    .kernarg_segment_size: 88
    .language:       OpenCL C
    .language_version:
      - 2
      - 0
    .max_flat_workgroup_size: 512
    .name:           _ZN7rocprim17ROCPRIM_400000_NS6detail17trampoline_kernelINS0_14default_configENS1_35radix_sort_onesweep_config_selectorIllEEZZNS1_29radix_sort_onesweep_iterationIS3_Lb0EPlS7_N6thrust23THRUST_200600_302600_NS10device_ptrIlEESB_jNS0_19identity_decomposerENS1_16block_id_wrapperIjLb0EEEEE10hipError_tT1_PNSt15iterator_traitsISG_E10value_typeET2_T3_PNSH_ISM_E10value_typeET4_T5_PSR_SS_PNS1_23onesweep_lookback_stateEbbT6_jjT7_P12ihipStream_tbENKUlT_T0_SG_SL_E_clIS7_S7_SB_S7_EEDaSZ_S10_SG_SL_EUlSZ_E_NS1_11comp_targetILNS1_3genE2ELNS1_11target_archE906ELNS1_3gpuE6ELNS1_3repE0EEENS1_47radix_sort_onesweep_sort_config_static_selectorELNS0_4arch9wavefront6targetE1EEEvSG_
    .private_segment_fixed_size: 0
    .sgpr_count:     4
    .sgpr_spill_count: 0
    .symbol:         _ZN7rocprim17ROCPRIM_400000_NS6detail17trampoline_kernelINS0_14default_configENS1_35radix_sort_onesweep_config_selectorIllEEZZNS1_29radix_sort_onesweep_iterationIS3_Lb0EPlS7_N6thrust23THRUST_200600_302600_NS10device_ptrIlEESB_jNS0_19identity_decomposerENS1_16block_id_wrapperIjLb0EEEEE10hipError_tT1_PNSt15iterator_traitsISG_E10value_typeET2_T3_PNSH_ISM_E10value_typeET4_T5_PSR_SS_PNS1_23onesweep_lookback_stateEbbT6_jjT7_P12ihipStream_tbENKUlT_T0_SG_SL_E_clIS7_S7_SB_S7_EEDaSZ_S10_SG_SL_EUlSZ_E_NS1_11comp_targetILNS1_3genE2ELNS1_11target_archE906ELNS1_3gpuE6ELNS1_3repE0EEENS1_47radix_sort_onesweep_sort_config_static_selectorELNS0_4arch9wavefront6targetE1EEEvSG_.kd
    .uniform_work_group_size: 1
    .uses_dynamic_stack: false
    .vgpr_count:     0
    .vgpr_spill_count: 0
    .wavefront_size: 64
  - .agpr_count:     0
    .args:
      - .offset:         0
        .size:           88
        .value_kind:     by_value
      - .offset:         88
        .size:           4
        .value_kind:     hidden_block_count_x
      - .offset:         92
        .size:           4
        .value_kind:     hidden_block_count_y
      - .offset:         96
        .size:           4
        .value_kind:     hidden_block_count_z
      - .offset:         100
        .size:           2
        .value_kind:     hidden_group_size_x
      - .offset:         102
        .size:           2
        .value_kind:     hidden_group_size_y
      - .offset:         104
        .size:           2
        .value_kind:     hidden_group_size_z
      - .offset:         106
        .size:           2
        .value_kind:     hidden_remainder_x
      - .offset:         108
        .size:           2
        .value_kind:     hidden_remainder_y
      - .offset:         110
        .size:           2
        .value_kind:     hidden_remainder_z
      - .offset:         128
        .size:           8
        .value_kind:     hidden_global_offset_x
      - .offset:         136
        .size:           8
        .value_kind:     hidden_global_offset_y
      - .offset:         144
        .size:           8
        .value_kind:     hidden_global_offset_z
      - .offset:         152
        .size:           2
        .value_kind:     hidden_grid_dims
    .group_segment_fixed_size: 20552
    .kernarg_segment_align: 8
    .kernarg_segment_size: 344
    .language:       OpenCL C
    .language_version:
      - 2
      - 0
    .max_flat_workgroup_size: 1024
    .name:           _ZN7rocprim17ROCPRIM_400000_NS6detail17trampoline_kernelINS0_14default_configENS1_35radix_sort_onesweep_config_selectorIllEEZZNS1_29radix_sort_onesweep_iterationIS3_Lb0EPlS7_N6thrust23THRUST_200600_302600_NS10device_ptrIlEESB_jNS0_19identity_decomposerENS1_16block_id_wrapperIjLb0EEEEE10hipError_tT1_PNSt15iterator_traitsISG_E10value_typeET2_T3_PNSH_ISM_E10value_typeET4_T5_PSR_SS_PNS1_23onesweep_lookback_stateEbbT6_jjT7_P12ihipStream_tbENKUlT_T0_SG_SL_E_clIS7_S7_SB_S7_EEDaSZ_S10_SG_SL_EUlSZ_E_NS1_11comp_targetILNS1_3genE4ELNS1_11target_archE910ELNS1_3gpuE8ELNS1_3repE0EEENS1_47radix_sort_onesweep_sort_config_static_selectorELNS0_4arch9wavefront6targetE1EEEvSG_
    .private_segment_fixed_size: 0
    .sgpr_count:     54
    .sgpr_spill_count: 0
    .symbol:         _ZN7rocprim17ROCPRIM_400000_NS6detail17trampoline_kernelINS0_14default_configENS1_35radix_sort_onesweep_config_selectorIllEEZZNS1_29radix_sort_onesweep_iterationIS3_Lb0EPlS7_N6thrust23THRUST_200600_302600_NS10device_ptrIlEESB_jNS0_19identity_decomposerENS1_16block_id_wrapperIjLb0EEEEE10hipError_tT1_PNSt15iterator_traitsISG_E10value_typeET2_T3_PNSH_ISM_E10value_typeET4_T5_PSR_SS_PNS1_23onesweep_lookback_stateEbbT6_jjT7_P12ihipStream_tbENKUlT_T0_SG_SL_E_clIS7_S7_SB_S7_EEDaSZ_S10_SG_SL_EUlSZ_E_NS1_11comp_targetILNS1_3genE4ELNS1_11target_archE910ELNS1_3gpuE8ELNS1_3repE0EEENS1_47radix_sort_onesweep_sort_config_static_selectorELNS0_4arch9wavefront6targetE1EEEvSG_.kd
    .uniform_work_group_size: 1
    .uses_dynamic_stack: false
    .vgpr_count:     46
    .vgpr_spill_count: 0
    .wavefront_size: 64
  - .agpr_count:     0
    .args:
      - .offset:         0
        .size:           88
        .value_kind:     by_value
    .group_segment_fixed_size: 0
    .kernarg_segment_align: 8
    .kernarg_segment_size: 88
    .language:       OpenCL C
    .language_version:
      - 2
      - 0
    .max_flat_workgroup_size: 512
    .name:           _ZN7rocprim17ROCPRIM_400000_NS6detail17trampoline_kernelINS0_14default_configENS1_35radix_sort_onesweep_config_selectorIllEEZZNS1_29radix_sort_onesweep_iterationIS3_Lb0EPlS7_N6thrust23THRUST_200600_302600_NS10device_ptrIlEESB_jNS0_19identity_decomposerENS1_16block_id_wrapperIjLb0EEEEE10hipError_tT1_PNSt15iterator_traitsISG_E10value_typeET2_T3_PNSH_ISM_E10value_typeET4_T5_PSR_SS_PNS1_23onesweep_lookback_stateEbbT6_jjT7_P12ihipStream_tbENKUlT_T0_SG_SL_E_clIS7_S7_SB_S7_EEDaSZ_S10_SG_SL_EUlSZ_E_NS1_11comp_targetILNS1_3genE3ELNS1_11target_archE908ELNS1_3gpuE7ELNS1_3repE0EEENS1_47radix_sort_onesweep_sort_config_static_selectorELNS0_4arch9wavefront6targetE1EEEvSG_
    .private_segment_fixed_size: 0
    .sgpr_count:     4
    .sgpr_spill_count: 0
    .symbol:         _ZN7rocprim17ROCPRIM_400000_NS6detail17trampoline_kernelINS0_14default_configENS1_35radix_sort_onesweep_config_selectorIllEEZZNS1_29radix_sort_onesweep_iterationIS3_Lb0EPlS7_N6thrust23THRUST_200600_302600_NS10device_ptrIlEESB_jNS0_19identity_decomposerENS1_16block_id_wrapperIjLb0EEEEE10hipError_tT1_PNSt15iterator_traitsISG_E10value_typeET2_T3_PNSH_ISM_E10value_typeET4_T5_PSR_SS_PNS1_23onesweep_lookback_stateEbbT6_jjT7_P12ihipStream_tbENKUlT_T0_SG_SL_E_clIS7_S7_SB_S7_EEDaSZ_S10_SG_SL_EUlSZ_E_NS1_11comp_targetILNS1_3genE3ELNS1_11target_archE908ELNS1_3gpuE7ELNS1_3repE0EEENS1_47radix_sort_onesweep_sort_config_static_selectorELNS0_4arch9wavefront6targetE1EEEvSG_.kd
    .uniform_work_group_size: 1
    .uses_dynamic_stack: false
    .vgpr_count:     0
    .vgpr_spill_count: 0
    .wavefront_size: 64
  - .agpr_count:     0
    .args:
      - .offset:         0
        .size:           88
        .value_kind:     by_value
    .group_segment_fixed_size: 0
    .kernarg_segment_align: 8
    .kernarg_segment_size: 88
    .language:       OpenCL C
    .language_version:
      - 2
      - 0
    .max_flat_workgroup_size: 1024
    .name:           _ZN7rocprim17ROCPRIM_400000_NS6detail17trampoline_kernelINS0_14default_configENS1_35radix_sort_onesweep_config_selectorIllEEZZNS1_29radix_sort_onesweep_iterationIS3_Lb0EPlS7_N6thrust23THRUST_200600_302600_NS10device_ptrIlEESB_jNS0_19identity_decomposerENS1_16block_id_wrapperIjLb0EEEEE10hipError_tT1_PNSt15iterator_traitsISG_E10value_typeET2_T3_PNSH_ISM_E10value_typeET4_T5_PSR_SS_PNS1_23onesweep_lookback_stateEbbT6_jjT7_P12ihipStream_tbENKUlT_T0_SG_SL_E_clIS7_S7_SB_S7_EEDaSZ_S10_SG_SL_EUlSZ_E_NS1_11comp_targetILNS1_3genE10ELNS1_11target_archE1201ELNS1_3gpuE5ELNS1_3repE0EEENS1_47radix_sort_onesweep_sort_config_static_selectorELNS0_4arch9wavefront6targetE1EEEvSG_
    .private_segment_fixed_size: 0
    .sgpr_count:     4
    .sgpr_spill_count: 0
    .symbol:         _ZN7rocprim17ROCPRIM_400000_NS6detail17trampoline_kernelINS0_14default_configENS1_35radix_sort_onesweep_config_selectorIllEEZZNS1_29radix_sort_onesweep_iterationIS3_Lb0EPlS7_N6thrust23THRUST_200600_302600_NS10device_ptrIlEESB_jNS0_19identity_decomposerENS1_16block_id_wrapperIjLb0EEEEE10hipError_tT1_PNSt15iterator_traitsISG_E10value_typeET2_T3_PNSH_ISM_E10value_typeET4_T5_PSR_SS_PNS1_23onesweep_lookback_stateEbbT6_jjT7_P12ihipStream_tbENKUlT_T0_SG_SL_E_clIS7_S7_SB_S7_EEDaSZ_S10_SG_SL_EUlSZ_E_NS1_11comp_targetILNS1_3genE10ELNS1_11target_archE1201ELNS1_3gpuE5ELNS1_3repE0EEENS1_47radix_sort_onesweep_sort_config_static_selectorELNS0_4arch9wavefront6targetE1EEEvSG_.kd
    .uniform_work_group_size: 1
    .uses_dynamic_stack: false
    .vgpr_count:     0
    .vgpr_spill_count: 0
    .wavefront_size: 64
  - .agpr_count:     0
    .args:
      - .offset:         0
        .size:           88
        .value_kind:     by_value
    .group_segment_fixed_size: 0
    .kernarg_segment_align: 8
    .kernarg_segment_size: 88
    .language:       OpenCL C
    .language_version:
      - 2
      - 0
    .max_flat_workgroup_size: 1024
    .name:           _ZN7rocprim17ROCPRIM_400000_NS6detail17trampoline_kernelINS0_14default_configENS1_35radix_sort_onesweep_config_selectorIllEEZZNS1_29radix_sort_onesweep_iterationIS3_Lb0EPlS7_N6thrust23THRUST_200600_302600_NS10device_ptrIlEESB_jNS0_19identity_decomposerENS1_16block_id_wrapperIjLb0EEEEE10hipError_tT1_PNSt15iterator_traitsISG_E10value_typeET2_T3_PNSH_ISM_E10value_typeET4_T5_PSR_SS_PNS1_23onesweep_lookback_stateEbbT6_jjT7_P12ihipStream_tbENKUlT_T0_SG_SL_E_clIS7_S7_SB_S7_EEDaSZ_S10_SG_SL_EUlSZ_E_NS1_11comp_targetILNS1_3genE9ELNS1_11target_archE1100ELNS1_3gpuE3ELNS1_3repE0EEENS1_47radix_sort_onesweep_sort_config_static_selectorELNS0_4arch9wavefront6targetE1EEEvSG_
    .private_segment_fixed_size: 0
    .sgpr_count:     4
    .sgpr_spill_count: 0
    .symbol:         _ZN7rocprim17ROCPRIM_400000_NS6detail17trampoline_kernelINS0_14default_configENS1_35radix_sort_onesweep_config_selectorIllEEZZNS1_29radix_sort_onesweep_iterationIS3_Lb0EPlS7_N6thrust23THRUST_200600_302600_NS10device_ptrIlEESB_jNS0_19identity_decomposerENS1_16block_id_wrapperIjLb0EEEEE10hipError_tT1_PNSt15iterator_traitsISG_E10value_typeET2_T3_PNSH_ISM_E10value_typeET4_T5_PSR_SS_PNS1_23onesweep_lookback_stateEbbT6_jjT7_P12ihipStream_tbENKUlT_T0_SG_SL_E_clIS7_S7_SB_S7_EEDaSZ_S10_SG_SL_EUlSZ_E_NS1_11comp_targetILNS1_3genE9ELNS1_11target_archE1100ELNS1_3gpuE3ELNS1_3repE0EEENS1_47radix_sort_onesweep_sort_config_static_selectorELNS0_4arch9wavefront6targetE1EEEvSG_.kd
    .uniform_work_group_size: 1
    .uses_dynamic_stack: false
    .vgpr_count:     0
    .vgpr_spill_count: 0
    .wavefront_size: 64
  - .agpr_count:     0
    .args:
      - .offset:         0
        .size:           88
        .value_kind:     by_value
    .group_segment_fixed_size: 0
    .kernarg_segment_align: 8
    .kernarg_segment_size: 88
    .language:       OpenCL C
    .language_version:
      - 2
      - 0
    .max_flat_workgroup_size: 1024
    .name:           _ZN7rocprim17ROCPRIM_400000_NS6detail17trampoline_kernelINS0_14default_configENS1_35radix_sort_onesweep_config_selectorIllEEZZNS1_29radix_sort_onesweep_iterationIS3_Lb0EPlS7_N6thrust23THRUST_200600_302600_NS10device_ptrIlEESB_jNS0_19identity_decomposerENS1_16block_id_wrapperIjLb0EEEEE10hipError_tT1_PNSt15iterator_traitsISG_E10value_typeET2_T3_PNSH_ISM_E10value_typeET4_T5_PSR_SS_PNS1_23onesweep_lookback_stateEbbT6_jjT7_P12ihipStream_tbENKUlT_T0_SG_SL_E_clIS7_S7_SB_S7_EEDaSZ_S10_SG_SL_EUlSZ_E_NS1_11comp_targetILNS1_3genE8ELNS1_11target_archE1030ELNS1_3gpuE2ELNS1_3repE0EEENS1_47radix_sort_onesweep_sort_config_static_selectorELNS0_4arch9wavefront6targetE1EEEvSG_
    .private_segment_fixed_size: 0
    .sgpr_count:     4
    .sgpr_spill_count: 0
    .symbol:         _ZN7rocprim17ROCPRIM_400000_NS6detail17trampoline_kernelINS0_14default_configENS1_35radix_sort_onesweep_config_selectorIllEEZZNS1_29radix_sort_onesweep_iterationIS3_Lb0EPlS7_N6thrust23THRUST_200600_302600_NS10device_ptrIlEESB_jNS0_19identity_decomposerENS1_16block_id_wrapperIjLb0EEEEE10hipError_tT1_PNSt15iterator_traitsISG_E10value_typeET2_T3_PNSH_ISM_E10value_typeET4_T5_PSR_SS_PNS1_23onesweep_lookback_stateEbbT6_jjT7_P12ihipStream_tbENKUlT_T0_SG_SL_E_clIS7_S7_SB_S7_EEDaSZ_S10_SG_SL_EUlSZ_E_NS1_11comp_targetILNS1_3genE8ELNS1_11target_archE1030ELNS1_3gpuE2ELNS1_3repE0EEENS1_47radix_sort_onesweep_sort_config_static_selectorELNS0_4arch9wavefront6targetE1EEEvSG_.kd
    .uniform_work_group_size: 1
    .uses_dynamic_stack: false
    .vgpr_count:     0
    .vgpr_spill_count: 0
    .wavefront_size: 64
  - .agpr_count:     0
    .args:
      - .offset:         0
        .size:           88
        .value_kind:     by_value
    .group_segment_fixed_size: 0
    .kernarg_segment_align: 8
    .kernarg_segment_size: 88
    .language:       OpenCL C
    .language_version:
      - 2
      - 0
    .max_flat_workgroup_size: 512
    .name:           _ZN7rocprim17ROCPRIM_400000_NS6detail17trampoline_kernelINS0_14default_configENS1_35radix_sort_onesweep_config_selectorIllEEZZNS1_29radix_sort_onesweep_iterationIS3_Lb0EPlS7_N6thrust23THRUST_200600_302600_NS10device_ptrIlEESB_jNS0_19identity_decomposerENS1_16block_id_wrapperIjLb0EEEEE10hipError_tT1_PNSt15iterator_traitsISG_E10value_typeET2_T3_PNSH_ISM_E10value_typeET4_T5_PSR_SS_PNS1_23onesweep_lookback_stateEbbT6_jjT7_P12ihipStream_tbENKUlT_T0_SG_SL_E_clIS7_S7_S7_SB_EEDaSZ_S10_SG_SL_EUlSZ_E_NS1_11comp_targetILNS1_3genE0ELNS1_11target_archE4294967295ELNS1_3gpuE0ELNS1_3repE0EEENS1_47radix_sort_onesweep_sort_config_static_selectorELNS0_4arch9wavefront6targetE1EEEvSG_
    .private_segment_fixed_size: 0
    .sgpr_count:     4
    .sgpr_spill_count: 0
    .symbol:         _ZN7rocprim17ROCPRIM_400000_NS6detail17trampoline_kernelINS0_14default_configENS1_35radix_sort_onesweep_config_selectorIllEEZZNS1_29radix_sort_onesweep_iterationIS3_Lb0EPlS7_N6thrust23THRUST_200600_302600_NS10device_ptrIlEESB_jNS0_19identity_decomposerENS1_16block_id_wrapperIjLb0EEEEE10hipError_tT1_PNSt15iterator_traitsISG_E10value_typeET2_T3_PNSH_ISM_E10value_typeET4_T5_PSR_SS_PNS1_23onesweep_lookback_stateEbbT6_jjT7_P12ihipStream_tbENKUlT_T0_SG_SL_E_clIS7_S7_S7_SB_EEDaSZ_S10_SG_SL_EUlSZ_E_NS1_11comp_targetILNS1_3genE0ELNS1_11target_archE4294967295ELNS1_3gpuE0ELNS1_3repE0EEENS1_47radix_sort_onesweep_sort_config_static_selectorELNS0_4arch9wavefront6targetE1EEEvSG_.kd
    .uniform_work_group_size: 1
    .uses_dynamic_stack: false
    .vgpr_count:     0
    .vgpr_spill_count: 0
    .wavefront_size: 64
  - .agpr_count:     0
    .args:
      - .offset:         0
        .size:           88
        .value_kind:     by_value
    .group_segment_fixed_size: 0
    .kernarg_segment_align: 8
    .kernarg_segment_size: 88
    .language:       OpenCL C
    .language_version:
      - 2
      - 0
    .max_flat_workgroup_size: 1024
    .name:           _ZN7rocprim17ROCPRIM_400000_NS6detail17trampoline_kernelINS0_14default_configENS1_35radix_sort_onesweep_config_selectorIllEEZZNS1_29radix_sort_onesweep_iterationIS3_Lb0EPlS7_N6thrust23THRUST_200600_302600_NS10device_ptrIlEESB_jNS0_19identity_decomposerENS1_16block_id_wrapperIjLb0EEEEE10hipError_tT1_PNSt15iterator_traitsISG_E10value_typeET2_T3_PNSH_ISM_E10value_typeET4_T5_PSR_SS_PNS1_23onesweep_lookback_stateEbbT6_jjT7_P12ihipStream_tbENKUlT_T0_SG_SL_E_clIS7_S7_S7_SB_EEDaSZ_S10_SG_SL_EUlSZ_E_NS1_11comp_targetILNS1_3genE6ELNS1_11target_archE950ELNS1_3gpuE13ELNS1_3repE0EEENS1_47radix_sort_onesweep_sort_config_static_selectorELNS0_4arch9wavefront6targetE1EEEvSG_
    .private_segment_fixed_size: 0
    .sgpr_count:     4
    .sgpr_spill_count: 0
    .symbol:         _ZN7rocprim17ROCPRIM_400000_NS6detail17trampoline_kernelINS0_14default_configENS1_35radix_sort_onesweep_config_selectorIllEEZZNS1_29radix_sort_onesweep_iterationIS3_Lb0EPlS7_N6thrust23THRUST_200600_302600_NS10device_ptrIlEESB_jNS0_19identity_decomposerENS1_16block_id_wrapperIjLb0EEEEE10hipError_tT1_PNSt15iterator_traitsISG_E10value_typeET2_T3_PNSH_ISM_E10value_typeET4_T5_PSR_SS_PNS1_23onesweep_lookback_stateEbbT6_jjT7_P12ihipStream_tbENKUlT_T0_SG_SL_E_clIS7_S7_S7_SB_EEDaSZ_S10_SG_SL_EUlSZ_E_NS1_11comp_targetILNS1_3genE6ELNS1_11target_archE950ELNS1_3gpuE13ELNS1_3repE0EEENS1_47radix_sort_onesweep_sort_config_static_selectorELNS0_4arch9wavefront6targetE1EEEvSG_.kd
    .uniform_work_group_size: 1
    .uses_dynamic_stack: false
    .vgpr_count:     0
    .vgpr_spill_count: 0
    .wavefront_size: 64
  - .agpr_count:     0
    .args:
      - .offset:         0
        .size:           88
        .value_kind:     by_value
    .group_segment_fixed_size: 0
    .kernarg_segment_align: 8
    .kernarg_segment_size: 88
    .language:       OpenCL C
    .language_version:
      - 2
      - 0
    .max_flat_workgroup_size: 1024
    .name:           _ZN7rocprim17ROCPRIM_400000_NS6detail17trampoline_kernelINS0_14default_configENS1_35radix_sort_onesweep_config_selectorIllEEZZNS1_29radix_sort_onesweep_iterationIS3_Lb0EPlS7_N6thrust23THRUST_200600_302600_NS10device_ptrIlEESB_jNS0_19identity_decomposerENS1_16block_id_wrapperIjLb0EEEEE10hipError_tT1_PNSt15iterator_traitsISG_E10value_typeET2_T3_PNSH_ISM_E10value_typeET4_T5_PSR_SS_PNS1_23onesweep_lookback_stateEbbT6_jjT7_P12ihipStream_tbENKUlT_T0_SG_SL_E_clIS7_S7_S7_SB_EEDaSZ_S10_SG_SL_EUlSZ_E_NS1_11comp_targetILNS1_3genE5ELNS1_11target_archE942ELNS1_3gpuE9ELNS1_3repE0EEENS1_47radix_sort_onesweep_sort_config_static_selectorELNS0_4arch9wavefront6targetE1EEEvSG_
    .private_segment_fixed_size: 0
    .sgpr_count:     4
    .sgpr_spill_count: 0
    .symbol:         _ZN7rocprim17ROCPRIM_400000_NS6detail17trampoline_kernelINS0_14default_configENS1_35radix_sort_onesweep_config_selectorIllEEZZNS1_29radix_sort_onesweep_iterationIS3_Lb0EPlS7_N6thrust23THRUST_200600_302600_NS10device_ptrIlEESB_jNS0_19identity_decomposerENS1_16block_id_wrapperIjLb0EEEEE10hipError_tT1_PNSt15iterator_traitsISG_E10value_typeET2_T3_PNSH_ISM_E10value_typeET4_T5_PSR_SS_PNS1_23onesweep_lookback_stateEbbT6_jjT7_P12ihipStream_tbENKUlT_T0_SG_SL_E_clIS7_S7_S7_SB_EEDaSZ_S10_SG_SL_EUlSZ_E_NS1_11comp_targetILNS1_3genE5ELNS1_11target_archE942ELNS1_3gpuE9ELNS1_3repE0EEENS1_47radix_sort_onesweep_sort_config_static_selectorELNS0_4arch9wavefront6targetE1EEEvSG_.kd
    .uniform_work_group_size: 1
    .uses_dynamic_stack: false
    .vgpr_count:     0
    .vgpr_spill_count: 0
    .wavefront_size: 64
  - .agpr_count:     0
    .args:
      - .offset:         0
        .size:           88
        .value_kind:     by_value
    .group_segment_fixed_size: 0
    .kernarg_segment_align: 8
    .kernarg_segment_size: 88
    .language:       OpenCL C
    .language_version:
      - 2
      - 0
    .max_flat_workgroup_size: 512
    .name:           _ZN7rocprim17ROCPRIM_400000_NS6detail17trampoline_kernelINS0_14default_configENS1_35radix_sort_onesweep_config_selectorIllEEZZNS1_29radix_sort_onesweep_iterationIS3_Lb0EPlS7_N6thrust23THRUST_200600_302600_NS10device_ptrIlEESB_jNS0_19identity_decomposerENS1_16block_id_wrapperIjLb0EEEEE10hipError_tT1_PNSt15iterator_traitsISG_E10value_typeET2_T3_PNSH_ISM_E10value_typeET4_T5_PSR_SS_PNS1_23onesweep_lookback_stateEbbT6_jjT7_P12ihipStream_tbENKUlT_T0_SG_SL_E_clIS7_S7_S7_SB_EEDaSZ_S10_SG_SL_EUlSZ_E_NS1_11comp_targetILNS1_3genE2ELNS1_11target_archE906ELNS1_3gpuE6ELNS1_3repE0EEENS1_47radix_sort_onesweep_sort_config_static_selectorELNS0_4arch9wavefront6targetE1EEEvSG_
    .private_segment_fixed_size: 0
    .sgpr_count:     4
    .sgpr_spill_count: 0
    .symbol:         _ZN7rocprim17ROCPRIM_400000_NS6detail17trampoline_kernelINS0_14default_configENS1_35radix_sort_onesweep_config_selectorIllEEZZNS1_29radix_sort_onesweep_iterationIS3_Lb0EPlS7_N6thrust23THRUST_200600_302600_NS10device_ptrIlEESB_jNS0_19identity_decomposerENS1_16block_id_wrapperIjLb0EEEEE10hipError_tT1_PNSt15iterator_traitsISG_E10value_typeET2_T3_PNSH_ISM_E10value_typeET4_T5_PSR_SS_PNS1_23onesweep_lookback_stateEbbT6_jjT7_P12ihipStream_tbENKUlT_T0_SG_SL_E_clIS7_S7_S7_SB_EEDaSZ_S10_SG_SL_EUlSZ_E_NS1_11comp_targetILNS1_3genE2ELNS1_11target_archE906ELNS1_3gpuE6ELNS1_3repE0EEENS1_47radix_sort_onesweep_sort_config_static_selectorELNS0_4arch9wavefront6targetE1EEEvSG_.kd
    .uniform_work_group_size: 1
    .uses_dynamic_stack: false
    .vgpr_count:     0
    .vgpr_spill_count: 0
    .wavefront_size: 64
  - .agpr_count:     0
    .args:
      - .offset:         0
        .size:           88
        .value_kind:     by_value
      - .offset:         88
        .size:           4
        .value_kind:     hidden_block_count_x
      - .offset:         92
        .size:           4
        .value_kind:     hidden_block_count_y
      - .offset:         96
        .size:           4
        .value_kind:     hidden_block_count_z
      - .offset:         100
        .size:           2
        .value_kind:     hidden_group_size_x
      - .offset:         102
        .size:           2
        .value_kind:     hidden_group_size_y
      - .offset:         104
        .size:           2
        .value_kind:     hidden_group_size_z
      - .offset:         106
        .size:           2
        .value_kind:     hidden_remainder_x
      - .offset:         108
        .size:           2
        .value_kind:     hidden_remainder_y
      - .offset:         110
        .size:           2
        .value_kind:     hidden_remainder_z
      - .offset:         128
        .size:           8
        .value_kind:     hidden_global_offset_x
      - .offset:         136
        .size:           8
        .value_kind:     hidden_global_offset_y
      - .offset:         144
        .size:           8
        .value_kind:     hidden_global_offset_z
      - .offset:         152
        .size:           2
        .value_kind:     hidden_grid_dims
    .group_segment_fixed_size: 20552
    .kernarg_segment_align: 8
    .kernarg_segment_size: 344
    .language:       OpenCL C
    .language_version:
      - 2
      - 0
    .max_flat_workgroup_size: 1024
    .name:           _ZN7rocprim17ROCPRIM_400000_NS6detail17trampoline_kernelINS0_14default_configENS1_35radix_sort_onesweep_config_selectorIllEEZZNS1_29radix_sort_onesweep_iterationIS3_Lb0EPlS7_N6thrust23THRUST_200600_302600_NS10device_ptrIlEESB_jNS0_19identity_decomposerENS1_16block_id_wrapperIjLb0EEEEE10hipError_tT1_PNSt15iterator_traitsISG_E10value_typeET2_T3_PNSH_ISM_E10value_typeET4_T5_PSR_SS_PNS1_23onesweep_lookback_stateEbbT6_jjT7_P12ihipStream_tbENKUlT_T0_SG_SL_E_clIS7_S7_S7_SB_EEDaSZ_S10_SG_SL_EUlSZ_E_NS1_11comp_targetILNS1_3genE4ELNS1_11target_archE910ELNS1_3gpuE8ELNS1_3repE0EEENS1_47radix_sort_onesweep_sort_config_static_selectorELNS0_4arch9wavefront6targetE1EEEvSG_
    .private_segment_fixed_size: 0
    .sgpr_count:     54
    .sgpr_spill_count: 0
    .symbol:         _ZN7rocprim17ROCPRIM_400000_NS6detail17trampoline_kernelINS0_14default_configENS1_35radix_sort_onesweep_config_selectorIllEEZZNS1_29radix_sort_onesweep_iterationIS3_Lb0EPlS7_N6thrust23THRUST_200600_302600_NS10device_ptrIlEESB_jNS0_19identity_decomposerENS1_16block_id_wrapperIjLb0EEEEE10hipError_tT1_PNSt15iterator_traitsISG_E10value_typeET2_T3_PNSH_ISM_E10value_typeET4_T5_PSR_SS_PNS1_23onesweep_lookback_stateEbbT6_jjT7_P12ihipStream_tbENKUlT_T0_SG_SL_E_clIS7_S7_S7_SB_EEDaSZ_S10_SG_SL_EUlSZ_E_NS1_11comp_targetILNS1_3genE4ELNS1_11target_archE910ELNS1_3gpuE8ELNS1_3repE0EEENS1_47radix_sort_onesweep_sort_config_static_selectorELNS0_4arch9wavefront6targetE1EEEvSG_.kd
    .uniform_work_group_size: 1
    .uses_dynamic_stack: false
    .vgpr_count:     46
    .vgpr_spill_count: 0
    .wavefront_size: 64
  - .agpr_count:     0
    .args:
      - .offset:         0
        .size:           88
        .value_kind:     by_value
    .group_segment_fixed_size: 0
    .kernarg_segment_align: 8
    .kernarg_segment_size: 88
    .language:       OpenCL C
    .language_version:
      - 2
      - 0
    .max_flat_workgroup_size: 512
    .name:           _ZN7rocprim17ROCPRIM_400000_NS6detail17trampoline_kernelINS0_14default_configENS1_35radix_sort_onesweep_config_selectorIllEEZZNS1_29radix_sort_onesweep_iterationIS3_Lb0EPlS7_N6thrust23THRUST_200600_302600_NS10device_ptrIlEESB_jNS0_19identity_decomposerENS1_16block_id_wrapperIjLb0EEEEE10hipError_tT1_PNSt15iterator_traitsISG_E10value_typeET2_T3_PNSH_ISM_E10value_typeET4_T5_PSR_SS_PNS1_23onesweep_lookback_stateEbbT6_jjT7_P12ihipStream_tbENKUlT_T0_SG_SL_E_clIS7_S7_S7_SB_EEDaSZ_S10_SG_SL_EUlSZ_E_NS1_11comp_targetILNS1_3genE3ELNS1_11target_archE908ELNS1_3gpuE7ELNS1_3repE0EEENS1_47radix_sort_onesweep_sort_config_static_selectorELNS0_4arch9wavefront6targetE1EEEvSG_
    .private_segment_fixed_size: 0
    .sgpr_count:     4
    .sgpr_spill_count: 0
    .symbol:         _ZN7rocprim17ROCPRIM_400000_NS6detail17trampoline_kernelINS0_14default_configENS1_35radix_sort_onesweep_config_selectorIllEEZZNS1_29radix_sort_onesweep_iterationIS3_Lb0EPlS7_N6thrust23THRUST_200600_302600_NS10device_ptrIlEESB_jNS0_19identity_decomposerENS1_16block_id_wrapperIjLb0EEEEE10hipError_tT1_PNSt15iterator_traitsISG_E10value_typeET2_T3_PNSH_ISM_E10value_typeET4_T5_PSR_SS_PNS1_23onesweep_lookback_stateEbbT6_jjT7_P12ihipStream_tbENKUlT_T0_SG_SL_E_clIS7_S7_S7_SB_EEDaSZ_S10_SG_SL_EUlSZ_E_NS1_11comp_targetILNS1_3genE3ELNS1_11target_archE908ELNS1_3gpuE7ELNS1_3repE0EEENS1_47radix_sort_onesweep_sort_config_static_selectorELNS0_4arch9wavefront6targetE1EEEvSG_.kd
    .uniform_work_group_size: 1
    .uses_dynamic_stack: false
    .vgpr_count:     0
    .vgpr_spill_count: 0
    .wavefront_size: 64
  - .agpr_count:     0
    .args:
      - .offset:         0
        .size:           88
        .value_kind:     by_value
    .group_segment_fixed_size: 0
    .kernarg_segment_align: 8
    .kernarg_segment_size: 88
    .language:       OpenCL C
    .language_version:
      - 2
      - 0
    .max_flat_workgroup_size: 1024
    .name:           _ZN7rocprim17ROCPRIM_400000_NS6detail17trampoline_kernelINS0_14default_configENS1_35radix_sort_onesweep_config_selectorIllEEZZNS1_29radix_sort_onesweep_iterationIS3_Lb0EPlS7_N6thrust23THRUST_200600_302600_NS10device_ptrIlEESB_jNS0_19identity_decomposerENS1_16block_id_wrapperIjLb0EEEEE10hipError_tT1_PNSt15iterator_traitsISG_E10value_typeET2_T3_PNSH_ISM_E10value_typeET4_T5_PSR_SS_PNS1_23onesweep_lookback_stateEbbT6_jjT7_P12ihipStream_tbENKUlT_T0_SG_SL_E_clIS7_S7_S7_SB_EEDaSZ_S10_SG_SL_EUlSZ_E_NS1_11comp_targetILNS1_3genE10ELNS1_11target_archE1201ELNS1_3gpuE5ELNS1_3repE0EEENS1_47radix_sort_onesweep_sort_config_static_selectorELNS0_4arch9wavefront6targetE1EEEvSG_
    .private_segment_fixed_size: 0
    .sgpr_count:     4
    .sgpr_spill_count: 0
    .symbol:         _ZN7rocprim17ROCPRIM_400000_NS6detail17trampoline_kernelINS0_14default_configENS1_35radix_sort_onesweep_config_selectorIllEEZZNS1_29radix_sort_onesweep_iterationIS3_Lb0EPlS7_N6thrust23THRUST_200600_302600_NS10device_ptrIlEESB_jNS0_19identity_decomposerENS1_16block_id_wrapperIjLb0EEEEE10hipError_tT1_PNSt15iterator_traitsISG_E10value_typeET2_T3_PNSH_ISM_E10value_typeET4_T5_PSR_SS_PNS1_23onesweep_lookback_stateEbbT6_jjT7_P12ihipStream_tbENKUlT_T0_SG_SL_E_clIS7_S7_S7_SB_EEDaSZ_S10_SG_SL_EUlSZ_E_NS1_11comp_targetILNS1_3genE10ELNS1_11target_archE1201ELNS1_3gpuE5ELNS1_3repE0EEENS1_47radix_sort_onesweep_sort_config_static_selectorELNS0_4arch9wavefront6targetE1EEEvSG_.kd
    .uniform_work_group_size: 1
    .uses_dynamic_stack: false
    .vgpr_count:     0
    .vgpr_spill_count: 0
    .wavefront_size: 64
  - .agpr_count:     0
    .args:
      - .offset:         0
        .size:           88
        .value_kind:     by_value
    .group_segment_fixed_size: 0
    .kernarg_segment_align: 8
    .kernarg_segment_size: 88
    .language:       OpenCL C
    .language_version:
      - 2
      - 0
    .max_flat_workgroup_size: 1024
    .name:           _ZN7rocprim17ROCPRIM_400000_NS6detail17trampoline_kernelINS0_14default_configENS1_35radix_sort_onesweep_config_selectorIllEEZZNS1_29radix_sort_onesweep_iterationIS3_Lb0EPlS7_N6thrust23THRUST_200600_302600_NS10device_ptrIlEESB_jNS0_19identity_decomposerENS1_16block_id_wrapperIjLb0EEEEE10hipError_tT1_PNSt15iterator_traitsISG_E10value_typeET2_T3_PNSH_ISM_E10value_typeET4_T5_PSR_SS_PNS1_23onesweep_lookback_stateEbbT6_jjT7_P12ihipStream_tbENKUlT_T0_SG_SL_E_clIS7_S7_S7_SB_EEDaSZ_S10_SG_SL_EUlSZ_E_NS1_11comp_targetILNS1_3genE9ELNS1_11target_archE1100ELNS1_3gpuE3ELNS1_3repE0EEENS1_47radix_sort_onesweep_sort_config_static_selectorELNS0_4arch9wavefront6targetE1EEEvSG_
    .private_segment_fixed_size: 0
    .sgpr_count:     4
    .sgpr_spill_count: 0
    .symbol:         _ZN7rocprim17ROCPRIM_400000_NS6detail17trampoline_kernelINS0_14default_configENS1_35radix_sort_onesweep_config_selectorIllEEZZNS1_29radix_sort_onesweep_iterationIS3_Lb0EPlS7_N6thrust23THRUST_200600_302600_NS10device_ptrIlEESB_jNS0_19identity_decomposerENS1_16block_id_wrapperIjLb0EEEEE10hipError_tT1_PNSt15iterator_traitsISG_E10value_typeET2_T3_PNSH_ISM_E10value_typeET4_T5_PSR_SS_PNS1_23onesweep_lookback_stateEbbT6_jjT7_P12ihipStream_tbENKUlT_T0_SG_SL_E_clIS7_S7_S7_SB_EEDaSZ_S10_SG_SL_EUlSZ_E_NS1_11comp_targetILNS1_3genE9ELNS1_11target_archE1100ELNS1_3gpuE3ELNS1_3repE0EEENS1_47radix_sort_onesweep_sort_config_static_selectorELNS0_4arch9wavefront6targetE1EEEvSG_.kd
    .uniform_work_group_size: 1
    .uses_dynamic_stack: false
    .vgpr_count:     0
    .vgpr_spill_count: 0
    .wavefront_size: 64
  - .agpr_count:     0
    .args:
      - .offset:         0
        .size:           88
        .value_kind:     by_value
    .group_segment_fixed_size: 0
    .kernarg_segment_align: 8
    .kernarg_segment_size: 88
    .language:       OpenCL C
    .language_version:
      - 2
      - 0
    .max_flat_workgroup_size: 1024
    .name:           _ZN7rocprim17ROCPRIM_400000_NS6detail17trampoline_kernelINS0_14default_configENS1_35radix_sort_onesweep_config_selectorIllEEZZNS1_29radix_sort_onesweep_iterationIS3_Lb0EPlS7_N6thrust23THRUST_200600_302600_NS10device_ptrIlEESB_jNS0_19identity_decomposerENS1_16block_id_wrapperIjLb0EEEEE10hipError_tT1_PNSt15iterator_traitsISG_E10value_typeET2_T3_PNSH_ISM_E10value_typeET4_T5_PSR_SS_PNS1_23onesweep_lookback_stateEbbT6_jjT7_P12ihipStream_tbENKUlT_T0_SG_SL_E_clIS7_S7_S7_SB_EEDaSZ_S10_SG_SL_EUlSZ_E_NS1_11comp_targetILNS1_3genE8ELNS1_11target_archE1030ELNS1_3gpuE2ELNS1_3repE0EEENS1_47radix_sort_onesweep_sort_config_static_selectorELNS0_4arch9wavefront6targetE1EEEvSG_
    .private_segment_fixed_size: 0
    .sgpr_count:     4
    .sgpr_spill_count: 0
    .symbol:         _ZN7rocprim17ROCPRIM_400000_NS6detail17trampoline_kernelINS0_14default_configENS1_35radix_sort_onesweep_config_selectorIllEEZZNS1_29radix_sort_onesweep_iterationIS3_Lb0EPlS7_N6thrust23THRUST_200600_302600_NS10device_ptrIlEESB_jNS0_19identity_decomposerENS1_16block_id_wrapperIjLb0EEEEE10hipError_tT1_PNSt15iterator_traitsISG_E10value_typeET2_T3_PNSH_ISM_E10value_typeET4_T5_PSR_SS_PNS1_23onesweep_lookback_stateEbbT6_jjT7_P12ihipStream_tbENKUlT_T0_SG_SL_E_clIS7_S7_S7_SB_EEDaSZ_S10_SG_SL_EUlSZ_E_NS1_11comp_targetILNS1_3genE8ELNS1_11target_archE1030ELNS1_3gpuE2ELNS1_3repE0EEENS1_47radix_sort_onesweep_sort_config_static_selectorELNS0_4arch9wavefront6targetE1EEEvSG_.kd
    .uniform_work_group_size: 1
    .uses_dynamic_stack: false
    .vgpr_count:     0
    .vgpr_spill_count: 0
    .wavefront_size: 64
  - .agpr_count:     0
    .args:
      - .offset:         0
        .size:           72
        .value_kind:     by_value
    .group_segment_fixed_size: 0
    .kernarg_segment_align: 8
    .kernarg_segment_size: 72
    .language:       OpenCL C
    .language_version:
      - 2
      - 0
    .max_flat_workgroup_size: 256
    .name:           _ZN7rocprim17ROCPRIM_400000_NS6detail17trampoline_kernelINS0_14default_configENS1_22reduce_config_selectorIiEEZNS1_11reduce_implILb1ES3_N6thrust23THRUST_200600_302600_NS11hip_rocprim35transform_pair_of_input_iterators_tIiPlSB_NS8_12not_equal_toIlEEEEPiiNS8_4plusIiEEEE10hipError_tPvRmT1_T2_T3_mT4_P12ihipStream_tbEUlT_E0_NS1_11comp_targetILNS1_3genE0ELNS1_11target_archE4294967295ELNS1_3gpuE0ELNS1_3repE0EEENS1_30default_config_static_selectorELNS0_4arch9wavefront6targetE1EEEvSL_
    .private_segment_fixed_size: 0
    .sgpr_count:     4
    .sgpr_spill_count: 0
    .symbol:         _ZN7rocprim17ROCPRIM_400000_NS6detail17trampoline_kernelINS0_14default_configENS1_22reduce_config_selectorIiEEZNS1_11reduce_implILb1ES3_N6thrust23THRUST_200600_302600_NS11hip_rocprim35transform_pair_of_input_iterators_tIiPlSB_NS8_12not_equal_toIlEEEEPiiNS8_4plusIiEEEE10hipError_tPvRmT1_T2_T3_mT4_P12ihipStream_tbEUlT_E0_NS1_11comp_targetILNS1_3genE0ELNS1_11target_archE4294967295ELNS1_3gpuE0ELNS1_3repE0EEENS1_30default_config_static_selectorELNS0_4arch9wavefront6targetE1EEEvSL_.kd
    .uniform_work_group_size: 1
    .uses_dynamic_stack: false
    .vgpr_count:     0
    .vgpr_spill_count: 0
    .wavefront_size: 64
  - .agpr_count:     0
    .args:
      - .offset:         0
        .size:           72
        .value_kind:     by_value
    .group_segment_fixed_size: 0
    .kernarg_segment_align: 8
    .kernarg_segment_size: 72
    .language:       OpenCL C
    .language_version:
      - 2
      - 0
    .max_flat_workgroup_size: 256
    .name:           _ZN7rocprim17ROCPRIM_400000_NS6detail17trampoline_kernelINS0_14default_configENS1_22reduce_config_selectorIiEEZNS1_11reduce_implILb1ES3_N6thrust23THRUST_200600_302600_NS11hip_rocprim35transform_pair_of_input_iterators_tIiPlSB_NS8_12not_equal_toIlEEEEPiiNS8_4plusIiEEEE10hipError_tPvRmT1_T2_T3_mT4_P12ihipStream_tbEUlT_E0_NS1_11comp_targetILNS1_3genE5ELNS1_11target_archE942ELNS1_3gpuE9ELNS1_3repE0EEENS1_30default_config_static_selectorELNS0_4arch9wavefront6targetE1EEEvSL_
    .private_segment_fixed_size: 0
    .sgpr_count:     4
    .sgpr_spill_count: 0
    .symbol:         _ZN7rocprim17ROCPRIM_400000_NS6detail17trampoline_kernelINS0_14default_configENS1_22reduce_config_selectorIiEEZNS1_11reduce_implILb1ES3_N6thrust23THRUST_200600_302600_NS11hip_rocprim35transform_pair_of_input_iterators_tIiPlSB_NS8_12not_equal_toIlEEEEPiiNS8_4plusIiEEEE10hipError_tPvRmT1_T2_T3_mT4_P12ihipStream_tbEUlT_E0_NS1_11comp_targetILNS1_3genE5ELNS1_11target_archE942ELNS1_3gpuE9ELNS1_3repE0EEENS1_30default_config_static_selectorELNS0_4arch9wavefront6targetE1EEEvSL_.kd
    .uniform_work_group_size: 1
    .uses_dynamic_stack: false
    .vgpr_count:     0
    .vgpr_spill_count: 0
    .wavefront_size: 64
  - .agpr_count:     0
    .args:
      - .offset:         0
        .size:           72
        .value_kind:     by_value
    .group_segment_fixed_size: 16
    .kernarg_segment_align: 8
    .kernarg_segment_size: 72
    .language:       OpenCL C
    .language_version:
      - 2
      - 0
    .max_flat_workgroup_size: 128
    .name:           _ZN7rocprim17ROCPRIM_400000_NS6detail17trampoline_kernelINS0_14default_configENS1_22reduce_config_selectorIiEEZNS1_11reduce_implILb1ES3_N6thrust23THRUST_200600_302600_NS11hip_rocprim35transform_pair_of_input_iterators_tIiPlSB_NS8_12not_equal_toIlEEEEPiiNS8_4plusIiEEEE10hipError_tPvRmT1_T2_T3_mT4_P12ihipStream_tbEUlT_E0_NS1_11comp_targetILNS1_3genE4ELNS1_11target_archE910ELNS1_3gpuE8ELNS1_3repE0EEENS1_30default_config_static_selectorELNS0_4arch9wavefront6targetE1EEEvSL_
    .private_segment_fixed_size: 0
    .sgpr_count:     34
    .sgpr_spill_count: 0
    .symbol:         _ZN7rocprim17ROCPRIM_400000_NS6detail17trampoline_kernelINS0_14default_configENS1_22reduce_config_selectorIiEEZNS1_11reduce_implILb1ES3_N6thrust23THRUST_200600_302600_NS11hip_rocprim35transform_pair_of_input_iterators_tIiPlSB_NS8_12not_equal_toIlEEEEPiiNS8_4plusIiEEEE10hipError_tPvRmT1_T2_T3_mT4_P12ihipStream_tbEUlT_E0_NS1_11comp_targetILNS1_3genE4ELNS1_11target_archE910ELNS1_3gpuE8ELNS1_3repE0EEENS1_30default_config_static_selectorELNS0_4arch9wavefront6targetE1EEEvSL_.kd
    .uniform_work_group_size: 1
    .uses_dynamic_stack: false
    .vgpr_count:     40
    .vgpr_spill_count: 0
    .wavefront_size: 64
  - .agpr_count:     0
    .args:
      - .offset:         0
        .size:           72
        .value_kind:     by_value
    .group_segment_fixed_size: 0
    .kernarg_segment_align: 8
    .kernarg_segment_size: 72
    .language:       OpenCL C
    .language_version:
      - 2
      - 0
    .max_flat_workgroup_size: 256
    .name:           _ZN7rocprim17ROCPRIM_400000_NS6detail17trampoline_kernelINS0_14default_configENS1_22reduce_config_selectorIiEEZNS1_11reduce_implILb1ES3_N6thrust23THRUST_200600_302600_NS11hip_rocprim35transform_pair_of_input_iterators_tIiPlSB_NS8_12not_equal_toIlEEEEPiiNS8_4plusIiEEEE10hipError_tPvRmT1_T2_T3_mT4_P12ihipStream_tbEUlT_E0_NS1_11comp_targetILNS1_3genE3ELNS1_11target_archE908ELNS1_3gpuE7ELNS1_3repE0EEENS1_30default_config_static_selectorELNS0_4arch9wavefront6targetE1EEEvSL_
    .private_segment_fixed_size: 0
    .sgpr_count:     4
    .sgpr_spill_count: 0
    .symbol:         _ZN7rocprim17ROCPRIM_400000_NS6detail17trampoline_kernelINS0_14default_configENS1_22reduce_config_selectorIiEEZNS1_11reduce_implILb1ES3_N6thrust23THRUST_200600_302600_NS11hip_rocprim35transform_pair_of_input_iterators_tIiPlSB_NS8_12not_equal_toIlEEEEPiiNS8_4plusIiEEEE10hipError_tPvRmT1_T2_T3_mT4_P12ihipStream_tbEUlT_E0_NS1_11comp_targetILNS1_3genE3ELNS1_11target_archE908ELNS1_3gpuE7ELNS1_3repE0EEENS1_30default_config_static_selectorELNS0_4arch9wavefront6targetE1EEEvSL_.kd
    .uniform_work_group_size: 1
    .uses_dynamic_stack: false
    .vgpr_count:     0
    .vgpr_spill_count: 0
    .wavefront_size: 64
  - .agpr_count:     0
    .args:
      - .offset:         0
        .size:           72
        .value_kind:     by_value
    .group_segment_fixed_size: 0
    .kernarg_segment_align: 8
    .kernarg_segment_size: 72
    .language:       OpenCL C
    .language_version:
      - 2
      - 0
    .max_flat_workgroup_size: 256
    .name:           _ZN7rocprim17ROCPRIM_400000_NS6detail17trampoline_kernelINS0_14default_configENS1_22reduce_config_selectorIiEEZNS1_11reduce_implILb1ES3_N6thrust23THRUST_200600_302600_NS11hip_rocprim35transform_pair_of_input_iterators_tIiPlSB_NS8_12not_equal_toIlEEEEPiiNS8_4plusIiEEEE10hipError_tPvRmT1_T2_T3_mT4_P12ihipStream_tbEUlT_E0_NS1_11comp_targetILNS1_3genE2ELNS1_11target_archE906ELNS1_3gpuE6ELNS1_3repE0EEENS1_30default_config_static_selectorELNS0_4arch9wavefront6targetE1EEEvSL_
    .private_segment_fixed_size: 0
    .sgpr_count:     4
    .sgpr_spill_count: 0
    .symbol:         _ZN7rocprim17ROCPRIM_400000_NS6detail17trampoline_kernelINS0_14default_configENS1_22reduce_config_selectorIiEEZNS1_11reduce_implILb1ES3_N6thrust23THRUST_200600_302600_NS11hip_rocprim35transform_pair_of_input_iterators_tIiPlSB_NS8_12not_equal_toIlEEEEPiiNS8_4plusIiEEEE10hipError_tPvRmT1_T2_T3_mT4_P12ihipStream_tbEUlT_E0_NS1_11comp_targetILNS1_3genE2ELNS1_11target_archE906ELNS1_3gpuE6ELNS1_3repE0EEENS1_30default_config_static_selectorELNS0_4arch9wavefront6targetE1EEEvSL_.kd
    .uniform_work_group_size: 1
    .uses_dynamic_stack: false
    .vgpr_count:     0
    .vgpr_spill_count: 0
    .wavefront_size: 64
  - .agpr_count:     0
    .args:
      - .offset:         0
        .size:           72
        .value_kind:     by_value
    .group_segment_fixed_size: 0
    .kernarg_segment_align: 8
    .kernarg_segment_size: 72
    .language:       OpenCL C
    .language_version:
      - 2
      - 0
    .max_flat_workgroup_size: 256
    .name:           _ZN7rocprim17ROCPRIM_400000_NS6detail17trampoline_kernelINS0_14default_configENS1_22reduce_config_selectorIiEEZNS1_11reduce_implILb1ES3_N6thrust23THRUST_200600_302600_NS11hip_rocprim35transform_pair_of_input_iterators_tIiPlSB_NS8_12not_equal_toIlEEEEPiiNS8_4plusIiEEEE10hipError_tPvRmT1_T2_T3_mT4_P12ihipStream_tbEUlT_E0_NS1_11comp_targetILNS1_3genE10ELNS1_11target_archE1201ELNS1_3gpuE5ELNS1_3repE0EEENS1_30default_config_static_selectorELNS0_4arch9wavefront6targetE1EEEvSL_
    .private_segment_fixed_size: 0
    .sgpr_count:     4
    .sgpr_spill_count: 0
    .symbol:         _ZN7rocprim17ROCPRIM_400000_NS6detail17trampoline_kernelINS0_14default_configENS1_22reduce_config_selectorIiEEZNS1_11reduce_implILb1ES3_N6thrust23THRUST_200600_302600_NS11hip_rocprim35transform_pair_of_input_iterators_tIiPlSB_NS8_12not_equal_toIlEEEEPiiNS8_4plusIiEEEE10hipError_tPvRmT1_T2_T3_mT4_P12ihipStream_tbEUlT_E0_NS1_11comp_targetILNS1_3genE10ELNS1_11target_archE1201ELNS1_3gpuE5ELNS1_3repE0EEENS1_30default_config_static_selectorELNS0_4arch9wavefront6targetE1EEEvSL_.kd
    .uniform_work_group_size: 1
    .uses_dynamic_stack: false
    .vgpr_count:     0
    .vgpr_spill_count: 0
    .wavefront_size: 64
  - .agpr_count:     0
    .args:
      - .offset:         0
        .size:           72
        .value_kind:     by_value
    .group_segment_fixed_size: 0
    .kernarg_segment_align: 8
    .kernarg_segment_size: 72
    .language:       OpenCL C
    .language_version:
      - 2
      - 0
    .max_flat_workgroup_size: 256
    .name:           _ZN7rocprim17ROCPRIM_400000_NS6detail17trampoline_kernelINS0_14default_configENS1_22reduce_config_selectorIiEEZNS1_11reduce_implILb1ES3_N6thrust23THRUST_200600_302600_NS11hip_rocprim35transform_pair_of_input_iterators_tIiPlSB_NS8_12not_equal_toIlEEEEPiiNS8_4plusIiEEEE10hipError_tPvRmT1_T2_T3_mT4_P12ihipStream_tbEUlT_E0_NS1_11comp_targetILNS1_3genE10ELNS1_11target_archE1200ELNS1_3gpuE4ELNS1_3repE0EEENS1_30default_config_static_selectorELNS0_4arch9wavefront6targetE1EEEvSL_
    .private_segment_fixed_size: 0
    .sgpr_count:     4
    .sgpr_spill_count: 0
    .symbol:         _ZN7rocprim17ROCPRIM_400000_NS6detail17trampoline_kernelINS0_14default_configENS1_22reduce_config_selectorIiEEZNS1_11reduce_implILb1ES3_N6thrust23THRUST_200600_302600_NS11hip_rocprim35transform_pair_of_input_iterators_tIiPlSB_NS8_12not_equal_toIlEEEEPiiNS8_4plusIiEEEE10hipError_tPvRmT1_T2_T3_mT4_P12ihipStream_tbEUlT_E0_NS1_11comp_targetILNS1_3genE10ELNS1_11target_archE1200ELNS1_3gpuE4ELNS1_3repE0EEENS1_30default_config_static_selectorELNS0_4arch9wavefront6targetE1EEEvSL_.kd
    .uniform_work_group_size: 1
    .uses_dynamic_stack: false
    .vgpr_count:     0
    .vgpr_spill_count: 0
    .wavefront_size: 64
  - .agpr_count:     0
    .args:
      - .offset:         0
        .size:           72
        .value_kind:     by_value
    .group_segment_fixed_size: 0
    .kernarg_segment_align: 8
    .kernarg_segment_size: 72
    .language:       OpenCL C
    .language_version:
      - 2
      - 0
    .max_flat_workgroup_size: 256
    .name:           _ZN7rocprim17ROCPRIM_400000_NS6detail17trampoline_kernelINS0_14default_configENS1_22reduce_config_selectorIiEEZNS1_11reduce_implILb1ES3_N6thrust23THRUST_200600_302600_NS11hip_rocprim35transform_pair_of_input_iterators_tIiPlSB_NS8_12not_equal_toIlEEEEPiiNS8_4plusIiEEEE10hipError_tPvRmT1_T2_T3_mT4_P12ihipStream_tbEUlT_E0_NS1_11comp_targetILNS1_3genE9ELNS1_11target_archE1100ELNS1_3gpuE3ELNS1_3repE0EEENS1_30default_config_static_selectorELNS0_4arch9wavefront6targetE1EEEvSL_
    .private_segment_fixed_size: 0
    .sgpr_count:     4
    .sgpr_spill_count: 0
    .symbol:         _ZN7rocprim17ROCPRIM_400000_NS6detail17trampoline_kernelINS0_14default_configENS1_22reduce_config_selectorIiEEZNS1_11reduce_implILb1ES3_N6thrust23THRUST_200600_302600_NS11hip_rocprim35transform_pair_of_input_iterators_tIiPlSB_NS8_12not_equal_toIlEEEEPiiNS8_4plusIiEEEE10hipError_tPvRmT1_T2_T3_mT4_P12ihipStream_tbEUlT_E0_NS1_11comp_targetILNS1_3genE9ELNS1_11target_archE1100ELNS1_3gpuE3ELNS1_3repE0EEENS1_30default_config_static_selectorELNS0_4arch9wavefront6targetE1EEEvSL_.kd
    .uniform_work_group_size: 1
    .uses_dynamic_stack: false
    .vgpr_count:     0
    .vgpr_spill_count: 0
    .wavefront_size: 64
  - .agpr_count:     0
    .args:
      - .offset:         0
        .size:           72
        .value_kind:     by_value
    .group_segment_fixed_size: 0
    .kernarg_segment_align: 8
    .kernarg_segment_size: 72
    .language:       OpenCL C
    .language_version:
      - 2
      - 0
    .max_flat_workgroup_size: 256
    .name:           _ZN7rocprim17ROCPRIM_400000_NS6detail17trampoline_kernelINS0_14default_configENS1_22reduce_config_selectorIiEEZNS1_11reduce_implILb1ES3_N6thrust23THRUST_200600_302600_NS11hip_rocprim35transform_pair_of_input_iterators_tIiPlSB_NS8_12not_equal_toIlEEEEPiiNS8_4plusIiEEEE10hipError_tPvRmT1_T2_T3_mT4_P12ihipStream_tbEUlT_E0_NS1_11comp_targetILNS1_3genE8ELNS1_11target_archE1030ELNS1_3gpuE2ELNS1_3repE0EEENS1_30default_config_static_selectorELNS0_4arch9wavefront6targetE1EEEvSL_
    .private_segment_fixed_size: 0
    .sgpr_count:     4
    .sgpr_spill_count: 0
    .symbol:         _ZN7rocprim17ROCPRIM_400000_NS6detail17trampoline_kernelINS0_14default_configENS1_22reduce_config_selectorIiEEZNS1_11reduce_implILb1ES3_N6thrust23THRUST_200600_302600_NS11hip_rocprim35transform_pair_of_input_iterators_tIiPlSB_NS8_12not_equal_toIlEEEEPiiNS8_4plusIiEEEE10hipError_tPvRmT1_T2_T3_mT4_P12ihipStream_tbEUlT_E0_NS1_11comp_targetILNS1_3genE8ELNS1_11target_archE1030ELNS1_3gpuE2ELNS1_3repE0EEENS1_30default_config_static_selectorELNS0_4arch9wavefront6targetE1EEEvSL_.kd
    .uniform_work_group_size: 1
    .uses_dynamic_stack: false
    .vgpr_count:     0
    .vgpr_spill_count: 0
    .wavefront_size: 64
  - .agpr_count:     0
    .args:
      - .offset:         0
        .size:           56
        .value_kind:     by_value
    .group_segment_fixed_size: 0
    .kernarg_segment_align: 8
    .kernarg_segment_size: 56
    .language:       OpenCL C
    .language_version:
      - 2
      - 0
    .max_flat_workgroup_size: 256
    .name:           _ZN7rocprim17ROCPRIM_400000_NS6detail17trampoline_kernelINS0_14default_configENS1_22reduce_config_selectorIiEEZNS1_11reduce_implILb1ES3_N6thrust23THRUST_200600_302600_NS11hip_rocprim35transform_pair_of_input_iterators_tIiPlSB_NS8_12not_equal_toIlEEEEPiiNS8_4plusIiEEEE10hipError_tPvRmT1_T2_T3_mT4_P12ihipStream_tbEUlT_E1_NS1_11comp_targetILNS1_3genE0ELNS1_11target_archE4294967295ELNS1_3gpuE0ELNS1_3repE0EEENS1_30default_config_static_selectorELNS0_4arch9wavefront6targetE1EEEvSL_
    .private_segment_fixed_size: 0
    .sgpr_count:     4
    .sgpr_spill_count: 0
    .symbol:         _ZN7rocprim17ROCPRIM_400000_NS6detail17trampoline_kernelINS0_14default_configENS1_22reduce_config_selectorIiEEZNS1_11reduce_implILb1ES3_N6thrust23THRUST_200600_302600_NS11hip_rocprim35transform_pair_of_input_iterators_tIiPlSB_NS8_12not_equal_toIlEEEEPiiNS8_4plusIiEEEE10hipError_tPvRmT1_T2_T3_mT4_P12ihipStream_tbEUlT_E1_NS1_11comp_targetILNS1_3genE0ELNS1_11target_archE4294967295ELNS1_3gpuE0ELNS1_3repE0EEENS1_30default_config_static_selectorELNS0_4arch9wavefront6targetE1EEEvSL_.kd
    .uniform_work_group_size: 1
    .uses_dynamic_stack: false
    .vgpr_count:     0
    .vgpr_spill_count: 0
    .wavefront_size: 64
  - .agpr_count:     0
    .args:
      - .offset:         0
        .size:           56
        .value_kind:     by_value
    .group_segment_fixed_size: 0
    .kernarg_segment_align: 8
    .kernarg_segment_size: 56
    .language:       OpenCL C
    .language_version:
      - 2
      - 0
    .max_flat_workgroup_size: 256
    .name:           _ZN7rocprim17ROCPRIM_400000_NS6detail17trampoline_kernelINS0_14default_configENS1_22reduce_config_selectorIiEEZNS1_11reduce_implILb1ES3_N6thrust23THRUST_200600_302600_NS11hip_rocprim35transform_pair_of_input_iterators_tIiPlSB_NS8_12not_equal_toIlEEEEPiiNS8_4plusIiEEEE10hipError_tPvRmT1_T2_T3_mT4_P12ihipStream_tbEUlT_E1_NS1_11comp_targetILNS1_3genE5ELNS1_11target_archE942ELNS1_3gpuE9ELNS1_3repE0EEENS1_30default_config_static_selectorELNS0_4arch9wavefront6targetE1EEEvSL_
    .private_segment_fixed_size: 0
    .sgpr_count:     4
    .sgpr_spill_count: 0
    .symbol:         _ZN7rocprim17ROCPRIM_400000_NS6detail17trampoline_kernelINS0_14default_configENS1_22reduce_config_selectorIiEEZNS1_11reduce_implILb1ES3_N6thrust23THRUST_200600_302600_NS11hip_rocprim35transform_pair_of_input_iterators_tIiPlSB_NS8_12not_equal_toIlEEEEPiiNS8_4plusIiEEEE10hipError_tPvRmT1_T2_T3_mT4_P12ihipStream_tbEUlT_E1_NS1_11comp_targetILNS1_3genE5ELNS1_11target_archE942ELNS1_3gpuE9ELNS1_3repE0EEENS1_30default_config_static_selectorELNS0_4arch9wavefront6targetE1EEEvSL_.kd
    .uniform_work_group_size: 1
    .uses_dynamic_stack: false
    .vgpr_count:     0
    .vgpr_spill_count: 0
    .wavefront_size: 64
  - .agpr_count:     0
    .args:
      - .offset:         0
        .size:           56
        .value_kind:     by_value
    .group_segment_fixed_size: 56
    .kernarg_segment_align: 8
    .kernarg_segment_size: 56
    .language:       OpenCL C
    .language_version:
      - 2
      - 0
    .max_flat_workgroup_size: 128
    .name:           _ZN7rocprim17ROCPRIM_400000_NS6detail17trampoline_kernelINS0_14default_configENS1_22reduce_config_selectorIiEEZNS1_11reduce_implILb1ES3_N6thrust23THRUST_200600_302600_NS11hip_rocprim35transform_pair_of_input_iterators_tIiPlSB_NS8_12not_equal_toIlEEEEPiiNS8_4plusIiEEEE10hipError_tPvRmT1_T2_T3_mT4_P12ihipStream_tbEUlT_E1_NS1_11comp_targetILNS1_3genE4ELNS1_11target_archE910ELNS1_3gpuE8ELNS1_3repE0EEENS1_30default_config_static_selectorELNS0_4arch9wavefront6targetE1EEEvSL_
    .private_segment_fixed_size: 0
    .sgpr_count:     53
    .sgpr_spill_count: 0
    .symbol:         _ZN7rocprim17ROCPRIM_400000_NS6detail17trampoline_kernelINS0_14default_configENS1_22reduce_config_selectorIiEEZNS1_11reduce_implILb1ES3_N6thrust23THRUST_200600_302600_NS11hip_rocprim35transform_pair_of_input_iterators_tIiPlSB_NS8_12not_equal_toIlEEEEPiiNS8_4plusIiEEEE10hipError_tPvRmT1_T2_T3_mT4_P12ihipStream_tbEUlT_E1_NS1_11comp_targetILNS1_3genE4ELNS1_11target_archE910ELNS1_3gpuE8ELNS1_3repE0EEENS1_30default_config_static_selectorELNS0_4arch9wavefront6targetE1EEEvSL_.kd
    .uniform_work_group_size: 1
    .uses_dynamic_stack: false
    .vgpr_count:     83
    .vgpr_spill_count: 0
    .wavefront_size: 64
  - .agpr_count:     0
    .args:
      - .offset:         0
        .size:           56
        .value_kind:     by_value
    .group_segment_fixed_size: 0
    .kernarg_segment_align: 8
    .kernarg_segment_size: 56
    .language:       OpenCL C
    .language_version:
      - 2
      - 0
    .max_flat_workgroup_size: 256
    .name:           _ZN7rocprim17ROCPRIM_400000_NS6detail17trampoline_kernelINS0_14default_configENS1_22reduce_config_selectorIiEEZNS1_11reduce_implILb1ES3_N6thrust23THRUST_200600_302600_NS11hip_rocprim35transform_pair_of_input_iterators_tIiPlSB_NS8_12not_equal_toIlEEEEPiiNS8_4plusIiEEEE10hipError_tPvRmT1_T2_T3_mT4_P12ihipStream_tbEUlT_E1_NS1_11comp_targetILNS1_3genE3ELNS1_11target_archE908ELNS1_3gpuE7ELNS1_3repE0EEENS1_30default_config_static_selectorELNS0_4arch9wavefront6targetE1EEEvSL_
    .private_segment_fixed_size: 0
    .sgpr_count:     4
    .sgpr_spill_count: 0
    .symbol:         _ZN7rocprim17ROCPRIM_400000_NS6detail17trampoline_kernelINS0_14default_configENS1_22reduce_config_selectorIiEEZNS1_11reduce_implILb1ES3_N6thrust23THRUST_200600_302600_NS11hip_rocprim35transform_pair_of_input_iterators_tIiPlSB_NS8_12not_equal_toIlEEEEPiiNS8_4plusIiEEEE10hipError_tPvRmT1_T2_T3_mT4_P12ihipStream_tbEUlT_E1_NS1_11comp_targetILNS1_3genE3ELNS1_11target_archE908ELNS1_3gpuE7ELNS1_3repE0EEENS1_30default_config_static_selectorELNS0_4arch9wavefront6targetE1EEEvSL_.kd
    .uniform_work_group_size: 1
    .uses_dynamic_stack: false
    .vgpr_count:     0
    .vgpr_spill_count: 0
    .wavefront_size: 64
  - .agpr_count:     0
    .args:
      - .offset:         0
        .size:           56
        .value_kind:     by_value
    .group_segment_fixed_size: 0
    .kernarg_segment_align: 8
    .kernarg_segment_size: 56
    .language:       OpenCL C
    .language_version:
      - 2
      - 0
    .max_flat_workgroup_size: 256
    .name:           _ZN7rocprim17ROCPRIM_400000_NS6detail17trampoline_kernelINS0_14default_configENS1_22reduce_config_selectorIiEEZNS1_11reduce_implILb1ES3_N6thrust23THRUST_200600_302600_NS11hip_rocprim35transform_pair_of_input_iterators_tIiPlSB_NS8_12not_equal_toIlEEEEPiiNS8_4plusIiEEEE10hipError_tPvRmT1_T2_T3_mT4_P12ihipStream_tbEUlT_E1_NS1_11comp_targetILNS1_3genE2ELNS1_11target_archE906ELNS1_3gpuE6ELNS1_3repE0EEENS1_30default_config_static_selectorELNS0_4arch9wavefront6targetE1EEEvSL_
    .private_segment_fixed_size: 0
    .sgpr_count:     4
    .sgpr_spill_count: 0
    .symbol:         _ZN7rocprim17ROCPRIM_400000_NS6detail17trampoline_kernelINS0_14default_configENS1_22reduce_config_selectorIiEEZNS1_11reduce_implILb1ES3_N6thrust23THRUST_200600_302600_NS11hip_rocprim35transform_pair_of_input_iterators_tIiPlSB_NS8_12not_equal_toIlEEEEPiiNS8_4plusIiEEEE10hipError_tPvRmT1_T2_T3_mT4_P12ihipStream_tbEUlT_E1_NS1_11comp_targetILNS1_3genE2ELNS1_11target_archE906ELNS1_3gpuE6ELNS1_3repE0EEENS1_30default_config_static_selectorELNS0_4arch9wavefront6targetE1EEEvSL_.kd
    .uniform_work_group_size: 1
    .uses_dynamic_stack: false
    .vgpr_count:     0
    .vgpr_spill_count: 0
    .wavefront_size: 64
  - .agpr_count:     0
    .args:
      - .offset:         0
        .size:           56
        .value_kind:     by_value
    .group_segment_fixed_size: 0
    .kernarg_segment_align: 8
    .kernarg_segment_size: 56
    .language:       OpenCL C
    .language_version:
      - 2
      - 0
    .max_flat_workgroup_size: 256
    .name:           _ZN7rocprim17ROCPRIM_400000_NS6detail17trampoline_kernelINS0_14default_configENS1_22reduce_config_selectorIiEEZNS1_11reduce_implILb1ES3_N6thrust23THRUST_200600_302600_NS11hip_rocprim35transform_pair_of_input_iterators_tIiPlSB_NS8_12not_equal_toIlEEEEPiiNS8_4plusIiEEEE10hipError_tPvRmT1_T2_T3_mT4_P12ihipStream_tbEUlT_E1_NS1_11comp_targetILNS1_3genE10ELNS1_11target_archE1201ELNS1_3gpuE5ELNS1_3repE0EEENS1_30default_config_static_selectorELNS0_4arch9wavefront6targetE1EEEvSL_
    .private_segment_fixed_size: 0
    .sgpr_count:     4
    .sgpr_spill_count: 0
    .symbol:         _ZN7rocprim17ROCPRIM_400000_NS6detail17trampoline_kernelINS0_14default_configENS1_22reduce_config_selectorIiEEZNS1_11reduce_implILb1ES3_N6thrust23THRUST_200600_302600_NS11hip_rocprim35transform_pair_of_input_iterators_tIiPlSB_NS8_12not_equal_toIlEEEEPiiNS8_4plusIiEEEE10hipError_tPvRmT1_T2_T3_mT4_P12ihipStream_tbEUlT_E1_NS1_11comp_targetILNS1_3genE10ELNS1_11target_archE1201ELNS1_3gpuE5ELNS1_3repE0EEENS1_30default_config_static_selectorELNS0_4arch9wavefront6targetE1EEEvSL_.kd
    .uniform_work_group_size: 1
    .uses_dynamic_stack: false
    .vgpr_count:     0
    .vgpr_spill_count: 0
    .wavefront_size: 64
  - .agpr_count:     0
    .args:
      - .offset:         0
        .size:           56
        .value_kind:     by_value
    .group_segment_fixed_size: 0
    .kernarg_segment_align: 8
    .kernarg_segment_size: 56
    .language:       OpenCL C
    .language_version:
      - 2
      - 0
    .max_flat_workgroup_size: 256
    .name:           _ZN7rocprim17ROCPRIM_400000_NS6detail17trampoline_kernelINS0_14default_configENS1_22reduce_config_selectorIiEEZNS1_11reduce_implILb1ES3_N6thrust23THRUST_200600_302600_NS11hip_rocprim35transform_pair_of_input_iterators_tIiPlSB_NS8_12not_equal_toIlEEEEPiiNS8_4plusIiEEEE10hipError_tPvRmT1_T2_T3_mT4_P12ihipStream_tbEUlT_E1_NS1_11comp_targetILNS1_3genE10ELNS1_11target_archE1200ELNS1_3gpuE4ELNS1_3repE0EEENS1_30default_config_static_selectorELNS0_4arch9wavefront6targetE1EEEvSL_
    .private_segment_fixed_size: 0
    .sgpr_count:     4
    .sgpr_spill_count: 0
    .symbol:         _ZN7rocprim17ROCPRIM_400000_NS6detail17trampoline_kernelINS0_14default_configENS1_22reduce_config_selectorIiEEZNS1_11reduce_implILb1ES3_N6thrust23THRUST_200600_302600_NS11hip_rocprim35transform_pair_of_input_iterators_tIiPlSB_NS8_12not_equal_toIlEEEEPiiNS8_4plusIiEEEE10hipError_tPvRmT1_T2_T3_mT4_P12ihipStream_tbEUlT_E1_NS1_11comp_targetILNS1_3genE10ELNS1_11target_archE1200ELNS1_3gpuE4ELNS1_3repE0EEENS1_30default_config_static_selectorELNS0_4arch9wavefront6targetE1EEEvSL_.kd
    .uniform_work_group_size: 1
    .uses_dynamic_stack: false
    .vgpr_count:     0
    .vgpr_spill_count: 0
    .wavefront_size: 64
  - .agpr_count:     0
    .args:
      - .offset:         0
        .size:           56
        .value_kind:     by_value
    .group_segment_fixed_size: 0
    .kernarg_segment_align: 8
    .kernarg_segment_size: 56
    .language:       OpenCL C
    .language_version:
      - 2
      - 0
    .max_flat_workgroup_size: 256
    .name:           _ZN7rocprim17ROCPRIM_400000_NS6detail17trampoline_kernelINS0_14default_configENS1_22reduce_config_selectorIiEEZNS1_11reduce_implILb1ES3_N6thrust23THRUST_200600_302600_NS11hip_rocprim35transform_pair_of_input_iterators_tIiPlSB_NS8_12not_equal_toIlEEEEPiiNS8_4plusIiEEEE10hipError_tPvRmT1_T2_T3_mT4_P12ihipStream_tbEUlT_E1_NS1_11comp_targetILNS1_3genE9ELNS1_11target_archE1100ELNS1_3gpuE3ELNS1_3repE0EEENS1_30default_config_static_selectorELNS0_4arch9wavefront6targetE1EEEvSL_
    .private_segment_fixed_size: 0
    .sgpr_count:     4
    .sgpr_spill_count: 0
    .symbol:         _ZN7rocprim17ROCPRIM_400000_NS6detail17trampoline_kernelINS0_14default_configENS1_22reduce_config_selectorIiEEZNS1_11reduce_implILb1ES3_N6thrust23THRUST_200600_302600_NS11hip_rocprim35transform_pair_of_input_iterators_tIiPlSB_NS8_12not_equal_toIlEEEEPiiNS8_4plusIiEEEE10hipError_tPvRmT1_T2_T3_mT4_P12ihipStream_tbEUlT_E1_NS1_11comp_targetILNS1_3genE9ELNS1_11target_archE1100ELNS1_3gpuE3ELNS1_3repE0EEENS1_30default_config_static_selectorELNS0_4arch9wavefront6targetE1EEEvSL_.kd
    .uniform_work_group_size: 1
    .uses_dynamic_stack: false
    .vgpr_count:     0
    .vgpr_spill_count: 0
    .wavefront_size: 64
  - .agpr_count:     0
    .args:
      - .offset:         0
        .size:           56
        .value_kind:     by_value
    .group_segment_fixed_size: 0
    .kernarg_segment_align: 8
    .kernarg_segment_size: 56
    .language:       OpenCL C
    .language_version:
      - 2
      - 0
    .max_flat_workgroup_size: 256
    .name:           _ZN7rocprim17ROCPRIM_400000_NS6detail17trampoline_kernelINS0_14default_configENS1_22reduce_config_selectorIiEEZNS1_11reduce_implILb1ES3_N6thrust23THRUST_200600_302600_NS11hip_rocprim35transform_pair_of_input_iterators_tIiPlSB_NS8_12not_equal_toIlEEEEPiiNS8_4plusIiEEEE10hipError_tPvRmT1_T2_T3_mT4_P12ihipStream_tbEUlT_E1_NS1_11comp_targetILNS1_3genE8ELNS1_11target_archE1030ELNS1_3gpuE2ELNS1_3repE0EEENS1_30default_config_static_selectorELNS0_4arch9wavefront6targetE1EEEvSL_
    .private_segment_fixed_size: 0
    .sgpr_count:     4
    .sgpr_spill_count: 0
    .symbol:         _ZN7rocprim17ROCPRIM_400000_NS6detail17trampoline_kernelINS0_14default_configENS1_22reduce_config_selectorIiEEZNS1_11reduce_implILb1ES3_N6thrust23THRUST_200600_302600_NS11hip_rocprim35transform_pair_of_input_iterators_tIiPlSB_NS8_12not_equal_toIlEEEEPiiNS8_4plusIiEEEE10hipError_tPvRmT1_T2_T3_mT4_P12ihipStream_tbEUlT_E1_NS1_11comp_targetILNS1_3genE8ELNS1_11target_archE1030ELNS1_3gpuE2ELNS1_3repE0EEENS1_30default_config_static_selectorELNS0_4arch9wavefront6targetE1EEEvSL_.kd
    .uniform_work_group_size: 1
    .uses_dynamic_stack: false
    .vgpr_count:     0
    .vgpr_spill_count: 0
    .wavefront_size: 64
  - .agpr_count:     0
    .args:
      - .offset:         0
        .size:           144
        .value_kind:     by_value
    .group_segment_fixed_size: 0
    .kernarg_segment_align: 8
    .kernarg_segment_size: 144
    .language:       OpenCL C
    .language_version:
      - 2
      - 0
    .max_flat_workgroup_size: 256
    .name:           _ZN7rocprim17ROCPRIM_400000_NS6detail17trampoline_kernelINS0_14default_configENS1_29reduce_by_key_config_selectorIllN6thrust23THRUST_200600_302600_NS4plusIlEEEEZZNS1_33reduce_by_key_impl_wrapped_configILNS1_25lookback_scan_determinismE0ES3_S9_PlNS6_17constant_iteratorIiNS6_11use_defaultESE_EENS6_10device_ptrIlEESH_PmS8_NS6_8equal_toIlEEEE10hipError_tPvRmT2_T3_mT4_T5_T6_T7_T8_P12ihipStream_tbENKUlT_T0_E_clISt17integral_constantIbLb0EES12_EEDaSX_SY_EUlSX_E_NS1_11comp_targetILNS1_3genE0ELNS1_11target_archE4294967295ELNS1_3gpuE0ELNS1_3repE0EEENS1_30default_config_static_selectorELNS0_4arch9wavefront6targetE1EEEvT1_
    .private_segment_fixed_size: 0
    .sgpr_count:     4
    .sgpr_spill_count: 0
    .symbol:         _ZN7rocprim17ROCPRIM_400000_NS6detail17trampoline_kernelINS0_14default_configENS1_29reduce_by_key_config_selectorIllN6thrust23THRUST_200600_302600_NS4plusIlEEEEZZNS1_33reduce_by_key_impl_wrapped_configILNS1_25lookback_scan_determinismE0ES3_S9_PlNS6_17constant_iteratorIiNS6_11use_defaultESE_EENS6_10device_ptrIlEESH_PmS8_NS6_8equal_toIlEEEE10hipError_tPvRmT2_T3_mT4_T5_T6_T7_T8_P12ihipStream_tbENKUlT_T0_E_clISt17integral_constantIbLb0EES12_EEDaSX_SY_EUlSX_E_NS1_11comp_targetILNS1_3genE0ELNS1_11target_archE4294967295ELNS1_3gpuE0ELNS1_3repE0EEENS1_30default_config_static_selectorELNS0_4arch9wavefront6targetE1EEEvT1_.kd
    .uniform_work_group_size: 1
    .uses_dynamic_stack: false
    .vgpr_count:     0
    .vgpr_spill_count: 0
    .wavefront_size: 64
  - .agpr_count:     0
    .args:
      - .offset:         0
        .size:           144
        .value_kind:     by_value
    .group_segment_fixed_size: 0
    .kernarg_segment_align: 8
    .kernarg_segment_size: 144
    .language:       OpenCL C
    .language_version:
      - 2
      - 0
    .max_flat_workgroup_size: 256
    .name:           _ZN7rocprim17ROCPRIM_400000_NS6detail17trampoline_kernelINS0_14default_configENS1_29reduce_by_key_config_selectorIllN6thrust23THRUST_200600_302600_NS4plusIlEEEEZZNS1_33reduce_by_key_impl_wrapped_configILNS1_25lookback_scan_determinismE0ES3_S9_PlNS6_17constant_iteratorIiNS6_11use_defaultESE_EENS6_10device_ptrIlEESH_PmS8_NS6_8equal_toIlEEEE10hipError_tPvRmT2_T3_mT4_T5_T6_T7_T8_P12ihipStream_tbENKUlT_T0_E_clISt17integral_constantIbLb0EES12_EEDaSX_SY_EUlSX_E_NS1_11comp_targetILNS1_3genE5ELNS1_11target_archE942ELNS1_3gpuE9ELNS1_3repE0EEENS1_30default_config_static_selectorELNS0_4arch9wavefront6targetE1EEEvT1_
    .private_segment_fixed_size: 0
    .sgpr_count:     4
    .sgpr_spill_count: 0
    .symbol:         _ZN7rocprim17ROCPRIM_400000_NS6detail17trampoline_kernelINS0_14default_configENS1_29reduce_by_key_config_selectorIllN6thrust23THRUST_200600_302600_NS4plusIlEEEEZZNS1_33reduce_by_key_impl_wrapped_configILNS1_25lookback_scan_determinismE0ES3_S9_PlNS6_17constant_iteratorIiNS6_11use_defaultESE_EENS6_10device_ptrIlEESH_PmS8_NS6_8equal_toIlEEEE10hipError_tPvRmT2_T3_mT4_T5_T6_T7_T8_P12ihipStream_tbENKUlT_T0_E_clISt17integral_constantIbLb0EES12_EEDaSX_SY_EUlSX_E_NS1_11comp_targetILNS1_3genE5ELNS1_11target_archE942ELNS1_3gpuE9ELNS1_3repE0EEENS1_30default_config_static_selectorELNS0_4arch9wavefront6targetE1EEEvT1_.kd
    .uniform_work_group_size: 1
    .uses_dynamic_stack: false
    .vgpr_count:     0
    .vgpr_spill_count: 0
    .wavefront_size: 64
  - .agpr_count:     0
    .args:
      - .offset:         0
        .size:           144
        .value_kind:     by_value
    .group_segment_fixed_size: 30720
    .kernarg_segment_align: 8
    .kernarg_segment_size: 144
    .language:       OpenCL C
    .language_version:
      - 2
      - 0
    .max_flat_workgroup_size: 256
    .name:           _ZN7rocprim17ROCPRIM_400000_NS6detail17trampoline_kernelINS0_14default_configENS1_29reduce_by_key_config_selectorIllN6thrust23THRUST_200600_302600_NS4plusIlEEEEZZNS1_33reduce_by_key_impl_wrapped_configILNS1_25lookback_scan_determinismE0ES3_S9_PlNS6_17constant_iteratorIiNS6_11use_defaultESE_EENS6_10device_ptrIlEESH_PmS8_NS6_8equal_toIlEEEE10hipError_tPvRmT2_T3_mT4_T5_T6_T7_T8_P12ihipStream_tbENKUlT_T0_E_clISt17integral_constantIbLb0EES12_EEDaSX_SY_EUlSX_E_NS1_11comp_targetILNS1_3genE4ELNS1_11target_archE910ELNS1_3gpuE8ELNS1_3repE0EEENS1_30default_config_static_selectorELNS0_4arch9wavefront6targetE1EEEvT1_
    .private_segment_fixed_size: 0
    .sgpr_count:     68
    .sgpr_spill_count: 0
    .symbol:         _ZN7rocprim17ROCPRIM_400000_NS6detail17trampoline_kernelINS0_14default_configENS1_29reduce_by_key_config_selectorIllN6thrust23THRUST_200600_302600_NS4plusIlEEEEZZNS1_33reduce_by_key_impl_wrapped_configILNS1_25lookback_scan_determinismE0ES3_S9_PlNS6_17constant_iteratorIiNS6_11use_defaultESE_EENS6_10device_ptrIlEESH_PmS8_NS6_8equal_toIlEEEE10hipError_tPvRmT2_T3_mT4_T5_T6_T7_T8_P12ihipStream_tbENKUlT_T0_E_clISt17integral_constantIbLb0EES12_EEDaSX_SY_EUlSX_E_NS1_11comp_targetILNS1_3genE4ELNS1_11target_archE910ELNS1_3gpuE8ELNS1_3repE0EEENS1_30default_config_static_selectorELNS0_4arch9wavefront6targetE1EEEvT1_.kd
    .uniform_work_group_size: 1
    .uses_dynamic_stack: false
    .vgpr_count:     118
    .vgpr_spill_count: 0
    .wavefront_size: 64
  - .agpr_count:     0
    .args:
      - .offset:         0
        .size:           144
        .value_kind:     by_value
    .group_segment_fixed_size: 0
    .kernarg_segment_align: 8
    .kernarg_segment_size: 144
    .language:       OpenCL C
    .language_version:
      - 2
      - 0
    .max_flat_workgroup_size: 256
    .name:           _ZN7rocprim17ROCPRIM_400000_NS6detail17trampoline_kernelINS0_14default_configENS1_29reduce_by_key_config_selectorIllN6thrust23THRUST_200600_302600_NS4plusIlEEEEZZNS1_33reduce_by_key_impl_wrapped_configILNS1_25lookback_scan_determinismE0ES3_S9_PlNS6_17constant_iteratorIiNS6_11use_defaultESE_EENS6_10device_ptrIlEESH_PmS8_NS6_8equal_toIlEEEE10hipError_tPvRmT2_T3_mT4_T5_T6_T7_T8_P12ihipStream_tbENKUlT_T0_E_clISt17integral_constantIbLb0EES12_EEDaSX_SY_EUlSX_E_NS1_11comp_targetILNS1_3genE3ELNS1_11target_archE908ELNS1_3gpuE7ELNS1_3repE0EEENS1_30default_config_static_selectorELNS0_4arch9wavefront6targetE1EEEvT1_
    .private_segment_fixed_size: 0
    .sgpr_count:     4
    .sgpr_spill_count: 0
    .symbol:         _ZN7rocprim17ROCPRIM_400000_NS6detail17trampoline_kernelINS0_14default_configENS1_29reduce_by_key_config_selectorIllN6thrust23THRUST_200600_302600_NS4plusIlEEEEZZNS1_33reduce_by_key_impl_wrapped_configILNS1_25lookback_scan_determinismE0ES3_S9_PlNS6_17constant_iteratorIiNS6_11use_defaultESE_EENS6_10device_ptrIlEESH_PmS8_NS6_8equal_toIlEEEE10hipError_tPvRmT2_T3_mT4_T5_T6_T7_T8_P12ihipStream_tbENKUlT_T0_E_clISt17integral_constantIbLb0EES12_EEDaSX_SY_EUlSX_E_NS1_11comp_targetILNS1_3genE3ELNS1_11target_archE908ELNS1_3gpuE7ELNS1_3repE0EEENS1_30default_config_static_selectorELNS0_4arch9wavefront6targetE1EEEvT1_.kd
    .uniform_work_group_size: 1
    .uses_dynamic_stack: false
    .vgpr_count:     0
    .vgpr_spill_count: 0
    .wavefront_size: 64
  - .agpr_count:     0
    .args:
      - .offset:         0
        .size:           144
        .value_kind:     by_value
    .group_segment_fixed_size: 0
    .kernarg_segment_align: 8
    .kernarg_segment_size: 144
    .language:       OpenCL C
    .language_version:
      - 2
      - 0
    .max_flat_workgroup_size: 256
    .name:           _ZN7rocprim17ROCPRIM_400000_NS6detail17trampoline_kernelINS0_14default_configENS1_29reduce_by_key_config_selectorIllN6thrust23THRUST_200600_302600_NS4plusIlEEEEZZNS1_33reduce_by_key_impl_wrapped_configILNS1_25lookback_scan_determinismE0ES3_S9_PlNS6_17constant_iteratorIiNS6_11use_defaultESE_EENS6_10device_ptrIlEESH_PmS8_NS6_8equal_toIlEEEE10hipError_tPvRmT2_T3_mT4_T5_T6_T7_T8_P12ihipStream_tbENKUlT_T0_E_clISt17integral_constantIbLb0EES12_EEDaSX_SY_EUlSX_E_NS1_11comp_targetILNS1_3genE2ELNS1_11target_archE906ELNS1_3gpuE6ELNS1_3repE0EEENS1_30default_config_static_selectorELNS0_4arch9wavefront6targetE1EEEvT1_
    .private_segment_fixed_size: 0
    .sgpr_count:     4
    .sgpr_spill_count: 0
    .symbol:         _ZN7rocprim17ROCPRIM_400000_NS6detail17trampoline_kernelINS0_14default_configENS1_29reduce_by_key_config_selectorIllN6thrust23THRUST_200600_302600_NS4plusIlEEEEZZNS1_33reduce_by_key_impl_wrapped_configILNS1_25lookback_scan_determinismE0ES3_S9_PlNS6_17constant_iteratorIiNS6_11use_defaultESE_EENS6_10device_ptrIlEESH_PmS8_NS6_8equal_toIlEEEE10hipError_tPvRmT2_T3_mT4_T5_T6_T7_T8_P12ihipStream_tbENKUlT_T0_E_clISt17integral_constantIbLb0EES12_EEDaSX_SY_EUlSX_E_NS1_11comp_targetILNS1_3genE2ELNS1_11target_archE906ELNS1_3gpuE6ELNS1_3repE0EEENS1_30default_config_static_selectorELNS0_4arch9wavefront6targetE1EEEvT1_.kd
    .uniform_work_group_size: 1
    .uses_dynamic_stack: false
    .vgpr_count:     0
    .vgpr_spill_count: 0
    .wavefront_size: 64
  - .agpr_count:     0
    .args:
      - .offset:         0
        .size:           144
        .value_kind:     by_value
    .group_segment_fixed_size: 0
    .kernarg_segment_align: 8
    .kernarg_segment_size: 144
    .language:       OpenCL C
    .language_version:
      - 2
      - 0
    .max_flat_workgroup_size: 256
    .name:           _ZN7rocprim17ROCPRIM_400000_NS6detail17trampoline_kernelINS0_14default_configENS1_29reduce_by_key_config_selectorIllN6thrust23THRUST_200600_302600_NS4plusIlEEEEZZNS1_33reduce_by_key_impl_wrapped_configILNS1_25lookback_scan_determinismE0ES3_S9_PlNS6_17constant_iteratorIiNS6_11use_defaultESE_EENS6_10device_ptrIlEESH_PmS8_NS6_8equal_toIlEEEE10hipError_tPvRmT2_T3_mT4_T5_T6_T7_T8_P12ihipStream_tbENKUlT_T0_E_clISt17integral_constantIbLb0EES12_EEDaSX_SY_EUlSX_E_NS1_11comp_targetILNS1_3genE10ELNS1_11target_archE1201ELNS1_3gpuE5ELNS1_3repE0EEENS1_30default_config_static_selectorELNS0_4arch9wavefront6targetE1EEEvT1_
    .private_segment_fixed_size: 0
    .sgpr_count:     4
    .sgpr_spill_count: 0
    .symbol:         _ZN7rocprim17ROCPRIM_400000_NS6detail17trampoline_kernelINS0_14default_configENS1_29reduce_by_key_config_selectorIllN6thrust23THRUST_200600_302600_NS4plusIlEEEEZZNS1_33reduce_by_key_impl_wrapped_configILNS1_25lookback_scan_determinismE0ES3_S9_PlNS6_17constant_iteratorIiNS6_11use_defaultESE_EENS6_10device_ptrIlEESH_PmS8_NS6_8equal_toIlEEEE10hipError_tPvRmT2_T3_mT4_T5_T6_T7_T8_P12ihipStream_tbENKUlT_T0_E_clISt17integral_constantIbLb0EES12_EEDaSX_SY_EUlSX_E_NS1_11comp_targetILNS1_3genE10ELNS1_11target_archE1201ELNS1_3gpuE5ELNS1_3repE0EEENS1_30default_config_static_selectorELNS0_4arch9wavefront6targetE1EEEvT1_.kd
    .uniform_work_group_size: 1
    .uses_dynamic_stack: false
    .vgpr_count:     0
    .vgpr_spill_count: 0
    .wavefront_size: 64
  - .agpr_count:     0
    .args:
      - .offset:         0
        .size:           144
        .value_kind:     by_value
    .group_segment_fixed_size: 0
    .kernarg_segment_align: 8
    .kernarg_segment_size: 144
    .language:       OpenCL C
    .language_version:
      - 2
      - 0
    .max_flat_workgroup_size: 256
    .name:           _ZN7rocprim17ROCPRIM_400000_NS6detail17trampoline_kernelINS0_14default_configENS1_29reduce_by_key_config_selectorIllN6thrust23THRUST_200600_302600_NS4plusIlEEEEZZNS1_33reduce_by_key_impl_wrapped_configILNS1_25lookback_scan_determinismE0ES3_S9_PlNS6_17constant_iteratorIiNS6_11use_defaultESE_EENS6_10device_ptrIlEESH_PmS8_NS6_8equal_toIlEEEE10hipError_tPvRmT2_T3_mT4_T5_T6_T7_T8_P12ihipStream_tbENKUlT_T0_E_clISt17integral_constantIbLb0EES12_EEDaSX_SY_EUlSX_E_NS1_11comp_targetILNS1_3genE10ELNS1_11target_archE1200ELNS1_3gpuE4ELNS1_3repE0EEENS1_30default_config_static_selectorELNS0_4arch9wavefront6targetE1EEEvT1_
    .private_segment_fixed_size: 0
    .sgpr_count:     4
    .sgpr_spill_count: 0
    .symbol:         _ZN7rocprim17ROCPRIM_400000_NS6detail17trampoline_kernelINS0_14default_configENS1_29reduce_by_key_config_selectorIllN6thrust23THRUST_200600_302600_NS4plusIlEEEEZZNS1_33reduce_by_key_impl_wrapped_configILNS1_25lookback_scan_determinismE0ES3_S9_PlNS6_17constant_iteratorIiNS6_11use_defaultESE_EENS6_10device_ptrIlEESH_PmS8_NS6_8equal_toIlEEEE10hipError_tPvRmT2_T3_mT4_T5_T6_T7_T8_P12ihipStream_tbENKUlT_T0_E_clISt17integral_constantIbLb0EES12_EEDaSX_SY_EUlSX_E_NS1_11comp_targetILNS1_3genE10ELNS1_11target_archE1200ELNS1_3gpuE4ELNS1_3repE0EEENS1_30default_config_static_selectorELNS0_4arch9wavefront6targetE1EEEvT1_.kd
    .uniform_work_group_size: 1
    .uses_dynamic_stack: false
    .vgpr_count:     0
    .vgpr_spill_count: 0
    .wavefront_size: 64
  - .agpr_count:     0
    .args:
      - .offset:         0
        .size:           144
        .value_kind:     by_value
    .group_segment_fixed_size: 0
    .kernarg_segment_align: 8
    .kernarg_segment_size: 144
    .language:       OpenCL C
    .language_version:
      - 2
      - 0
    .max_flat_workgroup_size: 256
    .name:           _ZN7rocprim17ROCPRIM_400000_NS6detail17trampoline_kernelINS0_14default_configENS1_29reduce_by_key_config_selectorIllN6thrust23THRUST_200600_302600_NS4plusIlEEEEZZNS1_33reduce_by_key_impl_wrapped_configILNS1_25lookback_scan_determinismE0ES3_S9_PlNS6_17constant_iteratorIiNS6_11use_defaultESE_EENS6_10device_ptrIlEESH_PmS8_NS6_8equal_toIlEEEE10hipError_tPvRmT2_T3_mT4_T5_T6_T7_T8_P12ihipStream_tbENKUlT_T0_E_clISt17integral_constantIbLb0EES12_EEDaSX_SY_EUlSX_E_NS1_11comp_targetILNS1_3genE9ELNS1_11target_archE1100ELNS1_3gpuE3ELNS1_3repE0EEENS1_30default_config_static_selectorELNS0_4arch9wavefront6targetE1EEEvT1_
    .private_segment_fixed_size: 0
    .sgpr_count:     4
    .sgpr_spill_count: 0
    .symbol:         _ZN7rocprim17ROCPRIM_400000_NS6detail17trampoline_kernelINS0_14default_configENS1_29reduce_by_key_config_selectorIllN6thrust23THRUST_200600_302600_NS4plusIlEEEEZZNS1_33reduce_by_key_impl_wrapped_configILNS1_25lookback_scan_determinismE0ES3_S9_PlNS6_17constant_iteratorIiNS6_11use_defaultESE_EENS6_10device_ptrIlEESH_PmS8_NS6_8equal_toIlEEEE10hipError_tPvRmT2_T3_mT4_T5_T6_T7_T8_P12ihipStream_tbENKUlT_T0_E_clISt17integral_constantIbLb0EES12_EEDaSX_SY_EUlSX_E_NS1_11comp_targetILNS1_3genE9ELNS1_11target_archE1100ELNS1_3gpuE3ELNS1_3repE0EEENS1_30default_config_static_selectorELNS0_4arch9wavefront6targetE1EEEvT1_.kd
    .uniform_work_group_size: 1
    .uses_dynamic_stack: false
    .vgpr_count:     0
    .vgpr_spill_count: 0
    .wavefront_size: 64
  - .agpr_count:     0
    .args:
      - .offset:         0
        .size:           144
        .value_kind:     by_value
    .group_segment_fixed_size: 0
    .kernarg_segment_align: 8
    .kernarg_segment_size: 144
    .language:       OpenCL C
    .language_version:
      - 2
      - 0
    .max_flat_workgroup_size: 256
    .name:           _ZN7rocprim17ROCPRIM_400000_NS6detail17trampoline_kernelINS0_14default_configENS1_29reduce_by_key_config_selectorIllN6thrust23THRUST_200600_302600_NS4plusIlEEEEZZNS1_33reduce_by_key_impl_wrapped_configILNS1_25lookback_scan_determinismE0ES3_S9_PlNS6_17constant_iteratorIiNS6_11use_defaultESE_EENS6_10device_ptrIlEESH_PmS8_NS6_8equal_toIlEEEE10hipError_tPvRmT2_T3_mT4_T5_T6_T7_T8_P12ihipStream_tbENKUlT_T0_E_clISt17integral_constantIbLb0EES12_EEDaSX_SY_EUlSX_E_NS1_11comp_targetILNS1_3genE8ELNS1_11target_archE1030ELNS1_3gpuE2ELNS1_3repE0EEENS1_30default_config_static_selectorELNS0_4arch9wavefront6targetE1EEEvT1_
    .private_segment_fixed_size: 0
    .sgpr_count:     4
    .sgpr_spill_count: 0
    .symbol:         _ZN7rocprim17ROCPRIM_400000_NS6detail17trampoline_kernelINS0_14default_configENS1_29reduce_by_key_config_selectorIllN6thrust23THRUST_200600_302600_NS4plusIlEEEEZZNS1_33reduce_by_key_impl_wrapped_configILNS1_25lookback_scan_determinismE0ES3_S9_PlNS6_17constant_iteratorIiNS6_11use_defaultESE_EENS6_10device_ptrIlEESH_PmS8_NS6_8equal_toIlEEEE10hipError_tPvRmT2_T3_mT4_T5_T6_T7_T8_P12ihipStream_tbENKUlT_T0_E_clISt17integral_constantIbLb0EES12_EEDaSX_SY_EUlSX_E_NS1_11comp_targetILNS1_3genE8ELNS1_11target_archE1030ELNS1_3gpuE2ELNS1_3repE0EEENS1_30default_config_static_selectorELNS0_4arch9wavefront6targetE1EEEvT1_.kd
    .uniform_work_group_size: 1
    .uses_dynamic_stack: false
    .vgpr_count:     0
    .vgpr_spill_count: 0
    .wavefront_size: 64
  - .agpr_count:     0
    .args:
      - .offset:         0
        .size:           144
        .value_kind:     by_value
    .group_segment_fixed_size: 0
    .kernarg_segment_align: 8
    .kernarg_segment_size: 144
    .language:       OpenCL C
    .language_version:
      - 2
      - 0
    .max_flat_workgroup_size: 256
    .name:           _ZN7rocprim17ROCPRIM_400000_NS6detail17trampoline_kernelINS0_14default_configENS1_29reduce_by_key_config_selectorIllN6thrust23THRUST_200600_302600_NS4plusIlEEEEZZNS1_33reduce_by_key_impl_wrapped_configILNS1_25lookback_scan_determinismE0ES3_S9_PlNS6_17constant_iteratorIiNS6_11use_defaultESE_EENS6_10device_ptrIlEESH_PmS8_NS6_8equal_toIlEEEE10hipError_tPvRmT2_T3_mT4_T5_T6_T7_T8_P12ihipStream_tbENKUlT_T0_E_clISt17integral_constantIbLb1EES12_EEDaSX_SY_EUlSX_E_NS1_11comp_targetILNS1_3genE0ELNS1_11target_archE4294967295ELNS1_3gpuE0ELNS1_3repE0EEENS1_30default_config_static_selectorELNS0_4arch9wavefront6targetE1EEEvT1_
    .private_segment_fixed_size: 0
    .sgpr_count:     4
    .sgpr_spill_count: 0
    .symbol:         _ZN7rocprim17ROCPRIM_400000_NS6detail17trampoline_kernelINS0_14default_configENS1_29reduce_by_key_config_selectorIllN6thrust23THRUST_200600_302600_NS4plusIlEEEEZZNS1_33reduce_by_key_impl_wrapped_configILNS1_25lookback_scan_determinismE0ES3_S9_PlNS6_17constant_iteratorIiNS6_11use_defaultESE_EENS6_10device_ptrIlEESH_PmS8_NS6_8equal_toIlEEEE10hipError_tPvRmT2_T3_mT4_T5_T6_T7_T8_P12ihipStream_tbENKUlT_T0_E_clISt17integral_constantIbLb1EES12_EEDaSX_SY_EUlSX_E_NS1_11comp_targetILNS1_3genE0ELNS1_11target_archE4294967295ELNS1_3gpuE0ELNS1_3repE0EEENS1_30default_config_static_selectorELNS0_4arch9wavefront6targetE1EEEvT1_.kd
    .uniform_work_group_size: 1
    .uses_dynamic_stack: false
    .vgpr_count:     0
    .vgpr_spill_count: 0
    .wavefront_size: 64
  - .agpr_count:     0
    .args:
      - .offset:         0
        .size:           144
        .value_kind:     by_value
    .group_segment_fixed_size: 0
    .kernarg_segment_align: 8
    .kernarg_segment_size: 144
    .language:       OpenCL C
    .language_version:
      - 2
      - 0
    .max_flat_workgroup_size: 256
    .name:           _ZN7rocprim17ROCPRIM_400000_NS6detail17trampoline_kernelINS0_14default_configENS1_29reduce_by_key_config_selectorIllN6thrust23THRUST_200600_302600_NS4plusIlEEEEZZNS1_33reduce_by_key_impl_wrapped_configILNS1_25lookback_scan_determinismE0ES3_S9_PlNS6_17constant_iteratorIiNS6_11use_defaultESE_EENS6_10device_ptrIlEESH_PmS8_NS6_8equal_toIlEEEE10hipError_tPvRmT2_T3_mT4_T5_T6_T7_T8_P12ihipStream_tbENKUlT_T0_E_clISt17integral_constantIbLb1EES12_EEDaSX_SY_EUlSX_E_NS1_11comp_targetILNS1_3genE5ELNS1_11target_archE942ELNS1_3gpuE9ELNS1_3repE0EEENS1_30default_config_static_selectorELNS0_4arch9wavefront6targetE1EEEvT1_
    .private_segment_fixed_size: 0
    .sgpr_count:     4
    .sgpr_spill_count: 0
    .symbol:         _ZN7rocprim17ROCPRIM_400000_NS6detail17trampoline_kernelINS0_14default_configENS1_29reduce_by_key_config_selectorIllN6thrust23THRUST_200600_302600_NS4plusIlEEEEZZNS1_33reduce_by_key_impl_wrapped_configILNS1_25lookback_scan_determinismE0ES3_S9_PlNS6_17constant_iteratorIiNS6_11use_defaultESE_EENS6_10device_ptrIlEESH_PmS8_NS6_8equal_toIlEEEE10hipError_tPvRmT2_T3_mT4_T5_T6_T7_T8_P12ihipStream_tbENKUlT_T0_E_clISt17integral_constantIbLb1EES12_EEDaSX_SY_EUlSX_E_NS1_11comp_targetILNS1_3genE5ELNS1_11target_archE942ELNS1_3gpuE9ELNS1_3repE0EEENS1_30default_config_static_selectorELNS0_4arch9wavefront6targetE1EEEvT1_.kd
    .uniform_work_group_size: 1
    .uses_dynamic_stack: false
    .vgpr_count:     0
    .vgpr_spill_count: 0
    .wavefront_size: 64
  - .agpr_count:     0
    .args:
      - .offset:         0
        .size:           144
        .value_kind:     by_value
    .group_segment_fixed_size: 30720
    .kernarg_segment_align: 8
    .kernarg_segment_size: 144
    .language:       OpenCL C
    .language_version:
      - 2
      - 0
    .max_flat_workgroup_size: 256
    .name:           _ZN7rocprim17ROCPRIM_400000_NS6detail17trampoline_kernelINS0_14default_configENS1_29reduce_by_key_config_selectorIllN6thrust23THRUST_200600_302600_NS4plusIlEEEEZZNS1_33reduce_by_key_impl_wrapped_configILNS1_25lookback_scan_determinismE0ES3_S9_PlNS6_17constant_iteratorIiNS6_11use_defaultESE_EENS6_10device_ptrIlEESH_PmS8_NS6_8equal_toIlEEEE10hipError_tPvRmT2_T3_mT4_T5_T6_T7_T8_P12ihipStream_tbENKUlT_T0_E_clISt17integral_constantIbLb1EES12_EEDaSX_SY_EUlSX_E_NS1_11comp_targetILNS1_3genE4ELNS1_11target_archE910ELNS1_3gpuE8ELNS1_3repE0EEENS1_30default_config_static_selectorELNS0_4arch9wavefront6targetE1EEEvT1_
    .private_segment_fixed_size: 0
    .sgpr_count:     70
    .sgpr_spill_count: 0
    .symbol:         _ZN7rocprim17ROCPRIM_400000_NS6detail17trampoline_kernelINS0_14default_configENS1_29reduce_by_key_config_selectorIllN6thrust23THRUST_200600_302600_NS4plusIlEEEEZZNS1_33reduce_by_key_impl_wrapped_configILNS1_25lookback_scan_determinismE0ES3_S9_PlNS6_17constant_iteratorIiNS6_11use_defaultESE_EENS6_10device_ptrIlEESH_PmS8_NS6_8equal_toIlEEEE10hipError_tPvRmT2_T3_mT4_T5_T6_T7_T8_P12ihipStream_tbENKUlT_T0_E_clISt17integral_constantIbLb1EES12_EEDaSX_SY_EUlSX_E_NS1_11comp_targetILNS1_3genE4ELNS1_11target_archE910ELNS1_3gpuE8ELNS1_3repE0EEENS1_30default_config_static_selectorELNS0_4arch9wavefront6targetE1EEEvT1_.kd
    .uniform_work_group_size: 1
    .uses_dynamic_stack: false
    .vgpr_count:     118
    .vgpr_spill_count: 0
    .wavefront_size: 64
  - .agpr_count:     0
    .args:
      - .offset:         0
        .size:           144
        .value_kind:     by_value
    .group_segment_fixed_size: 0
    .kernarg_segment_align: 8
    .kernarg_segment_size: 144
    .language:       OpenCL C
    .language_version:
      - 2
      - 0
    .max_flat_workgroup_size: 256
    .name:           _ZN7rocprim17ROCPRIM_400000_NS6detail17trampoline_kernelINS0_14default_configENS1_29reduce_by_key_config_selectorIllN6thrust23THRUST_200600_302600_NS4plusIlEEEEZZNS1_33reduce_by_key_impl_wrapped_configILNS1_25lookback_scan_determinismE0ES3_S9_PlNS6_17constant_iteratorIiNS6_11use_defaultESE_EENS6_10device_ptrIlEESH_PmS8_NS6_8equal_toIlEEEE10hipError_tPvRmT2_T3_mT4_T5_T6_T7_T8_P12ihipStream_tbENKUlT_T0_E_clISt17integral_constantIbLb1EES12_EEDaSX_SY_EUlSX_E_NS1_11comp_targetILNS1_3genE3ELNS1_11target_archE908ELNS1_3gpuE7ELNS1_3repE0EEENS1_30default_config_static_selectorELNS0_4arch9wavefront6targetE1EEEvT1_
    .private_segment_fixed_size: 0
    .sgpr_count:     4
    .sgpr_spill_count: 0
    .symbol:         _ZN7rocprim17ROCPRIM_400000_NS6detail17trampoline_kernelINS0_14default_configENS1_29reduce_by_key_config_selectorIllN6thrust23THRUST_200600_302600_NS4plusIlEEEEZZNS1_33reduce_by_key_impl_wrapped_configILNS1_25lookback_scan_determinismE0ES3_S9_PlNS6_17constant_iteratorIiNS6_11use_defaultESE_EENS6_10device_ptrIlEESH_PmS8_NS6_8equal_toIlEEEE10hipError_tPvRmT2_T3_mT4_T5_T6_T7_T8_P12ihipStream_tbENKUlT_T0_E_clISt17integral_constantIbLb1EES12_EEDaSX_SY_EUlSX_E_NS1_11comp_targetILNS1_3genE3ELNS1_11target_archE908ELNS1_3gpuE7ELNS1_3repE0EEENS1_30default_config_static_selectorELNS0_4arch9wavefront6targetE1EEEvT1_.kd
    .uniform_work_group_size: 1
    .uses_dynamic_stack: false
    .vgpr_count:     0
    .vgpr_spill_count: 0
    .wavefront_size: 64
  - .agpr_count:     0
    .args:
      - .offset:         0
        .size:           144
        .value_kind:     by_value
    .group_segment_fixed_size: 0
    .kernarg_segment_align: 8
    .kernarg_segment_size: 144
    .language:       OpenCL C
    .language_version:
      - 2
      - 0
    .max_flat_workgroup_size: 256
    .name:           _ZN7rocprim17ROCPRIM_400000_NS6detail17trampoline_kernelINS0_14default_configENS1_29reduce_by_key_config_selectorIllN6thrust23THRUST_200600_302600_NS4plusIlEEEEZZNS1_33reduce_by_key_impl_wrapped_configILNS1_25lookback_scan_determinismE0ES3_S9_PlNS6_17constant_iteratorIiNS6_11use_defaultESE_EENS6_10device_ptrIlEESH_PmS8_NS6_8equal_toIlEEEE10hipError_tPvRmT2_T3_mT4_T5_T6_T7_T8_P12ihipStream_tbENKUlT_T0_E_clISt17integral_constantIbLb1EES12_EEDaSX_SY_EUlSX_E_NS1_11comp_targetILNS1_3genE2ELNS1_11target_archE906ELNS1_3gpuE6ELNS1_3repE0EEENS1_30default_config_static_selectorELNS0_4arch9wavefront6targetE1EEEvT1_
    .private_segment_fixed_size: 0
    .sgpr_count:     4
    .sgpr_spill_count: 0
    .symbol:         _ZN7rocprim17ROCPRIM_400000_NS6detail17trampoline_kernelINS0_14default_configENS1_29reduce_by_key_config_selectorIllN6thrust23THRUST_200600_302600_NS4plusIlEEEEZZNS1_33reduce_by_key_impl_wrapped_configILNS1_25lookback_scan_determinismE0ES3_S9_PlNS6_17constant_iteratorIiNS6_11use_defaultESE_EENS6_10device_ptrIlEESH_PmS8_NS6_8equal_toIlEEEE10hipError_tPvRmT2_T3_mT4_T5_T6_T7_T8_P12ihipStream_tbENKUlT_T0_E_clISt17integral_constantIbLb1EES12_EEDaSX_SY_EUlSX_E_NS1_11comp_targetILNS1_3genE2ELNS1_11target_archE906ELNS1_3gpuE6ELNS1_3repE0EEENS1_30default_config_static_selectorELNS0_4arch9wavefront6targetE1EEEvT1_.kd
    .uniform_work_group_size: 1
    .uses_dynamic_stack: false
    .vgpr_count:     0
    .vgpr_spill_count: 0
    .wavefront_size: 64
  - .agpr_count:     0
    .args:
      - .offset:         0
        .size:           144
        .value_kind:     by_value
    .group_segment_fixed_size: 0
    .kernarg_segment_align: 8
    .kernarg_segment_size: 144
    .language:       OpenCL C
    .language_version:
      - 2
      - 0
    .max_flat_workgroup_size: 256
    .name:           _ZN7rocprim17ROCPRIM_400000_NS6detail17trampoline_kernelINS0_14default_configENS1_29reduce_by_key_config_selectorIllN6thrust23THRUST_200600_302600_NS4plusIlEEEEZZNS1_33reduce_by_key_impl_wrapped_configILNS1_25lookback_scan_determinismE0ES3_S9_PlNS6_17constant_iteratorIiNS6_11use_defaultESE_EENS6_10device_ptrIlEESH_PmS8_NS6_8equal_toIlEEEE10hipError_tPvRmT2_T3_mT4_T5_T6_T7_T8_P12ihipStream_tbENKUlT_T0_E_clISt17integral_constantIbLb1EES12_EEDaSX_SY_EUlSX_E_NS1_11comp_targetILNS1_3genE10ELNS1_11target_archE1201ELNS1_3gpuE5ELNS1_3repE0EEENS1_30default_config_static_selectorELNS0_4arch9wavefront6targetE1EEEvT1_
    .private_segment_fixed_size: 0
    .sgpr_count:     4
    .sgpr_spill_count: 0
    .symbol:         _ZN7rocprim17ROCPRIM_400000_NS6detail17trampoline_kernelINS0_14default_configENS1_29reduce_by_key_config_selectorIllN6thrust23THRUST_200600_302600_NS4plusIlEEEEZZNS1_33reduce_by_key_impl_wrapped_configILNS1_25lookback_scan_determinismE0ES3_S9_PlNS6_17constant_iteratorIiNS6_11use_defaultESE_EENS6_10device_ptrIlEESH_PmS8_NS6_8equal_toIlEEEE10hipError_tPvRmT2_T3_mT4_T5_T6_T7_T8_P12ihipStream_tbENKUlT_T0_E_clISt17integral_constantIbLb1EES12_EEDaSX_SY_EUlSX_E_NS1_11comp_targetILNS1_3genE10ELNS1_11target_archE1201ELNS1_3gpuE5ELNS1_3repE0EEENS1_30default_config_static_selectorELNS0_4arch9wavefront6targetE1EEEvT1_.kd
    .uniform_work_group_size: 1
    .uses_dynamic_stack: false
    .vgpr_count:     0
    .vgpr_spill_count: 0
    .wavefront_size: 64
  - .agpr_count:     0
    .args:
      - .offset:         0
        .size:           144
        .value_kind:     by_value
    .group_segment_fixed_size: 0
    .kernarg_segment_align: 8
    .kernarg_segment_size: 144
    .language:       OpenCL C
    .language_version:
      - 2
      - 0
    .max_flat_workgroup_size: 256
    .name:           _ZN7rocprim17ROCPRIM_400000_NS6detail17trampoline_kernelINS0_14default_configENS1_29reduce_by_key_config_selectorIllN6thrust23THRUST_200600_302600_NS4plusIlEEEEZZNS1_33reduce_by_key_impl_wrapped_configILNS1_25lookback_scan_determinismE0ES3_S9_PlNS6_17constant_iteratorIiNS6_11use_defaultESE_EENS6_10device_ptrIlEESH_PmS8_NS6_8equal_toIlEEEE10hipError_tPvRmT2_T3_mT4_T5_T6_T7_T8_P12ihipStream_tbENKUlT_T0_E_clISt17integral_constantIbLb1EES12_EEDaSX_SY_EUlSX_E_NS1_11comp_targetILNS1_3genE10ELNS1_11target_archE1200ELNS1_3gpuE4ELNS1_3repE0EEENS1_30default_config_static_selectorELNS0_4arch9wavefront6targetE1EEEvT1_
    .private_segment_fixed_size: 0
    .sgpr_count:     4
    .sgpr_spill_count: 0
    .symbol:         _ZN7rocprim17ROCPRIM_400000_NS6detail17trampoline_kernelINS0_14default_configENS1_29reduce_by_key_config_selectorIllN6thrust23THRUST_200600_302600_NS4plusIlEEEEZZNS1_33reduce_by_key_impl_wrapped_configILNS1_25lookback_scan_determinismE0ES3_S9_PlNS6_17constant_iteratorIiNS6_11use_defaultESE_EENS6_10device_ptrIlEESH_PmS8_NS6_8equal_toIlEEEE10hipError_tPvRmT2_T3_mT4_T5_T6_T7_T8_P12ihipStream_tbENKUlT_T0_E_clISt17integral_constantIbLb1EES12_EEDaSX_SY_EUlSX_E_NS1_11comp_targetILNS1_3genE10ELNS1_11target_archE1200ELNS1_3gpuE4ELNS1_3repE0EEENS1_30default_config_static_selectorELNS0_4arch9wavefront6targetE1EEEvT1_.kd
    .uniform_work_group_size: 1
    .uses_dynamic_stack: false
    .vgpr_count:     0
    .vgpr_spill_count: 0
    .wavefront_size: 64
  - .agpr_count:     0
    .args:
      - .offset:         0
        .size:           144
        .value_kind:     by_value
    .group_segment_fixed_size: 0
    .kernarg_segment_align: 8
    .kernarg_segment_size: 144
    .language:       OpenCL C
    .language_version:
      - 2
      - 0
    .max_flat_workgroup_size: 256
    .name:           _ZN7rocprim17ROCPRIM_400000_NS6detail17trampoline_kernelINS0_14default_configENS1_29reduce_by_key_config_selectorIllN6thrust23THRUST_200600_302600_NS4plusIlEEEEZZNS1_33reduce_by_key_impl_wrapped_configILNS1_25lookback_scan_determinismE0ES3_S9_PlNS6_17constant_iteratorIiNS6_11use_defaultESE_EENS6_10device_ptrIlEESH_PmS8_NS6_8equal_toIlEEEE10hipError_tPvRmT2_T3_mT4_T5_T6_T7_T8_P12ihipStream_tbENKUlT_T0_E_clISt17integral_constantIbLb1EES12_EEDaSX_SY_EUlSX_E_NS1_11comp_targetILNS1_3genE9ELNS1_11target_archE1100ELNS1_3gpuE3ELNS1_3repE0EEENS1_30default_config_static_selectorELNS0_4arch9wavefront6targetE1EEEvT1_
    .private_segment_fixed_size: 0
    .sgpr_count:     4
    .sgpr_spill_count: 0
    .symbol:         _ZN7rocprim17ROCPRIM_400000_NS6detail17trampoline_kernelINS0_14default_configENS1_29reduce_by_key_config_selectorIllN6thrust23THRUST_200600_302600_NS4plusIlEEEEZZNS1_33reduce_by_key_impl_wrapped_configILNS1_25lookback_scan_determinismE0ES3_S9_PlNS6_17constant_iteratorIiNS6_11use_defaultESE_EENS6_10device_ptrIlEESH_PmS8_NS6_8equal_toIlEEEE10hipError_tPvRmT2_T3_mT4_T5_T6_T7_T8_P12ihipStream_tbENKUlT_T0_E_clISt17integral_constantIbLb1EES12_EEDaSX_SY_EUlSX_E_NS1_11comp_targetILNS1_3genE9ELNS1_11target_archE1100ELNS1_3gpuE3ELNS1_3repE0EEENS1_30default_config_static_selectorELNS0_4arch9wavefront6targetE1EEEvT1_.kd
    .uniform_work_group_size: 1
    .uses_dynamic_stack: false
    .vgpr_count:     0
    .vgpr_spill_count: 0
    .wavefront_size: 64
  - .agpr_count:     0
    .args:
      - .offset:         0
        .size:           144
        .value_kind:     by_value
    .group_segment_fixed_size: 0
    .kernarg_segment_align: 8
    .kernarg_segment_size: 144
    .language:       OpenCL C
    .language_version:
      - 2
      - 0
    .max_flat_workgroup_size: 256
    .name:           _ZN7rocprim17ROCPRIM_400000_NS6detail17trampoline_kernelINS0_14default_configENS1_29reduce_by_key_config_selectorIllN6thrust23THRUST_200600_302600_NS4plusIlEEEEZZNS1_33reduce_by_key_impl_wrapped_configILNS1_25lookback_scan_determinismE0ES3_S9_PlNS6_17constant_iteratorIiNS6_11use_defaultESE_EENS6_10device_ptrIlEESH_PmS8_NS6_8equal_toIlEEEE10hipError_tPvRmT2_T3_mT4_T5_T6_T7_T8_P12ihipStream_tbENKUlT_T0_E_clISt17integral_constantIbLb1EES12_EEDaSX_SY_EUlSX_E_NS1_11comp_targetILNS1_3genE8ELNS1_11target_archE1030ELNS1_3gpuE2ELNS1_3repE0EEENS1_30default_config_static_selectorELNS0_4arch9wavefront6targetE1EEEvT1_
    .private_segment_fixed_size: 0
    .sgpr_count:     4
    .sgpr_spill_count: 0
    .symbol:         _ZN7rocprim17ROCPRIM_400000_NS6detail17trampoline_kernelINS0_14default_configENS1_29reduce_by_key_config_selectorIllN6thrust23THRUST_200600_302600_NS4plusIlEEEEZZNS1_33reduce_by_key_impl_wrapped_configILNS1_25lookback_scan_determinismE0ES3_S9_PlNS6_17constant_iteratorIiNS6_11use_defaultESE_EENS6_10device_ptrIlEESH_PmS8_NS6_8equal_toIlEEEE10hipError_tPvRmT2_T3_mT4_T5_T6_T7_T8_P12ihipStream_tbENKUlT_T0_E_clISt17integral_constantIbLb1EES12_EEDaSX_SY_EUlSX_E_NS1_11comp_targetILNS1_3genE8ELNS1_11target_archE1030ELNS1_3gpuE2ELNS1_3repE0EEENS1_30default_config_static_selectorELNS0_4arch9wavefront6targetE1EEEvT1_.kd
    .uniform_work_group_size: 1
    .uses_dynamic_stack: false
    .vgpr_count:     0
    .vgpr_spill_count: 0
    .wavefront_size: 64
  - .agpr_count:     0
    .args:
      - .offset:         0
        .size:           144
        .value_kind:     by_value
    .group_segment_fixed_size: 0
    .kernarg_segment_align: 8
    .kernarg_segment_size: 144
    .language:       OpenCL C
    .language_version:
      - 2
      - 0
    .max_flat_workgroup_size: 256
    .name:           _ZN7rocprim17ROCPRIM_400000_NS6detail17trampoline_kernelINS0_14default_configENS1_29reduce_by_key_config_selectorIllN6thrust23THRUST_200600_302600_NS4plusIlEEEEZZNS1_33reduce_by_key_impl_wrapped_configILNS1_25lookback_scan_determinismE0ES3_S9_PlNS6_17constant_iteratorIiNS6_11use_defaultESE_EENS6_10device_ptrIlEESH_PmS8_NS6_8equal_toIlEEEE10hipError_tPvRmT2_T3_mT4_T5_T6_T7_T8_P12ihipStream_tbENKUlT_T0_E_clISt17integral_constantIbLb1EES11_IbLb0EEEEDaSX_SY_EUlSX_E_NS1_11comp_targetILNS1_3genE0ELNS1_11target_archE4294967295ELNS1_3gpuE0ELNS1_3repE0EEENS1_30default_config_static_selectorELNS0_4arch9wavefront6targetE1EEEvT1_
    .private_segment_fixed_size: 0
    .sgpr_count:     4
    .sgpr_spill_count: 0
    .symbol:         _ZN7rocprim17ROCPRIM_400000_NS6detail17trampoline_kernelINS0_14default_configENS1_29reduce_by_key_config_selectorIllN6thrust23THRUST_200600_302600_NS4plusIlEEEEZZNS1_33reduce_by_key_impl_wrapped_configILNS1_25lookback_scan_determinismE0ES3_S9_PlNS6_17constant_iteratorIiNS6_11use_defaultESE_EENS6_10device_ptrIlEESH_PmS8_NS6_8equal_toIlEEEE10hipError_tPvRmT2_T3_mT4_T5_T6_T7_T8_P12ihipStream_tbENKUlT_T0_E_clISt17integral_constantIbLb1EES11_IbLb0EEEEDaSX_SY_EUlSX_E_NS1_11comp_targetILNS1_3genE0ELNS1_11target_archE4294967295ELNS1_3gpuE0ELNS1_3repE0EEENS1_30default_config_static_selectorELNS0_4arch9wavefront6targetE1EEEvT1_.kd
    .uniform_work_group_size: 1
    .uses_dynamic_stack: false
    .vgpr_count:     0
    .vgpr_spill_count: 0
    .wavefront_size: 64
  - .agpr_count:     0
    .args:
      - .offset:         0
        .size:           144
        .value_kind:     by_value
    .group_segment_fixed_size: 0
    .kernarg_segment_align: 8
    .kernarg_segment_size: 144
    .language:       OpenCL C
    .language_version:
      - 2
      - 0
    .max_flat_workgroup_size: 256
    .name:           _ZN7rocprim17ROCPRIM_400000_NS6detail17trampoline_kernelINS0_14default_configENS1_29reduce_by_key_config_selectorIllN6thrust23THRUST_200600_302600_NS4plusIlEEEEZZNS1_33reduce_by_key_impl_wrapped_configILNS1_25lookback_scan_determinismE0ES3_S9_PlNS6_17constant_iteratorIiNS6_11use_defaultESE_EENS6_10device_ptrIlEESH_PmS8_NS6_8equal_toIlEEEE10hipError_tPvRmT2_T3_mT4_T5_T6_T7_T8_P12ihipStream_tbENKUlT_T0_E_clISt17integral_constantIbLb1EES11_IbLb0EEEEDaSX_SY_EUlSX_E_NS1_11comp_targetILNS1_3genE5ELNS1_11target_archE942ELNS1_3gpuE9ELNS1_3repE0EEENS1_30default_config_static_selectorELNS0_4arch9wavefront6targetE1EEEvT1_
    .private_segment_fixed_size: 0
    .sgpr_count:     4
    .sgpr_spill_count: 0
    .symbol:         _ZN7rocprim17ROCPRIM_400000_NS6detail17trampoline_kernelINS0_14default_configENS1_29reduce_by_key_config_selectorIllN6thrust23THRUST_200600_302600_NS4plusIlEEEEZZNS1_33reduce_by_key_impl_wrapped_configILNS1_25lookback_scan_determinismE0ES3_S9_PlNS6_17constant_iteratorIiNS6_11use_defaultESE_EENS6_10device_ptrIlEESH_PmS8_NS6_8equal_toIlEEEE10hipError_tPvRmT2_T3_mT4_T5_T6_T7_T8_P12ihipStream_tbENKUlT_T0_E_clISt17integral_constantIbLb1EES11_IbLb0EEEEDaSX_SY_EUlSX_E_NS1_11comp_targetILNS1_3genE5ELNS1_11target_archE942ELNS1_3gpuE9ELNS1_3repE0EEENS1_30default_config_static_selectorELNS0_4arch9wavefront6targetE1EEEvT1_.kd
    .uniform_work_group_size: 1
    .uses_dynamic_stack: false
    .vgpr_count:     0
    .vgpr_spill_count: 0
    .wavefront_size: 64
  - .agpr_count:     0
    .args:
      - .offset:         0
        .size:           144
        .value_kind:     by_value
    .group_segment_fixed_size: 30720
    .kernarg_segment_align: 8
    .kernarg_segment_size: 144
    .language:       OpenCL C
    .language_version:
      - 2
      - 0
    .max_flat_workgroup_size: 256
    .name:           _ZN7rocprim17ROCPRIM_400000_NS6detail17trampoline_kernelINS0_14default_configENS1_29reduce_by_key_config_selectorIllN6thrust23THRUST_200600_302600_NS4plusIlEEEEZZNS1_33reduce_by_key_impl_wrapped_configILNS1_25lookback_scan_determinismE0ES3_S9_PlNS6_17constant_iteratorIiNS6_11use_defaultESE_EENS6_10device_ptrIlEESH_PmS8_NS6_8equal_toIlEEEE10hipError_tPvRmT2_T3_mT4_T5_T6_T7_T8_P12ihipStream_tbENKUlT_T0_E_clISt17integral_constantIbLb1EES11_IbLb0EEEEDaSX_SY_EUlSX_E_NS1_11comp_targetILNS1_3genE4ELNS1_11target_archE910ELNS1_3gpuE8ELNS1_3repE0EEENS1_30default_config_static_selectorELNS0_4arch9wavefront6targetE1EEEvT1_
    .private_segment_fixed_size: 0
    .sgpr_count:     68
    .sgpr_spill_count: 0
    .symbol:         _ZN7rocprim17ROCPRIM_400000_NS6detail17trampoline_kernelINS0_14default_configENS1_29reduce_by_key_config_selectorIllN6thrust23THRUST_200600_302600_NS4plusIlEEEEZZNS1_33reduce_by_key_impl_wrapped_configILNS1_25lookback_scan_determinismE0ES3_S9_PlNS6_17constant_iteratorIiNS6_11use_defaultESE_EENS6_10device_ptrIlEESH_PmS8_NS6_8equal_toIlEEEE10hipError_tPvRmT2_T3_mT4_T5_T6_T7_T8_P12ihipStream_tbENKUlT_T0_E_clISt17integral_constantIbLb1EES11_IbLb0EEEEDaSX_SY_EUlSX_E_NS1_11comp_targetILNS1_3genE4ELNS1_11target_archE910ELNS1_3gpuE8ELNS1_3repE0EEENS1_30default_config_static_selectorELNS0_4arch9wavefront6targetE1EEEvT1_.kd
    .uniform_work_group_size: 1
    .uses_dynamic_stack: false
    .vgpr_count:     118
    .vgpr_spill_count: 0
    .wavefront_size: 64
  - .agpr_count:     0
    .args:
      - .offset:         0
        .size:           144
        .value_kind:     by_value
    .group_segment_fixed_size: 0
    .kernarg_segment_align: 8
    .kernarg_segment_size: 144
    .language:       OpenCL C
    .language_version:
      - 2
      - 0
    .max_flat_workgroup_size: 256
    .name:           _ZN7rocprim17ROCPRIM_400000_NS6detail17trampoline_kernelINS0_14default_configENS1_29reduce_by_key_config_selectorIllN6thrust23THRUST_200600_302600_NS4plusIlEEEEZZNS1_33reduce_by_key_impl_wrapped_configILNS1_25lookback_scan_determinismE0ES3_S9_PlNS6_17constant_iteratorIiNS6_11use_defaultESE_EENS6_10device_ptrIlEESH_PmS8_NS6_8equal_toIlEEEE10hipError_tPvRmT2_T3_mT4_T5_T6_T7_T8_P12ihipStream_tbENKUlT_T0_E_clISt17integral_constantIbLb1EES11_IbLb0EEEEDaSX_SY_EUlSX_E_NS1_11comp_targetILNS1_3genE3ELNS1_11target_archE908ELNS1_3gpuE7ELNS1_3repE0EEENS1_30default_config_static_selectorELNS0_4arch9wavefront6targetE1EEEvT1_
    .private_segment_fixed_size: 0
    .sgpr_count:     4
    .sgpr_spill_count: 0
    .symbol:         _ZN7rocprim17ROCPRIM_400000_NS6detail17trampoline_kernelINS0_14default_configENS1_29reduce_by_key_config_selectorIllN6thrust23THRUST_200600_302600_NS4plusIlEEEEZZNS1_33reduce_by_key_impl_wrapped_configILNS1_25lookback_scan_determinismE0ES3_S9_PlNS6_17constant_iteratorIiNS6_11use_defaultESE_EENS6_10device_ptrIlEESH_PmS8_NS6_8equal_toIlEEEE10hipError_tPvRmT2_T3_mT4_T5_T6_T7_T8_P12ihipStream_tbENKUlT_T0_E_clISt17integral_constantIbLb1EES11_IbLb0EEEEDaSX_SY_EUlSX_E_NS1_11comp_targetILNS1_3genE3ELNS1_11target_archE908ELNS1_3gpuE7ELNS1_3repE0EEENS1_30default_config_static_selectorELNS0_4arch9wavefront6targetE1EEEvT1_.kd
    .uniform_work_group_size: 1
    .uses_dynamic_stack: false
    .vgpr_count:     0
    .vgpr_spill_count: 0
    .wavefront_size: 64
  - .agpr_count:     0
    .args:
      - .offset:         0
        .size:           144
        .value_kind:     by_value
    .group_segment_fixed_size: 0
    .kernarg_segment_align: 8
    .kernarg_segment_size: 144
    .language:       OpenCL C
    .language_version:
      - 2
      - 0
    .max_flat_workgroup_size: 256
    .name:           _ZN7rocprim17ROCPRIM_400000_NS6detail17trampoline_kernelINS0_14default_configENS1_29reduce_by_key_config_selectorIllN6thrust23THRUST_200600_302600_NS4plusIlEEEEZZNS1_33reduce_by_key_impl_wrapped_configILNS1_25lookback_scan_determinismE0ES3_S9_PlNS6_17constant_iteratorIiNS6_11use_defaultESE_EENS6_10device_ptrIlEESH_PmS8_NS6_8equal_toIlEEEE10hipError_tPvRmT2_T3_mT4_T5_T6_T7_T8_P12ihipStream_tbENKUlT_T0_E_clISt17integral_constantIbLb1EES11_IbLb0EEEEDaSX_SY_EUlSX_E_NS1_11comp_targetILNS1_3genE2ELNS1_11target_archE906ELNS1_3gpuE6ELNS1_3repE0EEENS1_30default_config_static_selectorELNS0_4arch9wavefront6targetE1EEEvT1_
    .private_segment_fixed_size: 0
    .sgpr_count:     4
    .sgpr_spill_count: 0
    .symbol:         _ZN7rocprim17ROCPRIM_400000_NS6detail17trampoline_kernelINS0_14default_configENS1_29reduce_by_key_config_selectorIllN6thrust23THRUST_200600_302600_NS4plusIlEEEEZZNS1_33reduce_by_key_impl_wrapped_configILNS1_25lookback_scan_determinismE0ES3_S9_PlNS6_17constant_iteratorIiNS6_11use_defaultESE_EENS6_10device_ptrIlEESH_PmS8_NS6_8equal_toIlEEEE10hipError_tPvRmT2_T3_mT4_T5_T6_T7_T8_P12ihipStream_tbENKUlT_T0_E_clISt17integral_constantIbLb1EES11_IbLb0EEEEDaSX_SY_EUlSX_E_NS1_11comp_targetILNS1_3genE2ELNS1_11target_archE906ELNS1_3gpuE6ELNS1_3repE0EEENS1_30default_config_static_selectorELNS0_4arch9wavefront6targetE1EEEvT1_.kd
    .uniform_work_group_size: 1
    .uses_dynamic_stack: false
    .vgpr_count:     0
    .vgpr_spill_count: 0
    .wavefront_size: 64
  - .agpr_count:     0
    .args:
      - .offset:         0
        .size:           144
        .value_kind:     by_value
    .group_segment_fixed_size: 0
    .kernarg_segment_align: 8
    .kernarg_segment_size: 144
    .language:       OpenCL C
    .language_version:
      - 2
      - 0
    .max_flat_workgroup_size: 256
    .name:           _ZN7rocprim17ROCPRIM_400000_NS6detail17trampoline_kernelINS0_14default_configENS1_29reduce_by_key_config_selectorIllN6thrust23THRUST_200600_302600_NS4plusIlEEEEZZNS1_33reduce_by_key_impl_wrapped_configILNS1_25lookback_scan_determinismE0ES3_S9_PlNS6_17constant_iteratorIiNS6_11use_defaultESE_EENS6_10device_ptrIlEESH_PmS8_NS6_8equal_toIlEEEE10hipError_tPvRmT2_T3_mT4_T5_T6_T7_T8_P12ihipStream_tbENKUlT_T0_E_clISt17integral_constantIbLb1EES11_IbLb0EEEEDaSX_SY_EUlSX_E_NS1_11comp_targetILNS1_3genE10ELNS1_11target_archE1201ELNS1_3gpuE5ELNS1_3repE0EEENS1_30default_config_static_selectorELNS0_4arch9wavefront6targetE1EEEvT1_
    .private_segment_fixed_size: 0
    .sgpr_count:     4
    .sgpr_spill_count: 0
    .symbol:         _ZN7rocprim17ROCPRIM_400000_NS6detail17trampoline_kernelINS0_14default_configENS1_29reduce_by_key_config_selectorIllN6thrust23THRUST_200600_302600_NS4plusIlEEEEZZNS1_33reduce_by_key_impl_wrapped_configILNS1_25lookback_scan_determinismE0ES3_S9_PlNS6_17constant_iteratorIiNS6_11use_defaultESE_EENS6_10device_ptrIlEESH_PmS8_NS6_8equal_toIlEEEE10hipError_tPvRmT2_T3_mT4_T5_T6_T7_T8_P12ihipStream_tbENKUlT_T0_E_clISt17integral_constantIbLb1EES11_IbLb0EEEEDaSX_SY_EUlSX_E_NS1_11comp_targetILNS1_3genE10ELNS1_11target_archE1201ELNS1_3gpuE5ELNS1_3repE0EEENS1_30default_config_static_selectorELNS0_4arch9wavefront6targetE1EEEvT1_.kd
    .uniform_work_group_size: 1
    .uses_dynamic_stack: false
    .vgpr_count:     0
    .vgpr_spill_count: 0
    .wavefront_size: 64
  - .agpr_count:     0
    .args:
      - .offset:         0
        .size:           144
        .value_kind:     by_value
    .group_segment_fixed_size: 0
    .kernarg_segment_align: 8
    .kernarg_segment_size: 144
    .language:       OpenCL C
    .language_version:
      - 2
      - 0
    .max_flat_workgroup_size: 256
    .name:           _ZN7rocprim17ROCPRIM_400000_NS6detail17trampoline_kernelINS0_14default_configENS1_29reduce_by_key_config_selectorIllN6thrust23THRUST_200600_302600_NS4plusIlEEEEZZNS1_33reduce_by_key_impl_wrapped_configILNS1_25lookback_scan_determinismE0ES3_S9_PlNS6_17constant_iteratorIiNS6_11use_defaultESE_EENS6_10device_ptrIlEESH_PmS8_NS6_8equal_toIlEEEE10hipError_tPvRmT2_T3_mT4_T5_T6_T7_T8_P12ihipStream_tbENKUlT_T0_E_clISt17integral_constantIbLb1EES11_IbLb0EEEEDaSX_SY_EUlSX_E_NS1_11comp_targetILNS1_3genE10ELNS1_11target_archE1200ELNS1_3gpuE4ELNS1_3repE0EEENS1_30default_config_static_selectorELNS0_4arch9wavefront6targetE1EEEvT1_
    .private_segment_fixed_size: 0
    .sgpr_count:     4
    .sgpr_spill_count: 0
    .symbol:         _ZN7rocprim17ROCPRIM_400000_NS6detail17trampoline_kernelINS0_14default_configENS1_29reduce_by_key_config_selectorIllN6thrust23THRUST_200600_302600_NS4plusIlEEEEZZNS1_33reduce_by_key_impl_wrapped_configILNS1_25lookback_scan_determinismE0ES3_S9_PlNS6_17constant_iteratorIiNS6_11use_defaultESE_EENS6_10device_ptrIlEESH_PmS8_NS6_8equal_toIlEEEE10hipError_tPvRmT2_T3_mT4_T5_T6_T7_T8_P12ihipStream_tbENKUlT_T0_E_clISt17integral_constantIbLb1EES11_IbLb0EEEEDaSX_SY_EUlSX_E_NS1_11comp_targetILNS1_3genE10ELNS1_11target_archE1200ELNS1_3gpuE4ELNS1_3repE0EEENS1_30default_config_static_selectorELNS0_4arch9wavefront6targetE1EEEvT1_.kd
    .uniform_work_group_size: 1
    .uses_dynamic_stack: false
    .vgpr_count:     0
    .vgpr_spill_count: 0
    .wavefront_size: 64
  - .agpr_count:     0
    .args:
      - .offset:         0
        .size:           144
        .value_kind:     by_value
    .group_segment_fixed_size: 0
    .kernarg_segment_align: 8
    .kernarg_segment_size: 144
    .language:       OpenCL C
    .language_version:
      - 2
      - 0
    .max_flat_workgroup_size: 256
    .name:           _ZN7rocprim17ROCPRIM_400000_NS6detail17trampoline_kernelINS0_14default_configENS1_29reduce_by_key_config_selectorIllN6thrust23THRUST_200600_302600_NS4plusIlEEEEZZNS1_33reduce_by_key_impl_wrapped_configILNS1_25lookback_scan_determinismE0ES3_S9_PlNS6_17constant_iteratorIiNS6_11use_defaultESE_EENS6_10device_ptrIlEESH_PmS8_NS6_8equal_toIlEEEE10hipError_tPvRmT2_T3_mT4_T5_T6_T7_T8_P12ihipStream_tbENKUlT_T0_E_clISt17integral_constantIbLb1EES11_IbLb0EEEEDaSX_SY_EUlSX_E_NS1_11comp_targetILNS1_3genE9ELNS1_11target_archE1100ELNS1_3gpuE3ELNS1_3repE0EEENS1_30default_config_static_selectorELNS0_4arch9wavefront6targetE1EEEvT1_
    .private_segment_fixed_size: 0
    .sgpr_count:     4
    .sgpr_spill_count: 0
    .symbol:         _ZN7rocprim17ROCPRIM_400000_NS6detail17trampoline_kernelINS0_14default_configENS1_29reduce_by_key_config_selectorIllN6thrust23THRUST_200600_302600_NS4plusIlEEEEZZNS1_33reduce_by_key_impl_wrapped_configILNS1_25lookback_scan_determinismE0ES3_S9_PlNS6_17constant_iteratorIiNS6_11use_defaultESE_EENS6_10device_ptrIlEESH_PmS8_NS6_8equal_toIlEEEE10hipError_tPvRmT2_T3_mT4_T5_T6_T7_T8_P12ihipStream_tbENKUlT_T0_E_clISt17integral_constantIbLb1EES11_IbLb0EEEEDaSX_SY_EUlSX_E_NS1_11comp_targetILNS1_3genE9ELNS1_11target_archE1100ELNS1_3gpuE3ELNS1_3repE0EEENS1_30default_config_static_selectorELNS0_4arch9wavefront6targetE1EEEvT1_.kd
    .uniform_work_group_size: 1
    .uses_dynamic_stack: false
    .vgpr_count:     0
    .vgpr_spill_count: 0
    .wavefront_size: 64
  - .agpr_count:     0
    .args:
      - .offset:         0
        .size:           144
        .value_kind:     by_value
    .group_segment_fixed_size: 0
    .kernarg_segment_align: 8
    .kernarg_segment_size: 144
    .language:       OpenCL C
    .language_version:
      - 2
      - 0
    .max_flat_workgroup_size: 256
    .name:           _ZN7rocprim17ROCPRIM_400000_NS6detail17trampoline_kernelINS0_14default_configENS1_29reduce_by_key_config_selectorIllN6thrust23THRUST_200600_302600_NS4plusIlEEEEZZNS1_33reduce_by_key_impl_wrapped_configILNS1_25lookback_scan_determinismE0ES3_S9_PlNS6_17constant_iteratorIiNS6_11use_defaultESE_EENS6_10device_ptrIlEESH_PmS8_NS6_8equal_toIlEEEE10hipError_tPvRmT2_T3_mT4_T5_T6_T7_T8_P12ihipStream_tbENKUlT_T0_E_clISt17integral_constantIbLb1EES11_IbLb0EEEEDaSX_SY_EUlSX_E_NS1_11comp_targetILNS1_3genE8ELNS1_11target_archE1030ELNS1_3gpuE2ELNS1_3repE0EEENS1_30default_config_static_selectorELNS0_4arch9wavefront6targetE1EEEvT1_
    .private_segment_fixed_size: 0
    .sgpr_count:     4
    .sgpr_spill_count: 0
    .symbol:         _ZN7rocprim17ROCPRIM_400000_NS6detail17trampoline_kernelINS0_14default_configENS1_29reduce_by_key_config_selectorIllN6thrust23THRUST_200600_302600_NS4plusIlEEEEZZNS1_33reduce_by_key_impl_wrapped_configILNS1_25lookback_scan_determinismE0ES3_S9_PlNS6_17constant_iteratorIiNS6_11use_defaultESE_EENS6_10device_ptrIlEESH_PmS8_NS6_8equal_toIlEEEE10hipError_tPvRmT2_T3_mT4_T5_T6_T7_T8_P12ihipStream_tbENKUlT_T0_E_clISt17integral_constantIbLb1EES11_IbLb0EEEEDaSX_SY_EUlSX_E_NS1_11comp_targetILNS1_3genE8ELNS1_11target_archE1030ELNS1_3gpuE2ELNS1_3repE0EEENS1_30default_config_static_selectorELNS0_4arch9wavefront6targetE1EEEvT1_.kd
    .uniform_work_group_size: 1
    .uses_dynamic_stack: false
    .vgpr_count:     0
    .vgpr_spill_count: 0
    .wavefront_size: 64
  - .agpr_count:     0
    .args:
      - .offset:         0
        .size:           144
        .value_kind:     by_value
    .group_segment_fixed_size: 0
    .kernarg_segment_align: 8
    .kernarg_segment_size: 144
    .language:       OpenCL C
    .language_version:
      - 2
      - 0
    .max_flat_workgroup_size: 256
    .name:           _ZN7rocprim17ROCPRIM_400000_NS6detail17trampoline_kernelINS0_14default_configENS1_29reduce_by_key_config_selectorIllN6thrust23THRUST_200600_302600_NS4plusIlEEEEZZNS1_33reduce_by_key_impl_wrapped_configILNS1_25lookback_scan_determinismE0ES3_S9_PlNS6_17constant_iteratorIiNS6_11use_defaultESE_EENS6_10device_ptrIlEESH_PmS8_NS6_8equal_toIlEEEE10hipError_tPvRmT2_T3_mT4_T5_T6_T7_T8_P12ihipStream_tbENKUlT_T0_E_clISt17integral_constantIbLb0EES11_IbLb1EEEEDaSX_SY_EUlSX_E_NS1_11comp_targetILNS1_3genE0ELNS1_11target_archE4294967295ELNS1_3gpuE0ELNS1_3repE0EEENS1_30default_config_static_selectorELNS0_4arch9wavefront6targetE1EEEvT1_
    .private_segment_fixed_size: 0
    .sgpr_count:     4
    .sgpr_spill_count: 0
    .symbol:         _ZN7rocprim17ROCPRIM_400000_NS6detail17trampoline_kernelINS0_14default_configENS1_29reduce_by_key_config_selectorIllN6thrust23THRUST_200600_302600_NS4plusIlEEEEZZNS1_33reduce_by_key_impl_wrapped_configILNS1_25lookback_scan_determinismE0ES3_S9_PlNS6_17constant_iteratorIiNS6_11use_defaultESE_EENS6_10device_ptrIlEESH_PmS8_NS6_8equal_toIlEEEE10hipError_tPvRmT2_T3_mT4_T5_T6_T7_T8_P12ihipStream_tbENKUlT_T0_E_clISt17integral_constantIbLb0EES11_IbLb1EEEEDaSX_SY_EUlSX_E_NS1_11comp_targetILNS1_3genE0ELNS1_11target_archE4294967295ELNS1_3gpuE0ELNS1_3repE0EEENS1_30default_config_static_selectorELNS0_4arch9wavefront6targetE1EEEvT1_.kd
    .uniform_work_group_size: 1
    .uses_dynamic_stack: false
    .vgpr_count:     0
    .vgpr_spill_count: 0
    .wavefront_size: 64
  - .agpr_count:     0
    .args:
      - .offset:         0
        .size:           144
        .value_kind:     by_value
    .group_segment_fixed_size: 0
    .kernarg_segment_align: 8
    .kernarg_segment_size: 144
    .language:       OpenCL C
    .language_version:
      - 2
      - 0
    .max_flat_workgroup_size: 256
    .name:           _ZN7rocprim17ROCPRIM_400000_NS6detail17trampoline_kernelINS0_14default_configENS1_29reduce_by_key_config_selectorIllN6thrust23THRUST_200600_302600_NS4plusIlEEEEZZNS1_33reduce_by_key_impl_wrapped_configILNS1_25lookback_scan_determinismE0ES3_S9_PlNS6_17constant_iteratorIiNS6_11use_defaultESE_EENS6_10device_ptrIlEESH_PmS8_NS6_8equal_toIlEEEE10hipError_tPvRmT2_T3_mT4_T5_T6_T7_T8_P12ihipStream_tbENKUlT_T0_E_clISt17integral_constantIbLb0EES11_IbLb1EEEEDaSX_SY_EUlSX_E_NS1_11comp_targetILNS1_3genE5ELNS1_11target_archE942ELNS1_3gpuE9ELNS1_3repE0EEENS1_30default_config_static_selectorELNS0_4arch9wavefront6targetE1EEEvT1_
    .private_segment_fixed_size: 0
    .sgpr_count:     4
    .sgpr_spill_count: 0
    .symbol:         _ZN7rocprim17ROCPRIM_400000_NS6detail17trampoline_kernelINS0_14default_configENS1_29reduce_by_key_config_selectorIllN6thrust23THRUST_200600_302600_NS4plusIlEEEEZZNS1_33reduce_by_key_impl_wrapped_configILNS1_25lookback_scan_determinismE0ES3_S9_PlNS6_17constant_iteratorIiNS6_11use_defaultESE_EENS6_10device_ptrIlEESH_PmS8_NS6_8equal_toIlEEEE10hipError_tPvRmT2_T3_mT4_T5_T6_T7_T8_P12ihipStream_tbENKUlT_T0_E_clISt17integral_constantIbLb0EES11_IbLb1EEEEDaSX_SY_EUlSX_E_NS1_11comp_targetILNS1_3genE5ELNS1_11target_archE942ELNS1_3gpuE9ELNS1_3repE0EEENS1_30default_config_static_selectorELNS0_4arch9wavefront6targetE1EEEvT1_.kd
    .uniform_work_group_size: 1
    .uses_dynamic_stack: false
    .vgpr_count:     0
    .vgpr_spill_count: 0
    .wavefront_size: 64
  - .agpr_count:     0
    .args:
      - .offset:         0
        .size:           144
        .value_kind:     by_value
    .group_segment_fixed_size: 30720
    .kernarg_segment_align: 8
    .kernarg_segment_size: 144
    .language:       OpenCL C
    .language_version:
      - 2
      - 0
    .max_flat_workgroup_size: 256
    .name:           _ZN7rocprim17ROCPRIM_400000_NS6detail17trampoline_kernelINS0_14default_configENS1_29reduce_by_key_config_selectorIllN6thrust23THRUST_200600_302600_NS4plusIlEEEEZZNS1_33reduce_by_key_impl_wrapped_configILNS1_25lookback_scan_determinismE0ES3_S9_PlNS6_17constant_iteratorIiNS6_11use_defaultESE_EENS6_10device_ptrIlEESH_PmS8_NS6_8equal_toIlEEEE10hipError_tPvRmT2_T3_mT4_T5_T6_T7_T8_P12ihipStream_tbENKUlT_T0_E_clISt17integral_constantIbLb0EES11_IbLb1EEEEDaSX_SY_EUlSX_E_NS1_11comp_targetILNS1_3genE4ELNS1_11target_archE910ELNS1_3gpuE8ELNS1_3repE0EEENS1_30default_config_static_selectorELNS0_4arch9wavefront6targetE1EEEvT1_
    .private_segment_fixed_size: 0
    .sgpr_count:     67
    .sgpr_spill_count: 0
    .symbol:         _ZN7rocprim17ROCPRIM_400000_NS6detail17trampoline_kernelINS0_14default_configENS1_29reduce_by_key_config_selectorIllN6thrust23THRUST_200600_302600_NS4plusIlEEEEZZNS1_33reduce_by_key_impl_wrapped_configILNS1_25lookback_scan_determinismE0ES3_S9_PlNS6_17constant_iteratorIiNS6_11use_defaultESE_EENS6_10device_ptrIlEESH_PmS8_NS6_8equal_toIlEEEE10hipError_tPvRmT2_T3_mT4_T5_T6_T7_T8_P12ihipStream_tbENKUlT_T0_E_clISt17integral_constantIbLb0EES11_IbLb1EEEEDaSX_SY_EUlSX_E_NS1_11comp_targetILNS1_3genE4ELNS1_11target_archE910ELNS1_3gpuE8ELNS1_3repE0EEENS1_30default_config_static_selectorELNS0_4arch9wavefront6targetE1EEEvT1_.kd
    .uniform_work_group_size: 1
    .uses_dynamic_stack: false
    .vgpr_count:     118
    .vgpr_spill_count: 0
    .wavefront_size: 64
  - .agpr_count:     0
    .args:
      - .offset:         0
        .size:           144
        .value_kind:     by_value
    .group_segment_fixed_size: 0
    .kernarg_segment_align: 8
    .kernarg_segment_size: 144
    .language:       OpenCL C
    .language_version:
      - 2
      - 0
    .max_flat_workgroup_size: 256
    .name:           _ZN7rocprim17ROCPRIM_400000_NS6detail17trampoline_kernelINS0_14default_configENS1_29reduce_by_key_config_selectorIllN6thrust23THRUST_200600_302600_NS4plusIlEEEEZZNS1_33reduce_by_key_impl_wrapped_configILNS1_25lookback_scan_determinismE0ES3_S9_PlNS6_17constant_iteratorIiNS6_11use_defaultESE_EENS6_10device_ptrIlEESH_PmS8_NS6_8equal_toIlEEEE10hipError_tPvRmT2_T3_mT4_T5_T6_T7_T8_P12ihipStream_tbENKUlT_T0_E_clISt17integral_constantIbLb0EES11_IbLb1EEEEDaSX_SY_EUlSX_E_NS1_11comp_targetILNS1_3genE3ELNS1_11target_archE908ELNS1_3gpuE7ELNS1_3repE0EEENS1_30default_config_static_selectorELNS0_4arch9wavefront6targetE1EEEvT1_
    .private_segment_fixed_size: 0
    .sgpr_count:     4
    .sgpr_spill_count: 0
    .symbol:         _ZN7rocprim17ROCPRIM_400000_NS6detail17trampoline_kernelINS0_14default_configENS1_29reduce_by_key_config_selectorIllN6thrust23THRUST_200600_302600_NS4plusIlEEEEZZNS1_33reduce_by_key_impl_wrapped_configILNS1_25lookback_scan_determinismE0ES3_S9_PlNS6_17constant_iteratorIiNS6_11use_defaultESE_EENS6_10device_ptrIlEESH_PmS8_NS6_8equal_toIlEEEE10hipError_tPvRmT2_T3_mT4_T5_T6_T7_T8_P12ihipStream_tbENKUlT_T0_E_clISt17integral_constantIbLb0EES11_IbLb1EEEEDaSX_SY_EUlSX_E_NS1_11comp_targetILNS1_3genE3ELNS1_11target_archE908ELNS1_3gpuE7ELNS1_3repE0EEENS1_30default_config_static_selectorELNS0_4arch9wavefront6targetE1EEEvT1_.kd
    .uniform_work_group_size: 1
    .uses_dynamic_stack: false
    .vgpr_count:     0
    .vgpr_spill_count: 0
    .wavefront_size: 64
  - .agpr_count:     0
    .args:
      - .offset:         0
        .size:           144
        .value_kind:     by_value
    .group_segment_fixed_size: 0
    .kernarg_segment_align: 8
    .kernarg_segment_size: 144
    .language:       OpenCL C
    .language_version:
      - 2
      - 0
    .max_flat_workgroup_size: 256
    .name:           _ZN7rocprim17ROCPRIM_400000_NS6detail17trampoline_kernelINS0_14default_configENS1_29reduce_by_key_config_selectorIllN6thrust23THRUST_200600_302600_NS4plusIlEEEEZZNS1_33reduce_by_key_impl_wrapped_configILNS1_25lookback_scan_determinismE0ES3_S9_PlNS6_17constant_iteratorIiNS6_11use_defaultESE_EENS6_10device_ptrIlEESH_PmS8_NS6_8equal_toIlEEEE10hipError_tPvRmT2_T3_mT4_T5_T6_T7_T8_P12ihipStream_tbENKUlT_T0_E_clISt17integral_constantIbLb0EES11_IbLb1EEEEDaSX_SY_EUlSX_E_NS1_11comp_targetILNS1_3genE2ELNS1_11target_archE906ELNS1_3gpuE6ELNS1_3repE0EEENS1_30default_config_static_selectorELNS0_4arch9wavefront6targetE1EEEvT1_
    .private_segment_fixed_size: 0
    .sgpr_count:     4
    .sgpr_spill_count: 0
    .symbol:         _ZN7rocprim17ROCPRIM_400000_NS6detail17trampoline_kernelINS0_14default_configENS1_29reduce_by_key_config_selectorIllN6thrust23THRUST_200600_302600_NS4plusIlEEEEZZNS1_33reduce_by_key_impl_wrapped_configILNS1_25lookback_scan_determinismE0ES3_S9_PlNS6_17constant_iteratorIiNS6_11use_defaultESE_EENS6_10device_ptrIlEESH_PmS8_NS6_8equal_toIlEEEE10hipError_tPvRmT2_T3_mT4_T5_T6_T7_T8_P12ihipStream_tbENKUlT_T0_E_clISt17integral_constantIbLb0EES11_IbLb1EEEEDaSX_SY_EUlSX_E_NS1_11comp_targetILNS1_3genE2ELNS1_11target_archE906ELNS1_3gpuE6ELNS1_3repE0EEENS1_30default_config_static_selectorELNS0_4arch9wavefront6targetE1EEEvT1_.kd
    .uniform_work_group_size: 1
    .uses_dynamic_stack: false
    .vgpr_count:     0
    .vgpr_spill_count: 0
    .wavefront_size: 64
  - .agpr_count:     0
    .args:
      - .offset:         0
        .size:           144
        .value_kind:     by_value
    .group_segment_fixed_size: 0
    .kernarg_segment_align: 8
    .kernarg_segment_size: 144
    .language:       OpenCL C
    .language_version:
      - 2
      - 0
    .max_flat_workgroup_size: 256
    .name:           _ZN7rocprim17ROCPRIM_400000_NS6detail17trampoline_kernelINS0_14default_configENS1_29reduce_by_key_config_selectorIllN6thrust23THRUST_200600_302600_NS4plusIlEEEEZZNS1_33reduce_by_key_impl_wrapped_configILNS1_25lookback_scan_determinismE0ES3_S9_PlNS6_17constant_iteratorIiNS6_11use_defaultESE_EENS6_10device_ptrIlEESH_PmS8_NS6_8equal_toIlEEEE10hipError_tPvRmT2_T3_mT4_T5_T6_T7_T8_P12ihipStream_tbENKUlT_T0_E_clISt17integral_constantIbLb0EES11_IbLb1EEEEDaSX_SY_EUlSX_E_NS1_11comp_targetILNS1_3genE10ELNS1_11target_archE1201ELNS1_3gpuE5ELNS1_3repE0EEENS1_30default_config_static_selectorELNS0_4arch9wavefront6targetE1EEEvT1_
    .private_segment_fixed_size: 0
    .sgpr_count:     4
    .sgpr_spill_count: 0
    .symbol:         _ZN7rocprim17ROCPRIM_400000_NS6detail17trampoline_kernelINS0_14default_configENS1_29reduce_by_key_config_selectorIllN6thrust23THRUST_200600_302600_NS4plusIlEEEEZZNS1_33reduce_by_key_impl_wrapped_configILNS1_25lookback_scan_determinismE0ES3_S9_PlNS6_17constant_iteratorIiNS6_11use_defaultESE_EENS6_10device_ptrIlEESH_PmS8_NS6_8equal_toIlEEEE10hipError_tPvRmT2_T3_mT4_T5_T6_T7_T8_P12ihipStream_tbENKUlT_T0_E_clISt17integral_constantIbLb0EES11_IbLb1EEEEDaSX_SY_EUlSX_E_NS1_11comp_targetILNS1_3genE10ELNS1_11target_archE1201ELNS1_3gpuE5ELNS1_3repE0EEENS1_30default_config_static_selectorELNS0_4arch9wavefront6targetE1EEEvT1_.kd
    .uniform_work_group_size: 1
    .uses_dynamic_stack: false
    .vgpr_count:     0
    .vgpr_spill_count: 0
    .wavefront_size: 64
  - .agpr_count:     0
    .args:
      - .offset:         0
        .size:           144
        .value_kind:     by_value
    .group_segment_fixed_size: 0
    .kernarg_segment_align: 8
    .kernarg_segment_size: 144
    .language:       OpenCL C
    .language_version:
      - 2
      - 0
    .max_flat_workgroup_size: 256
    .name:           _ZN7rocprim17ROCPRIM_400000_NS6detail17trampoline_kernelINS0_14default_configENS1_29reduce_by_key_config_selectorIllN6thrust23THRUST_200600_302600_NS4plusIlEEEEZZNS1_33reduce_by_key_impl_wrapped_configILNS1_25lookback_scan_determinismE0ES3_S9_PlNS6_17constant_iteratorIiNS6_11use_defaultESE_EENS6_10device_ptrIlEESH_PmS8_NS6_8equal_toIlEEEE10hipError_tPvRmT2_T3_mT4_T5_T6_T7_T8_P12ihipStream_tbENKUlT_T0_E_clISt17integral_constantIbLb0EES11_IbLb1EEEEDaSX_SY_EUlSX_E_NS1_11comp_targetILNS1_3genE10ELNS1_11target_archE1200ELNS1_3gpuE4ELNS1_3repE0EEENS1_30default_config_static_selectorELNS0_4arch9wavefront6targetE1EEEvT1_
    .private_segment_fixed_size: 0
    .sgpr_count:     4
    .sgpr_spill_count: 0
    .symbol:         _ZN7rocprim17ROCPRIM_400000_NS6detail17trampoline_kernelINS0_14default_configENS1_29reduce_by_key_config_selectorIllN6thrust23THRUST_200600_302600_NS4plusIlEEEEZZNS1_33reduce_by_key_impl_wrapped_configILNS1_25lookback_scan_determinismE0ES3_S9_PlNS6_17constant_iteratorIiNS6_11use_defaultESE_EENS6_10device_ptrIlEESH_PmS8_NS6_8equal_toIlEEEE10hipError_tPvRmT2_T3_mT4_T5_T6_T7_T8_P12ihipStream_tbENKUlT_T0_E_clISt17integral_constantIbLb0EES11_IbLb1EEEEDaSX_SY_EUlSX_E_NS1_11comp_targetILNS1_3genE10ELNS1_11target_archE1200ELNS1_3gpuE4ELNS1_3repE0EEENS1_30default_config_static_selectorELNS0_4arch9wavefront6targetE1EEEvT1_.kd
    .uniform_work_group_size: 1
    .uses_dynamic_stack: false
    .vgpr_count:     0
    .vgpr_spill_count: 0
    .wavefront_size: 64
  - .agpr_count:     0
    .args:
      - .offset:         0
        .size:           144
        .value_kind:     by_value
    .group_segment_fixed_size: 0
    .kernarg_segment_align: 8
    .kernarg_segment_size: 144
    .language:       OpenCL C
    .language_version:
      - 2
      - 0
    .max_flat_workgroup_size: 256
    .name:           _ZN7rocprim17ROCPRIM_400000_NS6detail17trampoline_kernelINS0_14default_configENS1_29reduce_by_key_config_selectorIllN6thrust23THRUST_200600_302600_NS4plusIlEEEEZZNS1_33reduce_by_key_impl_wrapped_configILNS1_25lookback_scan_determinismE0ES3_S9_PlNS6_17constant_iteratorIiNS6_11use_defaultESE_EENS6_10device_ptrIlEESH_PmS8_NS6_8equal_toIlEEEE10hipError_tPvRmT2_T3_mT4_T5_T6_T7_T8_P12ihipStream_tbENKUlT_T0_E_clISt17integral_constantIbLb0EES11_IbLb1EEEEDaSX_SY_EUlSX_E_NS1_11comp_targetILNS1_3genE9ELNS1_11target_archE1100ELNS1_3gpuE3ELNS1_3repE0EEENS1_30default_config_static_selectorELNS0_4arch9wavefront6targetE1EEEvT1_
    .private_segment_fixed_size: 0
    .sgpr_count:     4
    .sgpr_spill_count: 0
    .symbol:         _ZN7rocprim17ROCPRIM_400000_NS6detail17trampoline_kernelINS0_14default_configENS1_29reduce_by_key_config_selectorIllN6thrust23THRUST_200600_302600_NS4plusIlEEEEZZNS1_33reduce_by_key_impl_wrapped_configILNS1_25lookback_scan_determinismE0ES3_S9_PlNS6_17constant_iteratorIiNS6_11use_defaultESE_EENS6_10device_ptrIlEESH_PmS8_NS6_8equal_toIlEEEE10hipError_tPvRmT2_T3_mT4_T5_T6_T7_T8_P12ihipStream_tbENKUlT_T0_E_clISt17integral_constantIbLb0EES11_IbLb1EEEEDaSX_SY_EUlSX_E_NS1_11comp_targetILNS1_3genE9ELNS1_11target_archE1100ELNS1_3gpuE3ELNS1_3repE0EEENS1_30default_config_static_selectorELNS0_4arch9wavefront6targetE1EEEvT1_.kd
    .uniform_work_group_size: 1
    .uses_dynamic_stack: false
    .vgpr_count:     0
    .vgpr_spill_count: 0
    .wavefront_size: 64
  - .agpr_count:     0
    .args:
      - .offset:         0
        .size:           144
        .value_kind:     by_value
    .group_segment_fixed_size: 0
    .kernarg_segment_align: 8
    .kernarg_segment_size: 144
    .language:       OpenCL C
    .language_version:
      - 2
      - 0
    .max_flat_workgroup_size: 256
    .name:           _ZN7rocprim17ROCPRIM_400000_NS6detail17trampoline_kernelINS0_14default_configENS1_29reduce_by_key_config_selectorIllN6thrust23THRUST_200600_302600_NS4plusIlEEEEZZNS1_33reduce_by_key_impl_wrapped_configILNS1_25lookback_scan_determinismE0ES3_S9_PlNS6_17constant_iteratorIiNS6_11use_defaultESE_EENS6_10device_ptrIlEESH_PmS8_NS6_8equal_toIlEEEE10hipError_tPvRmT2_T3_mT4_T5_T6_T7_T8_P12ihipStream_tbENKUlT_T0_E_clISt17integral_constantIbLb0EES11_IbLb1EEEEDaSX_SY_EUlSX_E_NS1_11comp_targetILNS1_3genE8ELNS1_11target_archE1030ELNS1_3gpuE2ELNS1_3repE0EEENS1_30default_config_static_selectorELNS0_4arch9wavefront6targetE1EEEvT1_
    .private_segment_fixed_size: 0
    .sgpr_count:     4
    .sgpr_spill_count: 0
    .symbol:         _ZN7rocprim17ROCPRIM_400000_NS6detail17trampoline_kernelINS0_14default_configENS1_29reduce_by_key_config_selectorIllN6thrust23THRUST_200600_302600_NS4plusIlEEEEZZNS1_33reduce_by_key_impl_wrapped_configILNS1_25lookback_scan_determinismE0ES3_S9_PlNS6_17constant_iteratorIiNS6_11use_defaultESE_EENS6_10device_ptrIlEESH_PmS8_NS6_8equal_toIlEEEE10hipError_tPvRmT2_T3_mT4_T5_T6_T7_T8_P12ihipStream_tbENKUlT_T0_E_clISt17integral_constantIbLb0EES11_IbLb1EEEEDaSX_SY_EUlSX_E_NS1_11comp_targetILNS1_3genE8ELNS1_11target_archE1030ELNS1_3gpuE2ELNS1_3repE0EEENS1_30default_config_static_selectorELNS0_4arch9wavefront6targetE1EEEvT1_.kd
    .uniform_work_group_size: 1
    .uses_dynamic_stack: false
    .vgpr_count:     0
    .vgpr_spill_count: 0
    .wavefront_size: 64
  - .agpr_count:     0
    .args:
      - .offset:         0
        .size:           96
        .value_kind:     by_value
    .group_segment_fixed_size: 0
    .kernarg_segment_align: 8
    .kernarg_segment_size: 96
    .language:       OpenCL C
    .language_version:
      - 2
      - 0
    .max_flat_workgroup_size: 128
    .name:           _ZN7rocprim17ROCPRIM_400000_NS6detail17trampoline_kernelINS0_14default_configENS1_22reduce_config_selectorIN6thrust23THRUST_200600_302600_NS5tupleIblNS6_9null_typeES8_S8_S8_S8_S8_S8_S8_EEEEZNS1_11reduce_implILb1ES3_NS6_12zip_iteratorINS7_INS6_11hip_rocprim26transform_input_iterator_tIbPlNS6_6detail10functional5actorINSH_9compositeIJNSH_27transparent_binary_operatorINS6_8equal_toIvEEEENSI_INSH_8argumentILj0EEEEENSH_5valueIlEEEEEEEEENSD_19counting_iterator_tIlEES8_S8_S8_S8_S8_S8_S8_S8_EEEEPS9_S9_NSD_9__find_if7functorIS9_EEEE10hipError_tPvRmT1_T2_T3_mT4_P12ihipStream_tbEUlT_E0_NS1_11comp_targetILNS1_3genE0ELNS1_11target_archE4294967295ELNS1_3gpuE0ELNS1_3repE0EEENS1_30default_config_static_selectorELNS0_4arch9wavefront6targetE1EEEvS17_
    .private_segment_fixed_size: 0
    .sgpr_count:     4
    .sgpr_spill_count: 0
    .symbol:         _ZN7rocprim17ROCPRIM_400000_NS6detail17trampoline_kernelINS0_14default_configENS1_22reduce_config_selectorIN6thrust23THRUST_200600_302600_NS5tupleIblNS6_9null_typeES8_S8_S8_S8_S8_S8_S8_EEEEZNS1_11reduce_implILb1ES3_NS6_12zip_iteratorINS7_INS6_11hip_rocprim26transform_input_iterator_tIbPlNS6_6detail10functional5actorINSH_9compositeIJNSH_27transparent_binary_operatorINS6_8equal_toIvEEEENSI_INSH_8argumentILj0EEEEENSH_5valueIlEEEEEEEEENSD_19counting_iterator_tIlEES8_S8_S8_S8_S8_S8_S8_S8_EEEEPS9_S9_NSD_9__find_if7functorIS9_EEEE10hipError_tPvRmT1_T2_T3_mT4_P12ihipStream_tbEUlT_E0_NS1_11comp_targetILNS1_3genE0ELNS1_11target_archE4294967295ELNS1_3gpuE0ELNS1_3repE0EEENS1_30default_config_static_selectorELNS0_4arch9wavefront6targetE1EEEvS17_.kd
    .uniform_work_group_size: 1
    .uses_dynamic_stack: false
    .vgpr_count:     0
    .vgpr_spill_count: 0
    .wavefront_size: 64
  - .agpr_count:     0
    .args:
      - .offset:         0
        .size:           96
        .value_kind:     by_value
    .group_segment_fixed_size: 0
    .kernarg_segment_align: 8
    .kernarg_segment_size: 96
    .language:       OpenCL C
    .language_version:
      - 2
      - 0
    .max_flat_workgroup_size: 256
    .name:           _ZN7rocprim17ROCPRIM_400000_NS6detail17trampoline_kernelINS0_14default_configENS1_22reduce_config_selectorIN6thrust23THRUST_200600_302600_NS5tupleIblNS6_9null_typeES8_S8_S8_S8_S8_S8_S8_EEEEZNS1_11reduce_implILb1ES3_NS6_12zip_iteratorINS7_INS6_11hip_rocprim26transform_input_iterator_tIbPlNS6_6detail10functional5actorINSH_9compositeIJNSH_27transparent_binary_operatorINS6_8equal_toIvEEEENSI_INSH_8argumentILj0EEEEENSH_5valueIlEEEEEEEEENSD_19counting_iterator_tIlEES8_S8_S8_S8_S8_S8_S8_S8_EEEEPS9_S9_NSD_9__find_if7functorIS9_EEEE10hipError_tPvRmT1_T2_T3_mT4_P12ihipStream_tbEUlT_E0_NS1_11comp_targetILNS1_3genE5ELNS1_11target_archE942ELNS1_3gpuE9ELNS1_3repE0EEENS1_30default_config_static_selectorELNS0_4arch9wavefront6targetE1EEEvS17_
    .private_segment_fixed_size: 0
    .sgpr_count:     4
    .sgpr_spill_count: 0
    .symbol:         _ZN7rocprim17ROCPRIM_400000_NS6detail17trampoline_kernelINS0_14default_configENS1_22reduce_config_selectorIN6thrust23THRUST_200600_302600_NS5tupleIblNS6_9null_typeES8_S8_S8_S8_S8_S8_S8_EEEEZNS1_11reduce_implILb1ES3_NS6_12zip_iteratorINS7_INS6_11hip_rocprim26transform_input_iterator_tIbPlNS6_6detail10functional5actorINSH_9compositeIJNSH_27transparent_binary_operatorINS6_8equal_toIvEEEENSI_INSH_8argumentILj0EEEEENSH_5valueIlEEEEEEEEENSD_19counting_iterator_tIlEES8_S8_S8_S8_S8_S8_S8_S8_EEEEPS9_S9_NSD_9__find_if7functorIS9_EEEE10hipError_tPvRmT1_T2_T3_mT4_P12ihipStream_tbEUlT_E0_NS1_11comp_targetILNS1_3genE5ELNS1_11target_archE942ELNS1_3gpuE9ELNS1_3repE0EEENS1_30default_config_static_selectorELNS0_4arch9wavefront6targetE1EEEvS17_.kd
    .uniform_work_group_size: 1
    .uses_dynamic_stack: false
    .vgpr_count:     0
    .vgpr_spill_count: 0
    .wavefront_size: 64
  - .agpr_count:     0
    .args:
      - .offset:         0
        .size:           96
        .value_kind:     by_value
    .group_segment_fixed_size: 128
    .kernarg_segment_align: 8
    .kernarg_segment_size: 96
    .language:       OpenCL C
    .language_version:
      - 2
      - 0
    .max_flat_workgroup_size: 256
    .name:           _ZN7rocprim17ROCPRIM_400000_NS6detail17trampoline_kernelINS0_14default_configENS1_22reduce_config_selectorIN6thrust23THRUST_200600_302600_NS5tupleIblNS6_9null_typeES8_S8_S8_S8_S8_S8_S8_EEEEZNS1_11reduce_implILb1ES3_NS6_12zip_iteratorINS7_INS6_11hip_rocprim26transform_input_iterator_tIbPlNS6_6detail10functional5actorINSH_9compositeIJNSH_27transparent_binary_operatorINS6_8equal_toIvEEEENSI_INSH_8argumentILj0EEEEENSH_5valueIlEEEEEEEEENSD_19counting_iterator_tIlEES8_S8_S8_S8_S8_S8_S8_S8_EEEEPS9_S9_NSD_9__find_if7functorIS9_EEEE10hipError_tPvRmT1_T2_T3_mT4_P12ihipStream_tbEUlT_E0_NS1_11comp_targetILNS1_3genE4ELNS1_11target_archE910ELNS1_3gpuE8ELNS1_3repE0EEENS1_30default_config_static_selectorELNS0_4arch9wavefront6targetE1EEEvS17_
    .private_segment_fixed_size: 0
    .sgpr_count:     30
    .sgpr_spill_count: 0
    .symbol:         _ZN7rocprim17ROCPRIM_400000_NS6detail17trampoline_kernelINS0_14default_configENS1_22reduce_config_selectorIN6thrust23THRUST_200600_302600_NS5tupleIblNS6_9null_typeES8_S8_S8_S8_S8_S8_S8_EEEEZNS1_11reduce_implILb1ES3_NS6_12zip_iteratorINS7_INS6_11hip_rocprim26transform_input_iterator_tIbPlNS6_6detail10functional5actorINSH_9compositeIJNSH_27transparent_binary_operatorINS6_8equal_toIvEEEENSI_INSH_8argumentILj0EEEEENSH_5valueIlEEEEEEEEENSD_19counting_iterator_tIlEES8_S8_S8_S8_S8_S8_S8_S8_EEEEPS9_S9_NSD_9__find_if7functorIS9_EEEE10hipError_tPvRmT1_T2_T3_mT4_P12ihipStream_tbEUlT_E0_NS1_11comp_targetILNS1_3genE4ELNS1_11target_archE910ELNS1_3gpuE8ELNS1_3repE0EEENS1_30default_config_static_selectorELNS0_4arch9wavefront6targetE1EEEvS17_.kd
    .uniform_work_group_size: 1
    .uses_dynamic_stack: false
    .vgpr_count:     12
    .vgpr_spill_count: 0
    .wavefront_size: 64
  - .agpr_count:     0
    .args:
      - .offset:         0
        .size:           96
        .value_kind:     by_value
    .group_segment_fixed_size: 0
    .kernarg_segment_align: 8
    .kernarg_segment_size: 96
    .language:       OpenCL C
    .language_version:
      - 2
      - 0
    .max_flat_workgroup_size: 128
    .name:           _ZN7rocprim17ROCPRIM_400000_NS6detail17trampoline_kernelINS0_14default_configENS1_22reduce_config_selectorIN6thrust23THRUST_200600_302600_NS5tupleIblNS6_9null_typeES8_S8_S8_S8_S8_S8_S8_EEEEZNS1_11reduce_implILb1ES3_NS6_12zip_iteratorINS7_INS6_11hip_rocprim26transform_input_iterator_tIbPlNS6_6detail10functional5actorINSH_9compositeIJNSH_27transparent_binary_operatorINS6_8equal_toIvEEEENSI_INSH_8argumentILj0EEEEENSH_5valueIlEEEEEEEEENSD_19counting_iterator_tIlEES8_S8_S8_S8_S8_S8_S8_S8_EEEEPS9_S9_NSD_9__find_if7functorIS9_EEEE10hipError_tPvRmT1_T2_T3_mT4_P12ihipStream_tbEUlT_E0_NS1_11comp_targetILNS1_3genE3ELNS1_11target_archE908ELNS1_3gpuE7ELNS1_3repE0EEENS1_30default_config_static_selectorELNS0_4arch9wavefront6targetE1EEEvS17_
    .private_segment_fixed_size: 0
    .sgpr_count:     4
    .sgpr_spill_count: 0
    .symbol:         _ZN7rocprim17ROCPRIM_400000_NS6detail17trampoline_kernelINS0_14default_configENS1_22reduce_config_selectorIN6thrust23THRUST_200600_302600_NS5tupleIblNS6_9null_typeES8_S8_S8_S8_S8_S8_S8_EEEEZNS1_11reduce_implILb1ES3_NS6_12zip_iteratorINS7_INS6_11hip_rocprim26transform_input_iterator_tIbPlNS6_6detail10functional5actorINSH_9compositeIJNSH_27transparent_binary_operatorINS6_8equal_toIvEEEENSI_INSH_8argumentILj0EEEEENSH_5valueIlEEEEEEEEENSD_19counting_iterator_tIlEES8_S8_S8_S8_S8_S8_S8_S8_EEEEPS9_S9_NSD_9__find_if7functorIS9_EEEE10hipError_tPvRmT1_T2_T3_mT4_P12ihipStream_tbEUlT_E0_NS1_11comp_targetILNS1_3genE3ELNS1_11target_archE908ELNS1_3gpuE7ELNS1_3repE0EEENS1_30default_config_static_selectorELNS0_4arch9wavefront6targetE1EEEvS17_.kd
    .uniform_work_group_size: 1
    .uses_dynamic_stack: false
    .vgpr_count:     0
    .vgpr_spill_count: 0
    .wavefront_size: 64
  - .agpr_count:     0
    .args:
      - .offset:         0
        .size:           96
        .value_kind:     by_value
    .group_segment_fixed_size: 0
    .kernarg_segment_align: 8
    .kernarg_segment_size: 96
    .language:       OpenCL C
    .language_version:
      - 2
      - 0
    .max_flat_workgroup_size: 128
    .name:           _ZN7rocprim17ROCPRIM_400000_NS6detail17trampoline_kernelINS0_14default_configENS1_22reduce_config_selectorIN6thrust23THRUST_200600_302600_NS5tupleIblNS6_9null_typeES8_S8_S8_S8_S8_S8_S8_EEEEZNS1_11reduce_implILb1ES3_NS6_12zip_iteratorINS7_INS6_11hip_rocprim26transform_input_iterator_tIbPlNS6_6detail10functional5actorINSH_9compositeIJNSH_27transparent_binary_operatorINS6_8equal_toIvEEEENSI_INSH_8argumentILj0EEEEENSH_5valueIlEEEEEEEEENSD_19counting_iterator_tIlEES8_S8_S8_S8_S8_S8_S8_S8_EEEEPS9_S9_NSD_9__find_if7functorIS9_EEEE10hipError_tPvRmT1_T2_T3_mT4_P12ihipStream_tbEUlT_E0_NS1_11comp_targetILNS1_3genE2ELNS1_11target_archE906ELNS1_3gpuE6ELNS1_3repE0EEENS1_30default_config_static_selectorELNS0_4arch9wavefront6targetE1EEEvS17_
    .private_segment_fixed_size: 0
    .sgpr_count:     4
    .sgpr_spill_count: 0
    .symbol:         _ZN7rocprim17ROCPRIM_400000_NS6detail17trampoline_kernelINS0_14default_configENS1_22reduce_config_selectorIN6thrust23THRUST_200600_302600_NS5tupleIblNS6_9null_typeES8_S8_S8_S8_S8_S8_S8_EEEEZNS1_11reduce_implILb1ES3_NS6_12zip_iteratorINS7_INS6_11hip_rocprim26transform_input_iterator_tIbPlNS6_6detail10functional5actorINSH_9compositeIJNSH_27transparent_binary_operatorINS6_8equal_toIvEEEENSI_INSH_8argumentILj0EEEEENSH_5valueIlEEEEEEEEENSD_19counting_iterator_tIlEES8_S8_S8_S8_S8_S8_S8_S8_EEEEPS9_S9_NSD_9__find_if7functorIS9_EEEE10hipError_tPvRmT1_T2_T3_mT4_P12ihipStream_tbEUlT_E0_NS1_11comp_targetILNS1_3genE2ELNS1_11target_archE906ELNS1_3gpuE6ELNS1_3repE0EEENS1_30default_config_static_selectorELNS0_4arch9wavefront6targetE1EEEvS17_.kd
    .uniform_work_group_size: 1
    .uses_dynamic_stack: false
    .vgpr_count:     0
    .vgpr_spill_count: 0
    .wavefront_size: 64
  - .agpr_count:     0
    .args:
      - .offset:         0
        .size:           96
        .value_kind:     by_value
    .group_segment_fixed_size: 0
    .kernarg_segment_align: 8
    .kernarg_segment_size: 96
    .language:       OpenCL C
    .language_version:
      - 2
      - 0
    .max_flat_workgroup_size: 256
    .name:           _ZN7rocprim17ROCPRIM_400000_NS6detail17trampoline_kernelINS0_14default_configENS1_22reduce_config_selectorIN6thrust23THRUST_200600_302600_NS5tupleIblNS6_9null_typeES8_S8_S8_S8_S8_S8_S8_EEEEZNS1_11reduce_implILb1ES3_NS6_12zip_iteratorINS7_INS6_11hip_rocprim26transform_input_iterator_tIbPlNS6_6detail10functional5actorINSH_9compositeIJNSH_27transparent_binary_operatorINS6_8equal_toIvEEEENSI_INSH_8argumentILj0EEEEENSH_5valueIlEEEEEEEEENSD_19counting_iterator_tIlEES8_S8_S8_S8_S8_S8_S8_S8_EEEEPS9_S9_NSD_9__find_if7functorIS9_EEEE10hipError_tPvRmT1_T2_T3_mT4_P12ihipStream_tbEUlT_E0_NS1_11comp_targetILNS1_3genE10ELNS1_11target_archE1201ELNS1_3gpuE5ELNS1_3repE0EEENS1_30default_config_static_selectorELNS0_4arch9wavefront6targetE1EEEvS17_
    .private_segment_fixed_size: 0
    .sgpr_count:     4
    .sgpr_spill_count: 0
    .symbol:         _ZN7rocprim17ROCPRIM_400000_NS6detail17trampoline_kernelINS0_14default_configENS1_22reduce_config_selectorIN6thrust23THRUST_200600_302600_NS5tupleIblNS6_9null_typeES8_S8_S8_S8_S8_S8_S8_EEEEZNS1_11reduce_implILb1ES3_NS6_12zip_iteratorINS7_INS6_11hip_rocprim26transform_input_iterator_tIbPlNS6_6detail10functional5actorINSH_9compositeIJNSH_27transparent_binary_operatorINS6_8equal_toIvEEEENSI_INSH_8argumentILj0EEEEENSH_5valueIlEEEEEEEEENSD_19counting_iterator_tIlEES8_S8_S8_S8_S8_S8_S8_S8_EEEEPS9_S9_NSD_9__find_if7functorIS9_EEEE10hipError_tPvRmT1_T2_T3_mT4_P12ihipStream_tbEUlT_E0_NS1_11comp_targetILNS1_3genE10ELNS1_11target_archE1201ELNS1_3gpuE5ELNS1_3repE0EEENS1_30default_config_static_selectorELNS0_4arch9wavefront6targetE1EEEvS17_.kd
    .uniform_work_group_size: 1
    .uses_dynamic_stack: false
    .vgpr_count:     0
    .vgpr_spill_count: 0
    .wavefront_size: 64
  - .agpr_count:     0
    .args:
      - .offset:         0
        .size:           96
        .value_kind:     by_value
    .group_segment_fixed_size: 0
    .kernarg_segment_align: 8
    .kernarg_segment_size: 96
    .language:       OpenCL C
    .language_version:
      - 2
      - 0
    .max_flat_workgroup_size: 256
    .name:           _ZN7rocprim17ROCPRIM_400000_NS6detail17trampoline_kernelINS0_14default_configENS1_22reduce_config_selectorIN6thrust23THRUST_200600_302600_NS5tupleIblNS6_9null_typeES8_S8_S8_S8_S8_S8_S8_EEEEZNS1_11reduce_implILb1ES3_NS6_12zip_iteratorINS7_INS6_11hip_rocprim26transform_input_iterator_tIbPlNS6_6detail10functional5actorINSH_9compositeIJNSH_27transparent_binary_operatorINS6_8equal_toIvEEEENSI_INSH_8argumentILj0EEEEENSH_5valueIlEEEEEEEEENSD_19counting_iterator_tIlEES8_S8_S8_S8_S8_S8_S8_S8_EEEEPS9_S9_NSD_9__find_if7functorIS9_EEEE10hipError_tPvRmT1_T2_T3_mT4_P12ihipStream_tbEUlT_E0_NS1_11comp_targetILNS1_3genE10ELNS1_11target_archE1200ELNS1_3gpuE4ELNS1_3repE0EEENS1_30default_config_static_selectorELNS0_4arch9wavefront6targetE1EEEvS17_
    .private_segment_fixed_size: 0
    .sgpr_count:     4
    .sgpr_spill_count: 0
    .symbol:         _ZN7rocprim17ROCPRIM_400000_NS6detail17trampoline_kernelINS0_14default_configENS1_22reduce_config_selectorIN6thrust23THRUST_200600_302600_NS5tupleIblNS6_9null_typeES8_S8_S8_S8_S8_S8_S8_EEEEZNS1_11reduce_implILb1ES3_NS6_12zip_iteratorINS7_INS6_11hip_rocprim26transform_input_iterator_tIbPlNS6_6detail10functional5actorINSH_9compositeIJNSH_27transparent_binary_operatorINS6_8equal_toIvEEEENSI_INSH_8argumentILj0EEEEENSH_5valueIlEEEEEEEEENSD_19counting_iterator_tIlEES8_S8_S8_S8_S8_S8_S8_S8_EEEEPS9_S9_NSD_9__find_if7functorIS9_EEEE10hipError_tPvRmT1_T2_T3_mT4_P12ihipStream_tbEUlT_E0_NS1_11comp_targetILNS1_3genE10ELNS1_11target_archE1200ELNS1_3gpuE4ELNS1_3repE0EEENS1_30default_config_static_selectorELNS0_4arch9wavefront6targetE1EEEvS17_.kd
    .uniform_work_group_size: 1
    .uses_dynamic_stack: false
    .vgpr_count:     0
    .vgpr_spill_count: 0
    .wavefront_size: 64
  - .agpr_count:     0
    .args:
      - .offset:         0
        .size:           96
        .value_kind:     by_value
    .group_segment_fixed_size: 0
    .kernarg_segment_align: 8
    .kernarg_segment_size: 96
    .language:       OpenCL C
    .language_version:
      - 2
      - 0
    .max_flat_workgroup_size: 256
    .name:           _ZN7rocprim17ROCPRIM_400000_NS6detail17trampoline_kernelINS0_14default_configENS1_22reduce_config_selectorIN6thrust23THRUST_200600_302600_NS5tupleIblNS6_9null_typeES8_S8_S8_S8_S8_S8_S8_EEEEZNS1_11reduce_implILb1ES3_NS6_12zip_iteratorINS7_INS6_11hip_rocprim26transform_input_iterator_tIbPlNS6_6detail10functional5actorINSH_9compositeIJNSH_27transparent_binary_operatorINS6_8equal_toIvEEEENSI_INSH_8argumentILj0EEEEENSH_5valueIlEEEEEEEEENSD_19counting_iterator_tIlEES8_S8_S8_S8_S8_S8_S8_S8_EEEEPS9_S9_NSD_9__find_if7functorIS9_EEEE10hipError_tPvRmT1_T2_T3_mT4_P12ihipStream_tbEUlT_E0_NS1_11comp_targetILNS1_3genE9ELNS1_11target_archE1100ELNS1_3gpuE3ELNS1_3repE0EEENS1_30default_config_static_selectorELNS0_4arch9wavefront6targetE1EEEvS17_
    .private_segment_fixed_size: 0
    .sgpr_count:     4
    .sgpr_spill_count: 0
    .symbol:         _ZN7rocprim17ROCPRIM_400000_NS6detail17trampoline_kernelINS0_14default_configENS1_22reduce_config_selectorIN6thrust23THRUST_200600_302600_NS5tupleIblNS6_9null_typeES8_S8_S8_S8_S8_S8_S8_EEEEZNS1_11reduce_implILb1ES3_NS6_12zip_iteratorINS7_INS6_11hip_rocprim26transform_input_iterator_tIbPlNS6_6detail10functional5actorINSH_9compositeIJNSH_27transparent_binary_operatorINS6_8equal_toIvEEEENSI_INSH_8argumentILj0EEEEENSH_5valueIlEEEEEEEEENSD_19counting_iterator_tIlEES8_S8_S8_S8_S8_S8_S8_S8_EEEEPS9_S9_NSD_9__find_if7functorIS9_EEEE10hipError_tPvRmT1_T2_T3_mT4_P12ihipStream_tbEUlT_E0_NS1_11comp_targetILNS1_3genE9ELNS1_11target_archE1100ELNS1_3gpuE3ELNS1_3repE0EEENS1_30default_config_static_selectorELNS0_4arch9wavefront6targetE1EEEvS17_.kd
    .uniform_work_group_size: 1
    .uses_dynamic_stack: false
    .vgpr_count:     0
    .vgpr_spill_count: 0
    .wavefront_size: 64
  - .agpr_count:     0
    .args:
      - .offset:         0
        .size:           96
        .value_kind:     by_value
    .group_segment_fixed_size: 0
    .kernarg_segment_align: 8
    .kernarg_segment_size: 96
    .language:       OpenCL C
    .language_version:
      - 2
      - 0
    .max_flat_workgroup_size: 256
    .name:           _ZN7rocprim17ROCPRIM_400000_NS6detail17trampoline_kernelINS0_14default_configENS1_22reduce_config_selectorIN6thrust23THRUST_200600_302600_NS5tupleIblNS6_9null_typeES8_S8_S8_S8_S8_S8_S8_EEEEZNS1_11reduce_implILb1ES3_NS6_12zip_iteratorINS7_INS6_11hip_rocprim26transform_input_iterator_tIbPlNS6_6detail10functional5actorINSH_9compositeIJNSH_27transparent_binary_operatorINS6_8equal_toIvEEEENSI_INSH_8argumentILj0EEEEENSH_5valueIlEEEEEEEEENSD_19counting_iterator_tIlEES8_S8_S8_S8_S8_S8_S8_S8_EEEEPS9_S9_NSD_9__find_if7functorIS9_EEEE10hipError_tPvRmT1_T2_T3_mT4_P12ihipStream_tbEUlT_E0_NS1_11comp_targetILNS1_3genE8ELNS1_11target_archE1030ELNS1_3gpuE2ELNS1_3repE0EEENS1_30default_config_static_selectorELNS0_4arch9wavefront6targetE1EEEvS17_
    .private_segment_fixed_size: 0
    .sgpr_count:     4
    .sgpr_spill_count: 0
    .symbol:         _ZN7rocprim17ROCPRIM_400000_NS6detail17trampoline_kernelINS0_14default_configENS1_22reduce_config_selectorIN6thrust23THRUST_200600_302600_NS5tupleIblNS6_9null_typeES8_S8_S8_S8_S8_S8_S8_EEEEZNS1_11reduce_implILb1ES3_NS6_12zip_iteratorINS7_INS6_11hip_rocprim26transform_input_iterator_tIbPlNS6_6detail10functional5actorINSH_9compositeIJNSH_27transparent_binary_operatorINS6_8equal_toIvEEEENSI_INSH_8argumentILj0EEEEENSH_5valueIlEEEEEEEEENSD_19counting_iterator_tIlEES8_S8_S8_S8_S8_S8_S8_S8_EEEEPS9_S9_NSD_9__find_if7functorIS9_EEEE10hipError_tPvRmT1_T2_T3_mT4_P12ihipStream_tbEUlT_E0_NS1_11comp_targetILNS1_3genE8ELNS1_11target_archE1030ELNS1_3gpuE2ELNS1_3repE0EEENS1_30default_config_static_selectorELNS0_4arch9wavefront6targetE1EEEvS17_.kd
    .uniform_work_group_size: 1
    .uses_dynamic_stack: false
    .vgpr_count:     0
    .vgpr_spill_count: 0
    .wavefront_size: 64
  - .agpr_count:     0
    .args:
      - .offset:         0
        .size:           80
        .value_kind:     by_value
    .group_segment_fixed_size: 0
    .kernarg_segment_align: 8
    .kernarg_segment_size: 80
    .language:       OpenCL C
    .language_version:
      - 2
      - 0
    .max_flat_workgroup_size: 128
    .name:           _ZN7rocprim17ROCPRIM_400000_NS6detail17trampoline_kernelINS0_14default_configENS1_22reduce_config_selectorIN6thrust23THRUST_200600_302600_NS5tupleIblNS6_9null_typeES8_S8_S8_S8_S8_S8_S8_EEEEZNS1_11reduce_implILb1ES3_NS6_12zip_iteratorINS7_INS6_11hip_rocprim26transform_input_iterator_tIbPlNS6_6detail10functional5actorINSH_9compositeIJNSH_27transparent_binary_operatorINS6_8equal_toIvEEEENSI_INSH_8argumentILj0EEEEENSH_5valueIlEEEEEEEEENSD_19counting_iterator_tIlEES8_S8_S8_S8_S8_S8_S8_S8_EEEEPS9_S9_NSD_9__find_if7functorIS9_EEEE10hipError_tPvRmT1_T2_T3_mT4_P12ihipStream_tbEUlT_E1_NS1_11comp_targetILNS1_3genE0ELNS1_11target_archE4294967295ELNS1_3gpuE0ELNS1_3repE0EEENS1_30default_config_static_selectorELNS0_4arch9wavefront6targetE1EEEvS17_
    .private_segment_fixed_size: 0
    .sgpr_count:     4
    .sgpr_spill_count: 0
    .symbol:         _ZN7rocprim17ROCPRIM_400000_NS6detail17trampoline_kernelINS0_14default_configENS1_22reduce_config_selectorIN6thrust23THRUST_200600_302600_NS5tupleIblNS6_9null_typeES8_S8_S8_S8_S8_S8_S8_EEEEZNS1_11reduce_implILb1ES3_NS6_12zip_iteratorINS7_INS6_11hip_rocprim26transform_input_iterator_tIbPlNS6_6detail10functional5actorINSH_9compositeIJNSH_27transparent_binary_operatorINS6_8equal_toIvEEEENSI_INSH_8argumentILj0EEEEENSH_5valueIlEEEEEEEEENSD_19counting_iterator_tIlEES8_S8_S8_S8_S8_S8_S8_S8_EEEEPS9_S9_NSD_9__find_if7functorIS9_EEEE10hipError_tPvRmT1_T2_T3_mT4_P12ihipStream_tbEUlT_E1_NS1_11comp_targetILNS1_3genE0ELNS1_11target_archE4294967295ELNS1_3gpuE0ELNS1_3repE0EEENS1_30default_config_static_selectorELNS0_4arch9wavefront6targetE1EEEvS17_.kd
    .uniform_work_group_size: 1
    .uses_dynamic_stack: false
    .vgpr_count:     0
    .vgpr_spill_count: 0
    .wavefront_size: 64
  - .agpr_count:     0
    .args:
      - .offset:         0
        .size:           80
        .value_kind:     by_value
    .group_segment_fixed_size: 0
    .kernarg_segment_align: 8
    .kernarg_segment_size: 80
    .language:       OpenCL C
    .language_version:
      - 2
      - 0
    .max_flat_workgroup_size: 256
    .name:           _ZN7rocprim17ROCPRIM_400000_NS6detail17trampoline_kernelINS0_14default_configENS1_22reduce_config_selectorIN6thrust23THRUST_200600_302600_NS5tupleIblNS6_9null_typeES8_S8_S8_S8_S8_S8_S8_EEEEZNS1_11reduce_implILb1ES3_NS6_12zip_iteratorINS7_INS6_11hip_rocprim26transform_input_iterator_tIbPlNS6_6detail10functional5actorINSH_9compositeIJNSH_27transparent_binary_operatorINS6_8equal_toIvEEEENSI_INSH_8argumentILj0EEEEENSH_5valueIlEEEEEEEEENSD_19counting_iterator_tIlEES8_S8_S8_S8_S8_S8_S8_S8_EEEEPS9_S9_NSD_9__find_if7functorIS9_EEEE10hipError_tPvRmT1_T2_T3_mT4_P12ihipStream_tbEUlT_E1_NS1_11comp_targetILNS1_3genE5ELNS1_11target_archE942ELNS1_3gpuE9ELNS1_3repE0EEENS1_30default_config_static_selectorELNS0_4arch9wavefront6targetE1EEEvS17_
    .private_segment_fixed_size: 0
    .sgpr_count:     4
    .sgpr_spill_count: 0
    .symbol:         _ZN7rocprim17ROCPRIM_400000_NS6detail17trampoline_kernelINS0_14default_configENS1_22reduce_config_selectorIN6thrust23THRUST_200600_302600_NS5tupleIblNS6_9null_typeES8_S8_S8_S8_S8_S8_S8_EEEEZNS1_11reduce_implILb1ES3_NS6_12zip_iteratorINS7_INS6_11hip_rocprim26transform_input_iterator_tIbPlNS6_6detail10functional5actorINSH_9compositeIJNSH_27transparent_binary_operatorINS6_8equal_toIvEEEENSI_INSH_8argumentILj0EEEEENSH_5valueIlEEEEEEEEENSD_19counting_iterator_tIlEES8_S8_S8_S8_S8_S8_S8_S8_EEEEPS9_S9_NSD_9__find_if7functorIS9_EEEE10hipError_tPvRmT1_T2_T3_mT4_P12ihipStream_tbEUlT_E1_NS1_11comp_targetILNS1_3genE5ELNS1_11target_archE942ELNS1_3gpuE9ELNS1_3repE0EEENS1_30default_config_static_selectorELNS0_4arch9wavefront6targetE1EEEvS17_.kd
    .uniform_work_group_size: 1
    .uses_dynamic_stack: false
    .vgpr_count:     0
    .vgpr_spill_count: 0
    .wavefront_size: 64
  - .agpr_count:     0
    .args:
      - .offset:         0
        .size:           80
        .value_kind:     by_value
    .group_segment_fixed_size: 320
    .kernarg_segment_align: 8
    .kernarg_segment_size: 80
    .language:       OpenCL C
    .language_version:
      - 2
      - 0
    .max_flat_workgroup_size: 256
    .name:           _ZN7rocprim17ROCPRIM_400000_NS6detail17trampoline_kernelINS0_14default_configENS1_22reduce_config_selectorIN6thrust23THRUST_200600_302600_NS5tupleIblNS6_9null_typeES8_S8_S8_S8_S8_S8_S8_EEEEZNS1_11reduce_implILb1ES3_NS6_12zip_iteratorINS7_INS6_11hip_rocprim26transform_input_iterator_tIbPlNS6_6detail10functional5actorINSH_9compositeIJNSH_27transparent_binary_operatorINS6_8equal_toIvEEEENSI_INSH_8argumentILj0EEEEENSH_5valueIlEEEEEEEEENSD_19counting_iterator_tIlEES8_S8_S8_S8_S8_S8_S8_S8_EEEEPS9_S9_NSD_9__find_if7functorIS9_EEEE10hipError_tPvRmT1_T2_T3_mT4_P12ihipStream_tbEUlT_E1_NS1_11comp_targetILNS1_3genE4ELNS1_11target_archE910ELNS1_3gpuE8ELNS1_3repE0EEENS1_30default_config_static_selectorELNS0_4arch9wavefront6targetE1EEEvS17_
    .private_segment_fixed_size: 0
    .sgpr_count:     42
    .sgpr_spill_count: 0
    .symbol:         _ZN7rocprim17ROCPRIM_400000_NS6detail17trampoline_kernelINS0_14default_configENS1_22reduce_config_selectorIN6thrust23THRUST_200600_302600_NS5tupleIblNS6_9null_typeES8_S8_S8_S8_S8_S8_S8_EEEEZNS1_11reduce_implILb1ES3_NS6_12zip_iteratorINS7_INS6_11hip_rocprim26transform_input_iterator_tIbPlNS6_6detail10functional5actorINSH_9compositeIJNSH_27transparent_binary_operatorINS6_8equal_toIvEEEENSI_INSH_8argumentILj0EEEEENSH_5valueIlEEEEEEEEENSD_19counting_iterator_tIlEES8_S8_S8_S8_S8_S8_S8_S8_EEEEPS9_S9_NSD_9__find_if7functorIS9_EEEE10hipError_tPvRmT1_T2_T3_mT4_P12ihipStream_tbEUlT_E1_NS1_11comp_targetILNS1_3genE4ELNS1_11target_archE910ELNS1_3gpuE8ELNS1_3repE0EEENS1_30default_config_static_selectorELNS0_4arch9wavefront6targetE1EEEvS17_.kd
    .uniform_work_group_size: 1
    .uses_dynamic_stack: false
    .vgpr_count:     28
    .vgpr_spill_count: 0
    .wavefront_size: 64
  - .agpr_count:     0
    .args:
      - .offset:         0
        .size:           80
        .value_kind:     by_value
    .group_segment_fixed_size: 0
    .kernarg_segment_align: 8
    .kernarg_segment_size: 80
    .language:       OpenCL C
    .language_version:
      - 2
      - 0
    .max_flat_workgroup_size: 128
    .name:           _ZN7rocprim17ROCPRIM_400000_NS6detail17trampoline_kernelINS0_14default_configENS1_22reduce_config_selectorIN6thrust23THRUST_200600_302600_NS5tupleIblNS6_9null_typeES8_S8_S8_S8_S8_S8_S8_EEEEZNS1_11reduce_implILb1ES3_NS6_12zip_iteratorINS7_INS6_11hip_rocprim26transform_input_iterator_tIbPlNS6_6detail10functional5actorINSH_9compositeIJNSH_27transparent_binary_operatorINS6_8equal_toIvEEEENSI_INSH_8argumentILj0EEEEENSH_5valueIlEEEEEEEEENSD_19counting_iterator_tIlEES8_S8_S8_S8_S8_S8_S8_S8_EEEEPS9_S9_NSD_9__find_if7functorIS9_EEEE10hipError_tPvRmT1_T2_T3_mT4_P12ihipStream_tbEUlT_E1_NS1_11comp_targetILNS1_3genE3ELNS1_11target_archE908ELNS1_3gpuE7ELNS1_3repE0EEENS1_30default_config_static_selectorELNS0_4arch9wavefront6targetE1EEEvS17_
    .private_segment_fixed_size: 0
    .sgpr_count:     4
    .sgpr_spill_count: 0
    .symbol:         _ZN7rocprim17ROCPRIM_400000_NS6detail17trampoline_kernelINS0_14default_configENS1_22reduce_config_selectorIN6thrust23THRUST_200600_302600_NS5tupleIblNS6_9null_typeES8_S8_S8_S8_S8_S8_S8_EEEEZNS1_11reduce_implILb1ES3_NS6_12zip_iteratorINS7_INS6_11hip_rocprim26transform_input_iterator_tIbPlNS6_6detail10functional5actorINSH_9compositeIJNSH_27transparent_binary_operatorINS6_8equal_toIvEEEENSI_INSH_8argumentILj0EEEEENSH_5valueIlEEEEEEEEENSD_19counting_iterator_tIlEES8_S8_S8_S8_S8_S8_S8_S8_EEEEPS9_S9_NSD_9__find_if7functorIS9_EEEE10hipError_tPvRmT1_T2_T3_mT4_P12ihipStream_tbEUlT_E1_NS1_11comp_targetILNS1_3genE3ELNS1_11target_archE908ELNS1_3gpuE7ELNS1_3repE0EEENS1_30default_config_static_selectorELNS0_4arch9wavefront6targetE1EEEvS17_.kd
    .uniform_work_group_size: 1
    .uses_dynamic_stack: false
    .vgpr_count:     0
    .vgpr_spill_count: 0
    .wavefront_size: 64
  - .agpr_count:     0
    .args:
      - .offset:         0
        .size:           80
        .value_kind:     by_value
    .group_segment_fixed_size: 0
    .kernarg_segment_align: 8
    .kernarg_segment_size: 80
    .language:       OpenCL C
    .language_version:
      - 2
      - 0
    .max_flat_workgroup_size: 128
    .name:           _ZN7rocprim17ROCPRIM_400000_NS6detail17trampoline_kernelINS0_14default_configENS1_22reduce_config_selectorIN6thrust23THRUST_200600_302600_NS5tupleIblNS6_9null_typeES8_S8_S8_S8_S8_S8_S8_EEEEZNS1_11reduce_implILb1ES3_NS6_12zip_iteratorINS7_INS6_11hip_rocprim26transform_input_iterator_tIbPlNS6_6detail10functional5actorINSH_9compositeIJNSH_27transparent_binary_operatorINS6_8equal_toIvEEEENSI_INSH_8argumentILj0EEEEENSH_5valueIlEEEEEEEEENSD_19counting_iterator_tIlEES8_S8_S8_S8_S8_S8_S8_S8_EEEEPS9_S9_NSD_9__find_if7functorIS9_EEEE10hipError_tPvRmT1_T2_T3_mT4_P12ihipStream_tbEUlT_E1_NS1_11comp_targetILNS1_3genE2ELNS1_11target_archE906ELNS1_3gpuE6ELNS1_3repE0EEENS1_30default_config_static_selectorELNS0_4arch9wavefront6targetE1EEEvS17_
    .private_segment_fixed_size: 0
    .sgpr_count:     4
    .sgpr_spill_count: 0
    .symbol:         _ZN7rocprim17ROCPRIM_400000_NS6detail17trampoline_kernelINS0_14default_configENS1_22reduce_config_selectorIN6thrust23THRUST_200600_302600_NS5tupleIblNS6_9null_typeES8_S8_S8_S8_S8_S8_S8_EEEEZNS1_11reduce_implILb1ES3_NS6_12zip_iteratorINS7_INS6_11hip_rocprim26transform_input_iterator_tIbPlNS6_6detail10functional5actorINSH_9compositeIJNSH_27transparent_binary_operatorINS6_8equal_toIvEEEENSI_INSH_8argumentILj0EEEEENSH_5valueIlEEEEEEEEENSD_19counting_iterator_tIlEES8_S8_S8_S8_S8_S8_S8_S8_EEEEPS9_S9_NSD_9__find_if7functorIS9_EEEE10hipError_tPvRmT1_T2_T3_mT4_P12ihipStream_tbEUlT_E1_NS1_11comp_targetILNS1_3genE2ELNS1_11target_archE906ELNS1_3gpuE6ELNS1_3repE0EEENS1_30default_config_static_selectorELNS0_4arch9wavefront6targetE1EEEvS17_.kd
    .uniform_work_group_size: 1
    .uses_dynamic_stack: false
    .vgpr_count:     0
    .vgpr_spill_count: 0
    .wavefront_size: 64
  - .agpr_count:     0
    .args:
      - .offset:         0
        .size:           80
        .value_kind:     by_value
    .group_segment_fixed_size: 0
    .kernarg_segment_align: 8
    .kernarg_segment_size: 80
    .language:       OpenCL C
    .language_version:
      - 2
      - 0
    .max_flat_workgroup_size: 256
    .name:           _ZN7rocprim17ROCPRIM_400000_NS6detail17trampoline_kernelINS0_14default_configENS1_22reduce_config_selectorIN6thrust23THRUST_200600_302600_NS5tupleIblNS6_9null_typeES8_S8_S8_S8_S8_S8_S8_EEEEZNS1_11reduce_implILb1ES3_NS6_12zip_iteratorINS7_INS6_11hip_rocprim26transform_input_iterator_tIbPlNS6_6detail10functional5actorINSH_9compositeIJNSH_27transparent_binary_operatorINS6_8equal_toIvEEEENSI_INSH_8argumentILj0EEEEENSH_5valueIlEEEEEEEEENSD_19counting_iterator_tIlEES8_S8_S8_S8_S8_S8_S8_S8_EEEEPS9_S9_NSD_9__find_if7functorIS9_EEEE10hipError_tPvRmT1_T2_T3_mT4_P12ihipStream_tbEUlT_E1_NS1_11comp_targetILNS1_3genE10ELNS1_11target_archE1201ELNS1_3gpuE5ELNS1_3repE0EEENS1_30default_config_static_selectorELNS0_4arch9wavefront6targetE1EEEvS17_
    .private_segment_fixed_size: 0
    .sgpr_count:     4
    .sgpr_spill_count: 0
    .symbol:         _ZN7rocprim17ROCPRIM_400000_NS6detail17trampoline_kernelINS0_14default_configENS1_22reduce_config_selectorIN6thrust23THRUST_200600_302600_NS5tupleIblNS6_9null_typeES8_S8_S8_S8_S8_S8_S8_EEEEZNS1_11reduce_implILb1ES3_NS6_12zip_iteratorINS7_INS6_11hip_rocprim26transform_input_iterator_tIbPlNS6_6detail10functional5actorINSH_9compositeIJNSH_27transparent_binary_operatorINS6_8equal_toIvEEEENSI_INSH_8argumentILj0EEEEENSH_5valueIlEEEEEEEEENSD_19counting_iterator_tIlEES8_S8_S8_S8_S8_S8_S8_S8_EEEEPS9_S9_NSD_9__find_if7functorIS9_EEEE10hipError_tPvRmT1_T2_T3_mT4_P12ihipStream_tbEUlT_E1_NS1_11comp_targetILNS1_3genE10ELNS1_11target_archE1201ELNS1_3gpuE5ELNS1_3repE0EEENS1_30default_config_static_selectorELNS0_4arch9wavefront6targetE1EEEvS17_.kd
    .uniform_work_group_size: 1
    .uses_dynamic_stack: false
    .vgpr_count:     0
    .vgpr_spill_count: 0
    .wavefront_size: 64
  - .agpr_count:     0
    .args:
      - .offset:         0
        .size:           80
        .value_kind:     by_value
    .group_segment_fixed_size: 0
    .kernarg_segment_align: 8
    .kernarg_segment_size: 80
    .language:       OpenCL C
    .language_version:
      - 2
      - 0
    .max_flat_workgroup_size: 256
    .name:           _ZN7rocprim17ROCPRIM_400000_NS6detail17trampoline_kernelINS0_14default_configENS1_22reduce_config_selectorIN6thrust23THRUST_200600_302600_NS5tupleIblNS6_9null_typeES8_S8_S8_S8_S8_S8_S8_EEEEZNS1_11reduce_implILb1ES3_NS6_12zip_iteratorINS7_INS6_11hip_rocprim26transform_input_iterator_tIbPlNS6_6detail10functional5actorINSH_9compositeIJNSH_27transparent_binary_operatorINS6_8equal_toIvEEEENSI_INSH_8argumentILj0EEEEENSH_5valueIlEEEEEEEEENSD_19counting_iterator_tIlEES8_S8_S8_S8_S8_S8_S8_S8_EEEEPS9_S9_NSD_9__find_if7functorIS9_EEEE10hipError_tPvRmT1_T2_T3_mT4_P12ihipStream_tbEUlT_E1_NS1_11comp_targetILNS1_3genE10ELNS1_11target_archE1200ELNS1_3gpuE4ELNS1_3repE0EEENS1_30default_config_static_selectorELNS0_4arch9wavefront6targetE1EEEvS17_
    .private_segment_fixed_size: 0
    .sgpr_count:     4
    .sgpr_spill_count: 0
    .symbol:         _ZN7rocprim17ROCPRIM_400000_NS6detail17trampoline_kernelINS0_14default_configENS1_22reduce_config_selectorIN6thrust23THRUST_200600_302600_NS5tupleIblNS6_9null_typeES8_S8_S8_S8_S8_S8_S8_EEEEZNS1_11reduce_implILb1ES3_NS6_12zip_iteratorINS7_INS6_11hip_rocprim26transform_input_iterator_tIbPlNS6_6detail10functional5actorINSH_9compositeIJNSH_27transparent_binary_operatorINS6_8equal_toIvEEEENSI_INSH_8argumentILj0EEEEENSH_5valueIlEEEEEEEEENSD_19counting_iterator_tIlEES8_S8_S8_S8_S8_S8_S8_S8_EEEEPS9_S9_NSD_9__find_if7functorIS9_EEEE10hipError_tPvRmT1_T2_T3_mT4_P12ihipStream_tbEUlT_E1_NS1_11comp_targetILNS1_3genE10ELNS1_11target_archE1200ELNS1_3gpuE4ELNS1_3repE0EEENS1_30default_config_static_selectorELNS0_4arch9wavefront6targetE1EEEvS17_.kd
    .uniform_work_group_size: 1
    .uses_dynamic_stack: false
    .vgpr_count:     0
    .vgpr_spill_count: 0
    .wavefront_size: 64
  - .agpr_count:     0
    .args:
      - .offset:         0
        .size:           80
        .value_kind:     by_value
    .group_segment_fixed_size: 0
    .kernarg_segment_align: 8
    .kernarg_segment_size: 80
    .language:       OpenCL C
    .language_version:
      - 2
      - 0
    .max_flat_workgroup_size: 256
    .name:           _ZN7rocprim17ROCPRIM_400000_NS6detail17trampoline_kernelINS0_14default_configENS1_22reduce_config_selectorIN6thrust23THRUST_200600_302600_NS5tupleIblNS6_9null_typeES8_S8_S8_S8_S8_S8_S8_EEEEZNS1_11reduce_implILb1ES3_NS6_12zip_iteratorINS7_INS6_11hip_rocprim26transform_input_iterator_tIbPlNS6_6detail10functional5actorINSH_9compositeIJNSH_27transparent_binary_operatorINS6_8equal_toIvEEEENSI_INSH_8argumentILj0EEEEENSH_5valueIlEEEEEEEEENSD_19counting_iterator_tIlEES8_S8_S8_S8_S8_S8_S8_S8_EEEEPS9_S9_NSD_9__find_if7functorIS9_EEEE10hipError_tPvRmT1_T2_T3_mT4_P12ihipStream_tbEUlT_E1_NS1_11comp_targetILNS1_3genE9ELNS1_11target_archE1100ELNS1_3gpuE3ELNS1_3repE0EEENS1_30default_config_static_selectorELNS0_4arch9wavefront6targetE1EEEvS17_
    .private_segment_fixed_size: 0
    .sgpr_count:     4
    .sgpr_spill_count: 0
    .symbol:         _ZN7rocprim17ROCPRIM_400000_NS6detail17trampoline_kernelINS0_14default_configENS1_22reduce_config_selectorIN6thrust23THRUST_200600_302600_NS5tupleIblNS6_9null_typeES8_S8_S8_S8_S8_S8_S8_EEEEZNS1_11reduce_implILb1ES3_NS6_12zip_iteratorINS7_INS6_11hip_rocprim26transform_input_iterator_tIbPlNS6_6detail10functional5actorINSH_9compositeIJNSH_27transparent_binary_operatorINS6_8equal_toIvEEEENSI_INSH_8argumentILj0EEEEENSH_5valueIlEEEEEEEEENSD_19counting_iterator_tIlEES8_S8_S8_S8_S8_S8_S8_S8_EEEEPS9_S9_NSD_9__find_if7functorIS9_EEEE10hipError_tPvRmT1_T2_T3_mT4_P12ihipStream_tbEUlT_E1_NS1_11comp_targetILNS1_3genE9ELNS1_11target_archE1100ELNS1_3gpuE3ELNS1_3repE0EEENS1_30default_config_static_selectorELNS0_4arch9wavefront6targetE1EEEvS17_.kd
    .uniform_work_group_size: 1
    .uses_dynamic_stack: false
    .vgpr_count:     0
    .vgpr_spill_count: 0
    .wavefront_size: 64
  - .agpr_count:     0
    .args:
      - .offset:         0
        .size:           80
        .value_kind:     by_value
    .group_segment_fixed_size: 0
    .kernarg_segment_align: 8
    .kernarg_segment_size: 80
    .language:       OpenCL C
    .language_version:
      - 2
      - 0
    .max_flat_workgroup_size: 256
    .name:           _ZN7rocprim17ROCPRIM_400000_NS6detail17trampoline_kernelINS0_14default_configENS1_22reduce_config_selectorIN6thrust23THRUST_200600_302600_NS5tupleIblNS6_9null_typeES8_S8_S8_S8_S8_S8_S8_EEEEZNS1_11reduce_implILb1ES3_NS6_12zip_iteratorINS7_INS6_11hip_rocprim26transform_input_iterator_tIbPlNS6_6detail10functional5actorINSH_9compositeIJNSH_27transparent_binary_operatorINS6_8equal_toIvEEEENSI_INSH_8argumentILj0EEEEENSH_5valueIlEEEEEEEEENSD_19counting_iterator_tIlEES8_S8_S8_S8_S8_S8_S8_S8_EEEEPS9_S9_NSD_9__find_if7functorIS9_EEEE10hipError_tPvRmT1_T2_T3_mT4_P12ihipStream_tbEUlT_E1_NS1_11comp_targetILNS1_3genE8ELNS1_11target_archE1030ELNS1_3gpuE2ELNS1_3repE0EEENS1_30default_config_static_selectorELNS0_4arch9wavefront6targetE1EEEvS17_
    .private_segment_fixed_size: 0
    .sgpr_count:     4
    .sgpr_spill_count: 0
    .symbol:         _ZN7rocprim17ROCPRIM_400000_NS6detail17trampoline_kernelINS0_14default_configENS1_22reduce_config_selectorIN6thrust23THRUST_200600_302600_NS5tupleIblNS6_9null_typeES8_S8_S8_S8_S8_S8_S8_EEEEZNS1_11reduce_implILb1ES3_NS6_12zip_iteratorINS7_INS6_11hip_rocprim26transform_input_iterator_tIbPlNS6_6detail10functional5actorINSH_9compositeIJNSH_27transparent_binary_operatorINS6_8equal_toIvEEEENSI_INSH_8argumentILj0EEEEENSH_5valueIlEEEEEEEEENSD_19counting_iterator_tIlEES8_S8_S8_S8_S8_S8_S8_S8_EEEEPS9_S9_NSD_9__find_if7functorIS9_EEEE10hipError_tPvRmT1_T2_T3_mT4_P12ihipStream_tbEUlT_E1_NS1_11comp_targetILNS1_3genE8ELNS1_11target_archE1030ELNS1_3gpuE2ELNS1_3repE0EEENS1_30default_config_static_selectorELNS0_4arch9wavefront6targetE1EEEvS17_.kd
    .uniform_work_group_size: 1
    .uses_dynamic_stack: false
    .vgpr_count:     0
    .vgpr_spill_count: 0
    .wavefront_size: 64
  - .agpr_count:     0
    .args:
      - .offset:         0
        .size:           48
        .value_kind:     by_value
    .group_segment_fixed_size: 0
    .kernarg_segment_align: 8
    .kernarg_segment_size: 48
    .language:       OpenCL C
    .language_version:
      - 2
      - 0
    .max_flat_workgroup_size: 256
    .name:           _ZN7rocprim17ROCPRIM_400000_NS6detail17trampoline_kernelINS0_13kernel_configILj256ELj4ELj4294967295EEENS1_37radix_sort_block_sort_config_selectorIslEEZNS1_21radix_sort_block_sortIS4_Lb0EPsS8_N6thrust23THRUST_200600_302600_NS10device_ptrIlEESC_NS0_19identity_decomposerEEE10hipError_tT1_T2_T3_T4_jRjT5_jjP12ihipStream_tbEUlT_E_NS1_11comp_targetILNS1_3genE0ELNS1_11target_archE4294967295ELNS1_3gpuE0ELNS1_3repE0EEENS1_44radix_sort_block_sort_config_static_selectorELNS0_4arch9wavefront6targetE1EEEvSF_
    .private_segment_fixed_size: 0
    .sgpr_count:     4
    .sgpr_spill_count: 0
    .symbol:         _ZN7rocprim17ROCPRIM_400000_NS6detail17trampoline_kernelINS0_13kernel_configILj256ELj4ELj4294967295EEENS1_37radix_sort_block_sort_config_selectorIslEEZNS1_21radix_sort_block_sortIS4_Lb0EPsS8_N6thrust23THRUST_200600_302600_NS10device_ptrIlEESC_NS0_19identity_decomposerEEE10hipError_tT1_T2_T3_T4_jRjT5_jjP12ihipStream_tbEUlT_E_NS1_11comp_targetILNS1_3genE0ELNS1_11target_archE4294967295ELNS1_3gpuE0ELNS1_3repE0EEENS1_44radix_sort_block_sort_config_static_selectorELNS0_4arch9wavefront6targetE1EEEvSF_.kd
    .uniform_work_group_size: 1
    .uses_dynamic_stack: false
    .vgpr_count:     0
    .vgpr_spill_count: 0
    .wavefront_size: 64
  - .agpr_count:     0
    .args:
      - .offset:         0
        .size:           48
        .value_kind:     by_value
    .group_segment_fixed_size: 0
    .kernarg_segment_align: 8
    .kernarg_segment_size: 48
    .language:       OpenCL C
    .language_version:
      - 2
      - 0
    .max_flat_workgroup_size: 256
    .name:           _ZN7rocprim17ROCPRIM_400000_NS6detail17trampoline_kernelINS0_13kernel_configILj256ELj4ELj4294967295EEENS1_37radix_sort_block_sort_config_selectorIslEEZNS1_21radix_sort_block_sortIS4_Lb0EPsS8_N6thrust23THRUST_200600_302600_NS10device_ptrIlEESC_NS0_19identity_decomposerEEE10hipError_tT1_T2_T3_T4_jRjT5_jjP12ihipStream_tbEUlT_E_NS1_11comp_targetILNS1_3genE5ELNS1_11target_archE942ELNS1_3gpuE9ELNS1_3repE0EEENS1_44radix_sort_block_sort_config_static_selectorELNS0_4arch9wavefront6targetE1EEEvSF_
    .private_segment_fixed_size: 0
    .sgpr_count:     4
    .sgpr_spill_count: 0
    .symbol:         _ZN7rocprim17ROCPRIM_400000_NS6detail17trampoline_kernelINS0_13kernel_configILj256ELj4ELj4294967295EEENS1_37radix_sort_block_sort_config_selectorIslEEZNS1_21radix_sort_block_sortIS4_Lb0EPsS8_N6thrust23THRUST_200600_302600_NS10device_ptrIlEESC_NS0_19identity_decomposerEEE10hipError_tT1_T2_T3_T4_jRjT5_jjP12ihipStream_tbEUlT_E_NS1_11comp_targetILNS1_3genE5ELNS1_11target_archE942ELNS1_3gpuE9ELNS1_3repE0EEENS1_44radix_sort_block_sort_config_static_selectorELNS0_4arch9wavefront6targetE1EEEvSF_.kd
    .uniform_work_group_size: 1
    .uses_dynamic_stack: false
    .vgpr_count:     0
    .vgpr_spill_count: 0
    .wavefront_size: 64
  - .agpr_count:     0
    .args:
      - .offset:         0
        .size:           48
        .value_kind:     by_value
      - .offset:         48
        .size:           4
        .value_kind:     hidden_block_count_x
      - .offset:         52
        .size:           4
        .value_kind:     hidden_block_count_y
      - .offset:         56
        .size:           4
        .value_kind:     hidden_block_count_z
      - .offset:         60
        .size:           2
        .value_kind:     hidden_group_size_x
      - .offset:         62
        .size:           2
        .value_kind:     hidden_group_size_y
      - .offset:         64
        .size:           2
        .value_kind:     hidden_group_size_z
      - .offset:         66
        .size:           2
        .value_kind:     hidden_remainder_x
      - .offset:         68
        .size:           2
        .value_kind:     hidden_remainder_y
      - .offset:         70
        .size:           2
        .value_kind:     hidden_remainder_z
      - .offset:         88
        .size:           8
        .value_kind:     hidden_global_offset_x
      - .offset:         96
        .size:           8
        .value_kind:     hidden_global_offset_y
      - .offset:         104
        .size:           8
        .value_kind:     hidden_global_offset_z
      - .offset:         112
        .size:           2
        .value_kind:     hidden_grid_dims
    .group_segment_fixed_size: 8192
    .kernarg_segment_align: 8
    .kernarg_segment_size: 304
    .language:       OpenCL C
    .language_version:
      - 2
      - 0
    .max_flat_workgroup_size: 256
    .name:           _ZN7rocprim17ROCPRIM_400000_NS6detail17trampoline_kernelINS0_13kernel_configILj256ELj4ELj4294967295EEENS1_37radix_sort_block_sort_config_selectorIslEEZNS1_21radix_sort_block_sortIS4_Lb0EPsS8_N6thrust23THRUST_200600_302600_NS10device_ptrIlEESC_NS0_19identity_decomposerEEE10hipError_tT1_T2_T3_T4_jRjT5_jjP12ihipStream_tbEUlT_E_NS1_11comp_targetILNS1_3genE4ELNS1_11target_archE910ELNS1_3gpuE8ELNS1_3repE0EEENS1_44radix_sort_block_sort_config_static_selectorELNS0_4arch9wavefront6targetE1EEEvSF_
    .private_segment_fixed_size: 0
    .sgpr_count:     52
    .sgpr_spill_count: 0
    .symbol:         _ZN7rocprim17ROCPRIM_400000_NS6detail17trampoline_kernelINS0_13kernel_configILj256ELj4ELj4294967295EEENS1_37radix_sort_block_sort_config_selectorIslEEZNS1_21radix_sort_block_sortIS4_Lb0EPsS8_N6thrust23THRUST_200600_302600_NS10device_ptrIlEESC_NS0_19identity_decomposerEEE10hipError_tT1_T2_T3_T4_jRjT5_jjP12ihipStream_tbEUlT_E_NS1_11comp_targetILNS1_3genE4ELNS1_11target_archE910ELNS1_3gpuE8ELNS1_3repE0EEENS1_44radix_sort_block_sort_config_static_selectorELNS0_4arch9wavefront6targetE1EEEvSF_.kd
    .uniform_work_group_size: 1
    .uses_dynamic_stack: false
    .vgpr_count:     52
    .vgpr_spill_count: 0
    .wavefront_size: 64
  - .agpr_count:     0
    .args:
      - .offset:         0
        .size:           48
        .value_kind:     by_value
    .group_segment_fixed_size: 0
    .kernarg_segment_align: 8
    .kernarg_segment_size: 48
    .language:       OpenCL C
    .language_version:
      - 2
      - 0
    .max_flat_workgroup_size: 256
    .name:           _ZN7rocprim17ROCPRIM_400000_NS6detail17trampoline_kernelINS0_13kernel_configILj256ELj4ELj4294967295EEENS1_37radix_sort_block_sort_config_selectorIslEEZNS1_21radix_sort_block_sortIS4_Lb0EPsS8_N6thrust23THRUST_200600_302600_NS10device_ptrIlEESC_NS0_19identity_decomposerEEE10hipError_tT1_T2_T3_T4_jRjT5_jjP12ihipStream_tbEUlT_E_NS1_11comp_targetILNS1_3genE3ELNS1_11target_archE908ELNS1_3gpuE7ELNS1_3repE0EEENS1_44radix_sort_block_sort_config_static_selectorELNS0_4arch9wavefront6targetE1EEEvSF_
    .private_segment_fixed_size: 0
    .sgpr_count:     4
    .sgpr_spill_count: 0
    .symbol:         _ZN7rocprim17ROCPRIM_400000_NS6detail17trampoline_kernelINS0_13kernel_configILj256ELj4ELj4294967295EEENS1_37radix_sort_block_sort_config_selectorIslEEZNS1_21radix_sort_block_sortIS4_Lb0EPsS8_N6thrust23THRUST_200600_302600_NS10device_ptrIlEESC_NS0_19identity_decomposerEEE10hipError_tT1_T2_T3_T4_jRjT5_jjP12ihipStream_tbEUlT_E_NS1_11comp_targetILNS1_3genE3ELNS1_11target_archE908ELNS1_3gpuE7ELNS1_3repE0EEENS1_44radix_sort_block_sort_config_static_selectorELNS0_4arch9wavefront6targetE1EEEvSF_.kd
    .uniform_work_group_size: 1
    .uses_dynamic_stack: false
    .vgpr_count:     0
    .vgpr_spill_count: 0
    .wavefront_size: 64
  - .agpr_count:     0
    .args:
      - .offset:         0
        .size:           48
        .value_kind:     by_value
    .group_segment_fixed_size: 0
    .kernarg_segment_align: 8
    .kernarg_segment_size: 48
    .language:       OpenCL C
    .language_version:
      - 2
      - 0
    .max_flat_workgroup_size: 256
    .name:           _ZN7rocprim17ROCPRIM_400000_NS6detail17trampoline_kernelINS0_13kernel_configILj256ELj4ELj4294967295EEENS1_37radix_sort_block_sort_config_selectorIslEEZNS1_21radix_sort_block_sortIS4_Lb0EPsS8_N6thrust23THRUST_200600_302600_NS10device_ptrIlEESC_NS0_19identity_decomposerEEE10hipError_tT1_T2_T3_T4_jRjT5_jjP12ihipStream_tbEUlT_E_NS1_11comp_targetILNS1_3genE2ELNS1_11target_archE906ELNS1_3gpuE6ELNS1_3repE0EEENS1_44radix_sort_block_sort_config_static_selectorELNS0_4arch9wavefront6targetE1EEEvSF_
    .private_segment_fixed_size: 0
    .sgpr_count:     4
    .sgpr_spill_count: 0
    .symbol:         _ZN7rocprim17ROCPRIM_400000_NS6detail17trampoline_kernelINS0_13kernel_configILj256ELj4ELj4294967295EEENS1_37radix_sort_block_sort_config_selectorIslEEZNS1_21radix_sort_block_sortIS4_Lb0EPsS8_N6thrust23THRUST_200600_302600_NS10device_ptrIlEESC_NS0_19identity_decomposerEEE10hipError_tT1_T2_T3_T4_jRjT5_jjP12ihipStream_tbEUlT_E_NS1_11comp_targetILNS1_3genE2ELNS1_11target_archE906ELNS1_3gpuE6ELNS1_3repE0EEENS1_44radix_sort_block_sort_config_static_selectorELNS0_4arch9wavefront6targetE1EEEvSF_.kd
    .uniform_work_group_size: 1
    .uses_dynamic_stack: false
    .vgpr_count:     0
    .vgpr_spill_count: 0
    .wavefront_size: 64
  - .agpr_count:     0
    .args:
      - .offset:         0
        .size:           48
        .value_kind:     by_value
    .group_segment_fixed_size: 0
    .kernarg_segment_align: 8
    .kernarg_segment_size: 48
    .language:       OpenCL C
    .language_version:
      - 2
      - 0
    .max_flat_workgroup_size: 256
    .name:           _ZN7rocprim17ROCPRIM_400000_NS6detail17trampoline_kernelINS0_13kernel_configILj256ELj4ELj4294967295EEENS1_37radix_sort_block_sort_config_selectorIslEEZNS1_21radix_sort_block_sortIS4_Lb0EPsS8_N6thrust23THRUST_200600_302600_NS10device_ptrIlEESC_NS0_19identity_decomposerEEE10hipError_tT1_T2_T3_T4_jRjT5_jjP12ihipStream_tbEUlT_E_NS1_11comp_targetILNS1_3genE10ELNS1_11target_archE1201ELNS1_3gpuE5ELNS1_3repE0EEENS1_44radix_sort_block_sort_config_static_selectorELNS0_4arch9wavefront6targetE1EEEvSF_
    .private_segment_fixed_size: 0
    .sgpr_count:     4
    .sgpr_spill_count: 0
    .symbol:         _ZN7rocprim17ROCPRIM_400000_NS6detail17trampoline_kernelINS0_13kernel_configILj256ELj4ELj4294967295EEENS1_37radix_sort_block_sort_config_selectorIslEEZNS1_21radix_sort_block_sortIS4_Lb0EPsS8_N6thrust23THRUST_200600_302600_NS10device_ptrIlEESC_NS0_19identity_decomposerEEE10hipError_tT1_T2_T3_T4_jRjT5_jjP12ihipStream_tbEUlT_E_NS1_11comp_targetILNS1_3genE10ELNS1_11target_archE1201ELNS1_3gpuE5ELNS1_3repE0EEENS1_44radix_sort_block_sort_config_static_selectorELNS0_4arch9wavefront6targetE1EEEvSF_.kd
    .uniform_work_group_size: 1
    .uses_dynamic_stack: false
    .vgpr_count:     0
    .vgpr_spill_count: 0
    .wavefront_size: 64
  - .agpr_count:     0
    .args:
      - .offset:         0
        .size:           48
        .value_kind:     by_value
    .group_segment_fixed_size: 0
    .kernarg_segment_align: 8
    .kernarg_segment_size: 48
    .language:       OpenCL C
    .language_version:
      - 2
      - 0
    .max_flat_workgroup_size: 256
    .name:           _ZN7rocprim17ROCPRIM_400000_NS6detail17trampoline_kernelINS0_13kernel_configILj256ELj4ELj4294967295EEENS1_37radix_sort_block_sort_config_selectorIslEEZNS1_21radix_sort_block_sortIS4_Lb0EPsS8_N6thrust23THRUST_200600_302600_NS10device_ptrIlEESC_NS0_19identity_decomposerEEE10hipError_tT1_T2_T3_T4_jRjT5_jjP12ihipStream_tbEUlT_E_NS1_11comp_targetILNS1_3genE10ELNS1_11target_archE1200ELNS1_3gpuE4ELNS1_3repE0EEENS1_44radix_sort_block_sort_config_static_selectorELNS0_4arch9wavefront6targetE1EEEvSF_
    .private_segment_fixed_size: 0
    .sgpr_count:     4
    .sgpr_spill_count: 0
    .symbol:         _ZN7rocprim17ROCPRIM_400000_NS6detail17trampoline_kernelINS0_13kernel_configILj256ELj4ELj4294967295EEENS1_37radix_sort_block_sort_config_selectorIslEEZNS1_21radix_sort_block_sortIS4_Lb0EPsS8_N6thrust23THRUST_200600_302600_NS10device_ptrIlEESC_NS0_19identity_decomposerEEE10hipError_tT1_T2_T3_T4_jRjT5_jjP12ihipStream_tbEUlT_E_NS1_11comp_targetILNS1_3genE10ELNS1_11target_archE1200ELNS1_3gpuE4ELNS1_3repE0EEENS1_44radix_sort_block_sort_config_static_selectorELNS0_4arch9wavefront6targetE1EEEvSF_.kd
    .uniform_work_group_size: 1
    .uses_dynamic_stack: false
    .vgpr_count:     0
    .vgpr_spill_count: 0
    .wavefront_size: 64
  - .agpr_count:     0
    .args:
      - .offset:         0
        .size:           48
        .value_kind:     by_value
    .group_segment_fixed_size: 0
    .kernarg_segment_align: 8
    .kernarg_segment_size: 48
    .language:       OpenCL C
    .language_version:
      - 2
      - 0
    .max_flat_workgroup_size: 256
    .name:           _ZN7rocprim17ROCPRIM_400000_NS6detail17trampoline_kernelINS0_13kernel_configILj256ELj4ELj4294967295EEENS1_37radix_sort_block_sort_config_selectorIslEEZNS1_21radix_sort_block_sortIS4_Lb0EPsS8_N6thrust23THRUST_200600_302600_NS10device_ptrIlEESC_NS0_19identity_decomposerEEE10hipError_tT1_T2_T3_T4_jRjT5_jjP12ihipStream_tbEUlT_E_NS1_11comp_targetILNS1_3genE9ELNS1_11target_archE1100ELNS1_3gpuE3ELNS1_3repE0EEENS1_44radix_sort_block_sort_config_static_selectorELNS0_4arch9wavefront6targetE1EEEvSF_
    .private_segment_fixed_size: 0
    .sgpr_count:     4
    .sgpr_spill_count: 0
    .symbol:         _ZN7rocprim17ROCPRIM_400000_NS6detail17trampoline_kernelINS0_13kernel_configILj256ELj4ELj4294967295EEENS1_37radix_sort_block_sort_config_selectorIslEEZNS1_21radix_sort_block_sortIS4_Lb0EPsS8_N6thrust23THRUST_200600_302600_NS10device_ptrIlEESC_NS0_19identity_decomposerEEE10hipError_tT1_T2_T3_T4_jRjT5_jjP12ihipStream_tbEUlT_E_NS1_11comp_targetILNS1_3genE9ELNS1_11target_archE1100ELNS1_3gpuE3ELNS1_3repE0EEENS1_44radix_sort_block_sort_config_static_selectorELNS0_4arch9wavefront6targetE1EEEvSF_.kd
    .uniform_work_group_size: 1
    .uses_dynamic_stack: false
    .vgpr_count:     0
    .vgpr_spill_count: 0
    .wavefront_size: 64
  - .agpr_count:     0
    .args:
      - .offset:         0
        .size:           48
        .value_kind:     by_value
    .group_segment_fixed_size: 0
    .kernarg_segment_align: 8
    .kernarg_segment_size: 48
    .language:       OpenCL C
    .language_version:
      - 2
      - 0
    .max_flat_workgroup_size: 256
    .name:           _ZN7rocprim17ROCPRIM_400000_NS6detail17trampoline_kernelINS0_13kernel_configILj256ELj4ELj4294967295EEENS1_37radix_sort_block_sort_config_selectorIslEEZNS1_21radix_sort_block_sortIS4_Lb0EPsS8_N6thrust23THRUST_200600_302600_NS10device_ptrIlEESC_NS0_19identity_decomposerEEE10hipError_tT1_T2_T3_T4_jRjT5_jjP12ihipStream_tbEUlT_E_NS1_11comp_targetILNS1_3genE8ELNS1_11target_archE1030ELNS1_3gpuE2ELNS1_3repE0EEENS1_44radix_sort_block_sort_config_static_selectorELNS0_4arch9wavefront6targetE1EEEvSF_
    .private_segment_fixed_size: 0
    .sgpr_count:     4
    .sgpr_spill_count: 0
    .symbol:         _ZN7rocprim17ROCPRIM_400000_NS6detail17trampoline_kernelINS0_13kernel_configILj256ELj4ELj4294967295EEENS1_37radix_sort_block_sort_config_selectorIslEEZNS1_21radix_sort_block_sortIS4_Lb0EPsS8_N6thrust23THRUST_200600_302600_NS10device_ptrIlEESC_NS0_19identity_decomposerEEE10hipError_tT1_T2_T3_T4_jRjT5_jjP12ihipStream_tbEUlT_E_NS1_11comp_targetILNS1_3genE8ELNS1_11target_archE1030ELNS1_3gpuE2ELNS1_3repE0EEENS1_44radix_sort_block_sort_config_static_selectorELNS0_4arch9wavefront6targetE1EEEvSF_.kd
    .uniform_work_group_size: 1
    .uses_dynamic_stack: false
    .vgpr_count:     0
    .vgpr_spill_count: 0
    .wavefront_size: 64
  - .agpr_count:     0
    .args:           []
    .group_segment_fixed_size: 0
    .kernarg_segment_align: 4
    .kernarg_segment_size: 0
    .language:       OpenCL C
    .language_version:
      - 2
      - 0
    .max_flat_workgroup_size: 1024
    .name:           _ZN7rocprim17ROCPRIM_400000_NS6detail44device_merge_sort_compile_time_verifier_archINS1_11comp_targetILNS1_3genE0ELNS1_11target_archE4294967295ELNS1_3gpuE0ELNS1_3repE0EEES8_NS1_28merge_sort_block_sort_configILj256ELj4ELNS0_20block_sort_algorithmE0EEENS0_14default_configENS1_37merge_sort_block_sort_config_selectorIslEENS1_38merge_sort_block_merge_config_selectorIslEEEEvv
    .private_segment_fixed_size: 0
    .sgpr_count:     4
    .sgpr_spill_count: 0
    .symbol:         _ZN7rocprim17ROCPRIM_400000_NS6detail44device_merge_sort_compile_time_verifier_archINS1_11comp_targetILNS1_3genE0ELNS1_11target_archE4294967295ELNS1_3gpuE0ELNS1_3repE0EEES8_NS1_28merge_sort_block_sort_configILj256ELj4ELNS0_20block_sort_algorithmE0EEENS0_14default_configENS1_37merge_sort_block_sort_config_selectorIslEENS1_38merge_sort_block_merge_config_selectorIslEEEEvv.kd
    .uniform_work_group_size: 1
    .uses_dynamic_stack: false
    .vgpr_count:     0
    .vgpr_spill_count: 0
    .wavefront_size: 64
  - .agpr_count:     0
    .args:           []
    .group_segment_fixed_size: 0
    .kernarg_segment_align: 4
    .kernarg_segment_size: 0
    .language:       OpenCL C
    .language_version:
      - 2
      - 0
    .max_flat_workgroup_size: 1024
    .name:           _ZN7rocprim17ROCPRIM_400000_NS6detail44device_merge_sort_compile_time_verifier_archINS1_11comp_targetILNS1_3genE5ELNS1_11target_archE942ELNS1_3gpuE9ELNS1_3repE0EEES8_NS1_28merge_sort_block_sort_configILj256ELj4ELNS0_20block_sort_algorithmE0EEENS0_14default_configENS1_37merge_sort_block_sort_config_selectorIslEENS1_38merge_sort_block_merge_config_selectorIslEEEEvv
    .private_segment_fixed_size: 0
    .sgpr_count:     4
    .sgpr_spill_count: 0
    .symbol:         _ZN7rocprim17ROCPRIM_400000_NS6detail44device_merge_sort_compile_time_verifier_archINS1_11comp_targetILNS1_3genE5ELNS1_11target_archE942ELNS1_3gpuE9ELNS1_3repE0EEES8_NS1_28merge_sort_block_sort_configILj256ELj4ELNS0_20block_sort_algorithmE0EEENS0_14default_configENS1_37merge_sort_block_sort_config_selectorIslEENS1_38merge_sort_block_merge_config_selectorIslEEEEvv.kd
    .uniform_work_group_size: 1
    .uses_dynamic_stack: false
    .vgpr_count:     0
    .vgpr_spill_count: 0
    .wavefront_size: 64
  - .agpr_count:     0
    .args:           []
    .group_segment_fixed_size: 0
    .kernarg_segment_align: 4
    .kernarg_segment_size: 0
    .language:       OpenCL C
    .language_version:
      - 2
      - 0
    .max_flat_workgroup_size: 1024
    .name:           _ZN7rocprim17ROCPRIM_400000_NS6detail44device_merge_sort_compile_time_verifier_archINS1_11comp_targetILNS1_3genE4ELNS1_11target_archE910ELNS1_3gpuE8ELNS1_3repE0EEES8_NS1_28merge_sort_block_sort_configILj256ELj4ELNS0_20block_sort_algorithmE0EEENS0_14default_configENS1_37merge_sort_block_sort_config_selectorIslEENS1_38merge_sort_block_merge_config_selectorIslEEEEvv
    .private_segment_fixed_size: 0
    .sgpr_count:     4
    .sgpr_spill_count: 0
    .symbol:         _ZN7rocprim17ROCPRIM_400000_NS6detail44device_merge_sort_compile_time_verifier_archINS1_11comp_targetILNS1_3genE4ELNS1_11target_archE910ELNS1_3gpuE8ELNS1_3repE0EEES8_NS1_28merge_sort_block_sort_configILj256ELj4ELNS0_20block_sort_algorithmE0EEENS0_14default_configENS1_37merge_sort_block_sort_config_selectorIslEENS1_38merge_sort_block_merge_config_selectorIslEEEEvv.kd
    .uniform_work_group_size: 1
    .uses_dynamic_stack: false
    .vgpr_count:     0
    .vgpr_spill_count: 0
    .wavefront_size: 64
  - .agpr_count:     0
    .args:           []
    .group_segment_fixed_size: 0
    .kernarg_segment_align: 4
    .kernarg_segment_size: 0
    .language:       OpenCL C
    .language_version:
      - 2
      - 0
    .max_flat_workgroup_size: 1024
    .name:           _ZN7rocprim17ROCPRIM_400000_NS6detail44device_merge_sort_compile_time_verifier_archINS1_11comp_targetILNS1_3genE3ELNS1_11target_archE908ELNS1_3gpuE7ELNS1_3repE0EEES8_NS1_28merge_sort_block_sort_configILj256ELj4ELNS0_20block_sort_algorithmE0EEENS0_14default_configENS1_37merge_sort_block_sort_config_selectorIslEENS1_38merge_sort_block_merge_config_selectorIslEEEEvv
    .private_segment_fixed_size: 0
    .sgpr_count:     4
    .sgpr_spill_count: 0
    .symbol:         _ZN7rocprim17ROCPRIM_400000_NS6detail44device_merge_sort_compile_time_verifier_archINS1_11comp_targetILNS1_3genE3ELNS1_11target_archE908ELNS1_3gpuE7ELNS1_3repE0EEES8_NS1_28merge_sort_block_sort_configILj256ELj4ELNS0_20block_sort_algorithmE0EEENS0_14default_configENS1_37merge_sort_block_sort_config_selectorIslEENS1_38merge_sort_block_merge_config_selectorIslEEEEvv.kd
    .uniform_work_group_size: 1
    .uses_dynamic_stack: false
    .vgpr_count:     0
    .vgpr_spill_count: 0
    .wavefront_size: 64
  - .agpr_count:     0
    .args:           []
    .group_segment_fixed_size: 0
    .kernarg_segment_align: 4
    .kernarg_segment_size: 0
    .language:       OpenCL C
    .language_version:
      - 2
      - 0
    .max_flat_workgroup_size: 1024
    .name:           _ZN7rocprim17ROCPRIM_400000_NS6detail44device_merge_sort_compile_time_verifier_archINS1_11comp_targetILNS1_3genE2ELNS1_11target_archE906ELNS1_3gpuE6ELNS1_3repE0EEES8_NS1_28merge_sort_block_sort_configILj256ELj4ELNS0_20block_sort_algorithmE0EEENS0_14default_configENS1_37merge_sort_block_sort_config_selectorIslEENS1_38merge_sort_block_merge_config_selectorIslEEEEvv
    .private_segment_fixed_size: 0
    .sgpr_count:     4
    .sgpr_spill_count: 0
    .symbol:         _ZN7rocprim17ROCPRIM_400000_NS6detail44device_merge_sort_compile_time_verifier_archINS1_11comp_targetILNS1_3genE2ELNS1_11target_archE906ELNS1_3gpuE6ELNS1_3repE0EEES8_NS1_28merge_sort_block_sort_configILj256ELj4ELNS0_20block_sort_algorithmE0EEENS0_14default_configENS1_37merge_sort_block_sort_config_selectorIslEENS1_38merge_sort_block_merge_config_selectorIslEEEEvv.kd
    .uniform_work_group_size: 1
    .uses_dynamic_stack: false
    .vgpr_count:     0
    .vgpr_spill_count: 0
    .wavefront_size: 64
  - .agpr_count:     0
    .args:           []
    .group_segment_fixed_size: 0
    .kernarg_segment_align: 4
    .kernarg_segment_size: 0
    .language:       OpenCL C
    .language_version:
      - 2
      - 0
    .max_flat_workgroup_size: 1024
    .name:           _ZN7rocprim17ROCPRIM_400000_NS6detail44device_merge_sort_compile_time_verifier_archINS1_11comp_targetILNS1_3genE10ELNS1_11target_archE1201ELNS1_3gpuE5ELNS1_3repE0EEES8_NS1_28merge_sort_block_sort_configILj256ELj4ELNS0_20block_sort_algorithmE0EEENS0_14default_configENS1_37merge_sort_block_sort_config_selectorIslEENS1_38merge_sort_block_merge_config_selectorIslEEEEvv
    .private_segment_fixed_size: 0
    .sgpr_count:     4
    .sgpr_spill_count: 0
    .symbol:         _ZN7rocprim17ROCPRIM_400000_NS6detail44device_merge_sort_compile_time_verifier_archINS1_11comp_targetILNS1_3genE10ELNS1_11target_archE1201ELNS1_3gpuE5ELNS1_3repE0EEES8_NS1_28merge_sort_block_sort_configILj256ELj4ELNS0_20block_sort_algorithmE0EEENS0_14default_configENS1_37merge_sort_block_sort_config_selectorIslEENS1_38merge_sort_block_merge_config_selectorIslEEEEvv.kd
    .uniform_work_group_size: 1
    .uses_dynamic_stack: false
    .vgpr_count:     0
    .vgpr_spill_count: 0
    .wavefront_size: 64
  - .agpr_count:     0
    .args:           []
    .group_segment_fixed_size: 0
    .kernarg_segment_align: 4
    .kernarg_segment_size: 0
    .language:       OpenCL C
    .language_version:
      - 2
      - 0
    .max_flat_workgroup_size: 1024
    .name:           _ZN7rocprim17ROCPRIM_400000_NS6detail44device_merge_sort_compile_time_verifier_archINS1_11comp_targetILNS1_3genE10ELNS1_11target_archE1200ELNS1_3gpuE4ELNS1_3repE0EEENS3_ILS4_10ELS5_1201ELS6_5ELS7_0EEENS1_28merge_sort_block_sort_configILj256ELj4ELNS0_20block_sort_algorithmE0EEENS0_14default_configENS1_37merge_sort_block_sort_config_selectorIslEENS1_38merge_sort_block_merge_config_selectorIslEEEEvv
    .private_segment_fixed_size: 0
    .sgpr_count:     4
    .sgpr_spill_count: 0
    .symbol:         _ZN7rocprim17ROCPRIM_400000_NS6detail44device_merge_sort_compile_time_verifier_archINS1_11comp_targetILNS1_3genE10ELNS1_11target_archE1200ELNS1_3gpuE4ELNS1_3repE0EEENS3_ILS4_10ELS5_1201ELS6_5ELS7_0EEENS1_28merge_sort_block_sort_configILj256ELj4ELNS0_20block_sort_algorithmE0EEENS0_14default_configENS1_37merge_sort_block_sort_config_selectorIslEENS1_38merge_sort_block_merge_config_selectorIslEEEEvv.kd
    .uniform_work_group_size: 1
    .uses_dynamic_stack: false
    .vgpr_count:     0
    .vgpr_spill_count: 0
    .wavefront_size: 64
  - .agpr_count:     0
    .args:           []
    .group_segment_fixed_size: 0
    .kernarg_segment_align: 4
    .kernarg_segment_size: 0
    .language:       OpenCL C
    .language_version:
      - 2
      - 0
    .max_flat_workgroup_size: 1024
    .name:           _ZN7rocprim17ROCPRIM_400000_NS6detail44device_merge_sort_compile_time_verifier_archINS1_11comp_targetILNS1_3genE9ELNS1_11target_archE1100ELNS1_3gpuE3ELNS1_3repE0EEES8_NS1_28merge_sort_block_sort_configILj256ELj4ELNS0_20block_sort_algorithmE0EEENS0_14default_configENS1_37merge_sort_block_sort_config_selectorIslEENS1_38merge_sort_block_merge_config_selectorIslEEEEvv
    .private_segment_fixed_size: 0
    .sgpr_count:     4
    .sgpr_spill_count: 0
    .symbol:         _ZN7rocprim17ROCPRIM_400000_NS6detail44device_merge_sort_compile_time_verifier_archINS1_11comp_targetILNS1_3genE9ELNS1_11target_archE1100ELNS1_3gpuE3ELNS1_3repE0EEES8_NS1_28merge_sort_block_sort_configILj256ELj4ELNS0_20block_sort_algorithmE0EEENS0_14default_configENS1_37merge_sort_block_sort_config_selectorIslEENS1_38merge_sort_block_merge_config_selectorIslEEEEvv.kd
    .uniform_work_group_size: 1
    .uses_dynamic_stack: false
    .vgpr_count:     0
    .vgpr_spill_count: 0
    .wavefront_size: 64
  - .agpr_count:     0
    .args:           []
    .group_segment_fixed_size: 0
    .kernarg_segment_align: 4
    .kernarg_segment_size: 0
    .language:       OpenCL C
    .language_version:
      - 2
      - 0
    .max_flat_workgroup_size: 1024
    .name:           _ZN7rocprim17ROCPRIM_400000_NS6detail44device_merge_sort_compile_time_verifier_archINS1_11comp_targetILNS1_3genE8ELNS1_11target_archE1030ELNS1_3gpuE2ELNS1_3repE0EEES8_NS1_28merge_sort_block_sort_configILj256ELj4ELNS0_20block_sort_algorithmE0EEENS0_14default_configENS1_37merge_sort_block_sort_config_selectorIslEENS1_38merge_sort_block_merge_config_selectorIslEEEEvv
    .private_segment_fixed_size: 0
    .sgpr_count:     4
    .sgpr_spill_count: 0
    .symbol:         _ZN7rocprim17ROCPRIM_400000_NS6detail44device_merge_sort_compile_time_verifier_archINS1_11comp_targetILNS1_3genE8ELNS1_11target_archE1030ELNS1_3gpuE2ELNS1_3repE0EEES8_NS1_28merge_sort_block_sort_configILj256ELj4ELNS0_20block_sort_algorithmE0EEENS0_14default_configENS1_37merge_sort_block_sort_config_selectorIslEENS1_38merge_sort_block_merge_config_selectorIslEEEEvv.kd
    .uniform_work_group_size: 1
    .uses_dynamic_stack: false
    .vgpr_count:     0
    .vgpr_spill_count: 0
    .wavefront_size: 64
  - .agpr_count:     0
    .args:
      - .offset:         0
        .size:           40
        .value_kind:     by_value
    .group_segment_fixed_size: 0
    .kernarg_segment_align: 8
    .kernarg_segment_size: 40
    .language:       OpenCL C
    .language_version:
      - 2
      - 0
    .max_flat_workgroup_size: 128
    .name:           _ZN7rocprim17ROCPRIM_400000_NS6detail17trampoline_kernelINS0_14default_configENS1_38merge_sort_block_merge_config_selectorIslEEZZNS1_27merge_sort_block_merge_implIS3_PsN6thrust23THRUST_200600_302600_NS10device_ptrIlEEjNS1_19radix_merge_compareILb0ELb0EsNS0_19identity_decomposerEEEEE10hipError_tT0_T1_T2_jT3_P12ihipStream_tbPNSt15iterator_traitsISG_E10value_typeEPNSM_ISH_E10value_typeEPSI_NS1_7vsmem_tEENKUlT_SG_SH_SI_E_clIS7_S7_PlSB_EESF_SV_SG_SH_SI_EUlSV_E_NS1_11comp_targetILNS1_3genE0ELNS1_11target_archE4294967295ELNS1_3gpuE0ELNS1_3repE0EEENS1_48merge_mergepath_partition_config_static_selectorELNS0_4arch9wavefront6targetE1EEEvSH_
    .private_segment_fixed_size: 0
    .sgpr_count:     4
    .sgpr_spill_count: 0
    .symbol:         _ZN7rocprim17ROCPRIM_400000_NS6detail17trampoline_kernelINS0_14default_configENS1_38merge_sort_block_merge_config_selectorIslEEZZNS1_27merge_sort_block_merge_implIS3_PsN6thrust23THRUST_200600_302600_NS10device_ptrIlEEjNS1_19radix_merge_compareILb0ELb0EsNS0_19identity_decomposerEEEEE10hipError_tT0_T1_T2_jT3_P12ihipStream_tbPNSt15iterator_traitsISG_E10value_typeEPNSM_ISH_E10value_typeEPSI_NS1_7vsmem_tEENKUlT_SG_SH_SI_E_clIS7_S7_PlSB_EESF_SV_SG_SH_SI_EUlSV_E_NS1_11comp_targetILNS1_3genE0ELNS1_11target_archE4294967295ELNS1_3gpuE0ELNS1_3repE0EEENS1_48merge_mergepath_partition_config_static_selectorELNS0_4arch9wavefront6targetE1EEEvSH_.kd
    .uniform_work_group_size: 1
    .uses_dynamic_stack: false
    .vgpr_count:     0
    .vgpr_spill_count: 0
    .wavefront_size: 64
  - .agpr_count:     0
    .args:
      - .offset:         0
        .size:           40
        .value_kind:     by_value
    .group_segment_fixed_size: 0
    .kernarg_segment_align: 8
    .kernarg_segment_size: 40
    .language:       OpenCL C
    .language_version:
      - 2
      - 0
    .max_flat_workgroup_size: 128
    .name:           _ZN7rocprim17ROCPRIM_400000_NS6detail17trampoline_kernelINS0_14default_configENS1_38merge_sort_block_merge_config_selectorIslEEZZNS1_27merge_sort_block_merge_implIS3_PsN6thrust23THRUST_200600_302600_NS10device_ptrIlEEjNS1_19radix_merge_compareILb0ELb0EsNS0_19identity_decomposerEEEEE10hipError_tT0_T1_T2_jT3_P12ihipStream_tbPNSt15iterator_traitsISG_E10value_typeEPNSM_ISH_E10value_typeEPSI_NS1_7vsmem_tEENKUlT_SG_SH_SI_E_clIS7_S7_PlSB_EESF_SV_SG_SH_SI_EUlSV_E_NS1_11comp_targetILNS1_3genE10ELNS1_11target_archE1201ELNS1_3gpuE5ELNS1_3repE0EEENS1_48merge_mergepath_partition_config_static_selectorELNS0_4arch9wavefront6targetE1EEEvSH_
    .private_segment_fixed_size: 0
    .sgpr_count:     4
    .sgpr_spill_count: 0
    .symbol:         _ZN7rocprim17ROCPRIM_400000_NS6detail17trampoline_kernelINS0_14default_configENS1_38merge_sort_block_merge_config_selectorIslEEZZNS1_27merge_sort_block_merge_implIS3_PsN6thrust23THRUST_200600_302600_NS10device_ptrIlEEjNS1_19radix_merge_compareILb0ELb0EsNS0_19identity_decomposerEEEEE10hipError_tT0_T1_T2_jT3_P12ihipStream_tbPNSt15iterator_traitsISG_E10value_typeEPNSM_ISH_E10value_typeEPSI_NS1_7vsmem_tEENKUlT_SG_SH_SI_E_clIS7_S7_PlSB_EESF_SV_SG_SH_SI_EUlSV_E_NS1_11comp_targetILNS1_3genE10ELNS1_11target_archE1201ELNS1_3gpuE5ELNS1_3repE0EEENS1_48merge_mergepath_partition_config_static_selectorELNS0_4arch9wavefront6targetE1EEEvSH_.kd
    .uniform_work_group_size: 1
    .uses_dynamic_stack: false
    .vgpr_count:     0
    .vgpr_spill_count: 0
    .wavefront_size: 64
  - .agpr_count:     0
    .args:
      - .offset:         0
        .size:           40
        .value_kind:     by_value
    .group_segment_fixed_size: 0
    .kernarg_segment_align: 8
    .kernarg_segment_size: 40
    .language:       OpenCL C
    .language_version:
      - 2
      - 0
    .max_flat_workgroup_size: 128
    .name:           _ZN7rocprim17ROCPRIM_400000_NS6detail17trampoline_kernelINS0_14default_configENS1_38merge_sort_block_merge_config_selectorIslEEZZNS1_27merge_sort_block_merge_implIS3_PsN6thrust23THRUST_200600_302600_NS10device_ptrIlEEjNS1_19radix_merge_compareILb0ELb0EsNS0_19identity_decomposerEEEEE10hipError_tT0_T1_T2_jT3_P12ihipStream_tbPNSt15iterator_traitsISG_E10value_typeEPNSM_ISH_E10value_typeEPSI_NS1_7vsmem_tEENKUlT_SG_SH_SI_E_clIS7_S7_PlSB_EESF_SV_SG_SH_SI_EUlSV_E_NS1_11comp_targetILNS1_3genE5ELNS1_11target_archE942ELNS1_3gpuE9ELNS1_3repE0EEENS1_48merge_mergepath_partition_config_static_selectorELNS0_4arch9wavefront6targetE1EEEvSH_
    .private_segment_fixed_size: 0
    .sgpr_count:     4
    .sgpr_spill_count: 0
    .symbol:         _ZN7rocprim17ROCPRIM_400000_NS6detail17trampoline_kernelINS0_14default_configENS1_38merge_sort_block_merge_config_selectorIslEEZZNS1_27merge_sort_block_merge_implIS3_PsN6thrust23THRUST_200600_302600_NS10device_ptrIlEEjNS1_19radix_merge_compareILb0ELb0EsNS0_19identity_decomposerEEEEE10hipError_tT0_T1_T2_jT3_P12ihipStream_tbPNSt15iterator_traitsISG_E10value_typeEPNSM_ISH_E10value_typeEPSI_NS1_7vsmem_tEENKUlT_SG_SH_SI_E_clIS7_S7_PlSB_EESF_SV_SG_SH_SI_EUlSV_E_NS1_11comp_targetILNS1_3genE5ELNS1_11target_archE942ELNS1_3gpuE9ELNS1_3repE0EEENS1_48merge_mergepath_partition_config_static_selectorELNS0_4arch9wavefront6targetE1EEEvSH_.kd
    .uniform_work_group_size: 1
    .uses_dynamic_stack: false
    .vgpr_count:     0
    .vgpr_spill_count: 0
    .wavefront_size: 64
  - .agpr_count:     0
    .args:
      - .offset:         0
        .size:           40
        .value_kind:     by_value
    .group_segment_fixed_size: 0
    .kernarg_segment_align: 8
    .kernarg_segment_size: 40
    .language:       OpenCL C
    .language_version:
      - 2
      - 0
    .max_flat_workgroup_size: 128
    .name:           _ZN7rocprim17ROCPRIM_400000_NS6detail17trampoline_kernelINS0_14default_configENS1_38merge_sort_block_merge_config_selectorIslEEZZNS1_27merge_sort_block_merge_implIS3_PsN6thrust23THRUST_200600_302600_NS10device_ptrIlEEjNS1_19radix_merge_compareILb0ELb0EsNS0_19identity_decomposerEEEEE10hipError_tT0_T1_T2_jT3_P12ihipStream_tbPNSt15iterator_traitsISG_E10value_typeEPNSM_ISH_E10value_typeEPSI_NS1_7vsmem_tEENKUlT_SG_SH_SI_E_clIS7_S7_PlSB_EESF_SV_SG_SH_SI_EUlSV_E_NS1_11comp_targetILNS1_3genE4ELNS1_11target_archE910ELNS1_3gpuE8ELNS1_3repE0EEENS1_48merge_mergepath_partition_config_static_selectorELNS0_4arch9wavefront6targetE1EEEvSH_
    .private_segment_fixed_size: 0
    .sgpr_count:     12
    .sgpr_spill_count: 0
    .symbol:         _ZN7rocprim17ROCPRIM_400000_NS6detail17trampoline_kernelINS0_14default_configENS1_38merge_sort_block_merge_config_selectorIslEEZZNS1_27merge_sort_block_merge_implIS3_PsN6thrust23THRUST_200600_302600_NS10device_ptrIlEEjNS1_19radix_merge_compareILb0ELb0EsNS0_19identity_decomposerEEEEE10hipError_tT0_T1_T2_jT3_P12ihipStream_tbPNSt15iterator_traitsISG_E10value_typeEPNSM_ISH_E10value_typeEPSI_NS1_7vsmem_tEENKUlT_SG_SH_SI_E_clIS7_S7_PlSB_EESF_SV_SG_SH_SI_EUlSV_E_NS1_11comp_targetILNS1_3genE4ELNS1_11target_archE910ELNS1_3gpuE8ELNS1_3repE0EEENS1_48merge_mergepath_partition_config_static_selectorELNS0_4arch9wavefront6targetE1EEEvSH_.kd
    .uniform_work_group_size: 1
    .uses_dynamic_stack: false
    .vgpr_count:     15
    .vgpr_spill_count: 0
    .wavefront_size: 64
  - .agpr_count:     0
    .args:
      - .offset:         0
        .size:           40
        .value_kind:     by_value
    .group_segment_fixed_size: 0
    .kernarg_segment_align: 8
    .kernarg_segment_size: 40
    .language:       OpenCL C
    .language_version:
      - 2
      - 0
    .max_flat_workgroup_size: 128
    .name:           _ZN7rocprim17ROCPRIM_400000_NS6detail17trampoline_kernelINS0_14default_configENS1_38merge_sort_block_merge_config_selectorIslEEZZNS1_27merge_sort_block_merge_implIS3_PsN6thrust23THRUST_200600_302600_NS10device_ptrIlEEjNS1_19radix_merge_compareILb0ELb0EsNS0_19identity_decomposerEEEEE10hipError_tT0_T1_T2_jT3_P12ihipStream_tbPNSt15iterator_traitsISG_E10value_typeEPNSM_ISH_E10value_typeEPSI_NS1_7vsmem_tEENKUlT_SG_SH_SI_E_clIS7_S7_PlSB_EESF_SV_SG_SH_SI_EUlSV_E_NS1_11comp_targetILNS1_3genE3ELNS1_11target_archE908ELNS1_3gpuE7ELNS1_3repE0EEENS1_48merge_mergepath_partition_config_static_selectorELNS0_4arch9wavefront6targetE1EEEvSH_
    .private_segment_fixed_size: 0
    .sgpr_count:     4
    .sgpr_spill_count: 0
    .symbol:         _ZN7rocprim17ROCPRIM_400000_NS6detail17trampoline_kernelINS0_14default_configENS1_38merge_sort_block_merge_config_selectorIslEEZZNS1_27merge_sort_block_merge_implIS3_PsN6thrust23THRUST_200600_302600_NS10device_ptrIlEEjNS1_19radix_merge_compareILb0ELb0EsNS0_19identity_decomposerEEEEE10hipError_tT0_T1_T2_jT3_P12ihipStream_tbPNSt15iterator_traitsISG_E10value_typeEPNSM_ISH_E10value_typeEPSI_NS1_7vsmem_tEENKUlT_SG_SH_SI_E_clIS7_S7_PlSB_EESF_SV_SG_SH_SI_EUlSV_E_NS1_11comp_targetILNS1_3genE3ELNS1_11target_archE908ELNS1_3gpuE7ELNS1_3repE0EEENS1_48merge_mergepath_partition_config_static_selectorELNS0_4arch9wavefront6targetE1EEEvSH_.kd
    .uniform_work_group_size: 1
    .uses_dynamic_stack: false
    .vgpr_count:     0
    .vgpr_spill_count: 0
    .wavefront_size: 64
  - .agpr_count:     0
    .args:
      - .offset:         0
        .size:           40
        .value_kind:     by_value
    .group_segment_fixed_size: 0
    .kernarg_segment_align: 8
    .kernarg_segment_size: 40
    .language:       OpenCL C
    .language_version:
      - 2
      - 0
    .max_flat_workgroup_size: 128
    .name:           _ZN7rocprim17ROCPRIM_400000_NS6detail17trampoline_kernelINS0_14default_configENS1_38merge_sort_block_merge_config_selectorIslEEZZNS1_27merge_sort_block_merge_implIS3_PsN6thrust23THRUST_200600_302600_NS10device_ptrIlEEjNS1_19radix_merge_compareILb0ELb0EsNS0_19identity_decomposerEEEEE10hipError_tT0_T1_T2_jT3_P12ihipStream_tbPNSt15iterator_traitsISG_E10value_typeEPNSM_ISH_E10value_typeEPSI_NS1_7vsmem_tEENKUlT_SG_SH_SI_E_clIS7_S7_PlSB_EESF_SV_SG_SH_SI_EUlSV_E_NS1_11comp_targetILNS1_3genE2ELNS1_11target_archE906ELNS1_3gpuE6ELNS1_3repE0EEENS1_48merge_mergepath_partition_config_static_selectorELNS0_4arch9wavefront6targetE1EEEvSH_
    .private_segment_fixed_size: 0
    .sgpr_count:     4
    .sgpr_spill_count: 0
    .symbol:         _ZN7rocprim17ROCPRIM_400000_NS6detail17trampoline_kernelINS0_14default_configENS1_38merge_sort_block_merge_config_selectorIslEEZZNS1_27merge_sort_block_merge_implIS3_PsN6thrust23THRUST_200600_302600_NS10device_ptrIlEEjNS1_19radix_merge_compareILb0ELb0EsNS0_19identity_decomposerEEEEE10hipError_tT0_T1_T2_jT3_P12ihipStream_tbPNSt15iterator_traitsISG_E10value_typeEPNSM_ISH_E10value_typeEPSI_NS1_7vsmem_tEENKUlT_SG_SH_SI_E_clIS7_S7_PlSB_EESF_SV_SG_SH_SI_EUlSV_E_NS1_11comp_targetILNS1_3genE2ELNS1_11target_archE906ELNS1_3gpuE6ELNS1_3repE0EEENS1_48merge_mergepath_partition_config_static_selectorELNS0_4arch9wavefront6targetE1EEEvSH_.kd
    .uniform_work_group_size: 1
    .uses_dynamic_stack: false
    .vgpr_count:     0
    .vgpr_spill_count: 0
    .wavefront_size: 64
  - .agpr_count:     0
    .args:
      - .offset:         0
        .size:           40
        .value_kind:     by_value
    .group_segment_fixed_size: 0
    .kernarg_segment_align: 8
    .kernarg_segment_size: 40
    .language:       OpenCL C
    .language_version:
      - 2
      - 0
    .max_flat_workgroup_size: 128
    .name:           _ZN7rocprim17ROCPRIM_400000_NS6detail17trampoline_kernelINS0_14default_configENS1_38merge_sort_block_merge_config_selectorIslEEZZNS1_27merge_sort_block_merge_implIS3_PsN6thrust23THRUST_200600_302600_NS10device_ptrIlEEjNS1_19radix_merge_compareILb0ELb0EsNS0_19identity_decomposerEEEEE10hipError_tT0_T1_T2_jT3_P12ihipStream_tbPNSt15iterator_traitsISG_E10value_typeEPNSM_ISH_E10value_typeEPSI_NS1_7vsmem_tEENKUlT_SG_SH_SI_E_clIS7_S7_PlSB_EESF_SV_SG_SH_SI_EUlSV_E_NS1_11comp_targetILNS1_3genE9ELNS1_11target_archE1100ELNS1_3gpuE3ELNS1_3repE0EEENS1_48merge_mergepath_partition_config_static_selectorELNS0_4arch9wavefront6targetE1EEEvSH_
    .private_segment_fixed_size: 0
    .sgpr_count:     4
    .sgpr_spill_count: 0
    .symbol:         _ZN7rocprim17ROCPRIM_400000_NS6detail17trampoline_kernelINS0_14default_configENS1_38merge_sort_block_merge_config_selectorIslEEZZNS1_27merge_sort_block_merge_implIS3_PsN6thrust23THRUST_200600_302600_NS10device_ptrIlEEjNS1_19radix_merge_compareILb0ELb0EsNS0_19identity_decomposerEEEEE10hipError_tT0_T1_T2_jT3_P12ihipStream_tbPNSt15iterator_traitsISG_E10value_typeEPNSM_ISH_E10value_typeEPSI_NS1_7vsmem_tEENKUlT_SG_SH_SI_E_clIS7_S7_PlSB_EESF_SV_SG_SH_SI_EUlSV_E_NS1_11comp_targetILNS1_3genE9ELNS1_11target_archE1100ELNS1_3gpuE3ELNS1_3repE0EEENS1_48merge_mergepath_partition_config_static_selectorELNS0_4arch9wavefront6targetE1EEEvSH_.kd
    .uniform_work_group_size: 1
    .uses_dynamic_stack: false
    .vgpr_count:     0
    .vgpr_spill_count: 0
    .wavefront_size: 64
  - .agpr_count:     0
    .args:
      - .offset:         0
        .size:           40
        .value_kind:     by_value
    .group_segment_fixed_size: 0
    .kernarg_segment_align: 8
    .kernarg_segment_size: 40
    .language:       OpenCL C
    .language_version:
      - 2
      - 0
    .max_flat_workgroup_size: 128
    .name:           _ZN7rocprim17ROCPRIM_400000_NS6detail17trampoline_kernelINS0_14default_configENS1_38merge_sort_block_merge_config_selectorIslEEZZNS1_27merge_sort_block_merge_implIS3_PsN6thrust23THRUST_200600_302600_NS10device_ptrIlEEjNS1_19radix_merge_compareILb0ELb0EsNS0_19identity_decomposerEEEEE10hipError_tT0_T1_T2_jT3_P12ihipStream_tbPNSt15iterator_traitsISG_E10value_typeEPNSM_ISH_E10value_typeEPSI_NS1_7vsmem_tEENKUlT_SG_SH_SI_E_clIS7_S7_PlSB_EESF_SV_SG_SH_SI_EUlSV_E_NS1_11comp_targetILNS1_3genE8ELNS1_11target_archE1030ELNS1_3gpuE2ELNS1_3repE0EEENS1_48merge_mergepath_partition_config_static_selectorELNS0_4arch9wavefront6targetE1EEEvSH_
    .private_segment_fixed_size: 0
    .sgpr_count:     4
    .sgpr_spill_count: 0
    .symbol:         _ZN7rocprim17ROCPRIM_400000_NS6detail17trampoline_kernelINS0_14default_configENS1_38merge_sort_block_merge_config_selectorIslEEZZNS1_27merge_sort_block_merge_implIS3_PsN6thrust23THRUST_200600_302600_NS10device_ptrIlEEjNS1_19radix_merge_compareILb0ELb0EsNS0_19identity_decomposerEEEEE10hipError_tT0_T1_T2_jT3_P12ihipStream_tbPNSt15iterator_traitsISG_E10value_typeEPNSM_ISH_E10value_typeEPSI_NS1_7vsmem_tEENKUlT_SG_SH_SI_E_clIS7_S7_PlSB_EESF_SV_SG_SH_SI_EUlSV_E_NS1_11comp_targetILNS1_3genE8ELNS1_11target_archE1030ELNS1_3gpuE2ELNS1_3repE0EEENS1_48merge_mergepath_partition_config_static_selectorELNS0_4arch9wavefront6targetE1EEEvSH_.kd
    .uniform_work_group_size: 1
    .uses_dynamic_stack: false
    .vgpr_count:     0
    .vgpr_spill_count: 0
    .wavefront_size: 64
  - .agpr_count:     0
    .args:
      - .offset:         0
        .size:           64
        .value_kind:     by_value
    .group_segment_fixed_size: 0
    .kernarg_segment_align: 8
    .kernarg_segment_size: 64
    .language:       OpenCL C
    .language_version:
      - 2
      - 0
    .max_flat_workgroup_size: 256
    .name:           _ZN7rocprim17ROCPRIM_400000_NS6detail17trampoline_kernelINS0_14default_configENS1_38merge_sort_block_merge_config_selectorIslEEZZNS1_27merge_sort_block_merge_implIS3_PsN6thrust23THRUST_200600_302600_NS10device_ptrIlEEjNS1_19radix_merge_compareILb0ELb0EsNS0_19identity_decomposerEEEEE10hipError_tT0_T1_T2_jT3_P12ihipStream_tbPNSt15iterator_traitsISG_E10value_typeEPNSM_ISH_E10value_typeEPSI_NS1_7vsmem_tEENKUlT_SG_SH_SI_E_clIS7_S7_PlSB_EESF_SV_SG_SH_SI_EUlSV_E0_NS1_11comp_targetILNS1_3genE0ELNS1_11target_archE4294967295ELNS1_3gpuE0ELNS1_3repE0EEENS1_38merge_mergepath_config_static_selectorELNS0_4arch9wavefront6targetE1EEEvSH_
    .private_segment_fixed_size: 0
    .sgpr_count:     4
    .sgpr_spill_count: 0
    .symbol:         _ZN7rocprim17ROCPRIM_400000_NS6detail17trampoline_kernelINS0_14default_configENS1_38merge_sort_block_merge_config_selectorIslEEZZNS1_27merge_sort_block_merge_implIS3_PsN6thrust23THRUST_200600_302600_NS10device_ptrIlEEjNS1_19radix_merge_compareILb0ELb0EsNS0_19identity_decomposerEEEEE10hipError_tT0_T1_T2_jT3_P12ihipStream_tbPNSt15iterator_traitsISG_E10value_typeEPNSM_ISH_E10value_typeEPSI_NS1_7vsmem_tEENKUlT_SG_SH_SI_E_clIS7_S7_PlSB_EESF_SV_SG_SH_SI_EUlSV_E0_NS1_11comp_targetILNS1_3genE0ELNS1_11target_archE4294967295ELNS1_3gpuE0ELNS1_3repE0EEENS1_38merge_mergepath_config_static_selectorELNS0_4arch9wavefront6targetE1EEEvSH_.kd
    .uniform_work_group_size: 1
    .uses_dynamic_stack: false
    .vgpr_count:     0
    .vgpr_spill_count: 0
    .wavefront_size: 64
  - .agpr_count:     0
    .args:
      - .offset:         0
        .size:           64
        .value_kind:     by_value
    .group_segment_fixed_size: 0
    .kernarg_segment_align: 8
    .kernarg_segment_size: 64
    .language:       OpenCL C
    .language_version:
      - 2
      - 0
    .max_flat_workgroup_size: 512
    .name:           _ZN7rocprim17ROCPRIM_400000_NS6detail17trampoline_kernelINS0_14default_configENS1_38merge_sort_block_merge_config_selectorIslEEZZNS1_27merge_sort_block_merge_implIS3_PsN6thrust23THRUST_200600_302600_NS10device_ptrIlEEjNS1_19radix_merge_compareILb0ELb0EsNS0_19identity_decomposerEEEEE10hipError_tT0_T1_T2_jT3_P12ihipStream_tbPNSt15iterator_traitsISG_E10value_typeEPNSM_ISH_E10value_typeEPSI_NS1_7vsmem_tEENKUlT_SG_SH_SI_E_clIS7_S7_PlSB_EESF_SV_SG_SH_SI_EUlSV_E0_NS1_11comp_targetILNS1_3genE10ELNS1_11target_archE1201ELNS1_3gpuE5ELNS1_3repE0EEENS1_38merge_mergepath_config_static_selectorELNS0_4arch9wavefront6targetE1EEEvSH_
    .private_segment_fixed_size: 0
    .sgpr_count:     4
    .sgpr_spill_count: 0
    .symbol:         _ZN7rocprim17ROCPRIM_400000_NS6detail17trampoline_kernelINS0_14default_configENS1_38merge_sort_block_merge_config_selectorIslEEZZNS1_27merge_sort_block_merge_implIS3_PsN6thrust23THRUST_200600_302600_NS10device_ptrIlEEjNS1_19radix_merge_compareILb0ELb0EsNS0_19identity_decomposerEEEEE10hipError_tT0_T1_T2_jT3_P12ihipStream_tbPNSt15iterator_traitsISG_E10value_typeEPNSM_ISH_E10value_typeEPSI_NS1_7vsmem_tEENKUlT_SG_SH_SI_E_clIS7_S7_PlSB_EESF_SV_SG_SH_SI_EUlSV_E0_NS1_11comp_targetILNS1_3genE10ELNS1_11target_archE1201ELNS1_3gpuE5ELNS1_3repE0EEENS1_38merge_mergepath_config_static_selectorELNS0_4arch9wavefront6targetE1EEEvSH_.kd
    .uniform_work_group_size: 1
    .uses_dynamic_stack: false
    .vgpr_count:     0
    .vgpr_spill_count: 0
    .wavefront_size: 64
  - .agpr_count:     0
    .args:
      - .offset:         0
        .size:           64
        .value_kind:     by_value
    .group_segment_fixed_size: 0
    .kernarg_segment_align: 8
    .kernarg_segment_size: 64
    .language:       OpenCL C
    .language_version:
      - 2
      - 0
    .max_flat_workgroup_size: 256
    .name:           _ZN7rocprim17ROCPRIM_400000_NS6detail17trampoline_kernelINS0_14default_configENS1_38merge_sort_block_merge_config_selectorIslEEZZNS1_27merge_sort_block_merge_implIS3_PsN6thrust23THRUST_200600_302600_NS10device_ptrIlEEjNS1_19radix_merge_compareILb0ELb0EsNS0_19identity_decomposerEEEEE10hipError_tT0_T1_T2_jT3_P12ihipStream_tbPNSt15iterator_traitsISG_E10value_typeEPNSM_ISH_E10value_typeEPSI_NS1_7vsmem_tEENKUlT_SG_SH_SI_E_clIS7_S7_PlSB_EESF_SV_SG_SH_SI_EUlSV_E0_NS1_11comp_targetILNS1_3genE5ELNS1_11target_archE942ELNS1_3gpuE9ELNS1_3repE0EEENS1_38merge_mergepath_config_static_selectorELNS0_4arch9wavefront6targetE1EEEvSH_
    .private_segment_fixed_size: 0
    .sgpr_count:     4
    .sgpr_spill_count: 0
    .symbol:         _ZN7rocprim17ROCPRIM_400000_NS6detail17trampoline_kernelINS0_14default_configENS1_38merge_sort_block_merge_config_selectorIslEEZZNS1_27merge_sort_block_merge_implIS3_PsN6thrust23THRUST_200600_302600_NS10device_ptrIlEEjNS1_19radix_merge_compareILb0ELb0EsNS0_19identity_decomposerEEEEE10hipError_tT0_T1_T2_jT3_P12ihipStream_tbPNSt15iterator_traitsISG_E10value_typeEPNSM_ISH_E10value_typeEPSI_NS1_7vsmem_tEENKUlT_SG_SH_SI_E_clIS7_S7_PlSB_EESF_SV_SG_SH_SI_EUlSV_E0_NS1_11comp_targetILNS1_3genE5ELNS1_11target_archE942ELNS1_3gpuE9ELNS1_3repE0EEENS1_38merge_mergepath_config_static_selectorELNS0_4arch9wavefront6targetE1EEEvSH_.kd
    .uniform_work_group_size: 1
    .uses_dynamic_stack: false
    .vgpr_count:     0
    .vgpr_spill_count: 0
    .wavefront_size: 64
  - .agpr_count:     0
    .args:
      - .offset:         0
        .size:           64
        .value_kind:     by_value
      - .offset:         64
        .size:           4
        .value_kind:     hidden_block_count_x
      - .offset:         68
        .size:           4
        .value_kind:     hidden_block_count_y
      - .offset:         72
        .size:           4
        .value_kind:     hidden_block_count_z
      - .offset:         76
        .size:           2
        .value_kind:     hidden_group_size_x
      - .offset:         78
        .size:           2
        .value_kind:     hidden_group_size_y
      - .offset:         80
        .size:           2
        .value_kind:     hidden_group_size_z
      - .offset:         82
        .size:           2
        .value_kind:     hidden_remainder_x
      - .offset:         84
        .size:           2
        .value_kind:     hidden_remainder_y
      - .offset:         86
        .size:           2
        .value_kind:     hidden_remainder_z
      - .offset:         104
        .size:           8
        .value_kind:     hidden_global_offset_x
      - .offset:         112
        .size:           8
        .value_kind:     hidden_global_offset_y
      - .offset:         120
        .size:           8
        .value_kind:     hidden_global_offset_z
      - .offset:         128
        .size:           2
        .value_kind:     hidden_grid_dims
    .group_segment_fixed_size: 8448
    .kernarg_segment_align: 8
    .kernarg_segment_size: 320
    .language:       OpenCL C
    .language_version:
      - 2
      - 0
    .max_flat_workgroup_size: 256
    .name:           _ZN7rocprim17ROCPRIM_400000_NS6detail17trampoline_kernelINS0_14default_configENS1_38merge_sort_block_merge_config_selectorIslEEZZNS1_27merge_sort_block_merge_implIS3_PsN6thrust23THRUST_200600_302600_NS10device_ptrIlEEjNS1_19radix_merge_compareILb0ELb0EsNS0_19identity_decomposerEEEEE10hipError_tT0_T1_T2_jT3_P12ihipStream_tbPNSt15iterator_traitsISG_E10value_typeEPNSM_ISH_E10value_typeEPSI_NS1_7vsmem_tEENKUlT_SG_SH_SI_E_clIS7_S7_PlSB_EESF_SV_SG_SH_SI_EUlSV_E0_NS1_11comp_targetILNS1_3genE4ELNS1_11target_archE910ELNS1_3gpuE8ELNS1_3repE0EEENS1_38merge_mergepath_config_static_selectorELNS0_4arch9wavefront6targetE1EEEvSH_
    .private_segment_fixed_size: 0
    .sgpr_count:     34
    .sgpr_spill_count: 0
    .symbol:         _ZN7rocprim17ROCPRIM_400000_NS6detail17trampoline_kernelINS0_14default_configENS1_38merge_sort_block_merge_config_selectorIslEEZZNS1_27merge_sort_block_merge_implIS3_PsN6thrust23THRUST_200600_302600_NS10device_ptrIlEEjNS1_19radix_merge_compareILb0ELb0EsNS0_19identity_decomposerEEEEE10hipError_tT0_T1_T2_jT3_P12ihipStream_tbPNSt15iterator_traitsISG_E10value_typeEPNSM_ISH_E10value_typeEPSI_NS1_7vsmem_tEENKUlT_SG_SH_SI_E_clIS7_S7_PlSB_EESF_SV_SG_SH_SI_EUlSV_E0_NS1_11comp_targetILNS1_3genE4ELNS1_11target_archE910ELNS1_3gpuE8ELNS1_3repE0EEENS1_38merge_mergepath_config_static_selectorELNS0_4arch9wavefront6targetE1EEEvSH_.kd
    .uniform_work_group_size: 1
    .uses_dynamic_stack: false
    .vgpr_count:     36
    .vgpr_spill_count: 0
    .wavefront_size: 64
  - .agpr_count:     0
    .args:
      - .offset:         0
        .size:           64
        .value_kind:     by_value
    .group_segment_fixed_size: 0
    .kernarg_segment_align: 8
    .kernarg_segment_size: 64
    .language:       OpenCL C
    .language_version:
      - 2
      - 0
    .max_flat_workgroup_size: 256
    .name:           _ZN7rocprim17ROCPRIM_400000_NS6detail17trampoline_kernelINS0_14default_configENS1_38merge_sort_block_merge_config_selectorIslEEZZNS1_27merge_sort_block_merge_implIS3_PsN6thrust23THRUST_200600_302600_NS10device_ptrIlEEjNS1_19radix_merge_compareILb0ELb0EsNS0_19identity_decomposerEEEEE10hipError_tT0_T1_T2_jT3_P12ihipStream_tbPNSt15iterator_traitsISG_E10value_typeEPNSM_ISH_E10value_typeEPSI_NS1_7vsmem_tEENKUlT_SG_SH_SI_E_clIS7_S7_PlSB_EESF_SV_SG_SH_SI_EUlSV_E0_NS1_11comp_targetILNS1_3genE3ELNS1_11target_archE908ELNS1_3gpuE7ELNS1_3repE0EEENS1_38merge_mergepath_config_static_selectorELNS0_4arch9wavefront6targetE1EEEvSH_
    .private_segment_fixed_size: 0
    .sgpr_count:     4
    .sgpr_spill_count: 0
    .symbol:         _ZN7rocprim17ROCPRIM_400000_NS6detail17trampoline_kernelINS0_14default_configENS1_38merge_sort_block_merge_config_selectorIslEEZZNS1_27merge_sort_block_merge_implIS3_PsN6thrust23THRUST_200600_302600_NS10device_ptrIlEEjNS1_19radix_merge_compareILb0ELb0EsNS0_19identity_decomposerEEEEE10hipError_tT0_T1_T2_jT3_P12ihipStream_tbPNSt15iterator_traitsISG_E10value_typeEPNSM_ISH_E10value_typeEPSI_NS1_7vsmem_tEENKUlT_SG_SH_SI_E_clIS7_S7_PlSB_EESF_SV_SG_SH_SI_EUlSV_E0_NS1_11comp_targetILNS1_3genE3ELNS1_11target_archE908ELNS1_3gpuE7ELNS1_3repE0EEENS1_38merge_mergepath_config_static_selectorELNS0_4arch9wavefront6targetE1EEEvSH_.kd
    .uniform_work_group_size: 1
    .uses_dynamic_stack: false
    .vgpr_count:     0
    .vgpr_spill_count: 0
    .wavefront_size: 64
  - .agpr_count:     0
    .args:
      - .offset:         0
        .size:           64
        .value_kind:     by_value
    .group_segment_fixed_size: 0
    .kernarg_segment_align: 8
    .kernarg_segment_size: 64
    .language:       OpenCL C
    .language_version:
      - 2
      - 0
    .max_flat_workgroup_size: 256
    .name:           _ZN7rocprim17ROCPRIM_400000_NS6detail17trampoline_kernelINS0_14default_configENS1_38merge_sort_block_merge_config_selectorIslEEZZNS1_27merge_sort_block_merge_implIS3_PsN6thrust23THRUST_200600_302600_NS10device_ptrIlEEjNS1_19radix_merge_compareILb0ELb0EsNS0_19identity_decomposerEEEEE10hipError_tT0_T1_T2_jT3_P12ihipStream_tbPNSt15iterator_traitsISG_E10value_typeEPNSM_ISH_E10value_typeEPSI_NS1_7vsmem_tEENKUlT_SG_SH_SI_E_clIS7_S7_PlSB_EESF_SV_SG_SH_SI_EUlSV_E0_NS1_11comp_targetILNS1_3genE2ELNS1_11target_archE906ELNS1_3gpuE6ELNS1_3repE0EEENS1_38merge_mergepath_config_static_selectorELNS0_4arch9wavefront6targetE1EEEvSH_
    .private_segment_fixed_size: 0
    .sgpr_count:     4
    .sgpr_spill_count: 0
    .symbol:         _ZN7rocprim17ROCPRIM_400000_NS6detail17trampoline_kernelINS0_14default_configENS1_38merge_sort_block_merge_config_selectorIslEEZZNS1_27merge_sort_block_merge_implIS3_PsN6thrust23THRUST_200600_302600_NS10device_ptrIlEEjNS1_19radix_merge_compareILb0ELb0EsNS0_19identity_decomposerEEEEE10hipError_tT0_T1_T2_jT3_P12ihipStream_tbPNSt15iterator_traitsISG_E10value_typeEPNSM_ISH_E10value_typeEPSI_NS1_7vsmem_tEENKUlT_SG_SH_SI_E_clIS7_S7_PlSB_EESF_SV_SG_SH_SI_EUlSV_E0_NS1_11comp_targetILNS1_3genE2ELNS1_11target_archE906ELNS1_3gpuE6ELNS1_3repE0EEENS1_38merge_mergepath_config_static_selectorELNS0_4arch9wavefront6targetE1EEEvSH_.kd
    .uniform_work_group_size: 1
    .uses_dynamic_stack: false
    .vgpr_count:     0
    .vgpr_spill_count: 0
    .wavefront_size: 64
  - .agpr_count:     0
    .args:
      - .offset:         0
        .size:           64
        .value_kind:     by_value
    .group_segment_fixed_size: 0
    .kernarg_segment_align: 8
    .kernarg_segment_size: 64
    .language:       OpenCL C
    .language_version:
      - 2
      - 0
    .max_flat_workgroup_size: 256
    .name:           _ZN7rocprim17ROCPRIM_400000_NS6detail17trampoline_kernelINS0_14default_configENS1_38merge_sort_block_merge_config_selectorIslEEZZNS1_27merge_sort_block_merge_implIS3_PsN6thrust23THRUST_200600_302600_NS10device_ptrIlEEjNS1_19radix_merge_compareILb0ELb0EsNS0_19identity_decomposerEEEEE10hipError_tT0_T1_T2_jT3_P12ihipStream_tbPNSt15iterator_traitsISG_E10value_typeEPNSM_ISH_E10value_typeEPSI_NS1_7vsmem_tEENKUlT_SG_SH_SI_E_clIS7_S7_PlSB_EESF_SV_SG_SH_SI_EUlSV_E0_NS1_11comp_targetILNS1_3genE9ELNS1_11target_archE1100ELNS1_3gpuE3ELNS1_3repE0EEENS1_38merge_mergepath_config_static_selectorELNS0_4arch9wavefront6targetE1EEEvSH_
    .private_segment_fixed_size: 0
    .sgpr_count:     4
    .sgpr_spill_count: 0
    .symbol:         _ZN7rocprim17ROCPRIM_400000_NS6detail17trampoline_kernelINS0_14default_configENS1_38merge_sort_block_merge_config_selectorIslEEZZNS1_27merge_sort_block_merge_implIS3_PsN6thrust23THRUST_200600_302600_NS10device_ptrIlEEjNS1_19radix_merge_compareILb0ELb0EsNS0_19identity_decomposerEEEEE10hipError_tT0_T1_T2_jT3_P12ihipStream_tbPNSt15iterator_traitsISG_E10value_typeEPNSM_ISH_E10value_typeEPSI_NS1_7vsmem_tEENKUlT_SG_SH_SI_E_clIS7_S7_PlSB_EESF_SV_SG_SH_SI_EUlSV_E0_NS1_11comp_targetILNS1_3genE9ELNS1_11target_archE1100ELNS1_3gpuE3ELNS1_3repE0EEENS1_38merge_mergepath_config_static_selectorELNS0_4arch9wavefront6targetE1EEEvSH_.kd
    .uniform_work_group_size: 1
    .uses_dynamic_stack: false
    .vgpr_count:     0
    .vgpr_spill_count: 0
    .wavefront_size: 64
  - .agpr_count:     0
    .args:
      - .offset:         0
        .size:           64
        .value_kind:     by_value
    .group_segment_fixed_size: 0
    .kernarg_segment_align: 8
    .kernarg_segment_size: 64
    .language:       OpenCL C
    .language_version:
      - 2
      - 0
    .max_flat_workgroup_size: 512
    .name:           _ZN7rocprim17ROCPRIM_400000_NS6detail17trampoline_kernelINS0_14default_configENS1_38merge_sort_block_merge_config_selectorIslEEZZNS1_27merge_sort_block_merge_implIS3_PsN6thrust23THRUST_200600_302600_NS10device_ptrIlEEjNS1_19radix_merge_compareILb0ELb0EsNS0_19identity_decomposerEEEEE10hipError_tT0_T1_T2_jT3_P12ihipStream_tbPNSt15iterator_traitsISG_E10value_typeEPNSM_ISH_E10value_typeEPSI_NS1_7vsmem_tEENKUlT_SG_SH_SI_E_clIS7_S7_PlSB_EESF_SV_SG_SH_SI_EUlSV_E0_NS1_11comp_targetILNS1_3genE8ELNS1_11target_archE1030ELNS1_3gpuE2ELNS1_3repE0EEENS1_38merge_mergepath_config_static_selectorELNS0_4arch9wavefront6targetE1EEEvSH_
    .private_segment_fixed_size: 0
    .sgpr_count:     4
    .sgpr_spill_count: 0
    .symbol:         _ZN7rocprim17ROCPRIM_400000_NS6detail17trampoline_kernelINS0_14default_configENS1_38merge_sort_block_merge_config_selectorIslEEZZNS1_27merge_sort_block_merge_implIS3_PsN6thrust23THRUST_200600_302600_NS10device_ptrIlEEjNS1_19radix_merge_compareILb0ELb0EsNS0_19identity_decomposerEEEEE10hipError_tT0_T1_T2_jT3_P12ihipStream_tbPNSt15iterator_traitsISG_E10value_typeEPNSM_ISH_E10value_typeEPSI_NS1_7vsmem_tEENKUlT_SG_SH_SI_E_clIS7_S7_PlSB_EESF_SV_SG_SH_SI_EUlSV_E0_NS1_11comp_targetILNS1_3genE8ELNS1_11target_archE1030ELNS1_3gpuE2ELNS1_3repE0EEENS1_38merge_mergepath_config_static_selectorELNS0_4arch9wavefront6targetE1EEEvSH_.kd
    .uniform_work_group_size: 1
    .uses_dynamic_stack: false
    .vgpr_count:     0
    .vgpr_spill_count: 0
    .wavefront_size: 64
  - .agpr_count:     0
    .args:
      - .offset:         0
        .size:           48
        .value_kind:     by_value
    .group_segment_fixed_size: 0
    .kernarg_segment_align: 8
    .kernarg_segment_size: 48
    .language:       OpenCL C
    .language_version:
      - 2
      - 0
    .max_flat_workgroup_size: 256
    .name:           _ZN7rocprim17ROCPRIM_400000_NS6detail17trampoline_kernelINS0_14default_configENS1_38merge_sort_block_merge_config_selectorIslEEZZNS1_27merge_sort_block_merge_implIS3_PsN6thrust23THRUST_200600_302600_NS10device_ptrIlEEjNS1_19radix_merge_compareILb0ELb0EsNS0_19identity_decomposerEEEEE10hipError_tT0_T1_T2_jT3_P12ihipStream_tbPNSt15iterator_traitsISG_E10value_typeEPNSM_ISH_E10value_typeEPSI_NS1_7vsmem_tEENKUlT_SG_SH_SI_E_clIS7_S7_PlSB_EESF_SV_SG_SH_SI_EUlSV_E1_NS1_11comp_targetILNS1_3genE0ELNS1_11target_archE4294967295ELNS1_3gpuE0ELNS1_3repE0EEENS1_36merge_oddeven_config_static_selectorELNS0_4arch9wavefront6targetE1EEEvSH_
    .private_segment_fixed_size: 0
    .sgpr_count:     4
    .sgpr_spill_count: 0
    .symbol:         _ZN7rocprim17ROCPRIM_400000_NS6detail17trampoline_kernelINS0_14default_configENS1_38merge_sort_block_merge_config_selectorIslEEZZNS1_27merge_sort_block_merge_implIS3_PsN6thrust23THRUST_200600_302600_NS10device_ptrIlEEjNS1_19radix_merge_compareILb0ELb0EsNS0_19identity_decomposerEEEEE10hipError_tT0_T1_T2_jT3_P12ihipStream_tbPNSt15iterator_traitsISG_E10value_typeEPNSM_ISH_E10value_typeEPSI_NS1_7vsmem_tEENKUlT_SG_SH_SI_E_clIS7_S7_PlSB_EESF_SV_SG_SH_SI_EUlSV_E1_NS1_11comp_targetILNS1_3genE0ELNS1_11target_archE4294967295ELNS1_3gpuE0ELNS1_3repE0EEENS1_36merge_oddeven_config_static_selectorELNS0_4arch9wavefront6targetE1EEEvSH_.kd
    .uniform_work_group_size: 1
    .uses_dynamic_stack: false
    .vgpr_count:     0
    .vgpr_spill_count: 0
    .wavefront_size: 64
  - .agpr_count:     0
    .args:
      - .offset:         0
        .size:           48
        .value_kind:     by_value
    .group_segment_fixed_size: 0
    .kernarg_segment_align: 8
    .kernarg_segment_size: 48
    .language:       OpenCL C
    .language_version:
      - 2
      - 0
    .max_flat_workgroup_size: 256
    .name:           _ZN7rocprim17ROCPRIM_400000_NS6detail17trampoline_kernelINS0_14default_configENS1_38merge_sort_block_merge_config_selectorIslEEZZNS1_27merge_sort_block_merge_implIS3_PsN6thrust23THRUST_200600_302600_NS10device_ptrIlEEjNS1_19radix_merge_compareILb0ELb0EsNS0_19identity_decomposerEEEEE10hipError_tT0_T1_T2_jT3_P12ihipStream_tbPNSt15iterator_traitsISG_E10value_typeEPNSM_ISH_E10value_typeEPSI_NS1_7vsmem_tEENKUlT_SG_SH_SI_E_clIS7_S7_PlSB_EESF_SV_SG_SH_SI_EUlSV_E1_NS1_11comp_targetILNS1_3genE10ELNS1_11target_archE1201ELNS1_3gpuE5ELNS1_3repE0EEENS1_36merge_oddeven_config_static_selectorELNS0_4arch9wavefront6targetE1EEEvSH_
    .private_segment_fixed_size: 0
    .sgpr_count:     4
    .sgpr_spill_count: 0
    .symbol:         _ZN7rocprim17ROCPRIM_400000_NS6detail17trampoline_kernelINS0_14default_configENS1_38merge_sort_block_merge_config_selectorIslEEZZNS1_27merge_sort_block_merge_implIS3_PsN6thrust23THRUST_200600_302600_NS10device_ptrIlEEjNS1_19radix_merge_compareILb0ELb0EsNS0_19identity_decomposerEEEEE10hipError_tT0_T1_T2_jT3_P12ihipStream_tbPNSt15iterator_traitsISG_E10value_typeEPNSM_ISH_E10value_typeEPSI_NS1_7vsmem_tEENKUlT_SG_SH_SI_E_clIS7_S7_PlSB_EESF_SV_SG_SH_SI_EUlSV_E1_NS1_11comp_targetILNS1_3genE10ELNS1_11target_archE1201ELNS1_3gpuE5ELNS1_3repE0EEENS1_36merge_oddeven_config_static_selectorELNS0_4arch9wavefront6targetE1EEEvSH_.kd
    .uniform_work_group_size: 1
    .uses_dynamic_stack: false
    .vgpr_count:     0
    .vgpr_spill_count: 0
    .wavefront_size: 64
  - .agpr_count:     0
    .args:
      - .offset:         0
        .size:           48
        .value_kind:     by_value
    .group_segment_fixed_size: 0
    .kernarg_segment_align: 8
    .kernarg_segment_size: 48
    .language:       OpenCL C
    .language_version:
      - 2
      - 0
    .max_flat_workgroup_size: 256
    .name:           _ZN7rocprim17ROCPRIM_400000_NS6detail17trampoline_kernelINS0_14default_configENS1_38merge_sort_block_merge_config_selectorIslEEZZNS1_27merge_sort_block_merge_implIS3_PsN6thrust23THRUST_200600_302600_NS10device_ptrIlEEjNS1_19radix_merge_compareILb0ELb0EsNS0_19identity_decomposerEEEEE10hipError_tT0_T1_T2_jT3_P12ihipStream_tbPNSt15iterator_traitsISG_E10value_typeEPNSM_ISH_E10value_typeEPSI_NS1_7vsmem_tEENKUlT_SG_SH_SI_E_clIS7_S7_PlSB_EESF_SV_SG_SH_SI_EUlSV_E1_NS1_11comp_targetILNS1_3genE5ELNS1_11target_archE942ELNS1_3gpuE9ELNS1_3repE0EEENS1_36merge_oddeven_config_static_selectorELNS0_4arch9wavefront6targetE1EEEvSH_
    .private_segment_fixed_size: 0
    .sgpr_count:     4
    .sgpr_spill_count: 0
    .symbol:         _ZN7rocprim17ROCPRIM_400000_NS6detail17trampoline_kernelINS0_14default_configENS1_38merge_sort_block_merge_config_selectorIslEEZZNS1_27merge_sort_block_merge_implIS3_PsN6thrust23THRUST_200600_302600_NS10device_ptrIlEEjNS1_19radix_merge_compareILb0ELb0EsNS0_19identity_decomposerEEEEE10hipError_tT0_T1_T2_jT3_P12ihipStream_tbPNSt15iterator_traitsISG_E10value_typeEPNSM_ISH_E10value_typeEPSI_NS1_7vsmem_tEENKUlT_SG_SH_SI_E_clIS7_S7_PlSB_EESF_SV_SG_SH_SI_EUlSV_E1_NS1_11comp_targetILNS1_3genE5ELNS1_11target_archE942ELNS1_3gpuE9ELNS1_3repE0EEENS1_36merge_oddeven_config_static_selectorELNS0_4arch9wavefront6targetE1EEEvSH_.kd
    .uniform_work_group_size: 1
    .uses_dynamic_stack: false
    .vgpr_count:     0
    .vgpr_spill_count: 0
    .wavefront_size: 64
  - .agpr_count:     0
    .args:
      - .offset:         0
        .size:           48
        .value_kind:     by_value
    .group_segment_fixed_size: 0
    .kernarg_segment_align: 8
    .kernarg_segment_size: 48
    .language:       OpenCL C
    .language_version:
      - 2
      - 0
    .max_flat_workgroup_size: 256
    .name:           _ZN7rocprim17ROCPRIM_400000_NS6detail17trampoline_kernelINS0_14default_configENS1_38merge_sort_block_merge_config_selectorIslEEZZNS1_27merge_sort_block_merge_implIS3_PsN6thrust23THRUST_200600_302600_NS10device_ptrIlEEjNS1_19radix_merge_compareILb0ELb0EsNS0_19identity_decomposerEEEEE10hipError_tT0_T1_T2_jT3_P12ihipStream_tbPNSt15iterator_traitsISG_E10value_typeEPNSM_ISH_E10value_typeEPSI_NS1_7vsmem_tEENKUlT_SG_SH_SI_E_clIS7_S7_PlSB_EESF_SV_SG_SH_SI_EUlSV_E1_NS1_11comp_targetILNS1_3genE4ELNS1_11target_archE910ELNS1_3gpuE8ELNS1_3repE0EEENS1_36merge_oddeven_config_static_selectorELNS0_4arch9wavefront6targetE1EEEvSH_
    .private_segment_fixed_size: 0
    .sgpr_count:     28
    .sgpr_spill_count: 0
    .symbol:         _ZN7rocprim17ROCPRIM_400000_NS6detail17trampoline_kernelINS0_14default_configENS1_38merge_sort_block_merge_config_selectorIslEEZZNS1_27merge_sort_block_merge_implIS3_PsN6thrust23THRUST_200600_302600_NS10device_ptrIlEEjNS1_19radix_merge_compareILb0ELb0EsNS0_19identity_decomposerEEEEE10hipError_tT0_T1_T2_jT3_P12ihipStream_tbPNSt15iterator_traitsISG_E10value_typeEPNSM_ISH_E10value_typeEPSI_NS1_7vsmem_tEENKUlT_SG_SH_SI_E_clIS7_S7_PlSB_EESF_SV_SG_SH_SI_EUlSV_E1_NS1_11comp_targetILNS1_3genE4ELNS1_11target_archE910ELNS1_3gpuE8ELNS1_3repE0EEENS1_36merge_oddeven_config_static_selectorELNS0_4arch9wavefront6targetE1EEEvSH_.kd
    .uniform_work_group_size: 1
    .uses_dynamic_stack: false
    .vgpr_count:     10
    .vgpr_spill_count: 0
    .wavefront_size: 64
  - .agpr_count:     0
    .args:
      - .offset:         0
        .size:           48
        .value_kind:     by_value
    .group_segment_fixed_size: 0
    .kernarg_segment_align: 8
    .kernarg_segment_size: 48
    .language:       OpenCL C
    .language_version:
      - 2
      - 0
    .max_flat_workgroup_size: 256
    .name:           _ZN7rocprim17ROCPRIM_400000_NS6detail17trampoline_kernelINS0_14default_configENS1_38merge_sort_block_merge_config_selectorIslEEZZNS1_27merge_sort_block_merge_implIS3_PsN6thrust23THRUST_200600_302600_NS10device_ptrIlEEjNS1_19radix_merge_compareILb0ELb0EsNS0_19identity_decomposerEEEEE10hipError_tT0_T1_T2_jT3_P12ihipStream_tbPNSt15iterator_traitsISG_E10value_typeEPNSM_ISH_E10value_typeEPSI_NS1_7vsmem_tEENKUlT_SG_SH_SI_E_clIS7_S7_PlSB_EESF_SV_SG_SH_SI_EUlSV_E1_NS1_11comp_targetILNS1_3genE3ELNS1_11target_archE908ELNS1_3gpuE7ELNS1_3repE0EEENS1_36merge_oddeven_config_static_selectorELNS0_4arch9wavefront6targetE1EEEvSH_
    .private_segment_fixed_size: 0
    .sgpr_count:     4
    .sgpr_spill_count: 0
    .symbol:         _ZN7rocprim17ROCPRIM_400000_NS6detail17trampoline_kernelINS0_14default_configENS1_38merge_sort_block_merge_config_selectorIslEEZZNS1_27merge_sort_block_merge_implIS3_PsN6thrust23THRUST_200600_302600_NS10device_ptrIlEEjNS1_19radix_merge_compareILb0ELb0EsNS0_19identity_decomposerEEEEE10hipError_tT0_T1_T2_jT3_P12ihipStream_tbPNSt15iterator_traitsISG_E10value_typeEPNSM_ISH_E10value_typeEPSI_NS1_7vsmem_tEENKUlT_SG_SH_SI_E_clIS7_S7_PlSB_EESF_SV_SG_SH_SI_EUlSV_E1_NS1_11comp_targetILNS1_3genE3ELNS1_11target_archE908ELNS1_3gpuE7ELNS1_3repE0EEENS1_36merge_oddeven_config_static_selectorELNS0_4arch9wavefront6targetE1EEEvSH_.kd
    .uniform_work_group_size: 1
    .uses_dynamic_stack: false
    .vgpr_count:     0
    .vgpr_spill_count: 0
    .wavefront_size: 64
  - .agpr_count:     0
    .args:
      - .offset:         0
        .size:           48
        .value_kind:     by_value
    .group_segment_fixed_size: 0
    .kernarg_segment_align: 8
    .kernarg_segment_size: 48
    .language:       OpenCL C
    .language_version:
      - 2
      - 0
    .max_flat_workgroup_size: 256
    .name:           _ZN7rocprim17ROCPRIM_400000_NS6detail17trampoline_kernelINS0_14default_configENS1_38merge_sort_block_merge_config_selectorIslEEZZNS1_27merge_sort_block_merge_implIS3_PsN6thrust23THRUST_200600_302600_NS10device_ptrIlEEjNS1_19radix_merge_compareILb0ELb0EsNS0_19identity_decomposerEEEEE10hipError_tT0_T1_T2_jT3_P12ihipStream_tbPNSt15iterator_traitsISG_E10value_typeEPNSM_ISH_E10value_typeEPSI_NS1_7vsmem_tEENKUlT_SG_SH_SI_E_clIS7_S7_PlSB_EESF_SV_SG_SH_SI_EUlSV_E1_NS1_11comp_targetILNS1_3genE2ELNS1_11target_archE906ELNS1_3gpuE6ELNS1_3repE0EEENS1_36merge_oddeven_config_static_selectorELNS0_4arch9wavefront6targetE1EEEvSH_
    .private_segment_fixed_size: 0
    .sgpr_count:     4
    .sgpr_spill_count: 0
    .symbol:         _ZN7rocprim17ROCPRIM_400000_NS6detail17trampoline_kernelINS0_14default_configENS1_38merge_sort_block_merge_config_selectorIslEEZZNS1_27merge_sort_block_merge_implIS3_PsN6thrust23THRUST_200600_302600_NS10device_ptrIlEEjNS1_19radix_merge_compareILb0ELb0EsNS0_19identity_decomposerEEEEE10hipError_tT0_T1_T2_jT3_P12ihipStream_tbPNSt15iterator_traitsISG_E10value_typeEPNSM_ISH_E10value_typeEPSI_NS1_7vsmem_tEENKUlT_SG_SH_SI_E_clIS7_S7_PlSB_EESF_SV_SG_SH_SI_EUlSV_E1_NS1_11comp_targetILNS1_3genE2ELNS1_11target_archE906ELNS1_3gpuE6ELNS1_3repE0EEENS1_36merge_oddeven_config_static_selectorELNS0_4arch9wavefront6targetE1EEEvSH_.kd
    .uniform_work_group_size: 1
    .uses_dynamic_stack: false
    .vgpr_count:     0
    .vgpr_spill_count: 0
    .wavefront_size: 64
  - .agpr_count:     0
    .args:
      - .offset:         0
        .size:           48
        .value_kind:     by_value
    .group_segment_fixed_size: 0
    .kernarg_segment_align: 8
    .kernarg_segment_size: 48
    .language:       OpenCL C
    .language_version:
      - 2
      - 0
    .max_flat_workgroup_size: 256
    .name:           _ZN7rocprim17ROCPRIM_400000_NS6detail17trampoline_kernelINS0_14default_configENS1_38merge_sort_block_merge_config_selectorIslEEZZNS1_27merge_sort_block_merge_implIS3_PsN6thrust23THRUST_200600_302600_NS10device_ptrIlEEjNS1_19radix_merge_compareILb0ELb0EsNS0_19identity_decomposerEEEEE10hipError_tT0_T1_T2_jT3_P12ihipStream_tbPNSt15iterator_traitsISG_E10value_typeEPNSM_ISH_E10value_typeEPSI_NS1_7vsmem_tEENKUlT_SG_SH_SI_E_clIS7_S7_PlSB_EESF_SV_SG_SH_SI_EUlSV_E1_NS1_11comp_targetILNS1_3genE9ELNS1_11target_archE1100ELNS1_3gpuE3ELNS1_3repE0EEENS1_36merge_oddeven_config_static_selectorELNS0_4arch9wavefront6targetE1EEEvSH_
    .private_segment_fixed_size: 0
    .sgpr_count:     4
    .sgpr_spill_count: 0
    .symbol:         _ZN7rocprim17ROCPRIM_400000_NS6detail17trampoline_kernelINS0_14default_configENS1_38merge_sort_block_merge_config_selectorIslEEZZNS1_27merge_sort_block_merge_implIS3_PsN6thrust23THRUST_200600_302600_NS10device_ptrIlEEjNS1_19radix_merge_compareILb0ELb0EsNS0_19identity_decomposerEEEEE10hipError_tT0_T1_T2_jT3_P12ihipStream_tbPNSt15iterator_traitsISG_E10value_typeEPNSM_ISH_E10value_typeEPSI_NS1_7vsmem_tEENKUlT_SG_SH_SI_E_clIS7_S7_PlSB_EESF_SV_SG_SH_SI_EUlSV_E1_NS1_11comp_targetILNS1_3genE9ELNS1_11target_archE1100ELNS1_3gpuE3ELNS1_3repE0EEENS1_36merge_oddeven_config_static_selectorELNS0_4arch9wavefront6targetE1EEEvSH_.kd
    .uniform_work_group_size: 1
    .uses_dynamic_stack: false
    .vgpr_count:     0
    .vgpr_spill_count: 0
    .wavefront_size: 64
  - .agpr_count:     0
    .args:
      - .offset:         0
        .size:           48
        .value_kind:     by_value
    .group_segment_fixed_size: 0
    .kernarg_segment_align: 8
    .kernarg_segment_size: 48
    .language:       OpenCL C
    .language_version:
      - 2
      - 0
    .max_flat_workgroup_size: 256
    .name:           _ZN7rocprim17ROCPRIM_400000_NS6detail17trampoline_kernelINS0_14default_configENS1_38merge_sort_block_merge_config_selectorIslEEZZNS1_27merge_sort_block_merge_implIS3_PsN6thrust23THRUST_200600_302600_NS10device_ptrIlEEjNS1_19radix_merge_compareILb0ELb0EsNS0_19identity_decomposerEEEEE10hipError_tT0_T1_T2_jT3_P12ihipStream_tbPNSt15iterator_traitsISG_E10value_typeEPNSM_ISH_E10value_typeEPSI_NS1_7vsmem_tEENKUlT_SG_SH_SI_E_clIS7_S7_PlSB_EESF_SV_SG_SH_SI_EUlSV_E1_NS1_11comp_targetILNS1_3genE8ELNS1_11target_archE1030ELNS1_3gpuE2ELNS1_3repE0EEENS1_36merge_oddeven_config_static_selectorELNS0_4arch9wavefront6targetE1EEEvSH_
    .private_segment_fixed_size: 0
    .sgpr_count:     4
    .sgpr_spill_count: 0
    .symbol:         _ZN7rocprim17ROCPRIM_400000_NS6detail17trampoline_kernelINS0_14default_configENS1_38merge_sort_block_merge_config_selectorIslEEZZNS1_27merge_sort_block_merge_implIS3_PsN6thrust23THRUST_200600_302600_NS10device_ptrIlEEjNS1_19radix_merge_compareILb0ELb0EsNS0_19identity_decomposerEEEEE10hipError_tT0_T1_T2_jT3_P12ihipStream_tbPNSt15iterator_traitsISG_E10value_typeEPNSM_ISH_E10value_typeEPSI_NS1_7vsmem_tEENKUlT_SG_SH_SI_E_clIS7_S7_PlSB_EESF_SV_SG_SH_SI_EUlSV_E1_NS1_11comp_targetILNS1_3genE8ELNS1_11target_archE1030ELNS1_3gpuE2ELNS1_3repE0EEENS1_36merge_oddeven_config_static_selectorELNS0_4arch9wavefront6targetE1EEEvSH_.kd
    .uniform_work_group_size: 1
    .uses_dynamic_stack: false
    .vgpr_count:     0
    .vgpr_spill_count: 0
    .wavefront_size: 64
  - .agpr_count:     0
    .args:
      - .offset:         0
        .size:           40
        .value_kind:     by_value
    .group_segment_fixed_size: 0
    .kernarg_segment_align: 8
    .kernarg_segment_size: 40
    .language:       OpenCL C
    .language_version:
      - 2
      - 0
    .max_flat_workgroup_size: 128
    .name:           _ZN7rocprim17ROCPRIM_400000_NS6detail17trampoline_kernelINS0_14default_configENS1_38merge_sort_block_merge_config_selectorIslEEZZNS1_27merge_sort_block_merge_implIS3_PsN6thrust23THRUST_200600_302600_NS10device_ptrIlEEjNS1_19radix_merge_compareILb0ELb0EsNS0_19identity_decomposerEEEEE10hipError_tT0_T1_T2_jT3_P12ihipStream_tbPNSt15iterator_traitsISG_E10value_typeEPNSM_ISH_E10value_typeEPSI_NS1_7vsmem_tEENKUlT_SG_SH_SI_E_clIS7_S7_SB_PlEESF_SV_SG_SH_SI_EUlSV_E_NS1_11comp_targetILNS1_3genE0ELNS1_11target_archE4294967295ELNS1_3gpuE0ELNS1_3repE0EEENS1_48merge_mergepath_partition_config_static_selectorELNS0_4arch9wavefront6targetE1EEEvSH_
    .private_segment_fixed_size: 0
    .sgpr_count:     4
    .sgpr_spill_count: 0
    .symbol:         _ZN7rocprim17ROCPRIM_400000_NS6detail17trampoline_kernelINS0_14default_configENS1_38merge_sort_block_merge_config_selectorIslEEZZNS1_27merge_sort_block_merge_implIS3_PsN6thrust23THRUST_200600_302600_NS10device_ptrIlEEjNS1_19radix_merge_compareILb0ELb0EsNS0_19identity_decomposerEEEEE10hipError_tT0_T1_T2_jT3_P12ihipStream_tbPNSt15iterator_traitsISG_E10value_typeEPNSM_ISH_E10value_typeEPSI_NS1_7vsmem_tEENKUlT_SG_SH_SI_E_clIS7_S7_SB_PlEESF_SV_SG_SH_SI_EUlSV_E_NS1_11comp_targetILNS1_3genE0ELNS1_11target_archE4294967295ELNS1_3gpuE0ELNS1_3repE0EEENS1_48merge_mergepath_partition_config_static_selectorELNS0_4arch9wavefront6targetE1EEEvSH_.kd
    .uniform_work_group_size: 1
    .uses_dynamic_stack: false
    .vgpr_count:     0
    .vgpr_spill_count: 0
    .wavefront_size: 64
  - .agpr_count:     0
    .args:
      - .offset:         0
        .size:           40
        .value_kind:     by_value
    .group_segment_fixed_size: 0
    .kernarg_segment_align: 8
    .kernarg_segment_size: 40
    .language:       OpenCL C
    .language_version:
      - 2
      - 0
    .max_flat_workgroup_size: 128
    .name:           _ZN7rocprim17ROCPRIM_400000_NS6detail17trampoline_kernelINS0_14default_configENS1_38merge_sort_block_merge_config_selectorIslEEZZNS1_27merge_sort_block_merge_implIS3_PsN6thrust23THRUST_200600_302600_NS10device_ptrIlEEjNS1_19radix_merge_compareILb0ELb0EsNS0_19identity_decomposerEEEEE10hipError_tT0_T1_T2_jT3_P12ihipStream_tbPNSt15iterator_traitsISG_E10value_typeEPNSM_ISH_E10value_typeEPSI_NS1_7vsmem_tEENKUlT_SG_SH_SI_E_clIS7_S7_SB_PlEESF_SV_SG_SH_SI_EUlSV_E_NS1_11comp_targetILNS1_3genE10ELNS1_11target_archE1201ELNS1_3gpuE5ELNS1_3repE0EEENS1_48merge_mergepath_partition_config_static_selectorELNS0_4arch9wavefront6targetE1EEEvSH_
    .private_segment_fixed_size: 0
    .sgpr_count:     4
    .sgpr_spill_count: 0
    .symbol:         _ZN7rocprim17ROCPRIM_400000_NS6detail17trampoline_kernelINS0_14default_configENS1_38merge_sort_block_merge_config_selectorIslEEZZNS1_27merge_sort_block_merge_implIS3_PsN6thrust23THRUST_200600_302600_NS10device_ptrIlEEjNS1_19radix_merge_compareILb0ELb0EsNS0_19identity_decomposerEEEEE10hipError_tT0_T1_T2_jT3_P12ihipStream_tbPNSt15iterator_traitsISG_E10value_typeEPNSM_ISH_E10value_typeEPSI_NS1_7vsmem_tEENKUlT_SG_SH_SI_E_clIS7_S7_SB_PlEESF_SV_SG_SH_SI_EUlSV_E_NS1_11comp_targetILNS1_3genE10ELNS1_11target_archE1201ELNS1_3gpuE5ELNS1_3repE0EEENS1_48merge_mergepath_partition_config_static_selectorELNS0_4arch9wavefront6targetE1EEEvSH_.kd
    .uniform_work_group_size: 1
    .uses_dynamic_stack: false
    .vgpr_count:     0
    .vgpr_spill_count: 0
    .wavefront_size: 64
  - .agpr_count:     0
    .args:
      - .offset:         0
        .size:           40
        .value_kind:     by_value
    .group_segment_fixed_size: 0
    .kernarg_segment_align: 8
    .kernarg_segment_size: 40
    .language:       OpenCL C
    .language_version:
      - 2
      - 0
    .max_flat_workgroup_size: 128
    .name:           _ZN7rocprim17ROCPRIM_400000_NS6detail17trampoline_kernelINS0_14default_configENS1_38merge_sort_block_merge_config_selectorIslEEZZNS1_27merge_sort_block_merge_implIS3_PsN6thrust23THRUST_200600_302600_NS10device_ptrIlEEjNS1_19radix_merge_compareILb0ELb0EsNS0_19identity_decomposerEEEEE10hipError_tT0_T1_T2_jT3_P12ihipStream_tbPNSt15iterator_traitsISG_E10value_typeEPNSM_ISH_E10value_typeEPSI_NS1_7vsmem_tEENKUlT_SG_SH_SI_E_clIS7_S7_SB_PlEESF_SV_SG_SH_SI_EUlSV_E_NS1_11comp_targetILNS1_3genE5ELNS1_11target_archE942ELNS1_3gpuE9ELNS1_3repE0EEENS1_48merge_mergepath_partition_config_static_selectorELNS0_4arch9wavefront6targetE1EEEvSH_
    .private_segment_fixed_size: 0
    .sgpr_count:     4
    .sgpr_spill_count: 0
    .symbol:         _ZN7rocprim17ROCPRIM_400000_NS6detail17trampoline_kernelINS0_14default_configENS1_38merge_sort_block_merge_config_selectorIslEEZZNS1_27merge_sort_block_merge_implIS3_PsN6thrust23THRUST_200600_302600_NS10device_ptrIlEEjNS1_19radix_merge_compareILb0ELb0EsNS0_19identity_decomposerEEEEE10hipError_tT0_T1_T2_jT3_P12ihipStream_tbPNSt15iterator_traitsISG_E10value_typeEPNSM_ISH_E10value_typeEPSI_NS1_7vsmem_tEENKUlT_SG_SH_SI_E_clIS7_S7_SB_PlEESF_SV_SG_SH_SI_EUlSV_E_NS1_11comp_targetILNS1_3genE5ELNS1_11target_archE942ELNS1_3gpuE9ELNS1_3repE0EEENS1_48merge_mergepath_partition_config_static_selectorELNS0_4arch9wavefront6targetE1EEEvSH_.kd
    .uniform_work_group_size: 1
    .uses_dynamic_stack: false
    .vgpr_count:     0
    .vgpr_spill_count: 0
    .wavefront_size: 64
  - .agpr_count:     0
    .args:
      - .offset:         0
        .size:           40
        .value_kind:     by_value
    .group_segment_fixed_size: 0
    .kernarg_segment_align: 8
    .kernarg_segment_size: 40
    .language:       OpenCL C
    .language_version:
      - 2
      - 0
    .max_flat_workgroup_size: 128
    .name:           _ZN7rocprim17ROCPRIM_400000_NS6detail17trampoline_kernelINS0_14default_configENS1_38merge_sort_block_merge_config_selectorIslEEZZNS1_27merge_sort_block_merge_implIS3_PsN6thrust23THRUST_200600_302600_NS10device_ptrIlEEjNS1_19radix_merge_compareILb0ELb0EsNS0_19identity_decomposerEEEEE10hipError_tT0_T1_T2_jT3_P12ihipStream_tbPNSt15iterator_traitsISG_E10value_typeEPNSM_ISH_E10value_typeEPSI_NS1_7vsmem_tEENKUlT_SG_SH_SI_E_clIS7_S7_SB_PlEESF_SV_SG_SH_SI_EUlSV_E_NS1_11comp_targetILNS1_3genE4ELNS1_11target_archE910ELNS1_3gpuE8ELNS1_3repE0EEENS1_48merge_mergepath_partition_config_static_selectorELNS0_4arch9wavefront6targetE1EEEvSH_
    .private_segment_fixed_size: 0
    .sgpr_count:     12
    .sgpr_spill_count: 0
    .symbol:         _ZN7rocprim17ROCPRIM_400000_NS6detail17trampoline_kernelINS0_14default_configENS1_38merge_sort_block_merge_config_selectorIslEEZZNS1_27merge_sort_block_merge_implIS3_PsN6thrust23THRUST_200600_302600_NS10device_ptrIlEEjNS1_19radix_merge_compareILb0ELb0EsNS0_19identity_decomposerEEEEE10hipError_tT0_T1_T2_jT3_P12ihipStream_tbPNSt15iterator_traitsISG_E10value_typeEPNSM_ISH_E10value_typeEPSI_NS1_7vsmem_tEENKUlT_SG_SH_SI_E_clIS7_S7_SB_PlEESF_SV_SG_SH_SI_EUlSV_E_NS1_11comp_targetILNS1_3genE4ELNS1_11target_archE910ELNS1_3gpuE8ELNS1_3repE0EEENS1_48merge_mergepath_partition_config_static_selectorELNS0_4arch9wavefront6targetE1EEEvSH_.kd
    .uniform_work_group_size: 1
    .uses_dynamic_stack: false
    .vgpr_count:     15
    .vgpr_spill_count: 0
    .wavefront_size: 64
  - .agpr_count:     0
    .args:
      - .offset:         0
        .size:           40
        .value_kind:     by_value
    .group_segment_fixed_size: 0
    .kernarg_segment_align: 8
    .kernarg_segment_size: 40
    .language:       OpenCL C
    .language_version:
      - 2
      - 0
    .max_flat_workgroup_size: 128
    .name:           _ZN7rocprim17ROCPRIM_400000_NS6detail17trampoline_kernelINS0_14default_configENS1_38merge_sort_block_merge_config_selectorIslEEZZNS1_27merge_sort_block_merge_implIS3_PsN6thrust23THRUST_200600_302600_NS10device_ptrIlEEjNS1_19radix_merge_compareILb0ELb0EsNS0_19identity_decomposerEEEEE10hipError_tT0_T1_T2_jT3_P12ihipStream_tbPNSt15iterator_traitsISG_E10value_typeEPNSM_ISH_E10value_typeEPSI_NS1_7vsmem_tEENKUlT_SG_SH_SI_E_clIS7_S7_SB_PlEESF_SV_SG_SH_SI_EUlSV_E_NS1_11comp_targetILNS1_3genE3ELNS1_11target_archE908ELNS1_3gpuE7ELNS1_3repE0EEENS1_48merge_mergepath_partition_config_static_selectorELNS0_4arch9wavefront6targetE1EEEvSH_
    .private_segment_fixed_size: 0
    .sgpr_count:     4
    .sgpr_spill_count: 0
    .symbol:         _ZN7rocprim17ROCPRIM_400000_NS6detail17trampoline_kernelINS0_14default_configENS1_38merge_sort_block_merge_config_selectorIslEEZZNS1_27merge_sort_block_merge_implIS3_PsN6thrust23THRUST_200600_302600_NS10device_ptrIlEEjNS1_19radix_merge_compareILb0ELb0EsNS0_19identity_decomposerEEEEE10hipError_tT0_T1_T2_jT3_P12ihipStream_tbPNSt15iterator_traitsISG_E10value_typeEPNSM_ISH_E10value_typeEPSI_NS1_7vsmem_tEENKUlT_SG_SH_SI_E_clIS7_S7_SB_PlEESF_SV_SG_SH_SI_EUlSV_E_NS1_11comp_targetILNS1_3genE3ELNS1_11target_archE908ELNS1_3gpuE7ELNS1_3repE0EEENS1_48merge_mergepath_partition_config_static_selectorELNS0_4arch9wavefront6targetE1EEEvSH_.kd
    .uniform_work_group_size: 1
    .uses_dynamic_stack: false
    .vgpr_count:     0
    .vgpr_spill_count: 0
    .wavefront_size: 64
  - .agpr_count:     0
    .args:
      - .offset:         0
        .size:           40
        .value_kind:     by_value
    .group_segment_fixed_size: 0
    .kernarg_segment_align: 8
    .kernarg_segment_size: 40
    .language:       OpenCL C
    .language_version:
      - 2
      - 0
    .max_flat_workgroup_size: 128
    .name:           _ZN7rocprim17ROCPRIM_400000_NS6detail17trampoline_kernelINS0_14default_configENS1_38merge_sort_block_merge_config_selectorIslEEZZNS1_27merge_sort_block_merge_implIS3_PsN6thrust23THRUST_200600_302600_NS10device_ptrIlEEjNS1_19radix_merge_compareILb0ELb0EsNS0_19identity_decomposerEEEEE10hipError_tT0_T1_T2_jT3_P12ihipStream_tbPNSt15iterator_traitsISG_E10value_typeEPNSM_ISH_E10value_typeEPSI_NS1_7vsmem_tEENKUlT_SG_SH_SI_E_clIS7_S7_SB_PlEESF_SV_SG_SH_SI_EUlSV_E_NS1_11comp_targetILNS1_3genE2ELNS1_11target_archE906ELNS1_3gpuE6ELNS1_3repE0EEENS1_48merge_mergepath_partition_config_static_selectorELNS0_4arch9wavefront6targetE1EEEvSH_
    .private_segment_fixed_size: 0
    .sgpr_count:     4
    .sgpr_spill_count: 0
    .symbol:         _ZN7rocprim17ROCPRIM_400000_NS6detail17trampoline_kernelINS0_14default_configENS1_38merge_sort_block_merge_config_selectorIslEEZZNS1_27merge_sort_block_merge_implIS3_PsN6thrust23THRUST_200600_302600_NS10device_ptrIlEEjNS1_19radix_merge_compareILb0ELb0EsNS0_19identity_decomposerEEEEE10hipError_tT0_T1_T2_jT3_P12ihipStream_tbPNSt15iterator_traitsISG_E10value_typeEPNSM_ISH_E10value_typeEPSI_NS1_7vsmem_tEENKUlT_SG_SH_SI_E_clIS7_S7_SB_PlEESF_SV_SG_SH_SI_EUlSV_E_NS1_11comp_targetILNS1_3genE2ELNS1_11target_archE906ELNS1_3gpuE6ELNS1_3repE0EEENS1_48merge_mergepath_partition_config_static_selectorELNS0_4arch9wavefront6targetE1EEEvSH_.kd
    .uniform_work_group_size: 1
    .uses_dynamic_stack: false
    .vgpr_count:     0
    .vgpr_spill_count: 0
    .wavefront_size: 64
  - .agpr_count:     0
    .args:
      - .offset:         0
        .size:           40
        .value_kind:     by_value
    .group_segment_fixed_size: 0
    .kernarg_segment_align: 8
    .kernarg_segment_size: 40
    .language:       OpenCL C
    .language_version:
      - 2
      - 0
    .max_flat_workgroup_size: 128
    .name:           _ZN7rocprim17ROCPRIM_400000_NS6detail17trampoline_kernelINS0_14default_configENS1_38merge_sort_block_merge_config_selectorIslEEZZNS1_27merge_sort_block_merge_implIS3_PsN6thrust23THRUST_200600_302600_NS10device_ptrIlEEjNS1_19radix_merge_compareILb0ELb0EsNS0_19identity_decomposerEEEEE10hipError_tT0_T1_T2_jT3_P12ihipStream_tbPNSt15iterator_traitsISG_E10value_typeEPNSM_ISH_E10value_typeEPSI_NS1_7vsmem_tEENKUlT_SG_SH_SI_E_clIS7_S7_SB_PlEESF_SV_SG_SH_SI_EUlSV_E_NS1_11comp_targetILNS1_3genE9ELNS1_11target_archE1100ELNS1_3gpuE3ELNS1_3repE0EEENS1_48merge_mergepath_partition_config_static_selectorELNS0_4arch9wavefront6targetE1EEEvSH_
    .private_segment_fixed_size: 0
    .sgpr_count:     4
    .sgpr_spill_count: 0
    .symbol:         _ZN7rocprim17ROCPRIM_400000_NS6detail17trampoline_kernelINS0_14default_configENS1_38merge_sort_block_merge_config_selectorIslEEZZNS1_27merge_sort_block_merge_implIS3_PsN6thrust23THRUST_200600_302600_NS10device_ptrIlEEjNS1_19radix_merge_compareILb0ELb0EsNS0_19identity_decomposerEEEEE10hipError_tT0_T1_T2_jT3_P12ihipStream_tbPNSt15iterator_traitsISG_E10value_typeEPNSM_ISH_E10value_typeEPSI_NS1_7vsmem_tEENKUlT_SG_SH_SI_E_clIS7_S7_SB_PlEESF_SV_SG_SH_SI_EUlSV_E_NS1_11comp_targetILNS1_3genE9ELNS1_11target_archE1100ELNS1_3gpuE3ELNS1_3repE0EEENS1_48merge_mergepath_partition_config_static_selectorELNS0_4arch9wavefront6targetE1EEEvSH_.kd
    .uniform_work_group_size: 1
    .uses_dynamic_stack: false
    .vgpr_count:     0
    .vgpr_spill_count: 0
    .wavefront_size: 64
  - .agpr_count:     0
    .args:
      - .offset:         0
        .size:           40
        .value_kind:     by_value
    .group_segment_fixed_size: 0
    .kernarg_segment_align: 8
    .kernarg_segment_size: 40
    .language:       OpenCL C
    .language_version:
      - 2
      - 0
    .max_flat_workgroup_size: 128
    .name:           _ZN7rocprim17ROCPRIM_400000_NS6detail17trampoline_kernelINS0_14default_configENS1_38merge_sort_block_merge_config_selectorIslEEZZNS1_27merge_sort_block_merge_implIS3_PsN6thrust23THRUST_200600_302600_NS10device_ptrIlEEjNS1_19radix_merge_compareILb0ELb0EsNS0_19identity_decomposerEEEEE10hipError_tT0_T1_T2_jT3_P12ihipStream_tbPNSt15iterator_traitsISG_E10value_typeEPNSM_ISH_E10value_typeEPSI_NS1_7vsmem_tEENKUlT_SG_SH_SI_E_clIS7_S7_SB_PlEESF_SV_SG_SH_SI_EUlSV_E_NS1_11comp_targetILNS1_3genE8ELNS1_11target_archE1030ELNS1_3gpuE2ELNS1_3repE0EEENS1_48merge_mergepath_partition_config_static_selectorELNS0_4arch9wavefront6targetE1EEEvSH_
    .private_segment_fixed_size: 0
    .sgpr_count:     4
    .sgpr_spill_count: 0
    .symbol:         _ZN7rocprim17ROCPRIM_400000_NS6detail17trampoline_kernelINS0_14default_configENS1_38merge_sort_block_merge_config_selectorIslEEZZNS1_27merge_sort_block_merge_implIS3_PsN6thrust23THRUST_200600_302600_NS10device_ptrIlEEjNS1_19radix_merge_compareILb0ELb0EsNS0_19identity_decomposerEEEEE10hipError_tT0_T1_T2_jT3_P12ihipStream_tbPNSt15iterator_traitsISG_E10value_typeEPNSM_ISH_E10value_typeEPSI_NS1_7vsmem_tEENKUlT_SG_SH_SI_E_clIS7_S7_SB_PlEESF_SV_SG_SH_SI_EUlSV_E_NS1_11comp_targetILNS1_3genE8ELNS1_11target_archE1030ELNS1_3gpuE2ELNS1_3repE0EEENS1_48merge_mergepath_partition_config_static_selectorELNS0_4arch9wavefront6targetE1EEEvSH_.kd
    .uniform_work_group_size: 1
    .uses_dynamic_stack: false
    .vgpr_count:     0
    .vgpr_spill_count: 0
    .wavefront_size: 64
  - .agpr_count:     0
    .args:
      - .offset:         0
        .size:           64
        .value_kind:     by_value
    .group_segment_fixed_size: 0
    .kernarg_segment_align: 8
    .kernarg_segment_size: 64
    .language:       OpenCL C
    .language_version:
      - 2
      - 0
    .max_flat_workgroup_size: 256
    .name:           _ZN7rocprim17ROCPRIM_400000_NS6detail17trampoline_kernelINS0_14default_configENS1_38merge_sort_block_merge_config_selectorIslEEZZNS1_27merge_sort_block_merge_implIS3_PsN6thrust23THRUST_200600_302600_NS10device_ptrIlEEjNS1_19radix_merge_compareILb0ELb0EsNS0_19identity_decomposerEEEEE10hipError_tT0_T1_T2_jT3_P12ihipStream_tbPNSt15iterator_traitsISG_E10value_typeEPNSM_ISH_E10value_typeEPSI_NS1_7vsmem_tEENKUlT_SG_SH_SI_E_clIS7_S7_SB_PlEESF_SV_SG_SH_SI_EUlSV_E0_NS1_11comp_targetILNS1_3genE0ELNS1_11target_archE4294967295ELNS1_3gpuE0ELNS1_3repE0EEENS1_38merge_mergepath_config_static_selectorELNS0_4arch9wavefront6targetE1EEEvSH_
    .private_segment_fixed_size: 0
    .sgpr_count:     4
    .sgpr_spill_count: 0
    .symbol:         _ZN7rocprim17ROCPRIM_400000_NS6detail17trampoline_kernelINS0_14default_configENS1_38merge_sort_block_merge_config_selectorIslEEZZNS1_27merge_sort_block_merge_implIS3_PsN6thrust23THRUST_200600_302600_NS10device_ptrIlEEjNS1_19radix_merge_compareILb0ELb0EsNS0_19identity_decomposerEEEEE10hipError_tT0_T1_T2_jT3_P12ihipStream_tbPNSt15iterator_traitsISG_E10value_typeEPNSM_ISH_E10value_typeEPSI_NS1_7vsmem_tEENKUlT_SG_SH_SI_E_clIS7_S7_SB_PlEESF_SV_SG_SH_SI_EUlSV_E0_NS1_11comp_targetILNS1_3genE0ELNS1_11target_archE4294967295ELNS1_3gpuE0ELNS1_3repE0EEENS1_38merge_mergepath_config_static_selectorELNS0_4arch9wavefront6targetE1EEEvSH_.kd
    .uniform_work_group_size: 1
    .uses_dynamic_stack: false
    .vgpr_count:     0
    .vgpr_spill_count: 0
    .wavefront_size: 64
  - .agpr_count:     0
    .args:
      - .offset:         0
        .size:           64
        .value_kind:     by_value
    .group_segment_fixed_size: 0
    .kernarg_segment_align: 8
    .kernarg_segment_size: 64
    .language:       OpenCL C
    .language_version:
      - 2
      - 0
    .max_flat_workgroup_size: 512
    .name:           _ZN7rocprim17ROCPRIM_400000_NS6detail17trampoline_kernelINS0_14default_configENS1_38merge_sort_block_merge_config_selectorIslEEZZNS1_27merge_sort_block_merge_implIS3_PsN6thrust23THRUST_200600_302600_NS10device_ptrIlEEjNS1_19radix_merge_compareILb0ELb0EsNS0_19identity_decomposerEEEEE10hipError_tT0_T1_T2_jT3_P12ihipStream_tbPNSt15iterator_traitsISG_E10value_typeEPNSM_ISH_E10value_typeEPSI_NS1_7vsmem_tEENKUlT_SG_SH_SI_E_clIS7_S7_SB_PlEESF_SV_SG_SH_SI_EUlSV_E0_NS1_11comp_targetILNS1_3genE10ELNS1_11target_archE1201ELNS1_3gpuE5ELNS1_3repE0EEENS1_38merge_mergepath_config_static_selectorELNS0_4arch9wavefront6targetE1EEEvSH_
    .private_segment_fixed_size: 0
    .sgpr_count:     4
    .sgpr_spill_count: 0
    .symbol:         _ZN7rocprim17ROCPRIM_400000_NS6detail17trampoline_kernelINS0_14default_configENS1_38merge_sort_block_merge_config_selectorIslEEZZNS1_27merge_sort_block_merge_implIS3_PsN6thrust23THRUST_200600_302600_NS10device_ptrIlEEjNS1_19radix_merge_compareILb0ELb0EsNS0_19identity_decomposerEEEEE10hipError_tT0_T1_T2_jT3_P12ihipStream_tbPNSt15iterator_traitsISG_E10value_typeEPNSM_ISH_E10value_typeEPSI_NS1_7vsmem_tEENKUlT_SG_SH_SI_E_clIS7_S7_SB_PlEESF_SV_SG_SH_SI_EUlSV_E0_NS1_11comp_targetILNS1_3genE10ELNS1_11target_archE1201ELNS1_3gpuE5ELNS1_3repE0EEENS1_38merge_mergepath_config_static_selectorELNS0_4arch9wavefront6targetE1EEEvSH_.kd
    .uniform_work_group_size: 1
    .uses_dynamic_stack: false
    .vgpr_count:     0
    .vgpr_spill_count: 0
    .wavefront_size: 64
  - .agpr_count:     0
    .args:
      - .offset:         0
        .size:           64
        .value_kind:     by_value
    .group_segment_fixed_size: 0
    .kernarg_segment_align: 8
    .kernarg_segment_size: 64
    .language:       OpenCL C
    .language_version:
      - 2
      - 0
    .max_flat_workgroup_size: 256
    .name:           _ZN7rocprim17ROCPRIM_400000_NS6detail17trampoline_kernelINS0_14default_configENS1_38merge_sort_block_merge_config_selectorIslEEZZNS1_27merge_sort_block_merge_implIS3_PsN6thrust23THRUST_200600_302600_NS10device_ptrIlEEjNS1_19radix_merge_compareILb0ELb0EsNS0_19identity_decomposerEEEEE10hipError_tT0_T1_T2_jT3_P12ihipStream_tbPNSt15iterator_traitsISG_E10value_typeEPNSM_ISH_E10value_typeEPSI_NS1_7vsmem_tEENKUlT_SG_SH_SI_E_clIS7_S7_SB_PlEESF_SV_SG_SH_SI_EUlSV_E0_NS1_11comp_targetILNS1_3genE5ELNS1_11target_archE942ELNS1_3gpuE9ELNS1_3repE0EEENS1_38merge_mergepath_config_static_selectorELNS0_4arch9wavefront6targetE1EEEvSH_
    .private_segment_fixed_size: 0
    .sgpr_count:     4
    .sgpr_spill_count: 0
    .symbol:         _ZN7rocprim17ROCPRIM_400000_NS6detail17trampoline_kernelINS0_14default_configENS1_38merge_sort_block_merge_config_selectorIslEEZZNS1_27merge_sort_block_merge_implIS3_PsN6thrust23THRUST_200600_302600_NS10device_ptrIlEEjNS1_19radix_merge_compareILb0ELb0EsNS0_19identity_decomposerEEEEE10hipError_tT0_T1_T2_jT3_P12ihipStream_tbPNSt15iterator_traitsISG_E10value_typeEPNSM_ISH_E10value_typeEPSI_NS1_7vsmem_tEENKUlT_SG_SH_SI_E_clIS7_S7_SB_PlEESF_SV_SG_SH_SI_EUlSV_E0_NS1_11comp_targetILNS1_3genE5ELNS1_11target_archE942ELNS1_3gpuE9ELNS1_3repE0EEENS1_38merge_mergepath_config_static_selectorELNS0_4arch9wavefront6targetE1EEEvSH_.kd
    .uniform_work_group_size: 1
    .uses_dynamic_stack: false
    .vgpr_count:     0
    .vgpr_spill_count: 0
    .wavefront_size: 64
  - .agpr_count:     0
    .args:
      - .offset:         0
        .size:           64
        .value_kind:     by_value
      - .offset:         64
        .size:           4
        .value_kind:     hidden_block_count_x
      - .offset:         68
        .size:           4
        .value_kind:     hidden_block_count_y
      - .offset:         72
        .size:           4
        .value_kind:     hidden_block_count_z
      - .offset:         76
        .size:           2
        .value_kind:     hidden_group_size_x
      - .offset:         78
        .size:           2
        .value_kind:     hidden_group_size_y
      - .offset:         80
        .size:           2
        .value_kind:     hidden_group_size_z
      - .offset:         82
        .size:           2
        .value_kind:     hidden_remainder_x
      - .offset:         84
        .size:           2
        .value_kind:     hidden_remainder_y
      - .offset:         86
        .size:           2
        .value_kind:     hidden_remainder_z
      - .offset:         104
        .size:           8
        .value_kind:     hidden_global_offset_x
      - .offset:         112
        .size:           8
        .value_kind:     hidden_global_offset_y
      - .offset:         120
        .size:           8
        .value_kind:     hidden_global_offset_z
      - .offset:         128
        .size:           2
        .value_kind:     hidden_grid_dims
    .group_segment_fixed_size: 8448
    .kernarg_segment_align: 8
    .kernarg_segment_size: 320
    .language:       OpenCL C
    .language_version:
      - 2
      - 0
    .max_flat_workgroup_size: 256
    .name:           _ZN7rocprim17ROCPRIM_400000_NS6detail17trampoline_kernelINS0_14default_configENS1_38merge_sort_block_merge_config_selectorIslEEZZNS1_27merge_sort_block_merge_implIS3_PsN6thrust23THRUST_200600_302600_NS10device_ptrIlEEjNS1_19radix_merge_compareILb0ELb0EsNS0_19identity_decomposerEEEEE10hipError_tT0_T1_T2_jT3_P12ihipStream_tbPNSt15iterator_traitsISG_E10value_typeEPNSM_ISH_E10value_typeEPSI_NS1_7vsmem_tEENKUlT_SG_SH_SI_E_clIS7_S7_SB_PlEESF_SV_SG_SH_SI_EUlSV_E0_NS1_11comp_targetILNS1_3genE4ELNS1_11target_archE910ELNS1_3gpuE8ELNS1_3repE0EEENS1_38merge_mergepath_config_static_selectorELNS0_4arch9wavefront6targetE1EEEvSH_
    .private_segment_fixed_size: 0
    .sgpr_count:     34
    .sgpr_spill_count: 0
    .symbol:         _ZN7rocprim17ROCPRIM_400000_NS6detail17trampoline_kernelINS0_14default_configENS1_38merge_sort_block_merge_config_selectorIslEEZZNS1_27merge_sort_block_merge_implIS3_PsN6thrust23THRUST_200600_302600_NS10device_ptrIlEEjNS1_19radix_merge_compareILb0ELb0EsNS0_19identity_decomposerEEEEE10hipError_tT0_T1_T2_jT3_P12ihipStream_tbPNSt15iterator_traitsISG_E10value_typeEPNSM_ISH_E10value_typeEPSI_NS1_7vsmem_tEENKUlT_SG_SH_SI_E_clIS7_S7_SB_PlEESF_SV_SG_SH_SI_EUlSV_E0_NS1_11comp_targetILNS1_3genE4ELNS1_11target_archE910ELNS1_3gpuE8ELNS1_3repE0EEENS1_38merge_mergepath_config_static_selectorELNS0_4arch9wavefront6targetE1EEEvSH_.kd
    .uniform_work_group_size: 1
    .uses_dynamic_stack: false
    .vgpr_count:     36
    .vgpr_spill_count: 0
    .wavefront_size: 64
  - .agpr_count:     0
    .args:
      - .offset:         0
        .size:           64
        .value_kind:     by_value
    .group_segment_fixed_size: 0
    .kernarg_segment_align: 8
    .kernarg_segment_size: 64
    .language:       OpenCL C
    .language_version:
      - 2
      - 0
    .max_flat_workgroup_size: 256
    .name:           _ZN7rocprim17ROCPRIM_400000_NS6detail17trampoline_kernelINS0_14default_configENS1_38merge_sort_block_merge_config_selectorIslEEZZNS1_27merge_sort_block_merge_implIS3_PsN6thrust23THRUST_200600_302600_NS10device_ptrIlEEjNS1_19radix_merge_compareILb0ELb0EsNS0_19identity_decomposerEEEEE10hipError_tT0_T1_T2_jT3_P12ihipStream_tbPNSt15iterator_traitsISG_E10value_typeEPNSM_ISH_E10value_typeEPSI_NS1_7vsmem_tEENKUlT_SG_SH_SI_E_clIS7_S7_SB_PlEESF_SV_SG_SH_SI_EUlSV_E0_NS1_11comp_targetILNS1_3genE3ELNS1_11target_archE908ELNS1_3gpuE7ELNS1_3repE0EEENS1_38merge_mergepath_config_static_selectorELNS0_4arch9wavefront6targetE1EEEvSH_
    .private_segment_fixed_size: 0
    .sgpr_count:     4
    .sgpr_spill_count: 0
    .symbol:         _ZN7rocprim17ROCPRIM_400000_NS6detail17trampoline_kernelINS0_14default_configENS1_38merge_sort_block_merge_config_selectorIslEEZZNS1_27merge_sort_block_merge_implIS3_PsN6thrust23THRUST_200600_302600_NS10device_ptrIlEEjNS1_19radix_merge_compareILb0ELb0EsNS0_19identity_decomposerEEEEE10hipError_tT0_T1_T2_jT3_P12ihipStream_tbPNSt15iterator_traitsISG_E10value_typeEPNSM_ISH_E10value_typeEPSI_NS1_7vsmem_tEENKUlT_SG_SH_SI_E_clIS7_S7_SB_PlEESF_SV_SG_SH_SI_EUlSV_E0_NS1_11comp_targetILNS1_3genE3ELNS1_11target_archE908ELNS1_3gpuE7ELNS1_3repE0EEENS1_38merge_mergepath_config_static_selectorELNS0_4arch9wavefront6targetE1EEEvSH_.kd
    .uniform_work_group_size: 1
    .uses_dynamic_stack: false
    .vgpr_count:     0
    .vgpr_spill_count: 0
    .wavefront_size: 64
  - .agpr_count:     0
    .args:
      - .offset:         0
        .size:           64
        .value_kind:     by_value
    .group_segment_fixed_size: 0
    .kernarg_segment_align: 8
    .kernarg_segment_size: 64
    .language:       OpenCL C
    .language_version:
      - 2
      - 0
    .max_flat_workgroup_size: 256
    .name:           _ZN7rocprim17ROCPRIM_400000_NS6detail17trampoline_kernelINS0_14default_configENS1_38merge_sort_block_merge_config_selectorIslEEZZNS1_27merge_sort_block_merge_implIS3_PsN6thrust23THRUST_200600_302600_NS10device_ptrIlEEjNS1_19radix_merge_compareILb0ELb0EsNS0_19identity_decomposerEEEEE10hipError_tT0_T1_T2_jT3_P12ihipStream_tbPNSt15iterator_traitsISG_E10value_typeEPNSM_ISH_E10value_typeEPSI_NS1_7vsmem_tEENKUlT_SG_SH_SI_E_clIS7_S7_SB_PlEESF_SV_SG_SH_SI_EUlSV_E0_NS1_11comp_targetILNS1_3genE2ELNS1_11target_archE906ELNS1_3gpuE6ELNS1_3repE0EEENS1_38merge_mergepath_config_static_selectorELNS0_4arch9wavefront6targetE1EEEvSH_
    .private_segment_fixed_size: 0
    .sgpr_count:     4
    .sgpr_spill_count: 0
    .symbol:         _ZN7rocprim17ROCPRIM_400000_NS6detail17trampoline_kernelINS0_14default_configENS1_38merge_sort_block_merge_config_selectorIslEEZZNS1_27merge_sort_block_merge_implIS3_PsN6thrust23THRUST_200600_302600_NS10device_ptrIlEEjNS1_19radix_merge_compareILb0ELb0EsNS0_19identity_decomposerEEEEE10hipError_tT0_T1_T2_jT3_P12ihipStream_tbPNSt15iterator_traitsISG_E10value_typeEPNSM_ISH_E10value_typeEPSI_NS1_7vsmem_tEENKUlT_SG_SH_SI_E_clIS7_S7_SB_PlEESF_SV_SG_SH_SI_EUlSV_E0_NS1_11comp_targetILNS1_3genE2ELNS1_11target_archE906ELNS1_3gpuE6ELNS1_3repE0EEENS1_38merge_mergepath_config_static_selectorELNS0_4arch9wavefront6targetE1EEEvSH_.kd
    .uniform_work_group_size: 1
    .uses_dynamic_stack: false
    .vgpr_count:     0
    .vgpr_spill_count: 0
    .wavefront_size: 64
  - .agpr_count:     0
    .args:
      - .offset:         0
        .size:           64
        .value_kind:     by_value
    .group_segment_fixed_size: 0
    .kernarg_segment_align: 8
    .kernarg_segment_size: 64
    .language:       OpenCL C
    .language_version:
      - 2
      - 0
    .max_flat_workgroup_size: 256
    .name:           _ZN7rocprim17ROCPRIM_400000_NS6detail17trampoline_kernelINS0_14default_configENS1_38merge_sort_block_merge_config_selectorIslEEZZNS1_27merge_sort_block_merge_implIS3_PsN6thrust23THRUST_200600_302600_NS10device_ptrIlEEjNS1_19radix_merge_compareILb0ELb0EsNS0_19identity_decomposerEEEEE10hipError_tT0_T1_T2_jT3_P12ihipStream_tbPNSt15iterator_traitsISG_E10value_typeEPNSM_ISH_E10value_typeEPSI_NS1_7vsmem_tEENKUlT_SG_SH_SI_E_clIS7_S7_SB_PlEESF_SV_SG_SH_SI_EUlSV_E0_NS1_11comp_targetILNS1_3genE9ELNS1_11target_archE1100ELNS1_3gpuE3ELNS1_3repE0EEENS1_38merge_mergepath_config_static_selectorELNS0_4arch9wavefront6targetE1EEEvSH_
    .private_segment_fixed_size: 0
    .sgpr_count:     4
    .sgpr_spill_count: 0
    .symbol:         _ZN7rocprim17ROCPRIM_400000_NS6detail17trampoline_kernelINS0_14default_configENS1_38merge_sort_block_merge_config_selectorIslEEZZNS1_27merge_sort_block_merge_implIS3_PsN6thrust23THRUST_200600_302600_NS10device_ptrIlEEjNS1_19radix_merge_compareILb0ELb0EsNS0_19identity_decomposerEEEEE10hipError_tT0_T1_T2_jT3_P12ihipStream_tbPNSt15iterator_traitsISG_E10value_typeEPNSM_ISH_E10value_typeEPSI_NS1_7vsmem_tEENKUlT_SG_SH_SI_E_clIS7_S7_SB_PlEESF_SV_SG_SH_SI_EUlSV_E0_NS1_11comp_targetILNS1_3genE9ELNS1_11target_archE1100ELNS1_3gpuE3ELNS1_3repE0EEENS1_38merge_mergepath_config_static_selectorELNS0_4arch9wavefront6targetE1EEEvSH_.kd
    .uniform_work_group_size: 1
    .uses_dynamic_stack: false
    .vgpr_count:     0
    .vgpr_spill_count: 0
    .wavefront_size: 64
  - .agpr_count:     0
    .args:
      - .offset:         0
        .size:           64
        .value_kind:     by_value
    .group_segment_fixed_size: 0
    .kernarg_segment_align: 8
    .kernarg_segment_size: 64
    .language:       OpenCL C
    .language_version:
      - 2
      - 0
    .max_flat_workgroup_size: 512
    .name:           _ZN7rocprim17ROCPRIM_400000_NS6detail17trampoline_kernelINS0_14default_configENS1_38merge_sort_block_merge_config_selectorIslEEZZNS1_27merge_sort_block_merge_implIS3_PsN6thrust23THRUST_200600_302600_NS10device_ptrIlEEjNS1_19radix_merge_compareILb0ELb0EsNS0_19identity_decomposerEEEEE10hipError_tT0_T1_T2_jT3_P12ihipStream_tbPNSt15iterator_traitsISG_E10value_typeEPNSM_ISH_E10value_typeEPSI_NS1_7vsmem_tEENKUlT_SG_SH_SI_E_clIS7_S7_SB_PlEESF_SV_SG_SH_SI_EUlSV_E0_NS1_11comp_targetILNS1_3genE8ELNS1_11target_archE1030ELNS1_3gpuE2ELNS1_3repE0EEENS1_38merge_mergepath_config_static_selectorELNS0_4arch9wavefront6targetE1EEEvSH_
    .private_segment_fixed_size: 0
    .sgpr_count:     4
    .sgpr_spill_count: 0
    .symbol:         _ZN7rocprim17ROCPRIM_400000_NS6detail17trampoline_kernelINS0_14default_configENS1_38merge_sort_block_merge_config_selectorIslEEZZNS1_27merge_sort_block_merge_implIS3_PsN6thrust23THRUST_200600_302600_NS10device_ptrIlEEjNS1_19radix_merge_compareILb0ELb0EsNS0_19identity_decomposerEEEEE10hipError_tT0_T1_T2_jT3_P12ihipStream_tbPNSt15iterator_traitsISG_E10value_typeEPNSM_ISH_E10value_typeEPSI_NS1_7vsmem_tEENKUlT_SG_SH_SI_E_clIS7_S7_SB_PlEESF_SV_SG_SH_SI_EUlSV_E0_NS1_11comp_targetILNS1_3genE8ELNS1_11target_archE1030ELNS1_3gpuE2ELNS1_3repE0EEENS1_38merge_mergepath_config_static_selectorELNS0_4arch9wavefront6targetE1EEEvSH_.kd
    .uniform_work_group_size: 1
    .uses_dynamic_stack: false
    .vgpr_count:     0
    .vgpr_spill_count: 0
    .wavefront_size: 64
  - .agpr_count:     0
    .args:
      - .offset:         0
        .size:           48
        .value_kind:     by_value
    .group_segment_fixed_size: 0
    .kernarg_segment_align: 8
    .kernarg_segment_size: 48
    .language:       OpenCL C
    .language_version:
      - 2
      - 0
    .max_flat_workgroup_size: 256
    .name:           _ZN7rocprim17ROCPRIM_400000_NS6detail17trampoline_kernelINS0_14default_configENS1_38merge_sort_block_merge_config_selectorIslEEZZNS1_27merge_sort_block_merge_implIS3_PsN6thrust23THRUST_200600_302600_NS10device_ptrIlEEjNS1_19radix_merge_compareILb0ELb0EsNS0_19identity_decomposerEEEEE10hipError_tT0_T1_T2_jT3_P12ihipStream_tbPNSt15iterator_traitsISG_E10value_typeEPNSM_ISH_E10value_typeEPSI_NS1_7vsmem_tEENKUlT_SG_SH_SI_E_clIS7_S7_SB_PlEESF_SV_SG_SH_SI_EUlSV_E1_NS1_11comp_targetILNS1_3genE0ELNS1_11target_archE4294967295ELNS1_3gpuE0ELNS1_3repE0EEENS1_36merge_oddeven_config_static_selectorELNS0_4arch9wavefront6targetE1EEEvSH_
    .private_segment_fixed_size: 0
    .sgpr_count:     4
    .sgpr_spill_count: 0
    .symbol:         _ZN7rocprim17ROCPRIM_400000_NS6detail17trampoline_kernelINS0_14default_configENS1_38merge_sort_block_merge_config_selectorIslEEZZNS1_27merge_sort_block_merge_implIS3_PsN6thrust23THRUST_200600_302600_NS10device_ptrIlEEjNS1_19radix_merge_compareILb0ELb0EsNS0_19identity_decomposerEEEEE10hipError_tT0_T1_T2_jT3_P12ihipStream_tbPNSt15iterator_traitsISG_E10value_typeEPNSM_ISH_E10value_typeEPSI_NS1_7vsmem_tEENKUlT_SG_SH_SI_E_clIS7_S7_SB_PlEESF_SV_SG_SH_SI_EUlSV_E1_NS1_11comp_targetILNS1_3genE0ELNS1_11target_archE4294967295ELNS1_3gpuE0ELNS1_3repE0EEENS1_36merge_oddeven_config_static_selectorELNS0_4arch9wavefront6targetE1EEEvSH_.kd
    .uniform_work_group_size: 1
    .uses_dynamic_stack: false
    .vgpr_count:     0
    .vgpr_spill_count: 0
    .wavefront_size: 64
  - .agpr_count:     0
    .args:
      - .offset:         0
        .size:           48
        .value_kind:     by_value
    .group_segment_fixed_size: 0
    .kernarg_segment_align: 8
    .kernarg_segment_size: 48
    .language:       OpenCL C
    .language_version:
      - 2
      - 0
    .max_flat_workgroup_size: 256
    .name:           _ZN7rocprim17ROCPRIM_400000_NS6detail17trampoline_kernelINS0_14default_configENS1_38merge_sort_block_merge_config_selectorIslEEZZNS1_27merge_sort_block_merge_implIS3_PsN6thrust23THRUST_200600_302600_NS10device_ptrIlEEjNS1_19radix_merge_compareILb0ELb0EsNS0_19identity_decomposerEEEEE10hipError_tT0_T1_T2_jT3_P12ihipStream_tbPNSt15iterator_traitsISG_E10value_typeEPNSM_ISH_E10value_typeEPSI_NS1_7vsmem_tEENKUlT_SG_SH_SI_E_clIS7_S7_SB_PlEESF_SV_SG_SH_SI_EUlSV_E1_NS1_11comp_targetILNS1_3genE10ELNS1_11target_archE1201ELNS1_3gpuE5ELNS1_3repE0EEENS1_36merge_oddeven_config_static_selectorELNS0_4arch9wavefront6targetE1EEEvSH_
    .private_segment_fixed_size: 0
    .sgpr_count:     4
    .sgpr_spill_count: 0
    .symbol:         _ZN7rocprim17ROCPRIM_400000_NS6detail17trampoline_kernelINS0_14default_configENS1_38merge_sort_block_merge_config_selectorIslEEZZNS1_27merge_sort_block_merge_implIS3_PsN6thrust23THRUST_200600_302600_NS10device_ptrIlEEjNS1_19radix_merge_compareILb0ELb0EsNS0_19identity_decomposerEEEEE10hipError_tT0_T1_T2_jT3_P12ihipStream_tbPNSt15iterator_traitsISG_E10value_typeEPNSM_ISH_E10value_typeEPSI_NS1_7vsmem_tEENKUlT_SG_SH_SI_E_clIS7_S7_SB_PlEESF_SV_SG_SH_SI_EUlSV_E1_NS1_11comp_targetILNS1_3genE10ELNS1_11target_archE1201ELNS1_3gpuE5ELNS1_3repE0EEENS1_36merge_oddeven_config_static_selectorELNS0_4arch9wavefront6targetE1EEEvSH_.kd
    .uniform_work_group_size: 1
    .uses_dynamic_stack: false
    .vgpr_count:     0
    .vgpr_spill_count: 0
    .wavefront_size: 64
  - .agpr_count:     0
    .args:
      - .offset:         0
        .size:           48
        .value_kind:     by_value
    .group_segment_fixed_size: 0
    .kernarg_segment_align: 8
    .kernarg_segment_size: 48
    .language:       OpenCL C
    .language_version:
      - 2
      - 0
    .max_flat_workgroup_size: 256
    .name:           _ZN7rocprim17ROCPRIM_400000_NS6detail17trampoline_kernelINS0_14default_configENS1_38merge_sort_block_merge_config_selectorIslEEZZNS1_27merge_sort_block_merge_implIS3_PsN6thrust23THRUST_200600_302600_NS10device_ptrIlEEjNS1_19radix_merge_compareILb0ELb0EsNS0_19identity_decomposerEEEEE10hipError_tT0_T1_T2_jT3_P12ihipStream_tbPNSt15iterator_traitsISG_E10value_typeEPNSM_ISH_E10value_typeEPSI_NS1_7vsmem_tEENKUlT_SG_SH_SI_E_clIS7_S7_SB_PlEESF_SV_SG_SH_SI_EUlSV_E1_NS1_11comp_targetILNS1_3genE5ELNS1_11target_archE942ELNS1_3gpuE9ELNS1_3repE0EEENS1_36merge_oddeven_config_static_selectorELNS0_4arch9wavefront6targetE1EEEvSH_
    .private_segment_fixed_size: 0
    .sgpr_count:     4
    .sgpr_spill_count: 0
    .symbol:         _ZN7rocprim17ROCPRIM_400000_NS6detail17trampoline_kernelINS0_14default_configENS1_38merge_sort_block_merge_config_selectorIslEEZZNS1_27merge_sort_block_merge_implIS3_PsN6thrust23THRUST_200600_302600_NS10device_ptrIlEEjNS1_19radix_merge_compareILb0ELb0EsNS0_19identity_decomposerEEEEE10hipError_tT0_T1_T2_jT3_P12ihipStream_tbPNSt15iterator_traitsISG_E10value_typeEPNSM_ISH_E10value_typeEPSI_NS1_7vsmem_tEENKUlT_SG_SH_SI_E_clIS7_S7_SB_PlEESF_SV_SG_SH_SI_EUlSV_E1_NS1_11comp_targetILNS1_3genE5ELNS1_11target_archE942ELNS1_3gpuE9ELNS1_3repE0EEENS1_36merge_oddeven_config_static_selectorELNS0_4arch9wavefront6targetE1EEEvSH_.kd
    .uniform_work_group_size: 1
    .uses_dynamic_stack: false
    .vgpr_count:     0
    .vgpr_spill_count: 0
    .wavefront_size: 64
  - .agpr_count:     0
    .args:
      - .offset:         0
        .size:           48
        .value_kind:     by_value
    .group_segment_fixed_size: 0
    .kernarg_segment_align: 8
    .kernarg_segment_size: 48
    .language:       OpenCL C
    .language_version:
      - 2
      - 0
    .max_flat_workgroup_size: 256
    .name:           _ZN7rocprim17ROCPRIM_400000_NS6detail17trampoline_kernelINS0_14default_configENS1_38merge_sort_block_merge_config_selectorIslEEZZNS1_27merge_sort_block_merge_implIS3_PsN6thrust23THRUST_200600_302600_NS10device_ptrIlEEjNS1_19radix_merge_compareILb0ELb0EsNS0_19identity_decomposerEEEEE10hipError_tT0_T1_T2_jT3_P12ihipStream_tbPNSt15iterator_traitsISG_E10value_typeEPNSM_ISH_E10value_typeEPSI_NS1_7vsmem_tEENKUlT_SG_SH_SI_E_clIS7_S7_SB_PlEESF_SV_SG_SH_SI_EUlSV_E1_NS1_11comp_targetILNS1_3genE4ELNS1_11target_archE910ELNS1_3gpuE8ELNS1_3repE0EEENS1_36merge_oddeven_config_static_selectorELNS0_4arch9wavefront6targetE1EEEvSH_
    .private_segment_fixed_size: 0
    .sgpr_count:     28
    .sgpr_spill_count: 0
    .symbol:         _ZN7rocprim17ROCPRIM_400000_NS6detail17trampoline_kernelINS0_14default_configENS1_38merge_sort_block_merge_config_selectorIslEEZZNS1_27merge_sort_block_merge_implIS3_PsN6thrust23THRUST_200600_302600_NS10device_ptrIlEEjNS1_19radix_merge_compareILb0ELb0EsNS0_19identity_decomposerEEEEE10hipError_tT0_T1_T2_jT3_P12ihipStream_tbPNSt15iterator_traitsISG_E10value_typeEPNSM_ISH_E10value_typeEPSI_NS1_7vsmem_tEENKUlT_SG_SH_SI_E_clIS7_S7_SB_PlEESF_SV_SG_SH_SI_EUlSV_E1_NS1_11comp_targetILNS1_3genE4ELNS1_11target_archE910ELNS1_3gpuE8ELNS1_3repE0EEENS1_36merge_oddeven_config_static_selectorELNS0_4arch9wavefront6targetE1EEEvSH_.kd
    .uniform_work_group_size: 1
    .uses_dynamic_stack: false
    .vgpr_count:     10
    .vgpr_spill_count: 0
    .wavefront_size: 64
  - .agpr_count:     0
    .args:
      - .offset:         0
        .size:           48
        .value_kind:     by_value
    .group_segment_fixed_size: 0
    .kernarg_segment_align: 8
    .kernarg_segment_size: 48
    .language:       OpenCL C
    .language_version:
      - 2
      - 0
    .max_flat_workgroup_size: 256
    .name:           _ZN7rocprim17ROCPRIM_400000_NS6detail17trampoline_kernelINS0_14default_configENS1_38merge_sort_block_merge_config_selectorIslEEZZNS1_27merge_sort_block_merge_implIS3_PsN6thrust23THRUST_200600_302600_NS10device_ptrIlEEjNS1_19radix_merge_compareILb0ELb0EsNS0_19identity_decomposerEEEEE10hipError_tT0_T1_T2_jT3_P12ihipStream_tbPNSt15iterator_traitsISG_E10value_typeEPNSM_ISH_E10value_typeEPSI_NS1_7vsmem_tEENKUlT_SG_SH_SI_E_clIS7_S7_SB_PlEESF_SV_SG_SH_SI_EUlSV_E1_NS1_11comp_targetILNS1_3genE3ELNS1_11target_archE908ELNS1_3gpuE7ELNS1_3repE0EEENS1_36merge_oddeven_config_static_selectorELNS0_4arch9wavefront6targetE1EEEvSH_
    .private_segment_fixed_size: 0
    .sgpr_count:     4
    .sgpr_spill_count: 0
    .symbol:         _ZN7rocprim17ROCPRIM_400000_NS6detail17trampoline_kernelINS0_14default_configENS1_38merge_sort_block_merge_config_selectorIslEEZZNS1_27merge_sort_block_merge_implIS3_PsN6thrust23THRUST_200600_302600_NS10device_ptrIlEEjNS1_19radix_merge_compareILb0ELb0EsNS0_19identity_decomposerEEEEE10hipError_tT0_T1_T2_jT3_P12ihipStream_tbPNSt15iterator_traitsISG_E10value_typeEPNSM_ISH_E10value_typeEPSI_NS1_7vsmem_tEENKUlT_SG_SH_SI_E_clIS7_S7_SB_PlEESF_SV_SG_SH_SI_EUlSV_E1_NS1_11comp_targetILNS1_3genE3ELNS1_11target_archE908ELNS1_3gpuE7ELNS1_3repE0EEENS1_36merge_oddeven_config_static_selectorELNS0_4arch9wavefront6targetE1EEEvSH_.kd
    .uniform_work_group_size: 1
    .uses_dynamic_stack: false
    .vgpr_count:     0
    .vgpr_spill_count: 0
    .wavefront_size: 64
  - .agpr_count:     0
    .args:
      - .offset:         0
        .size:           48
        .value_kind:     by_value
    .group_segment_fixed_size: 0
    .kernarg_segment_align: 8
    .kernarg_segment_size: 48
    .language:       OpenCL C
    .language_version:
      - 2
      - 0
    .max_flat_workgroup_size: 256
    .name:           _ZN7rocprim17ROCPRIM_400000_NS6detail17trampoline_kernelINS0_14default_configENS1_38merge_sort_block_merge_config_selectorIslEEZZNS1_27merge_sort_block_merge_implIS3_PsN6thrust23THRUST_200600_302600_NS10device_ptrIlEEjNS1_19radix_merge_compareILb0ELb0EsNS0_19identity_decomposerEEEEE10hipError_tT0_T1_T2_jT3_P12ihipStream_tbPNSt15iterator_traitsISG_E10value_typeEPNSM_ISH_E10value_typeEPSI_NS1_7vsmem_tEENKUlT_SG_SH_SI_E_clIS7_S7_SB_PlEESF_SV_SG_SH_SI_EUlSV_E1_NS1_11comp_targetILNS1_3genE2ELNS1_11target_archE906ELNS1_3gpuE6ELNS1_3repE0EEENS1_36merge_oddeven_config_static_selectorELNS0_4arch9wavefront6targetE1EEEvSH_
    .private_segment_fixed_size: 0
    .sgpr_count:     4
    .sgpr_spill_count: 0
    .symbol:         _ZN7rocprim17ROCPRIM_400000_NS6detail17trampoline_kernelINS0_14default_configENS1_38merge_sort_block_merge_config_selectorIslEEZZNS1_27merge_sort_block_merge_implIS3_PsN6thrust23THRUST_200600_302600_NS10device_ptrIlEEjNS1_19radix_merge_compareILb0ELb0EsNS0_19identity_decomposerEEEEE10hipError_tT0_T1_T2_jT3_P12ihipStream_tbPNSt15iterator_traitsISG_E10value_typeEPNSM_ISH_E10value_typeEPSI_NS1_7vsmem_tEENKUlT_SG_SH_SI_E_clIS7_S7_SB_PlEESF_SV_SG_SH_SI_EUlSV_E1_NS1_11comp_targetILNS1_3genE2ELNS1_11target_archE906ELNS1_3gpuE6ELNS1_3repE0EEENS1_36merge_oddeven_config_static_selectorELNS0_4arch9wavefront6targetE1EEEvSH_.kd
    .uniform_work_group_size: 1
    .uses_dynamic_stack: false
    .vgpr_count:     0
    .vgpr_spill_count: 0
    .wavefront_size: 64
  - .agpr_count:     0
    .args:
      - .offset:         0
        .size:           48
        .value_kind:     by_value
    .group_segment_fixed_size: 0
    .kernarg_segment_align: 8
    .kernarg_segment_size: 48
    .language:       OpenCL C
    .language_version:
      - 2
      - 0
    .max_flat_workgroup_size: 256
    .name:           _ZN7rocprim17ROCPRIM_400000_NS6detail17trampoline_kernelINS0_14default_configENS1_38merge_sort_block_merge_config_selectorIslEEZZNS1_27merge_sort_block_merge_implIS3_PsN6thrust23THRUST_200600_302600_NS10device_ptrIlEEjNS1_19radix_merge_compareILb0ELb0EsNS0_19identity_decomposerEEEEE10hipError_tT0_T1_T2_jT3_P12ihipStream_tbPNSt15iterator_traitsISG_E10value_typeEPNSM_ISH_E10value_typeEPSI_NS1_7vsmem_tEENKUlT_SG_SH_SI_E_clIS7_S7_SB_PlEESF_SV_SG_SH_SI_EUlSV_E1_NS1_11comp_targetILNS1_3genE9ELNS1_11target_archE1100ELNS1_3gpuE3ELNS1_3repE0EEENS1_36merge_oddeven_config_static_selectorELNS0_4arch9wavefront6targetE1EEEvSH_
    .private_segment_fixed_size: 0
    .sgpr_count:     4
    .sgpr_spill_count: 0
    .symbol:         _ZN7rocprim17ROCPRIM_400000_NS6detail17trampoline_kernelINS0_14default_configENS1_38merge_sort_block_merge_config_selectorIslEEZZNS1_27merge_sort_block_merge_implIS3_PsN6thrust23THRUST_200600_302600_NS10device_ptrIlEEjNS1_19radix_merge_compareILb0ELb0EsNS0_19identity_decomposerEEEEE10hipError_tT0_T1_T2_jT3_P12ihipStream_tbPNSt15iterator_traitsISG_E10value_typeEPNSM_ISH_E10value_typeEPSI_NS1_7vsmem_tEENKUlT_SG_SH_SI_E_clIS7_S7_SB_PlEESF_SV_SG_SH_SI_EUlSV_E1_NS1_11comp_targetILNS1_3genE9ELNS1_11target_archE1100ELNS1_3gpuE3ELNS1_3repE0EEENS1_36merge_oddeven_config_static_selectorELNS0_4arch9wavefront6targetE1EEEvSH_.kd
    .uniform_work_group_size: 1
    .uses_dynamic_stack: false
    .vgpr_count:     0
    .vgpr_spill_count: 0
    .wavefront_size: 64
  - .agpr_count:     0
    .args:
      - .offset:         0
        .size:           48
        .value_kind:     by_value
    .group_segment_fixed_size: 0
    .kernarg_segment_align: 8
    .kernarg_segment_size: 48
    .language:       OpenCL C
    .language_version:
      - 2
      - 0
    .max_flat_workgroup_size: 256
    .name:           _ZN7rocprim17ROCPRIM_400000_NS6detail17trampoline_kernelINS0_14default_configENS1_38merge_sort_block_merge_config_selectorIslEEZZNS1_27merge_sort_block_merge_implIS3_PsN6thrust23THRUST_200600_302600_NS10device_ptrIlEEjNS1_19radix_merge_compareILb0ELb0EsNS0_19identity_decomposerEEEEE10hipError_tT0_T1_T2_jT3_P12ihipStream_tbPNSt15iterator_traitsISG_E10value_typeEPNSM_ISH_E10value_typeEPSI_NS1_7vsmem_tEENKUlT_SG_SH_SI_E_clIS7_S7_SB_PlEESF_SV_SG_SH_SI_EUlSV_E1_NS1_11comp_targetILNS1_3genE8ELNS1_11target_archE1030ELNS1_3gpuE2ELNS1_3repE0EEENS1_36merge_oddeven_config_static_selectorELNS0_4arch9wavefront6targetE1EEEvSH_
    .private_segment_fixed_size: 0
    .sgpr_count:     4
    .sgpr_spill_count: 0
    .symbol:         _ZN7rocprim17ROCPRIM_400000_NS6detail17trampoline_kernelINS0_14default_configENS1_38merge_sort_block_merge_config_selectorIslEEZZNS1_27merge_sort_block_merge_implIS3_PsN6thrust23THRUST_200600_302600_NS10device_ptrIlEEjNS1_19radix_merge_compareILb0ELb0EsNS0_19identity_decomposerEEEEE10hipError_tT0_T1_T2_jT3_P12ihipStream_tbPNSt15iterator_traitsISG_E10value_typeEPNSM_ISH_E10value_typeEPSI_NS1_7vsmem_tEENKUlT_SG_SH_SI_E_clIS7_S7_SB_PlEESF_SV_SG_SH_SI_EUlSV_E1_NS1_11comp_targetILNS1_3genE8ELNS1_11target_archE1030ELNS1_3gpuE2ELNS1_3repE0EEENS1_36merge_oddeven_config_static_selectorELNS0_4arch9wavefront6targetE1EEEvSH_.kd
    .uniform_work_group_size: 1
    .uses_dynamic_stack: false
    .vgpr_count:     0
    .vgpr_spill_count: 0
    .wavefront_size: 64
  - .agpr_count:     0
    .args:
      - .offset:         0
        .size:           40
        .value_kind:     by_value
    .group_segment_fixed_size: 0
    .kernarg_segment_align: 8
    .kernarg_segment_size: 40
    .language:       OpenCL C
    .language_version:
      - 2
      - 0
    .max_flat_workgroup_size: 128
    .name:           _ZN7rocprim17ROCPRIM_400000_NS6detail17trampoline_kernelINS0_14default_configENS1_25transform_config_selectorIsLb1EEEZNS1_14transform_implILb1ES3_S5_PsS7_NS0_8identityIsEEEE10hipError_tT2_T3_mT4_P12ihipStream_tbEUlT_E_NS1_11comp_targetILNS1_3genE0ELNS1_11target_archE4294967295ELNS1_3gpuE0ELNS1_3repE0EEENS1_30default_config_static_selectorELNS0_4arch9wavefront6targetE1EEEvT1_
    .private_segment_fixed_size: 0
    .sgpr_count:     4
    .sgpr_spill_count: 0
    .symbol:         _ZN7rocprim17ROCPRIM_400000_NS6detail17trampoline_kernelINS0_14default_configENS1_25transform_config_selectorIsLb1EEEZNS1_14transform_implILb1ES3_S5_PsS7_NS0_8identityIsEEEE10hipError_tT2_T3_mT4_P12ihipStream_tbEUlT_E_NS1_11comp_targetILNS1_3genE0ELNS1_11target_archE4294967295ELNS1_3gpuE0ELNS1_3repE0EEENS1_30default_config_static_selectorELNS0_4arch9wavefront6targetE1EEEvT1_.kd
    .uniform_work_group_size: 1
    .uses_dynamic_stack: false
    .vgpr_count:     0
    .vgpr_spill_count: 0
    .wavefront_size: 64
  - .agpr_count:     0
    .args:
      - .offset:         0
        .size:           40
        .value_kind:     by_value
    .group_segment_fixed_size: 0
    .kernarg_segment_align: 8
    .kernarg_segment_size: 40
    .language:       OpenCL C
    .language_version:
      - 2
      - 0
    .max_flat_workgroup_size: 64
    .name:           _ZN7rocprim17ROCPRIM_400000_NS6detail17trampoline_kernelINS0_14default_configENS1_25transform_config_selectorIsLb1EEEZNS1_14transform_implILb1ES3_S5_PsS7_NS0_8identityIsEEEE10hipError_tT2_T3_mT4_P12ihipStream_tbEUlT_E_NS1_11comp_targetILNS1_3genE10ELNS1_11target_archE1201ELNS1_3gpuE5ELNS1_3repE0EEENS1_30default_config_static_selectorELNS0_4arch9wavefront6targetE1EEEvT1_
    .private_segment_fixed_size: 0
    .sgpr_count:     4
    .sgpr_spill_count: 0
    .symbol:         _ZN7rocprim17ROCPRIM_400000_NS6detail17trampoline_kernelINS0_14default_configENS1_25transform_config_selectorIsLb1EEEZNS1_14transform_implILb1ES3_S5_PsS7_NS0_8identityIsEEEE10hipError_tT2_T3_mT4_P12ihipStream_tbEUlT_E_NS1_11comp_targetILNS1_3genE10ELNS1_11target_archE1201ELNS1_3gpuE5ELNS1_3repE0EEENS1_30default_config_static_selectorELNS0_4arch9wavefront6targetE1EEEvT1_.kd
    .uniform_work_group_size: 1
    .uses_dynamic_stack: false
    .vgpr_count:     0
    .vgpr_spill_count: 0
    .wavefront_size: 64
  - .agpr_count:     0
    .args:
      - .offset:         0
        .size:           40
        .value_kind:     by_value
    .group_segment_fixed_size: 0
    .kernarg_segment_align: 8
    .kernarg_segment_size: 40
    .language:       OpenCL C
    .language_version:
      - 2
      - 0
    .max_flat_workgroup_size: 256
    .name:           _ZN7rocprim17ROCPRIM_400000_NS6detail17trampoline_kernelINS0_14default_configENS1_25transform_config_selectorIsLb1EEEZNS1_14transform_implILb1ES3_S5_PsS7_NS0_8identityIsEEEE10hipError_tT2_T3_mT4_P12ihipStream_tbEUlT_E_NS1_11comp_targetILNS1_3genE5ELNS1_11target_archE942ELNS1_3gpuE9ELNS1_3repE0EEENS1_30default_config_static_selectorELNS0_4arch9wavefront6targetE1EEEvT1_
    .private_segment_fixed_size: 0
    .sgpr_count:     4
    .sgpr_spill_count: 0
    .symbol:         _ZN7rocprim17ROCPRIM_400000_NS6detail17trampoline_kernelINS0_14default_configENS1_25transform_config_selectorIsLb1EEEZNS1_14transform_implILb1ES3_S5_PsS7_NS0_8identityIsEEEE10hipError_tT2_T3_mT4_P12ihipStream_tbEUlT_E_NS1_11comp_targetILNS1_3genE5ELNS1_11target_archE942ELNS1_3gpuE9ELNS1_3repE0EEENS1_30default_config_static_selectorELNS0_4arch9wavefront6targetE1EEEvT1_.kd
    .uniform_work_group_size: 1
    .uses_dynamic_stack: false
    .vgpr_count:     0
    .vgpr_spill_count: 0
    .wavefront_size: 64
  - .agpr_count:     0
    .args:
      - .offset:         0
        .size:           40
        .value_kind:     by_value
      - .offset:         40
        .size:           4
        .value_kind:     hidden_block_count_x
      - .offset:         44
        .size:           4
        .value_kind:     hidden_block_count_y
      - .offset:         48
        .size:           4
        .value_kind:     hidden_block_count_z
      - .offset:         52
        .size:           2
        .value_kind:     hidden_group_size_x
      - .offset:         54
        .size:           2
        .value_kind:     hidden_group_size_y
      - .offset:         56
        .size:           2
        .value_kind:     hidden_group_size_z
      - .offset:         58
        .size:           2
        .value_kind:     hidden_remainder_x
      - .offset:         60
        .size:           2
        .value_kind:     hidden_remainder_y
      - .offset:         62
        .size:           2
        .value_kind:     hidden_remainder_z
      - .offset:         80
        .size:           8
        .value_kind:     hidden_global_offset_x
      - .offset:         88
        .size:           8
        .value_kind:     hidden_global_offset_y
      - .offset:         96
        .size:           8
        .value_kind:     hidden_global_offset_z
      - .offset:         104
        .size:           2
        .value_kind:     hidden_grid_dims
    .group_segment_fixed_size: 0
    .kernarg_segment_align: 8
    .kernarg_segment_size: 296
    .language:       OpenCL C
    .language_version:
      - 2
      - 0
    .max_flat_workgroup_size: 1024
    .name:           _ZN7rocprim17ROCPRIM_400000_NS6detail17trampoline_kernelINS0_14default_configENS1_25transform_config_selectorIsLb1EEEZNS1_14transform_implILb1ES3_S5_PsS7_NS0_8identityIsEEEE10hipError_tT2_T3_mT4_P12ihipStream_tbEUlT_E_NS1_11comp_targetILNS1_3genE4ELNS1_11target_archE910ELNS1_3gpuE8ELNS1_3repE0EEENS1_30default_config_static_selectorELNS0_4arch9wavefront6targetE1EEEvT1_
    .private_segment_fixed_size: 0
    .sgpr_count:     26
    .sgpr_spill_count: 0
    .symbol:         _ZN7rocprim17ROCPRIM_400000_NS6detail17trampoline_kernelINS0_14default_configENS1_25transform_config_selectorIsLb1EEEZNS1_14transform_implILb1ES3_S5_PsS7_NS0_8identityIsEEEE10hipError_tT2_T3_mT4_P12ihipStream_tbEUlT_E_NS1_11comp_targetILNS1_3genE4ELNS1_11target_archE910ELNS1_3gpuE8ELNS1_3repE0EEENS1_30default_config_static_selectorELNS0_4arch9wavefront6targetE1EEEvT1_.kd
    .uniform_work_group_size: 1
    .uses_dynamic_stack: false
    .vgpr_count:     8
    .vgpr_spill_count: 0
    .wavefront_size: 64
  - .agpr_count:     0
    .args:
      - .offset:         0
        .size:           40
        .value_kind:     by_value
    .group_segment_fixed_size: 0
    .kernarg_segment_align: 8
    .kernarg_segment_size: 40
    .language:       OpenCL C
    .language_version:
      - 2
      - 0
    .max_flat_workgroup_size: 128
    .name:           _ZN7rocprim17ROCPRIM_400000_NS6detail17trampoline_kernelINS0_14default_configENS1_25transform_config_selectorIsLb1EEEZNS1_14transform_implILb1ES3_S5_PsS7_NS0_8identityIsEEEE10hipError_tT2_T3_mT4_P12ihipStream_tbEUlT_E_NS1_11comp_targetILNS1_3genE3ELNS1_11target_archE908ELNS1_3gpuE7ELNS1_3repE0EEENS1_30default_config_static_selectorELNS0_4arch9wavefront6targetE1EEEvT1_
    .private_segment_fixed_size: 0
    .sgpr_count:     4
    .sgpr_spill_count: 0
    .symbol:         _ZN7rocprim17ROCPRIM_400000_NS6detail17trampoline_kernelINS0_14default_configENS1_25transform_config_selectorIsLb1EEEZNS1_14transform_implILb1ES3_S5_PsS7_NS0_8identityIsEEEE10hipError_tT2_T3_mT4_P12ihipStream_tbEUlT_E_NS1_11comp_targetILNS1_3genE3ELNS1_11target_archE908ELNS1_3gpuE7ELNS1_3repE0EEENS1_30default_config_static_selectorELNS0_4arch9wavefront6targetE1EEEvT1_.kd
    .uniform_work_group_size: 1
    .uses_dynamic_stack: false
    .vgpr_count:     0
    .vgpr_spill_count: 0
    .wavefront_size: 64
  - .agpr_count:     0
    .args:
      - .offset:         0
        .size:           40
        .value_kind:     by_value
    .group_segment_fixed_size: 0
    .kernarg_segment_align: 8
    .kernarg_segment_size: 40
    .language:       OpenCL C
    .language_version:
      - 2
      - 0
    .max_flat_workgroup_size: 1024
    .name:           _ZN7rocprim17ROCPRIM_400000_NS6detail17trampoline_kernelINS0_14default_configENS1_25transform_config_selectorIsLb1EEEZNS1_14transform_implILb1ES3_S5_PsS7_NS0_8identityIsEEEE10hipError_tT2_T3_mT4_P12ihipStream_tbEUlT_E_NS1_11comp_targetILNS1_3genE2ELNS1_11target_archE906ELNS1_3gpuE6ELNS1_3repE0EEENS1_30default_config_static_selectorELNS0_4arch9wavefront6targetE1EEEvT1_
    .private_segment_fixed_size: 0
    .sgpr_count:     4
    .sgpr_spill_count: 0
    .symbol:         _ZN7rocprim17ROCPRIM_400000_NS6detail17trampoline_kernelINS0_14default_configENS1_25transform_config_selectorIsLb1EEEZNS1_14transform_implILb1ES3_S5_PsS7_NS0_8identityIsEEEE10hipError_tT2_T3_mT4_P12ihipStream_tbEUlT_E_NS1_11comp_targetILNS1_3genE2ELNS1_11target_archE906ELNS1_3gpuE6ELNS1_3repE0EEENS1_30default_config_static_selectorELNS0_4arch9wavefront6targetE1EEEvT1_.kd
    .uniform_work_group_size: 1
    .uses_dynamic_stack: false
    .vgpr_count:     0
    .vgpr_spill_count: 0
    .wavefront_size: 64
  - .agpr_count:     0
    .args:
      - .offset:         0
        .size:           40
        .value_kind:     by_value
    .group_segment_fixed_size: 0
    .kernarg_segment_align: 8
    .kernarg_segment_size: 40
    .language:       OpenCL C
    .language_version:
      - 2
      - 0
    .max_flat_workgroup_size: 1024
    .name:           _ZN7rocprim17ROCPRIM_400000_NS6detail17trampoline_kernelINS0_14default_configENS1_25transform_config_selectorIsLb1EEEZNS1_14transform_implILb1ES3_S5_PsS7_NS0_8identityIsEEEE10hipError_tT2_T3_mT4_P12ihipStream_tbEUlT_E_NS1_11comp_targetILNS1_3genE9ELNS1_11target_archE1100ELNS1_3gpuE3ELNS1_3repE0EEENS1_30default_config_static_selectorELNS0_4arch9wavefront6targetE1EEEvT1_
    .private_segment_fixed_size: 0
    .sgpr_count:     4
    .sgpr_spill_count: 0
    .symbol:         _ZN7rocprim17ROCPRIM_400000_NS6detail17trampoline_kernelINS0_14default_configENS1_25transform_config_selectorIsLb1EEEZNS1_14transform_implILb1ES3_S5_PsS7_NS0_8identityIsEEEE10hipError_tT2_T3_mT4_P12ihipStream_tbEUlT_E_NS1_11comp_targetILNS1_3genE9ELNS1_11target_archE1100ELNS1_3gpuE3ELNS1_3repE0EEENS1_30default_config_static_selectorELNS0_4arch9wavefront6targetE1EEEvT1_.kd
    .uniform_work_group_size: 1
    .uses_dynamic_stack: false
    .vgpr_count:     0
    .vgpr_spill_count: 0
    .wavefront_size: 64
  - .agpr_count:     0
    .args:
      - .offset:         0
        .size:           40
        .value_kind:     by_value
    .group_segment_fixed_size: 0
    .kernarg_segment_align: 8
    .kernarg_segment_size: 40
    .language:       OpenCL C
    .language_version:
      - 2
      - 0
    .max_flat_workgroup_size: 1024
    .name:           _ZN7rocprim17ROCPRIM_400000_NS6detail17trampoline_kernelINS0_14default_configENS1_25transform_config_selectorIsLb1EEEZNS1_14transform_implILb1ES3_S5_PsS7_NS0_8identityIsEEEE10hipError_tT2_T3_mT4_P12ihipStream_tbEUlT_E_NS1_11comp_targetILNS1_3genE8ELNS1_11target_archE1030ELNS1_3gpuE2ELNS1_3repE0EEENS1_30default_config_static_selectorELNS0_4arch9wavefront6targetE1EEEvT1_
    .private_segment_fixed_size: 0
    .sgpr_count:     4
    .sgpr_spill_count: 0
    .symbol:         _ZN7rocprim17ROCPRIM_400000_NS6detail17trampoline_kernelINS0_14default_configENS1_25transform_config_selectorIsLb1EEEZNS1_14transform_implILb1ES3_S5_PsS7_NS0_8identityIsEEEE10hipError_tT2_T3_mT4_P12ihipStream_tbEUlT_E_NS1_11comp_targetILNS1_3genE8ELNS1_11target_archE1030ELNS1_3gpuE2ELNS1_3repE0EEENS1_30default_config_static_selectorELNS0_4arch9wavefront6targetE1EEEvT1_.kd
    .uniform_work_group_size: 1
    .uses_dynamic_stack: false
    .vgpr_count:     0
    .vgpr_spill_count: 0
    .wavefront_size: 64
  - .agpr_count:     0
    .args:
      - .offset:         0
        .size:           40
        .value_kind:     by_value
    .group_segment_fixed_size: 0
    .kernarg_segment_align: 8
    .kernarg_segment_size: 40
    .language:       OpenCL C
    .language_version:
      - 2
      - 0
    .max_flat_workgroup_size: 128
    .name:           _ZN7rocprim17ROCPRIM_400000_NS6detail17trampoline_kernelINS0_14default_configENS1_38merge_sort_block_merge_config_selectorIslEEZZNS1_27merge_sort_block_merge_implIS3_PsN6thrust23THRUST_200600_302600_NS10device_ptrIlEEjNS1_19radix_merge_compareILb0ELb1EsNS0_19identity_decomposerEEEEE10hipError_tT0_T1_T2_jT3_P12ihipStream_tbPNSt15iterator_traitsISG_E10value_typeEPNSM_ISH_E10value_typeEPSI_NS1_7vsmem_tEENKUlT_SG_SH_SI_E_clIS7_S7_PlSB_EESF_SV_SG_SH_SI_EUlSV_E_NS1_11comp_targetILNS1_3genE0ELNS1_11target_archE4294967295ELNS1_3gpuE0ELNS1_3repE0EEENS1_48merge_mergepath_partition_config_static_selectorELNS0_4arch9wavefront6targetE1EEEvSH_
    .private_segment_fixed_size: 0
    .sgpr_count:     4
    .sgpr_spill_count: 0
    .symbol:         _ZN7rocprim17ROCPRIM_400000_NS6detail17trampoline_kernelINS0_14default_configENS1_38merge_sort_block_merge_config_selectorIslEEZZNS1_27merge_sort_block_merge_implIS3_PsN6thrust23THRUST_200600_302600_NS10device_ptrIlEEjNS1_19radix_merge_compareILb0ELb1EsNS0_19identity_decomposerEEEEE10hipError_tT0_T1_T2_jT3_P12ihipStream_tbPNSt15iterator_traitsISG_E10value_typeEPNSM_ISH_E10value_typeEPSI_NS1_7vsmem_tEENKUlT_SG_SH_SI_E_clIS7_S7_PlSB_EESF_SV_SG_SH_SI_EUlSV_E_NS1_11comp_targetILNS1_3genE0ELNS1_11target_archE4294967295ELNS1_3gpuE0ELNS1_3repE0EEENS1_48merge_mergepath_partition_config_static_selectorELNS0_4arch9wavefront6targetE1EEEvSH_.kd
    .uniform_work_group_size: 1
    .uses_dynamic_stack: false
    .vgpr_count:     0
    .vgpr_spill_count: 0
    .wavefront_size: 64
  - .agpr_count:     0
    .args:
      - .offset:         0
        .size:           40
        .value_kind:     by_value
    .group_segment_fixed_size: 0
    .kernarg_segment_align: 8
    .kernarg_segment_size: 40
    .language:       OpenCL C
    .language_version:
      - 2
      - 0
    .max_flat_workgroup_size: 128
    .name:           _ZN7rocprim17ROCPRIM_400000_NS6detail17trampoline_kernelINS0_14default_configENS1_38merge_sort_block_merge_config_selectorIslEEZZNS1_27merge_sort_block_merge_implIS3_PsN6thrust23THRUST_200600_302600_NS10device_ptrIlEEjNS1_19radix_merge_compareILb0ELb1EsNS0_19identity_decomposerEEEEE10hipError_tT0_T1_T2_jT3_P12ihipStream_tbPNSt15iterator_traitsISG_E10value_typeEPNSM_ISH_E10value_typeEPSI_NS1_7vsmem_tEENKUlT_SG_SH_SI_E_clIS7_S7_PlSB_EESF_SV_SG_SH_SI_EUlSV_E_NS1_11comp_targetILNS1_3genE10ELNS1_11target_archE1201ELNS1_3gpuE5ELNS1_3repE0EEENS1_48merge_mergepath_partition_config_static_selectorELNS0_4arch9wavefront6targetE1EEEvSH_
    .private_segment_fixed_size: 0
    .sgpr_count:     4
    .sgpr_spill_count: 0
    .symbol:         _ZN7rocprim17ROCPRIM_400000_NS6detail17trampoline_kernelINS0_14default_configENS1_38merge_sort_block_merge_config_selectorIslEEZZNS1_27merge_sort_block_merge_implIS3_PsN6thrust23THRUST_200600_302600_NS10device_ptrIlEEjNS1_19radix_merge_compareILb0ELb1EsNS0_19identity_decomposerEEEEE10hipError_tT0_T1_T2_jT3_P12ihipStream_tbPNSt15iterator_traitsISG_E10value_typeEPNSM_ISH_E10value_typeEPSI_NS1_7vsmem_tEENKUlT_SG_SH_SI_E_clIS7_S7_PlSB_EESF_SV_SG_SH_SI_EUlSV_E_NS1_11comp_targetILNS1_3genE10ELNS1_11target_archE1201ELNS1_3gpuE5ELNS1_3repE0EEENS1_48merge_mergepath_partition_config_static_selectorELNS0_4arch9wavefront6targetE1EEEvSH_.kd
    .uniform_work_group_size: 1
    .uses_dynamic_stack: false
    .vgpr_count:     0
    .vgpr_spill_count: 0
    .wavefront_size: 64
  - .agpr_count:     0
    .args:
      - .offset:         0
        .size:           40
        .value_kind:     by_value
    .group_segment_fixed_size: 0
    .kernarg_segment_align: 8
    .kernarg_segment_size: 40
    .language:       OpenCL C
    .language_version:
      - 2
      - 0
    .max_flat_workgroup_size: 128
    .name:           _ZN7rocprim17ROCPRIM_400000_NS6detail17trampoline_kernelINS0_14default_configENS1_38merge_sort_block_merge_config_selectorIslEEZZNS1_27merge_sort_block_merge_implIS3_PsN6thrust23THRUST_200600_302600_NS10device_ptrIlEEjNS1_19radix_merge_compareILb0ELb1EsNS0_19identity_decomposerEEEEE10hipError_tT0_T1_T2_jT3_P12ihipStream_tbPNSt15iterator_traitsISG_E10value_typeEPNSM_ISH_E10value_typeEPSI_NS1_7vsmem_tEENKUlT_SG_SH_SI_E_clIS7_S7_PlSB_EESF_SV_SG_SH_SI_EUlSV_E_NS1_11comp_targetILNS1_3genE5ELNS1_11target_archE942ELNS1_3gpuE9ELNS1_3repE0EEENS1_48merge_mergepath_partition_config_static_selectorELNS0_4arch9wavefront6targetE1EEEvSH_
    .private_segment_fixed_size: 0
    .sgpr_count:     4
    .sgpr_spill_count: 0
    .symbol:         _ZN7rocprim17ROCPRIM_400000_NS6detail17trampoline_kernelINS0_14default_configENS1_38merge_sort_block_merge_config_selectorIslEEZZNS1_27merge_sort_block_merge_implIS3_PsN6thrust23THRUST_200600_302600_NS10device_ptrIlEEjNS1_19radix_merge_compareILb0ELb1EsNS0_19identity_decomposerEEEEE10hipError_tT0_T1_T2_jT3_P12ihipStream_tbPNSt15iterator_traitsISG_E10value_typeEPNSM_ISH_E10value_typeEPSI_NS1_7vsmem_tEENKUlT_SG_SH_SI_E_clIS7_S7_PlSB_EESF_SV_SG_SH_SI_EUlSV_E_NS1_11comp_targetILNS1_3genE5ELNS1_11target_archE942ELNS1_3gpuE9ELNS1_3repE0EEENS1_48merge_mergepath_partition_config_static_selectorELNS0_4arch9wavefront6targetE1EEEvSH_.kd
    .uniform_work_group_size: 1
    .uses_dynamic_stack: false
    .vgpr_count:     0
    .vgpr_spill_count: 0
    .wavefront_size: 64
  - .agpr_count:     0
    .args:
      - .offset:         0
        .size:           40
        .value_kind:     by_value
    .group_segment_fixed_size: 0
    .kernarg_segment_align: 8
    .kernarg_segment_size: 40
    .language:       OpenCL C
    .language_version:
      - 2
      - 0
    .max_flat_workgroup_size: 128
    .name:           _ZN7rocprim17ROCPRIM_400000_NS6detail17trampoline_kernelINS0_14default_configENS1_38merge_sort_block_merge_config_selectorIslEEZZNS1_27merge_sort_block_merge_implIS3_PsN6thrust23THRUST_200600_302600_NS10device_ptrIlEEjNS1_19radix_merge_compareILb0ELb1EsNS0_19identity_decomposerEEEEE10hipError_tT0_T1_T2_jT3_P12ihipStream_tbPNSt15iterator_traitsISG_E10value_typeEPNSM_ISH_E10value_typeEPSI_NS1_7vsmem_tEENKUlT_SG_SH_SI_E_clIS7_S7_PlSB_EESF_SV_SG_SH_SI_EUlSV_E_NS1_11comp_targetILNS1_3genE4ELNS1_11target_archE910ELNS1_3gpuE8ELNS1_3repE0EEENS1_48merge_mergepath_partition_config_static_selectorELNS0_4arch9wavefront6targetE1EEEvSH_
    .private_segment_fixed_size: 0
    .sgpr_count:     14
    .sgpr_spill_count: 0
    .symbol:         _ZN7rocprim17ROCPRIM_400000_NS6detail17trampoline_kernelINS0_14default_configENS1_38merge_sort_block_merge_config_selectorIslEEZZNS1_27merge_sort_block_merge_implIS3_PsN6thrust23THRUST_200600_302600_NS10device_ptrIlEEjNS1_19radix_merge_compareILb0ELb1EsNS0_19identity_decomposerEEEEE10hipError_tT0_T1_T2_jT3_P12ihipStream_tbPNSt15iterator_traitsISG_E10value_typeEPNSM_ISH_E10value_typeEPSI_NS1_7vsmem_tEENKUlT_SG_SH_SI_E_clIS7_S7_PlSB_EESF_SV_SG_SH_SI_EUlSV_E_NS1_11comp_targetILNS1_3genE4ELNS1_11target_archE910ELNS1_3gpuE8ELNS1_3repE0EEENS1_48merge_mergepath_partition_config_static_selectorELNS0_4arch9wavefront6targetE1EEEvSH_.kd
    .uniform_work_group_size: 1
    .uses_dynamic_stack: false
    .vgpr_count:     15
    .vgpr_spill_count: 0
    .wavefront_size: 64
  - .agpr_count:     0
    .args:
      - .offset:         0
        .size:           40
        .value_kind:     by_value
    .group_segment_fixed_size: 0
    .kernarg_segment_align: 8
    .kernarg_segment_size: 40
    .language:       OpenCL C
    .language_version:
      - 2
      - 0
    .max_flat_workgroup_size: 128
    .name:           _ZN7rocprim17ROCPRIM_400000_NS6detail17trampoline_kernelINS0_14default_configENS1_38merge_sort_block_merge_config_selectorIslEEZZNS1_27merge_sort_block_merge_implIS3_PsN6thrust23THRUST_200600_302600_NS10device_ptrIlEEjNS1_19radix_merge_compareILb0ELb1EsNS0_19identity_decomposerEEEEE10hipError_tT0_T1_T2_jT3_P12ihipStream_tbPNSt15iterator_traitsISG_E10value_typeEPNSM_ISH_E10value_typeEPSI_NS1_7vsmem_tEENKUlT_SG_SH_SI_E_clIS7_S7_PlSB_EESF_SV_SG_SH_SI_EUlSV_E_NS1_11comp_targetILNS1_3genE3ELNS1_11target_archE908ELNS1_3gpuE7ELNS1_3repE0EEENS1_48merge_mergepath_partition_config_static_selectorELNS0_4arch9wavefront6targetE1EEEvSH_
    .private_segment_fixed_size: 0
    .sgpr_count:     4
    .sgpr_spill_count: 0
    .symbol:         _ZN7rocprim17ROCPRIM_400000_NS6detail17trampoline_kernelINS0_14default_configENS1_38merge_sort_block_merge_config_selectorIslEEZZNS1_27merge_sort_block_merge_implIS3_PsN6thrust23THRUST_200600_302600_NS10device_ptrIlEEjNS1_19radix_merge_compareILb0ELb1EsNS0_19identity_decomposerEEEEE10hipError_tT0_T1_T2_jT3_P12ihipStream_tbPNSt15iterator_traitsISG_E10value_typeEPNSM_ISH_E10value_typeEPSI_NS1_7vsmem_tEENKUlT_SG_SH_SI_E_clIS7_S7_PlSB_EESF_SV_SG_SH_SI_EUlSV_E_NS1_11comp_targetILNS1_3genE3ELNS1_11target_archE908ELNS1_3gpuE7ELNS1_3repE0EEENS1_48merge_mergepath_partition_config_static_selectorELNS0_4arch9wavefront6targetE1EEEvSH_.kd
    .uniform_work_group_size: 1
    .uses_dynamic_stack: false
    .vgpr_count:     0
    .vgpr_spill_count: 0
    .wavefront_size: 64
  - .agpr_count:     0
    .args:
      - .offset:         0
        .size:           40
        .value_kind:     by_value
    .group_segment_fixed_size: 0
    .kernarg_segment_align: 8
    .kernarg_segment_size: 40
    .language:       OpenCL C
    .language_version:
      - 2
      - 0
    .max_flat_workgroup_size: 128
    .name:           _ZN7rocprim17ROCPRIM_400000_NS6detail17trampoline_kernelINS0_14default_configENS1_38merge_sort_block_merge_config_selectorIslEEZZNS1_27merge_sort_block_merge_implIS3_PsN6thrust23THRUST_200600_302600_NS10device_ptrIlEEjNS1_19radix_merge_compareILb0ELb1EsNS0_19identity_decomposerEEEEE10hipError_tT0_T1_T2_jT3_P12ihipStream_tbPNSt15iterator_traitsISG_E10value_typeEPNSM_ISH_E10value_typeEPSI_NS1_7vsmem_tEENKUlT_SG_SH_SI_E_clIS7_S7_PlSB_EESF_SV_SG_SH_SI_EUlSV_E_NS1_11comp_targetILNS1_3genE2ELNS1_11target_archE906ELNS1_3gpuE6ELNS1_3repE0EEENS1_48merge_mergepath_partition_config_static_selectorELNS0_4arch9wavefront6targetE1EEEvSH_
    .private_segment_fixed_size: 0
    .sgpr_count:     4
    .sgpr_spill_count: 0
    .symbol:         _ZN7rocprim17ROCPRIM_400000_NS6detail17trampoline_kernelINS0_14default_configENS1_38merge_sort_block_merge_config_selectorIslEEZZNS1_27merge_sort_block_merge_implIS3_PsN6thrust23THRUST_200600_302600_NS10device_ptrIlEEjNS1_19radix_merge_compareILb0ELb1EsNS0_19identity_decomposerEEEEE10hipError_tT0_T1_T2_jT3_P12ihipStream_tbPNSt15iterator_traitsISG_E10value_typeEPNSM_ISH_E10value_typeEPSI_NS1_7vsmem_tEENKUlT_SG_SH_SI_E_clIS7_S7_PlSB_EESF_SV_SG_SH_SI_EUlSV_E_NS1_11comp_targetILNS1_3genE2ELNS1_11target_archE906ELNS1_3gpuE6ELNS1_3repE0EEENS1_48merge_mergepath_partition_config_static_selectorELNS0_4arch9wavefront6targetE1EEEvSH_.kd
    .uniform_work_group_size: 1
    .uses_dynamic_stack: false
    .vgpr_count:     0
    .vgpr_spill_count: 0
    .wavefront_size: 64
  - .agpr_count:     0
    .args:
      - .offset:         0
        .size:           40
        .value_kind:     by_value
    .group_segment_fixed_size: 0
    .kernarg_segment_align: 8
    .kernarg_segment_size: 40
    .language:       OpenCL C
    .language_version:
      - 2
      - 0
    .max_flat_workgroup_size: 128
    .name:           _ZN7rocprim17ROCPRIM_400000_NS6detail17trampoline_kernelINS0_14default_configENS1_38merge_sort_block_merge_config_selectorIslEEZZNS1_27merge_sort_block_merge_implIS3_PsN6thrust23THRUST_200600_302600_NS10device_ptrIlEEjNS1_19radix_merge_compareILb0ELb1EsNS0_19identity_decomposerEEEEE10hipError_tT0_T1_T2_jT3_P12ihipStream_tbPNSt15iterator_traitsISG_E10value_typeEPNSM_ISH_E10value_typeEPSI_NS1_7vsmem_tEENKUlT_SG_SH_SI_E_clIS7_S7_PlSB_EESF_SV_SG_SH_SI_EUlSV_E_NS1_11comp_targetILNS1_3genE9ELNS1_11target_archE1100ELNS1_3gpuE3ELNS1_3repE0EEENS1_48merge_mergepath_partition_config_static_selectorELNS0_4arch9wavefront6targetE1EEEvSH_
    .private_segment_fixed_size: 0
    .sgpr_count:     4
    .sgpr_spill_count: 0
    .symbol:         _ZN7rocprim17ROCPRIM_400000_NS6detail17trampoline_kernelINS0_14default_configENS1_38merge_sort_block_merge_config_selectorIslEEZZNS1_27merge_sort_block_merge_implIS3_PsN6thrust23THRUST_200600_302600_NS10device_ptrIlEEjNS1_19radix_merge_compareILb0ELb1EsNS0_19identity_decomposerEEEEE10hipError_tT0_T1_T2_jT3_P12ihipStream_tbPNSt15iterator_traitsISG_E10value_typeEPNSM_ISH_E10value_typeEPSI_NS1_7vsmem_tEENKUlT_SG_SH_SI_E_clIS7_S7_PlSB_EESF_SV_SG_SH_SI_EUlSV_E_NS1_11comp_targetILNS1_3genE9ELNS1_11target_archE1100ELNS1_3gpuE3ELNS1_3repE0EEENS1_48merge_mergepath_partition_config_static_selectorELNS0_4arch9wavefront6targetE1EEEvSH_.kd
    .uniform_work_group_size: 1
    .uses_dynamic_stack: false
    .vgpr_count:     0
    .vgpr_spill_count: 0
    .wavefront_size: 64
  - .agpr_count:     0
    .args:
      - .offset:         0
        .size:           40
        .value_kind:     by_value
    .group_segment_fixed_size: 0
    .kernarg_segment_align: 8
    .kernarg_segment_size: 40
    .language:       OpenCL C
    .language_version:
      - 2
      - 0
    .max_flat_workgroup_size: 128
    .name:           _ZN7rocprim17ROCPRIM_400000_NS6detail17trampoline_kernelINS0_14default_configENS1_38merge_sort_block_merge_config_selectorIslEEZZNS1_27merge_sort_block_merge_implIS3_PsN6thrust23THRUST_200600_302600_NS10device_ptrIlEEjNS1_19radix_merge_compareILb0ELb1EsNS0_19identity_decomposerEEEEE10hipError_tT0_T1_T2_jT3_P12ihipStream_tbPNSt15iterator_traitsISG_E10value_typeEPNSM_ISH_E10value_typeEPSI_NS1_7vsmem_tEENKUlT_SG_SH_SI_E_clIS7_S7_PlSB_EESF_SV_SG_SH_SI_EUlSV_E_NS1_11comp_targetILNS1_3genE8ELNS1_11target_archE1030ELNS1_3gpuE2ELNS1_3repE0EEENS1_48merge_mergepath_partition_config_static_selectorELNS0_4arch9wavefront6targetE1EEEvSH_
    .private_segment_fixed_size: 0
    .sgpr_count:     4
    .sgpr_spill_count: 0
    .symbol:         _ZN7rocprim17ROCPRIM_400000_NS6detail17trampoline_kernelINS0_14default_configENS1_38merge_sort_block_merge_config_selectorIslEEZZNS1_27merge_sort_block_merge_implIS3_PsN6thrust23THRUST_200600_302600_NS10device_ptrIlEEjNS1_19radix_merge_compareILb0ELb1EsNS0_19identity_decomposerEEEEE10hipError_tT0_T1_T2_jT3_P12ihipStream_tbPNSt15iterator_traitsISG_E10value_typeEPNSM_ISH_E10value_typeEPSI_NS1_7vsmem_tEENKUlT_SG_SH_SI_E_clIS7_S7_PlSB_EESF_SV_SG_SH_SI_EUlSV_E_NS1_11comp_targetILNS1_3genE8ELNS1_11target_archE1030ELNS1_3gpuE2ELNS1_3repE0EEENS1_48merge_mergepath_partition_config_static_selectorELNS0_4arch9wavefront6targetE1EEEvSH_.kd
    .uniform_work_group_size: 1
    .uses_dynamic_stack: false
    .vgpr_count:     0
    .vgpr_spill_count: 0
    .wavefront_size: 64
  - .agpr_count:     0
    .args:
      - .offset:         0
        .size:           64
        .value_kind:     by_value
    .group_segment_fixed_size: 0
    .kernarg_segment_align: 8
    .kernarg_segment_size: 64
    .language:       OpenCL C
    .language_version:
      - 2
      - 0
    .max_flat_workgroup_size: 256
    .name:           _ZN7rocprim17ROCPRIM_400000_NS6detail17trampoline_kernelINS0_14default_configENS1_38merge_sort_block_merge_config_selectorIslEEZZNS1_27merge_sort_block_merge_implIS3_PsN6thrust23THRUST_200600_302600_NS10device_ptrIlEEjNS1_19radix_merge_compareILb0ELb1EsNS0_19identity_decomposerEEEEE10hipError_tT0_T1_T2_jT3_P12ihipStream_tbPNSt15iterator_traitsISG_E10value_typeEPNSM_ISH_E10value_typeEPSI_NS1_7vsmem_tEENKUlT_SG_SH_SI_E_clIS7_S7_PlSB_EESF_SV_SG_SH_SI_EUlSV_E0_NS1_11comp_targetILNS1_3genE0ELNS1_11target_archE4294967295ELNS1_3gpuE0ELNS1_3repE0EEENS1_38merge_mergepath_config_static_selectorELNS0_4arch9wavefront6targetE1EEEvSH_
    .private_segment_fixed_size: 0
    .sgpr_count:     4
    .sgpr_spill_count: 0
    .symbol:         _ZN7rocprim17ROCPRIM_400000_NS6detail17trampoline_kernelINS0_14default_configENS1_38merge_sort_block_merge_config_selectorIslEEZZNS1_27merge_sort_block_merge_implIS3_PsN6thrust23THRUST_200600_302600_NS10device_ptrIlEEjNS1_19radix_merge_compareILb0ELb1EsNS0_19identity_decomposerEEEEE10hipError_tT0_T1_T2_jT3_P12ihipStream_tbPNSt15iterator_traitsISG_E10value_typeEPNSM_ISH_E10value_typeEPSI_NS1_7vsmem_tEENKUlT_SG_SH_SI_E_clIS7_S7_PlSB_EESF_SV_SG_SH_SI_EUlSV_E0_NS1_11comp_targetILNS1_3genE0ELNS1_11target_archE4294967295ELNS1_3gpuE0ELNS1_3repE0EEENS1_38merge_mergepath_config_static_selectorELNS0_4arch9wavefront6targetE1EEEvSH_.kd
    .uniform_work_group_size: 1
    .uses_dynamic_stack: false
    .vgpr_count:     0
    .vgpr_spill_count: 0
    .wavefront_size: 64
  - .agpr_count:     0
    .args:
      - .offset:         0
        .size:           64
        .value_kind:     by_value
    .group_segment_fixed_size: 0
    .kernarg_segment_align: 8
    .kernarg_segment_size: 64
    .language:       OpenCL C
    .language_version:
      - 2
      - 0
    .max_flat_workgroup_size: 512
    .name:           _ZN7rocprim17ROCPRIM_400000_NS6detail17trampoline_kernelINS0_14default_configENS1_38merge_sort_block_merge_config_selectorIslEEZZNS1_27merge_sort_block_merge_implIS3_PsN6thrust23THRUST_200600_302600_NS10device_ptrIlEEjNS1_19radix_merge_compareILb0ELb1EsNS0_19identity_decomposerEEEEE10hipError_tT0_T1_T2_jT3_P12ihipStream_tbPNSt15iterator_traitsISG_E10value_typeEPNSM_ISH_E10value_typeEPSI_NS1_7vsmem_tEENKUlT_SG_SH_SI_E_clIS7_S7_PlSB_EESF_SV_SG_SH_SI_EUlSV_E0_NS1_11comp_targetILNS1_3genE10ELNS1_11target_archE1201ELNS1_3gpuE5ELNS1_3repE0EEENS1_38merge_mergepath_config_static_selectorELNS0_4arch9wavefront6targetE1EEEvSH_
    .private_segment_fixed_size: 0
    .sgpr_count:     4
    .sgpr_spill_count: 0
    .symbol:         _ZN7rocprim17ROCPRIM_400000_NS6detail17trampoline_kernelINS0_14default_configENS1_38merge_sort_block_merge_config_selectorIslEEZZNS1_27merge_sort_block_merge_implIS3_PsN6thrust23THRUST_200600_302600_NS10device_ptrIlEEjNS1_19radix_merge_compareILb0ELb1EsNS0_19identity_decomposerEEEEE10hipError_tT0_T1_T2_jT3_P12ihipStream_tbPNSt15iterator_traitsISG_E10value_typeEPNSM_ISH_E10value_typeEPSI_NS1_7vsmem_tEENKUlT_SG_SH_SI_E_clIS7_S7_PlSB_EESF_SV_SG_SH_SI_EUlSV_E0_NS1_11comp_targetILNS1_3genE10ELNS1_11target_archE1201ELNS1_3gpuE5ELNS1_3repE0EEENS1_38merge_mergepath_config_static_selectorELNS0_4arch9wavefront6targetE1EEEvSH_.kd
    .uniform_work_group_size: 1
    .uses_dynamic_stack: false
    .vgpr_count:     0
    .vgpr_spill_count: 0
    .wavefront_size: 64
  - .agpr_count:     0
    .args:
      - .offset:         0
        .size:           64
        .value_kind:     by_value
    .group_segment_fixed_size: 0
    .kernarg_segment_align: 8
    .kernarg_segment_size: 64
    .language:       OpenCL C
    .language_version:
      - 2
      - 0
    .max_flat_workgroup_size: 256
    .name:           _ZN7rocprim17ROCPRIM_400000_NS6detail17trampoline_kernelINS0_14default_configENS1_38merge_sort_block_merge_config_selectorIslEEZZNS1_27merge_sort_block_merge_implIS3_PsN6thrust23THRUST_200600_302600_NS10device_ptrIlEEjNS1_19radix_merge_compareILb0ELb1EsNS0_19identity_decomposerEEEEE10hipError_tT0_T1_T2_jT3_P12ihipStream_tbPNSt15iterator_traitsISG_E10value_typeEPNSM_ISH_E10value_typeEPSI_NS1_7vsmem_tEENKUlT_SG_SH_SI_E_clIS7_S7_PlSB_EESF_SV_SG_SH_SI_EUlSV_E0_NS1_11comp_targetILNS1_3genE5ELNS1_11target_archE942ELNS1_3gpuE9ELNS1_3repE0EEENS1_38merge_mergepath_config_static_selectorELNS0_4arch9wavefront6targetE1EEEvSH_
    .private_segment_fixed_size: 0
    .sgpr_count:     4
    .sgpr_spill_count: 0
    .symbol:         _ZN7rocprim17ROCPRIM_400000_NS6detail17trampoline_kernelINS0_14default_configENS1_38merge_sort_block_merge_config_selectorIslEEZZNS1_27merge_sort_block_merge_implIS3_PsN6thrust23THRUST_200600_302600_NS10device_ptrIlEEjNS1_19radix_merge_compareILb0ELb1EsNS0_19identity_decomposerEEEEE10hipError_tT0_T1_T2_jT3_P12ihipStream_tbPNSt15iterator_traitsISG_E10value_typeEPNSM_ISH_E10value_typeEPSI_NS1_7vsmem_tEENKUlT_SG_SH_SI_E_clIS7_S7_PlSB_EESF_SV_SG_SH_SI_EUlSV_E0_NS1_11comp_targetILNS1_3genE5ELNS1_11target_archE942ELNS1_3gpuE9ELNS1_3repE0EEENS1_38merge_mergepath_config_static_selectorELNS0_4arch9wavefront6targetE1EEEvSH_.kd
    .uniform_work_group_size: 1
    .uses_dynamic_stack: false
    .vgpr_count:     0
    .vgpr_spill_count: 0
    .wavefront_size: 64
  - .agpr_count:     0
    .args:
      - .offset:         0
        .size:           64
        .value_kind:     by_value
      - .offset:         64
        .size:           4
        .value_kind:     hidden_block_count_x
      - .offset:         68
        .size:           4
        .value_kind:     hidden_block_count_y
      - .offset:         72
        .size:           4
        .value_kind:     hidden_block_count_z
      - .offset:         76
        .size:           2
        .value_kind:     hidden_group_size_x
      - .offset:         78
        .size:           2
        .value_kind:     hidden_group_size_y
      - .offset:         80
        .size:           2
        .value_kind:     hidden_group_size_z
      - .offset:         82
        .size:           2
        .value_kind:     hidden_remainder_x
      - .offset:         84
        .size:           2
        .value_kind:     hidden_remainder_y
      - .offset:         86
        .size:           2
        .value_kind:     hidden_remainder_z
      - .offset:         104
        .size:           8
        .value_kind:     hidden_global_offset_x
      - .offset:         112
        .size:           8
        .value_kind:     hidden_global_offset_y
      - .offset:         120
        .size:           8
        .value_kind:     hidden_global_offset_z
      - .offset:         128
        .size:           2
        .value_kind:     hidden_grid_dims
    .group_segment_fixed_size: 8448
    .kernarg_segment_align: 8
    .kernarg_segment_size: 320
    .language:       OpenCL C
    .language_version:
      - 2
      - 0
    .max_flat_workgroup_size: 256
    .name:           _ZN7rocprim17ROCPRIM_400000_NS6detail17trampoline_kernelINS0_14default_configENS1_38merge_sort_block_merge_config_selectorIslEEZZNS1_27merge_sort_block_merge_implIS3_PsN6thrust23THRUST_200600_302600_NS10device_ptrIlEEjNS1_19radix_merge_compareILb0ELb1EsNS0_19identity_decomposerEEEEE10hipError_tT0_T1_T2_jT3_P12ihipStream_tbPNSt15iterator_traitsISG_E10value_typeEPNSM_ISH_E10value_typeEPSI_NS1_7vsmem_tEENKUlT_SG_SH_SI_E_clIS7_S7_PlSB_EESF_SV_SG_SH_SI_EUlSV_E0_NS1_11comp_targetILNS1_3genE4ELNS1_11target_archE910ELNS1_3gpuE8ELNS1_3repE0EEENS1_38merge_mergepath_config_static_selectorELNS0_4arch9wavefront6targetE1EEEvSH_
    .private_segment_fixed_size: 0
    .sgpr_count:     36
    .sgpr_spill_count: 0
    .symbol:         _ZN7rocprim17ROCPRIM_400000_NS6detail17trampoline_kernelINS0_14default_configENS1_38merge_sort_block_merge_config_selectorIslEEZZNS1_27merge_sort_block_merge_implIS3_PsN6thrust23THRUST_200600_302600_NS10device_ptrIlEEjNS1_19radix_merge_compareILb0ELb1EsNS0_19identity_decomposerEEEEE10hipError_tT0_T1_T2_jT3_P12ihipStream_tbPNSt15iterator_traitsISG_E10value_typeEPNSM_ISH_E10value_typeEPSI_NS1_7vsmem_tEENKUlT_SG_SH_SI_E_clIS7_S7_PlSB_EESF_SV_SG_SH_SI_EUlSV_E0_NS1_11comp_targetILNS1_3genE4ELNS1_11target_archE910ELNS1_3gpuE8ELNS1_3repE0EEENS1_38merge_mergepath_config_static_selectorELNS0_4arch9wavefront6targetE1EEEvSH_.kd
    .uniform_work_group_size: 1
    .uses_dynamic_stack: false
    .vgpr_count:     36
    .vgpr_spill_count: 0
    .wavefront_size: 64
  - .agpr_count:     0
    .args:
      - .offset:         0
        .size:           64
        .value_kind:     by_value
    .group_segment_fixed_size: 0
    .kernarg_segment_align: 8
    .kernarg_segment_size: 64
    .language:       OpenCL C
    .language_version:
      - 2
      - 0
    .max_flat_workgroup_size: 256
    .name:           _ZN7rocprim17ROCPRIM_400000_NS6detail17trampoline_kernelINS0_14default_configENS1_38merge_sort_block_merge_config_selectorIslEEZZNS1_27merge_sort_block_merge_implIS3_PsN6thrust23THRUST_200600_302600_NS10device_ptrIlEEjNS1_19radix_merge_compareILb0ELb1EsNS0_19identity_decomposerEEEEE10hipError_tT0_T1_T2_jT3_P12ihipStream_tbPNSt15iterator_traitsISG_E10value_typeEPNSM_ISH_E10value_typeEPSI_NS1_7vsmem_tEENKUlT_SG_SH_SI_E_clIS7_S7_PlSB_EESF_SV_SG_SH_SI_EUlSV_E0_NS1_11comp_targetILNS1_3genE3ELNS1_11target_archE908ELNS1_3gpuE7ELNS1_3repE0EEENS1_38merge_mergepath_config_static_selectorELNS0_4arch9wavefront6targetE1EEEvSH_
    .private_segment_fixed_size: 0
    .sgpr_count:     4
    .sgpr_spill_count: 0
    .symbol:         _ZN7rocprim17ROCPRIM_400000_NS6detail17trampoline_kernelINS0_14default_configENS1_38merge_sort_block_merge_config_selectorIslEEZZNS1_27merge_sort_block_merge_implIS3_PsN6thrust23THRUST_200600_302600_NS10device_ptrIlEEjNS1_19radix_merge_compareILb0ELb1EsNS0_19identity_decomposerEEEEE10hipError_tT0_T1_T2_jT3_P12ihipStream_tbPNSt15iterator_traitsISG_E10value_typeEPNSM_ISH_E10value_typeEPSI_NS1_7vsmem_tEENKUlT_SG_SH_SI_E_clIS7_S7_PlSB_EESF_SV_SG_SH_SI_EUlSV_E0_NS1_11comp_targetILNS1_3genE3ELNS1_11target_archE908ELNS1_3gpuE7ELNS1_3repE0EEENS1_38merge_mergepath_config_static_selectorELNS0_4arch9wavefront6targetE1EEEvSH_.kd
    .uniform_work_group_size: 1
    .uses_dynamic_stack: false
    .vgpr_count:     0
    .vgpr_spill_count: 0
    .wavefront_size: 64
  - .agpr_count:     0
    .args:
      - .offset:         0
        .size:           64
        .value_kind:     by_value
    .group_segment_fixed_size: 0
    .kernarg_segment_align: 8
    .kernarg_segment_size: 64
    .language:       OpenCL C
    .language_version:
      - 2
      - 0
    .max_flat_workgroup_size: 256
    .name:           _ZN7rocprim17ROCPRIM_400000_NS6detail17trampoline_kernelINS0_14default_configENS1_38merge_sort_block_merge_config_selectorIslEEZZNS1_27merge_sort_block_merge_implIS3_PsN6thrust23THRUST_200600_302600_NS10device_ptrIlEEjNS1_19radix_merge_compareILb0ELb1EsNS0_19identity_decomposerEEEEE10hipError_tT0_T1_T2_jT3_P12ihipStream_tbPNSt15iterator_traitsISG_E10value_typeEPNSM_ISH_E10value_typeEPSI_NS1_7vsmem_tEENKUlT_SG_SH_SI_E_clIS7_S7_PlSB_EESF_SV_SG_SH_SI_EUlSV_E0_NS1_11comp_targetILNS1_3genE2ELNS1_11target_archE906ELNS1_3gpuE6ELNS1_3repE0EEENS1_38merge_mergepath_config_static_selectorELNS0_4arch9wavefront6targetE1EEEvSH_
    .private_segment_fixed_size: 0
    .sgpr_count:     4
    .sgpr_spill_count: 0
    .symbol:         _ZN7rocprim17ROCPRIM_400000_NS6detail17trampoline_kernelINS0_14default_configENS1_38merge_sort_block_merge_config_selectorIslEEZZNS1_27merge_sort_block_merge_implIS3_PsN6thrust23THRUST_200600_302600_NS10device_ptrIlEEjNS1_19radix_merge_compareILb0ELb1EsNS0_19identity_decomposerEEEEE10hipError_tT0_T1_T2_jT3_P12ihipStream_tbPNSt15iterator_traitsISG_E10value_typeEPNSM_ISH_E10value_typeEPSI_NS1_7vsmem_tEENKUlT_SG_SH_SI_E_clIS7_S7_PlSB_EESF_SV_SG_SH_SI_EUlSV_E0_NS1_11comp_targetILNS1_3genE2ELNS1_11target_archE906ELNS1_3gpuE6ELNS1_3repE0EEENS1_38merge_mergepath_config_static_selectorELNS0_4arch9wavefront6targetE1EEEvSH_.kd
    .uniform_work_group_size: 1
    .uses_dynamic_stack: false
    .vgpr_count:     0
    .vgpr_spill_count: 0
    .wavefront_size: 64
  - .agpr_count:     0
    .args:
      - .offset:         0
        .size:           64
        .value_kind:     by_value
    .group_segment_fixed_size: 0
    .kernarg_segment_align: 8
    .kernarg_segment_size: 64
    .language:       OpenCL C
    .language_version:
      - 2
      - 0
    .max_flat_workgroup_size: 256
    .name:           _ZN7rocprim17ROCPRIM_400000_NS6detail17trampoline_kernelINS0_14default_configENS1_38merge_sort_block_merge_config_selectorIslEEZZNS1_27merge_sort_block_merge_implIS3_PsN6thrust23THRUST_200600_302600_NS10device_ptrIlEEjNS1_19radix_merge_compareILb0ELb1EsNS0_19identity_decomposerEEEEE10hipError_tT0_T1_T2_jT3_P12ihipStream_tbPNSt15iterator_traitsISG_E10value_typeEPNSM_ISH_E10value_typeEPSI_NS1_7vsmem_tEENKUlT_SG_SH_SI_E_clIS7_S7_PlSB_EESF_SV_SG_SH_SI_EUlSV_E0_NS1_11comp_targetILNS1_3genE9ELNS1_11target_archE1100ELNS1_3gpuE3ELNS1_3repE0EEENS1_38merge_mergepath_config_static_selectorELNS0_4arch9wavefront6targetE1EEEvSH_
    .private_segment_fixed_size: 0
    .sgpr_count:     4
    .sgpr_spill_count: 0
    .symbol:         _ZN7rocprim17ROCPRIM_400000_NS6detail17trampoline_kernelINS0_14default_configENS1_38merge_sort_block_merge_config_selectorIslEEZZNS1_27merge_sort_block_merge_implIS3_PsN6thrust23THRUST_200600_302600_NS10device_ptrIlEEjNS1_19radix_merge_compareILb0ELb1EsNS0_19identity_decomposerEEEEE10hipError_tT0_T1_T2_jT3_P12ihipStream_tbPNSt15iterator_traitsISG_E10value_typeEPNSM_ISH_E10value_typeEPSI_NS1_7vsmem_tEENKUlT_SG_SH_SI_E_clIS7_S7_PlSB_EESF_SV_SG_SH_SI_EUlSV_E0_NS1_11comp_targetILNS1_3genE9ELNS1_11target_archE1100ELNS1_3gpuE3ELNS1_3repE0EEENS1_38merge_mergepath_config_static_selectorELNS0_4arch9wavefront6targetE1EEEvSH_.kd
    .uniform_work_group_size: 1
    .uses_dynamic_stack: false
    .vgpr_count:     0
    .vgpr_spill_count: 0
    .wavefront_size: 64
  - .agpr_count:     0
    .args:
      - .offset:         0
        .size:           64
        .value_kind:     by_value
    .group_segment_fixed_size: 0
    .kernarg_segment_align: 8
    .kernarg_segment_size: 64
    .language:       OpenCL C
    .language_version:
      - 2
      - 0
    .max_flat_workgroup_size: 512
    .name:           _ZN7rocprim17ROCPRIM_400000_NS6detail17trampoline_kernelINS0_14default_configENS1_38merge_sort_block_merge_config_selectorIslEEZZNS1_27merge_sort_block_merge_implIS3_PsN6thrust23THRUST_200600_302600_NS10device_ptrIlEEjNS1_19radix_merge_compareILb0ELb1EsNS0_19identity_decomposerEEEEE10hipError_tT0_T1_T2_jT3_P12ihipStream_tbPNSt15iterator_traitsISG_E10value_typeEPNSM_ISH_E10value_typeEPSI_NS1_7vsmem_tEENKUlT_SG_SH_SI_E_clIS7_S7_PlSB_EESF_SV_SG_SH_SI_EUlSV_E0_NS1_11comp_targetILNS1_3genE8ELNS1_11target_archE1030ELNS1_3gpuE2ELNS1_3repE0EEENS1_38merge_mergepath_config_static_selectorELNS0_4arch9wavefront6targetE1EEEvSH_
    .private_segment_fixed_size: 0
    .sgpr_count:     4
    .sgpr_spill_count: 0
    .symbol:         _ZN7rocprim17ROCPRIM_400000_NS6detail17trampoline_kernelINS0_14default_configENS1_38merge_sort_block_merge_config_selectorIslEEZZNS1_27merge_sort_block_merge_implIS3_PsN6thrust23THRUST_200600_302600_NS10device_ptrIlEEjNS1_19radix_merge_compareILb0ELb1EsNS0_19identity_decomposerEEEEE10hipError_tT0_T1_T2_jT3_P12ihipStream_tbPNSt15iterator_traitsISG_E10value_typeEPNSM_ISH_E10value_typeEPSI_NS1_7vsmem_tEENKUlT_SG_SH_SI_E_clIS7_S7_PlSB_EESF_SV_SG_SH_SI_EUlSV_E0_NS1_11comp_targetILNS1_3genE8ELNS1_11target_archE1030ELNS1_3gpuE2ELNS1_3repE0EEENS1_38merge_mergepath_config_static_selectorELNS0_4arch9wavefront6targetE1EEEvSH_.kd
    .uniform_work_group_size: 1
    .uses_dynamic_stack: false
    .vgpr_count:     0
    .vgpr_spill_count: 0
    .wavefront_size: 64
  - .agpr_count:     0
    .args:
      - .offset:         0
        .size:           48
        .value_kind:     by_value
    .group_segment_fixed_size: 0
    .kernarg_segment_align: 8
    .kernarg_segment_size: 48
    .language:       OpenCL C
    .language_version:
      - 2
      - 0
    .max_flat_workgroup_size: 256
    .name:           _ZN7rocprim17ROCPRIM_400000_NS6detail17trampoline_kernelINS0_14default_configENS1_38merge_sort_block_merge_config_selectorIslEEZZNS1_27merge_sort_block_merge_implIS3_PsN6thrust23THRUST_200600_302600_NS10device_ptrIlEEjNS1_19radix_merge_compareILb0ELb1EsNS0_19identity_decomposerEEEEE10hipError_tT0_T1_T2_jT3_P12ihipStream_tbPNSt15iterator_traitsISG_E10value_typeEPNSM_ISH_E10value_typeEPSI_NS1_7vsmem_tEENKUlT_SG_SH_SI_E_clIS7_S7_PlSB_EESF_SV_SG_SH_SI_EUlSV_E1_NS1_11comp_targetILNS1_3genE0ELNS1_11target_archE4294967295ELNS1_3gpuE0ELNS1_3repE0EEENS1_36merge_oddeven_config_static_selectorELNS0_4arch9wavefront6targetE1EEEvSH_
    .private_segment_fixed_size: 0
    .sgpr_count:     4
    .sgpr_spill_count: 0
    .symbol:         _ZN7rocprim17ROCPRIM_400000_NS6detail17trampoline_kernelINS0_14default_configENS1_38merge_sort_block_merge_config_selectorIslEEZZNS1_27merge_sort_block_merge_implIS3_PsN6thrust23THRUST_200600_302600_NS10device_ptrIlEEjNS1_19radix_merge_compareILb0ELb1EsNS0_19identity_decomposerEEEEE10hipError_tT0_T1_T2_jT3_P12ihipStream_tbPNSt15iterator_traitsISG_E10value_typeEPNSM_ISH_E10value_typeEPSI_NS1_7vsmem_tEENKUlT_SG_SH_SI_E_clIS7_S7_PlSB_EESF_SV_SG_SH_SI_EUlSV_E1_NS1_11comp_targetILNS1_3genE0ELNS1_11target_archE4294967295ELNS1_3gpuE0ELNS1_3repE0EEENS1_36merge_oddeven_config_static_selectorELNS0_4arch9wavefront6targetE1EEEvSH_.kd
    .uniform_work_group_size: 1
    .uses_dynamic_stack: false
    .vgpr_count:     0
    .vgpr_spill_count: 0
    .wavefront_size: 64
  - .agpr_count:     0
    .args:
      - .offset:         0
        .size:           48
        .value_kind:     by_value
    .group_segment_fixed_size: 0
    .kernarg_segment_align: 8
    .kernarg_segment_size: 48
    .language:       OpenCL C
    .language_version:
      - 2
      - 0
    .max_flat_workgroup_size: 256
    .name:           _ZN7rocprim17ROCPRIM_400000_NS6detail17trampoline_kernelINS0_14default_configENS1_38merge_sort_block_merge_config_selectorIslEEZZNS1_27merge_sort_block_merge_implIS3_PsN6thrust23THRUST_200600_302600_NS10device_ptrIlEEjNS1_19radix_merge_compareILb0ELb1EsNS0_19identity_decomposerEEEEE10hipError_tT0_T1_T2_jT3_P12ihipStream_tbPNSt15iterator_traitsISG_E10value_typeEPNSM_ISH_E10value_typeEPSI_NS1_7vsmem_tEENKUlT_SG_SH_SI_E_clIS7_S7_PlSB_EESF_SV_SG_SH_SI_EUlSV_E1_NS1_11comp_targetILNS1_3genE10ELNS1_11target_archE1201ELNS1_3gpuE5ELNS1_3repE0EEENS1_36merge_oddeven_config_static_selectorELNS0_4arch9wavefront6targetE1EEEvSH_
    .private_segment_fixed_size: 0
    .sgpr_count:     4
    .sgpr_spill_count: 0
    .symbol:         _ZN7rocprim17ROCPRIM_400000_NS6detail17trampoline_kernelINS0_14default_configENS1_38merge_sort_block_merge_config_selectorIslEEZZNS1_27merge_sort_block_merge_implIS3_PsN6thrust23THRUST_200600_302600_NS10device_ptrIlEEjNS1_19radix_merge_compareILb0ELb1EsNS0_19identity_decomposerEEEEE10hipError_tT0_T1_T2_jT3_P12ihipStream_tbPNSt15iterator_traitsISG_E10value_typeEPNSM_ISH_E10value_typeEPSI_NS1_7vsmem_tEENKUlT_SG_SH_SI_E_clIS7_S7_PlSB_EESF_SV_SG_SH_SI_EUlSV_E1_NS1_11comp_targetILNS1_3genE10ELNS1_11target_archE1201ELNS1_3gpuE5ELNS1_3repE0EEENS1_36merge_oddeven_config_static_selectorELNS0_4arch9wavefront6targetE1EEEvSH_.kd
    .uniform_work_group_size: 1
    .uses_dynamic_stack: false
    .vgpr_count:     0
    .vgpr_spill_count: 0
    .wavefront_size: 64
  - .agpr_count:     0
    .args:
      - .offset:         0
        .size:           48
        .value_kind:     by_value
    .group_segment_fixed_size: 0
    .kernarg_segment_align: 8
    .kernarg_segment_size: 48
    .language:       OpenCL C
    .language_version:
      - 2
      - 0
    .max_flat_workgroup_size: 256
    .name:           _ZN7rocprim17ROCPRIM_400000_NS6detail17trampoline_kernelINS0_14default_configENS1_38merge_sort_block_merge_config_selectorIslEEZZNS1_27merge_sort_block_merge_implIS3_PsN6thrust23THRUST_200600_302600_NS10device_ptrIlEEjNS1_19radix_merge_compareILb0ELb1EsNS0_19identity_decomposerEEEEE10hipError_tT0_T1_T2_jT3_P12ihipStream_tbPNSt15iterator_traitsISG_E10value_typeEPNSM_ISH_E10value_typeEPSI_NS1_7vsmem_tEENKUlT_SG_SH_SI_E_clIS7_S7_PlSB_EESF_SV_SG_SH_SI_EUlSV_E1_NS1_11comp_targetILNS1_3genE5ELNS1_11target_archE942ELNS1_3gpuE9ELNS1_3repE0EEENS1_36merge_oddeven_config_static_selectorELNS0_4arch9wavefront6targetE1EEEvSH_
    .private_segment_fixed_size: 0
    .sgpr_count:     4
    .sgpr_spill_count: 0
    .symbol:         _ZN7rocprim17ROCPRIM_400000_NS6detail17trampoline_kernelINS0_14default_configENS1_38merge_sort_block_merge_config_selectorIslEEZZNS1_27merge_sort_block_merge_implIS3_PsN6thrust23THRUST_200600_302600_NS10device_ptrIlEEjNS1_19radix_merge_compareILb0ELb1EsNS0_19identity_decomposerEEEEE10hipError_tT0_T1_T2_jT3_P12ihipStream_tbPNSt15iterator_traitsISG_E10value_typeEPNSM_ISH_E10value_typeEPSI_NS1_7vsmem_tEENKUlT_SG_SH_SI_E_clIS7_S7_PlSB_EESF_SV_SG_SH_SI_EUlSV_E1_NS1_11comp_targetILNS1_3genE5ELNS1_11target_archE942ELNS1_3gpuE9ELNS1_3repE0EEENS1_36merge_oddeven_config_static_selectorELNS0_4arch9wavefront6targetE1EEEvSH_.kd
    .uniform_work_group_size: 1
    .uses_dynamic_stack: false
    .vgpr_count:     0
    .vgpr_spill_count: 0
    .wavefront_size: 64
  - .agpr_count:     0
    .args:
      - .offset:         0
        .size:           48
        .value_kind:     by_value
    .group_segment_fixed_size: 0
    .kernarg_segment_align: 8
    .kernarg_segment_size: 48
    .language:       OpenCL C
    .language_version:
      - 2
      - 0
    .max_flat_workgroup_size: 256
    .name:           _ZN7rocprim17ROCPRIM_400000_NS6detail17trampoline_kernelINS0_14default_configENS1_38merge_sort_block_merge_config_selectorIslEEZZNS1_27merge_sort_block_merge_implIS3_PsN6thrust23THRUST_200600_302600_NS10device_ptrIlEEjNS1_19radix_merge_compareILb0ELb1EsNS0_19identity_decomposerEEEEE10hipError_tT0_T1_T2_jT3_P12ihipStream_tbPNSt15iterator_traitsISG_E10value_typeEPNSM_ISH_E10value_typeEPSI_NS1_7vsmem_tEENKUlT_SG_SH_SI_E_clIS7_S7_PlSB_EESF_SV_SG_SH_SI_EUlSV_E1_NS1_11comp_targetILNS1_3genE4ELNS1_11target_archE910ELNS1_3gpuE8ELNS1_3repE0EEENS1_36merge_oddeven_config_static_selectorELNS0_4arch9wavefront6targetE1EEEvSH_
    .private_segment_fixed_size: 0
    .sgpr_count:     28
    .sgpr_spill_count: 0
    .symbol:         _ZN7rocprim17ROCPRIM_400000_NS6detail17trampoline_kernelINS0_14default_configENS1_38merge_sort_block_merge_config_selectorIslEEZZNS1_27merge_sort_block_merge_implIS3_PsN6thrust23THRUST_200600_302600_NS10device_ptrIlEEjNS1_19radix_merge_compareILb0ELb1EsNS0_19identity_decomposerEEEEE10hipError_tT0_T1_T2_jT3_P12ihipStream_tbPNSt15iterator_traitsISG_E10value_typeEPNSM_ISH_E10value_typeEPSI_NS1_7vsmem_tEENKUlT_SG_SH_SI_E_clIS7_S7_PlSB_EESF_SV_SG_SH_SI_EUlSV_E1_NS1_11comp_targetILNS1_3genE4ELNS1_11target_archE910ELNS1_3gpuE8ELNS1_3repE0EEENS1_36merge_oddeven_config_static_selectorELNS0_4arch9wavefront6targetE1EEEvSH_.kd
    .uniform_work_group_size: 1
    .uses_dynamic_stack: false
    .vgpr_count:     11
    .vgpr_spill_count: 0
    .wavefront_size: 64
  - .agpr_count:     0
    .args:
      - .offset:         0
        .size:           48
        .value_kind:     by_value
    .group_segment_fixed_size: 0
    .kernarg_segment_align: 8
    .kernarg_segment_size: 48
    .language:       OpenCL C
    .language_version:
      - 2
      - 0
    .max_flat_workgroup_size: 256
    .name:           _ZN7rocprim17ROCPRIM_400000_NS6detail17trampoline_kernelINS0_14default_configENS1_38merge_sort_block_merge_config_selectorIslEEZZNS1_27merge_sort_block_merge_implIS3_PsN6thrust23THRUST_200600_302600_NS10device_ptrIlEEjNS1_19radix_merge_compareILb0ELb1EsNS0_19identity_decomposerEEEEE10hipError_tT0_T1_T2_jT3_P12ihipStream_tbPNSt15iterator_traitsISG_E10value_typeEPNSM_ISH_E10value_typeEPSI_NS1_7vsmem_tEENKUlT_SG_SH_SI_E_clIS7_S7_PlSB_EESF_SV_SG_SH_SI_EUlSV_E1_NS1_11comp_targetILNS1_3genE3ELNS1_11target_archE908ELNS1_3gpuE7ELNS1_3repE0EEENS1_36merge_oddeven_config_static_selectorELNS0_4arch9wavefront6targetE1EEEvSH_
    .private_segment_fixed_size: 0
    .sgpr_count:     4
    .sgpr_spill_count: 0
    .symbol:         _ZN7rocprim17ROCPRIM_400000_NS6detail17trampoline_kernelINS0_14default_configENS1_38merge_sort_block_merge_config_selectorIslEEZZNS1_27merge_sort_block_merge_implIS3_PsN6thrust23THRUST_200600_302600_NS10device_ptrIlEEjNS1_19radix_merge_compareILb0ELb1EsNS0_19identity_decomposerEEEEE10hipError_tT0_T1_T2_jT3_P12ihipStream_tbPNSt15iterator_traitsISG_E10value_typeEPNSM_ISH_E10value_typeEPSI_NS1_7vsmem_tEENKUlT_SG_SH_SI_E_clIS7_S7_PlSB_EESF_SV_SG_SH_SI_EUlSV_E1_NS1_11comp_targetILNS1_3genE3ELNS1_11target_archE908ELNS1_3gpuE7ELNS1_3repE0EEENS1_36merge_oddeven_config_static_selectorELNS0_4arch9wavefront6targetE1EEEvSH_.kd
    .uniform_work_group_size: 1
    .uses_dynamic_stack: false
    .vgpr_count:     0
    .vgpr_spill_count: 0
    .wavefront_size: 64
  - .agpr_count:     0
    .args:
      - .offset:         0
        .size:           48
        .value_kind:     by_value
    .group_segment_fixed_size: 0
    .kernarg_segment_align: 8
    .kernarg_segment_size: 48
    .language:       OpenCL C
    .language_version:
      - 2
      - 0
    .max_flat_workgroup_size: 256
    .name:           _ZN7rocprim17ROCPRIM_400000_NS6detail17trampoline_kernelINS0_14default_configENS1_38merge_sort_block_merge_config_selectorIslEEZZNS1_27merge_sort_block_merge_implIS3_PsN6thrust23THRUST_200600_302600_NS10device_ptrIlEEjNS1_19radix_merge_compareILb0ELb1EsNS0_19identity_decomposerEEEEE10hipError_tT0_T1_T2_jT3_P12ihipStream_tbPNSt15iterator_traitsISG_E10value_typeEPNSM_ISH_E10value_typeEPSI_NS1_7vsmem_tEENKUlT_SG_SH_SI_E_clIS7_S7_PlSB_EESF_SV_SG_SH_SI_EUlSV_E1_NS1_11comp_targetILNS1_3genE2ELNS1_11target_archE906ELNS1_3gpuE6ELNS1_3repE0EEENS1_36merge_oddeven_config_static_selectorELNS0_4arch9wavefront6targetE1EEEvSH_
    .private_segment_fixed_size: 0
    .sgpr_count:     4
    .sgpr_spill_count: 0
    .symbol:         _ZN7rocprim17ROCPRIM_400000_NS6detail17trampoline_kernelINS0_14default_configENS1_38merge_sort_block_merge_config_selectorIslEEZZNS1_27merge_sort_block_merge_implIS3_PsN6thrust23THRUST_200600_302600_NS10device_ptrIlEEjNS1_19radix_merge_compareILb0ELb1EsNS0_19identity_decomposerEEEEE10hipError_tT0_T1_T2_jT3_P12ihipStream_tbPNSt15iterator_traitsISG_E10value_typeEPNSM_ISH_E10value_typeEPSI_NS1_7vsmem_tEENKUlT_SG_SH_SI_E_clIS7_S7_PlSB_EESF_SV_SG_SH_SI_EUlSV_E1_NS1_11comp_targetILNS1_3genE2ELNS1_11target_archE906ELNS1_3gpuE6ELNS1_3repE0EEENS1_36merge_oddeven_config_static_selectorELNS0_4arch9wavefront6targetE1EEEvSH_.kd
    .uniform_work_group_size: 1
    .uses_dynamic_stack: false
    .vgpr_count:     0
    .vgpr_spill_count: 0
    .wavefront_size: 64
  - .agpr_count:     0
    .args:
      - .offset:         0
        .size:           48
        .value_kind:     by_value
    .group_segment_fixed_size: 0
    .kernarg_segment_align: 8
    .kernarg_segment_size: 48
    .language:       OpenCL C
    .language_version:
      - 2
      - 0
    .max_flat_workgroup_size: 256
    .name:           _ZN7rocprim17ROCPRIM_400000_NS6detail17trampoline_kernelINS0_14default_configENS1_38merge_sort_block_merge_config_selectorIslEEZZNS1_27merge_sort_block_merge_implIS3_PsN6thrust23THRUST_200600_302600_NS10device_ptrIlEEjNS1_19radix_merge_compareILb0ELb1EsNS0_19identity_decomposerEEEEE10hipError_tT0_T1_T2_jT3_P12ihipStream_tbPNSt15iterator_traitsISG_E10value_typeEPNSM_ISH_E10value_typeEPSI_NS1_7vsmem_tEENKUlT_SG_SH_SI_E_clIS7_S7_PlSB_EESF_SV_SG_SH_SI_EUlSV_E1_NS1_11comp_targetILNS1_3genE9ELNS1_11target_archE1100ELNS1_3gpuE3ELNS1_3repE0EEENS1_36merge_oddeven_config_static_selectorELNS0_4arch9wavefront6targetE1EEEvSH_
    .private_segment_fixed_size: 0
    .sgpr_count:     4
    .sgpr_spill_count: 0
    .symbol:         _ZN7rocprim17ROCPRIM_400000_NS6detail17trampoline_kernelINS0_14default_configENS1_38merge_sort_block_merge_config_selectorIslEEZZNS1_27merge_sort_block_merge_implIS3_PsN6thrust23THRUST_200600_302600_NS10device_ptrIlEEjNS1_19radix_merge_compareILb0ELb1EsNS0_19identity_decomposerEEEEE10hipError_tT0_T1_T2_jT3_P12ihipStream_tbPNSt15iterator_traitsISG_E10value_typeEPNSM_ISH_E10value_typeEPSI_NS1_7vsmem_tEENKUlT_SG_SH_SI_E_clIS7_S7_PlSB_EESF_SV_SG_SH_SI_EUlSV_E1_NS1_11comp_targetILNS1_3genE9ELNS1_11target_archE1100ELNS1_3gpuE3ELNS1_3repE0EEENS1_36merge_oddeven_config_static_selectorELNS0_4arch9wavefront6targetE1EEEvSH_.kd
    .uniform_work_group_size: 1
    .uses_dynamic_stack: false
    .vgpr_count:     0
    .vgpr_spill_count: 0
    .wavefront_size: 64
  - .agpr_count:     0
    .args:
      - .offset:         0
        .size:           48
        .value_kind:     by_value
    .group_segment_fixed_size: 0
    .kernarg_segment_align: 8
    .kernarg_segment_size: 48
    .language:       OpenCL C
    .language_version:
      - 2
      - 0
    .max_flat_workgroup_size: 256
    .name:           _ZN7rocprim17ROCPRIM_400000_NS6detail17trampoline_kernelINS0_14default_configENS1_38merge_sort_block_merge_config_selectorIslEEZZNS1_27merge_sort_block_merge_implIS3_PsN6thrust23THRUST_200600_302600_NS10device_ptrIlEEjNS1_19radix_merge_compareILb0ELb1EsNS0_19identity_decomposerEEEEE10hipError_tT0_T1_T2_jT3_P12ihipStream_tbPNSt15iterator_traitsISG_E10value_typeEPNSM_ISH_E10value_typeEPSI_NS1_7vsmem_tEENKUlT_SG_SH_SI_E_clIS7_S7_PlSB_EESF_SV_SG_SH_SI_EUlSV_E1_NS1_11comp_targetILNS1_3genE8ELNS1_11target_archE1030ELNS1_3gpuE2ELNS1_3repE0EEENS1_36merge_oddeven_config_static_selectorELNS0_4arch9wavefront6targetE1EEEvSH_
    .private_segment_fixed_size: 0
    .sgpr_count:     4
    .sgpr_spill_count: 0
    .symbol:         _ZN7rocprim17ROCPRIM_400000_NS6detail17trampoline_kernelINS0_14default_configENS1_38merge_sort_block_merge_config_selectorIslEEZZNS1_27merge_sort_block_merge_implIS3_PsN6thrust23THRUST_200600_302600_NS10device_ptrIlEEjNS1_19radix_merge_compareILb0ELb1EsNS0_19identity_decomposerEEEEE10hipError_tT0_T1_T2_jT3_P12ihipStream_tbPNSt15iterator_traitsISG_E10value_typeEPNSM_ISH_E10value_typeEPSI_NS1_7vsmem_tEENKUlT_SG_SH_SI_E_clIS7_S7_PlSB_EESF_SV_SG_SH_SI_EUlSV_E1_NS1_11comp_targetILNS1_3genE8ELNS1_11target_archE1030ELNS1_3gpuE2ELNS1_3repE0EEENS1_36merge_oddeven_config_static_selectorELNS0_4arch9wavefront6targetE1EEEvSH_.kd
    .uniform_work_group_size: 1
    .uses_dynamic_stack: false
    .vgpr_count:     0
    .vgpr_spill_count: 0
    .wavefront_size: 64
  - .agpr_count:     0
    .args:
      - .offset:         0
        .size:           40
        .value_kind:     by_value
    .group_segment_fixed_size: 0
    .kernarg_segment_align: 8
    .kernarg_segment_size: 40
    .language:       OpenCL C
    .language_version:
      - 2
      - 0
    .max_flat_workgroup_size: 128
    .name:           _ZN7rocprim17ROCPRIM_400000_NS6detail17trampoline_kernelINS0_14default_configENS1_38merge_sort_block_merge_config_selectorIslEEZZNS1_27merge_sort_block_merge_implIS3_PsN6thrust23THRUST_200600_302600_NS10device_ptrIlEEjNS1_19radix_merge_compareILb0ELb1EsNS0_19identity_decomposerEEEEE10hipError_tT0_T1_T2_jT3_P12ihipStream_tbPNSt15iterator_traitsISG_E10value_typeEPNSM_ISH_E10value_typeEPSI_NS1_7vsmem_tEENKUlT_SG_SH_SI_E_clIS7_S7_SB_PlEESF_SV_SG_SH_SI_EUlSV_E_NS1_11comp_targetILNS1_3genE0ELNS1_11target_archE4294967295ELNS1_3gpuE0ELNS1_3repE0EEENS1_48merge_mergepath_partition_config_static_selectorELNS0_4arch9wavefront6targetE1EEEvSH_
    .private_segment_fixed_size: 0
    .sgpr_count:     4
    .sgpr_spill_count: 0
    .symbol:         _ZN7rocprim17ROCPRIM_400000_NS6detail17trampoline_kernelINS0_14default_configENS1_38merge_sort_block_merge_config_selectorIslEEZZNS1_27merge_sort_block_merge_implIS3_PsN6thrust23THRUST_200600_302600_NS10device_ptrIlEEjNS1_19radix_merge_compareILb0ELb1EsNS0_19identity_decomposerEEEEE10hipError_tT0_T1_T2_jT3_P12ihipStream_tbPNSt15iterator_traitsISG_E10value_typeEPNSM_ISH_E10value_typeEPSI_NS1_7vsmem_tEENKUlT_SG_SH_SI_E_clIS7_S7_SB_PlEESF_SV_SG_SH_SI_EUlSV_E_NS1_11comp_targetILNS1_3genE0ELNS1_11target_archE4294967295ELNS1_3gpuE0ELNS1_3repE0EEENS1_48merge_mergepath_partition_config_static_selectorELNS0_4arch9wavefront6targetE1EEEvSH_.kd
    .uniform_work_group_size: 1
    .uses_dynamic_stack: false
    .vgpr_count:     0
    .vgpr_spill_count: 0
    .wavefront_size: 64
  - .agpr_count:     0
    .args:
      - .offset:         0
        .size:           40
        .value_kind:     by_value
    .group_segment_fixed_size: 0
    .kernarg_segment_align: 8
    .kernarg_segment_size: 40
    .language:       OpenCL C
    .language_version:
      - 2
      - 0
    .max_flat_workgroup_size: 128
    .name:           _ZN7rocprim17ROCPRIM_400000_NS6detail17trampoline_kernelINS0_14default_configENS1_38merge_sort_block_merge_config_selectorIslEEZZNS1_27merge_sort_block_merge_implIS3_PsN6thrust23THRUST_200600_302600_NS10device_ptrIlEEjNS1_19radix_merge_compareILb0ELb1EsNS0_19identity_decomposerEEEEE10hipError_tT0_T1_T2_jT3_P12ihipStream_tbPNSt15iterator_traitsISG_E10value_typeEPNSM_ISH_E10value_typeEPSI_NS1_7vsmem_tEENKUlT_SG_SH_SI_E_clIS7_S7_SB_PlEESF_SV_SG_SH_SI_EUlSV_E_NS1_11comp_targetILNS1_3genE10ELNS1_11target_archE1201ELNS1_3gpuE5ELNS1_3repE0EEENS1_48merge_mergepath_partition_config_static_selectorELNS0_4arch9wavefront6targetE1EEEvSH_
    .private_segment_fixed_size: 0
    .sgpr_count:     4
    .sgpr_spill_count: 0
    .symbol:         _ZN7rocprim17ROCPRIM_400000_NS6detail17trampoline_kernelINS0_14default_configENS1_38merge_sort_block_merge_config_selectorIslEEZZNS1_27merge_sort_block_merge_implIS3_PsN6thrust23THRUST_200600_302600_NS10device_ptrIlEEjNS1_19radix_merge_compareILb0ELb1EsNS0_19identity_decomposerEEEEE10hipError_tT0_T1_T2_jT3_P12ihipStream_tbPNSt15iterator_traitsISG_E10value_typeEPNSM_ISH_E10value_typeEPSI_NS1_7vsmem_tEENKUlT_SG_SH_SI_E_clIS7_S7_SB_PlEESF_SV_SG_SH_SI_EUlSV_E_NS1_11comp_targetILNS1_3genE10ELNS1_11target_archE1201ELNS1_3gpuE5ELNS1_3repE0EEENS1_48merge_mergepath_partition_config_static_selectorELNS0_4arch9wavefront6targetE1EEEvSH_.kd
    .uniform_work_group_size: 1
    .uses_dynamic_stack: false
    .vgpr_count:     0
    .vgpr_spill_count: 0
    .wavefront_size: 64
  - .agpr_count:     0
    .args:
      - .offset:         0
        .size:           40
        .value_kind:     by_value
    .group_segment_fixed_size: 0
    .kernarg_segment_align: 8
    .kernarg_segment_size: 40
    .language:       OpenCL C
    .language_version:
      - 2
      - 0
    .max_flat_workgroup_size: 128
    .name:           _ZN7rocprim17ROCPRIM_400000_NS6detail17trampoline_kernelINS0_14default_configENS1_38merge_sort_block_merge_config_selectorIslEEZZNS1_27merge_sort_block_merge_implIS3_PsN6thrust23THRUST_200600_302600_NS10device_ptrIlEEjNS1_19radix_merge_compareILb0ELb1EsNS0_19identity_decomposerEEEEE10hipError_tT0_T1_T2_jT3_P12ihipStream_tbPNSt15iterator_traitsISG_E10value_typeEPNSM_ISH_E10value_typeEPSI_NS1_7vsmem_tEENKUlT_SG_SH_SI_E_clIS7_S7_SB_PlEESF_SV_SG_SH_SI_EUlSV_E_NS1_11comp_targetILNS1_3genE5ELNS1_11target_archE942ELNS1_3gpuE9ELNS1_3repE0EEENS1_48merge_mergepath_partition_config_static_selectorELNS0_4arch9wavefront6targetE1EEEvSH_
    .private_segment_fixed_size: 0
    .sgpr_count:     4
    .sgpr_spill_count: 0
    .symbol:         _ZN7rocprim17ROCPRIM_400000_NS6detail17trampoline_kernelINS0_14default_configENS1_38merge_sort_block_merge_config_selectorIslEEZZNS1_27merge_sort_block_merge_implIS3_PsN6thrust23THRUST_200600_302600_NS10device_ptrIlEEjNS1_19radix_merge_compareILb0ELb1EsNS0_19identity_decomposerEEEEE10hipError_tT0_T1_T2_jT3_P12ihipStream_tbPNSt15iterator_traitsISG_E10value_typeEPNSM_ISH_E10value_typeEPSI_NS1_7vsmem_tEENKUlT_SG_SH_SI_E_clIS7_S7_SB_PlEESF_SV_SG_SH_SI_EUlSV_E_NS1_11comp_targetILNS1_3genE5ELNS1_11target_archE942ELNS1_3gpuE9ELNS1_3repE0EEENS1_48merge_mergepath_partition_config_static_selectorELNS0_4arch9wavefront6targetE1EEEvSH_.kd
    .uniform_work_group_size: 1
    .uses_dynamic_stack: false
    .vgpr_count:     0
    .vgpr_spill_count: 0
    .wavefront_size: 64
  - .agpr_count:     0
    .args:
      - .offset:         0
        .size:           40
        .value_kind:     by_value
    .group_segment_fixed_size: 0
    .kernarg_segment_align: 8
    .kernarg_segment_size: 40
    .language:       OpenCL C
    .language_version:
      - 2
      - 0
    .max_flat_workgroup_size: 128
    .name:           _ZN7rocprim17ROCPRIM_400000_NS6detail17trampoline_kernelINS0_14default_configENS1_38merge_sort_block_merge_config_selectorIslEEZZNS1_27merge_sort_block_merge_implIS3_PsN6thrust23THRUST_200600_302600_NS10device_ptrIlEEjNS1_19radix_merge_compareILb0ELb1EsNS0_19identity_decomposerEEEEE10hipError_tT0_T1_T2_jT3_P12ihipStream_tbPNSt15iterator_traitsISG_E10value_typeEPNSM_ISH_E10value_typeEPSI_NS1_7vsmem_tEENKUlT_SG_SH_SI_E_clIS7_S7_SB_PlEESF_SV_SG_SH_SI_EUlSV_E_NS1_11comp_targetILNS1_3genE4ELNS1_11target_archE910ELNS1_3gpuE8ELNS1_3repE0EEENS1_48merge_mergepath_partition_config_static_selectorELNS0_4arch9wavefront6targetE1EEEvSH_
    .private_segment_fixed_size: 0
    .sgpr_count:     14
    .sgpr_spill_count: 0
    .symbol:         _ZN7rocprim17ROCPRIM_400000_NS6detail17trampoline_kernelINS0_14default_configENS1_38merge_sort_block_merge_config_selectorIslEEZZNS1_27merge_sort_block_merge_implIS3_PsN6thrust23THRUST_200600_302600_NS10device_ptrIlEEjNS1_19radix_merge_compareILb0ELb1EsNS0_19identity_decomposerEEEEE10hipError_tT0_T1_T2_jT3_P12ihipStream_tbPNSt15iterator_traitsISG_E10value_typeEPNSM_ISH_E10value_typeEPSI_NS1_7vsmem_tEENKUlT_SG_SH_SI_E_clIS7_S7_SB_PlEESF_SV_SG_SH_SI_EUlSV_E_NS1_11comp_targetILNS1_3genE4ELNS1_11target_archE910ELNS1_3gpuE8ELNS1_3repE0EEENS1_48merge_mergepath_partition_config_static_selectorELNS0_4arch9wavefront6targetE1EEEvSH_.kd
    .uniform_work_group_size: 1
    .uses_dynamic_stack: false
    .vgpr_count:     15
    .vgpr_spill_count: 0
    .wavefront_size: 64
  - .agpr_count:     0
    .args:
      - .offset:         0
        .size:           40
        .value_kind:     by_value
    .group_segment_fixed_size: 0
    .kernarg_segment_align: 8
    .kernarg_segment_size: 40
    .language:       OpenCL C
    .language_version:
      - 2
      - 0
    .max_flat_workgroup_size: 128
    .name:           _ZN7rocprim17ROCPRIM_400000_NS6detail17trampoline_kernelINS0_14default_configENS1_38merge_sort_block_merge_config_selectorIslEEZZNS1_27merge_sort_block_merge_implIS3_PsN6thrust23THRUST_200600_302600_NS10device_ptrIlEEjNS1_19radix_merge_compareILb0ELb1EsNS0_19identity_decomposerEEEEE10hipError_tT0_T1_T2_jT3_P12ihipStream_tbPNSt15iterator_traitsISG_E10value_typeEPNSM_ISH_E10value_typeEPSI_NS1_7vsmem_tEENKUlT_SG_SH_SI_E_clIS7_S7_SB_PlEESF_SV_SG_SH_SI_EUlSV_E_NS1_11comp_targetILNS1_3genE3ELNS1_11target_archE908ELNS1_3gpuE7ELNS1_3repE0EEENS1_48merge_mergepath_partition_config_static_selectorELNS0_4arch9wavefront6targetE1EEEvSH_
    .private_segment_fixed_size: 0
    .sgpr_count:     4
    .sgpr_spill_count: 0
    .symbol:         _ZN7rocprim17ROCPRIM_400000_NS6detail17trampoline_kernelINS0_14default_configENS1_38merge_sort_block_merge_config_selectorIslEEZZNS1_27merge_sort_block_merge_implIS3_PsN6thrust23THRUST_200600_302600_NS10device_ptrIlEEjNS1_19radix_merge_compareILb0ELb1EsNS0_19identity_decomposerEEEEE10hipError_tT0_T1_T2_jT3_P12ihipStream_tbPNSt15iterator_traitsISG_E10value_typeEPNSM_ISH_E10value_typeEPSI_NS1_7vsmem_tEENKUlT_SG_SH_SI_E_clIS7_S7_SB_PlEESF_SV_SG_SH_SI_EUlSV_E_NS1_11comp_targetILNS1_3genE3ELNS1_11target_archE908ELNS1_3gpuE7ELNS1_3repE0EEENS1_48merge_mergepath_partition_config_static_selectorELNS0_4arch9wavefront6targetE1EEEvSH_.kd
    .uniform_work_group_size: 1
    .uses_dynamic_stack: false
    .vgpr_count:     0
    .vgpr_spill_count: 0
    .wavefront_size: 64
  - .agpr_count:     0
    .args:
      - .offset:         0
        .size:           40
        .value_kind:     by_value
    .group_segment_fixed_size: 0
    .kernarg_segment_align: 8
    .kernarg_segment_size: 40
    .language:       OpenCL C
    .language_version:
      - 2
      - 0
    .max_flat_workgroup_size: 128
    .name:           _ZN7rocprim17ROCPRIM_400000_NS6detail17trampoline_kernelINS0_14default_configENS1_38merge_sort_block_merge_config_selectorIslEEZZNS1_27merge_sort_block_merge_implIS3_PsN6thrust23THRUST_200600_302600_NS10device_ptrIlEEjNS1_19radix_merge_compareILb0ELb1EsNS0_19identity_decomposerEEEEE10hipError_tT0_T1_T2_jT3_P12ihipStream_tbPNSt15iterator_traitsISG_E10value_typeEPNSM_ISH_E10value_typeEPSI_NS1_7vsmem_tEENKUlT_SG_SH_SI_E_clIS7_S7_SB_PlEESF_SV_SG_SH_SI_EUlSV_E_NS1_11comp_targetILNS1_3genE2ELNS1_11target_archE906ELNS1_3gpuE6ELNS1_3repE0EEENS1_48merge_mergepath_partition_config_static_selectorELNS0_4arch9wavefront6targetE1EEEvSH_
    .private_segment_fixed_size: 0
    .sgpr_count:     4
    .sgpr_spill_count: 0
    .symbol:         _ZN7rocprim17ROCPRIM_400000_NS6detail17trampoline_kernelINS0_14default_configENS1_38merge_sort_block_merge_config_selectorIslEEZZNS1_27merge_sort_block_merge_implIS3_PsN6thrust23THRUST_200600_302600_NS10device_ptrIlEEjNS1_19radix_merge_compareILb0ELb1EsNS0_19identity_decomposerEEEEE10hipError_tT0_T1_T2_jT3_P12ihipStream_tbPNSt15iterator_traitsISG_E10value_typeEPNSM_ISH_E10value_typeEPSI_NS1_7vsmem_tEENKUlT_SG_SH_SI_E_clIS7_S7_SB_PlEESF_SV_SG_SH_SI_EUlSV_E_NS1_11comp_targetILNS1_3genE2ELNS1_11target_archE906ELNS1_3gpuE6ELNS1_3repE0EEENS1_48merge_mergepath_partition_config_static_selectorELNS0_4arch9wavefront6targetE1EEEvSH_.kd
    .uniform_work_group_size: 1
    .uses_dynamic_stack: false
    .vgpr_count:     0
    .vgpr_spill_count: 0
    .wavefront_size: 64
  - .agpr_count:     0
    .args:
      - .offset:         0
        .size:           40
        .value_kind:     by_value
    .group_segment_fixed_size: 0
    .kernarg_segment_align: 8
    .kernarg_segment_size: 40
    .language:       OpenCL C
    .language_version:
      - 2
      - 0
    .max_flat_workgroup_size: 128
    .name:           _ZN7rocprim17ROCPRIM_400000_NS6detail17trampoline_kernelINS0_14default_configENS1_38merge_sort_block_merge_config_selectorIslEEZZNS1_27merge_sort_block_merge_implIS3_PsN6thrust23THRUST_200600_302600_NS10device_ptrIlEEjNS1_19radix_merge_compareILb0ELb1EsNS0_19identity_decomposerEEEEE10hipError_tT0_T1_T2_jT3_P12ihipStream_tbPNSt15iterator_traitsISG_E10value_typeEPNSM_ISH_E10value_typeEPSI_NS1_7vsmem_tEENKUlT_SG_SH_SI_E_clIS7_S7_SB_PlEESF_SV_SG_SH_SI_EUlSV_E_NS1_11comp_targetILNS1_3genE9ELNS1_11target_archE1100ELNS1_3gpuE3ELNS1_3repE0EEENS1_48merge_mergepath_partition_config_static_selectorELNS0_4arch9wavefront6targetE1EEEvSH_
    .private_segment_fixed_size: 0
    .sgpr_count:     4
    .sgpr_spill_count: 0
    .symbol:         _ZN7rocprim17ROCPRIM_400000_NS6detail17trampoline_kernelINS0_14default_configENS1_38merge_sort_block_merge_config_selectorIslEEZZNS1_27merge_sort_block_merge_implIS3_PsN6thrust23THRUST_200600_302600_NS10device_ptrIlEEjNS1_19radix_merge_compareILb0ELb1EsNS0_19identity_decomposerEEEEE10hipError_tT0_T1_T2_jT3_P12ihipStream_tbPNSt15iterator_traitsISG_E10value_typeEPNSM_ISH_E10value_typeEPSI_NS1_7vsmem_tEENKUlT_SG_SH_SI_E_clIS7_S7_SB_PlEESF_SV_SG_SH_SI_EUlSV_E_NS1_11comp_targetILNS1_3genE9ELNS1_11target_archE1100ELNS1_3gpuE3ELNS1_3repE0EEENS1_48merge_mergepath_partition_config_static_selectorELNS0_4arch9wavefront6targetE1EEEvSH_.kd
    .uniform_work_group_size: 1
    .uses_dynamic_stack: false
    .vgpr_count:     0
    .vgpr_spill_count: 0
    .wavefront_size: 64
  - .agpr_count:     0
    .args:
      - .offset:         0
        .size:           40
        .value_kind:     by_value
    .group_segment_fixed_size: 0
    .kernarg_segment_align: 8
    .kernarg_segment_size: 40
    .language:       OpenCL C
    .language_version:
      - 2
      - 0
    .max_flat_workgroup_size: 128
    .name:           _ZN7rocprim17ROCPRIM_400000_NS6detail17trampoline_kernelINS0_14default_configENS1_38merge_sort_block_merge_config_selectorIslEEZZNS1_27merge_sort_block_merge_implIS3_PsN6thrust23THRUST_200600_302600_NS10device_ptrIlEEjNS1_19radix_merge_compareILb0ELb1EsNS0_19identity_decomposerEEEEE10hipError_tT0_T1_T2_jT3_P12ihipStream_tbPNSt15iterator_traitsISG_E10value_typeEPNSM_ISH_E10value_typeEPSI_NS1_7vsmem_tEENKUlT_SG_SH_SI_E_clIS7_S7_SB_PlEESF_SV_SG_SH_SI_EUlSV_E_NS1_11comp_targetILNS1_3genE8ELNS1_11target_archE1030ELNS1_3gpuE2ELNS1_3repE0EEENS1_48merge_mergepath_partition_config_static_selectorELNS0_4arch9wavefront6targetE1EEEvSH_
    .private_segment_fixed_size: 0
    .sgpr_count:     4
    .sgpr_spill_count: 0
    .symbol:         _ZN7rocprim17ROCPRIM_400000_NS6detail17trampoline_kernelINS0_14default_configENS1_38merge_sort_block_merge_config_selectorIslEEZZNS1_27merge_sort_block_merge_implIS3_PsN6thrust23THRUST_200600_302600_NS10device_ptrIlEEjNS1_19radix_merge_compareILb0ELb1EsNS0_19identity_decomposerEEEEE10hipError_tT0_T1_T2_jT3_P12ihipStream_tbPNSt15iterator_traitsISG_E10value_typeEPNSM_ISH_E10value_typeEPSI_NS1_7vsmem_tEENKUlT_SG_SH_SI_E_clIS7_S7_SB_PlEESF_SV_SG_SH_SI_EUlSV_E_NS1_11comp_targetILNS1_3genE8ELNS1_11target_archE1030ELNS1_3gpuE2ELNS1_3repE0EEENS1_48merge_mergepath_partition_config_static_selectorELNS0_4arch9wavefront6targetE1EEEvSH_.kd
    .uniform_work_group_size: 1
    .uses_dynamic_stack: false
    .vgpr_count:     0
    .vgpr_spill_count: 0
    .wavefront_size: 64
  - .agpr_count:     0
    .args:
      - .offset:         0
        .size:           64
        .value_kind:     by_value
    .group_segment_fixed_size: 0
    .kernarg_segment_align: 8
    .kernarg_segment_size: 64
    .language:       OpenCL C
    .language_version:
      - 2
      - 0
    .max_flat_workgroup_size: 256
    .name:           _ZN7rocprim17ROCPRIM_400000_NS6detail17trampoline_kernelINS0_14default_configENS1_38merge_sort_block_merge_config_selectorIslEEZZNS1_27merge_sort_block_merge_implIS3_PsN6thrust23THRUST_200600_302600_NS10device_ptrIlEEjNS1_19radix_merge_compareILb0ELb1EsNS0_19identity_decomposerEEEEE10hipError_tT0_T1_T2_jT3_P12ihipStream_tbPNSt15iterator_traitsISG_E10value_typeEPNSM_ISH_E10value_typeEPSI_NS1_7vsmem_tEENKUlT_SG_SH_SI_E_clIS7_S7_SB_PlEESF_SV_SG_SH_SI_EUlSV_E0_NS1_11comp_targetILNS1_3genE0ELNS1_11target_archE4294967295ELNS1_3gpuE0ELNS1_3repE0EEENS1_38merge_mergepath_config_static_selectorELNS0_4arch9wavefront6targetE1EEEvSH_
    .private_segment_fixed_size: 0
    .sgpr_count:     4
    .sgpr_spill_count: 0
    .symbol:         _ZN7rocprim17ROCPRIM_400000_NS6detail17trampoline_kernelINS0_14default_configENS1_38merge_sort_block_merge_config_selectorIslEEZZNS1_27merge_sort_block_merge_implIS3_PsN6thrust23THRUST_200600_302600_NS10device_ptrIlEEjNS1_19radix_merge_compareILb0ELb1EsNS0_19identity_decomposerEEEEE10hipError_tT0_T1_T2_jT3_P12ihipStream_tbPNSt15iterator_traitsISG_E10value_typeEPNSM_ISH_E10value_typeEPSI_NS1_7vsmem_tEENKUlT_SG_SH_SI_E_clIS7_S7_SB_PlEESF_SV_SG_SH_SI_EUlSV_E0_NS1_11comp_targetILNS1_3genE0ELNS1_11target_archE4294967295ELNS1_3gpuE0ELNS1_3repE0EEENS1_38merge_mergepath_config_static_selectorELNS0_4arch9wavefront6targetE1EEEvSH_.kd
    .uniform_work_group_size: 1
    .uses_dynamic_stack: false
    .vgpr_count:     0
    .vgpr_spill_count: 0
    .wavefront_size: 64
  - .agpr_count:     0
    .args:
      - .offset:         0
        .size:           64
        .value_kind:     by_value
    .group_segment_fixed_size: 0
    .kernarg_segment_align: 8
    .kernarg_segment_size: 64
    .language:       OpenCL C
    .language_version:
      - 2
      - 0
    .max_flat_workgroup_size: 512
    .name:           _ZN7rocprim17ROCPRIM_400000_NS6detail17trampoline_kernelINS0_14default_configENS1_38merge_sort_block_merge_config_selectorIslEEZZNS1_27merge_sort_block_merge_implIS3_PsN6thrust23THRUST_200600_302600_NS10device_ptrIlEEjNS1_19radix_merge_compareILb0ELb1EsNS0_19identity_decomposerEEEEE10hipError_tT0_T1_T2_jT3_P12ihipStream_tbPNSt15iterator_traitsISG_E10value_typeEPNSM_ISH_E10value_typeEPSI_NS1_7vsmem_tEENKUlT_SG_SH_SI_E_clIS7_S7_SB_PlEESF_SV_SG_SH_SI_EUlSV_E0_NS1_11comp_targetILNS1_3genE10ELNS1_11target_archE1201ELNS1_3gpuE5ELNS1_3repE0EEENS1_38merge_mergepath_config_static_selectorELNS0_4arch9wavefront6targetE1EEEvSH_
    .private_segment_fixed_size: 0
    .sgpr_count:     4
    .sgpr_spill_count: 0
    .symbol:         _ZN7rocprim17ROCPRIM_400000_NS6detail17trampoline_kernelINS0_14default_configENS1_38merge_sort_block_merge_config_selectorIslEEZZNS1_27merge_sort_block_merge_implIS3_PsN6thrust23THRUST_200600_302600_NS10device_ptrIlEEjNS1_19radix_merge_compareILb0ELb1EsNS0_19identity_decomposerEEEEE10hipError_tT0_T1_T2_jT3_P12ihipStream_tbPNSt15iterator_traitsISG_E10value_typeEPNSM_ISH_E10value_typeEPSI_NS1_7vsmem_tEENKUlT_SG_SH_SI_E_clIS7_S7_SB_PlEESF_SV_SG_SH_SI_EUlSV_E0_NS1_11comp_targetILNS1_3genE10ELNS1_11target_archE1201ELNS1_3gpuE5ELNS1_3repE0EEENS1_38merge_mergepath_config_static_selectorELNS0_4arch9wavefront6targetE1EEEvSH_.kd
    .uniform_work_group_size: 1
    .uses_dynamic_stack: false
    .vgpr_count:     0
    .vgpr_spill_count: 0
    .wavefront_size: 64
  - .agpr_count:     0
    .args:
      - .offset:         0
        .size:           64
        .value_kind:     by_value
    .group_segment_fixed_size: 0
    .kernarg_segment_align: 8
    .kernarg_segment_size: 64
    .language:       OpenCL C
    .language_version:
      - 2
      - 0
    .max_flat_workgroup_size: 256
    .name:           _ZN7rocprim17ROCPRIM_400000_NS6detail17trampoline_kernelINS0_14default_configENS1_38merge_sort_block_merge_config_selectorIslEEZZNS1_27merge_sort_block_merge_implIS3_PsN6thrust23THRUST_200600_302600_NS10device_ptrIlEEjNS1_19radix_merge_compareILb0ELb1EsNS0_19identity_decomposerEEEEE10hipError_tT0_T1_T2_jT3_P12ihipStream_tbPNSt15iterator_traitsISG_E10value_typeEPNSM_ISH_E10value_typeEPSI_NS1_7vsmem_tEENKUlT_SG_SH_SI_E_clIS7_S7_SB_PlEESF_SV_SG_SH_SI_EUlSV_E0_NS1_11comp_targetILNS1_3genE5ELNS1_11target_archE942ELNS1_3gpuE9ELNS1_3repE0EEENS1_38merge_mergepath_config_static_selectorELNS0_4arch9wavefront6targetE1EEEvSH_
    .private_segment_fixed_size: 0
    .sgpr_count:     4
    .sgpr_spill_count: 0
    .symbol:         _ZN7rocprim17ROCPRIM_400000_NS6detail17trampoline_kernelINS0_14default_configENS1_38merge_sort_block_merge_config_selectorIslEEZZNS1_27merge_sort_block_merge_implIS3_PsN6thrust23THRUST_200600_302600_NS10device_ptrIlEEjNS1_19radix_merge_compareILb0ELb1EsNS0_19identity_decomposerEEEEE10hipError_tT0_T1_T2_jT3_P12ihipStream_tbPNSt15iterator_traitsISG_E10value_typeEPNSM_ISH_E10value_typeEPSI_NS1_7vsmem_tEENKUlT_SG_SH_SI_E_clIS7_S7_SB_PlEESF_SV_SG_SH_SI_EUlSV_E0_NS1_11comp_targetILNS1_3genE5ELNS1_11target_archE942ELNS1_3gpuE9ELNS1_3repE0EEENS1_38merge_mergepath_config_static_selectorELNS0_4arch9wavefront6targetE1EEEvSH_.kd
    .uniform_work_group_size: 1
    .uses_dynamic_stack: false
    .vgpr_count:     0
    .vgpr_spill_count: 0
    .wavefront_size: 64
  - .agpr_count:     0
    .args:
      - .offset:         0
        .size:           64
        .value_kind:     by_value
      - .offset:         64
        .size:           4
        .value_kind:     hidden_block_count_x
      - .offset:         68
        .size:           4
        .value_kind:     hidden_block_count_y
      - .offset:         72
        .size:           4
        .value_kind:     hidden_block_count_z
      - .offset:         76
        .size:           2
        .value_kind:     hidden_group_size_x
      - .offset:         78
        .size:           2
        .value_kind:     hidden_group_size_y
      - .offset:         80
        .size:           2
        .value_kind:     hidden_group_size_z
      - .offset:         82
        .size:           2
        .value_kind:     hidden_remainder_x
      - .offset:         84
        .size:           2
        .value_kind:     hidden_remainder_y
      - .offset:         86
        .size:           2
        .value_kind:     hidden_remainder_z
      - .offset:         104
        .size:           8
        .value_kind:     hidden_global_offset_x
      - .offset:         112
        .size:           8
        .value_kind:     hidden_global_offset_y
      - .offset:         120
        .size:           8
        .value_kind:     hidden_global_offset_z
      - .offset:         128
        .size:           2
        .value_kind:     hidden_grid_dims
    .group_segment_fixed_size: 8448
    .kernarg_segment_align: 8
    .kernarg_segment_size: 320
    .language:       OpenCL C
    .language_version:
      - 2
      - 0
    .max_flat_workgroup_size: 256
    .name:           _ZN7rocprim17ROCPRIM_400000_NS6detail17trampoline_kernelINS0_14default_configENS1_38merge_sort_block_merge_config_selectorIslEEZZNS1_27merge_sort_block_merge_implIS3_PsN6thrust23THRUST_200600_302600_NS10device_ptrIlEEjNS1_19radix_merge_compareILb0ELb1EsNS0_19identity_decomposerEEEEE10hipError_tT0_T1_T2_jT3_P12ihipStream_tbPNSt15iterator_traitsISG_E10value_typeEPNSM_ISH_E10value_typeEPSI_NS1_7vsmem_tEENKUlT_SG_SH_SI_E_clIS7_S7_SB_PlEESF_SV_SG_SH_SI_EUlSV_E0_NS1_11comp_targetILNS1_3genE4ELNS1_11target_archE910ELNS1_3gpuE8ELNS1_3repE0EEENS1_38merge_mergepath_config_static_selectorELNS0_4arch9wavefront6targetE1EEEvSH_
    .private_segment_fixed_size: 0
    .sgpr_count:     36
    .sgpr_spill_count: 0
    .symbol:         _ZN7rocprim17ROCPRIM_400000_NS6detail17trampoline_kernelINS0_14default_configENS1_38merge_sort_block_merge_config_selectorIslEEZZNS1_27merge_sort_block_merge_implIS3_PsN6thrust23THRUST_200600_302600_NS10device_ptrIlEEjNS1_19radix_merge_compareILb0ELb1EsNS0_19identity_decomposerEEEEE10hipError_tT0_T1_T2_jT3_P12ihipStream_tbPNSt15iterator_traitsISG_E10value_typeEPNSM_ISH_E10value_typeEPSI_NS1_7vsmem_tEENKUlT_SG_SH_SI_E_clIS7_S7_SB_PlEESF_SV_SG_SH_SI_EUlSV_E0_NS1_11comp_targetILNS1_3genE4ELNS1_11target_archE910ELNS1_3gpuE8ELNS1_3repE0EEENS1_38merge_mergepath_config_static_selectorELNS0_4arch9wavefront6targetE1EEEvSH_.kd
    .uniform_work_group_size: 1
    .uses_dynamic_stack: false
    .vgpr_count:     36
    .vgpr_spill_count: 0
    .wavefront_size: 64
  - .agpr_count:     0
    .args:
      - .offset:         0
        .size:           64
        .value_kind:     by_value
    .group_segment_fixed_size: 0
    .kernarg_segment_align: 8
    .kernarg_segment_size: 64
    .language:       OpenCL C
    .language_version:
      - 2
      - 0
    .max_flat_workgroup_size: 256
    .name:           _ZN7rocprim17ROCPRIM_400000_NS6detail17trampoline_kernelINS0_14default_configENS1_38merge_sort_block_merge_config_selectorIslEEZZNS1_27merge_sort_block_merge_implIS3_PsN6thrust23THRUST_200600_302600_NS10device_ptrIlEEjNS1_19radix_merge_compareILb0ELb1EsNS0_19identity_decomposerEEEEE10hipError_tT0_T1_T2_jT3_P12ihipStream_tbPNSt15iterator_traitsISG_E10value_typeEPNSM_ISH_E10value_typeEPSI_NS1_7vsmem_tEENKUlT_SG_SH_SI_E_clIS7_S7_SB_PlEESF_SV_SG_SH_SI_EUlSV_E0_NS1_11comp_targetILNS1_3genE3ELNS1_11target_archE908ELNS1_3gpuE7ELNS1_3repE0EEENS1_38merge_mergepath_config_static_selectorELNS0_4arch9wavefront6targetE1EEEvSH_
    .private_segment_fixed_size: 0
    .sgpr_count:     4
    .sgpr_spill_count: 0
    .symbol:         _ZN7rocprim17ROCPRIM_400000_NS6detail17trampoline_kernelINS0_14default_configENS1_38merge_sort_block_merge_config_selectorIslEEZZNS1_27merge_sort_block_merge_implIS3_PsN6thrust23THRUST_200600_302600_NS10device_ptrIlEEjNS1_19radix_merge_compareILb0ELb1EsNS0_19identity_decomposerEEEEE10hipError_tT0_T1_T2_jT3_P12ihipStream_tbPNSt15iterator_traitsISG_E10value_typeEPNSM_ISH_E10value_typeEPSI_NS1_7vsmem_tEENKUlT_SG_SH_SI_E_clIS7_S7_SB_PlEESF_SV_SG_SH_SI_EUlSV_E0_NS1_11comp_targetILNS1_3genE3ELNS1_11target_archE908ELNS1_3gpuE7ELNS1_3repE0EEENS1_38merge_mergepath_config_static_selectorELNS0_4arch9wavefront6targetE1EEEvSH_.kd
    .uniform_work_group_size: 1
    .uses_dynamic_stack: false
    .vgpr_count:     0
    .vgpr_spill_count: 0
    .wavefront_size: 64
  - .agpr_count:     0
    .args:
      - .offset:         0
        .size:           64
        .value_kind:     by_value
    .group_segment_fixed_size: 0
    .kernarg_segment_align: 8
    .kernarg_segment_size: 64
    .language:       OpenCL C
    .language_version:
      - 2
      - 0
    .max_flat_workgroup_size: 256
    .name:           _ZN7rocprim17ROCPRIM_400000_NS6detail17trampoline_kernelINS0_14default_configENS1_38merge_sort_block_merge_config_selectorIslEEZZNS1_27merge_sort_block_merge_implIS3_PsN6thrust23THRUST_200600_302600_NS10device_ptrIlEEjNS1_19radix_merge_compareILb0ELb1EsNS0_19identity_decomposerEEEEE10hipError_tT0_T1_T2_jT3_P12ihipStream_tbPNSt15iterator_traitsISG_E10value_typeEPNSM_ISH_E10value_typeEPSI_NS1_7vsmem_tEENKUlT_SG_SH_SI_E_clIS7_S7_SB_PlEESF_SV_SG_SH_SI_EUlSV_E0_NS1_11comp_targetILNS1_3genE2ELNS1_11target_archE906ELNS1_3gpuE6ELNS1_3repE0EEENS1_38merge_mergepath_config_static_selectorELNS0_4arch9wavefront6targetE1EEEvSH_
    .private_segment_fixed_size: 0
    .sgpr_count:     4
    .sgpr_spill_count: 0
    .symbol:         _ZN7rocprim17ROCPRIM_400000_NS6detail17trampoline_kernelINS0_14default_configENS1_38merge_sort_block_merge_config_selectorIslEEZZNS1_27merge_sort_block_merge_implIS3_PsN6thrust23THRUST_200600_302600_NS10device_ptrIlEEjNS1_19radix_merge_compareILb0ELb1EsNS0_19identity_decomposerEEEEE10hipError_tT0_T1_T2_jT3_P12ihipStream_tbPNSt15iterator_traitsISG_E10value_typeEPNSM_ISH_E10value_typeEPSI_NS1_7vsmem_tEENKUlT_SG_SH_SI_E_clIS7_S7_SB_PlEESF_SV_SG_SH_SI_EUlSV_E0_NS1_11comp_targetILNS1_3genE2ELNS1_11target_archE906ELNS1_3gpuE6ELNS1_3repE0EEENS1_38merge_mergepath_config_static_selectorELNS0_4arch9wavefront6targetE1EEEvSH_.kd
    .uniform_work_group_size: 1
    .uses_dynamic_stack: false
    .vgpr_count:     0
    .vgpr_spill_count: 0
    .wavefront_size: 64
  - .agpr_count:     0
    .args:
      - .offset:         0
        .size:           64
        .value_kind:     by_value
    .group_segment_fixed_size: 0
    .kernarg_segment_align: 8
    .kernarg_segment_size: 64
    .language:       OpenCL C
    .language_version:
      - 2
      - 0
    .max_flat_workgroup_size: 256
    .name:           _ZN7rocprim17ROCPRIM_400000_NS6detail17trampoline_kernelINS0_14default_configENS1_38merge_sort_block_merge_config_selectorIslEEZZNS1_27merge_sort_block_merge_implIS3_PsN6thrust23THRUST_200600_302600_NS10device_ptrIlEEjNS1_19radix_merge_compareILb0ELb1EsNS0_19identity_decomposerEEEEE10hipError_tT0_T1_T2_jT3_P12ihipStream_tbPNSt15iterator_traitsISG_E10value_typeEPNSM_ISH_E10value_typeEPSI_NS1_7vsmem_tEENKUlT_SG_SH_SI_E_clIS7_S7_SB_PlEESF_SV_SG_SH_SI_EUlSV_E0_NS1_11comp_targetILNS1_3genE9ELNS1_11target_archE1100ELNS1_3gpuE3ELNS1_3repE0EEENS1_38merge_mergepath_config_static_selectorELNS0_4arch9wavefront6targetE1EEEvSH_
    .private_segment_fixed_size: 0
    .sgpr_count:     4
    .sgpr_spill_count: 0
    .symbol:         _ZN7rocprim17ROCPRIM_400000_NS6detail17trampoline_kernelINS0_14default_configENS1_38merge_sort_block_merge_config_selectorIslEEZZNS1_27merge_sort_block_merge_implIS3_PsN6thrust23THRUST_200600_302600_NS10device_ptrIlEEjNS1_19radix_merge_compareILb0ELb1EsNS0_19identity_decomposerEEEEE10hipError_tT0_T1_T2_jT3_P12ihipStream_tbPNSt15iterator_traitsISG_E10value_typeEPNSM_ISH_E10value_typeEPSI_NS1_7vsmem_tEENKUlT_SG_SH_SI_E_clIS7_S7_SB_PlEESF_SV_SG_SH_SI_EUlSV_E0_NS1_11comp_targetILNS1_3genE9ELNS1_11target_archE1100ELNS1_3gpuE3ELNS1_3repE0EEENS1_38merge_mergepath_config_static_selectorELNS0_4arch9wavefront6targetE1EEEvSH_.kd
    .uniform_work_group_size: 1
    .uses_dynamic_stack: false
    .vgpr_count:     0
    .vgpr_spill_count: 0
    .wavefront_size: 64
  - .agpr_count:     0
    .args:
      - .offset:         0
        .size:           64
        .value_kind:     by_value
    .group_segment_fixed_size: 0
    .kernarg_segment_align: 8
    .kernarg_segment_size: 64
    .language:       OpenCL C
    .language_version:
      - 2
      - 0
    .max_flat_workgroup_size: 512
    .name:           _ZN7rocprim17ROCPRIM_400000_NS6detail17trampoline_kernelINS0_14default_configENS1_38merge_sort_block_merge_config_selectorIslEEZZNS1_27merge_sort_block_merge_implIS3_PsN6thrust23THRUST_200600_302600_NS10device_ptrIlEEjNS1_19radix_merge_compareILb0ELb1EsNS0_19identity_decomposerEEEEE10hipError_tT0_T1_T2_jT3_P12ihipStream_tbPNSt15iterator_traitsISG_E10value_typeEPNSM_ISH_E10value_typeEPSI_NS1_7vsmem_tEENKUlT_SG_SH_SI_E_clIS7_S7_SB_PlEESF_SV_SG_SH_SI_EUlSV_E0_NS1_11comp_targetILNS1_3genE8ELNS1_11target_archE1030ELNS1_3gpuE2ELNS1_3repE0EEENS1_38merge_mergepath_config_static_selectorELNS0_4arch9wavefront6targetE1EEEvSH_
    .private_segment_fixed_size: 0
    .sgpr_count:     4
    .sgpr_spill_count: 0
    .symbol:         _ZN7rocprim17ROCPRIM_400000_NS6detail17trampoline_kernelINS0_14default_configENS1_38merge_sort_block_merge_config_selectorIslEEZZNS1_27merge_sort_block_merge_implIS3_PsN6thrust23THRUST_200600_302600_NS10device_ptrIlEEjNS1_19radix_merge_compareILb0ELb1EsNS0_19identity_decomposerEEEEE10hipError_tT0_T1_T2_jT3_P12ihipStream_tbPNSt15iterator_traitsISG_E10value_typeEPNSM_ISH_E10value_typeEPSI_NS1_7vsmem_tEENKUlT_SG_SH_SI_E_clIS7_S7_SB_PlEESF_SV_SG_SH_SI_EUlSV_E0_NS1_11comp_targetILNS1_3genE8ELNS1_11target_archE1030ELNS1_3gpuE2ELNS1_3repE0EEENS1_38merge_mergepath_config_static_selectorELNS0_4arch9wavefront6targetE1EEEvSH_.kd
    .uniform_work_group_size: 1
    .uses_dynamic_stack: false
    .vgpr_count:     0
    .vgpr_spill_count: 0
    .wavefront_size: 64
  - .agpr_count:     0
    .args:
      - .offset:         0
        .size:           48
        .value_kind:     by_value
    .group_segment_fixed_size: 0
    .kernarg_segment_align: 8
    .kernarg_segment_size: 48
    .language:       OpenCL C
    .language_version:
      - 2
      - 0
    .max_flat_workgroup_size: 256
    .name:           _ZN7rocprim17ROCPRIM_400000_NS6detail17trampoline_kernelINS0_14default_configENS1_38merge_sort_block_merge_config_selectorIslEEZZNS1_27merge_sort_block_merge_implIS3_PsN6thrust23THRUST_200600_302600_NS10device_ptrIlEEjNS1_19radix_merge_compareILb0ELb1EsNS0_19identity_decomposerEEEEE10hipError_tT0_T1_T2_jT3_P12ihipStream_tbPNSt15iterator_traitsISG_E10value_typeEPNSM_ISH_E10value_typeEPSI_NS1_7vsmem_tEENKUlT_SG_SH_SI_E_clIS7_S7_SB_PlEESF_SV_SG_SH_SI_EUlSV_E1_NS1_11comp_targetILNS1_3genE0ELNS1_11target_archE4294967295ELNS1_3gpuE0ELNS1_3repE0EEENS1_36merge_oddeven_config_static_selectorELNS0_4arch9wavefront6targetE1EEEvSH_
    .private_segment_fixed_size: 0
    .sgpr_count:     4
    .sgpr_spill_count: 0
    .symbol:         _ZN7rocprim17ROCPRIM_400000_NS6detail17trampoline_kernelINS0_14default_configENS1_38merge_sort_block_merge_config_selectorIslEEZZNS1_27merge_sort_block_merge_implIS3_PsN6thrust23THRUST_200600_302600_NS10device_ptrIlEEjNS1_19radix_merge_compareILb0ELb1EsNS0_19identity_decomposerEEEEE10hipError_tT0_T1_T2_jT3_P12ihipStream_tbPNSt15iterator_traitsISG_E10value_typeEPNSM_ISH_E10value_typeEPSI_NS1_7vsmem_tEENKUlT_SG_SH_SI_E_clIS7_S7_SB_PlEESF_SV_SG_SH_SI_EUlSV_E1_NS1_11comp_targetILNS1_3genE0ELNS1_11target_archE4294967295ELNS1_3gpuE0ELNS1_3repE0EEENS1_36merge_oddeven_config_static_selectorELNS0_4arch9wavefront6targetE1EEEvSH_.kd
    .uniform_work_group_size: 1
    .uses_dynamic_stack: false
    .vgpr_count:     0
    .vgpr_spill_count: 0
    .wavefront_size: 64
  - .agpr_count:     0
    .args:
      - .offset:         0
        .size:           48
        .value_kind:     by_value
    .group_segment_fixed_size: 0
    .kernarg_segment_align: 8
    .kernarg_segment_size: 48
    .language:       OpenCL C
    .language_version:
      - 2
      - 0
    .max_flat_workgroup_size: 256
    .name:           _ZN7rocprim17ROCPRIM_400000_NS6detail17trampoline_kernelINS0_14default_configENS1_38merge_sort_block_merge_config_selectorIslEEZZNS1_27merge_sort_block_merge_implIS3_PsN6thrust23THRUST_200600_302600_NS10device_ptrIlEEjNS1_19radix_merge_compareILb0ELb1EsNS0_19identity_decomposerEEEEE10hipError_tT0_T1_T2_jT3_P12ihipStream_tbPNSt15iterator_traitsISG_E10value_typeEPNSM_ISH_E10value_typeEPSI_NS1_7vsmem_tEENKUlT_SG_SH_SI_E_clIS7_S7_SB_PlEESF_SV_SG_SH_SI_EUlSV_E1_NS1_11comp_targetILNS1_3genE10ELNS1_11target_archE1201ELNS1_3gpuE5ELNS1_3repE0EEENS1_36merge_oddeven_config_static_selectorELNS0_4arch9wavefront6targetE1EEEvSH_
    .private_segment_fixed_size: 0
    .sgpr_count:     4
    .sgpr_spill_count: 0
    .symbol:         _ZN7rocprim17ROCPRIM_400000_NS6detail17trampoline_kernelINS0_14default_configENS1_38merge_sort_block_merge_config_selectorIslEEZZNS1_27merge_sort_block_merge_implIS3_PsN6thrust23THRUST_200600_302600_NS10device_ptrIlEEjNS1_19radix_merge_compareILb0ELb1EsNS0_19identity_decomposerEEEEE10hipError_tT0_T1_T2_jT3_P12ihipStream_tbPNSt15iterator_traitsISG_E10value_typeEPNSM_ISH_E10value_typeEPSI_NS1_7vsmem_tEENKUlT_SG_SH_SI_E_clIS7_S7_SB_PlEESF_SV_SG_SH_SI_EUlSV_E1_NS1_11comp_targetILNS1_3genE10ELNS1_11target_archE1201ELNS1_3gpuE5ELNS1_3repE0EEENS1_36merge_oddeven_config_static_selectorELNS0_4arch9wavefront6targetE1EEEvSH_.kd
    .uniform_work_group_size: 1
    .uses_dynamic_stack: false
    .vgpr_count:     0
    .vgpr_spill_count: 0
    .wavefront_size: 64
  - .agpr_count:     0
    .args:
      - .offset:         0
        .size:           48
        .value_kind:     by_value
    .group_segment_fixed_size: 0
    .kernarg_segment_align: 8
    .kernarg_segment_size: 48
    .language:       OpenCL C
    .language_version:
      - 2
      - 0
    .max_flat_workgroup_size: 256
    .name:           _ZN7rocprim17ROCPRIM_400000_NS6detail17trampoline_kernelINS0_14default_configENS1_38merge_sort_block_merge_config_selectorIslEEZZNS1_27merge_sort_block_merge_implIS3_PsN6thrust23THRUST_200600_302600_NS10device_ptrIlEEjNS1_19radix_merge_compareILb0ELb1EsNS0_19identity_decomposerEEEEE10hipError_tT0_T1_T2_jT3_P12ihipStream_tbPNSt15iterator_traitsISG_E10value_typeEPNSM_ISH_E10value_typeEPSI_NS1_7vsmem_tEENKUlT_SG_SH_SI_E_clIS7_S7_SB_PlEESF_SV_SG_SH_SI_EUlSV_E1_NS1_11comp_targetILNS1_3genE5ELNS1_11target_archE942ELNS1_3gpuE9ELNS1_3repE0EEENS1_36merge_oddeven_config_static_selectorELNS0_4arch9wavefront6targetE1EEEvSH_
    .private_segment_fixed_size: 0
    .sgpr_count:     4
    .sgpr_spill_count: 0
    .symbol:         _ZN7rocprim17ROCPRIM_400000_NS6detail17trampoline_kernelINS0_14default_configENS1_38merge_sort_block_merge_config_selectorIslEEZZNS1_27merge_sort_block_merge_implIS3_PsN6thrust23THRUST_200600_302600_NS10device_ptrIlEEjNS1_19radix_merge_compareILb0ELb1EsNS0_19identity_decomposerEEEEE10hipError_tT0_T1_T2_jT3_P12ihipStream_tbPNSt15iterator_traitsISG_E10value_typeEPNSM_ISH_E10value_typeEPSI_NS1_7vsmem_tEENKUlT_SG_SH_SI_E_clIS7_S7_SB_PlEESF_SV_SG_SH_SI_EUlSV_E1_NS1_11comp_targetILNS1_3genE5ELNS1_11target_archE942ELNS1_3gpuE9ELNS1_3repE0EEENS1_36merge_oddeven_config_static_selectorELNS0_4arch9wavefront6targetE1EEEvSH_.kd
    .uniform_work_group_size: 1
    .uses_dynamic_stack: false
    .vgpr_count:     0
    .vgpr_spill_count: 0
    .wavefront_size: 64
  - .agpr_count:     0
    .args:
      - .offset:         0
        .size:           48
        .value_kind:     by_value
    .group_segment_fixed_size: 0
    .kernarg_segment_align: 8
    .kernarg_segment_size: 48
    .language:       OpenCL C
    .language_version:
      - 2
      - 0
    .max_flat_workgroup_size: 256
    .name:           _ZN7rocprim17ROCPRIM_400000_NS6detail17trampoline_kernelINS0_14default_configENS1_38merge_sort_block_merge_config_selectorIslEEZZNS1_27merge_sort_block_merge_implIS3_PsN6thrust23THRUST_200600_302600_NS10device_ptrIlEEjNS1_19radix_merge_compareILb0ELb1EsNS0_19identity_decomposerEEEEE10hipError_tT0_T1_T2_jT3_P12ihipStream_tbPNSt15iterator_traitsISG_E10value_typeEPNSM_ISH_E10value_typeEPSI_NS1_7vsmem_tEENKUlT_SG_SH_SI_E_clIS7_S7_SB_PlEESF_SV_SG_SH_SI_EUlSV_E1_NS1_11comp_targetILNS1_3genE4ELNS1_11target_archE910ELNS1_3gpuE8ELNS1_3repE0EEENS1_36merge_oddeven_config_static_selectorELNS0_4arch9wavefront6targetE1EEEvSH_
    .private_segment_fixed_size: 0
    .sgpr_count:     28
    .sgpr_spill_count: 0
    .symbol:         _ZN7rocprim17ROCPRIM_400000_NS6detail17trampoline_kernelINS0_14default_configENS1_38merge_sort_block_merge_config_selectorIslEEZZNS1_27merge_sort_block_merge_implIS3_PsN6thrust23THRUST_200600_302600_NS10device_ptrIlEEjNS1_19radix_merge_compareILb0ELb1EsNS0_19identity_decomposerEEEEE10hipError_tT0_T1_T2_jT3_P12ihipStream_tbPNSt15iterator_traitsISG_E10value_typeEPNSM_ISH_E10value_typeEPSI_NS1_7vsmem_tEENKUlT_SG_SH_SI_E_clIS7_S7_SB_PlEESF_SV_SG_SH_SI_EUlSV_E1_NS1_11comp_targetILNS1_3genE4ELNS1_11target_archE910ELNS1_3gpuE8ELNS1_3repE0EEENS1_36merge_oddeven_config_static_selectorELNS0_4arch9wavefront6targetE1EEEvSH_.kd
    .uniform_work_group_size: 1
    .uses_dynamic_stack: false
    .vgpr_count:     11
    .vgpr_spill_count: 0
    .wavefront_size: 64
  - .agpr_count:     0
    .args:
      - .offset:         0
        .size:           48
        .value_kind:     by_value
    .group_segment_fixed_size: 0
    .kernarg_segment_align: 8
    .kernarg_segment_size: 48
    .language:       OpenCL C
    .language_version:
      - 2
      - 0
    .max_flat_workgroup_size: 256
    .name:           _ZN7rocprim17ROCPRIM_400000_NS6detail17trampoline_kernelINS0_14default_configENS1_38merge_sort_block_merge_config_selectorIslEEZZNS1_27merge_sort_block_merge_implIS3_PsN6thrust23THRUST_200600_302600_NS10device_ptrIlEEjNS1_19radix_merge_compareILb0ELb1EsNS0_19identity_decomposerEEEEE10hipError_tT0_T1_T2_jT3_P12ihipStream_tbPNSt15iterator_traitsISG_E10value_typeEPNSM_ISH_E10value_typeEPSI_NS1_7vsmem_tEENKUlT_SG_SH_SI_E_clIS7_S7_SB_PlEESF_SV_SG_SH_SI_EUlSV_E1_NS1_11comp_targetILNS1_3genE3ELNS1_11target_archE908ELNS1_3gpuE7ELNS1_3repE0EEENS1_36merge_oddeven_config_static_selectorELNS0_4arch9wavefront6targetE1EEEvSH_
    .private_segment_fixed_size: 0
    .sgpr_count:     4
    .sgpr_spill_count: 0
    .symbol:         _ZN7rocprim17ROCPRIM_400000_NS6detail17trampoline_kernelINS0_14default_configENS1_38merge_sort_block_merge_config_selectorIslEEZZNS1_27merge_sort_block_merge_implIS3_PsN6thrust23THRUST_200600_302600_NS10device_ptrIlEEjNS1_19radix_merge_compareILb0ELb1EsNS0_19identity_decomposerEEEEE10hipError_tT0_T1_T2_jT3_P12ihipStream_tbPNSt15iterator_traitsISG_E10value_typeEPNSM_ISH_E10value_typeEPSI_NS1_7vsmem_tEENKUlT_SG_SH_SI_E_clIS7_S7_SB_PlEESF_SV_SG_SH_SI_EUlSV_E1_NS1_11comp_targetILNS1_3genE3ELNS1_11target_archE908ELNS1_3gpuE7ELNS1_3repE0EEENS1_36merge_oddeven_config_static_selectorELNS0_4arch9wavefront6targetE1EEEvSH_.kd
    .uniform_work_group_size: 1
    .uses_dynamic_stack: false
    .vgpr_count:     0
    .vgpr_spill_count: 0
    .wavefront_size: 64
  - .agpr_count:     0
    .args:
      - .offset:         0
        .size:           48
        .value_kind:     by_value
    .group_segment_fixed_size: 0
    .kernarg_segment_align: 8
    .kernarg_segment_size: 48
    .language:       OpenCL C
    .language_version:
      - 2
      - 0
    .max_flat_workgroup_size: 256
    .name:           _ZN7rocprim17ROCPRIM_400000_NS6detail17trampoline_kernelINS0_14default_configENS1_38merge_sort_block_merge_config_selectorIslEEZZNS1_27merge_sort_block_merge_implIS3_PsN6thrust23THRUST_200600_302600_NS10device_ptrIlEEjNS1_19radix_merge_compareILb0ELb1EsNS0_19identity_decomposerEEEEE10hipError_tT0_T1_T2_jT3_P12ihipStream_tbPNSt15iterator_traitsISG_E10value_typeEPNSM_ISH_E10value_typeEPSI_NS1_7vsmem_tEENKUlT_SG_SH_SI_E_clIS7_S7_SB_PlEESF_SV_SG_SH_SI_EUlSV_E1_NS1_11comp_targetILNS1_3genE2ELNS1_11target_archE906ELNS1_3gpuE6ELNS1_3repE0EEENS1_36merge_oddeven_config_static_selectorELNS0_4arch9wavefront6targetE1EEEvSH_
    .private_segment_fixed_size: 0
    .sgpr_count:     4
    .sgpr_spill_count: 0
    .symbol:         _ZN7rocprim17ROCPRIM_400000_NS6detail17trampoline_kernelINS0_14default_configENS1_38merge_sort_block_merge_config_selectorIslEEZZNS1_27merge_sort_block_merge_implIS3_PsN6thrust23THRUST_200600_302600_NS10device_ptrIlEEjNS1_19radix_merge_compareILb0ELb1EsNS0_19identity_decomposerEEEEE10hipError_tT0_T1_T2_jT3_P12ihipStream_tbPNSt15iterator_traitsISG_E10value_typeEPNSM_ISH_E10value_typeEPSI_NS1_7vsmem_tEENKUlT_SG_SH_SI_E_clIS7_S7_SB_PlEESF_SV_SG_SH_SI_EUlSV_E1_NS1_11comp_targetILNS1_3genE2ELNS1_11target_archE906ELNS1_3gpuE6ELNS1_3repE0EEENS1_36merge_oddeven_config_static_selectorELNS0_4arch9wavefront6targetE1EEEvSH_.kd
    .uniform_work_group_size: 1
    .uses_dynamic_stack: false
    .vgpr_count:     0
    .vgpr_spill_count: 0
    .wavefront_size: 64
  - .agpr_count:     0
    .args:
      - .offset:         0
        .size:           48
        .value_kind:     by_value
    .group_segment_fixed_size: 0
    .kernarg_segment_align: 8
    .kernarg_segment_size: 48
    .language:       OpenCL C
    .language_version:
      - 2
      - 0
    .max_flat_workgroup_size: 256
    .name:           _ZN7rocprim17ROCPRIM_400000_NS6detail17trampoline_kernelINS0_14default_configENS1_38merge_sort_block_merge_config_selectorIslEEZZNS1_27merge_sort_block_merge_implIS3_PsN6thrust23THRUST_200600_302600_NS10device_ptrIlEEjNS1_19radix_merge_compareILb0ELb1EsNS0_19identity_decomposerEEEEE10hipError_tT0_T1_T2_jT3_P12ihipStream_tbPNSt15iterator_traitsISG_E10value_typeEPNSM_ISH_E10value_typeEPSI_NS1_7vsmem_tEENKUlT_SG_SH_SI_E_clIS7_S7_SB_PlEESF_SV_SG_SH_SI_EUlSV_E1_NS1_11comp_targetILNS1_3genE9ELNS1_11target_archE1100ELNS1_3gpuE3ELNS1_3repE0EEENS1_36merge_oddeven_config_static_selectorELNS0_4arch9wavefront6targetE1EEEvSH_
    .private_segment_fixed_size: 0
    .sgpr_count:     4
    .sgpr_spill_count: 0
    .symbol:         _ZN7rocprim17ROCPRIM_400000_NS6detail17trampoline_kernelINS0_14default_configENS1_38merge_sort_block_merge_config_selectorIslEEZZNS1_27merge_sort_block_merge_implIS3_PsN6thrust23THRUST_200600_302600_NS10device_ptrIlEEjNS1_19radix_merge_compareILb0ELb1EsNS0_19identity_decomposerEEEEE10hipError_tT0_T1_T2_jT3_P12ihipStream_tbPNSt15iterator_traitsISG_E10value_typeEPNSM_ISH_E10value_typeEPSI_NS1_7vsmem_tEENKUlT_SG_SH_SI_E_clIS7_S7_SB_PlEESF_SV_SG_SH_SI_EUlSV_E1_NS1_11comp_targetILNS1_3genE9ELNS1_11target_archE1100ELNS1_3gpuE3ELNS1_3repE0EEENS1_36merge_oddeven_config_static_selectorELNS0_4arch9wavefront6targetE1EEEvSH_.kd
    .uniform_work_group_size: 1
    .uses_dynamic_stack: false
    .vgpr_count:     0
    .vgpr_spill_count: 0
    .wavefront_size: 64
  - .agpr_count:     0
    .args:
      - .offset:         0
        .size:           48
        .value_kind:     by_value
    .group_segment_fixed_size: 0
    .kernarg_segment_align: 8
    .kernarg_segment_size: 48
    .language:       OpenCL C
    .language_version:
      - 2
      - 0
    .max_flat_workgroup_size: 256
    .name:           _ZN7rocprim17ROCPRIM_400000_NS6detail17trampoline_kernelINS0_14default_configENS1_38merge_sort_block_merge_config_selectorIslEEZZNS1_27merge_sort_block_merge_implIS3_PsN6thrust23THRUST_200600_302600_NS10device_ptrIlEEjNS1_19radix_merge_compareILb0ELb1EsNS0_19identity_decomposerEEEEE10hipError_tT0_T1_T2_jT3_P12ihipStream_tbPNSt15iterator_traitsISG_E10value_typeEPNSM_ISH_E10value_typeEPSI_NS1_7vsmem_tEENKUlT_SG_SH_SI_E_clIS7_S7_SB_PlEESF_SV_SG_SH_SI_EUlSV_E1_NS1_11comp_targetILNS1_3genE8ELNS1_11target_archE1030ELNS1_3gpuE2ELNS1_3repE0EEENS1_36merge_oddeven_config_static_selectorELNS0_4arch9wavefront6targetE1EEEvSH_
    .private_segment_fixed_size: 0
    .sgpr_count:     4
    .sgpr_spill_count: 0
    .symbol:         _ZN7rocprim17ROCPRIM_400000_NS6detail17trampoline_kernelINS0_14default_configENS1_38merge_sort_block_merge_config_selectorIslEEZZNS1_27merge_sort_block_merge_implIS3_PsN6thrust23THRUST_200600_302600_NS10device_ptrIlEEjNS1_19radix_merge_compareILb0ELb1EsNS0_19identity_decomposerEEEEE10hipError_tT0_T1_T2_jT3_P12ihipStream_tbPNSt15iterator_traitsISG_E10value_typeEPNSM_ISH_E10value_typeEPSI_NS1_7vsmem_tEENKUlT_SG_SH_SI_E_clIS7_S7_SB_PlEESF_SV_SG_SH_SI_EUlSV_E1_NS1_11comp_targetILNS1_3genE8ELNS1_11target_archE1030ELNS1_3gpuE2ELNS1_3repE0EEENS1_36merge_oddeven_config_static_selectorELNS0_4arch9wavefront6targetE1EEEvSH_.kd
    .uniform_work_group_size: 1
    .uses_dynamic_stack: false
    .vgpr_count:     0
    .vgpr_spill_count: 0
    .wavefront_size: 64
  - .agpr_count:     0
    .args:
      - .offset:         0
        .size:           40
        .value_kind:     by_value
    .group_segment_fixed_size: 0
    .kernarg_segment_align: 8
    .kernarg_segment_size: 40
    .language:       OpenCL C
    .language_version:
      - 2
      - 0
    .max_flat_workgroup_size: 1024
    .name:           _ZN7rocprim17ROCPRIM_400000_NS6detail17trampoline_kernelINS0_14default_configENS1_35radix_sort_onesweep_config_selectorIslEEZNS1_34radix_sort_onesweep_global_offsetsIS3_Lb0EPsN6thrust23THRUST_200600_302600_NS10device_ptrIlEEjNS0_19identity_decomposerEEE10hipError_tT1_T2_PT3_SG_jT4_jjP12ihipStream_tbEUlT_E_NS1_11comp_targetILNS1_3genE0ELNS1_11target_archE4294967295ELNS1_3gpuE0ELNS1_3repE0EEENS1_52radix_sort_onesweep_histogram_config_static_selectorELNS0_4arch9wavefront6targetE1EEEvSE_
    .private_segment_fixed_size: 0
    .sgpr_count:     4
    .sgpr_spill_count: 0
    .symbol:         _ZN7rocprim17ROCPRIM_400000_NS6detail17trampoline_kernelINS0_14default_configENS1_35radix_sort_onesweep_config_selectorIslEEZNS1_34radix_sort_onesweep_global_offsetsIS3_Lb0EPsN6thrust23THRUST_200600_302600_NS10device_ptrIlEEjNS0_19identity_decomposerEEE10hipError_tT1_T2_PT3_SG_jT4_jjP12ihipStream_tbEUlT_E_NS1_11comp_targetILNS1_3genE0ELNS1_11target_archE4294967295ELNS1_3gpuE0ELNS1_3repE0EEENS1_52radix_sort_onesweep_histogram_config_static_selectorELNS0_4arch9wavefront6targetE1EEEvSE_.kd
    .uniform_work_group_size: 1
    .uses_dynamic_stack: false
    .vgpr_count:     0
    .vgpr_spill_count: 0
    .wavefront_size: 64
  - .agpr_count:     0
    .args:
      - .offset:         0
        .size:           40
        .value_kind:     by_value
    .group_segment_fixed_size: 0
    .kernarg_segment_align: 8
    .kernarg_segment_size: 40
    .language:       OpenCL C
    .language_version:
      - 2
      - 0
    .max_flat_workgroup_size: 1024
    .name:           _ZN7rocprim17ROCPRIM_400000_NS6detail17trampoline_kernelINS0_14default_configENS1_35radix_sort_onesweep_config_selectorIslEEZNS1_34radix_sort_onesweep_global_offsetsIS3_Lb0EPsN6thrust23THRUST_200600_302600_NS10device_ptrIlEEjNS0_19identity_decomposerEEE10hipError_tT1_T2_PT3_SG_jT4_jjP12ihipStream_tbEUlT_E_NS1_11comp_targetILNS1_3genE6ELNS1_11target_archE950ELNS1_3gpuE13ELNS1_3repE0EEENS1_52radix_sort_onesweep_histogram_config_static_selectorELNS0_4arch9wavefront6targetE1EEEvSE_
    .private_segment_fixed_size: 0
    .sgpr_count:     4
    .sgpr_spill_count: 0
    .symbol:         _ZN7rocprim17ROCPRIM_400000_NS6detail17trampoline_kernelINS0_14default_configENS1_35radix_sort_onesweep_config_selectorIslEEZNS1_34radix_sort_onesweep_global_offsetsIS3_Lb0EPsN6thrust23THRUST_200600_302600_NS10device_ptrIlEEjNS0_19identity_decomposerEEE10hipError_tT1_T2_PT3_SG_jT4_jjP12ihipStream_tbEUlT_E_NS1_11comp_targetILNS1_3genE6ELNS1_11target_archE950ELNS1_3gpuE13ELNS1_3repE0EEENS1_52radix_sort_onesweep_histogram_config_static_selectorELNS0_4arch9wavefront6targetE1EEEvSE_.kd
    .uniform_work_group_size: 1
    .uses_dynamic_stack: false
    .vgpr_count:     0
    .vgpr_spill_count: 0
    .wavefront_size: 64
  - .agpr_count:     0
    .args:
      - .offset:         0
        .size:           40
        .value_kind:     by_value
    .group_segment_fixed_size: 0
    .kernarg_segment_align: 8
    .kernarg_segment_size: 40
    .language:       OpenCL C
    .language_version:
      - 2
      - 0
    .max_flat_workgroup_size: 1024
    .name:           _ZN7rocprim17ROCPRIM_400000_NS6detail17trampoline_kernelINS0_14default_configENS1_35radix_sort_onesweep_config_selectorIslEEZNS1_34radix_sort_onesweep_global_offsetsIS3_Lb0EPsN6thrust23THRUST_200600_302600_NS10device_ptrIlEEjNS0_19identity_decomposerEEE10hipError_tT1_T2_PT3_SG_jT4_jjP12ihipStream_tbEUlT_E_NS1_11comp_targetILNS1_3genE5ELNS1_11target_archE942ELNS1_3gpuE9ELNS1_3repE0EEENS1_52radix_sort_onesweep_histogram_config_static_selectorELNS0_4arch9wavefront6targetE1EEEvSE_
    .private_segment_fixed_size: 0
    .sgpr_count:     4
    .sgpr_spill_count: 0
    .symbol:         _ZN7rocprim17ROCPRIM_400000_NS6detail17trampoline_kernelINS0_14default_configENS1_35radix_sort_onesweep_config_selectorIslEEZNS1_34radix_sort_onesweep_global_offsetsIS3_Lb0EPsN6thrust23THRUST_200600_302600_NS10device_ptrIlEEjNS0_19identity_decomposerEEE10hipError_tT1_T2_PT3_SG_jT4_jjP12ihipStream_tbEUlT_E_NS1_11comp_targetILNS1_3genE5ELNS1_11target_archE942ELNS1_3gpuE9ELNS1_3repE0EEENS1_52radix_sort_onesweep_histogram_config_static_selectorELNS0_4arch9wavefront6targetE1EEEvSE_.kd
    .uniform_work_group_size: 1
    .uses_dynamic_stack: false
    .vgpr_count:     0
    .vgpr_spill_count: 0
    .wavefront_size: 64
  - .agpr_count:     0
    .args:
      - .offset:         0
        .size:           40
        .value_kind:     by_value
    .group_segment_fixed_size: 0
    .kernarg_segment_align: 8
    .kernarg_segment_size: 40
    .language:       OpenCL C
    .language_version:
      - 2
      - 0
    .max_flat_workgroup_size: 512
    .name:           _ZN7rocprim17ROCPRIM_400000_NS6detail17trampoline_kernelINS0_14default_configENS1_35radix_sort_onesweep_config_selectorIslEEZNS1_34radix_sort_onesweep_global_offsetsIS3_Lb0EPsN6thrust23THRUST_200600_302600_NS10device_ptrIlEEjNS0_19identity_decomposerEEE10hipError_tT1_T2_PT3_SG_jT4_jjP12ihipStream_tbEUlT_E_NS1_11comp_targetILNS1_3genE2ELNS1_11target_archE906ELNS1_3gpuE6ELNS1_3repE0EEENS1_52radix_sort_onesweep_histogram_config_static_selectorELNS0_4arch9wavefront6targetE1EEEvSE_
    .private_segment_fixed_size: 0
    .sgpr_count:     4
    .sgpr_spill_count: 0
    .symbol:         _ZN7rocprim17ROCPRIM_400000_NS6detail17trampoline_kernelINS0_14default_configENS1_35radix_sort_onesweep_config_selectorIslEEZNS1_34radix_sort_onesweep_global_offsetsIS3_Lb0EPsN6thrust23THRUST_200600_302600_NS10device_ptrIlEEjNS0_19identity_decomposerEEE10hipError_tT1_T2_PT3_SG_jT4_jjP12ihipStream_tbEUlT_E_NS1_11comp_targetILNS1_3genE2ELNS1_11target_archE906ELNS1_3gpuE6ELNS1_3repE0EEENS1_52radix_sort_onesweep_histogram_config_static_selectorELNS0_4arch9wavefront6targetE1EEEvSE_.kd
    .uniform_work_group_size: 1
    .uses_dynamic_stack: false
    .vgpr_count:     0
    .vgpr_spill_count: 0
    .wavefront_size: 64
  - .agpr_count:     0
    .args:
      - .offset:         0
        .size:           40
        .value_kind:     by_value
    .group_segment_fixed_size: 8192
    .kernarg_segment_align: 8
    .kernarg_segment_size: 40
    .language:       OpenCL C
    .language_version:
      - 2
      - 0
    .max_flat_workgroup_size: 1024
    .name:           _ZN7rocprim17ROCPRIM_400000_NS6detail17trampoline_kernelINS0_14default_configENS1_35radix_sort_onesweep_config_selectorIslEEZNS1_34radix_sort_onesweep_global_offsetsIS3_Lb0EPsN6thrust23THRUST_200600_302600_NS10device_ptrIlEEjNS0_19identity_decomposerEEE10hipError_tT1_T2_PT3_SG_jT4_jjP12ihipStream_tbEUlT_E_NS1_11comp_targetILNS1_3genE4ELNS1_11target_archE910ELNS1_3gpuE8ELNS1_3repE0EEENS1_52radix_sort_onesweep_histogram_config_static_selectorELNS0_4arch9wavefront6targetE1EEEvSE_
    .private_segment_fixed_size: 0
    .sgpr_count:     24
    .sgpr_spill_count: 0
    .symbol:         _ZN7rocprim17ROCPRIM_400000_NS6detail17trampoline_kernelINS0_14default_configENS1_35radix_sort_onesweep_config_selectorIslEEZNS1_34radix_sort_onesweep_global_offsetsIS3_Lb0EPsN6thrust23THRUST_200600_302600_NS10device_ptrIlEEjNS0_19identity_decomposerEEE10hipError_tT1_T2_PT3_SG_jT4_jjP12ihipStream_tbEUlT_E_NS1_11comp_targetILNS1_3genE4ELNS1_11target_archE910ELNS1_3gpuE8ELNS1_3repE0EEENS1_52radix_sort_onesweep_histogram_config_static_selectorELNS0_4arch9wavefront6targetE1EEEvSE_.kd
    .uniform_work_group_size: 1
    .uses_dynamic_stack: false
    .vgpr_count:     21
    .vgpr_spill_count: 0
    .wavefront_size: 64
  - .agpr_count:     0
    .args:
      - .offset:         0
        .size:           40
        .value_kind:     by_value
    .group_segment_fixed_size: 0
    .kernarg_segment_align: 8
    .kernarg_segment_size: 40
    .language:       OpenCL C
    .language_version:
      - 2
      - 0
    .max_flat_workgroup_size: 1024
    .name:           _ZN7rocprim17ROCPRIM_400000_NS6detail17trampoline_kernelINS0_14default_configENS1_35radix_sort_onesweep_config_selectorIslEEZNS1_34radix_sort_onesweep_global_offsetsIS3_Lb0EPsN6thrust23THRUST_200600_302600_NS10device_ptrIlEEjNS0_19identity_decomposerEEE10hipError_tT1_T2_PT3_SG_jT4_jjP12ihipStream_tbEUlT_E_NS1_11comp_targetILNS1_3genE3ELNS1_11target_archE908ELNS1_3gpuE7ELNS1_3repE0EEENS1_52radix_sort_onesweep_histogram_config_static_selectorELNS0_4arch9wavefront6targetE1EEEvSE_
    .private_segment_fixed_size: 0
    .sgpr_count:     4
    .sgpr_spill_count: 0
    .symbol:         _ZN7rocprim17ROCPRIM_400000_NS6detail17trampoline_kernelINS0_14default_configENS1_35radix_sort_onesweep_config_selectorIslEEZNS1_34radix_sort_onesweep_global_offsetsIS3_Lb0EPsN6thrust23THRUST_200600_302600_NS10device_ptrIlEEjNS0_19identity_decomposerEEE10hipError_tT1_T2_PT3_SG_jT4_jjP12ihipStream_tbEUlT_E_NS1_11comp_targetILNS1_3genE3ELNS1_11target_archE908ELNS1_3gpuE7ELNS1_3repE0EEENS1_52radix_sort_onesweep_histogram_config_static_selectorELNS0_4arch9wavefront6targetE1EEEvSE_.kd
    .uniform_work_group_size: 1
    .uses_dynamic_stack: false
    .vgpr_count:     0
    .vgpr_spill_count: 0
    .wavefront_size: 64
  - .agpr_count:     0
    .args:
      - .offset:         0
        .size:           40
        .value_kind:     by_value
    .group_segment_fixed_size: 0
    .kernarg_segment_align: 8
    .kernarg_segment_size: 40
    .language:       OpenCL C
    .language_version:
      - 2
      - 0
    .max_flat_workgroup_size: 1024
    .name:           _ZN7rocprim17ROCPRIM_400000_NS6detail17trampoline_kernelINS0_14default_configENS1_35radix_sort_onesweep_config_selectorIslEEZNS1_34radix_sort_onesweep_global_offsetsIS3_Lb0EPsN6thrust23THRUST_200600_302600_NS10device_ptrIlEEjNS0_19identity_decomposerEEE10hipError_tT1_T2_PT3_SG_jT4_jjP12ihipStream_tbEUlT_E_NS1_11comp_targetILNS1_3genE10ELNS1_11target_archE1201ELNS1_3gpuE5ELNS1_3repE0EEENS1_52radix_sort_onesweep_histogram_config_static_selectorELNS0_4arch9wavefront6targetE1EEEvSE_
    .private_segment_fixed_size: 0
    .sgpr_count:     4
    .sgpr_spill_count: 0
    .symbol:         _ZN7rocprim17ROCPRIM_400000_NS6detail17trampoline_kernelINS0_14default_configENS1_35radix_sort_onesweep_config_selectorIslEEZNS1_34radix_sort_onesweep_global_offsetsIS3_Lb0EPsN6thrust23THRUST_200600_302600_NS10device_ptrIlEEjNS0_19identity_decomposerEEE10hipError_tT1_T2_PT3_SG_jT4_jjP12ihipStream_tbEUlT_E_NS1_11comp_targetILNS1_3genE10ELNS1_11target_archE1201ELNS1_3gpuE5ELNS1_3repE0EEENS1_52radix_sort_onesweep_histogram_config_static_selectorELNS0_4arch9wavefront6targetE1EEEvSE_.kd
    .uniform_work_group_size: 1
    .uses_dynamic_stack: false
    .vgpr_count:     0
    .vgpr_spill_count: 0
    .wavefront_size: 64
  - .agpr_count:     0
    .args:
      - .offset:         0
        .size:           40
        .value_kind:     by_value
    .group_segment_fixed_size: 0
    .kernarg_segment_align: 8
    .kernarg_segment_size: 40
    .language:       OpenCL C
    .language_version:
      - 2
      - 0
    .max_flat_workgroup_size: 1024
    .name:           _ZN7rocprim17ROCPRIM_400000_NS6detail17trampoline_kernelINS0_14default_configENS1_35radix_sort_onesweep_config_selectorIslEEZNS1_34radix_sort_onesweep_global_offsetsIS3_Lb0EPsN6thrust23THRUST_200600_302600_NS10device_ptrIlEEjNS0_19identity_decomposerEEE10hipError_tT1_T2_PT3_SG_jT4_jjP12ihipStream_tbEUlT_E_NS1_11comp_targetILNS1_3genE9ELNS1_11target_archE1100ELNS1_3gpuE3ELNS1_3repE0EEENS1_52radix_sort_onesweep_histogram_config_static_selectorELNS0_4arch9wavefront6targetE1EEEvSE_
    .private_segment_fixed_size: 0
    .sgpr_count:     4
    .sgpr_spill_count: 0
    .symbol:         _ZN7rocprim17ROCPRIM_400000_NS6detail17trampoline_kernelINS0_14default_configENS1_35radix_sort_onesweep_config_selectorIslEEZNS1_34radix_sort_onesweep_global_offsetsIS3_Lb0EPsN6thrust23THRUST_200600_302600_NS10device_ptrIlEEjNS0_19identity_decomposerEEE10hipError_tT1_T2_PT3_SG_jT4_jjP12ihipStream_tbEUlT_E_NS1_11comp_targetILNS1_3genE9ELNS1_11target_archE1100ELNS1_3gpuE3ELNS1_3repE0EEENS1_52radix_sort_onesweep_histogram_config_static_selectorELNS0_4arch9wavefront6targetE1EEEvSE_.kd
    .uniform_work_group_size: 1
    .uses_dynamic_stack: false
    .vgpr_count:     0
    .vgpr_spill_count: 0
    .wavefront_size: 64
  - .agpr_count:     0
    .args:
      - .offset:         0
        .size:           40
        .value_kind:     by_value
    .group_segment_fixed_size: 0
    .kernarg_segment_align: 8
    .kernarg_segment_size: 40
    .language:       OpenCL C
    .language_version:
      - 2
      - 0
    .max_flat_workgroup_size: 1024
    .name:           _ZN7rocprim17ROCPRIM_400000_NS6detail17trampoline_kernelINS0_14default_configENS1_35radix_sort_onesweep_config_selectorIslEEZNS1_34radix_sort_onesweep_global_offsetsIS3_Lb0EPsN6thrust23THRUST_200600_302600_NS10device_ptrIlEEjNS0_19identity_decomposerEEE10hipError_tT1_T2_PT3_SG_jT4_jjP12ihipStream_tbEUlT_E_NS1_11comp_targetILNS1_3genE8ELNS1_11target_archE1030ELNS1_3gpuE2ELNS1_3repE0EEENS1_52radix_sort_onesweep_histogram_config_static_selectorELNS0_4arch9wavefront6targetE1EEEvSE_
    .private_segment_fixed_size: 0
    .sgpr_count:     4
    .sgpr_spill_count: 0
    .symbol:         _ZN7rocprim17ROCPRIM_400000_NS6detail17trampoline_kernelINS0_14default_configENS1_35radix_sort_onesweep_config_selectorIslEEZNS1_34radix_sort_onesweep_global_offsetsIS3_Lb0EPsN6thrust23THRUST_200600_302600_NS10device_ptrIlEEjNS0_19identity_decomposerEEE10hipError_tT1_T2_PT3_SG_jT4_jjP12ihipStream_tbEUlT_E_NS1_11comp_targetILNS1_3genE8ELNS1_11target_archE1030ELNS1_3gpuE2ELNS1_3repE0EEENS1_52radix_sort_onesweep_histogram_config_static_selectorELNS0_4arch9wavefront6targetE1EEEvSE_.kd
    .uniform_work_group_size: 1
    .uses_dynamic_stack: false
    .vgpr_count:     0
    .vgpr_spill_count: 0
    .wavefront_size: 64
  - .agpr_count:     0
    .args:
      - .address_space:  global
        .offset:         0
        .size:           8
        .value_kind:     global_buffer
    .group_segment_fixed_size: 0
    .kernarg_segment_align: 8
    .kernarg_segment_size: 8
    .language:       OpenCL C
    .language_version:
      - 2
      - 0
    .max_flat_workgroup_size: 1024
    .name:           _ZN7rocprim17ROCPRIM_400000_NS6detail17trampoline_kernelINS0_14default_configENS1_35radix_sort_onesweep_config_selectorIslEEZNS1_34radix_sort_onesweep_global_offsetsIS3_Lb0EPsN6thrust23THRUST_200600_302600_NS10device_ptrIlEEjNS0_19identity_decomposerEEE10hipError_tT1_T2_PT3_SG_jT4_jjP12ihipStream_tbEUlT_E0_NS1_11comp_targetILNS1_3genE0ELNS1_11target_archE4294967295ELNS1_3gpuE0ELNS1_3repE0EEENS1_52radix_sort_onesweep_histogram_config_static_selectorELNS0_4arch9wavefront6targetE1EEEvSE_
    .private_segment_fixed_size: 0
    .sgpr_count:     4
    .sgpr_spill_count: 0
    .symbol:         _ZN7rocprim17ROCPRIM_400000_NS6detail17trampoline_kernelINS0_14default_configENS1_35radix_sort_onesweep_config_selectorIslEEZNS1_34radix_sort_onesweep_global_offsetsIS3_Lb0EPsN6thrust23THRUST_200600_302600_NS10device_ptrIlEEjNS0_19identity_decomposerEEE10hipError_tT1_T2_PT3_SG_jT4_jjP12ihipStream_tbEUlT_E0_NS1_11comp_targetILNS1_3genE0ELNS1_11target_archE4294967295ELNS1_3gpuE0ELNS1_3repE0EEENS1_52radix_sort_onesweep_histogram_config_static_selectorELNS0_4arch9wavefront6targetE1EEEvSE_.kd
    .uniform_work_group_size: 1
    .uses_dynamic_stack: false
    .vgpr_count:     0
    .vgpr_spill_count: 0
    .wavefront_size: 64
  - .agpr_count:     0
    .args:
      - .address_space:  global
        .offset:         0
        .size:           8
        .value_kind:     global_buffer
    .group_segment_fixed_size: 0
    .kernarg_segment_align: 8
    .kernarg_segment_size: 8
    .language:       OpenCL C
    .language_version:
      - 2
      - 0
    .max_flat_workgroup_size: 1024
    .name:           _ZN7rocprim17ROCPRIM_400000_NS6detail17trampoline_kernelINS0_14default_configENS1_35radix_sort_onesweep_config_selectorIslEEZNS1_34radix_sort_onesweep_global_offsetsIS3_Lb0EPsN6thrust23THRUST_200600_302600_NS10device_ptrIlEEjNS0_19identity_decomposerEEE10hipError_tT1_T2_PT3_SG_jT4_jjP12ihipStream_tbEUlT_E0_NS1_11comp_targetILNS1_3genE6ELNS1_11target_archE950ELNS1_3gpuE13ELNS1_3repE0EEENS1_52radix_sort_onesweep_histogram_config_static_selectorELNS0_4arch9wavefront6targetE1EEEvSE_
    .private_segment_fixed_size: 0
    .sgpr_count:     4
    .sgpr_spill_count: 0
    .symbol:         _ZN7rocprim17ROCPRIM_400000_NS6detail17trampoline_kernelINS0_14default_configENS1_35radix_sort_onesweep_config_selectorIslEEZNS1_34radix_sort_onesweep_global_offsetsIS3_Lb0EPsN6thrust23THRUST_200600_302600_NS10device_ptrIlEEjNS0_19identity_decomposerEEE10hipError_tT1_T2_PT3_SG_jT4_jjP12ihipStream_tbEUlT_E0_NS1_11comp_targetILNS1_3genE6ELNS1_11target_archE950ELNS1_3gpuE13ELNS1_3repE0EEENS1_52radix_sort_onesweep_histogram_config_static_selectorELNS0_4arch9wavefront6targetE1EEEvSE_.kd
    .uniform_work_group_size: 1
    .uses_dynamic_stack: false
    .vgpr_count:     0
    .vgpr_spill_count: 0
    .wavefront_size: 64
  - .agpr_count:     0
    .args:
      - .address_space:  global
        .offset:         0
        .size:           8
        .value_kind:     global_buffer
    .group_segment_fixed_size: 0
    .kernarg_segment_align: 8
    .kernarg_segment_size: 8
    .language:       OpenCL C
    .language_version:
      - 2
      - 0
    .max_flat_workgroup_size: 1024
    .name:           _ZN7rocprim17ROCPRIM_400000_NS6detail17trampoline_kernelINS0_14default_configENS1_35radix_sort_onesweep_config_selectorIslEEZNS1_34radix_sort_onesweep_global_offsetsIS3_Lb0EPsN6thrust23THRUST_200600_302600_NS10device_ptrIlEEjNS0_19identity_decomposerEEE10hipError_tT1_T2_PT3_SG_jT4_jjP12ihipStream_tbEUlT_E0_NS1_11comp_targetILNS1_3genE5ELNS1_11target_archE942ELNS1_3gpuE9ELNS1_3repE0EEENS1_52radix_sort_onesweep_histogram_config_static_selectorELNS0_4arch9wavefront6targetE1EEEvSE_
    .private_segment_fixed_size: 0
    .sgpr_count:     4
    .sgpr_spill_count: 0
    .symbol:         _ZN7rocprim17ROCPRIM_400000_NS6detail17trampoline_kernelINS0_14default_configENS1_35radix_sort_onesweep_config_selectorIslEEZNS1_34radix_sort_onesweep_global_offsetsIS3_Lb0EPsN6thrust23THRUST_200600_302600_NS10device_ptrIlEEjNS0_19identity_decomposerEEE10hipError_tT1_T2_PT3_SG_jT4_jjP12ihipStream_tbEUlT_E0_NS1_11comp_targetILNS1_3genE5ELNS1_11target_archE942ELNS1_3gpuE9ELNS1_3repE0EEENS1_52radix_sort_onesweep_histogram_config_static_selectorELNS0_4arch9wavefront6targetE1EEEvSE_.kd
    .uniform_work_group_size: 1
    .uses_dynamic_stack: false
    .vgpr_count:     0
    .vgpr_spill_count: 0
    .wavefront_size: 64
  - .agpr_count:     0
    .args:
      - .address_space:  global
        .offset:         0
        .size:           8
        .value_kind:     global_buffer
    .group_segment_fixed_size: 0
    .kernarg_segment_align: 8
    .kernarg_segment_size: 8
    .language:       OpenCL C
    .language_version:
      - 2
      - 0
    .max_flat_workgroup_size: 512
    .name:           _ZN7rocprim17ROCPRIM_400000_NS6detail17trampoline_kernelINS0_14default_configENS1_35radix_sort_onesweep_config_selectorIslEEZNS1_34radix_sort_onesweep_global_offsetsIS3_Lb0EPsN6thrust23THRUST_200600_302600_NS10device_ptrIlEEjNS0_19identity_decomposerEEE10hipError_tT1_T2_PT3_SG_jT4_jjP12ihipStream_tbEUlT_E0_NS1_11comp_targetILNS1_3genE2ELNS1_11target_archE906ELNS1_3gpuE6ELNS1_3repE0EEENS1_52radix_sort_onesweep_histogram_config_static_selectorELNS0_4arch9wavefront6targetE1EEEvSE_
    .private_segment_fixed_size: 0
    .sgpr_count:     4
    .sgpr_spill_count: 0
    .symbol:         _ZN7rocprim17ROCPRIM_400000_NS6detail17trampoline_kernelINS0_14default_configENS1_35radix_sort_onesweep_config_selectorIslEEZNS1_34radix_sort_onesweep_global_offsetsIS3_Lb0EPsN6thrust23THRUST_200600_302600_NS10device_ptrIlEEjNS0_19identity_decomposerEEE10hipError_tT1_T2_PT3_SG_jT4_jjP12ihipStream_tbEUlT_E0_NS1_11comp_targetILNS1_3genE2ELNS1_11target_archE906ELNS1_3gpuE6ELNS1_3repE0EEENS1_52radix_sort_onesweep_histogram_config_static_selectorELNS0_4arch9wavefront6targetE1EEEvSE_.kd
    .uniform_work_group_size: 1
    .uses_dynamic_stack: false
    .vgpr_count:     0
    .vgpr_spill_count: 0
    .wavefront_size: 64
  - .agpr_count:     0
    .args:
      - .address_space:  global
        .offset:         0
        .size:           8
        .value_kind:     global_buffer
    .group_segment_fixed_size: 64
    .kernarg_segment_align: 8
    .kernarg_segment_size: 8
    .language:       OpenCL C
    .language_version:
      - 2
      - 0
    .max_flat_workgroup_size: 1024
    .name:           _ZN7rocprim17ROCPRIM_400000_NS6detail17trampoline_kernelINS0_14default_configENS1_35radix_sort_onesweep_config_selectorIslEEZNS1_34radix_sort_onesweep_global_offsetsIS3_Lb0EPsN6thrust23THRUST_200600_302600_NS10device_ptrIlEEjNS0_19identity_decomposerEEE10hipError_tT1_T2_PT3_SG_jT4_jjP12ihipStream_tbEUlT_E0_NS1_11comp_targetILNS1_3genE4ELNS1_11target_archE910ELNS1_3gpuE8ELNS1_3repE0EEENS1_52radix_sort_onesweep_histogram_config_static_selectorELNS0_4arch9wavefront6targetE1EEEvSE_
    .private_segment_fixed_size: 0
    .sgpr_count:     18
    .sgpr_spill_count: 0
    .symbol:         _ZN7rocprim17ROCPRIM_400000_NS6detail17trampoline_kernelINS0_14default_configENS1_35radix_sort_onesweep_config_selectorIslEEZNS1_34radix_sort_onesweep_global_offsetsIS3_Lb0EPsN6thrust23THRUST_200600_302600_NS10device_ptrIlEEjNS0_19identity_decomposerEEE10hipError_tT1_T2_PT3_SG_jT4_jjP12ihipStream_tbEUlT_E0_NS1_11comp_targetILNS1_3genE4ELNS1_11target_archE910ELNS1_3gpuE8ELNS1_3repE0EEENS1_52radix_sort_onesweep_histogram_config_static_selectorELNS0_4arch9wavefront6targetE1EEEvSE_.kd
    .uniform_work_group_size: 1
    .uses_dynamic_stack: false
    .vgpr_count:     7
    .vgpr_spill_count: 0
    .wavefront_size: 64
  - .agpr_count:     0
    .args:
      - .address_space:  global
        .offset:         0
        .size:           8
        .value_kind:     global_buffer
    .group_segment_fixed_size: 0
    .kernarg_segment_align: 8
    .kernarg_segment_size: 8
    .language:       OpenCL C
    .language_version:
      - 2
      - 0
    .max_flat_workgroup_size: 1024
    .name:           _ZN7rocprim17ROCPRIM_400000_NS6detail17trampoline_kernelINS0_14default_configENS1_35radix_sort_onesweep_config_selectorIslEEZNS1_34radix_sort_onesweep_global_offsetsIS3_Lb0EPsN6thrust23THRUST_200600_302600_NS10device_ptrIlEEjNS0_19identity_decomposerEEE10hipError_tT1_T2_PT3_SG_jT4_jjP12ihipStream_tbEUlT_E0_NS1_11comp_targetILNS1_3genE3ELNS1_11target_archE908ELNS1_3gpuE7ELNS1_3repE0EEENS1_52radix_sort_onesweep_histogram_config_static_selectorELNS0_4arch9wavefront6targetE1EEEvSE_
    .private_segment_fixed_size: 0
    .sgpr_count:     4
    .sgpr_spill_count: 0
    .symbol:         _ZN7rocprim17ROCPRIM_400000_NS6detail17trampoline_kernelINS0_14default_configENS1_35radix_sort_onesweep_config_selectorIslEEZNS1_34radix_sort_onesweep_global_offsetsIS3_Lb0EPsN6thrust23THRUST_200600_302600_NS10device_ptrIlEEjNS0_19identity_decomposerEEE10hipError_tT1_T2_PT3_SG_jT4_jjP12ihipStream_tbEUlT_E0_NS1_11comp_targetILNS1_3genE3ELNS1_11target_archE908ELNS1_3gpuE7ELNS1_3repE0EEENS1_52radix_sort_onesweep_histogram_config_static_selectorELNS0_4arch9wavefront6targetE1EEEvSE_.kd
    .uniform_work_group_size: 1
    .uses_dynamic_stack: false
    .vgpr_count:     0
    .vgpr_spill_count: 0
    .wavefront_size: 64
  - .agpr_count:     0
    .args:
      - .address_space:  global
        .offset:         0
        .size:           8
        .value_kind:     global_buffer
    .group_segment_fixed_size: 0
    .kernarg_segment_align: 8
    .kernarg_segment_size: 8
    .language:       OpenCL C
    .language_version:
      - 2
      - 0
    .max_flat_workgroup_size: 1024
    .name:           _ZN7rocprim17ROCPRIM_400000_NS6detail17trampoline_kernelINS0_14default_configENS1_35radix_sort_onesweep_config_selectorIslEEZNS1_34radix_sort_onesweep_global_offsetsIS3_Lb0EPsN6thrust23THRUST_200600_302600_NS10device_ptrIlEEjNS0_19identity_decomposerEEE10hipError_tT1_T2_PT3_SG_jT4_jjP12ihipStream_tbEUlT_E0_NS1_11comp_targetILNS1_3genE10ELNS1_11target_archE1201ELNS1_3gpuE5ELNS1_3repE0EEENS1_52radix_sort_onesweep_histogram_config_static_selectorELNS0_4arch9wavefront6targetE1EEEvSE_
    .private_segment_fixed_size: 0
    .sgpr_count:     4
    .sgpr_spill_count: 0
    .symbol:         _ZN7rocprim17ROCPRIM_400000_NS6detail17trampoline_kernelINS0_14default_configENS1_35radix_sort_onesweep_config_selectorIslEEZNS1_34radix_sort_onesweep_global_offsetsIS3_Lb0EPsN6thrust23THRUST_200600_302600_NS10device_ptrIlEEjNS0_19identity_decomposerEEE10hipError_tT1_T2_PT3_SG_jT4_jjP12ihipStream_tbEUlT_E0_NS1_11comp_targetILNS1_3genE10ELNS1_11target_archE1201ELNS1_3gpuE5ELNS1_3repE0EEENS1_52radix_sort_onesweep_histogram_config_static_selectorELNS0_4arch9wavefront6targetE1EEEvSE_.kd
    .uniform_work_group_size: 1
    .uses_dynamic_stack: false
    .vgpr_count:     0
    .vgpr_spill_count: 0
    .wavefront_size: 64
  - .agpr_count:     0
    .args:
      - .address_space:  global
        .offset:         0
        .size:           8
        .value_kind:     global_buffer
    .group_segment_fixed_size: 0
    .kernarg_segment_align: 8
    .kernarg_segment_size: 8
    .language:       OpenCL C
    .language_version:
      - 2
      - 0
    .max_flat_workgroup_size: 1024
    .name:           _ZN7rocprim17ROCPRIM_400000_NS6detail17trampoline_kernelINS0_14default_configENS1_35radix_sort_onesweep_config_selectorIslEEZNS1_34radix_sort_onesweep_global_offsetsIS3_Lb0EPsN6thrust23THRUST_200600_302600_NS10device_ptrIlEEjNS0_19identity_decomposerEEE10hipError_tT1_T2_PT3_SG_jT4_jjP12ihipStream_tbEUlT_E0_NS1_11comp_targetILNS1_3genE9ELNS1_11target_archE1100ELNS1_3gpuE3ELNS1_3repE0EEENS1_52radix_sort_onesweep_histogram_config_static_selectorELNS0_4arch9wavefront6targetE1EEEvSE_
    .private_segment_fixed_size: 0
    .sgpr_count:     4
    .sgpr_spill_count: 0
    .symbol:         _ZN7rocprim17ROCPRIM_400000_NS6detail17trampoline_kernelINS0_14default_configENS1_35radix_sort_onesweep_config_selectorIslEEZNS1_34radix_sort_onesweep_global_offsetsIS3_Lb0EPsN6thrust23THRUST_200600_302600_NS10device_ptrIlEEjNS0_19identity_decomposerEEE10hipError_tT1_T2_PT3_SG_jT4_jjP12ihipStream_tbEUlT_E0_NS1_11comp_targetILNS1_3genE9ELNS1_11target_archE1100ELNS1_3gpuE3ELNS1_3repE0EEENS1_52radix_sort_onesweep_histogram_config_static_selectorELNS0_4arch9wavefront6targetE1EEEvSE_.kd
    .uniform_work_group_size: 1
    .uses_dynamic_stack: false
    .vgpr_count:     0
    .vgpr_spill_count: 0
    .wavefront_size: 64
  - .agpr_count:     0
    .args:
      - .address_space:  global
        .offset:         0
        .size:           8
        .value_kind:     global_buffer
    .group_segment_fixed_size: 0
    .kernarg_segment_align: 8
    .kernarg_segment_size: 8
    .language:       OpenCL C
    .language_version:
      - 2
      - 0
    .max_flat_workgroup_size: 1024
    .name:           _ZN7rocprim17ROCPRIM_400000_NS6detail17trampoline_kernelINS0_14default_configENS1_35radix_sort_onesweep_config_selectorIslEEZNS1_34radix_sort_onesweep_global_offsetsIS3_Lb0EPsN6thrust23THRUST_200600_302600_NS10device_ptrIlEEjNS0_19identity_decomposerEEE10hipError_tT1_T2_PT3_SG_jT4_jjP12ihipStream_tbEUlT_E0_NS1_11comp_targetILNS1_3genE8ELNS1_11target_archE1030ELNS1_3gpuE2ELNS1_3repE0EEENS1_52radix_sort_onesweep_histogram_config_static_selectorELNS0_4arch9wavefront6targetE1EEEvSE_
    .private_segment_fixed_size: 0
    .sgpr_count:     4
    .sgpr_spill_count: 0
    .symbol:         _ZN7rocprim17ROCPRIM_400000_NS6detail17trampoline_kernelINS0_14default_configENS1_35radix_sort_onesweep_config_selectorIslEEZNS1_34radix_sort_onesweep_global_offsetsIS3_Lb0EPsN6thrust23THRUST_200600_302600_NS10device_ptrIlEEjNS0_19identity_decomposerEEE10hipError_tT1_T2_PT3_SG_jT4_jjP12ihipStream_tbEUlT_E0_NS1_11comp_targetILNS1_3genE8ELNS1_11target_archE1030ELNS1_3gpuE2ELNS1_3repE0EEENS1_52radix_sort_onesweep_histogram_config_static_selectorELNS0_4arch9wavefront6targetE1EEEvSE_.kd
    .uniform_work_group_size: 1
    .uses_dynamic_stack: false
    .vgpr_count:     0
    .vgpr_spill_count: 0
    .wavefront_size: 64
  - .agpr_count:     0
    .args:
      - .offset:         0
        .size:           88
        .value_kind:     by_value
    .group_segment_fixed_size: 0
    .kernarg_segment_align: 8
    .kernarg_segment_size: 88
    .language:       OpenCL C
    .language_version:
      - 2
      - 0
    .max_flat_workgroup_size: 1024
    .name:           _ZN7rocprim17ROCPRIM_400000_NS6detail17trampoline_kernelINS0_14default_configENS1_35radix_sort_onesweep_config_selectorIslEEZZNS1_29radix_sort_onesweep_iterationIS3_Lb0EPsS7_N6thrust23THRUST_200600_302600_NS10device_ptrIlEESB_jNS0_19identity_decomposerENS1_16block_id_wrapperIjLb1EEEEE10hipError_tT1_PNSt15iterator_traitsISG_E10value_typeET2_T3_PNSH_ISM_E10value_typeET4_T5_PSR_SS_PNS1_23onesweep_lookback_stateEbbT6_jjT7_P12ihipStream_tbENKUlT_T0_SG_SL_E_clIS7_S7_SB_SB_EEDaSZ_S10_SG_SL_EUlSZ_E_NS1_11comp_targetILNS1_3genE0ELNS1_11target_archE4294967295ELNS1_3gpuE0ELNS1_3repE0EEENS1_47radix_sort_onesweep_sort_config_static_selectorELNS0_4arch9wavefront6targetE1EEEvSG_
    .private_segment_fixed_size: 0
    .sgpr_count:     4
    .sgpr_spill_count: 0
    .symbol:         _ZN7rocprim17ROCPRIM_400000_NS6detail17trampoline_kernelINS0_14default_configENS1_35radix_sort_onesweep_config_selectorIslEEZZNS1_29radix_sort_onesweep_iterationIS3_Lb0EPsS7_N6thrust23THRUST_200600_302600_NS10device_ptrIlEESB_jNS0_19identity_decomposerENS1_16block_id_wrapperIjLb1EEEEE10hipError_tT1_PNSt15iterator_traitsISG_E10value_typeET2_T3_PNSH_ISM_E10value_typeET4_T5_PSR_SS_PNS1_23onesweep_lookback_stateEbbT6_jjT7_P12ihipStream_tbENKUlT_T0_SG_SL_E_clIS7_S7_SB_SB_EEDaSZ_S10_SG_SL_EUlSZ_E_NS1_11comp_targetILNS1_3genE0ELNS1_11target_archE4294967295ELNS1_3gpuE0ELNS1_3repE0EEENS1_47radix_sort_onesweep_sort_config_static_selectorELNS0_4arch9wavefront6targetE1EEEvSG_.kd
    .uniform_work_group_size: 1
    .uses_dynamic_stack: false
    .vgpr_count:     0
    .vgpr_spill_count: 0
    .wavefront_size: 64
  - .agpr_count:     0
    .args:
      - .offset:         0
        .size:           88
        .value_kind:     by_value
    .group_segment_fixed_size: 0
    .kernarg_segment_align: 8
    .kernarg_segment_size: 88
    .language:       OpenCL C
    .language_version:
      - 2
      - 0
    .max_flat_workgroup_size: 1024
    .name:           _ZN7rocprim17ROCPRIM_400000_NS6detail17trampoline_kernelINS0_14default_configENS1_35radix_sort_onesweep_config_selectorIslEEZZNS1_29radix_sort_onesweep_iterationIS3_Lb0EPsS7_N6thrust23THRUST_200600_302600_NS10device_ptrIlEESB_jNS0_19identity_decomposerENS1_16block_id_wrapperIjLb1EEEEE10hipError_tT1_PNSt15iterator_traitsISG_E10value_typeET2_T3_PNSH_ISM_E10value_typeET4_T5_PSR_SS_PNS1_23onesweep_lookback_stateEbbT6_jjT7_P12ihipStream_tbENKUlT_T0_SG_SL_E_clIS7_S7_SB_SB_EEDaSZ_S10_SG_SL_EUlSZ_E_NS1_11comp_targetILNS1_3genE6ELNS1_11target_archE950ELNS1_3gpuE13ELNS1_3repE0EEENS1_47radix_sort_onesweep_sort_config_static_selectorELNS0_4arch9wavefront6targetE1EEEvSG_
    .private_segment_fixed_size: 0
    .sgpr_count:     4
    .sgpr_spill_count: 0
    .symbol:         _ZN7rocprim17ROCPRIM_400000_NS6detail17trampoline_kernelINS0_14default_configENS1_35radix_sort_onesweep_config_selectorIslEEZZNS1_29radix_sort_onesweep_iterationIS3_Lb0EPsS7_N6thrust23THRUST_200600_302600_NS10device_ptrIlEESB_jNS0_19identity_decomposerENS1_16block_id_wrapperIjLb1EEEEE10hipError_tT1_PNSt15iterator_traitsISG_E10value_typeET2_T3_PNSH_ISM_E10value_typeET4_T5_PSR_SS_PNS1_23onesweep_lookback_stateEbbT6_jjT7_P12ihipStream_tbENKUlT_T0_SG_SL_E_clIS7_S7_SB_SB_EEDaSZ_S10_SG_SL_EUlSZ_E_NS1_11comp_targetILNS1_3genE6ELNS1_11target_archE950ELNS1_3gpuE13ELNS1_3repE0EEENS1_47radix_sort_onesweep_sort_config_static_selectorELNS0_4arch9wavefront6targetE1EEEvSG_.kd
    .uniform_work_group_size: 1
    .uses_dynamic_stack: false
    .vgpr_count:     0
    .vgpr_spill_count: 0
    .wavefront_size: 64
  - .agpr_count:     0
    .args:
      - .offset:         0
        .size:           88
        .value_kind:     by_value
    .group_segment_fixed_size: 0
    .kernarg_segment_align: 8
    .kernarg_segment_size: 88
    .language:       OpenCL C
    .language_version:
      - 2
      - 0
    .max_flat_workgroup_size: 1024
    .name:           _ZN7rocprim17ROCPRIM_400000_NS6detail17trampoline_kernelINS0_14default_configENS1_35radix_sort_onesweep_config_selectorIslEEZZNS1_29radix_sort_onesweep_iterationIS3_Lb0EPsS7_N6thrust23THRUST_200600_302600_NS10device_ptrIlEESB_jNS0_19identity_decomposerENS1_16block_id_wrapperIjLb1EEEEE10hipError_tT1_PNSt15iterator_traitsISG_E10value_typeET2_T3_PNSH_ISM_E10value_typeET4_T5_PSR_SS_PNS1_23onesweep_lookback_stateEbbT6_jjT7_P12ihipStream_tbENKUlT_T0_SG_SL_E_clIS7_S7_SB_SB_EEDaSZ_S10_SG_SL_EUlSZ_E_NS1_11comp_targetILNS1_3genE5ELNS1_11target_archE942ELNS1_3gpuE9ELNS1_3repE0EEENS1_47radix_sort_onesweep_sort_config_static_selectorELNS0_4arch9wavefront6targetE1EEEvSG_
    .private_segment_fixed_size: 0
    .sgpr_count:     4
    .sgpr_spill_count: 0
    .symbol:         _ZN7rocprim17ROCPRIM_400000_NS6detail17trampoline_kernelINS0_14default_configENS1_35radix_sort_onesweep_config_selectorIslEEZZNS1_29radix_sort_onesweep_iterationIS3_Lb0EPsS7_N6thrust23THRUST_200600_302600_NS10device_ptrIlEESB_jNS0_19identity_decomposerENS1_16block_id_wrapperIjLb1EEEEE10hipError_tT1_PNSt15iterator_traitsISG_E10value_typeET2_T3_PNSH_ISM_E10value_typeET4_T5_PSR_SS_PNS1_23onesweep_lookback_stateEbbT6_jjT7_P12ihipStream_tbENKUlT_T0_SG_SL_E_clIS7_S7_SB_SB_EEDaSZ_S10_SG_SL_EUlSZ_E_NS1_11comp_targetILNS1_3genE5ELNS1_11target_archE942ELNS1_3gpuE9ELNS1_3repE0EEENS1_47radix_sort_onesweep_sort_config_static_selectorELNS0_4arch9wavefront6targetE1EEEvSG_.kd
    .uniform_work_group_size: 1
    .uses_dynamic_stack: false
    .vgpr_count:     0
    .vgpr_spill_count: 0
    .wavefront_size: 64
  - .agpr_count:     0
    .args:
      - .offset:         0
        .size:           88
        .value_kind:     by_value
    .group_segment_fixed_size: 0
    .kernarg_segment_align: 8
    .kernarg_segment_size: 88
    .language:       OpenCL C
    .language_version:
      - 2
      - 0
    .max_flat_workgroup_size: 512
    .name:           _ZN7rocprim17ROCPRIM_400000_NS6detail17trampoline_kernelINS0_14default_configENS1_35radix_sort_onesweep_config_selectorIslEEZZNS1_29radix_sort_onesweep_iterationIS3_Lb0EPsS7_N6thrust23THRUST_200600_302600_NS10device_ptrIlEESB_jNS0_19identity_decomposerENS1_16block_id_wrapperIjLb1EEEEE10hipError_tT1_PNSt15iterator_traitsISG_E10value_typeET2_T3_PNSH_ISM_E10value_typeET4_T5_PSR_SS_PNS1_23onesweep_lookback_stateEbbT6_jjT7_P12ihipStream_tbENKUlT_T0_SG_SL_E_clIS7_S7_SB_SB_EEDaSZ_S10_SG_SL_EUlSZ_E_NS1_11comp_targetILNS1_3genE2ELNS1_11target_archE906ELNS1_3gpuE6ELNS1_3repE0EEENS1_47radix_sort_onesweep_sort_config_static_selectorELNS0_4arch9wavefront6targetE1EEEvSG_
    .private_segment_fixed_size: 0
    .sgpr_count:     4
    .sgpr_spill_count: 0
    .symbol:         _ZN7rocprim17ROCPRIM_400000_NS6detail17trampoline_kernelINS0_14default_configENS1_35radix_sort_onesweep_config_selectorIslEEZZNS1_29radix_sort_onesweep_iterationIS3_Lb0EPsS7_N6thrust23THRUST_200600_302600_NS10device_ptrIlEESB_jNS0_19identity_decomposerENS1_16block_id_wrapperIjLb1EEEEE10hipError_tT1_PNSt15iterator_traitsISG_E10value_typeET2_T3_PNSH_ISM_E10value_typeET4_T5_PSR_SS_PNS1_23onesweep_lookback_stateEbbT6_jjT7_P12ihipStream_tbENKUlT_T0_SG_SL_E_clIS7_S7_SB_SB_EEDaSZ_S10_SG_SL_EUlSZ_E_NS1_11comp_targetILNS1_3genE2ELNS1_11target_archE906ELNS1_3gpuE6ELNS1_3repE0EEENS1_47radix_sort_onesweep_sort_config_static_selectorELNS0_4arch9wavefront6targetE1EEEvSG_.kd
    .uniform_work_group_size: 1
    .uses_dynamic_stack: false
    .vgpr_count:     0
    .vgpr_spill_count: 0
    .wavefront_size: 64
  - .agpr_count:     0
    .args:
      - .offset:         0
        .size:           88
        .value_kind:     by_value
      - .offset:         88
        .size:           4
        .value_kind:     hidden_block_count_x
      - .offset:         92
        .size:           4
        .value_kind:     hidden_block_count_y
      - .offset:         96
        .size:           4
        .value_kind:     hidden_block_count_z
      - .offset:         100
        .size:           2
        .value_kind:     hidden_group_size_x
      - .offset:         102
        .size:           2
        .value_kind:     hidden_group_size_y
      - .offset:         104
        .size:           2
        .value_kind:     hidden_group_size_z
      - .offset:         106
        .size:           2
        .value_kind:     hidden_remainder_x
      - .offset:         108
        .size:           2
        .value_kind:     hidden_remainder_y
      - .offset:         110
        .size:           2
        .value_kind:     hidden_remainder_z
      - .offset:         128
        .size:           8
        .value_kind:     hidden_global_offset_x
      - .offset:         136
        .size:           8
        .value_kind:     hidden_global_offset_y
      - .offset:         144
        .size:           8
        .value_kind:     hidden_global_offset_z
      - .offset:         152
        .size:           2
        .value_kind:     hidden_grid_dims
    .group_segment_fixed_size: 20552
    .kernarg_segment_align: 8
    .kernarg_segment_size: 344
    .language:       OpenCL C
    .language_version:
      - 2
      - 0
    .max_flat_workgroup_size: 1024
    .name:           _ZN7rocprim17ROCPRIM_400000_NS6detail17trampoline_kernelINS0_14default_configENS1_35radix_sort_onesweep_config_selectorIslEEZZNS1_29radix_sort_onesweep_iterationIS3_Lb0EPsS7_N6thrust23THRUST_200600_302600_NS10device_ptrIlEESB_jNS0_19identity_decomposerENS1_16block_id_wrapperIjLb1EEEEE10hipError_tT1_PNSt15iterator_traitsISG_E10value_typeET2_T3_PNSH_ISM_E10value_typeET4_T5_PSR_SS_PNS1_23onesweep_lookback_stateEbbT6_jjT7_P12ihipStream_tbENKUlT_T0_SG_SL_E_clIS7_S7_SB_SB_EEDaSZ_S10_SG_SL_EUlSZ_E_NS1_11comp_targetILNS1_3genE4ELNS1_11target_archE910ELNS1_3gpuE8ELNS1_3repE0EEENS1_47radix_sort_onesweep_sort_config_static_selectorELNS0_4arch9wavefront6targetE1EEEvSG_
    .private_segment_fixed_size: 0
    .sgpr_count:     60
    .sgpr_spill_count: 0
    .symbol:         _ZN7rocprim17ROCPRIM_400000_NS6detail17trampoline_kernelINS0_14default_configENS1_35radix_sort_onesweep_config_selectorIslEEZZNS1_29radix_sort_onesweep_iterationIS3_Lb0EPsS7_N6thrust23THRUST_200600_302600_NS10device_ptrIlEESB_jNS0_19identity_decomposerENS1_16block_id_wrapperIjLb1EEEEE10hipError_tT1_PNSt15iterator_traitsISG_E10value_typeET2_T3_PNSH_ISM_E10value_typeET4_T5_PSR_SS_PNS1_23onesweep_lookback_stateEbbT6_jjT7_P12ihipStream_tbENKUlT_T0_SG_SL_E_clIS7_S7_SB_SB_EEDaSZ_S10_SG_SL_EUlSZ_E_NS1_11comp_targetILNS1_3genE4ELNS1_11target_archE910ELNS1_3gpuE8ELNS1_3repE0EEENS1_47radix_sort_onesweep_sort_config_static_selectorELNS0_4arch9wavefront6targetE1EEEvSG_.kd
    .uniform_work_group_size: 1
    .uses_dynamic_stack: false
    .vgpr_count:     55
    .vgpr_spill_count: 0
    .wavefront_size: 64
  - .agpr_count:     0
    .args:
      - .offset:         0
        .size:           88
        .value_kind:     by_value
    .group_segment_fixed_size: 0
    .kernarg_segment_align: 8
    .kernarg_segment_size: 88
    .language:       OpenCL C
    .language_version:
      - 2
      - 0
    .max_flat_workgroup_size: 1024
    .name:           _ZN7rocprim17ROCPRIM_400000_NS6detail17trampoline_kernelINS0_14default_configENS1_35radix_sort_onesweep_config_selectorIslEEZZNS1_29radix_sort_onesweep_iterationIS3_Lb0EPsS7_N6thrust23THRUST_200600_302600_NS10device_ptrIlEESB_jNS0_19identity_decomposerENS1_16block_id_wrapperIjLb1EEEEE10hipError_tT1_PNSt15iterator_traitsISG_E10value_typeET2_T3_PNSH_ISM_E10value_typeET4_T5_PSR_SS_PNS1_23onesweep_lookback_stateEbbT6_jjT7_P12ihipStream_tbENKUlT_T0_SG_SL_E_clIS7_S7_SB_SB_EEDaSZ_S10_SG_SL_EUlSZ_E_NS1_11comp_targetILNS1_3genE3ELNS1_11target_archE908ELNS1_3gpuE7ELNS1_3repE0EEENS1_47radix_sort_onesweep_sort_config_static_selectorELNS0_4arch9wavefront6targetE1EEEvSG_
    .private_segment_fixed_size: 0
    .sgpr_count:     4
    .sgpr_spill_count: 0
    .symbol:         _ZN7rocprim17ROCPRIM_400000_NS6detail17trampoline_kernelINS0_14default_configENS1_35radix_sort_onesweep_config_selectorIslEEZZNS1_29radix_sort_onesweep_iterationIS3_Lb0EPsS7_N6thrust23THRUST_200600_302600_NS10device_ptrIlEESB_jNS0_19identity_decomposerENS1_16block_id_wrapperIjLb1EEEEE10hipError_tT1_PNSt15iterator_traitsISG_E10value_typeET2_T3_PNSH_ISM_E10value_typeET4_T5_PSR_SS_PNS1_23onesweep_lookback_stateEbbT6_jjT7_P12ihipStream_tbENKUlT_T0_SG_SL_E_clIS7_S7_SB_SB_EEDaSZ_S10_SG_SL_EUlSZ_E_NS1_11comp_targetILNS1_3genE3ELNS1_11target_archE908ELNS1_3gpuE7ELNS1_3repE0EEENS1_47radix_sort_onesweep_sort_config_static_selectorELNS0_4arch9wavefront6targetE1EEEvSG_.kd
    .uniform_work_group_size: 1
    .uses_dynamic_stack: false
    .vgpr_count:     0
    .vgpr_spill_count: 0
    .wavefront_size: 64
  - .agpr_count:     0
    .args:
      - .offset:         0
        .size:           88
        .value_kind:     by_value
    .group_segment_fixed_size: 0
    .kernarg_segment_align: 8
    .kernarg_segment_size: 88
    .language:       OpenCL C
    .language_version:
      - 2
      - 0
    .max_flat_workgroup_size: 1024
    .name:           _ZN7rocprim17ROCPRIM_400000_NS6detail17trampoline_kernelINS0_14default_configENS1_35radix_sort_onesweep_config_selectorIslEEZZNS1_29radix_sort_onesweep_iterationIS3_Lb0EPsS7_N6thrust23THRUST_200600_302600_NS10device_ptrIlEESB_jNS0_19identity_decomposerENS1_16block_id_wrapperIjLb1EEEEE10hipError_tT1_PNSt15iterator_traitsISG_E10value_typeET2_T3_PNSH_ISM_E10value_typeET4_T5_PSR_SS_PNS1_23onesweep_lookback_stateEbbT6_jjT7_P12ihipStream_tbENKUlT_T0_SG_SL_E_clIS7_S7_SB_SB_EEDaSZ_S10_SG_SL_EUlSZ_E_NS1_11comp_targetILNS1_3genE10ELNS1_11target_archE1201ELNS1_3gpuE5ELNS1_3repE0EEENS1_47radix_sort_onesweep_sort_config_static_selectorELNS0_4arch9wavefront6targetE1EEEvSG_
    .private_segment_fixed_size: 0
    .sgpr_count:     4
    .sgpr_spill_count: 0
    .symbol:         _ZN7rocprim17ROCPRIM_400000_NS6detail17trampoline_kernelINS0_14default_configENS1_35radix_sort_onesweep_config_selectorIslEEZZNS1_29radix_sort_onesweep_iterationIS3_Lb0EPsS7_N6thrust23THRUST_200600_302600_NS10device_ptrIlEESB_jNS0_19identity_decomposerENS1_16block_id_wrapperIjLb1EEEEE10hipError_tT1_PNSt15iterator_traitsISG_E10value_typeET2_T3_PNSH_ISM_E10value_typeET4_T5_PSR_SS_PNS1_23onesweep_lookback_stateEbbT6_jjT7_P12ihipStream_tbENKUlT_T0_SG_SL_E_clIS7_S7_SB_SB_EEDaSZ_S10_SG_SL_EUlSZ_E_NS1_11comp_targetILNS1_3genE10ELNS1_11target_archE1201ELNS1_3gpuE5ELNS1_3repE0EEENS1_47radix_sort_onesweep_sort_config_static_selectorELNS0_4arch9wavefront6targetE1EEEvSG_.kd
    .uniform_work_group_size: 1
    .uses_dynamic_stack: false
    .vgpr_count:     0
    .vgpr_spill_count: 0
    .wavefront_size: 64
  - .agpr_count:     0
    .args:
      - .offset:         0
        .size:           88
        .value_kind:     by_value
    .group_segment_fixed_size: 0
    .kernarg_segment_align: 8
    .kernarg_segment_size: 88
    .language:       OpenCL C
    .language_version:
      - 2
      - 0
    .max_flat_workgroup_size: 1024
    .name:           _ZN7rocprim17ROCPRIM_400000_NS6detail17trampoline_kernelINS0_14default_configENS1_35radix_sort_onesweep_config_selectorIslEEZZNS1_29radix_sort_onesweep_iterationIS3_Lb0EPsS7_N6thrust23THRUST_200600_302600_NS10device_ptrIlEESB_jNS0_19identity_decomposerENS1_16block_id_wrapperIjLb1EEEEE10hipError_tT1_PNSt15iterator_traitsISG_E10value_typeET2_T3_PNSH_ISM_E10value_typeET4_T5_PSR_SS_PNS1_23onesweep_lookback_stateEbbT6_jjT7_P12ihipStream_tbENKUlT_T0_SG_SL_E_clIS7_S7_SB_SB_EEDaSZ_S10_SG_SL_EUlSZ_E_NS1_11comp_targetILNS1_3genE9ELNS1_11target_archE1100ELNS1_3gpuE3ELNS1_3repE0EEENS1_47radix_sort_onesweep_sort_config_static_selectorELNS0_4arch9wavefront6targetE1EEEvSG_
    .private_segment_fixed_size: 0
    .sgpr_count:     4
    .sgpr_spill_count: 0
    .symbol:         _ZN7rocprim17ROCPRIM_400000_NS6detail17trampoline_kernelINS0_14default_configENS1_35radix_sort_onesweep_config_selectorIslEEZZNS1_29radix_sort_onesweep_iterationIS3_Lb0EPsS7_N6thrust23THRUST_200600_302600_NS10device_ptrIlEESB_jNS0_19identity_decomposerENS1_16block_id_wrapperIjLb1EEEEE10hipError_tT1_PNSt15iterator_traitsISG_E10value_typeET2_T3_PNSH_ISM_E10value_typeET4_T5_PSR_SS_PNS1_23onesweep_lookback_stateEbbT6_jjT7_P12ihipStream_tbENKUlT_T0_SG_SL_E_clIS7_S7_SB_SB_EEDaSZ_S10_SG_SL_EUlSZ_E_NS1_11comp_targetILNS1_3genE9ELNS1_11target_archE1100ELNS1_3gpuE3ELNS1_3repE0EEENS1_47radix_sort_onesweep_sort_config_static_selectorELNS0_4arch9wavefront6targetE1EEEvSG_.kd
    .uniform_work_group_size: 1
    .uses_dynamic_stack: false
    .vgpr_count:     0
    .vgpr_spill_count: 0
    .wavefront_size: 64
  - .agpr_count:     0
    .args:
      - .offset:         0
        .size:           88
        .value_kind:     by_value
    .group_segment_fixed_size: 0
    .kernarg_segment_align: 8
    .kernarg_segment_size: 88
    .language:       OpenCL C
    .language_version:
      - 2
      - 0
    .max_flat_workgroup_size: 1024
    .name:           _ZN7rocprim17ROCPRIM_400000_NS6detail17trampoline_kernelINS0_14default_configENS1_35radix_sort_onesweep_config_selectorIslEEZZNS1_29radix_sort_onesweep_iterationIS3_Lb0EPsS7_N6thrust23THRUST_200600_302600_NS10device_ptrIlEESB_jNS0_19identity_decomposerENS1_16block_id_wrapperIjLb1EEEEE10hipError_tT1_PNSt15iterator_traitsISG_E10value_typeET2_T3_PNSH_ISM_E10value_typeET4_T5_PSR_SS_PNS1_23onesweep_lookback_stateEbbT6_jjT7_P12ihipStream_tbENKUlT_T0_SG_SL_E_clIS7_S7_SB_SB_EEDaSZ_S10_SG_SL_EUlSZ_E_NS1_11comp_targetILNS1_3genE8ELNS1_11target_archE1030ELNS1_3gpuE2ELNS1_3repE0EEENS1_47radix_sort_onesweep_sort_config_static_selectorELNS0_4arch9wavefront6targetE1EEEvSG_
    .private_segment_fixed_size: 0
    .sgpr_count:     4
    .sgpr_spill_count: 0
    .symbol:         _ZN7rocprim17ROCPRIM_400000_NS6detail17trampoline_kernelINS0_14default_configENS1_35radix_sort_onesweep_config_selectorIslEEZZNS1_29radix_sort_onesweep_iterationIS3_Lb0EPsS7_N6thrust23THRUST_200600_302600_NS10device_ptrIlEESB_jNS0_19identity_decomposerENS1_16block_id_wrapperIjLb1EEEEE10hipError_tT1_PNSt15iterator_traitsISG_E10value_typeET2_T3_PNSH_ISM_E10value_typeET4_T5_PSR_SS_PNS1_23onesweep_lookback_stateEbbT6_jjT7_P12ihipStream_tbENKUlT_T0_SG_SL_E_clIS7_S7_SB_SB_EEDaSZ_S10_SG_SL_EUlSZ_E_NS1_11comp_targetILNS1_3genE8ELNS1_11target_archE1030ELNS1_3gpuE2ELNS1_3repE0EEENS1_47radix_sort_onesweep_sort_config_static_selectorELNS0_4arch9wavefront6targetE1EEEvSG_.kd
    .uniform_work_group_size: 1
    .uses_dynamic_stack: false
    .vgpr_count:     0
    .vgpr_spill_count: 0
    .wavefront_size: 64
  - .agpr_count:     0
    .args:
      - .offset:         0
        .size:           88
        .value_kind:     by_value
    .group_segment_fixed_size: 0
    .kernarg_segment_align: 8
    .kernarg_segment_size: 88
    .language:       OpenCL C
    .language_version:
      - 2
      - 0
    .max_flat_workgroup_size: 1024
    .name:           _ZN7rocprim17ROCPRIM_400000_NS6detail17trampoline_kernelINS0_14default_configENS1_35radix_sort_onesweep_config_selectorIslEEZZNS1_29radix_sort_onesweep_iterationIS3_Lb0EPsS7_N6thrust23THRUST_200600_302600_NS10device_ptrIlEESB_jNS0_19identity_decomposerENS1_16block_id_wrapperIjLb1EEEEE10hipError_tT1_PNSt15iterator_traitsISG_E10value_typeET2_T3_PNSH_ISM_E10value_typeET4_T5_PSR_SS_PNS1_23onesweep_lookback_stateEbbT6_jjT7_P12ihipStream_tbENKUlT_T0_SG_SL_E_clIS7_S7_SB_PlEEDaSZ_S10_SG_SL_EUlSZ_E_NS1_11comp_targetILNS1_3genE0ELNS1_11target_archE4294967295ELNS1_3gpuE0ELNS1_3repE0EEENS1_47radix_sort_onesweep_sort_config_static_selectorELNS0_4arch9wavefront6targetE1EEEvSG_
    .private_segment_fixed_size: 0
    .sgpr_count:     4
    .sgpr_spill_count: 0
    .symbol:         _ZN7rocprim17ROCPRIM_400000_NS6detail17trampoline_kernelINS0_14default_configENS1_35radix_sort_onesweep_config_selectorIslEEZZNS1_29radix_sort_onesweep_iterationIS3_Lb0EPsS7_N6thrust23THRUST_200600_302600_NS10device_ptrIlEESB_jNS0_19identity_decomposerENS1_16block_id_wrapperIjLb1EEEEE10hipError_tT1_PNSt15iterator_traitsISG_E10value_typeET2_T3_PNSH_ISM_E10value_typeET4_T5_PSR_SS_PNS1_23onesweep_lookback_stateEbbT6_jjT7_P12ihipStream_tbENKUlT_T0_SG_SL_E_clIS7_S7_SB_PlEEDaSZ_S10_SG_SL_EUlSZ_E_NS1_11comp_targetILNS1_3genE0ELNS1_11target_archE4294967295ELNS1_3gpuE0ELNS1_3repE0EEENS1_47radix_sort_onesweep_sort_config_static_selectorELNS0_4arch9wavefront6targetE1EEEvSG_.kd
    .uniform_work_group_size: 1
    .uses_dynamic_stack: false
    .vgpr_count:     0
    .vgpr_spill_count: 0
    .wavefront_size: 64
  - .agpr_count:     0
    .args:
      - .offset:         0
        .size:           88
        .value_kind:     by_value
    .group_segment_fixed_size: 0
    .kernarg_segment_align: 8
    .kernarg_segment_size: 88
    .language:       OpenCL C
    .language_version:
      - 2
      - 0
    .max_flat_workgroup_size: 1024
    .name:           _ZN7rocprim17ROCPRIM_400000_NS6detail17trampoline_kernelINS0_14default_configENS1_35radix_sort_onesweep_config_selectorIslEEZZNS1_29radix_sort_onesweep_iterationIS3_Lb0EPsS7_N6thrust23THRUST_200600_302600_NS10device_ptrIlEESB_jNS0_19identity_decomposerENS1_16block_id_wrapperIjLb1EEEEE10hipError_tT1_PNSt15iterator_traitsISG_E10value_typeET2_T3_PNSH_ISM_E10value_typeET4_T5_PSR_SS_PNS1_23onesweep_lookback_stateEbbT6_jjT7_P12ihipStream_tbENKUlT_T0_SG_SL_E_clIS7_S7_SB_PlEEDaSZ_S10_SG_SL_EUlSZ_E_NS1_11comp_targetILNS1_3genE6ELNS1_11target_archE950ELNS1_3gpuE13ELNS1_3repE0EEENS1_47radix_sort_onesweep_sort_config_static_selectorELNS0_4arch9wavefront6targetE1EEEvSG_
    .private_segment_fixed_size: 0
    .sgpr_count:     4
    .sgpr_spill_count: 0
    .symbol:         _ZN7rocprim17ROCPRIM_400000_NS6detail17trampoline_kernelINS0_14default_configENS1_35radix_sort_onesweep_config_selectorIslEEZZNS1_29radix_sort_onesweep_iterationIS3_Lb0EPsS7_N6thrust23THRUST_200600_302600_NS10device_ptrIlEESB_jNS0_19identity_decomposerENS1_16block_id_wrapperIjLb1EEEEE10hipError_tT1_PNSt15iterator_traitsISG_E10value_typeET2_T3_PNSH_ISM_E10value_typeET4_T5_PSR_SS_PNS1_23onesweep_lookback_stateEbbT6_jjT7_P12ihipStream_tbENKUlT_T0_SG_SL_E_clIS7_S7_SB_PlEEDaSZ_S10_SG_SL_EUlSZ_E_NS1_11comp_targetILNS1_3genE6ELNS1_11target_archE950ELNS1_3gpuE13ELNS1_3repE0EEENS1_47radix_sort_onesweep_sort_config_static_selectorELNS0_4arch9wavefront6targetE1EEEvSG_.kd
    .uniform_work_group_size: 1
    .uses_dynamic_stack: false
    .vgpr_count:     0
    .vgpr_spill_count: 0
    .wavefront_size: 64
  - .agpr_count:     0
    .args:
      - .offset:         0
        .size:           88
        .value_kind:     by_value
    .group_segment_fixed_size: 0
    .kernarg_segment_align: 8
    .kernarg_segment_size: 88
    .language:       OpenCL C
    .language_version:
      - 2
      - 0
    .max_flat_workgroup_size: 1024
    .name:           _ZN7rocprim17ROCPRIM_400000_NS6detail17trampoline_kernelINS0_14default_configENS1_35radix_sort_onesweep_config_selectorIslEEZZNS1_29radix_sort_onesweep_iterationIS3_Lb0EPsS7_N6thrust23THRUST_200600_302600_NS10device_ptrIlEESB_jNS0_19identity_decomposerENS1_16block_id_wrapperIjLb1EEEEE10hipError_tT1_PNSt15iterator_traitsISG_E10value_typeET2_T3_PNSH_ISM_E10value_typeET4_T5_PSR_SS_PNS1_23onesweep_lookback_stateEbbT6_jjT7_P12ihipStream_tbENKUlT_T0_SG_SL_E_clIS7_S7_SB_PlEEDaSZ_S10_SG_SL_EUlSZ_E_NS1_11comp_targetILNS1_3genE5ELNS1_11target_archE942ELNS1_3gpuE9ELNS1_3repE0EEENS1_47radix_sort_onesweep_sort_config_static_selectorELNS0_4arch9wavefront6targetE1EEEvSG_
    .private_segment_fixed_size: 0
    .sgpr_count:     4
    .sgpr_spill_count: 0
    .symbol:         _ZN7rocprim17ROCPRIM_400000_NS6detail17trampoline_kernelINS0_14default_configENS1_35radix_sort_onesweep_config_selectorIslEEZZNS1_29radix_sort_onesweep_iterationIS3_Lb0EPsS7_N6thrust23THRUST_200600_302600_NS10device_ptrIlEESB_jNS0_19identity_decomposerENS1_16block_id_wrapperIjLb1EEEEE10hipError_tT1_PNSt15iterator_traitsISG_E10value_typeET2_T3_PNSH_ISM_E10value_typeET4_T5_PSR_SS_PNS1_23onesweep_lookback_stateEbbT6_jjT7_P12ihipStream_tbENKUlT_T0_SG_SL_E_clIS7_S7_SB_PlEEDaSZ_S10_SG_SL_EUlSZ_E_NS1_11comp_targetILNS1_3genE5ELNS1_11target_archE942ELNS1_3gpuE9ELNS1_3repE0EEENS1_47radix_sort_onesweep_sort_config_static_selectorELNS0_4arch9wavefront6targetE1EEEvSG_.kd
    .uniform_work_group_size: 1
    .uses_dynamic_stack: false
    .vgpr_count:     0
    .vgpr_spill_count: 0
    .wavefront_size: 64
  - .agpr_count:     0
    .args:
      - .offset:         0
        .size:           88
        .value_kind:     by_value
    .group_segment_fixed_size: 0
    .kernarg_segment_align: 8
    .kernarg_segment_size: 88
    .language:       OpenCL C
    .language_version:
      - 2
      - 0
    .max_flat_workgroup_size: 512
    .name:           _ZN7rocprim17ROCPRIM_400000_NS6detail17trampoline_kernelINS0_14default_configENS1_35radix_sort_onesweep_config_selectorIslEEZZNS1_29radix_sort_onesweep_iterationIS3_Lb0EPsS7_N6thrust23THRUST_200600_302600_NS10device_ptrIlEESB_jNS0_19identity_decomposerENS1_16block_id_wrapperIjLb1EEEEE10hipError_tT1_PNSt15iterator_traitsISG_E10value_typeET2_T3_PNSH_ISM_E10value_typeET4_T5_PSR_SS_PNS1_23onesweep_lookback_stateEbbT6_jjT7_P12ihipStream_tbENKUlT_T0_SG_SL_E_clIS7_S7_SB_PlEEDaSZ_S10_SG_SL_EUlSZ_E_NS1_11comp_targetILNS1_3genE2ELNS1_11target_archE906ELNS1_3gpuE6ELNS1_3repE0EEENS1_47radix_sort_onesweep_sort_config_static_selectorELNS0_4arch9wavefront6targetE1EEEvSG_
    .private_segment_fixed_size: 0
    .sgpr_count:     4
    .sgpr_spill_count: 0
    .symbol:         _ZN7rocprim17ROCPRIM_400000_NS6detail17trampoline_kernelINS0_14default_configENS1_35radix_sort_onesweep_config_selectorIslEEZZNS1_29radix_sort_onesweep_iterationIS3_Lb0EPsS7_N6thrust23THRUST_200600_302600_NS10device_ptrIlEESB_jNS0_19identity_decomposerENS1_16block_id_wrapperIjLb1EEEEE10hipError_tT1_PNSt15iterator_traitsISG_E10value_typeET2_T3_PNSH_ISM_E10value_typeET4_T5_PSR_SS_PNS1_23onesweep_lookback_stateEbbT6_jjT7_P12ihipStream_tbENKUlT_T0_SG_SL_E_clIS7_S7_SB_PlEEDaSZ_S10_SG_SL_EUlSZ_E_NS1_11comp_targetILNS1_3genE2ELNS1_11target_archE906ELNS1_3gpuE6ELNS1_3repE0EEENS1_47radix_sort_onesweep_sort_config_static_selectorELNS0_4arch9wavefront6targetE1EEEvSG_.kd
    .uniform_work_group_size: 1
    .uses_dynamic_stack: false
    .vgpr_count:     0
    .vgpr_spill_count: 0
    .wavefront_size: 64
  - .agpr_count:     0
    .args:
      - .offset:         0
        .size:           88
        .value_kind:     by_value
      - .offset:         88
        .size:           4
        .value_kind:     hidden_block_count_x
      - .offset:         92
        .size:           4
        .value_kind:     hidden_block_count_y
      - .offset:         96
        .size:           4
        .value_kind:     hidden_block_count_z
      - .offset:         100
        .size:           2
        .value_kind:     hidden_group_size_x
      - .offset:         102
        .size:           2
        .value_kind:     hidden_group_size_y
      - .offset:         104
        .size:           2
        .value_kind:     hidden_group_size_z
      - .offset:         106
        .size:           2
        .value_kind:     hidden_remainder_x
      - .offset:         108
        .size:           2
        .value_kind:     hidden_remainder_y
      - .offset:         110
        .size:           2
        .value_kind:     hidden_remainder_z
      - .offset:         128
        .size:           8
        .value_kind:     hidden_global_offset_x
      - .offset:         136
        .size:           8
        .value_kind:     hidden_global_offset_y
      - .offset:         144
        .size:           8
        .value_kind:     hidden_global_offset_z
      - .offset:         152
        .size:           2
        .value_kind:     hidden_grid_dims
    .group_segment_fixed_size: 20552
    .kernarg_segment_align: 8
    .kernarg_segment_size: 344
    .language:       OpenCL C
    .language_version:
      - 2
      - 0
    .max_flat_workgroup_size: 1024
    .name:           _ZN7rocprim17ROCPRIM_400000_NS6detail17trampoline_kernelINS0_14default_configENS1_35radix_sort_onesweep_config_selectorIslEEZZNS1_29radix_sort_onesweep_iterationIS3_Lb0EPsS7_N6thrust23THRUST_200600_302600_NS10device_ptrIlEESB_jNS0_19identity_decomposerENS1_16block_id_wrapperIjLb1EEEEE10hipError_tT1_PNSt15iterator_traitsISG_E10value_typeET2_T3_PNSH_ISM_E10value_typeET4_T5_PSR_SS_PNS1_23onesweep_lookback_stateEbbT6_jjT7_P12ihipStream_tbENKUlT_T0_SG_SL_E_clIS7_S7_SB_PlEEDaSZ_S10_SG_SL_EUlSZ_E_NS1_11comp_targetILNS1_3genE4ELNS1_11target_archE910ELNS1_3gpuE8ELNS1_3repE0EEENS1_47radix_sort_onesweep_sort_config_static_selectorELNS0_4arch9wavefront6targetE1EEEvSG_
    .private_segment_fixed_size: 0
    .sgpr_count:     60
    .sgpr_spill_count: 0
    .symbol:         _ZN7rocprim17ROCPRIM_400000_NS6detail17trampoline_kernelINS0_14default_configENS1_35radix_sort_onesweep_config_selectorIslEEZZNS1_29radix_sort_onesweep_iterationIS3_Lb0EPsS7_N6thrust23THRUST_200600_302600_NS10device_ptrIlEESB_jNS0_19identity_decomposerENS1_16block_id_wrapperIjLb1EEEEE10hipError_tT1_PNSt15iterator_traitsISG_E10value_typeET2_T3_PNSH_ISM_E10value_typeET4_T5_PSR_SS_PNS1_23onesweep_lookback_stateEbbT6_jjT7_P12ihipStream_tbENKUlT_T0_SG_SL_E_clIS7_S7_SB_PlEEDaSZ_S10_SG_SL_EUlSZ_E_NS1_11comp_targetILNS1_3genE4ELNS1_11target_archE910ELNS1_3gpuE8ELNS1_3repE0EEENS1_47radix_sort_onesweep_sort_config_static_selectorELNS0_4arch9wavefront6targetE1EEEvSG_.kd
    .uniform_work_group_size: 1
    .uses_dynamic_stack: false
    .vgpr_count:     55
    .vgpr_spill_count: 0
    .wavefront_size: 64
  - .agpr_count:     0
    .args:
      - .offset:         0
        .size:           88
        .value_kind:     by_value
    .group_segment_fixed_size: 0
    .kernarg_segment_align: 8
    .kernarg_segment_size: 88
    .language:       OpenCL C
    .language_version:
      - 2
      - 0
    .max_flat_workgroup_size: 1024
    .name:           _ZN7rocprim17ROCPRIM_400000_NS6detail17trampoline_kernelINS0_14default_configENS1_35radix_sort_onesweep_config_selectorIslEEZZNS1_29radix_sort_onesweep_iterationIS3_Lb0EPsS7_N6thrust23THRUST_200600_302600_NS10device_ptrIlEESB_jNS0_19identity_decomposerENS1_16block_id_wrapperIjLb1EEEEE10hipError_tT1_PNSt15iterator_traitsISG_E10value_typeET2_T3_PNSH_ISM_E10value_typeET4_T5_PSR_SS_PNS1_23onesweep_lookback_stateEbbT6_jjT7_P12ihipStream_tbENKUlT_T0_SG_SL_E_clIS7_S7_SB_PlEEDaSZ_S10_SG_SL_EUlSZ_E_NS1_11comp_targetILNS1_3genE3ELNS1_11target_archE908ELNS1_3gpuE7ELNS1_3repE0EEENS1_47radix_sort_onesweep_sort_config_static_selectorELNS0_4arch9wavefront6targetE1EEEvSG_
    .private_segment_fixed_size: 0
    .sgpr_count:     4
    .sgpr_spill_count: 0
    .symbol:         _ZN7rocprim17ROCPRIM_400000_NS6detail17trampoline_kernelINS0_14default_configENS1_35radix_sort_onesweep_config_selectorIslEEZZNS1_29radix_sort_onesweep_iterationIS3_Lb0EPsS7_N6thrust23THRUST_200600_302600_NS10device_ptrIlEESB_jNS0_19identity_decomposerENS1_16block_id_wrapperIjLb1EEEEE10hipError_tT1_PNSt15iterator_traitsISG_E10value_typeET2_T3_PNSH_ISM_E10value_typeET4_T5_PSR_SS_PNS1_23onesweep_lookback_stateEbbT6_jjT7_P12ihipStream_tbENKUlT_T0_SG_SL_E_clIS7_S7_SB_PlEEDaSZ_S10_SG_SL_EUlSZ_E_NS1_11comp_targetILNS1_3genE3ELNS1_11target_archE908ELNS1_3gpuE7ELNS1_3repE0EEENS1_47radix_sort_onesweep_sort_config_static_selectorELNS0_4arch9wavefront6targetE1EEEvSG_.kd
    .uniform_work_group_size: 1
    .uses_dynamic_stack: false
    .vgpr_count:     0
    .vgpr_spill_count: 0
    .wavefront_size: 64
  - .agpr_count:     0
    .args:
      - .offset:         0
        .size:           88
        .value_kind:     by_value
    .group_segment_fixed_size: 0
    .kernarg_segment_align: 8
    .kernarg_segment_size: 88
    .language:       OpenCL C
    .language_version:
      - 2
      - 0
    .max_flat_workgroup_size: 1024
    .name:           _ZN7rocprim17ROCPRIM_400000_NS6detail17trampoline_kernelINS0_14default_configENS1_35radix_sort_onesweep_config_selectorIslEEZZNS1_29radix_sort_onesweep_iterationIS3_Lb0EPsS7_N6thrust23THRUST_200600_302600_NS10device_ptrIlEESB_jNS0_19identity_decomposerENS1_16block_id_wrapperIjLb1EEEEE10hipError_tT1_PNSt15iterator_traitsISG_E10value_typeET2_T3_PNSH_ISM_E10value_typeET4_T5_PSR_SS_PNS1_23onesweep_lookback_stateEbbT6_jjT7_P12ihipStream_tbENKUlT_T0_SG_SL_E_clIS7_S7_SB_PlEEDaSZ_S10_SG_SL_EUlSZ_E_NS1_11comp_targetILNS1_3genE10ELNS1_11target_archE1201ELNS1_3gpuE5ELNS1_3repE0EEENS1_47radix_sort_onesweep_sort_config_static_selectorELNS0_4arch9wavefront6targetE1EEEvSG_
    .private_segment_fixed_size: 0
    .sgpr_count:     4
    .sgpr_spill_count: 0
    .symbol:         _ZN7rocprim17ROCPRIM_400000_NS6detail17trampoline_kernelINS0_14default_configENS1_35radix_sort_onesweep_config_selectorIslEEZZNS1_29radix_sort_onesweep_iterationIS3_Lb0EPsS7_N6thrust23THRUST_200600_302600_NS10device_ptrIlEESB_jNS0_19identity_decomposerENS1_16block_id_wrapperIjLb1EEEEE10hipError_tT1_PNSt15iterator_traitsISG_E10value_typeET2_T3_PNSH_ISM_E10value_typeET4_T5_PSR_SS_PNS1_23onesweep_lookback_stateEbbT6_jjT7_P12ihipStream_tbENKUlT_T0_SG_SL_E_clIS7_S7_SB_PlEEDaSZ_S10_SG_SL_EUlSZ_E_NS1_11comp_targetILNS1_3genE10ELNS1_11target_archE1201ELNS1_3gpuE5ELNS1_3repE0EEENS1_47radix_sort_onesweep_sort_config_static_selectorELNS0_4arch9wavefront6targetE1EEEvSG_.kd
    .uniform_work_group_size: 1
    .uses_dynamic_stack: false
    .vgpr_count:     0
    .vgpr_spill_count: 0
    .wavefront_size: 64
  - .agpr_count:     0
    .args:
      - .offset:         0
        .size:           88
        .value_kind:     by_value
    .group_segment_fixed_size: 0
    .kernarg_segment_align: 8
    .kernarg_segment_size: 88
    .language:       OpenCL C
    .language_version:
      - 2
      - 0
    .max_flat_workgroup_size: 1024
    .name:           _ZN7rocprim17ROCPRIM_400000_NS6detail17trampoline_kernelINS0_14default_configENS1_35radix_sort_onesweep_config_selectorIslEEZZNS1_29radix_sort_onesweep_iterationIS3_Lb0EPsS7_N6thrust23THRUST_200600_302600_NS10device_ptrIlEESB_jNS0_19identity_decomposerENS1_16block_id_wrapperIjLb1EEEEE10hipError_tT1_PNSt15iterator_traitsISG_E10value_typeET2_T3_PNSH_ISM_E10value_typeET4_T5_PSR_SS_PNS1_23onesweep_lookback_stateEbbT6_jjT7_P12ihipStream_tbENKUlT_T0_SG_SL_E_clIS7_S7_SB_PlEEDaSZ_S10_SG_SL_EUlSZ_E_NS1_11comp_targetILNS1_3genE9ELNS1_11target_archE1100ELNS1_3gpuE3ELNS1_3repE0EEENS1_47radix_sort_onesweep_sort_config_static_selectorELNS0_4arch9wavefront6targetE1EEEvSG_
    .private_segment_fixed_size: 0
    .sgpr_count:     4
    .sgpr_spill_count: 0
    .symbol:         _ZN7rocprim17ROCPRIM_400000_NS6detail17trampoline_kernelINS0_14default_configENS1_35radix_sort_onesweep_config_selectorIslEEZZNS1_29radix_sort_onesweep_iterationIS3_Lb0EPsS7_N6thrust23THRUST_200600_302600_NS10device_ptrIlEESB_jNS0_19identity_decomposerENS1_16block_id_wrapperIjLb1EEEEE10hipError_tT1_PNSt15iterator_traitsISG_E10value_typeET2_T3_PNSH_ISM_E10value_typeET4_T5_PSR_SS_PNS1_23onesweep_lookback_stateEbbT6_jjT7_P12ihipStream_tbENKUlT_T0_SG_SL_E_clIS7_S7_SB_PlEEDaSZ_S10_SG_SL_EUlSZ_E_NS1_11comp_targetILNS1_3genE9ELNS1_11target_archE1100ELNS1_3gpuE3ELNS1_3repE0EEENS1_47radix_sort_onesweep_sort_config_static_selectorELNS0_4arch9wavefront6targetE1EEEvSG_.kd
    .uniform_work_group_size: 1
    .uses_dynamic_stack: false
    .vgpr_count:     0
    .vgpr_spill_count: 0
    .wavefront_size: 64
  - .agpr_count:     0
    .args:
      - .offset:         0
        .size:           88
        .value_kind:     by_value
    .group_segment_fixed_size: 0
    .kernarg_segment_align: 8
    .kernarg_segment_size: 88
    .language:       OpenCL C
    .language_version:
      - 2
      - 0
    .max_flat_workgroup_size: 1024
    .name:           _ZN7rocprim17ROCPRIM_400000_NS6detail17trampoline_kernelINS0_14default_configENS1_35radix_sort_onesweep_config_selectorIslEEZZNS1_29radix_sort_onesweep_iterationIS3_Lb0EPsS7_N6thrust23THRUST_200600_302600_NS10device_ptrIlEESB_jNS0_19identity_decomposerENS1_16block_id_wrapperIjLb1EEEEE10hipError_tT1_PNSt15iterator_traitsISG_E10value_typeET2_T3_PNSH_ISM_E10value_typeET4_T5_PSR_SS_PNS1_23onesweep_lookback_stateEbbT6_jjT7_P12ihipStream_tbENKUlT_T0_SG_SL_E_clIS7_S7_SB_PlEEDaSZ_S10_SG_SL_EUlSZ_E_NS1_11comp_targetILNS1_3genE8ELNS1_11target_archE1030ELNS1_3gpuE2ELNS1_3repE0EEENS1_47radix_sort_onesweep_sort_config_static_selectorELNS0_4arch9wavefront6targetE1EEEvSG_
    .private_segment_fixed_size: 0
    .sgpr_count:     4
    .sgpr_spill_count: 0
    .symbol:         _ZN7rocprim17ROCPRIM_400000_NS6detail17trampoline_kernelINS0_14default_configENS1_35radix_sort_onesweep_config_selectorIslEEZZNS1_29radix_sort_onesweep_iterationIS3_Lb0EPsS7_N6thrust23THRUST_200600_302600_NS10device_ptrIlEESB_jNS0_19identity_decomposerENS1_16block_id_wrapperIjLb1EEEEE10hipError_tT1_PNSt15iterator_traitsISG_E10value_typeET2_T3_PNSH_ISM_E10value_typeET4_T5_PSR_SS_PNS1_23onesweep_lookback_stateEbbT6_jjT7_P12ihipStream_tbENKUlT_T0_SG_SL_E_clIS7_S7_SB_PlEEDaSZ_S10_SG_SL_EUlSZ_E_NS1_11comp_targetILNS1_3genE8ELNS1_11target_archE1030ELNS1_3gpuE2ELNS1_3repE0EEENS1_47radix_sort_onesweep_sort_config_static_selectorELNS0_4arch9wavefront6targetE1EEEvSG_.kd
    .uniform_work_group_size: 1
    .uses_dynamic_stack: false
    .vgpr_count:     0
    .vgpr_spill_count: 0
    .wavefront_size: 64
  - .agpr_count:     0
    .args:
      - .offset:         0
        .size:           88
        .value_kind:     by_value
    .group_segment_fixed_size: 0
    .kernarg_segment_align: 8
    .kernarg_segment_size: 88
    .language:       OpenCL C
    .language_version:
      - 2
      - 0
    .max_flat_workgroup_size: 1024
    .name:           _ZN7rocprim17ROCPRIM_400000_NS6detail17trampoline_kernelINS0_14default_configENS1_35radix_sort_onesweep_config_selectorIslEEZZNS1_29radix_sort_onesweep_iterationIS3_Lb0EPsS7_N6thrust23THRUST_200600_302600_NS10device_ptrIlEESB_jNS0_19identity_decomposerENS1_16block_id_wrapperIjLb1EEEEE10hipError_tT1_PNSt15iterator_traitsISG_E10value_typeET2_T3_PNSH_ISM_E10value_typeET4_T5_PSR_SS_PNS1_23onesweep_lookback_stateEbbT6_jjT7_P12ihipStream_tbENKUlT_T0_SG_SL_E_clIS7_S7_PlSB_EEDaSZ_S10_SG_SL_EUlSZ_E_NS1_11comp_targetILNS1_3genE0ELNS1_11target_archE4294967295ELNS1_3gpuE0ELNS1_3repE0EEENS1_47radix_sort_onesweep_sort_config_static_selectorELNS0_4arch9wavefront6targetE1EEEvSG_
    .private_segment_fixed_size: 0
    .sgpr_count:     4
    .sgpr_spill_count: 0
    .symbol:         _ZN7rocprim17ROCPRIM_400000_NS6detail17trampoline_kernelINS0_14default_configENS1_35radix_sort_onesweep_config_selectorIslEEZZNS1_29radix_sort_onesweep_iterationIS3_Lb0EPsS7_N6thrust23THRUST_200600_302600_NS10device_ptrIlEESB_jNS0_19identity_decomposerENS1_16block_id_wrapperIjLb1EEEEE10hipError_tT1_PNSt15iterator_traitsISG_E10value_typeET2_T3_PNSH_ISM_E10value_typeET4_T5_PSR_SS_PNS1_23onesweep_lookback_stateEbbT6_jjT7_P12ihipStream_tbENKUlT_T0_SG_SL_E_clIS7_S7_PlSB_EEDaSZ_S10_SG_SL_EUlSZ_E_NS1_11comp_targetILNS1_3genE0ELNS1_11target_archE4294967295ELNS1_3gpuE0ELNS1_3repE0EEENS1_47radix_sort_onesweep_sort_config_static_selectorELNS0_4arch9wavefront6targetE1EEEvSG_.kd
    .uniform_work_group_size: 1
    .uses_dynamic_stack: false
    .vgpr_count:     0
    .vgpr_spill_count: 0
    .wavefront_size: 64
  - .agpr_count:     0
    .args:
      - .offset:         0
        .size:           88
        .value_kind:     by_value
    .group_segment_fixed_size: 0
    .kernarg_segment_align: 8
    .kernarg_segment_size: 88
    .language:       OpenCL C
    .language_version:
      - 2
      - 0
    .max_flat_workgroup_size: 1024
    .name:           _ZN7rocprim17ROCPRIM_400000_NS6detail17trampoline_kernelINS0_14default_configENS1_35radix_sort_onesweep_config_selectorIslEEZZNS1_29radix_sort_onesweep_iterationIS3_Lb0EPsS7_N6thrust23THRUST_200600_302600_NS10device_ptrIlEESB_jNS0_19identity_decomposerENS1_16block_id_wrapperIjLb1EEEEE10hipError_tT1_PNSt15iterator_traitsISG_E10value_typeET2_T3_PNSH_ISM_E10value_typeET4_T5_PSR_SS_PNS1_23onesweep_lookback_stateEbbT6_jjT7_P12ihipStream_tbENKUlT_T0_SG_SL_E_clIS7_S7_PlSB_EEDaSZ_S10_SG_SL_EUlSZ_E_NS1_11comp_targetILNS1_3genE6ELNS1_11target_archE950ELNS1_3gpuE13ELNS1_3repE0EEENS1_47radix_sort_onesweep_sort_config_static_selectorELNS0_4arch9wavefront6targetE1EEEvSG_
    .private_segment_fixed_size: 0
    .sgpr_count:     4
    .sgpr_spill_count: 0
    .symbol:         _ZN7rocprim17ROCPRIM_400000_NS6detail17trampoline_kernelINS0_14default_configENS1_35radix_sort_onesweep_config_selectorIslEEZZNS1_29radix_sort_onesweep_iterationIS3_Lb0EPsS7_N6thrust23THRUST_200600_302600_NS10device_ptrIlEESB_jNS0_19identity_decomposerENS1_16block_id_wrapperIjLb1EEEEE10hipError_tT1_PNSt15iterator_traitsISG_E10value_typeET2_T3_PNSH_ISM_E10value_typeET4_T5_PSR_SS_PNS1_23onesweep_lookback_stateEbbT6_jjT7_P12ihipStream_tbENKUlT_T0_SG_SL_E_clIS7_S7_PlSB_EEDaSZ_S10_SG_SL_EUlSZ_E_NS1_11comp_targetILNS1_3genE6ELNS1_11target_archE950ELNS1_3gpuE13ELNS1_3repE0EEENS1_47radix_sort_onesweep_sort_config_static_selectorELNS0_4arch9wavefront6targetE1EEEvSG_.kd
    .uniform_work_group_size: 1
    .uses_dynamic_stack: false
    .vgpr_count:     0
    .vgpr_spill_count: 0
    .wavefront_size: 64
  - .agpr_count:     0
    .args:
      - .offset:         0
        .size:           88
        .value_kind:     by_value
    .group_segment_fixed_size: 0
    .kernarg_segment_align: 8
    .kernarg_segment_size: 88
    .language:       OpenCL C
    .language_version:
      - 2
      - 0
    .max_flat_workgroup_size: 1024
    .name:           _ZN7rocprim17ROCPRIM_400000_NS6detail17trampoline_kernelINS0_14default_configENS1_35radix_sort_onesweep_config_selectorIslEEZZNS1_29radix_sort_onesweep_iterationIS3_Lb0EPsS7_N6thrust23THRUST_200600_302600_NS10device_ptrIlEESB_jNS0_19identity_decomposerENS1_16block_id_wrapperIjLb1EEEEE10hipError_tT1_PNSt15iterator_traitsISG_E10value_typeET2_T3_PNSH_ISM_E10value_typeET4_T5_PSR_SS_PNS1_23onesweep_lookback_stateEbbT6_jjT7_P12ihipStream_tbENKUlT_T0_SG_SL_E_clIS7_S7_PlSB_EEDaSZ_S10_SG_SL_EUlSZ_E_NS1_11comp_targetILNS1_3genE5ELNS1_11target_archE942ELNS1_3gpuE9ELNS1_3repE0EEENS1_47radix_sort_onesweep_sort_config_static_selectorELNS0_4arch9wavefront6targetE1EEEvSG_
    .private_segment_fixed_size: 0
    .sgpr_count:     4
    .sgpr_spill_count: 0
    .symbol:         _ZN7rocprim17ROCPRIM_400000_NS6detail17trampoline_kernelINS0_14default_configENS1_35radix_sort_onesweep_config_selectorIslEEZZNS1_29radix_sort_onesweep_iterationIS3_Lb0EPsS7_N6thrust23THRUST_200600_302600_NS10device_ptrIlEESB_jNS0_19identity_decomposerENS1_16block_id_wrapperIjLb1EEEEE10hipError_tT1_PNSt15iterator_traitsISG_E10value_typeET2_T3_PNSH_ISM_E10value_typeET4_T5_PSR_SS_PNS1_23onesweep_lookback_stateEbbT6_jjT7_P12ihipStream_tbENKUlT_T0_SG_SL_E_clIS7_S7_PlSB_EEDaSZ_S10_SG_SL_EUlSZ_E_NS1_11comp_targetILNS1_3genE5ELNS1_11target_archE942ELNS1_3gpuE9ELNS1_3repE0EEENS1_47radix_sort_onesweep_sort_config_static_selectorELNS0_4arch9wavefront6targetE1EEEvSG_.kd
    .uniform_work_group_size: 1
    .uses_dynamic_stack: false
    .vgpr_count:     0
    .vgpr_spill_count: 0
    .wavefront_size: 64
  - .agpr_count:     0
    .args:
      - .offset:         0
        .size:           88
        .value_kind:     by_value
    .group_segment_fixed_size: 0
    .kernarg_segment_align: 8
    .kernarg_segment_size: 88
    .language:       OpenCL C
    .language_version:
      - 2
      - 0
    .max_flat_workgroup_size: 512
    .name:           _ZN7rocprim17ROCPRIM_400000_NS6detail17trampoline_kernelINS0_14default_configENS1_35radix_sort_onesweep_config_selectorIslEEZZNS1_29radix_sort_onesweep_iterationIS3_Lb0EPsS7_N6thrust23THRUST_200600_302600_NS10device_ptrIlEESB_jNS0_19identity_decomposerENS1_16block_id_wrapperIjLb1EEEEE10hipError_tT1_PNSt15iterator_traitsISG_E10value_typeET2_T3_PNSH_ISM_E10value_typeET4_T5_PSR_SS_PNS1_23onesweep_lookback_stateEbbT6_jjT7_P12ihipStream_tbENKUlT_T0_SG_SL_E_clIS7_S7_PlSB_EEDaSZ_S10_SG_SL_EUlSZ_E_NS1_11comp_targetILNS1_3genE2ELNS1_11target_archE906ELNS1_3gpuE6ELNS1_3repE0EEENS1_47radix_sort_onesweep_sort_config_static_selectorELNS0_4arch9wavefront6targetE1EEEvSG_
    .private_segment_fixed_size: 0
    .sgpr_count:     4
    .sgpr_spill_count: 0
    .symbol:         _ZN7rocprim17ROCPRIM_400000_NS6detail17trampoline_kernelINS0_14default_configENS1_35radix_sort_onesweep_config_selectorIslEEZZNS1_29radix_sort_onesweep_iterationIS3_Lb0EPsS7_N6thrust23THRUST_200600_302600_NS10device_ptrIlEESB_jNS0_19identity_decomposerENS1_16block_id_wrapperIjLb1EEEEE10hipError_tT1_PNSt15iterator_traitsISG_E10value_typeET2_T3_PNSH_ISM_E10value_typeET4_T5_PSR_SS_PNS1_23onesweep_lookback_stateEbbT6_jjT7_P12ihipStream_tbENKUlT_T0_SG_SL_E_clIS7_S7_PlSB_EEDaSZ_S10_SG_SL_EUlSZ_E_NS1_11comp_targetILNS1_3genE2ELNS1_11target_archE906ELNS1_3gpuE6ELNS1_3repE0EEENS1_47radix_sort_onesweep_sort_config_static_selectorELNS0_4arch9wavefront6targetE1EEEvSG_.kd
    .uniform_work_group_size: 1
    .uses_dynamic_stack: false
    .vgpr_count:     0
    .vgpr_spill_count: 0
    .wavefront_size: 64
  - .agpr_count:     0
    .args:
      - .offset:         0
        .size:           88
        .value_kind:     by_value
      - .offset:         88
        .size:           4
        .value_kind:     hidden_block_count_x
      - .offset:         92
        .size:           4
        .value_kind:     hidden_block_count_y
      - .offset:         96
        .size:           4
        .value_kind:     hidden_block_count_z
      - .offset:         100
        .size:           2
        .value_kind:     hidden_group_size_x
      - .offset:         102
        .size:           2
        .value_kind:     hidden_group_size_y
      - .offset:         104
        .size:           2
        .value_kind:     hidden_group_size_z
      - .offset:         106
        .size:           2
        .value_kind:     hidden_remainder_x
      - .offset:         108
        .size:           2
        .value_kind:     hidden_remainder_y
      - .offset:         110
        .size:           2
        .value_kind:     hidden_remainder_z
      - .offset:         128
        .size:           8
        .value_kind:     hidden_global_offset_x
      - .offset:         136
        .size:           8
        .value_kind:     hidden_global_offset_y
      - .offset:         144
        .size:           8
        .value_kind:     hidden_global_offset_z
      - .offset:         152
        .size:           2
        .value_kind:     hidden_grid_dims
    .group_segment_fixed_size: 20552
    .kernarg_segment_align: 8
    .kernarg_segment_size: 344
    .language:       OpenCL C
    .language_version:
      - 2
      - 0
    .max_flat_workgroup_size: 1024
    .name:           _ZN7rocprim17ROCPRIM_400000_NS6detail17trampoline_kernelINS0_14default_configENS1_35radix_sort_onesweep_config_selectorIslEEZZNS1_29radix_sort_onesweep_iterationIS3_Lb0EPsS7_N6thrust23THRUST_200600_302600_NS10device_ptrIlEESB_jNS0_19identity_decomposerENS1_16block_id_wrapperIjLb1EEEEE10hipError_tT1_PNSt15iterator_traitsISG_E10value_typeET2_T3_PNSH_ISM_E10value_typeET4_T5_PSR_SS_PNS1_23onesweep_lookback_stateEbbT6_jjT7_P12ihipStream_tbENKUlT_T0_SG_SL_E_clIS7_S7_PlSB_EEDaSZ_S10_SG_SL_EUlSZ_E_NS1_11comp_targetILNS1_3genE4ELNS1_11target_archE910ELNS1_3gpuE8ELNS1_3repE0EEENS1_47radix_sort_onesweep_sort_config_static_selectorELNS0_4arch9wavefront6targetE1EEEvSG_
    .private_segment_fixed_size: 0
    .sgpr_count:     60
    .sgpr_spill_count: 0
    .symbol:         _ZN7rocprim17ROCPRIM_400000_NS6detail17trampoline_kernelINS0_14default_configENS1_35radix_sort_onesweep_config_selectorIslEEZZNS1_29radix_sort_onesweep_iterationIS3_Lb0EPsS7_N6thrust23THRUST_200600_302600_NS10device_ptrIlEESB_jNS0_19identity_decomposerENS1_16block_id_wrapperIjLb1EEEEE10hipError_tT1_PNSt15iterator_traitsISG_E10value_typeET2_T3_PNSH_ISM_E10value_typeET4_T5_PSR_SS_PNS1_23onesweep_lookback_stateEbbT6_jjT7_P12ihipStream_tbENKUlT_T0_SG_SL_E_clIS7_S7_PlSB_EEDaSZ_S10_SG_SL_EUlSZ_E_NS1_11comp_targetILNS1_3genE4ELNS1_11target_archE910ELNS1_3gpuE8ELNS1_3repE0EEENS1_47radix_sort_onesweep_sort_config_static_selectorELNS0_4arch9wavefront6targetE1EEEvSG_.kd
    .uniform_work_group_size: 1
    .uses_dynamic_stack: false
    .vgpr_count:     55
    .vgpr_spill_count: 0
    .wavefront_size: 64
  - .agpr_count:     0
    .args:
      - .offset:         0
        .size:           88
        .value_kind:     by_value
    .group_segment_fixed_size: 0
    .kernarg_segment_align: 8
    .kernarg_segment_size: 88
    .language:       OpenCL C
    .language_version:
      - 2
      - 0
    .max_flat_workgroup_size: 1024
    .name:           _ZN7rocprim17ROCPRIM_400000_NS6detail17trampoline_kernelINS0_14default_configENS1_35radix_sort_onesweep_config_selectorIslEEZZNS1_29radix_sort_onesweep_iterationIS3_Lb0EPsS7_N6thrust23THRUST_200600_302600_NS10device_ptrIlEESB_jNS0_19identity_decomposerENS1_16block_id_wrapperIjLb1EEEEE10hipError_tT1_PNSt15iterator_traitsISG_E10value_typeET2_T3_PNSH_ISM_E10value_typeET4_T5_PSR_SS_PNS1_23onesweep_lookback_stateEbbT6_jjT7_P12ihipStream_tbENKUlT_T0_SG_SL_E_clIS7_S7_PlSB_EEDaSZ_S10_SG_SL_EUlSZ_E_NS1_11comp_targetILNS1_3genE3ELNS1_11target_archE908ELNS1_3gpuE7ELNS1_3repE0EEENS1_47radix_sort_onesweep_sort_config_static_selectorELNS0_4arch9wavefront6targetE1EEEvSG_
    .private_segment_fixed_size: 0
    .sgpr_count:     4
    .sgpr_spill_count: 0
    .symbol:         _ZN7rocprim17ROCPRIM_400000_NS6detail17trampoline_kernelINS0_14default_configENS1_35radix_sort_onesweep_config_selectorIslEEZZNS1_29radix_sort_onesweep_iterationIS3_Lb0EPsS7_N6thrust23THRUST_200600_302600_NS10device_ptrIlEESB_jNS0_19identity_decomposerENS1_16block_id_wrapperIjLb1EEEEE10hipError_tT1_PNSt15iterator_traitsISG_E10value_typeET2_T3_PNSH_ISM_E10value_typeET4_T5_PSR_SS_PNS1_23onesweep_lookback_stateEbbT6_jjT7_P12ihipStream_tbENKUlT_T0_SG_SL_E_clIS7_S7_PlSB_EEDaSZ_S10_SG_SL_EUlSZ_E_NS1_11comp_targetILNS1_3genE3ELNS1_11target_archE908ELNS1_3gpuE7ELNS1_3repE0EEENS1_47radix_sort_onesweep_sort_config_static_selectorELNS0_4arch9wavefront6targetE1EEEvSG_.kd
    .uniform_work_group_size: 1
    .uses_dynamic_stack: false
    .vgpr_count:     0
    .vgpr_spill_count: 0
    .wavefront_size: 64
  - .agpr_count:     0
    .args:
      - .offset:         0
        .size:           88
        .value_kind:     by_value
    .group_segment_fixed_size: 0
    .kernarg_segment_align: 8
    .kernarg_segment_size: 88
    .language:       OpenCL C
    .language_version:
      - 2
      - 0
    .max_flat_workgroup_size: 1024
    .name:           _ZN7rocprim17ROCPRIM_400000_NS6detail17trampoline_kernelINS0_14default_configENS1_35radix_sort_onesweep_config_selectorIslEEZZNS1_29radix_sort_onesweep_iterationIS3_Lb0EPsS7_N6thrust23THRUST_200600_302600_NS10device_ptrIlEESB_jNS0_19identity_decomposerENS1_16block_id_wrapperIjLb1EEEEE10hipError_tT1_PNSt15iterator_traitsISG_E10value_typeET2_T3_PNSH_ISM_E10value_typeET4_T5_PSR_SS_PNS1_23onesweep_lookback_stateEbbT6_jjT7_P12ihipStream_tbENKUlT_T0_SG_SL_E_clIS7_S7_PlSB_EEDaSZ_S10_SG_SL_EUlSZ_E_NS1_11comp_targetILNS1_3genE10ELNS1_11target_archE1201ELNS1_3gpuE5ELNS1_3repE0EEENS1_47radix_sort_onesweep_sort_config_static_selectorELNS0_4arch9wavefront6targetE1EEEvSG_
    .private_segment_fixed_size: 0
    .sgpr_count:     4
    .sgpr_spill_count: 0
    .symbol:         _ZN7rocprim17ROCPRIM_400000_NS6detail17trampoline_kernelINS0_14default_configENS1_35radix_sort_onesweep_config_selectorIslEEZZNS1_29radix_sort_onesweep_iterationIS3_Lb0EPsS7_N6thrust23THRUST_200600_302600_NS10device_ptrIlEESB_jNS0_19identity_decomposerENS1_16block_id_wrapperIjLb1EEEEE10hipError_tT1_PNSt15iterator_traitsISG_E10value_typeET2_T3_PNSH_ISM_E10value_typeET4_T5_PSR_SS_PNS1_23onesweep_lookback_stateEbbT6_jjT7_P12ihipStream_tbENKUlT_T0_SG_SL_E_clIS7_S7_PlSB_EEDaSZ_S10_SG_SL_EUlSZ_E_NS1_11comp_targetILNS1_3genE10ELNS1_11target_archE1201ELNS1_3gpuE5ELNS1_3repE0EEENS1_47radix_sort_onesweep_sort_config_static_selectorELNS0_4arch9wavefront6targetE1EEEvSG_.kd
    .uniform_work_group_size: 1
    .uses_dynamic_stack: false
    .vgpr_count:     0
    .vgpr_spill_count: 0
    .wavefront_size: 64
  - .agpr_count:     0
    .args:
      - .offset:         0
        .size:           88
        .value_kind:     by_value
    .group_segment_fixed_size: 0
    .kernarg_segment_align: 8
    .kernarg_segment_size: 88
    .language:       OpenCL C
    .language_version:
      - 2
      - 0
    .max_flat_workgroup_size: 1024
    .name:           _ZN7rocprim17ROCPRIM_400000_NS6detail17trampoline_kernelINS0_14default_configENS1_35radix_sort_onesweep_config_selectorIslEEZZNS1_29radix_sort_onesweep_iterationIS3_Lb0EPsS7_N6thrust23THRUST_200600_302600_NS10device_ptrIlEESB_jNS0_19identity_decomposerENS1_16block_id_wrapperIjLb1EEEEE10hipError_tT1_PNSt15iterator_traitsISG_E10value_typeET2_T3_PNSH_ISM_E10value_typeET4_T5_PSR_SS_PNS1_23onesweep_lookback_stateEbbT6_jjT7_P12ihipStream_tbENKUlT_T0_SG_SL_E_clIS7_S7_PlSB_EEDaSZ_S10_SG_SL_EUlSZ_E_NS1_11comp_targetILNS1_3genE9ELNS1_11target_archE1100ELNS1_3gpuE3ELNS1_3repE0EEENS1_47radix_sort_onesweep_sort_config_static_selectorELNS0_4arch9wavefront6targetE1EEEvSG_
    .private_segment_fixed_size: 0
    .sgpr_count:     4
    .sgpr_spill_count: 0
    .symbol:         _ZN7rocprim17ROCPRIM_400000_NS6detail17trampoline_kernelINS0_14default_configENS1_35radix_sort_onesweep_config_selectorIslEEZZNS1_29radix_sort_onesweep_iterationIS3_Lb0EPsS7_N6thrust23THRUST_200600_302600_NS10device_ptrIlEESB_jNS0_19identity_decomposerENS1_16block_id_wrapperIjLb1EEEEE10hipError_tT1_PNSt15iterator_traitsISG_E10value_typeET2_T3_PNSH_ISM_E10value_typeET4_T5_PSR_SS_PNS1_23onesweep_lookback_stateEbbT6_jjT7_P12ihipStream_tbENKUlT_T0_SG_SL_E_clIS7_S7_PlSB_EEDaSZ_S10_SG_SL_EUlSZ_E_NS1_11comp_targetILNS1_3genE9ELNS1_11target_archE1100ELNS1_3gpuE3ELNS1_3repE0EEENS1_47radix_sort_onesweep_sort_config_static_selectorELNS0_4arch9wavefront6targetE1EEEvSG_.kd
    .uniform_work_group_size: 1
    .uses_dynamic_stack: false
    .vgpr_count:     0
    .vgpr_spill_count: 0
    .wavefront_size: 64
  - .agpr_count:     0
    .args:
      - .offset:         0
        .size:           88
        .value_kind:     by_value
    .group_segment_fixed_size: 0
    .kernarg_segment_align: 8
    .kernarg_segment_size: 88
    .language:       OpenCL C
    .language_version:
      - 2
      - 0
    .max_flat_workgroup_size: 1024
    .name:           _ZN7rocprim17ROCPRIM_400000_NS6detail17trampoline_kernelINS0_14default_configENS1_35radix_sort_onesweep_config_selectorIslEEZZNS1_29radix_sort_onesweep_iterationIS3_Lb0EPsS7_N6thrust23THRUST_200600_302600_NS10device_ptrIlEESB_jNS0_19identity_decomposerENS1_16block_id_wrapperIjLb1EEEEE10hipError_tT1_PNSt15iterator_traitsISG_E10value_typeET2_T3_PNSH_ISM_E10value_typeET4_T5_PSR_SS_PNS1_23onesweep_lookback_stateEbbT6_jjT7_P12ihipStream_tbENKUlT_T0_SG_SL_E_clIS7_S7_PlSB_EEDaSZ_S10_SG_SL_EUlSZ_E_NS1_11comp_targetILNS1_3genE8ELNS1_11target_archE1030ELNS1_3gpuE2ELNS1_3repE0EEENS1_47radix_sort_onesweep_sort_config_static_selectorELNS0_4arch9wavefront6targetE1EEEvSG_
    .private_segment_fixed_size: 0
    .sgpr_count:     4
    .sgpr_spill_count: 0
    .symbol:         _ZN7rocprim17ROCPRIM_400000_NS6detail17trampoline_kernelINS0_14default_configENS1_35radix_sort_onesweep_config_selectorIslEEZZNS1_29radix_sort_onesweep_iterationIS3_Lb0EPsS7_N6thrust23THRUST_200600_302600_NS10device_ptrIlEESB_jNS0_19identity_decomposerENS1_16block_id_wrapperIjLb1EEEEE10hipError_tT1_PNSt15iterator_traitsISG_E10value_typeET2_T3_PNSH_ISM_E10value_typeET4_T5_PSR_SS_PNS1_23onesweep_lookback_stateEbbT6_jjT7_P12ihipStream_tbENKUlT_T0_SG_SL_E_clIS7_S7_PlSB_EEDaSZ_S10_SG_SL_EUlSZ_E_NS1_11comp_targetILNS1_3genE8ELNS1_11target_archE1030ELNS1_3gpuE2ELNS1_3repE0EEENS1_47radix_sort_onesweep_sort_config_static_selectorELNS0_4arch9wavefront6targetE1EEEvSG_.kd
    .uniform_work_group_size: 1
    .uses_dynamic_stack: false
    .vgpr_count:     0
    .vgpr_spill_count: 0
    .wavefront_size: 64
  - .agpr_count:     0
    .args:
      - .offset:         0
        .size:           88
        .value_kind:     by_value
    .group_segment_fixed_size: 0
    .kernarg_segment_align: 8
    .kernarg_segment_size: 88
    .language:       OpenCL C
    .language_version:
      - 2
      - 0
    .max_flat_workgroup_size: 1024
    .name:           _ZN7rocprim17ROCPRIM_400000_NS6detail17trampoline_kernelINS0_14default_configENS1_35radix_sort_onesweep_config_selectorIslEEZZNS1_29radix_sort_onesweep_iterationIS3_Lb0EPsS7_N6thrust23THRUST_200600_302600_NS10device_ptrIlEESB_jNS0_19identity_decomposerENS1_16block_id_wrapperIjLb0EEEEE10hipError_tT1_PNSt15iterator_traitsISG_E10value_typeET2_T3_PNSH_ISM_E10value_typeET4_T5_PSR_SS_PNS1_23onesweep_lookback_stateEbbT6_jjT7_P12ihipStream_tbENKUlT_T0_SG_SL_E_clIS7_S7_SB_SB_EEDaSZ_S10_SG_SL_EUlSZ_E_NS1_11comp_targetILNS1_3genE0ELNS1_11target_archE4294967295ELNS1_3gpuE0ELNS1_3repE0EEENS1_47radix_sort_onesweep_sort_config_static_selectorELNS0_4arch9wavefront6targetE1EEEvSG_
    .private_segment_fixed_size: 0
    .sgpr_count:     4
    .sgpr_spill_count: 0
    .symbol:         _ZN7rocprim17ROCPRIM_400000_NS6detail17trampoline_kernelINS0_14default_configENS1_35radix_sort_onesweep_config_selectorIslEEZZNS1_29radix_sort_onesweep_iterationIS3_Lb0EPsS7_N6thrust23THRUST_200600_302600_NS10device_ptrIlEESB_jNS0_19identity_decomposerENS1_16block_id_wrapperIjLb0EEEEE10hipError_tT1_PNSt15iterator_traitsISG_E10value_typeET2_T3_PNSH_ISM_E10value_typeET4_T5_PSR_SS_PNS1_23onesweep_lookback_stateEbbT6_jjT7_P12ihipStream_tbENKUlT_T0_SG_SL_E_clIS7_S7_SB_SB_EEDaSZ_S10_SG_SL_EUlSZ_E_NS1_11comp_targetILNS1_3genE0ELNS1_11target_archE4294967295ELNS1_3gpuE0ELNS1_3repE0EEENS1_47radix_sort_onesweep_sort_config_static_selectorELNS0_4arch9wavefront6targetE1EEEvSG_.kd
    .uniform_work_group_size: 1
    .uses_dynamic_stack: false
    .vgpr_count:     0
    .vgpr_spill_count: 0
    .wavefront_size: 64
  - .agpr_count:     0
    .args:
      - .offset:         0
        .size:           88
        .value_kind:     by_value
    .group_segment_fixed_size: 0
    .kernarg_segment_align: 8
    .kernarg_segment_size: 88
    .language:       OpenCL C
    .language_version:
      - 2
      - 0
    .max_flat_workgroup_size: 1024
    .name:           _ZN7rocprim17ROCPRIM_400000_NS6detail17trampoline_kernelINS0_14default_configENS1_35radix_sort_onesweep_config_selectorIslEEZZNS1_29radix_sort_onesweep_iterationIS3_Lb0EPsS7_N6thrust23THRUST_200600_302600_NS10device_ptrIlEESB_jNS0_19identity_decomposerENS1_16block_id_wrapperIjLb0EEEEE10hipError_tT1_PNSt15iterator_traitsISG_E10value_typeET2_T3_PNSH_ISM_E10value_typeET4_T5_PSR_SS_PNS1_23onesweep_lookback_stateEbbT6_jjT7_P12ihipStream_tbENKUlT_T0_SG_SL_E_clIS7_S7_SB_SB_EEDaSZ_S10_SG_SL_EUlSZ_E_NS1_11comp_targetILNS1_3genE6ELNS1_11target_archE950ELNS1_3gpuE13ELNS1_3repE0EEENS1_47radix_sort_onesweep_sort_config_static_selectorELNS0_4arch9wavefront6targetE1EEEvSG_
    .private_segment_fixed_size: 0
    .sgpr_count:     4
    .sgpr_spill_count: 0
    .symbol:         _ZN7rocprim17ROCPRIM_400000_NS6detail17trampoline_kernelINS0_14default_configENS1_35radix_sort_onesweep_config_selectorIslEEZZNS1_29radix_sort_onesweep_iterationIS3_Lb0EPsS7_N6thrust23THRUST_200600_302600_NS10device_ptrIlEESB_jNS0_19identity_decomposerENS1_16block_id_wrapperIjLb0EEEEE10hipError_tT1_PNSt15iterator_traitsISG_E10value_typeET2_T3_PNSH_ISM_E10value_typeET4_T5_PSR_SS_PNS1_23onesweep_lookback_stateEbbT6_jjT7_P12ihipStream_tbENKUlT_T0_SG_SL_E_clIS7_S7_SB_SB_EEDaSZ_S10_SG_SL_EUlSZ_E_NS1_11comp_targetILNS1_3genE6ELNS1_11target_archE950ELNS1_3gpuE13ELNS1_3repE0EEENS1_47radix_sort_onesweep_sort_config_static_selectorELNS0_4arch9wavefront6targetE1EEEvSG_.kd
    .uniform_work_group_size: 1
    .uses_dynamic_stack: false
    .vgpr_count:     0
    .vgpr_spill_count: 0
    .wavefront_size: 64
  - .agpr_count:     0
    .args:
      - .offset:         0
        .size:           88
        .value_kind:     by_value
    .group_segment_fixed_size: 0
    .kernarg_segment_align: 8
    .kernarg_segment_size: 88
    .language:       OpenCL C
    .language_version:
      - 2
      - 0
    .max_flat_workgroup_size: 1024
    .name:           _ZN7rocprim17ROCPRIM_400000_NS6detail17trampoline_kernelINS0_14default_configENS1_35radix_sort_onesweep_config_selectorIslEEZZNS1_29radix_sort_onesweep_iterationIS3_Lb0EPsS7_N6thrust23THRUST_200600_302600_NS10device_ptrIlEESB_jNS0_19identity_decomposerENS1_16block_id_wrapperIjLb0EEEEE10hipError_tT1_PNSt15iterator_traitsISG_E10value_typeET2_T3_PNSH_ISM_E10value_typeET4_T5_PSR_SS_PNS1_23onesweep_lookback_stateEbbT6_jjT7_P12ihipStream_tbENKUlT_T0_SG_SL_E_clIS7_S7_SB_SB_EEDaSZ_S10_SG_SL_EUlSZ_E_NS1_11comp_targetILNS1_3genE5ELNS1_11target_archE942ELNS1_3gpuE9ELNS1_3repE0EEENS1_47radix_sort_onesweep_sort_config_static_selectorELNS0_4arch9wavefront6targetE1EEEvSG_
    .private_segment_fixed_size: 0
    .sgpr_count:     4
    .sgpr_spill_count: 0
    .symbol:         _ZN7rocprim17ROCPRIM_400000_NS6detail17trampoline_kernelINS0_14default_configENS1_35radix_sort_onesweep_config_selectorIslEEZZNS1_29radix_sort_onesweep_iterationIS3_Lb0EPsS7_N6thrust23THRUST_200600_302600_NS10device_ptrIlEESB_jNS0_19identity_decomposerENS1_16block_id_wrapperIjLb0EEEEE10hipError_tT1_PNSt15iterator_traitsISG_E10value_typeET2_T3_PNSH_ISM_E10value_typeET4_T5_PSR_SS_PNS1_23onesweep_lookback_stateEbbT6_jjT7_P12ihipStream_tbENKUlT_T0_SG_SL_E_clIS7_S7_SB_SB_EEDaSZ_S10_SG_SL_EUlSZ_E_NS1_11comp_targetILNS1_3genE5ELNS1_11target_archE942ELNS1_3gpuE9ELNS1_3repE0EEENS1_47radix_sort_onesweep_sort_config_static_selectorELNS0_4arch9wavefront6targetE1EEEvSG_.kd
    .uniform_work_group_size: 1
    .uses_dynamic_stack: false
    .vgpr_count:     0
    .vgpr_spill_count: 0
    .wavefront_size: 64
  - .agpr_count:     0
    .args:
      - .offset:         0
        .size:           88
        .value_kind:     by_value
    .group_segment_fixed_size: 0
    .kernarg_segment_align: 8
    .kernarg_segment_size: 88
    .language:       OpenCL C
    .language_version:
      - 2
      - 0
    .max_flat_workgroup_size: 512
    .name:           _ZN7rocprim17ROCPRIM_400000_NS6detail17trampoline_kernelINS0_14default_configENS1_35radix_sort_onesweep_config_selectorIslEEZZNS1_29radix_sort_onesweep_iterationIS3_Lb0EPsS7_N6thrust23THRUST_200600_302600_NS10device_ptrIlEESB_jNS0_19identity_decomposerENS1_16block_id_wrapperIjLb0EEEEE10hipError_tT1_PNSt15iterator_traitsISG_E10value_typeET2_T3_PNSH_ISM_E10value_typeET4_T5_PSR_SS_PNS1_23onesweep_lookback_stateEbbT6_jjT7_P12ihipStream_tbENKUlT_T0_SG_SL_E_clIS7_S7_SB_SB_EEDaSZ_S10_SG_SL_EUlSZ_E_NS1_11comp_targetILNS1_3genE2ELNS1_11target_archE906ELNS1_3gpuE6ELNS1_3repE0EEENS1_47radix_sort_onesweep_sort_config_static_selectorELNS0_4arch9wavefront6targetE1EEEvSG_
    .private_segment_fixed_size: 0
    .sgpr_count:     4
    .sgpr_spill_count: 0
    .symbol:         _ZN7rocprim17ROCPRIM_400000_NS6detail17trampoline_kernelINS0_14default_configENS1_35radix_sort_onesweep_config_selectorIslEEZZNS1_29radix_sort_onesweep_iterationIS3_Lb0EPsS7_N6thrust23THRUST_200600_302600_NS10device_ptrIlEESB_jNS0_19identity_decomposerENS1_16block_id_wrapperIjLb0EEEEE10hipError_tT1_PNSt15iterator_traitsISG_E10value_typeET2_T3_PNSH_ISM_E10value_typeET4_T5_PSR_SS_PNS1_23onesweep_lookback_stateEbbT6_jjT7_P12ihipStream_tbENKUlT_T0_SG_SL_E_clIS7_S7_SB_SB_EEDaSZ_S10_SG_SL_EUlSZ_E_NS1_11comp_targetILNS1_3genE2ELNS1_11target_archE906ELNS1_3gpuE6ELNS1_3repE0EEENS1_47radix_sort_onesweep_sort_config_static_selectorELNS0_4arch9wavefront6targetE1EEEvSG_.kd
    .uniform_work_group_size: 1
    .uses_dynamic_stack: false
    .vgpr_count:     0
    .vgpr_spill_count: 0
    .wavefront_size: 64
  - .agpr_count:     0
    .args:
      - .offset:         0
        .size:           88
        .value_kind:     by_value
      - .offset:         88
        .size:           4
        .value_kind:     hidden_block_count_x
      - .offset:         92
        .size:           4
        .value_kind:     hidden_block_count_y
      - .offset:         96
        .size:           4
        .value_kind:     hidden_block_count_z
      - .offset:         100
        .size:           2
        .value_kind:     hidden_group_size_x
      - .offset:         102
        .size:           2
        .value_kind:     hidden_group_size_y
      - .offset:         104
        .size:           2
        .value_kind:     hidden_group_size_z
      - .offset:         106
        .size:           2
        .value_kind:     hidden_remainder_x
      - .offset:         108
        .size:           2
        .value_kind:     hidden_remainder_y
      - .offset:         110
        .size:           2
        .value_kind:     hidden_remainder_z
      - .offset:         128
        .size:           8
        .value_kind:     hidden_global_offset_x
      - .offset:         136
        .size:           8
        .value_kind:     hidden_global_offset_y
      - .offset:         144
        .size:           8
        .value_kind:     hidden_global_offset_z
      - .offset:         152
        .size:           2
        .value_kind:     hidden_grid_dims
    .group_segment_fixed_size: 20552
    .kernarg_segment_align: 8
    .kernarg_segment_size: 344
    .language:       OpenCL C
    .language_version:
      - 2
      - 0
    .max_flat_workgroup_size: 1024
    .name:           _ZN7rocprim17ROCPRIM_400000_NS6detail17trampoline_kernelINS0_14default_configENS1_35radix_sort_onesweep_config_selectorIslEEZZNS1_29radix_sort_onesweep_iterationIS3_Lb0EPsS7_N6thrust23THRUST_200600_302600_NS10device_ptrIlEESB_jNS0_19identity_decomposerENS1_16block_id_wrapperIjLb0EEEEE10hipError_tT1_PNSt15iterator_traitsISG_E10value_typeET2_T3_PNSH_ISM_E10value_typeET4_T5_PSR_SS_PNS1_23onesweep_lookback_stateEbbT6_jjT7_P12ihipStream_tbENKUlT_T0_SG_SL_E_clIS7_S7_SB_SB_EEDaSZ_S10_SG_SL_EUlSZ_E_NS1_11comp_targetILNS1_3genE4ELNS1_11target_archE910ELNS1_3gpuE8ELNS1_3repE0EEENS1_47radix_sort_onesweep_sort_config_static_selectorELNS0_4arch9wavefront6targetE1EEEvSG_
    .private_segment_fixed_size: 0
    .sgpr_count:     57
    .sgpr_spill_count: 0
    .symbol:         _ZN7rocprim17ROCPRIM_400000_NS6detail17trampoline_kernelINS0_14default_configENS1_35radix_sort_onesweep_config_selectorIslEEZZNS1_29radix_sort_onesweep_iterationIS3_Lb0EPsS7_N6thrust23THRUST_200600_302600_NS10device_ptrIlEESB_jNS0_19identity_decomposerENS1_16block_id_wrapperIjLb0EEEEE10hipError_tT1_PNSt15iterator_traitsISG_E10value_typeET2_T3_PNSH_ISM_E10value_typeET4_T5_PSR_SS_PNS1_23onesweep_lookback_stateEbbT6_jjT7_P12ihipStream_tbENKUlT_T0_SG_SL_E_clIS7_S7_SB_SB_EEDaSZ_S10_SG_SL_EUlSZ_E_NS1_11comp_targetILNS1_3genE4ELNS1_11target_archE910ELNS1_3gpuE8ELNS1_3repE0EEENS1_47radix_sort_onesweep_sort_config_static_selectorELNS0_4arch9wavefront6targetE1EEEvSG_.kd
    .uniform_work_group_size: 1
    .uses_dynamic_stack: false
    .vgpr_count:     55
    .vgpr_spill_count: 0
    .wavefront_size: 64
  - .agpr_count:     0
    .args:
      - .offset:         0
        .size:           88
        .value_kind:     by_value
    .group_segment_fixed_size: 0
    .kernarg_segment_align: 8
    .kernarg_segment_size: 88
    .language:       OpenCL C
    .language_version:
      - 2
      - 0
    .max_flat_workgroup_size: 1024
    .name:           _ZN7rocprim17ROCPRIM_400000_NS6detail17trampoline_kernelINS0_14default_configENS1_35radix_sort_onesweep_config_selectorIslEEZZNS1_29radix_sort_onesweep_iterationIS3_Lb0EPsS7_N6thrust23THRUST_200600_302600_NS10device_ptrIlEESB_jNS0_19identity_decomposerENS1_16block_id_wrapperIjLb0EEEEE10hipError_tT1_PNSt15iterator_traitsISG_E10value_typeET2_T3_PNSH_ISM_E10value_typeET4_T5_PSR_SS_PNS1_23onesweep_lookback_stateEbbT6_jjT7_P12ihipStream_tbENKUlT_T0_SG_SL_E_clIS7_S7_SB_SB_EEDaSZ_S10_SG_SL_EUlSZ_E_NS1_11comp_targetILNS1_3genE3ELNS1_11target_archE908ELNS1_3gpuE7ELNS1_3repE0EEENS1_47radix_sort_onesweep_sort_config_static_selectorELNS0_4arch9wavefront6targetE1EEEvSG_
    .private_segment_fixed_size: 0
    .sgpr_count:     4
    .sgpr_spill_count: 0
    .symbol:         _ZN7rocprim17ROCPRIM_400000_NS6detail17trampoline_kernelINS0_14default_configENS1_35radix_sort_onesweep_config_selectorIslEEZZNS1_29radix_sort_onesweep_iterationIS3_Lb0EPsS7_N6thrust23THRUST_200600_302600_NS10device_ptrIlEESB_jNS0_19identity_decomposerENS1_16block_id_wrapperIjLb0EEEEE10hipError_tT1_PNSt15iterator_traitsISG_E10value_typeET2_T3_PNSH_ISM_E10value_typeET4_T5_PSR_SS_PNS1_23onesweep_lookback_stateEbbT6_jjT7_P12ihipStream_tbENKUlT_T0_SG_SL_E_clIS7_S7_SB_SB_EEDaSZ_S10_SG_SL_EUlSZ_E_NS1_11comp_targetILNS1_3genE3ELNS1_11target_archE908ELNS1_3gpuE7ELNS1_3repE0EEENS1_47radix_sort_onesweep_sort_config_static_selectorELNS0_4arch9wavefront6targetE1EEEvSG_.kd
    .uniform_work_group_size: 1
    .uses_dynamic_stack: false
    .vgpr_count:     0
    .vgpr_spill_count: 0
    .wavefront_size: 64
  - .agpr_count:     0
    .args:
      - .offset:         0
        .size:           88
        .value_kind:     by_value
    .group_segment_fixed_size: 0
    .kernarg_segment_align: 8
    .kernarg_segment_size: 88
    .language:       OpenCL C
    .language_version:
      - 2
      - 0
    .max_flat_workgroup_size: 1024
    .name:           _ZN7rocprim17ROCPRIM_400000_NS6detail17trampoline_kernelINS0_14default_configENS1_35radix_sort_onesweep_config_selectorIslEEZZNS1_29radix_sort_onesweep_iterationIS3_Lb0EPsS7_N6thrust23THRUST_200600_302600_NS10device_ptrIlEESB_jNS0_19identity_decomposerENS1_16block_id_wrapperIjLb0EEEEE10hipError_tT1_PNSt15iterator_traitsISG_E10value_typeET2_T3_PNSH_ISM_E10value_typeET4_T5_PSR_SS_PNS1_23onesweep_lookback_stateEbbT6_jjT7_P12ihipStream_tbENKUlT_T0_SG_SL_E_clIS7_S7_SB_SB_EEDaSZ_S10_SG_SL_EUlSZ_E_NS1_11comp_targetILNS1_3genE10ELNS1_11target_archE1201ELNS1_3gpuE5ELNS1_3repE0EEENS1_47radix_sort_onesweep_sort_config_static_selectorELNS0_4arch9wavefront6targetE1EEEvSG_
    .private_segment_fixed_size: 0
    .sgpr_count:     4
    .sgpr_spill_count: 0
    .symbol:         _ZN7rocprim17ROCPRIM_400000_NS6detail17trampoline_kernelINS0_14default_configENS1_35radix_sort_onesweep_config_selectorIslEEZZNS1_29radix_sort_onesweep_iterationIS3_Lb0EPsS7_N6thrust23THRUST_200600_302600_NS10device_ptrIlEESB_jNS0_19identity_decomposerENS1_16block_id_wrapperIjLb0EEEEE10hipError_tT1_PNSt15iterator_traitsISG_E10value_typeET2_T3_PNSH_ISM_E10value_typeET4_T5_PSR_SS_PNS1_23onesweep_lookback_stateEbbT6_jjT7_P12ihipStream_tbENKUlT_T0_SG_SL_E_clIS7_S7_SB_SB_EEDaSZ_S10_SG_SL_EUlSZ_E_NS1_11comp_targetILNS1_3genE10ELNS1_11target_archE1201ELNS1_3gpuE5ELNS1_3repE0EEENS1_47radix_sort_onesweep_sort_config_static_selectorELNS0_4arch9wavefront6targetE1EEEvSG_.kd
    .uniform_work_group_size: 1
    .uses_dynamic_stack: false
    .vgpr_count:     0
    .vgpr_spill_count: 0
    .wavefront_size: 64
  - .agpr_count:     0
    .args:
      - .offset:         0
        .size:           88
        .value_kind:     by_value
    .group_segment_fixed_size: 0
    .kernarg_segment_align: 8
    .kernarg_segment_size: 88
    .language:       OpenCL C
    .language_version:
      - 2
      - 0
    .max_flat_workgroup_size: 1024
    .name:           _ZN7rocprim17ROCPRIM_400000_NS6detail17trampoline_kernelINS0_14default_configENS1_35radix_sort_onesweep_config_selectorIslEEZZNS1_29radix_sort_onesweep_iterationIS3_Lb0EPsS7_N6thrust23THRUST_200600_302600_NS10device_ptrIlEESB_jNS0_19identity_decomposerENS1_16block_id_wrapperIjLb0EEEEE10hipError_tT1_PNSt15iterator_traitsISG_E10value_typeET2_T3_PNSH_ISM_E10value_typeET4_T5_PSR_SS_PNS1_23onesweep_lookback_stateEbbT6_jjT7_P12ihipStream_tbENKUlT_T0_SG_SL_E_clIS7_S7_SB_SB_EEDaSZ_S10_SG_SL_EUlSZ_E_NS1_11comp_targetILNS1_3genE9ELNS1_11target_archE1100ELNS1_3gpuE3ELNS1_3repE0EEENS1_47radix_sort_onesweep_sort_config_static_selectorELNS0_4arch9wavefront6targetE1EEEvSG_
    .private_segment_fixed_size: 0
    .sgpr_count:     4
    .sgpr_spill_count: 0
    .symbol:         _ZN7rocprim17ROCPRIM_400000_NS6detail17trampoline_kernelINS0_14default_configENS1_35radix_sort_onesweep_config_selectorIslEEZZNS1_29radix_sort_onesweep_iterationIS3_Lb0EPsS7_N6thrust23THRUST_200600_302600_NS10device_ptrIlEESB_jNS0_19identity_decomposerENS1_16block_id_wrapperIjLb0EEEEE10hipError_tT1_PNSt15iterator_traitsISG_E10value_typeET2_T3_PNSH_ISM_E10value_typeET4_T5_PSR_SS_PNS1_23onesweep_lookback_stateEbbT6_jjT7_P12ihipStream_tbENKUlT_T0_SG_SL_E_clIS7_S7_SB_SB_EEDaSZ_S10_SG_SL_EUlSZ_E_NS1_11comp_targetILNS1_3genE9ELNS1_11target_archE1100ELNS1_3gpuE3ELNS1_3repE0EEENS1_47radix_sort_onesweep_sort_config_static_selectorELNS0_4arch9wavefront6targetE1EEEvSG_.kd
    .uniform_work_group_size: 1
    .uses_dynamic_stack: false
    .vgpr_count:     0
    .vgpr_spill_count: 0
    .wavefront_size: 64
  - .agpr_count:     0
    .args:
      - .offset:         0
        .size:           88
        .value_kind:     by_value
    .group_segment_fixed_size: 0
    .kernarg_segment_align: 8
    .kernarg_segment_size: 88
    .language:       OpenCL C
    .language_version:
      - 2
      - 0
    .max_flat_workgroup_size: 1024
    .name:           _ZN7rocprim17ROCPRIM_400000_NS6detail17trampoline_kernelINS0_14default_configENS1_35radix_sort_onesweep_config_selectorIslEEZZNS1_29radix_sort_onesweep_iterationIS3_Lb0EPsS7_N6thrust23THRUST_200600_302600_NS10device_ptrIlEESB_jNS0_19identity_decomposerENS1_16block_id_wrapperIjLb0EEEEE10hipError_tT1_PNSt15iterator_traitsISG_E10value_typeET2_T3_PNSH_ISM_E10value_typeET4_T5_PSR_SS_PNS1_23onesweep_lookback_stateEbbT6_jjT7_P12ihipStream_tbENKUlT_T0_SG_SL_E_clIS7_S7_SB_SB_EEDaSZ_S10_SG_SL_EUlSZ_E_NS1_11comp_targetILNS1_3genE8ELNS1_11target_archE1030ELNS1_3gpuE2ELNS1_3repE0EEENS1_47radix_sort_onesweep_sort_config_static_selectorELNS0_4arch9wavefront6targetE1EEEvSG_
    .private_segment_fixed_size: 0
    .sgpr_count:     4
    .sgpr_spill_count: 0
    .symbol:         _ZN7rocprim17ROCPRIM_400000_NS6detail17trampoline_kernelINS0_14default_configENS1_35radix_sort_onesweep_config_selectorIslEEZZNS1_29radix_sort_onesweep_iterationIS3_Lb0EPsS7_N6thrust23THRUST_200600_302600_NS10device_ptrIlEESB_jNS0_19identity_decomposerENS1_16block_id_wrapperIjLb0EEEEE10hipError_tT1_PNSt15iterator_traitsISG_E10value_typeET2_T3_PNSH_ISM_E10value_typeET4_T5_PSR_SS_PNS1_23onesweep_lookback_stateEbbT6_jjT7_P12ihipStream_tbENKUlT_T0_SG_SL_E_clIS7_S7_SB_SB_EEDaSZ_S10_SG_SL_EUlSZ_E_NS1_11comp_targetILNS1_3genE8ELNS1_11target_archE1030ELNS1_3gpuE2ELNS1_3repE0EEENS1_47radix_sort_onesweep_sort_config_static_selectorELNS0_4arch9wavefront6targetE1EEEvSG_.kd
    .uniform_work_group_size: 1
    .uses_dynamic_stack: false
    .vgpr_count:     0
    .vgpr_spill_count: 0
    .wavefront_size: 64
  - .agpr_count:     0
    .args:
      - .offset:         0
        .size:           88
        .value_kind:     by_value
    .group_segment_fixed_size: 0
    .kernarg_segment_align: 8
    .kernarg_segment_size: 88
    .language:       OpenCL C
    .language_version:
      - 2
      - 0
    .max_flat_workgroup_size: 1024
    .name:           _ZN7rocprim17ROCPRIM_400000_NS6detail17trampoline_kernelINS0_14default_configENS1_35radix_sort_onesweep_config_selectorIslEEZZNS1_29radix_sort_onesweep_iterationIS3_Lb0EPsS7_N6thrust23THRUST_200600_302600_NS10device_ptrIlEESB_jNS0_19identity_decomposerENS1_16block_id_wrapperIjLb0EEEEE10hipError_tT1_PNSt15iterator_traitsISG_E10value_typeET2_T3_PNSH_ISM_E10value_typeET4_T5_PSR_SS_PNS1_23onesweep_lookback_stateEbbT6_jjT7_P12ihipStream_tbENKUlT_T0_SG_SL_E_clIS7_S7_SB_PlEEDaSZ_S10_SG_SL_EUlSZ_E_NS1_11comp_targetILNS1_3genE0ELNS1_11target_archE4294967295ELNS1_3gpuE0ELNS1_3repE0EEENS1_47radix_sort_onesweep_sort_config_static_selectorELNS0_4arch9wavefront6targetE1EEEvSG_
    .private_segment_fixed_size: 0
    .sgpr_count:     4
    .sgpr_spill_count: 0
    .symbol:         _ZN7rocprim17ROCPRIM_400000_NS6detail17trampoline_kernelINS0_14default_configENS1_35radix_sort_onesweep_config_selectorIslEEZZNS1_29radix_sort_onesweep_iterationIS3_Lb0EPsS7_N6thrust23THRUST_200600_302600_NS10device_ptrIlEESB_jNS0_19identity_decomposerENS1_16block_id_wrapperIjLb0EEEEE10hipError_tT1_PNSt15iterator_traitsISG_E10value_typeET2_T3_PNSH_ISM_E10value_typeET4_T5_PSR_SS_PNS1_23onesweep_lookback_stateEbbT6_jjT7_P12ihipStream_tbENKUlT_T0_SG_SL_E_clIS7_S7_SB_PlEEDaSZ_S10_SG_SL_EUlSZ_E_NS1_11comp_targetILNS1_3genE0ELNS1_11target_archE4294967295ELNS1_3gpuE0ELNS1_3repE0EEENS1_47radix_sort_onesweep_sort_config_static_selectorELNS0_4arch9wavefront6targetE1EEEvSG_.kd
    .uniform_work_group_size: 1
    .uses_dynamic_stack: false
    .vgpr_count:     0
    .vgpr_spill_count: 0
    .wavefront_size: 64
  - .agpr_count:     0
    .args:
      - .offset:         0
        .size:           88
        .value_kind:     by_value
    .group_segment_fixed_size: 0
    .kernarg_segment_align: 8
    .kernarg_segment_size: 88
    .language:       OpenCL C
    .language_version:
      - 2
      - 0
    .max_flat_workgroup_size: 1024
    .name:           _ZN7rocprim17ROCPRIM_400000_NS6detail17trampoline_kernelINS0_14default_configENS1_35radix_sort_onesweep_config_selectorIslEEZZNS1_29radix_sort_onesweep_iterationIS3_Lb0EPsS7_N6thrust23THRUST_200600_302600_NS10device_ptrIlEESB_jNS0_19identity_decomposerENS1_16block_id_wrapperIjLb0EEEEE10hipError_tT1_PNSt15iterator_traitsISG_E10value_typeET2_T3_PNSH_ISM_E10value_typeET4_T5_PSR_SS_PNS1_23onesweep_lookback_stateEbbT6_jjT7_P12ihipStream_tbENKUlT_T0_SG_SL_E_clIS7_S7_SB_PlEEDaSZ_S10_SG_SL_EUlSZ_E_NS1_11comp_targetILNS1_3genE6ELNS1_11target_archE950ELNS1_3gpuE13ELNS1_3repE0EEENS1_47radix_sort_onesweep_sort_config_static_selectorELNS0_4arch9wavefront6targetE1EEEvSG_
    .private_segment_fixed_size: 0
    .sgpr_count:     4
    .sgpr_spill_count: 0
    .symbol:         _ZN7rocprim17ROCPRIM_400000_NS6detail17trampoline_kernelINS0_14default_configENS1_35radix_sort_onesweep_config_selectorIslEEZZNS1_29radix_sort_onesweep_iterationIS3_Lb0EPsS7_N6thrust23THRUST_200600_302600_NS10device_ptrIlEESB_jNS0_19identity_decomposerENS1_16block_id_wrapperIjLb0EEEEE10hipError_tT1_PNSt15iterator_traitsISG_E10value_typeET2_T3_PNSH_ISM_E10value_typeET4_T5_PSR_SS_PNS1_23onesweep_lookback_stateEbbT6_jjT7_P12ihipStream_tbENKUlT_T0_SG_SL_E_clIS7_S7_SB_PlEEDaSZ_S10_SG_SL_EUlSZ_E_NS1_11comp_targetILNS1_3genE6ELNS1_11target_archE950ELNS1_3gpuE13ELNS1_3repE0EEENS1_47radix_sort_onesweep_sort_config_static_selectorELNS0_4arch9wavefront6targetE1EEEvSG_.kd
    .uniform_work_group_size: 1
    .uses_dynamic_stack: false
    .vgpr_count:     0
    .vgpr_spill_count: 0
    .wavefront_size: 64
  - .agpr_count:     0
    .args:
      - .offset:         0
        .size:           88
        .value_kind:     by_value
    .group_segment_fixed_size: 0
    .kernarg_segment_align: 8
    .kernarg_segment_size: 88
    .language:       OpenCL C
    .language_version:
      - 2
      - 0
    .max_flat_workgroup_size: 1024
    .name:           _ZN7rocprim17ROCPRIM_400000_NS6detail17trampoline_kernelINS0_14default_configENS1_35radix_sort_onesweep_config_selectorIslEEZZNS1_29radix_sort_onesweep_iterationIS3_Lb0EPsS7_N6thrust23THRUST_200600_302600_NS10device_ptrIlEESB_jNS0_19identity_decomposerENS1_16block_id_wrapperIjLb0EEEEE10hipError_tT1_PNSt15iterator_traitsISG_E10value_typeET2_T3_PNSH_ISM_E10value_typeET4_T5_PSR_SS_PNS1_23onesweep_lookback_stateEbbT6_jjT7_P12ihipStream_tbENKUlT_T0_SG_SL_E_clIS7_S7_SB_PlEEDaSZ_S10_SG_SL_EUlSZ_E_NS1_11comp_targetILNS1_3genE5ELNS1_11target_archE942ELNS1_3gpuE9ELNS1_3repE0EEENS1_47radix_sort_onesweep_sort_config_static_selectorELNS0_4arch9wavefront6targetE1EEEvSG_
    .private_segment_fixed_size: 0
    .sgpr_count:     4
    .sgpr_spill_count: 0
    .symbol:         _ZN7rocprim17ROCPRIM_400000_NS6detail17trampoline_kernelINS0_14default_configENS1_35radix_sort_onesweep_config_selectorIslEEZZNS1_29radix_sort_onesweep_iterationIS3_Lb0EPsS7_N6thrust23THRUST_200600_302600_NS10device_ptrIlEESB_jNS0_19identity_decomposerENS1_16block_id_wrapperIjLb0EEEEE10hipError_tT1_PNSt15iterator_traitsISG_E10value_typeET2_T3_PNSH_ISM_E10value_typeET4_T5_PSR_SS_PNS1_23onesweep_lookback_stateEbbT6_jjT7_P12ihipStream_tbENKUlT_T0_SG_SL_E_clIS7_S7_SB_PlEEDaSZ_S10_SG_SL_EUlSZ_E_NS1_11comp_targetILNS1_3genE5ELNS1_11target_archE942ELNS1_3gpuE9ELNS1_3repE0EEENS1_47radix_sort_onesweep_sort_config_static_selectorELNS0_4arch9wavefront6targetE1EEEvSG_.kd
    .uniform_work_group_size: 1
    .uses_dynamic_stack: false
    .vgpr_count:     0
    .vgpr_spill_count: 0
    .wavefront_size: 64
  - .agpr_count:     0
    .args:
      - .offset:         0
        .size:           88
        .value_kind:     by_value
    .group_segment_fixed_size: 0
    .kernarg_segment_align: 8
    .kernarg_segment_size: 88
    .language:       OpenCL C
    .language_version:
      - 2
      - 0
    .max_flat_workgroup_size: 512
    .name:           _ZN7rocprim17ROCPRIM_400000_NS6detail17trampoline_kernelINS0_14default_configENS1_35radix_sort_onesweep_config_selectorIslEEZZNS1_29radix_sort_onesweep_iterationIS3_Lb0EPsS7_N6thrust23THRUST_200600_302600_NS10device_ptrIlEESB_jNS0_19identity_decomposerENS1_16block_id_wrapperIjLb0EEEEE10hipError_tT1_PNSt15iterator_traitsISG_E10value_typeET2_T3_PNSH_ISM_E10value_typeET4_T5_PSR_SS_PNS1_23onesweep_lookback_stateEbbT6_jjT7_P12ihipStream_tbENKUlT_T0_SG_SL_E_clIS7_S7_SB_PlEEDaSZ_S10_SG_SL_EUlSZ_E_NS1_11comp_targetILNS1_3genE2ELNS1_11target_archE906ELNS1_3gpuE6ELNS1_3repE0EEENS1_47radix_sort_onesweep_sort_config_static_selectorELNS0_4arch9wavefront6targetE1EEEvSG_
    .private_segment_fixed_size: 0
    .sgpr_count:     4
    .sgpr_spill_count: 0
    .symbol:         _ZN7rocprim17ROCPRIM_400000_NS6detail17trampoline_kernelINS0_14default_configENS1_35radix_sort_onesweep_config_selectorIslEEZZNS1_29radix_sort_onesweep_iterationIS3_Lb0EPsS7_N6thrust23THRUST_200600_302600_NS10device_ptrIlEESB_jNS0_19identity_decomposerENS1_16block_id_wrapperIjLb0EEEEE10hipError_tT1_PNSt15iterator_traitsISG_E10value_typeET2_T3_PNSH_ISM_E10value_typeET4_T5_PSR_SS_PNS1_23onesweep_lookback_stateEbbT6_jjT7_P12ihipStream_tbENKUlT_T0_SG_SL_E_clIS7_S7_SB_PlEEDaSZ_S10_SG_SL_EUlSZ_E_NS1_11comp_targetILNS1_3genE2ELNS1_11target_archE906ELNS1_3gpuE6ELNS1_3repE0EEENS1_47radix_sort_onesweep_sort_config_static_selectorELNS0_4arch9wavefront6targetE1EEEvSG_.kd
    .uniform_work_group_size: 1
    .uses_dynamic_stack: false
    .vgpr_count:     0
    .vgpr_spill_count: 0
    .wavefront_size: 64
  - .agpr_count:     0
    .args:
      - .offset:         0
        .size:           88
        .value_kind:     by_value
      - .offset:         88
        .size:           4
        .value_kind:     hidden_block_count_x
      - .offset:         92
        .size:           4
        .value_kind:     hidden_block_count_y
      - .offset:         96
        .size:           4
        .value_kind:     hidden_block_count_z
      - .offset:         100
        .size:           2
        .value_kind:     hidden_group_size_x
      - .offset:         102
        .size:           2
        .value_kind:     hidden_group_size_y
      - .offset:         104
        .size:           2
        .value_kind:     hidden_group_size_z
      - .offset:         106
        .size:           2
        .value_kind:     hidden_remainder_x
      - .offset:         108
        .size:           2
        .value_kind:     hidden_remainder_y
      - .offset:         110
        .size:           2
        .value_kind:     hidden_remainder_z
      - .offset:         128
        .size:           8
        .value_kind:     hidden_global_offset_x
      - .offset:         136
        .size:           8
        .value_kind:     hidden_global_offset_y
      - .offset:         144
        .size:           8
        .value_kind:     hidden_global_offset_z
      - .offset:         152
        .size:           2
        .value_kind:     hidden_grid_dims
    .group_segment_fixed_size: 20552
    .kernarg_segment_align: 8
    .kernarg_segment_size: 344
    .language:       OpenCL C
    .language_version:
      - 2
      - 0
    .max_flat_workgroup_size: 1024
    .name:           _ZN7rocprim17ROCPRIM_400000_NS6detail17trampoline_kernelINS0_14default_configENS1_35radix_sort_onesweep_config_selectorIslEEZZNS1_29radix_sort_onesweep_iterationIS3_Lb0EPsS7_N6thrust23THRUST_200600_302600_NS10device_ptrIlEESB_jNS0_19identity_decomposerENS1_16block_id_wrapperIjLb0EEEEE10hipError_tT1_PNSt15iterator_traitsISG_E10value_typeET2_T3_PNSH_ISM_E10value_typeET4_T5_PSR_SS_PNS1_23onesweep_lookback_stateEbbT6_jjT7_P12ihipStream_tbENKUlT_T0_SG_SL_E_clIS7_S7_SB_PlEEDaSZ_S10_SG_SL_EUlSZ_E_NS1_11comp_targetILNS1_3genE4ELNS1_11target_archE910ELNS1_3gpuE8ELNS1_3repE0EEENS1_47radix_sort_onesweep_sort_config_static_selectorELNS0_4arch9wavefront6targetE1EEEvSG_
    .private_segment_fixed_size: 0
    .sgpr_count:     57
    .sgpr_spill_count: 0
    .symbol:         _ZN7rocprim17ROCPRIM_400000_NS6detail17trampoline_kernelINS0_14default_configENS1_35radix_sort_onesweep_config_selectorIslEEZZNS1_29radix_sort_onesweep_iterationIS3_Lb0EPsS7_N6thrust23THRUST_200600_302600_NS10device_ptrIlEESB_jNS0_19identity_decomposerENS1_16block_id_wrapperIjLb0EEEEE10hipError_tT1_PNSt15iterator_traitsISG_E10value_typeET2_T3_PNSH_ISM_E10value_typeET4_T5_PSR_SS_PNS1_23onesweep_lookback_stateEbbT6_jjT7_P12ihipStream_tbENKUlT_T0_SG_SL_E_clIS7_S7_SB_PlEEDaSZ_S10_SG_SL_EUlSZ_E_NS1_11comp_targetILNS1_3genE4ELNS1_11target_archE910ELNS1_3gpuE8ELNS1_3repE0EEENS1_47radix_sort_onesweep_sort_config_static_selectorELNS0_4arch9wavefront6targetE1EEEvSG_.kd
    .uniform_work_group_size: 1
    .uses_dynamic_stack: false
    .vgpr_count:     55
    .vgpr_spill_count: 0
    .wavefront_size: 64
  - .agpr_count:     0
    .args:
      - .offset:         0
        .size:           88
        .value_kind:     by_value
    .group_segment_fixed_size: 0
    .kernarg_segment_align: 8
    .kernarg_segment_size: 88
    .language:       OpenCL C
    .language_version:
      - 2
      - 0
    .max_flat_workgroup_size: 1024
    .name:           _ZN7rocprim17ROCPRIM_400000_NS6detail17trampoline_kernelINS0_14default_configENS1_35radix_sort_onesweep_config_selectorIslEEZZNS1_29radix_sort_onesweep_iterationIS3_Lb0EPsS7_N6thrust23THRUST_200600_302600_NS10device_ptrIlEESB_jNS0_19identity_decomposerENS1_16block_id_wrapperIjLb0EEEEE10hipError_tT1_PNSt15iterator_traitsISG_E10value_typeET2_T3_PNSH_ISM_E10value_typeET4_T5_PSR_SS_PNS1_23onesweep_lookback_stateEbbT6_jjT7_P12ihipStream_tbENKUlT_T0_SG_SL_E_clIS7_S7_SB_PlEEDaSZ_S10_SG_SL_EUlSZ_E_NS1_11comp_targetILNS1_3genE3ELNS1_11target_archE908ELNS1_3gpuE7ELNS1_3repE0EEENS1_47radix_sort_onesweep_sort_config_static_selectorELNS0_4arch9wavefront6targetE1EEEvSG_
    .private_segment_fixed_size: 0
    .sgpr_count:     4
    .sgpr_spill_count: 0
    .symbol:         _ZN7rocprim17ROCPRIM_400000_NS6detail17trampoline_kernelINS0_14default_configENS1_35radix_sort_onesweep_config_selectorIslEEZZNS1_29radix_sort_onesweep_iterationIS3_Lb0EPsS7_N6thrust23THRUST_200600_302600_NS10device_ptrIlEESB_jNS0_19identity_decomposerENS1_16block_id_wrapperIjLb0EEEEE10hipError_tT1_PNSt15iterator_traitsISG_E10value_typeET2_T3_PNSH_ISM_E10value_typeET4_T5_PSR_SS_PNS1_23onesweep_lookback_stateEbbT6_jjT7_P12ihipStream_tbENKUlT_T0_SG_SL_E_clIS7_S7_SB_PlEEDaSZ_S10_SG_SL_EUlSZ_E_NS1_11comp_targetILNS1_3genE3ELNS1_11target_archE908ELNS1_3gpuE7ELNS1_3repE0EEENS1_47radix_sort_onesweep_sort_config_static_selectorELNS0_4arch9wavefront6targetE1EEEvSG_.kd
    .uniform_work_group_size: 1
    .uses_dynamic_stack: false
    .vgpr_count:     0
    .vgpr_spill_count: 0
    .wavefront_size: 64
  - .agpr_count:     0
    .args:
      - .offset:         0
        .size:           88
        .value_kind:     by_value
    .group_segment_fixed_size: 0
    .kernarg_segment_align: 8
    .kernarg_segment_size: 88
    .language:       OpenCL C
    .language_version:
      - 2
      - 0
    .max_flat_workgroup_size: 1024
    .name:           _ZN7rocprim17ROCPRIM_400000_NS6detail17trampoline_kernelINS0_14default_configENS1_35radix_sort_onesweep_config_selectorIslEEZZNS1_29radix_sort_onesweep_iterationIS3_Lb0EPsS7_N6thrust23THRUST_200600_302600_NS10device_ptrIlEESB_jNS0_19identity_decomposerENS1_16block_id_wrapperIjLb0EEEEE10hipError_tT1_PNSt15iterator_traitsISG_E10value_typeET2_T3_PNSH_ISM_E10value_typeET4_T5_PSR_SS_PNS1_23onesweep_lookback_stateEbbT6_jjT7_P12ihipStream_tbENKUlT_T0_SG_SL_E_clIS7_S7_SB_PlEEDaSZ_S10_SG_SL_EUlSZ_E_NS1_11comp_targetILNS1_3genE10ELNS1_11target_archE1201ELNS1_3gpuE5ELNS1_3repE0EEENS1_47radix_sort_onesweep_sort_config_static_selectorELNS0_4arch9wavefront6targetE1EEEvSG_
    .private_segment_fixed_size: 0
    .sgpr_count:     4
    .sgpr_spill_count: 0
    .symbol:         _ZN7rocprim17ROCPRIM_400000_NS6detail17trampoline_kernelINS0_14default_configENS1_35radix_sort_onesweep_config_selectorIslEEZZNS1_29radix_sort_onesweep_iterationIS3_Lb0EPsS7_N6thrust23THRUST_200600_302600_NS10device_ptrIlEESB_jNS0_19identity_decomposerENS1_16block_id_wrapperIjLb0EEEEE10hipError_tT1_PNSt15iterator_traitsISG_E10value_typeET2_T3_PNSH_ISM_E10value_typeET4_T5_PSR_SS_PNS1_23onesweep_lookback_stateEbbT6_jjT7_P12ihipStream_tbENKUlT_T0_SG_SL_E_clIS7_S7_SB_PlEEDaSZ_S10_SG_SL_EUlSZ_E_NS1_11comp_targetILNS1_3genE10ELNS1_11target_archE1201ELNS1_3gpuE5ELNS1_3repE0EEENS1_47radix_sort_onesweep_sort_config_static_selectorELNS0_4arch9wavefront6targetE1EEEvSG_.kd
    .uniform_work_group_size: 1
    .uses_dynamic_stack: false
    .vgpr_count:     0
    .vgpr_spill_count: 0
    .wavefront_size: 64
  - .agpr_count:     0
    .args:
      - .offset:         0
        .size:           88
        .value_kind:     by_value
    .group_segment_fixed_size: 0
    .kernarg_segment_align: 8
    .kernarg_segment_size: 88
    .language:       OpenCL C
    .language_version:
      - 2
      - 0
    .max_flat_workgroup_size: 1024
    .name:           _ZN7rocprim17ROCPRIM_400000_NS6detail17trampoline_kernelINS0_14default_configENS1_35radix_sort_onesweep_config_selectorIslEEZZNS1_29radix_sort_onesweep_iterationIS3_Lb0EPsS7_N6thrust23THRUST_200600_302600_NS10device_ptrIlEESB_jNS0_19identity_decomposerENS1_16block_id_wrapperIjLb0EEEEE10hipError_tT1_PNSt15iterator_traitsISG_E10value_typeET2_T3_PNSH_ISM_E10value_typeET4_T5_PSR_SS_PNS1_23onesweep_lookback_stateEbbT6_jjT7_P12ihipStream_tbENKUlT_T0_SG_SL_E_clIS7_S7_SB_PlEEDaSZ_S10_SG_SL_EUlSZ_E_NS1_11comp_targetILNS1_3genE9ELNS1_11target_archE1100ELNS1_3gpuE3ELNS1_3repE0EEENS1_47radix_sort_onesweep_sort_config_static_selectorELNS0_4arch9wavefront6targetE1EEEvSG_
    .private_segment_fixed_size: 0
    .sgpr_count:     4
    .sgpr_spill_count: 0
    .symbol:         _ZN7rocprim17ROCPRIM_400000_NS6detail17trampoline_kernelINS0_14default_configENS1_35radix_sort_onesweep_config_selectorIslEEZZNS1_29radix_sort_onesweep_iterationIS3_Lb0EPsS7_N6thrust23THRUST_200600_302600_NS10device_ptrIlEESB_jNS0_19identity_decomposerENS1_16block_id_wrapperIjLb0EEEEE10hipError_tT1_PNSt15iterator_traitsISG_E10value_typeET2_T3_PNSH_ISM_E10value_typeET4_T5_PSR_SS_PNS1_23onesweep_lookback_stateEbbT6_jjT7_P12ihipStream_tbENKUlT_T0_SG_SL_E_clIS7_S7_SB_PlEEDaSZ_S10_SG_SL_EUlSZ_E_NS1_11comp_targetILNS1_3genE9ELNS1_11target_archE1100ELNS1_3gpuE3ELNS1_3repE0EEENS1_47radix_sort_onesweep_sort_config_static_selectorELNS0_4arch9wavefront6targetE1EEEvSG_.kd
    .uniform_work_group_size: 1
    .uses_dynamic_stack: false
    .vgpr_count:     0
    .vgpr_spill_count: 0
    .wavefront_size: 64
  - .agpr_count:     0
    .args:
      - .offset:         0
        .size:           88
        .value_kind:     by_value
    .group_segment_fixed_size: 0
    .kernarg_segment_align: 8
    .kernarg_segment_size: 88
    .language:       OpenCL C
    .language_version:
      - 2
      - 0
    .max_flat_workgroup_size: 1024
    .name:           _ZN7rocprim17ROCPRIM_400000_NS6detail17trampoline_kernelINS0_14default_configENS1_35radix_sort_onesweep_config_selectorIslEEZZNS1_29radix_sort_onesweep_iterationIS3_Lb0EPsS7_N6thrust23THRUST_200600_302600_NS10device_ptrIlEESB_jNS0_19identity_decomposerENS1_16block_id_wrapperIjLb0EEEEE10hipError_tT1_PNSt15iterator_traitsISG_E10value_typeET2_T3_PNSH_ISM_E10value_typeET4_T5_PSR_SS_PNS1_23onesweep_lookback_stateEbbT6_jjT7_P12ihipStream_tbENKUlT_T0_SG_SL_E_clIS7_S7_SB_PlEEDaSZ_S10_SG_SL_EUlSZ_E_NS1_11comp_targetILNS1_3genE8ELNS1_11target_archE1030ELNS1_3gpuE2ELNS1_3repE0EEENS1_47radix_sort_onesweep_sort_config_static_selectorELNS0_4arch9wavefront6targetE1EEEvSG_
    .private_segment_fixed_size: 0
    .sgpr_count:     4
    .sgpr_spill_count: 0
    .symbol:         _ZN7rocprim17ROCPRIM_400000_NS6detail17trampoline_kernelINS0_14default_configENS1_35radix_sort_onesweep_config_selectorIslEEZZNS1_29radix_sort_onesweep_iterationIS3_Lb0EPsS7_N6thrust23THRUST_200600_302600_NS10device_ptrIlEESB_jNS0_19identity_decomposerENS1_16block_id_wrapperIjLb0EEEEE10hipError_tT1_PNSt15iterator_traitsISG_E10value_typeET2_T3_PNSH_ISM_E10value_typeET4_T5_PSR_SS_PNS1_23onesweep_lookback_stateEbbT6_jjT7_P12ihipStream_tbENKUlT_T0_SG_SL_E_clIS7_S7_SB_PlEEDaSZ_S10_SG_SL_EUlSZ_E_NS1_11comp_targetILNS1_3genE8ELNS1_11target_archE1030ELNS1_3gpuE2ELNS1_3repE0EEENS1_47radix_sort_onesweep_sort_config_static_selectorELNS0_4arch9wavefront6targetE1EEEvSG_.kd
    .uniform_work_group_size: 1
    .uses_dynamic_stack: false
    .vgpr_count:     0
    .vgpr_spill_count: 0
    .wavefront_size: 64
  - .agpr_count:     0
    .args:
      - .offset:         0
        .size:           88
        .value_kind:     by_value
    .group_segment_fixed_size: 0
    .kernarg_segment_align: 8
    .kernarg_segment_size: 88
    .language:       OpenCL C
    .language_version:
      - 2
      - 0
    .max_flat_workgroup_size: 1024
    .name:           _ZN7rocprim17ROCPRIM_400000_NS6detail17trampoline_kernelINS0_14default_configENS1_35radix_sort_onesweep_config_selectorIslEEZZNS1_29radix_sort_onesweep_iterationIS3_Lb0EPsS7_N6thrust23THRUST_200600_302600_NS10device_ptrIlEESB_jNS0_19identity_decomposerENS1_16block_id_wrapperIjLb0EEEEE10hipError_tT1_PNSt15iterator_traitsISG_E10value_typeET2_T3_PNSH_ISM_E10value_typeET4_T5_PSR_SS_PNS1_23onesweep_lookback_stateEbbT6_jjT7_P12ihipStream_tbENKUlT_T0_SG_SL_E_clIS7_S7_PlSB_EEDaSZ_S10_SG_SL_EUlSZ_E_NS1_11comp_targetILNS1_3genE0ELNS1_11target_archE4294967295ELNS1_3gpuE0ELNS1_3repE0EEENS1_47radix_sort_onesweep_sort_config_static_selectorELNS0_4arch9wavefront6targetE1EEEvSG_
    .private_segment_fixed_size: 0
    .sgpr_count:     4
    .sgpr_spill_count: 0
    .symbol:         _ZN7rocprim17ROCPRIM_400000_NS6detail17trampoline_kernelINS0_14default_configENS1_35radix_sort_onesweep_config_selectorIslEEZZNS1_29radix_sort_onesweep_iterationIS3_Lb0EPsS7_N6thrust23THRUST_200600_302600_NS10device_ptrIlEESB_jNS0_19identity_decomposerENS1_16block_id_wrapperIjLb0EEEEE10hipError_tT1_PNSt15iterator_traitsISG_E10value_typeET2_T3_PNSH_ISM_E10value_typeET4_T5_PSR_SS_PNS1_23onesweep_lookback_stateEbbT6_jjT7_P12ihipStream_tbENKUlT_T0_SG_SL_E_clIS7_S7_PlSB_EEDaSZ_S10_SG_SL_EUlSZ_E_NS1_11comp_targetILNS1_3genE0ELNS1_11target_archE4294967295ELNS1_3gpuE0ELNS1_3repE0EEENS1_47radix_sort_onesweep_sort_config_static_selectorELNS0_4arch9wavefront6targetE1EEEvSG_.kd
    .uniform_work_group_size: 1
    .uses_dynamic_stack: false
    .vgpr_count:     0
    .vgpr_spill_count: 0
    .wavefront_size: 64
  - .agpr_count:     0
    .args:
      - .offset:         0
        .size:           88
        .value_kind:     by_value
    .group_segment_fixed_size: 0
    .kernarg_segment_align: 8
    .kernarg_segment_size: 88
    .language:       OpenCL C
    .language_version:
      - 2
      - 0
    .max_flat_workgroup_size: 1024
    .name:           _ZN7rocprim17ROCPRIM_400000_NS6detail17trampoline_kernelINS0_14default_configENS1_35radix_sort_onesweep_config_selectorIslEEZZNS1_29radix_sort_onesweep_iterationIS3_Lb0EPsS7_N6thrust23THRUST_200600_302600_NS10device_ptrIlEESB_jNS0_19identity_decomposerENS1_16block_id_wrapperIjLb0EEEEE10hipError_tT1_PNSt15iterator_traitsISG_E10value_typeET2_T3_PNSH_ISM_E10value_typeET4_T5_PSR_SS_PNS1_23onesweep_lookback_stateEbbT6_jjT7_P12ihipStream_tbENKUlT_T0_SG_SL_E_clIS7_S7_PlSB_EEDaSZ_S10_SG_SL_EUlSZ_E_NS1_11comp_targetILNS1_3genE6ELNS1_11target_archE950ELNS1_3gpuE13ELNS1_3repE0EEENS1_47radix_sort_onesweep_sort_config_static_selectorELNS0_4arch9wavefront6targetE1EEEvSG_
    .private_segment_fixed_size: 0
    .sgpr_count:     4
    .sgpr_spill_count: 0
    .symbol:         _ZN7rocprim17ROCPRIM_400000_NS6detail17trampoline_kernelINS0_14default_configENS1_35radix_sort_onesweep_config_selectorIslEEZZNS1_29radix_sort_onesweep_iterationIS3_Lb0EPsS7_N6thrust23THRUST_200600_302600_NS10device_ptrIlEESB_jNS0_19identity_decomposerENS1_16block_id_wrapperIjLb0EEEEE10hipError_tT1_PNSt15iterator_traitsISG_E10value_typeET2_T3_PNSH_ISM_E10value_typeET4_T5_PSR_SS_PNS1_23onesweep_lookback_stateEbbT6_jjT7_P12ihipStream_tbENKUlT_T0_SG_SL_E_clIS7_S7_PlSB_EEDaSZ_S10_SG_SL_EUlSZ_E_NS1_11comp_targetILNS1_3genE6ELNS1_11target_archE950ELNS1_3gpuE13ELNS1_3repE0EEENS1_47radix_sort_onesweep_sort_config_static_selectorELNS0_4arch9wavefront6targetE1EEEvSG_.kd
    .uniform_work_group_size: 1
    .uses_dynamic_stack: false
    .vgpr_count:     0
    .vgpr_spill_count: 0
    .wavefront_size: 64
  - .agpr_count:     0
    .args:
      - .offset:         0
        .size:           88
        .value_kind:     by_value
    .group_segment_fixed_size: 0
    .kernarg_segment_align: 8
    .kernarg_segment_size: 88
    .language:       OpenCL C
    .language_version:
      - 2
      - 0
    .max_flat_workgroup_size: 1024
    .name:           _ZN7rocprim17ROCPRIM_400000_NS6detail17trampoline_kernelINS0_14default_configENS1_35radix_sort_onesweep_config_selectorIslEEZZNS1_29radix_sort_onesweep_iterationIS3_Lb0EPsS7_N6thrust23THRUST_200600_302600_NS10device_ptrIlEESB_jNS0_19identity_decomposerENS1_16block_id_wrapperIjLb0EEEEE10hipError_tT1_PNSt15iterator_traitsISG_E10value_typeET2_T3_PNSH_ISM_E10value_typeET4_T5_PSR_SS_PNS1_23onesweep_lookback_stateEbbT6_jjT7_P12ihipStream_tbENKUlT_T0_SG_SL_E_clIS7_S7_PlSB_EEDaSZ_S10_SG_SL_EUlSZ_E_NS1_11comp_targetILNS1_3genE5ELNS1_11target_archE942ELNS1_3gpuE9ELNS1_3repE0EEENS1_47radix_sort_onesweep_sort_config_static_selectorELNS0_4arch9wavefront6targetE1EEEvSG_
    .private_segment_fixed_size: 0
    .sgpr_count:     4
    .sgpr_spill_count: 0
    .symbol:         _ZN7rocprim17ROCPRIM_400000_NS6detail17trampoline_kernelINS0_14default_configENS1_35radix_sort_onesweep_config_selectorIslEEZZNS1_29radix_sort_onesweep_iterationIS3_Lb0EPsS7_N6thrust23THRUST_200600_302600_NS10device_ptrIlEESB_jNS0_19identity_decomposerENS1_16block_id_wrapperIjLb0EEEEE10hipError_tT1_PNSt15iterator_traitsISG_E10value_typeET2_T3_PNSH_ISM_E10value_typeET4_T5_PSR_SS_PNS1_23onesweep_lookback_stateEbbT6_jjT7_P12ihipStream_tbENKUlT_T0_SG_SL_E_clIS7_S7_PlSB_EEDaSZ_S10_SG_SL_EUlSZ_E_NS1_11comp_targetILNS1_3genE5ELNS1_11target_archE942ELNS1_3gpuE9ELNS1_3repE0EEENS1_47radix_sort_onesweep_sort_config_static_selectorELNS0_4arch9wavefront6targetE1EEEvSG_.kd
    .uniform_work_group_size: 1
    .uses_dynamic_stack: false
    .vgpr_count:     0
    .vgpr_spill_count: 0
    .wavefront_size: 64
  - .agpr_count:     0
    .args:
      - .offset:         0
        .size:           88
        .value_kind:     by_value
    .group_segment_fixed_size: 0
    .kernarg_segment_align: 8
    .kernarg_segment_size: 88
    .language:       OpenCL C
    .language_version:
      - 2
      - 0
    .max_flat_workgroup_size: 512
    .name:           _ZN7rocprim17ROCPRIM_400000_NS6detail17trampoline_kernelINS0_14default_configENS1_35radix_sort_onesweep_config_selectorIslEEZZNS1_29radix_sort_onesweep_iterationIS3_Lb0EPsS7_N6thrust23THRUST_200600_302600_NS10device_ptrIlEESB_jNS0_19identity_decomposerENS1_16block_id_wrapperIjLb0EEEEE10hipError_tT1_PNSt15iterator_traitsISG_E10value_typeET2_T3_PNSH_ISM_E10value_typeET4_T5_PSR_SS_PNS1_23onesweep_lookback_stateEbbT6_jjT7_P12ihipStream_tbENKUlT_T0_SG_SL_E_clIS7_S7_PlSB_EEDaSZ_S10_SG_SL_EUlSZ_E_NS1_11comp_targetILNS1_3genE2ELNS1_11target_archE906ELNS1_3gpuE6ELNS1_3repE0EEENS1_47radix_sort_onesweep_sort_config_static_selectorELNS0_4arch9wavefront6targetE1EEEvSG_
    .private_segment_fixed_size: 0
    .sgpr_count:     4
    .sgpr_spill_count: 0
    .symbol:         _ZN7rocprim17ROCPRIM_400000_NS6detail17trampoline_kernelINS0_14default_configENS1_35radix_sort_onesweep_config_selectorIslEEZZNS1_29radix_sort_onesweep_iterationIS3_Lb0EPsS7_N6thrust23THRUST_200600_302600_NS10device_ptrIlEESB_jNS0_19identity_decomposerENS1_16block_id_wrapperIjLb0EEEEE10hipError_tT1_PNSt15iterator_traitsISG_E10value_typeET2_T3_PNSH_ISM_E10value_typeET4_T5_PSR_SS_PNS1_23onesweep_lookback_stateEbbT6_jjT7_P12ihipStream_tbENKUlT_T0_SG_SL_E_clIS7_S7_PlSB_EEDaSZ_S10_SG_SL_EUlSZ_E_NS1_11comp_targetILNS1_3genE2ELNS1_11target_archE906ELNS1_3gpuE6ELNS1_3repE0EEENS1_47radix_sort_onesweep_sort_config_static_selectorELNS0_4arch9wavefront6targetE1EEEvSG_.kd
    .uniform_work_group_size: 1
    .uses_dynamic_stack: false
    .vgpr_count:     0
    .vgpr_spill_count: 0
    .wavefront_size: 64
  - .agpr_count:     0
    .args:
      - .offset:         0
        .size:           88
        .value_kind:     by_value
      - .offset:         88
        .size:           4
        .value_kind:     hidden_block_count_x
      - .offset:         92
        .size:           4
        .value_kind:     hidden_block_count_y
      - .offset:         96
        .size:           4
        .value_kind:     hidden_block_count_z
      - .offset:         100
        .size:           2
        .value_kind:     hidden_group_size_x
      - .offset:         102
        .size:           2
        .value_kind:     hidden_group_size_y
      - .offset:         104
        .size:           2
        .value_kind:     hidden_group_size_z
      - .offset:         106
        .size:           2
        .value_kind:     hidden_remainder_x
      - .offset:         108
        .size:           2
        .value_kind:     hidden_remainder_y
      - .offset:         110
        .size:           2
        .value_kind:     hidden_remainder_z
      - .offset:         128
        .size:           8
        .value_kind:     hidden_global_offset_x
      - .offset:         136
        .size:           8
        .value_kind:     hidden_global_offset_y
      - .offset:         144
        .size:           8
        .value_kind:     hidden_global_offset_z
      - .offset:         152
        .size:           2
        .value_kind:     hidden_grid_dims
    .group_segment_fixed_size: 20552
    .kernarg_segment_align: 8
    .kernarg_segment_size: 344
    .language:       OpenCL C
    .language_version:
      - 2
      - 0
    .max_flat_workgroup_size: 1024
    .name:           _ZN7rocprim17ROCPRIM_400000_NS6detail17trampoline_kernelINS0_14default_configENS1_35radix_sort_onesweep_config_selectorIslEEZZNS1_29radix_sort_onesweep_iterationIS3_Lb0EPsS7_N6thrust23THRUST_200600_302600_NS10device_ptrIlEESB_jNS0_19identity_decomposerENS1_16block_id_wrapperIjLb0EEEEE10hipError_tT1_PNSt15iterator_traitsISG_E10value_typeET2_T3_PNSH_ISM_E10value_typeET4_T5_PSR_SS_PNS1_23onesweep_lookback_stateEbbT6_jjT7_P12ihipStream_tbENKUlT_T0_SG_SL_E_clIS7_S7_PlSB_EEDaSZ_S10_SG_SL_EUlSZ_E_NS1_11comp_targetILNS1_3genE4ELNS1_11target_archE910ELNS1_3gpuE8ELNS1_3repE0EEENS1_47radix_sort_onesweep_sort_config_static_selectorELNS0_4arch9wavefront6targetE1EEEvSG_
    .private_segment_fixed_size: 0
    .sgpr_count:     57
    .sgpr_spill_count: 0
    .symbol:         _ZN7rocprim17ROCPRIM_400000_NS6detail17trampoline_kernelINS0_14default_configENS1_35radix_sort_onesweep_config_selectorIslEEZZNS1_29radix_sort_onesweep_iterationIS3_Lb0EPsS7_N6thrust23THRUST_200600_302600_NS10device_ptrIlEESB_jNS0_19identity_decomposerENS1_16block_id_wrapperIjLb0EEEEE10hipError_tT1_PNSt15iterator_traitsISG_E10value_typeET2_T3_PNSH_ISM_E10value_typeET4_T5_PSR_SS_PNS1_23onesweep_lookback_stateEbbT6_jjT7_P12ihipStream_tbENKUlT_T0_SG_SL_E_clIS7_S7_PlSB_EEDaSZ_S10_SG_SL_EUlSZ_E_NS1_11comp_targetILNS1_3genE4ELNS1_11target_archE910ELNS1_3gpuE8ELNS1_3repE0EEENS1_47radix_sort_onesweep_sort_config_static_selectorELNS0_4arch9wavefront6targetE1EEEvSG_.kd
    .uniform_work_group_size: 1
    .uses_dynamic_stack: false
    .vgpr_count:     55
    .vgpr_spill_count: 0
    .wavefront_size: 64
  - .agpr_count:     0
    .args:
      - .offset:         0
        .size:           88
        .value_kind:     by_value
    .group_segment_fixed_size: 0
    .kernarg_segment_align: 8
    .kernarg_segment_size: 88
    .language:       OpenCL C
    .language_version:
      - 2
      - 0
    .max_flat_workgroup_size: 1024
    .name:           _ZN7rocprim17ROCPRIM_400000_NS6detail17trampoline_kernelINS0_14default_configENS1_35radix_sort_onesweep_config_selectorIslEEZZNS1_29radix_sort_onesweep_iterationIS3_Lb0EPsS7_N6thrust23THRUST_200600_302600_NS10device_ptrIlEESB_jNS0_19identity_decomposerENS1_16block_id_wrapperIjLb0EEEEE10hipError_tT1_PNSt15iterator_traitsISG_E10value_typeET2_T3_PNSH_ISM_E10value_typeET4_T5_PSR_SS_PNS1_23onesweep_lookback_stateEbbT6_jjT7_P12ihipStream_tbENKUlT_T0_SG_SL_E_clIS7_S7_PlSB_EEDaSZ_S10_SG_SL_EUlSZ_E_NS1_11comp_targetILNS1_3genE3ELNS1_11target_archE908ELNS1_3gpuE7ELNS1_3repE0EEENS1_47radix_sort_onesweep_sort_config_static_selectorELNS0_4arch9wavefront6targetE1EEEvSG_
    .private_segment_fixed_size: 0
    .sgpr_count:     4
    .sgpr_spill_count: 0
    .symbol:         _ZN7rocprim17ROCPRIM_400000_NS6detail17trampoline_kernelINS0_14default_configENS1_35radix_sort_onesweep_config_selectorIslEEZZNS1_29radix_sort_onesweep_iterationIS3_Lb0EPsS7_N6thrust23THRUST_200600_302600_NS10device_ptrIlEESB_jNS0_19identity_decomposerENS1_16block_id_wrapperIjLb0EEEEE10hipError_tT1_PNSt15iterator_traitsISG_E10value_typeET2_T3_PNSH_ISM_E10value_typeET4_T5_PSR_SS_PNS1_23onesweep_lookback_stateEbbT6_jjT7_P12ihipStream_tbENKUlT_T0_SG_SL_E_clIS7_S7_PlSB_EEDaSZ_S10_SG_SL_EUlSZ_E_NS1_11comp_targetILNS1_3genE3ELNS1_11target_archE908ELNS1_3gpuE7ELNS1_3repE0EEENS1_47radix_sort_onesweep_sort_config_static_selectorELNS0_4arch9wavefront6targetE1EEEvSG_.kd
    .uniform_work_group_size: 1
    .uses_dynamic_stack: false
    .vgpr_count:     0
    .vgpr_spill_count: 0
    .wavefront_size: 64
  - .agpr_count:     0
    .args:
      - .offset:         0
        .size:           88
        .value_kind:     by_value
    .group_segment_fixed_size: 0
    .kernarg_segment_align: 8
    .kernarg_segment_size: 88
    .language:       OpenCL C
    .language_version:
      - 2
      - 0
    .max_flat_workgroup_size: 1024
    .name:           _ZN7rocprim17ROCPRIM_400000_NS6detail17trampoline_kernelINS0_14default_configENS1_35radix_sort_onesweep_config_selectorIslEEZZNS1_29radix_sort_onesweep_iterationIS3_Lb0EPsS7_N6thrust23THRUST_200600_302600_NS10device_ptrIlEESB_jNS0_19identity_decomposerENS1_16block_id_wrapperIjLb0EEEEE10hipError_tT1_PNSt15iterator_traitsISG_E10value_typeET2_T3_PNSH_ISM_E10value_typeET4_T5_PSR_SS_PNS1_23onesweep_lookback_stateEbbT6_jjT7_P12ihipStream_tbENKUlT_T0_SG_SL_E_clIS7_S7_PlSB_EEDaSZ_S10_SG_SL_EUlSZ_E_NS1_11comp_targetILNS1_3genE10ELNS1_11target_archE1201ELNS1_3gpuE5ELNS1_3repE0EEENS1_47radix_sort_onesweep_sort_config_static_selectorELNS0_4arch9wavefront6targetE1EEEvSG_
    .private_segment_fixed_size: 0
    .sgpr_count:     4
    .sgpr_spill_count: 0
    .symbol:         _ZN7rocprim17ROCPRIM_400000_NS6detail17trampoline_kernelINS0_14default_configENS1_35radix_sort_onesweep_config_selectorIslEEZZNS1_29radix_sort_onesweep_iterationIS3_Lb0EPsS7_N6thrust23THRUST_200600_302600_NS10device_ptrIlEESB_jNS0_19identity_decomposerENS1_16block_id_wrapperIjLb0EEEEE10hipError_tT1_PNSt15iterator_traitsISG_E10value_typeET2_T3_PNSH_ISM_E10value_typeET4_T5_PSR_SS_PNS1_23onesweep_lookback_stateEbbT6_jjT7_P12ihipStream_tbENKUlT_T0_SG_SL_E_clIS7_S7_PlSB_EEDaSZ_S10_SG_SL_EUlSZ_E_NS1_11comp_targetILNS1_3genE10ELNS1_11target_archE1201ELNS1_3gpuE5ELNS1_3repE0EEENS1_47radix_sort_onesweep_sort_config_static_selectorELNS0_4arch9wavefront6targetE1EEEvSG_.kd
    .uniform_work_group_size: 1
    .uses_dynamic_stack: false
    .vgpr_count:     0
    .vgpr_spill_count: 0
    .wavefront_size: 64
  - .agpr_count:     0
    .args:
      - .offset:         0
        .size:           88
        .value_kind:     by_value
    .group_segment_fixed_size: 0
    .kernarg_segment_align: 8
    .kernarg_segment_size: 88
    .language:       OpenCL C
    .language_version:
      - 2
      - 0
    .max_flat_workgroup_size: 1024
    .name:           _ZN7rocprim17ROCPRIM_400000_NS6detail17trampoline_kernelINS0_14default_configENS1_35radix_sort_onesweep_config_selectorIslEEZZNS1_29radix_sort_onesweep_iterationIS3_Lb0EPsS7_N6thrust23THRUST_200600_302600_NS10device_ptrIlEESB_jNS0_19identity_decomposerENS1_16block_id_wrapperIjLb0EEEEE10hipError_tT1_PNSt15iterator_traitsISG_E10value_typeET2_T3_PNSH_ISM_E10value_typeET4_T5_PSR_SS_PNS1_23onesweep_lookback_stateEbbT6_jjT7_P12ihipStream_tbENKUlT_T0_SG_SL_E_clIS7_S7_PlSB_EEDaSZ_S10_SG_SL_EUlSZ_E_NS1_11comp_targetILNS1_3genE9ELNS1_11target_archE1100ELNS1_3gpuE3ELNS1_3repE0EEENS1_47radix_sort_onesweep_sort_config_static_selectorELNS0_4arch9wavefront6targetE1EEEvSG_
    .private_segment_fixed_size: 0
    .sgpr_count:     4
    .sgpr_spill_count: 0
    .symbol:         _ZN7rocprim17ROCPRIM_400000_NS6detail17trampoline_kernelINS0_14default_configENS1_35radix_sort_onesweep_config_selectorIslEEZZNS1_29radix_sort_onesweep_iterationIS3_Lb0EPsS7_N6thrust23THRUST_200600_302600_NS10device_ptrIlEESB_jNS0_19identity_decomposerENS1_16block_id_wrapperIjLb0EEEEE10hipError_tT1_PNSt15iterator_traitsISG_E10value_typeET2_T3_PNSH_ISM_E10value_typeET4_T5_PSR_SS_PNS1_23onesweep_lookback_stateEbbT6_jjT7_P12ihipStream_tbENKUlT_T0_SG_SL_E_clIS7_S7_PlSB_EEDaSZ_S10_SG_SL_EUlSZ_E_NS1_11comp_targetILNS1_3genE9ELNS1_11target_archE1100ELNS1_3gpuE3ELNS1_3repE0EEENS1_47radix_sort_onesweep_sort_config_static_selectorELNS0_4arch9wavefront6targetE1EEEvSG_.kd
    .uniform_work_group_size: 1
    .uses_dynamic_stack: false
    .vgpr_count:     0
    .vgpr_spill_count: 0
    .wavefront_size: 64
  - .agpr_count:     0
    .args:
      - .offset:         0
        .size:           88
        .value_kind:     by_value
    .group_segment_fixed_size: 0
    .kernarg_segment_align: 8
    .kernarg_segment_size: 88
    .language:       OpenCL C
    .language_version:
      - 2
      - 0
    .max_flat_workgroup_size: 1024
    .name:           _ZN7rocprim17ROCPRIM_400000_NS6detail17trampoline_kernelINS0_14default_configENS1_35radix_sort_onesweep_config_selectorIslEEZZNS1_29radix_sort_onesweep_iterationIS3_Lb0EPsS7_N6thrust23THRUST_200600_302600_NS10device_ptrIlEESB_jNS0_19identity_decomposerENS1_16block_id_wrapperIjLb0EEEEE10hipError_tT1_PNSt15iterator_traitsISG_E10value_typeET2_T3_PNSH_ISM_E10value_typeET4_T5_PSR_SS_PNS1_23onesweep_lookback_stateEbbT6_jjT7_P12ihipStream_tbENKUlT_T0_SG_SL_E_clIS7_S7_PlSB_EEDaSZ_S10_SG_SL_EUlSZ_E_NS1_11comp_targetILNS1_3genE8ELNS1_11target_archE1030ELNS1_3gpuE2ELNS1_3repE0EEENS1_47radix_sort_onesweep_sort_config_static_selectorELNS0_4arch9wavefront6targetE1EEEvSG_
    .private_segment_fixed_size: 0
    .sgpr_count:     4
    .sgpr_spill_count: 0
    .symbol:         _ZN7rocprim17ROCPRIM_400000_NS6detail17trampoline_kernelINS0_14default_configENS1_35radix_sort_onesweep_config_selectorIslEEZZNS1_29radix_sort_onesweep_iterationIS3_Lb0EPsS7_N6thrust23THRUST_200600_302600_NS10device_ptrIlEESB_jNS0_19identity_decomposerENS1_16block_id_wrapperIjLb0EEEEE10hipError_tT1_PNSt15iterator_traitsISG_E10value_typeET2_T3_PNSH_ISM_E10value_typeET4_T5_PSR_SS_PNS1_23onesweep_lookback_stateEbbT6_jjT7_P12ihipStream_tbENKUlT_T0_SG_SL_E_clIS7_S7_PlSB_EEDaSZ_S10_SG_SL_EUlSZ_E_NS1_11comp_targetILNS1_3genE8ELNS1_11target_archE1030ELNS1_3gpuE2ELNS1_3repE0EEENS1_47radix_sort_onesweep_sort_config_static_selectorELNS0_4arch9wavefront6targetE1EEEvSG_.kd
    .uniform_work_group_size: 1
    .uses_dynamic_stack: false
    .vgpr_count:     0
    .vgpr_spill_count: 0
    .wavefront_size: 64
  - .agpr_count:     0
    .args:
      - .offset:         0
        .size:           72
        .value_kind:     by_value
    .group_segment_fixed_size: 0
    .kernarg_segment_align: 8
    .kernarg_segment_size: 72
    .language:       OpenCL C
    .language_version:
      - 2
      - 0
    .max_flat_workgroup_size: 256
    .name:           _ZN7rocprim17ROCPRIM_400000_NS6detail17trampoline_kernelINS0_14default_configENS1_22reduce_config_selectorIiEEZNS1_11reduce_implILb1ES3_N6thrust23THRUST_200600_302600_NS11hip_rocprim35transform_pair_of_input_iterators_tIiPsSB_NS8_12not_equal_toIsEEEEPiiNS8_4plusIiEEEE10hipError_tPvRmT1_T2_T3_mT4_P12ihipStream_tbEUlT_E0_NS1_11comp_targetILNS1_3genE0ELNS1_11target_archE4294967295ELNS1_3gpuE0ELNS1_3repE0EEENS1_30default_config_static_selectorELNS0_4arch9wavefront6targetE1EEEvSL_
    .private_segment_fixed_size: 0
    .sgpr_count:     4
    .sgpr_spill_count: 0
    .symbol:         _ZN7rocprim17ROCPRIM_400000_NS6detail17trampoline_kernelINS0_14default_configENS1_22reduce_config_selectorIiEEZNS1_11reduce_implILb1ES3_N6thrust23THRUST_200600_302600_NS11hip_rocprim35transform_pair_of_input_iterators_tIiPsSB_NS8_12not_equal_toIsEEEEPiiNS8_4plusIiEEEE10hipError_tPvRmT1_T2_T3_mT4_P12ihipStream_tbEUlT_E0_NS1_11comp_targetILNS1_3genE0ELNS1_11target_archE4294967295ELNS1_3gpuE0ELNS1_3repE0EEENS1_30default_config_static_selectorELNS0_4arch9wavefront6targetE1EEEvSL_.kd
    .uniform_work_group_size: 1
    .uses_dynamic_stack: false
    .vgpr_count:     0
    .vgpr_spill_count: 0
    .wavefront_size: 64
  - .agpr_count:     0
    .args:
      - .offset:         0
        .size:           72
        .value_kind:     by_value
    .group_segment_fixed_size: 0
    .kernarg_segment_align: 8
    .kernarg_segment_size: 72
    .language:       OpenCL C
    .language_version:
      - 2
      - 0
    .max_flat_workgroup_size: 256
    .name:           _ZN7rocprim17ROCPRIM_400000_NS6detail17trampoline_kernelINS0_14default_configENS1_22reduce_config_selectorIiEEZNS1_11reduce_implILb1ES3_N6thrust23THRUST_200600_302600_NS11hip_rocprim35transform_pair_of_input_iterators_tIiPsSB_NS8_12not_equal_toIsEEEEPiiNS8_4plusIiEEEE10hipError_tPvRmT1_T2_T3_mT4_P12ihipStream_tbEUlT_E0_NS1_11comp_targetILNS1_3genE5ELNS1_11target_archE942ELNS1_3gpuE9ELNS1_3repE0EEENS1_30default_config_static_selectorELNS0_4arch9wavefront6targetE1EEEvSL_
    .private_segment_fixed_size: 0
    .sgpr_count:     4
    .sgpr_spill_count: 0
    .symbol:         _ZN7rocprim17ROCPRIM_400000_NS6detail17trampoline_kernelINS0_14default_configENS1_22reduce_config_selectorIiEEZNS1_11reduce_implILb1ES3_N6thrust23THRUST_200600_302600_NS11hip_rocprim35transform_pair_of_input_iterators_tIiPsSB_NS8_12not_equal_toIsEEEEPiiNS8_4plusIiEEEE10hipError_tPvRmT1_T2_T3_mT4_P12ihipStream_tbEUlT_E0_NS1_11comp_targetILNS1_3genE5ELNS1_11target_archE942ELNS1_3gpuE9ELNS1_3repE0EEENS1_30default_config_static_selectorELNS0_4arch9wavefront6targetE1EEEvSL_.kd
    .uniform_work_group_size: 1
    .uses_dynamic_stack: false
    .vgpr_count:     0
    .vgpr_spill_count: 0
    .wavefront_size: 64
  - .agpr_count:     0
    .args:
      - .offset:         0
        .size:           72
        .value_kind:     by_value
    .group_segment_fixed_size: 16
    .kernarg_segment_align: 8
    .kernarg_segment_size: 72
    .language:       OpenCL C
    .language_version:
      - 2
      - 0
    .max_flat_workgroup_size: 128
    .name:           _ZN7rocprim17ROCPRIM_400000_NS6detail17trampoline_kernelINS0_14default_configENS1_22reduce_config_selectorIiEEZNS1_11reduce_implILb1ES3_N6thrust23THRUST_200600_302600_NS11hip_rocprim35transform_pair_of_input_iterators_tIiPsSB_NS8_12not_equal_toIsEEEEPiiNS8_4plusIiEEEE10hipError_tPvRmT1_T2_T3_mT4_P12ihipStream_tbEUlT_E0_NS1_11comp_targetILNS1_3genE4ELNS1_11target_archE910ELNS1_3gpuE8ELNS1_3repE0EEENS1_30default_config_static_selectorELNS0_4arch9wavefront6targetE1EEEvSL_
    .private_segment_fixed_size: 0
    .sgpr_count:     34
    .sgpr_spill_count: 0
    .symbol:         _ZN7rocprim17ROCPRIM_400000_NS6detail17trampoline_kernelINS0_14default_configENS1_22reduce_config_selectorIiEEZNS1_11reduce_implILb1ES3_N6thrust23THRUST_200600_302600_NS11hip_rocprim35transform_pair_of_input_iterators_tIiPsSB_NS8_12not_equal_toIsEEEEPiiNS8_4plusIiEEEE10hipError_tPvRmT1_T2_T3_mT4_P12ihipStream_tbEUlT_E0_NS1_11comp_targetILNS1_3genE4ELNS1_11target_archE910ELNS1_3gpuE8ELNS1_3repE0EEENS1_30default_config_static_selectorELNS0_4arch9wavefront6targetE1EEEvSL_.kd
    .uniform_work_group_size: 1
    .uses_dynamic_stack: false
    .vgpr_count:     21
    .vgpr_spill_count: 0
    .wavefront_size: 64
  - .agpr_count:     0
    .args:
      - .offset:         0
        .size:           72
        .value_kind:     by_value
    .group_segment_fixed_size: 0
    .kernarg_segment_align: 8
    .kernarg_segment_size: 72
    .language:       OpenCL C
    .language_version:
      - 2
      - 0
    .max_flat_workgroup_size: 256
    .name:           _ZN7rocprim17ROCPRIM_400000_NS6detail17trampoline_kernelINS0_14default_configENS1_22reduce_config_selectorIiEEZNS1_11reduce_implILb1ES3_N6thrust23THRUST_200600_302600_NS11hip_rocprim35transform_pair_of_input_iterators_tIiPsSB_NS8_12not_equal_toIsEEEEPiiNS8_4plusIiEEEE10hipError_tPvRmT1_T2_T3_mT4_P12ihipStream_tbEUlT_E0_NS1_11comp_targetILNS1_3genE3ELNS1_11target_archE908ELNS1_3gpuE7ELNS1_3repE0EEENS1_30default_config_static_selectorELNS0_4arch9wavefront6targetE1EEEvSL_
    .private_segment_fixed_size: 0
    .sgpr_count:     4
    .sgpr_spill_count: 0
    .symbol:         _ZN7rocprim17ROCPRIM_400000_NS6detail17trampoline_kernelINS0_14default_configENS1_22reduce_config_selectorIiEEZNS1_11reduce_implILb1ES3_N6thrust23THRUST_200600_302600_NS11hip_rocprim35transform_pair_of_input_iterators_tIiPsSB_NS8_12not_equal_toIsEEEEPiiNS8_4plusIiEEEE10hipError_tPvRmT1_T2_T3_mT4_P12ihipStream_tbEUlT_E0_NS1_11comp_targetILNS1_3genE3ELNS1_11target_archE908ELNS1_3gpuE7ELNS1_3repE0EEENS1_30default_config_static_selectorELNS0_4arch9wavefront6targetE1EEEvSL_.kd
    .uniform_work_group_size: 1
    .uses_dynamic_stack: false
    .vgpr_count:     0
    .vgpr_spill_count: 0
    .wavefront_size: 64
  - .agpr_count:     0
    .args:
      - .offset:         0
        .size:           72
        .value_kind:     by_value
    .group_segment_fixed_size: 0
    .kernarg_segment_align: 8
    .kernarg_segment_size: 72
    .language:       OpenCL C
    .language_version:
      - 2
      - 0
    .max_flat_workgroup_size: 256
    .name:           _ZN7rocprim17ROCPRIM_400000_NS6detail17trampoline_kernelINS0_14default_configENS1_22reduce_config_selectorIiEEZNS1_11reduce_implILb1ES3_N6thrust23THRUST_200600_302600_NS11hip_rocprim35transform_pair_of_input_iterators_tIiPsSB_NS8_12not_equal_toIsEEEEPiiNS8_4plusIiEEEE10hipError_tPvRmT1_T2_T3_mT4_P12ihipStream_tbEUlT_E0_NS1_11comp_targetILNS1_3genE2ELNS1_11target_archE906ELNS1_3gpuE6ELNS1_3repE0EEENS1_30default_config_static_selectorELNS0_4arch9wavefront6targetE1EEEvSL_
    .private_segment_fixed_size: 0
    .sgpr_count:     4
    .sgpr_spill_count: 0
    .symbol:         _ZN7rocprim17ROCPRIM_400000_NS6detail17trampoline_kernelINS0_14default_configENS1_22reduce_config_selectorIiEEZNS1_11reduce_implILb1ES3_N6thrust23THRUST_200600_302600_NS11hip_rocprim35transform_pair_of_input_iterators_tIiPsSB_NS8_12not_equal_toIsEEEEPiiNS8_4plusIiEEEE10hipError_tPvRmT1_T2_T3_mT4_P12ihipStream_tbEUlT_E0_NS1_11comp_targetILNS1_3genE2ELNS1_11target_archE906ELNS1_3gpuE6ELNS1_3repE0EEENS1_30default_config_static_selectorELNS0_4arch9wavefront6targetE1EEEvSL_.kd
    .uniform_work_group_size: 1
    .uses_dynamic_stack: false
    .vgpr_count:     0
    .vgpr_spill_count: 0
    .wavefront_size: 64
  - .agpr_count:     0
    .args:
      - .offset:         0
        .size:           72
        .value_kind:     by_value
    .group_segment_fixed_size: 0
    .kernarg_segment_align: 8
    .kernarg_segment_size: 72
    .language:       OpenCL C
    .language_version:
      - 2
      - 0
    .max_flat_workgroup_size: 256
    .name:           _ZN7rocprim17ROCPRIM_400000_NS6detail17trampoline_kernelINS0_14default_configENS1_22reduce_config_selectorIiEEZNS1_11reduce_implILb1ES3_N6thrust23THRUST_200600_302600_NS11hip_rocprim35transform_pair_of_input_iterators_tIiPsSB_NS8_12not_equal_toIsEEEEPiiNS8_4plusIiEEEE10hipError_tPvRmT1_T2_T3_mT4_P12ihipStream_tbEUlT_E0_NS1_11comp_targetILNS1_3genE10ELNS1_11target_archE1201ELNS1_3gpuE5ELNS1_3repE0EEENS1_30default_config_static_selectorELNS0_4arch9wavefront6targetE1EEEvSL_
    .private_segment_fixed_size: 0
    .sgpr_count:     4
    .sgpr_spill_count: 0
    .symbol:         _ZN7rocprim17ROCPRIM_400000_NS6detail17trampoline_kernelINS0_14default_configENS1_22reduce_config_selectorIiEEZNS1_11reduce_implILb1ES3_N6thrust23THRUST_200600_302600_NS11hip_rocprim35transform_pair_of_input_iterators_tIiPsSB_NS8_12not_equal_toIsEEEEPiiNS8_4plusIiEEEE10hipError_tPvRmT1_T2_T3_mT4_P12ihipStream_tbEUlT_E0_NS1_11comp_targetILNS1_3genE10ELNS1_11target_archE1201ELNS1_3gpuE5ELNS1_3repE0EEENS1_30default_config_static_selectorELNS0_4arch9wavefront6targetE1EEEvSL_.kd
    .uniform_work_group_size: 1
    .uses_dynamic_stack: false
    .vgpr_count:     0
    .vgpr_spill_count: 0
    .wavefront_size: 64
  - .agpr_count:     0
    .args:
      - .offset:         0
        .size:           72
        .value_kind:     by_value
    .group_segment_fixed_size: 0
    .kernarg_segment_align: 8
    .kernarg_segment_size: 72
    .language:       OpenCL C
    .language_version:
      - 2
      - 0
    .max_flat_workgroup_size: 256
    .name:           _ZN7rocprim17ROCPRIM_400000_NS6detail17trampoline_kernelINS0_14default_configENS1_22reduce_config_selectorIiEEZNS1_11reduce_implILb1ES3_N6thrust23THRUST_200600_302600_NS11hip_rocprim35transform_pair_of_input_iterators_tIiPsSB_NS8_12not_equal_toIsEEEEPiiNS8_4plusIiEEEE10hipError_tPvRmT1_T2_T3_mT4_P12ihipStream_tbEUlT_E0_NS1_11comp_targetILNS1_3genE10ELNS1_11target_archE1200ELNS1_3gpuE4ELNS1_3repE0EEENS1_30default_config_static_selectorELNS0_4arch9wavefront6targetE1EEEvSL_
    .private_segment_fixed_size: 0
    .sgpr_count:     4
    .sgpr_spill_count: 0
    .symbol:         _ZN7rocprim17ROCPRIM_400000_NS6detail17trampoline_kernelINS0_14default_configENS1_22reduce_config_selectorIiEEZNS1_11reduce_implILb1ES3_N6thrust23THRUST_200600_302600_NS11hip_rocprim35transform_pair_of_input_iterators_tIiPsSB_NS8_12not_equal_toIsEEEEPiiNS8_4plusIiEEEE10hipError_tPvRmT1_T2_T3_mT4_P12ihipStream_tbEUlT_E0_NS1_11comp_targetILNS1_3genE10ELNS1_11target_archE1200ELNS1_3gpuE4ELNS1_3repE0EEENS1_30default_config_static_selectorELNS0_4arch9wavefront6targetE1EEEvSL_.kd
    .uniform_work_group_size: 1
    .uses_dynamic_stack: false
    .vgpr_count:     0
    .vgpr_spill_count: 0
    .wavefront_size: 64
  - .agpr_count:     0
    .args:
      - .offset:         0
        .size:           72
        .value_kind:     by_value
    .group_segment_fixed_size: 0
    .kernarg_segment_align: 8
    .kernarg_segment_size: 72
    .language:       OpenCL C
    .language_version:
      - 2
      - 0
    .max_flat_workgroup_size: 256
    .name:           _ZN7rocprim17ROCPRIM_400000_NS6detail17trampoline_kernelINS0_14default_configENS1_22reduce_config_selectorIiEEZNS1_11reduce_implILb1ES3_N6thrust23THRUST_200600_302600_NS11hip_rocprim35transform_pair_of_input_iterators_tIiPsSB_NS8_12not_equal_toIsEEEEPiiNS8_4plusIiEEEE10hipError_tPvRmT1_T2_T3_mT4_P12ihipStream_tbEUlT_E0_NS1_11comp_targetILNS1_3genE9ELNS1_11target_archE1100ELNS1_3gpuE3ELNS1_3repE0EEENS1_30default_config_static_selectorELNS0_4arch9wavefront6targetE1EEEvSL_
    .private_segment_fixed_size: 0
    .sgpr_count:     4
    .sgpr_spill_count: 0
    .symbol:         _ZN7rocprim17ROCPRIM_400000_NS6detail17trampoline_kernelINS0_14default_configENS1_22reduce_config_selectorIiEEZNS1_11reduce_implILb1ES3_N6thrust23THRUST_200600_302600_NS11hip_rocprim35transform_pair_of_input_iterators_tIiPsSB_NS8_12not_equal_toIsEEEEPiiNS8_4plusIiEEEE10hipError_tPvRmT1_T2_T3_mT4_P12ihipStream_tbEUlT_E0_NS1_11comp_targetILNS1_3genE9ELNS1_11target_archE1100ELNS1_3gpuE3ELNS1_3repE0EEENS1_30default_config_static_selectorELNS0_4arch9wavefront6targetE1EEEvSL_.kd
    .uniform_work_group_size: 1
    .uses_dynamic_stack: false
    .vgpr_count:     0
    .vgpr_spill_count: 0
    .wavefront_size: 64
  - .agpr_count:     0
    .args:
      - .offset:         0
        .size:           72
        .value_kind:     by_value
    .group_segment_fixed_size: 0
    .kernarg_segment_align: 8
    .kernarg_segment_size: 72
    .language:       OpenCL C
    .language_version:
      - 2
      - 0
    .max_flat_workgroup_size: 256
    .name:           _ZN7rocprim17ROCPRIM_400000_NS6detail17trampoline_kernelINS0_14default_configENS1_22reduce_config_selectorIiEEZNS1_11reduce_implILb1ES3_N6thrust23THRUST_200600_302600_NS11hip_rocprim35transform_pair_of_input_iterators_tIiPsSB_NS8_12not_equal_toIsEEEEPiiNS8_4plusIiEEEE10hipError_tPvRmT1_T2_T3_mT4_P12ihipStream_tbEUlT_E0_NS1_11comp_targetILNS1_3genE8ELNS1_11target_archE1030ELNS1_3gpuE2ELNS1_3repE0EEENS1_30default_config_static_selectorELNS0_4arch9wavefront6targetE1EEEvSL_
    .private_segment_fixed_size: 0
    .sgpr_count:     4
    .sgpr_spill_count: 0
    .symbol:         _ZN7rocprim17ROCPRIM_400000_NS6detail17trampoline_kernelINS0_14default_configENS1_22reduce_config_selectorIiEEZNS1_11reduce_implILb1ES3_N6thrust23THRUST_200600_302600_NS11hip_rocprim35transform_pair_of_input_iterators_tIiPsSB_NS8_12not_equal_toIsEEEEPiiNS8_4plusIiEEEE10hipError_tPvRmT1_T2_T3_mT4_P12ihipStream_tbEUlT_E0_NS1_11comp_targetILNS1_3genE8ELNS1_11target_archE1030ELNS1_3gpuE2ELNS1_3repE0EEENS1_30default_config_static_selectorELNS0_4arch9wavefront6targetE1EEEvSL_.kd
    .uniform_work_group_size: 1
    .uses_dynamic_stack: false
    .vgpr_count:     0
    .vgpr_spill_count: 0
    .wavefront_size: 64
  - .agpr_count:     0
    .args:
      - .offset:         0
        .size:           56
        .value_kind:     by_value
    .group_segment_fixed_size: 0
    .kernarg_segment_align: 8
    .kernarg_segment_size: 56
    .language:       OpenCL C
    .language_version:
      - 2
      - 0
    .max_flat_workgroup_size: 256
    .name:           _ZN7rocprim17ROCPRIM_400000_NS6detail17trampoline_kernelINS0_14default_configENS1_22reduce_config_selectorIiEEZNS1_11reduce_implILb1ES3_N6thrust23THRUST_200600_302600_NS11hip_rocprim35transform_pair_of_input_iterators_tIiPsSB_NS8_12not_equal_toIsEEEEPiiNS8_4plusIiEEEE10hipError_tPvRmT1_T2_T3_mT4_P12ihipStream_tbEUlT_E1_NS1_11comp_targetILNS1_3genE0ELNS1_11target_archE4294967295ELNS1_3gpuE0ELNS1_3repE0EEENS1_30default_config_static_selectorELNS0_4arch9wavefront6targetE1EEEvSL_
    .private_segment_fixed_size: 0
    .sgpr_count:     4
    .sgpr_spill_count: 0
    .symbol:         _ZN7rocprim17ROCPRIM_400000_NS6detail17trampoline_kernelINS0_14default_configENS1_22reduce_config_selectorIiEEZNS1_11reduce_implILb1ES3_N6thrust23THRUST_200600_302600_NS11hip_rocprim35transform_pair_of_input_iterators_tIiPsSB_NS8_12not_equal_toIsEEEEPiiNS8_4plusIiEEEE10hipError_tPvRmT1_T2_T3_mT4_P12ihipStream_tbEUlT_E1_NS1_11comp_targetILNS1_3genE0ELNS1_11target_archE4294967295ELNS1_3gpuE0ELNS1_3repE0EEENS1_30default_config_static_selectorELNS0_4arch9wavefront6targetE1EEEvSL_.kd
    .uniform_work_group_size: 1
    .uses_dynamic_stack: false
    .vgpr_count:     0
    .vgpr_spill_count: 0
    .wavefront_size: 64
  - .agpr_count:     0
    .args:
      - .offset:         0
        .size:           56
        .value_kind:     by_value
    .group_segment_fixed_size: 0
    .kernarg_segment_align: 8
    .kernarg_segment_size: 56
    .language:       OpenCL C
    .language_version:
      - 2
      - 0
    .max_flat_workgroup_size: 256
    .name:           _ZN7rocprim17ROCPRIM_400000_NS6detail17trampoline_kernelINS0_14default_configENS1_22reduce_config_selectorIiEEZNS1_11reduce_implILb1ES3_N6thrust23THRUST_200600_302600_NS11hip_rocprim35transform_pair_of_input_iterators_tIiPsSB_NS8_12not_equal_toIsEEEEPiiNS8_4plusIiEEEE10hipError_tPvRmT1_T2_T3_mT4_P12ihipStream_tbEUlT_E1_NS1_11comp_targetILNS1_3genE5ELNS1_11target_archE942ELNS1_3gpuE9ELNS1_3repE0EEENS1_30default_config_static_selectorELNS0_4arch9wavefront6targetE1EEEvSL_
    .private_segment_fixed_size: 0
    .sgpr_count:     4
    .sgpr_spill_count: 0
    .symbol:         _ZN7rocprim17ROCPRIM_400000_NS6detail17trampoline_kernelINS0_14default_configENS1_22reduce_config_selectorIiEEZNS1_11reduce_implILb1ES3_N6thrust23THRUST_200600_302600_NS11hip_rocprim35transform_pair_of_input_iterators_tIiPsSB_NS8_12not_equal_toIsEEEEPiiNS8_4plusIiEEEE10hipError_tPvRmT1_T2_T3_mT4_P12ihipStream_tbEUlT_E1_NS1_11comp_targetILNS1_3genE5ELNS1_11target_archE942ELNS1_3gpuE9ELNS1_3repE0EEENS1_30default_config_static_selectorELNS0_4arch9wavefront6targetE1EEEvSL_.kd
    .uniform_work_group_size: 1
    .uses_dynamic_stack: false
    .vgpr_count:     0
    .vgpr_spill_count: 0
    .wavefront_size: 64
  - .agpr_count:     0
    .args:
      - .offset:         0
        .size:           56
        .value_kind:     by_value
    .group_segment_fixed_size: 56
    .kernarg_segment_align: 8
    .kernarg_segment_size: 56
    .language:       OpenCL C
    .language_version:
      - 2
      - 0
    .max_flat_workgroup_size: 128
    .name:           _ZN7rocprim17ROCPRIM_400000_NS6detail17trampoline_kernelINS0_14default_configENS1_22reduce_config_selectorIiEEZNS1_11reduce_implILb1ES3_N6thrust23THRUST_200600_302600_NS11hip_rocprim35transform_pair_of_input_iterators_tIiPsSB_NS8_12not_equal_toIsEEEEPiiNS8_4plusIiEEEE10hipError_tPvRmT1_T2_T3_mT4_P12ihipStream_tbEUlT_E1_NS1_11comp_targetILNS1_3genE4ELNS1_11target_archE910ELNS1_3gpuE8ELNS1_3repE0EEENS1_30default_config_static_selectorELNS0_4arch9wavefront6targetE1EEEvSL_
    .private_segment_fixed_size: 0
    .sgpr_count:     53
    .sgpr_spill_count: 0
    .symbol:         _ZN7rocprim17ROCPRIM_400000_NS6detail17trampoline_kernelINS0_14default_configENS1_22reduce_config_selectorIiEEZNS1_11reduce_implILb1ES3_N6thrust23THRUST_200600_302600_NS11hip_rocprim35transform_pair_of_input_iterators_tIiPsSB_NS8_12not_equal_toIsEEEEPiiNS8_4plusIiEEEE10hipError_tPvRmT1_T2_T3_mT4_P12ihipStream_tbEUlT_E1_NS1_11comp_targetILNS1_3genE4ELNS1_11target_archE910ELNS1_3gpuE8ELNS1_3repE0EEENS1_30default_config_static_selectorELNS0_4arch9wavefront6targetE1EEEvSL_.kd
    .uniform_work_group_size: 1
    .uses_dynamic_stack: false
    .vgpr_count:     63
    .vgpr_spill_count: 0
    .wavefront_size: 64
  - .agpr_count:     0
    .args:
      - .offset:         0
        .size:           56
        .value_kind:     by_value
    .group_segment_fixed_size: 0
    .kernarg_segment_align: 8
    .kernarg_segment_size: 56
    .language:       OpenCL C
    .language_version:
      - 2
      - 0
    .max_flat_workgroup_size: 256
    .name:           _ZN7rocprim17ROCPRIM_400000_NS6detail17trampoline_kernelINS0_14default_configENS1_22reduce_config_selectorIiEEZNS1_11reduce_implILb1ES3_N6thrust23THRUST_200600_302600_NS11hip_rocprim35transform_pair_of_input_iterators_tIiPsSB_NS8_12not_equal_toIsEEEEPiiNS8_4plusIiEEEE10hipError_tPvRmT1_T2_T3_mT4_P12ihipStream_tbEUlT_E1_NS1_11comp_targetILNS1_3genE3ELNS1_11target_archE908ELNS1_3gpuE7ELNS1_3repE0EEENS1_30default_config_static_selectorELNS0_4arch9wavefront6targetE1EEEvSL_
    .private_segment_fixed_size: 0
    .sgpr_count:     4
    .sgpr_spill_count: 0
    .symbol:         _ZN7rocprim17ROCPRIM_400000_NS6detail17trampoline_kernelINS0_14default_configENS1_22reduce_config_selectorIiEEZNS1_11reduce_implILb1ES3_N6thrust23THRUST_200600_302600_NS11hip_rocprim35transform_pair_of_input_iterators_tIiPsSB_NS8_12not_equal_toIsEEEEPiiNS8_4plusIiEEEE10hipError_tPvRmT1_T2_T3_mT4_P12ihipStream_tbEUlT_E1_NS1_11comp_targetILNS1_3genE3ELNS1_11target_archE908ELNS1_3gpuE7ELNS1_3repE0EEENS1_30default_config_static_selectorELNS0_4arch9wavefront6targetE1EEEvSL_.kd
    .uniform_work_group_size: 1
    .uses_dynamic_stack: false
    .vgpr_count:     0
    .vgpr_spill_count: 0
    .wavefront_size: 64
  - .agpr_count:     0
    .args:
      - .offset:         0
        .size:           56
        .value_kind:     by_value
    .group_segment_fixed_size: 0
    .kernarg_segment_align: 8
    .kernarg_segment_size: 56
    .language:       OpenCL C
    .language_version:
      - 2
      - 0
    .max_flat_workgroup_size: 256
    .name:           _ZN7rocprim17ROCPRIM_400000_NS6detail17trampoline_kernelINS0_14default_configENS1_22reduce_config_selectorIiEEZNS1_11reduce_implILb1ES3_N6thrust23THRUST_200600_302600_NS11hip_rocprim35transform_pair_of_input_iterators_tIiPsSB_NS8_12not_equal_toIsEEEEPiiNS8_4plusIiEEEE10hipError_tPvRmT1_T2_T3_mT4_P12ihipStream_tbEUlT_E1_NS1_11comp_targetILNS1_3genE2ELNS1_11target_archE906ELNS1_3gpuE6ELNS1_3repE0EEENS1_30default_config_static_selectorELNS0_4arch9wavefront6targetE1EEEvSL_
    .private_segment_fixed_size: 0
    .sgpr_count:     4
    .sgpr_spill_count: 0
    .symbol:         _ZN7rocprim17ROCPRIM_400000_NS6detail17trampoline_kernelINS0_14default_configENS1_22reduce_config_selectorIiEEZNS1_11reduce_implILb1ES3_N6thrust23THRUST_200600_302600_NS11hip_rocprim35transform_pair_of_input_iterators_tIiPsSB_NS8_12not_equal_toIsEEEEPiiNS8_4plusIiEEEE10hipError_tPvRmT1_T2_T3_mT4_P12ihipStream_tbEUlT_E1_NS1_11comp_targetILNS1_3genE2ELNS1_11target_archE906ELNS1_3gpuE6ELNS1_3repE0EEENS1_30default_config_static_selectorELNS0_4arch9wavefront6targetE1EEEvSL_.kd
    .uniform_work_group_size: 1
    .uses_dynamic_stack: false
    .vgpr_count:     0
    .vgpr_spill_count: 0
    .wavefront_size: 64
  - .agpr_count:     0
    .args:
      - .offset:         0
        .size:           56
        .value_kind:     by_value
    .group_segment_fixed_size: 0
    .kernarg_segment_align: 8
    .kernarg_segment_size: 56
    .language:       OpenCL C
    .language_version:
      - 2
      - 0
    .max_flat_workgroup_size: 256
    .name:           _ZN7rocprim17ROCPRIM_400000_NS6detail17trampoline_kernelINS0_14default_configENS1_22reduce_config_selectorIiEEZNS1_11reduce_implILb1ES3_N6thrust23THRUST_200600_302600_NS11hip_rocprim35transform_pair_of_input_iterators_tIiPsSB_NS8_12not_equal_toIsEEEEPiiNS8_4plusIiEEEE10hipError_tPvRmT1_T2_T3_mT4_P12ihipStream_tbEUlT_E1_NS1_11comp_targetILNS1_3genE10ELNS1_11target_archE1201ELNS1_3gpuE5ELNS1_3repE0EEENS1_30default_config_static_selectorELNS0_4arch9wavefront6targetE1EEEvSL_
    .private_segment_fixed_size: 0
    .sgpr_count:     4
    .sgpr_spill_count: 0
    .symbol:         _ZN7rocprim17ROCPRIM_400000_NS6detail17trampoline_kernelINS0_14default_configENS1_22reduce_config_selectorIiEEZNS1_11reduce_implILb1ES3_N6thrust23THRUST_200600_302600_NS11hip_rocprim35transform_pair_of_input_iterators_tIiPsSB_NS8_12not_equal_toIsEEEEPiiNS8_4plusIiEEEE10hipError_tPvRmT1_T2_T3_mT4_P12ihipStream_tbEUlT_E1_NS1_11comp_targetILNS1_3genE10ELNS1_11target_archE1201ELNS1_3gpuE5ELNS1_3repE0EEENS1_30default_config_static_selectorELNS0_4arch9wavefront6targetE1EEEvSL_.kd
    .uniform_work_group_size: 1
    .uses_dynamic_stack: false
    .vgpr_count:     0
    .vgpr_spill_count: 0
    .wavefront_size: 64
  - .agpr_count:     0
    .args:
      - .offset:         0
        .size:           56
        .value_kind:     by_value
    .group_segment_fixed_size: 0
    .kernarg_segment_align: 8
    .kernarg_segment_size: 56
    .language:       OpenCL C
    .language_version:
      - 2
      - 0
    .max_flat_workgroup_size: 256
    .name:           _ZN7rocprim17ROCPRIM_400000_NS6detail17trampoline_kernelINS0_14default_configENS1_22reduce_config_selectorIiEEZNS1_11reduce_implILb1ES3_N6thrust23THRUST_200600_302600_NS11hip_rocprim35transform_pair_of_input_iterators_tIiPsSB_NS8_12not_equal_toIsEEEEPiiNS8_4plusIiEEEE10hipError_tPvRmT1_T2_T3_mT4_P12ihipStream_tbEUlT_E1_NS1_11comp_targetILNS1_3genE10ELNS1_11target_archE1200ELNS1_3gpuE4ELNS1_3repE0EEENS1_30default_config_static_selectorELNS0_4arch9wavefront6targetE1EEEvSL_
    .private_segment_fixed_size: 0
    .sgpr_count:     4
    .sgpr_spill_count: 0
    .symbol:         _ZN7rocprim17ROCPRIM_400000_NS6detail17trampoline_kernelINS0_14default_configENS1_22reduce_config_selectorIiEEZNS1_11reduce_implILb1ES3_N6thrust23THRUST_200600_302600_NS11hip_rocprim35transform_pair_of_input_iterators_tIiPsSB_NS8_12not_equal_toIsEEEEPiiNS8_4plusIiEEEE10hipError_tPvRmT1_T2_T3_mT4_P12ihipStream_tbEUlT_E1_NS1_11comp_targetILNS1_3genE10ELNS1_11target_archE1200ELNS1_3gpuE4ELNS1_3repE0EEENS1_30default_config_static_selectorELNS0_4arch9wavefront6targetE1EEEvSL_.kd
    .uniform_work_group_size: 1
    .uses_dynamic_stack: false
    .vgpr_count:     0
    .vgpr_spill_count: 0
    .wavefront_size: 64
  - .agpr_count:     0
    .args:
      - .offset:         0
        .size:           56
        .value_kind:     by_value
    .group_segment_fixed_size: 0
    .kernarg_segment_align: 8
    .kernarg_segment_size: 56
    .language:       OpenCL C
    .language_version:
      - 2
      - 0
    .max_flat_workgroup_size: 256
    .name:           _ZN7rocprim17ROCPRIM_400000_NS6detail17trampoline_kernelINS0_14default_configENS1_22reduce_config_selectorIiEEZNS1_11reduce_implILb1ES3_N6thrust23THRUST_200600_302600_NS11hip_rocprim35transform_pair_of_input_iterators_tIiPsSB_NS8_12not_equal_toIsEEEEPiiNS8_4plusIiEEEE10hipError_tPvRmT1_T2_T3_mT4_P12ihipStream_tbEUlT_E1_NS1_11comp_targetILNS1_3genE9ELNS1_11target_archE1100ELNS1_3gpuE3ELNS1_3repE0EEENS1_30default_config_static_selectorELNS0_4arch9wavefront6targetE1EEEvSL_
    .private_segment_fixed_size: 0
    .sgpr_count:     4
    .sgpr_spill_count: 0
    .symbol:         _ZN7rocprim17ROCPRIM_400000_NS6detail17trampoline_kernelINS0_14default_configENS1_22reduce_config_selectorIiEEZNS1_11reduce_implILb1ES3_N6thrust23THRUST_200600_302600_NS11hip_rocprim35transform_pair_of_input_iterators_tIiPsSB_NS8_12not_equal_toIsEEEEPiiNS8_4plusIiEEEE10hipError_tPvRmT1_T2_T3_mT4_P12ihipStream_tbEUlT_E1_NS1_11comp_targetILNS1_3genE9ELNS1_11target_archE1100ELNS1_3gpuE3ELNS1_3repE0EEENS1_30default_config_static_selectorELNS0_4arch9wavefront6targetE1EEEvSL_.kd
    .uniform_work_group_size: 1
    .uses_dynamic_stack: false
    .vgpr_count:     0
    .vgpr_spill_count: 0
    .wavefront_size: 64
  - .agpr_count:     0
    .args:
      - .offset:         0
        .size:           56
        .value_kind:     by_value
    .group_segment_fixed_size: 0
    .kernarg_segment_align: 8
    .kernarg_segment_size: 56
    .language:       OpenCL C
    .language_version:
      - 2
      - 0
    .max_flat_workgroup_size: 256
    .name:           _ZN7rocprim17ROCPRIM_400000_NS6detail17trampoline_kernelINS0_14default_configENS1_22reduce_config_selectorIiEEZNS1_11reduce_implILb1ES3_N6thrust23THRUST_200600_302600_NS11hip_rocprim35transform_pair_of_input_iterators_tIiPsSB_NS8_12not_equal_toIsEEEEPiiNS8_4plusIiEEEE10hipError_tPvRmT1_T2_T3_mT4_P12ihipStream_tbEUlT_E1_NS1_11comp_targetILNS1_3genE8ELNS1_11target_archE1030ELNS1_3gpuE2ELNS1_3repE0EEENS1_30default_config_static_selectorELNS0_4arch9wavefront6targetE1EEEvSL_
    .private_segment_fixed_size: 0
    .sgpr_count:     4
    .sgpr_spill_count: 0
    .symbol:         _ZN7rocprim17ROCPRIM_400000_NS6detail17trampoline_kernelINS0_14default_configENS1_22reduce_config_selectorIiEEZNS1_11reduce_implILb1ES3_N6thrust23THRUST_200600_302600_NS11hip_rocprim35transform_pair_of_input_iterators_tIiPsSB_NS8_12not_equal_toIsEEEEPiiNS8_4plusIiEEEE10hipError_tPvRmT1_T2_T3_mT4_P12ihipStream_tbEUlT_E1_NS1_11comp_targetILNS1_3genE8ELNS1_11target_archE1030ELNS1_3gpuE2ELNS1_3repE0EEENS1_30default_config_static_selectorELNS0_4arch9wavefront6targetE1EEEvSL_.kd
    .uniform_work_group_size: 1
    .uses_dynamic_stack: false
    .vgpr_count:     0
    .vgpr_spill_count: 0
    .wavefront_size: 64
  - .agpr_count:     0
    .args:
      - .offset:         0
        .size:           144
        .value_kind:     by_value
    .group_segment_fixed_size: 0
    .kernarg_segment_align: 8
    .kernarg_segment_size: 144
    .language:       OpenCL C
    .language_version:
      - 2
      - 0
    .max_flat_workgroup_size: 256
    .name:           _ZN7rocprim17ROCPRIM_400000_NS6detail17trampoline_kernelINS0_14default_configENS1_29reduce_by_key_config_selectorIslN6thrust23THRUST_200600_302600_NS4plusIlEEEEZZNS1_33reduce_by_key_impl_wrapped_configILNS1_25lookback_scan_determinismE0ES3_S9_PsNS6_17constant_iteratorIiNS6_11use_defaultESE_EENS6_10device_ptrIsEENSG_IlEEPmS8_NS6_8equal_toIsEEEE10hipError_tPvRmT2_T3_mT4_T5_T6_T7_T8_P12ihipStream_tbENKUlT_T0_E_clISt17integral_constantIbLb0EES13_EEDaSY_SZ_EUlSY_E_NS1_11comp_targetILNS1_3genE0ELNS1_11target_archE4294967295ELNS1_3gpuE0ELNS1_3repE0EEENS1_30default_config_static_selectorELNS0_4arch9wavefront6targetE1EEEvT1_
    .private_segment_fixed_size: 0
    .sgpr_count:     4
    .sgpr_spill_count: 0
    .symbol:         _ZN7rocprim17ROCPRIM_400000_NS6detail17trampoline_kernelINS0_14default_configENS1_29reduce_by_key_config_selectorIslN6thrust23THRUST_200600_302600_NS4plusIlEEEEZZNS1_33reduce_by_key_impl_wrapped_configILNS1_25lookback_scan_determinismE0ES3_S9_PsNS6_17constant_iteratorIiNS6_11use_defaultESE_EENS6_10device_ptrIsEENSG_IlEEPmS8_NS6_8equal_toIsEEEE10hipError_tPvRmT2_T3_mT4_T5_T6_T7_T8_P12ihipStream_tbENKUlT_T0_E_clISt17integral_constantIbLb0EES13_EEDaSY_SZ_EUlSY_E_NS1_11comp_targetILNS1_3genE0ELNS1_11target_archE4294967295ELNS1_3gpuE0ELNS1_3repE0EEENS1_30default_config_static_selectorELNS0_4arch9wavefront6targetE1EEEvT1_.kd
    .uniform_work_group_size: 1
    .uses_dynamic_stack: false
    .vgpr_count:     0
    .vgpr_spill_count: 0
    .wavefront_size: 64
  - .agpr_count:     0
    .args:
      - .offset:         0
        .size:           144
        .value_kind:     by_value
    .group_segment_fixed_size: 0
    .kernarg_segment_align: 8
    .kernarg_segment_size: 144
    .language:       OpenCL C
    .language_version:
      - 2
      - 0
    .max_flat_workgroup_size: 256
    .name:           _ZN7rocprim17ROCPRIM_400000_NS6detail17trampoline_kernelINS0_14default_configENS1_29reduce_by_key_config_selectorIslN6thrust23THRUST_200600_302600_NS4plusIlEEEEZZNS1_33reduce_by_key_impl_wrapped_configILNS1_25lookback_scan_determinismE0ES3_S9_PsNS6_17constant_iteratorIiNS6_11use_defaultESE_EENS6_10device_ptrIsEENSG_IlEEPmS8_NS6_8equal_toIsEEEE10hipError_tPvRmT2_T3_mT4_T5_T6_T7_T8_P12ihipStream_tbENKUlT_T0_E_clISt17integral_constantIbLb0EES13_EEDaSY_SZ_EUlSY_E_NS1_11comp_targetILNS1_3genE5ELNS1_11target_archE942ELNS1_3gpuE9ELNS1_3repE0EEENS1_30default_config_static_selectorELNS0_4arch9wavefront6targetE1EEEvT1_
    .private_segment_fixed_size: 0
    .sgpr_count:     4
    .sgpr_spill_count: 0
    .symbol:         _ZN7rocprim17ROCPRIM_400000_NS6detail17trampoline_kernelINS0_14default_configENS1_29reduce_by_key_config_selectorIslN6thrust23THRUST_200600_302600_NS4plusIlEEEEZZNS1_33reduce_by_key_impl_wrapped_configILNS1_25lookback_scan_determinismE0ES3_S9_PsNS6_17constant_iteratorIiNS6_11use_defaultESE_EENS6_10device_ptrIsEENSG_IlEEPmS8_NS6_8equal_toIsEEEE10hipError_tPvRmT2_T3_mT4_T5_T6_T7_T8_P12ihipStream_tbENKUlT_T0_E_clISt17integral_constantIbLb0EES13_EEDaSY_SZ_EUlSY_E_NS1_11comp_targetILNS1_3genE5ELNS1_11target_archE942ELNS1_3gpuE9ELNS1_3repE0EEENS1_30default_config_static_selectorELNS0_4arch9wavefront6targetE1EEEvT1_.kd
    .uniform_work_group_size: 1
    .uses_dynamic_stack: false
    .vgpr_count:     0
    .vgpr_spill_count: 0
    .wavefront_size: 64
  - .agpr_count:     0
    .args:
      - .offset:         0
        .size:           144
        .value_kind:     by_value
    .group_segment_fixed_size: 30720
    .kernarg_segment_align: 8
    .kernarg_segment_size: 144
    .language:       OpenCL C
    .language_version:
      - 2
      - 0
    .max_flat_workgroup_size: 256
    .name:           _ZN7rocprim17ROCPRIM_400000_NS6detail17trampoline_kernelINS0_14default_configENS1_29reduce_by_key_config_selectorIslN6thrust23THRUST_200600_302600_NS4plusIlEEEEZZNS1_33reduce_by_key_impl_wrapped_configILNS1_25lookback_scan_determinismE0ES3_S9_PsNS6_17constant_iteratorIiNS6_11use_defaultESE_EENS6_10device_ptrIsEENSG_IlEEPmS8_NS6_8equal_toIsEEEE10hipError_tPvRmT2_T3_mT4_T5_T6_T7_T8_P12ihipStream_tbENKUlT_T0_E_clISt17integral_constantIbLb0EES13_EEDaSY_SZ_EUlSY_E_NS1_11comp_targetILNS1_3genE4ELNS1_11target_archE910ELNS1_3gpuE8ELNS1_3repE0EEENS1_30default_config_static_selectorELNS0_4arch9wavefront6targetE1EEEvT1_
    .private_segment_fixed_size: 0
    .sgpr_count:     68
    .sgpr_spill_count: 0
    .symbol:         _ZN7rocprim17ROCPRIM_400000_NS6detail17trampoline_kernelINS0_14default_configENS1_29reduce_by_key_config_selectorIslN6thrust23THRUST_200600_302600_NS4plusIlEEEEZZNS1_33reduce_by_key_impl_wrapped_configILNS1_25lookback_scan_determinismE0ES3_S9_PsNS6_17constant_iteratorIiNS6_11use_defaultESE_EENS6_10device_ptrIsEENSG_IlEEPmS8_NS6_8equal_toIsEEEE10hipError_tPvRmT2_T3_mT4_T5_T6_T7_T8_P12ihipStream_tbENKUlT_T0_E_clISt17integral_constantIbLb0EES13_EEDaSY_SZ_EUlSY_E_NS1_11comp_targetILNS1_3genE4ELNS1_11target_archE910ELNS1_3gpuE8ELNS1_3repE0EEENS1_30default_config_static_selectorELNS0_4arch9wavefront6targetE1EEEvT1_.kd
    .uniform_work_group_size: 1
    .uses_dynamic_stack: false
    .vgpr_count:     127
    .vgpr_spill_count: 0
    .wavefront_size: 64
  - .agpr_count:     0
    .args:
      - .offset:         0
        .size:           144
        .value_kind:     by_value
    .group_segment_fixed_size: 0
    .kernarg_segment_align: 8
    .kernarg_segment_size: 144
    .language:       OpenCL C
    .language_version:
      - 2
      - 0
    .max_flat_workgroup_size: 256
    .name:           _ZN7rocprim17ROCPRIM_400000_NS6detail17trampoline_kernelINS0_14default_configENS1_29reduce_by_key_config_selectorIslN6thrust23THRUST_200600_302600_NS4plusIlEEEEZZNS1_33reduce_by_key_impl_wrapped_configILNS1_25lookback_scan_determinismE0ES3_S9_PsNS6_17constant_iteratorIiNS6_11use_defaultESE_EENS6_10device_ptrIsEENSG_IlEEPmS8_NS6_8equal_toIsEEEE10hipError_tPvRmT2_T3_mT4_T5_T6_T7_T8_P12ihipStream_tbENKUlT_T0_E_clISt17integral_constantIbLb0EES13_EEDaSY_SZ_EUlSY_E_NS1_11comp_targetILNS1_3genE3ELNS1_11target_archE908ELNS1_3gpuE7ELNS1_3repE0EEENS1_30default_config_static_selectorELNS0_4arch9wavefront6targetE1EEEvT1_
    .private_segment_fixed_size: 0
    .sgpr_count:     4
    .sgpr_spill_count: 0
    .symbol:         _ZN7rocprim17ROCPRIM_400000_NS6detail17trampoline_kernelINS0_14default_configENS1_29reduce_by_key_config_selectorIslN6thrust23THRUST_200600_302600_NS4plusIlEEEEZZNS1_33reduce_by_key_impl_wrapped_configILNS1_25lookback_scan_determinismE0ES3_S9_PsNS6_17constant_iteratorIiNS6_11use_defaultESE_EENS6_10device_ptrIsEENSG_IlEEPmS8_NS6_8equal_toIsEEEE10hipError_tPvRmT2_T3_mT4_T5_T6_T7_T8_P12ihipStream_tbENKUlT_T0_E_clISt17integral_constantIbLb0EES13_EEDaSY_SZ_EUlSY_E_NS1_11comp_targetILNS1_3genE3ELNS1_11target_archE908ELNS1_3gpuE7ELNS1_3repE0EEENS1_30default_config_static_selectorELNS0_4arch9wavefront6targetE1EEEvT1_.kd
    .uniform_work_group_size: 1
    .uses_dynamic_stack: false
    .vgpr_count:     0
    .vgpr_spill_count: 0
    .wavefront_size: 64
  - .agpr_count:     0
    .args:
      - .offset:         0
        .size:           144
        .value_kind:     by_value
    .group_segment_fixed_size: 0
    .kernarg_segment_align: 8
    .kernarg_segment_size: 144
    .language:       OpenCL C
    .language_version:
      - 2
      - 0
    .max_flat_workgroup_size: 256
    .name:           _ZN7rocprim17ROCPRIM_400000_NS6detail17trampoline_kernelINS0_14default_configENS1_29reduce_by_key_config_selectorIslN6thrust23THRUST_200600_302600_NS4plusIlEEEEZZNS1_33reduce_by_key_impl_wrapped_configILNS1_25lookback_scan_determinismE0ES3_S9_PsNS6_17constant_iteratorIiNS6_11use_defaultESE_EENS6_10device_ptrIsEENSG_IlEEPmS8_NS6_8equal_toIsEEEE10hipError_tPvRmT2_T3_mT4_T5_T6_T7_T8_P12ihipStream_tbENKUlT_T0_E_clISt17integral_constantIbLb0EES13_EEDaSY_SZ_EUlSY_E_NS1_11comp_targetILNS1_3genE2ELNS1_11target_archE906ELNS1_3gpuE6ELNS1_3repE0EEENS1_30default_config_static_selectorELNS0_4arch9wavefront6targetE1EEEvT1_
    .private_segment_fixed_size: 0
    .sgpr_count:     4
    .sgpr_spill_count: 0
    .symbol:         _ZN7rocprim17ROCPRIM_400000_NS6detail17trampoline_kernelINS0_14default_configENS1_29reduce_by_key_config_selectorIslN6thrust23THRUST_200600_302600_NS4plusIlEEEEZZNS1_33reduce_by_key_impl_wrapped_configILNS1_25lookback_scan_determinismE0ES3_S9_PsNS6_17constant_iteratorIiNS6_11use_defaultESE_EENS6_10device_ptrIsEENSG_IlEEPmS8_NS6_8equal_toIsEEEE10hipError_tPvRmT2_T3_mT4_T5_T6_T7_T8_P12ihipStream_tbENKUlT_T0_E_clISt17integral_constantIbLb0EES13_EEDaSY_SZ_EUlSY_E_NS1_11comp_targetILNS1_3genE2ELNS1_11target_archE906ELNS1_3gpuE6ELNS1_3repE0EEENS1_30default_config_static_selectorELNS0_4arch9wavefront6targetE1EEEvT1_.kd
    .uniform_work_group_size: 1
    .uses_dynamic_stack: false
    .vgpr_count:     0
    .vgpr_spill_count: 0
    .wavefront_size: 64
  - .agpr_count:     0
    .args:
      - .offset:         0
        .size:           144
        .value_kind:     by_value
    .group_segment_fixed_size: 0
    .kernarg_segment_align: 8
    .kernarg_segment_size: 144
    .language:       OpenCL C
    .language_version:
      - 2
      - 0
    .max_flat_workgroup_size: 256
    .name:           _ZN7rocprim17ROCPRIM_400000_NS6detail17trampoline_kernelINS0_14default_configENS1_29reduce_by_key_config_selectorIslN6thrust23THRUST_200600_302600_NS4plusIlEEEEZZNS1_33reduce_by_key_impl_wrapped_configILNS1_25lookback_scan_determinismE0ES3_S9_PsNS6_17constant_iteratorIiNS6_11use_defaultESE_EENS6_10device_ptrIsEENSG_IlEEPmS8_NS6_8equal_toIsEEEE10hipError_tPvRmT2_T3_mT4_T5_T6_T7_T8_P12ihipStream_tbENKUlT_T0_E_clISt17integral_constantIbLb0EES13_EEDaSY_SZ_EUlSY_E_NS1_11comp_targetILNS1_3genE10ELNS1_11target_archE1201ELNS1_3gpuE5ELNS1_3repE0EEENS1_30default_config_static_selectorELNS0_4arch9wavefront6targetE1EEEvT1_
    .private_segment_fixed_size: 0
    .sgpr_count:     4
    .sgpr_spill_count: 0
    .symbol:         _ZN7rocprim17ROCPRIM_400000_NS6detail17trampoline_kernelINS0_14default_configENS1_29reduce_by_key_config_selectorIslN6thrust23THRUST_200600_302600_NS4plusIlEEEEZZNS1_33reduce_by_key_impl_wrapped_configILNS1_25lookback_scan_determinismE0ES3_S9_PsNS6_17constant_iteratorIiNS6_11use_defaultESE_EENS6_10device_ptrIsEENSG_IlEEPmS8_NS6_8equal_toIsEEEE10hipError_tPvRmT2_T3_mT4_T5_T6_T7_T8_P12ihipStream_tbENKUlT_T0_E_clISt17integral_constantIbLb0EES13_EEDaSY_SZ_EUlSY_E_NS1_11comp_targetILNS1_3genE10ELNS1_11target_archE1201ELNS1_3gpuE5ELNS1_3repE0EEENS1_30default_config_static_selectorELNS0_4arch9wavefront6targetE1EEEvT1_.kd
    .uniform_work_group_size: 1
    .uses_dynamic_stack: false
    .vgpr_count:     0
    .vgpr_spill_count: 0
    .wavefront_size: 64
  - .agpr_count:     0
    .args:
      - .offset:         0
        .size:           144
        .value_kind:     by_value
    .group_segment_fixed_size: 0
    .kernarg_segment_align: 8
    .kernarg_segment_size: 144
    .language:       OpenCL C
    .language_version:
      - 2
      - 0
    .max_flat_workgroup_size: 256
    .name:           _ZN7rocprim17ROCPRIM_400000_NS6detail17trampoline_kernelINS0_14default_configENS1_29reduce_by_key_config_selectorIslN6thrust23THRUST_200600_302600_NS4plusIlEEEEZZNS1_33reduce_by_key_impl_wrapped_configILNS1_25lookback_scan_determinismE0ES3_S9_PsNS6_17constant_iteratorIiNS6_11use_defaultESE_EENS6_10device_ptrIsEENSG_IlEEPmS8_NS6_8equal_toIsEEEE10hipError_tPvRmT2_T3_mT4_T5_T6_T7_T8_P12ihipStream_tbENKUlT_T0_E_clISt17integral_constantIbLb0EES13_EEDaSY_SZ_EUlSY_E_NS1_11comp_targetILNS1_3genE10ELNS1_11target_archE1200ELNS1_3gpuE4ELNS1_3repE0EEENS1_30default_config_static_selectorELNS0_4arch9wavefront6targetE1EEEvT1_
    .private_segment_fixed_size: 0
    .sgpr_count:     4
    .sgpr_spill_count: 0
    .symbol:         _ZN7rocprim17ROCPRIM_400000_NS6detail17trampoline_kernelINS0_14default_configENS1_29reduce_by_key_config_selectorIslN6thrust23THRUST_200600_302600_NS4plusIlEEEEZZNS1_33reduce_by_key_impl_wrapped_configILNS1_25lookback_scan_determinismE0ES3_S9_PsNS6_17constant_iteratorIiNS6_11use_defaultESE_EENS6_10device_ptrIsEENSG_IlEEPmS8_NS6_8equal_toIsEEEE10hipError_tPvRmT2_T3_mT4_T5_T6_T7_T8_P12ihipStream_tbENKUlT_T0_E_clISt17integral_constantIbLb0EES13_EEDaSY_SZ_EUlSY_E_NS1_11comp_targetILNS1_3genE10ELNS1_11target_archE1200ELNS1_3gpuE4ELNS1_3repE0EEENS1_30default_config_static_selectorELNS0_4arch9wavefront6targetE1EEEvT1_.kd
    .uniform_work_group_size: 1
    .uses_dynamic_stack: false
    .vgpr_count:     0
    .vgpr_spill_count: 0
    .wavefront_size: 64
  - .agpr_count:     0
    .args:
      - .offset:         0
        .size:           144
        .value_kind:     by_value
    .group_segment_fixed_size: 0
    .kernarg_segment_align: 8
    .kernarg_segment_size: 144
    .language:       OpenCL C
    .language_version:
      - 2
      - 0
    .max_flat_workgroup_size: 256
    .name:           _ZN7rocprim17ROCPRIM_400000_NS6detail17trampoline_kernelINS0_14default_configENS1_29reduce_by_key_config_selectorIslN6thrust23THRUST_200600_302600_NS4plusIlEEEEZZNS1_33reduce_by_key_impl_wrapped_configILNS1_25lookback_scan_determinismE0ES3_S9_PsNS6_17constant_iteratorIiNS6_11use_defaultESE_EENS6_10device_ptrIsEENSG_IlEEPmS8_NS6_8equal_toIsEEEE10hipError_tPvRmT2_T3_mT4_T5_T6_T7_T8_P12ihipStream_tbENKUlT_T0_E_clISt17integral_constantIbLb0EES13_EEDaSY_SZ_EUlSY_E_NS1_11comp_targetILNS1_3genE9ELNS1_11target_archE1100ELNS1_3gpuE3ELNS1_3repE0EEENS1_30default_config_static_selectorELNS0_4arch9wavefront6targetE1EEEvT1_
    .private_segment_fixed_size: 0
    .sgpr_count:     4
    .sgpr_spill_count: 0
    .symbol:         _ZN7rocprim17ROCPRIM_400000_NS6detail17trampoline_kernelINS0_14default_configENS1_29reduce_by_key_config_selectorIslN6thrust23THRUST_200600_302600_NS4plusIlEEEEZZNS1_33reduce_by_key_impl_wrapped_configILNS1_25lookback_scan_determinismE0ES3_S9_PsNS6_17constant_iteratorIiNS6_11use_defaultESE_EENS6_10device_ptrIsEENSG_IlEEPmS8_NS6_8equal_toIsEEEE10hipError_tPvRmT2_T3_mT4_T5_T6_T7_T8_P12ihipStream_tbENKUlT_T0_E_clISt17integral_constantIbLb0EES13_EEDaSY_SZ_EUlSY_E_NS1_11comp_targetILNS1_3genE9ELNS1_11target_archE1100ELNS1_3gpuE3ELNS1_3repE0EEENS1_30default_config_static_selectorELNS0_4arch9wavefront6targetE1EEEvT1_.kd
    .uniform_work_group_size: 1
    .uses_dynamic_stack: false
    .vgpr_count:     0
    .vgpr_spill_count: 0
    .wavefront_size: 64
  - .agpr_count:     0
    .args:
      - .offset:         0
        .size:           144
        .value_kind:     by_value
    .group_segment_fixed_size: 0
    .kernarg_segment_align: 8
    .kernarg_segment_size: 144
    .language:       OpenCL C
    .language_version:
      - 2
      - 0
    .max_flat_workgroup_size: 256
    .name:           _ZN7rocprim17ROCPRIM_400000_NS6detail17trampoline_kernelINS0_14default_configENS1_29reduce_by_key_config_selectorIslN6thrust23THRUST_200600_302600_NS4plusIlEEEEZZNS1_33reduce_by_key_impl_wrapped_configILNS1_25lookback_scan_determinismE0ES3_S9_PsNS6_17constant_iteratorIiNS6_11use_defaultESE_EENS6_10device_ptrIsEENSG_IlEEPmS8_NS6_8equal_toIsEEEE10hipError_tPvRmT2_T3_mT4_T5_T6_T7_T8_P12ihipStream_tbENKUlT_T0_E_clISt17integral_constantIbLb0EES13_EEDaSY_SZ_EUlSY_E_NS1_11comp_targetILNS1_3genE8ELNS1_11target_archE1030ELNS1_3gpuE2ELNS1_3repE0EEENS1_30default_config_static_selectorELNS0_4arch9wavefront6targetE1EEEvT1_
    .private_segment_fixed_size: 0
    .sgpr_count:     4
    .sgpr_spill_count: 0
    .symbol:         _ZN7rocprim17ROCPRIM_400000_NS6detail17trampoline_kernelINS0_14default_configENS1_29reduce_by_key_config_selectorIslN6thrust23THRUST_200600_302600_NS4plusIlEEEEZZNS1_33reduce_by_key_impl_wrapped_configILNS1_25lookback_scan_determinismE0ES3_S9_PsNS6_17constant_iteratorIiNS6_11use_defaultESE_EENS6_10device_ptrIsEENSG_IlEEPmS8_NS6_8equal_toIsEEEE10hipError_tPvRmT2_T3_mT4_T5_T6_T7_T8_P12ihipStream_tbENKUlT_T0_E_clISt17integral_constantIbLb0EES13_EEDaSY_SZ_EUlSY_E_NS1_11comp_targetILNS1_3genE8ELNS1_11target_archE1030ELNS1_3gpuE2ELNS1_3repE0EEENS1_30default_config_static_selectorELNS0_4arch9wavefront6targetE1EEEvT1_.kd
    .uniform_work_group_size: 1
    .uses_dynamic_stack: false
    .vgpr_count:     0
    .vgpr_spill_count: 0
    .wavefront_size: 64
  - .agpr_count:     0
    .args:
      - .offset:         0
        .size:           144
        .value_kind:     by_value
    .group_segment_fixed_size: 0
    .kernarg_segment_align: 8
    .kernarg_segment_size: 144
    .language:       OpenCL C
    .language_version:
      - 2
      - 0
    .max_flat_workgroup_size: 256
    .name:           _ZN7rocprim17ROCPRIM_400000_NS6detail17trampoline_kernelINS0_14default_configENS1_29reduce_by_key_config_selectorIslN6thrust23THRUST_200600_302600_NS4plusIlEEEEZZNS1_33reduce_by_key_impl_wrapped_configILNS1_25lookback_scan_determinismE0ES3_S9_PsNS6_17constant_iteratorIiNS6_11use_defaultESE_EENS6_10device_ptrIsEENSG_IlEEPmS8_NS6_8equal_toIsEEEE10hipError_tPvRmT2_T3_mT4_T5_T6_T7_T8_P12ihipStream_tbENKUlT_T0_E_clISt17integral_constantIbLb1EES13_EEDaSY_SZ_EUlSY_E_NS1_11comp_targetILNS1_3genE0ELNS1_11target_archE4294967295ELNS1_3gpuE0ELNS1_3repE0EEENS1_30default_config_static_selectorELNS0_4arch9wavefront6targetE1EEEvT1_
    .private_segment_fixed_size: 0
    .sgpr_count:     4
    .sgpr_spill_count: 0
    .symbol:         _ZN7rocprim17ROCPRIM_400000_NS6detail17trampoline_kernelINS0_14default_configENS1_29reduce_by_key_config_selectorIslN6thrust23THRUST_200600_302600_NS4plusIlEEEEZZNS1_33reduce_by_key_impl_wrapped_configILNS1_25lookback_scan_determinismE0ES3_S9_PsNS6_17constant_iteratorIiNS6_11use_defaultESE_EENS6_10device_ptrIsEENSG_IlEEPmS8_NS6_8equal_toIsEEEE10hipError_tPvRmT2_T3_mT4_T5_T6_T7_T8_P12ihipStream_tbENKUlT_T0_E_clISt17integral_constantIbLb1EES13_EEDaSY_SZ_EUlSY_E_NS1_11comp_targetILNS1_3genE0ELNS1_11target_archE4294967295ELNS1_3gpuE0ELNS1_3repE0EEENS1_30default_config_static_selectorELNS0_4arch9wavefront6targetE1EEEvT1_.kd
    .uniform_work_group_size: 1
    .uses_dynamic_stack: false
    .vgpr_count:     0
    .vgpr_spill_count: 0
    .wavefront_size: 64
  - .agpr_count:     0
    .args:
      - .offset:         0
        .size:           144
        .value_kind:     by_value
    .group_segment_fixed_size: 0
    .kernarg_segment_align: 8
    .kernarg_segment_size: 144
    .language:       OpenCL C
    .language_version:
      - 2
      - 0
    .max_flat_workgroup_size: 256
    .name:           _ZN7rocprim17ROCPRIM_400000_NS6detail17trampoline_kernelINS0_14default_configENS1_29reduce_by_key_config_selectorIslN6thrust23THRUST_200600_302600_NS4plusIlEEEEZZNS1_33reduce_by_key_impl_wrapped_configILNS1_25lookback_scan_determinismE0ES3_S9_PsNS6_17constant_iteratorIiNS6_11use_defaultESE_EENS6_10device_ptrIsEENSG_IlEEPmS8_NS6_8equal_toIsEEEE10hipError_tPvRmT2_T3_mT4_T5_T6_T7_T8_P12ihipStream_tbENKUlT_T0_E_clISt17integral_constantIbLb1EES13_EEDaSY_SZ_EUlSY_E_NS1_11comp_targetILNS1_3genE5ELNS1_11target_archE942ELNS1_3gpuE9ELNS1_3repE0EEENS1_30default_config_static_selectorELNS0_4arch9wavefront6targetE1EEEvT1_
    .private_segment_fixed_size: 0
    .sgpr_count:     4
    .sgpr_spill_count: 0
    .symbol:         _ZN7rocprim17ROCPRIM_400000_NS6detail17trampoline_kernelINS0_14default_configENS1_29reduce_by_key_config_selectorIslN6thrust23THRUST_200600_302600_NS4plusIlEEEEZZNS1_33reduce_by_key_impl_wrapped_configILNS1_25lookback_scan_determinismE0ES3_S9_PsNS6_17constant_iteratorIiNS6_11use_defaultESE_EENS6_10device_ptrIsEENSG_IlEEPmS8_NS6_8equal_toIsEEEE10hipError_tPvRmT2_T3_mT4_T5_T6_T7_T8_P12ihipStream_tbENKUlT_T0_E_clISt17integral_constantIbLb1EES13_EEDaSY_SZ_EUlSY_E_NS1_11comp_targetILNS1_3genE5ELNS1_11target_archE942ELNS1_3gpuE9ELNS1_3repE0EEENS1_30default_config_static_selectorELNS0_4arch9wavefront6targetE1EEEvT1_.kd
    .uniform_work_group_size: 1
    .uses_dynamic_stack: false
    .vgpr_count:     0
    .vgpr_spill_count: 0
    .wavefront_size: 64
  - .agpr_count:     0
    .args:
      - .offset:         0
        .size:           144
        .value_kind:     by_value
    .group_segment_fixed_size: 30720
    .kernarg_segment_align: 8
    .kernarg_segment_size: 144
    .language:       OpenCL C
    .language_version:
      - 2
      - 0
    .max_flat_workgroup_size: 256
    .name:           _ZN7rocprim17ROCPRIM_400000_NS6detail17trampoline_kernelINS0_14default_configENS1_29reduce_by_key_config_selectorIslN6thrust23THRUST_200600_302600_NS4plusIlEEEEZZNS1_33reduce_by_key_impl_wrapped_configILNS1_25lookback_scan_determinismE0ES3_S9_PsNS6_17constant_iteratorIiNS6_11use_defaultESE_EENS6_10device_ptrIsEENSG_IlEEPmS8_NS6_8equal_toIsEEEE10hipError_tPvRmT2_T3_mT4_T5_T6_T7_T8_P12ihipStream_tbENKUlT_T0_E_clISt17integral_constantIbLb1EES13_EEDaSY_SZ_EUlSY_E_NS1_11comp_targetILNS1_3genE4ELNS1_11target_archE910ELNS1_3gpuE8ELNS1_3repE0EEENS1_30default_config_static_selectorELNS0_4arch9wavefront6targetE1EEEvT1_
    .private_segment_fixed_size: 0
    .sgpr_count:     70
    .sgpr_spill_count: 0
    .symbol:         _ZN7rocprim17ROCPRIM_400000_NS6detail17trampoline_kernelINS0_14default_configENS1_29reduce_by_key_config_selectorIslN6thrust23THRUST_200600_302600_NS4plusIlEEEEZZNS1_33reduce_by_key_impl_wrapped_configILNS1_25lookback_scan_determinismE0ES3_S9_PsNS6_17constant_iteratorIiNS6_11use_defaultESE_EENS6_10device_ptrIsEENSG_IlEEPmS8_NS6_8equal_toIsEEEE10hipError_tPvRmT2_T3_mT4_T5_T6_T7_T8_P12ihipStream_tbENKUlT_T0_E_clISt17integral_constantIbLb1EES13_EEDaSY_SZ_EUlSY_E_NS1_11comp_targetILNS1_3genE4ELNS1_11target_archE910ELNS1_3gpuE8ELNS1_3repE0EEENS1_30default_config_static_selectorELNS0_4arch9wavefront6targetE1EEEvT1_.kd
    .uniform_work_group_size: 1
    .uses_dynamic_stack: false
    .vgpr_count:     127
    .vgpr_spill_count: 0
    .wavefront_size: 64
  - .agpr_count:     0
    .args:
      - .offset:         0
        .size:           144
        .value_kind:     by_value
    .group_segment_fixed_size: 0
    .kernarg_segment_align: 8
    .kernarg_segment_size: 144
    .language:       OpenCL C
    .language_version:
      - 2
      - 0
    .max_flat_workgroup_size: 256
    .name:           _ZN7rocprim17ROCPRIM_400000_NS6detail17trampoline_kernelINS0_14default_configENS1_29reduce_by_key_config_selectorIslN6thrust23THRUST_200600_302600_NS4plusIlEEEEZZNS1_33reduce_by_key_impl_wrapped_configILNS1_25lookback_scan_determinismE0ES3_S9_PsNS6_17constant_iteratorIiNS6_11use_defaultESE_EENS6_10device_ptrIsEENSG_IlEEPmS8_NS6_8equal_toIsEEEE10hipError_tPvRmT2_T3_mT4_T5_T6_T7_T8_P12ihipStream_tbENKUlT_T0_E_clISt17integral_constantIbLb1EES13_EEDaSY_SZ_EUlSY_E_NS1_11comp_targetILNS1_3genE3ELNS1_11target_archE908ELNS1_3gpuE7ELNS1_3repE0EEENS1_30default_config_static_selectorELNS0_4arch9wavefront6targetE1EEEvT1_
    .private_segment_fixed_size: 0
    .sgpr_count:     4
    .sgpr_spill_count: 0
    .symbol:         _ZN7rocprim17ROCPRIM_400000_NS6detail17trampoline_kernelINS0_14default_configENS1_29reduce_by_key_config_selectorIslN6thrust23THRUST_200600_302600_NS4plusIlEEEEZZNS1_33reduce_by_key_impl_wrapped_configILNS1_25lookback_scan_determinismE0ES3_S9_PsNS6_17constant_iteratorIiNS6_11use_defaultESE_EENS6_10device_ptrIsEENSG_IlEEPmS8_NS6_8equal_toIsEEEE10hipError_tPvRmT2_T3_mT4_T5_T6_T7_T8_P12ihipStream_tbENKUlT_T0_E_clISt17integral_constantIbLb1EES13_EEDaSY_SZ_EUlSY_E_NS1_11comp_targetILNS1_3genE3ELNS1_11target_archE908ELNS1_3gpuE7ELNS1_3repE0EEENS1_30default_config_static_selectorELNS0_4arch9wavefront6targetE1EEEvT1_.kd
    .uniform_work_group_size: 1
    .uses_dynamic_stack: false
    .vgpr_count:     0
    .vgpr_spill_count: 0
    .wavefront_size: 64
  - .agpr_count:     0
    .args:
      - .offset:         0
        .size:           144
        .value_kind:     by_value
    .group_segment_fixed_size: 0
    .kernarg_segment_align: 8
    .kernarg_segment_size: 144
    .language:       OpenCL C
    .language_version:
      - 2
      - 0
    .max_flat_workgroup_size: 256
    .name:           _ZN7rocprim17ROCPRIM_400000_NS6detail17trampoline_kernelINS0_14default_configENS1_29reduce_by_key_config_selectorIslN6thrust23THRUST_200600_302600_NS4plusIlEEEEZZNS1_33reduce_by_key_impl_wrapped_configILNS1_25lookback_scan_determinismE0ES3_S9_PsNS6_17constant_iteratorIiNS6_11use_defaultESE_EENS6_10device_ptrIsEENSG_IlEEPmS8_NS6_8equal_toIsEEEE10hipError_tPvRmT2_T3_mT4_T5_T6_T7_T8_P12ihipStream_tbENKUlT_T0_E_clISt17integral_constantIbLb1EES13_EEDaSY_SZ_EUlSY_E_NS1_11comp_targetILNS1_3genE2ELNS1_11target_archE906ELNS1_3gpuE6ELNS1_3repE0EEENS1_30default_config_static_selectorELNS0_4arch9wavefront6targetE1EEEvT1_
    .private_segment_fixed_size: 0
    .sgpr_count:     4
    .sgpr_spill_count: 0
    .symbol:         _ZN7rocprim17ROCPRIM_400000_NS6detail17trampoline_kernelINS0_14default_configENS1_29reduce_by_key_config_selectorIslN6thrust23THRUST_200600_302600_NS4plusIlEEEEZZNS1_33reduce_by_key_impl_wrapped_configILNS1_25lookback_scan_determinismE0ES3_S9_PsNS6_17constant_iteratorIiNS6_11use_defaultESE_EENS6_10device_ptrIsEENSG_IlEEPmS8_NS6_8equal_toIsEEEE10hipError_tPvRmT2_T3_mT4_T5_T6_T7_T8_P12ihipStream_tbENKUlT_T0_E_clISt17integral_constantIbLb1EES13_EEDaSY_SZ_EUlSY_E_NS1_11comp_targetILNS1_3genE2ELNS1_11target_archE906ELNS1_3gpuE6ELNS1_3repE0EEENS1_30default_config_static_selectorELNS0_4arch9wavefront6targetE1EEEvT1_.kd
    .uniform_work_group_size: 1
    .uses_dynamic_stack: false
    .vgpr_count:     0
    .vgpr_spill_count: 0
    .wavefront_size: 64
  - .agpr_count:     0
    .args:
      - .offset:         0
        .size:           144
        .value_kind:     by_value
    .group_segment_fixed_size: 0
    .kernarg_segment_align: 8
    .kernarg_segment_size: 144
    .language:       OpenCL C
    .language_version:
      - 2
      - 0
    .max_flat_workgroup_size: 256
    .name:           _ZN7rocprim17ROCPRIM_400000_NS6detail17trampoline_kernelINS0_14default_configENS1_29reduce_by_key_config_selectorIslN6thrust23THRUST_200600_302600_NS4plusIlEEEEZZNS1_33reduce_by_key_impl_wrapped_configILNS1_25lookback_scan_determinismE0ES3_S9_PsNS6_17constant_iteratorIiNS6_11use_defaultESE_EENS6_10device_ptrIsEENSG_IlEEPmS8_NS6_8equal_toIsEEEE10hipError_tPvRmT2_T3_mT4_T5_T6_T7_T8_P12ihipStream_tbENKUlT_T0_E_clISt17integral_constantIbLb1EES13_EEDaSY_SZ_EUlSY_E_NS1_11comp_targetILNS1_3genE10ELNS1_11target_archE1201ELNS1_3gpuE5ELNS1_3repE0EEENS1_30default_config_static_selectorELNS0_4arch9wavefront6targetE1EEEvT1_
    .private_segment_fixed_size: 0
    .sgpr_count:     4
    .sgpr_spill_count: 0
    .symbol:         _ZN7rocprim17ROCPRIM_400000_NS6detail17trampoline_kernelINS0_14default_configENS1_29reduce_by_key_config_selectorIslN6thrust23THRUST_200600_302600_NS4plusIlEEEEZZNS1_33reduce_by_key_impl_wrapped_configILNS1_25lookback_scan_determinismE0ES3_S9_PsNS6_17constant_iteratorIiNS6_11use_defaultESE_EENS6_10device_ptrIsEENSG_IlEEPmS8_NS6_8equal_toIsEEEE10hipError_tPvRmT2_T3_mT4_T5_T6_T7_T8_P12ihipStream_tbENKUlT_T0_E_clISt17integral_constantIbLb1EES13_EEDaSY_SZ_EUlSY_E_NS1_11comp_targetILNS1_3genE10ELNS1_11target_archE1201ELNS1_3gpuE5ELNS1_3repE0EEENS1_30default_config_static_selectorELNS0_4arch9wavefront6targetE1EEEvT1_.kd
    .uniform_work_group_size: 1
    .uses_dynamic_stack: false
    .vgpr_count:     0
    .vgpr_spill_count: 0
    .wavefront_size: 64
  - .agpr_count:     0
    .args:
      - .offset:         0
        .size:           144
        .value_kind:     by_value
    .group_segment_fixed_size: 0
    .kernarg_segment_align: 8
    .kernarg_segment_size: 144
    .language:       OpenCL C
    .language_version:
      - 2
      - 0
    .max_flat_workgroup_size: 256
    .name:           _ZN7rocprim17ROCPRIM_400000_NS6detail17trampoline_kernelINS0_14default_configENS1_29reduce_by_key_config_selectorIslN6thrust23THRUST_200600_302600_NS4plusIlEEEEZZNS1_33reduce_by_key_impl_wrapped_configILNS1_25lookback_scan_determinismE0ES3_S9_PsNS6_17constant_iteratorIiNS6_11use_defaultESE_EENS6_10device_ptrIsEENSG_IlEEPmS8_NS6_8equal_toIsEEEE10hipError_tPvRmT2_T3_mT4_T5_T6_T7_T8_P12ihipStream_tbENKUlT_T0_E_clISt17integral_constantIbLb1EES13_EEDaSY_SZ_EUlSY_E_NS1_11comp_targetILNS1_3genE10ELNS1_11target_archE1200ELNS1_3gpuE4ELNS1_3repE0EEENS1_30default_config_static_selectorELNS0_4arch9wavefront6targetE1EEEvT1_
    .private_segment_fixed_size: 0
    .sgpr_count:     4
    .sgpr_spill_count: 0
    .symbol:         _ZN7rocprim17ROCPRIM_400000_NS6detail17trampoline_kernelINS0_14default_configENS1_29reduce_by_key_config_selectorIslN6thrust23THRUST_200600_302600_NS4plusIlEEEEZZNS1_33reduce_by_key_impl_wrapped_configILNS1_25lookback_scan_determinismE0ES3_S9_PsNS6_17constant_iteratorIiNS6_11use_defaultESE_EENS6_10device_ptrIsEENSG_IlEEPmS8_NS6_8equal_toIsEEEE10hipError_tPvRmT2_T3_mT4_T5_T6_T7_T8_P12ihipStream_tbENKUlT_T0_E_clISt17integral_constantIbLb1EES13_EEDaSY_SZ_EUlSY_E_NS1_11comp_targetILNS1_3genE10ELNS1_11target_archE1200ELNS1_3gpuE4ELNS1_3repE0EEENS1_30default_config_static_selectorELNS0_4arch9wavefront6targetE1EEEvT1_.kd
    .uniform_work_group_size: 1
    .uses_dynamic_stack: false
    .vgpr_count:     0
    .vgpr_spill_count: 0
    .wavefront_size: 64
  - .agpr_count:     0
    .args:
      - .offset:         0
        .size:           144
        .value_kind:     by_value
    .group_segment_fixed_size: 0
    .kernarg_segment_align: 8
    .kernarg_segment_size: 144
    .language:       OpenCL C
    .language_version:
      - 2
      - 0
    .max_flat_workgroup_size: 256
    .name:           _ZN7rocprim17ROCPRIM_400000_NS6detail17trampoline_kernelINS0_14default_configENS1_29reduce_by_key_config_selectorIslN6thrust23THRUST_200600_302600_NS4plusIlEEEEZZNS1_33reduce_by_key_impl_wrapped_configILNS1_25lookback_scan_determinismE0ES3_S9_PsNS6_17constant_iteratorIiNS6_11use_defaultESE_EENS6_10device_ptrIsEENSG_IlEEPmS8_NS6_8equal_toIsEEEE10hipError_tPvRmT2_T3_mT4_T5_T6_T7_T8_P12ihipStream_tbENKUlT_T0_E_clISt17integral_constantIbLb1EES13_EEDaSY_SZ_EUlSY_E_NS1_11comp_targetILNS1_3genE9ELNS1_11target_archE1100ELNS1_3gpuE3ELNS1_3repE0EEENS1_30default_config_static_selectorELNS0_4arch9wavefront6targetE1EEEvT1_
    .private_segment_fixed_size: 0
    .sgpr_count:     4
    .sgpr_spill_count: 0
    .symbol:         _ZN7rocprim17ROCPRIM_400000_NS6detail17trampoline_kernelINS0_14default_configENS1_29reduce_by_key_config_selectorIslN6thrust23THRUST_200600_302600_NS4plusIlEEEEZZNS1_33reduce_by_key_impl_wrapped_configILNS1_25lookback_scan_determinismE0ES3_S9_PsNS6_17constant_iteratorIiNS6_11use_defaultESE_EENS6_10device_ptrIsEENSG_IlEEPmS8_NS6_8equal_toIsEEEE10hipError_tPvRmT2_T3_mT4_T5_T6_T7_T8_P12ihipStream_tbENKUlT_T0_E_clISt17integral_constantIbLb1EES13_EEDaSY_SZ_EUlSY_E_NS1_11comp_targetILNS1_3genE9ELNS1_11target_archE1100ELNS1_3gpuE3ELNS1_3repE0EEENS1_30default_config_static_selectorELNS0_4arch9wavefront6targetE1EEEvT1_.kd
    .uniform_work_group_size: 1
    .uses_dynamic_stack: false
    .vgpr_count:     0
    .vgpr_spill_count: 0
    .wavefront_size: 64
  - .agpr_count:     0
    .args:
      - .offset:         0
        .size:           144
        .value_kind:     by_value
    .group_segment_fixed_size: 0
    .kernarg_segment_align: 8
    .kernarg_segment_size: 144
    .language:       OpenCL C
    .language_version:
      - 2
      - 0
    .max_flat_workgroup_size: 256
    .name:           _ZN7rocprim17ROCPRIM_400000_NS6detail17trampoline_kernelINS0_14default_configENS1_29reduce_by_key_config_selectorIslN6thrust23THRUST_200600_302600_NS4plusIlEEEEZZNS1_33reduce_by_key_impl_wrapped_configILNS1_25lookback_scan_determinismE0ES3_S9_PsNS6_17constant_iteratorIiNS6_11use_defaultESE_EENS6_10device_ptrIsEENSG_IlEEPmS8_NS6_8equal_toIsEEEE10hipError_tPvRmT2_T3_mT4_T5_T6_T7_T8_P12ihipStream_tbENKUlT_T0_E_clISt17integral_constantIbLb1EES13_EEDaSY_SZ_EUlSY_E_NS1_11comp_targetILNS1_3genE8ELNS1_11target_archE1030ELNS1_3gpuE2ELNS1_3repE0EEENS1_30default_config_static_selectorELNS0_4arch9wavefront6targetE1EEEvT1_
    .private_segment_fixed_size: 0
    .sgpr_count:     4
    .sgpr_spill_count: 0
    .symbol:         _ZN7rocprim17ROCPRIM_400000_NS6detail17trampoline_kernelINS0_14default_configENS1_29reduce_by_key_config_selectorIslN6thrust23THRUST_200600_302600_NS4plusIlEEEEZZNS1_33reduce_by_key_impl_wrapped_configILNS1_25lookback_scan_determinismE0ES3_S9_PsNS6_17constant_iteratorIiNS6_11use_defaultESE_EENS6_10device_ptrIsEENSG_IlEEPmS8_NS6_8equal_toIsEEEE10hipError_tPvRmT2_T3_mT4_T5_T6_T7_T8_P12ihipStream_tbENKUlT_T0_E_clISt17integral_constantIbLb1EES13_EEDaSY_SZ_EUlSY_E_NS1_11comp_targetILNS1_3genE8ELNS1_11target_archE1030ELNS1_3gpuE2ELNS1_3repE0EEENS1_30default_config_static_selectorELNS0_4arch9wavefront6targetE1EEEvT1_.kd
    .uniform_work_group_size: 1
    .uses_dynamic_stack: false
    .vgpr_count:     0
    .vgpr_spill_count: 0
    .wavefront_size: 64
  - .agpr_count:     0
    .args:
      - .offset:         0
        .size:           144
        .value_kind:     by_value
    .group_segment_fixed_size: 0
    .kernarg_segment_align: 8
    .kernarg_segment_size: 144
    .language:       OpenCL C
    .language_version:
      - 2
      - 0
    .max_flat_workgroup_size: 256
    .name:           _ZN7rocprim17ROCPRIM_400000_NS6detail17trampoline_kernelINS0_14default_configENS1_29reduce_by_key_config_selectorIslN6thrust23THRUST_200600_302600_NS4plusIlEEEEZZNS1_33reduce_by_key_impl_wrapped_configILNS1_25lookback_scan_determinismE0ES3_S9_PsNS6_17constant_iteratorIiNS6_11use_defaultESE_EENS6_10device_ptrIsEENSG_IlEEPmS8_NS6_8equal_toIsEEEE10hipError_tPvRmT2_T3_mT4_T5_T6_T7_T8_P12ihipStream_tbENKUlT_T0_E_clISt17integral_constantIbLb1EES12_IbLb0EEEEDaSY_SZ_EUlSY_E_NS1_11comp_targetILNS1_3genE0ELNS1_11target_archE4294967295ELNS1_3gpuE0ELNS1_3repE0EEENS1_30default_config_static_selectorELNS0_4arch9wavefront6targetE1EEEvT1_
    .private_segment_fixed_size: 0
    .sgpr_count:     4
    .sgpr_spill_count: 0
    .symbol:         _ZN7rocprim17ROCPRIM_400000_NS6detail17trampoline_kernelINS0_14default_configENS1_29reduce_by_key_config_selectorIslN6thrust23THRUST_200600_302600_NS4plusIlEEEEZZNS1_33reduce_by_key_impl_wrapped_configILNS1_25lookback_scan_determinismE0ES3_S9_PsNS6_17constant_iteratorIiNS6_11use_defaultESE_EENS6_10device_ptrIsEENSG_IlEEPmS8_NS6_8equal_toIsEEEE10hipError_tPvRmT2_T3_mT4_T5_T6_T7_T8_P12ihipStream_tbENKUlT_T0_E_clISt17integral_constantIbLb1EES12_IbLb0EEEEDaSY_SZ_EUlSY_E_NS1_11comp_targetILNS1_3genE0ELNS1_11target_archE4294967295ELNS1_3gpuE0ELNS1_3repE0EEENS1_30default_config_static_selectorELNS0_4arch9wavefront6targetE1EEEvT1_.kd
    .uniform_work_group_size: 1
    .uses_dynamic_stack: false
    .vgpr_count:     0
    .vgpr_spill_count: 0
    .wavefront_size: 64
  - .agpr_count:     0
    .args:
      - .offset:         0
        .size:           144
        .value_kind:     by_value
    .group_segment_fixed_size: 0
    .kernarg_segment_align: 8
    .kernarg_segment_size: 144
    .language:       OpenCL C
    .language_version:
      - 2
      - 0
    .max_flat_workgroup_size: 256
    .name:           _ZN7rocprim17ROCPRIM_400000_NS6detail17trampoline_kernelINS0_14default_configENS1_29reduce_by_key_config_selectorIslN6thrust23THRUST_200600_302600_NS4plusIlEEEEZZNS1_33reduce_by_key_impl_wrapped_configILNS1_25lookback_scan_determinismE0ES3_S9_PsNS6_17constant_iteratorIiNS6_11use_defaultESE_EENS6_10device_ptrIsEENSG_IlEEPmS8_NS6_8equal_toIsEEEE10hipError_tPvRmT2_T3_mT4_T5_T6_T7_T8_P12ihipStream_tbENKUlT_T0_E_clISt17integral_constantIbLb1EES12_IbLb0EEEEDaSY_SZ_EUlSY_E_NS1_11comp_targetILNS1_3genE5ELNS1_11target_archE942ELNS1_3gpuE9ELNS1_3repE0EEENS1_30default_config_static_selectorELNS0_4arch9wavefront6targetE1EEEvT1_
    .private_segment_fixed_size: 0
    .sgpr_count:     4
    .sgpr_spill_count: 0
    .symbol:         _ZN7rocprim17ROCPRIM_400000_NS6detail17trampoline_kernelINS0_14default_configENS1_29reduce_by_key_config_selectorIslN6thrust23THRUST_200600_302600_NS4plusIlEEEEZZNS1_33reduce_by_key_impl_wrapped_configILNS1_25lookback_scan_determinismE0ES3_S9_PsNS6_17constant_iteratorIiNS6_11use_defaultESE_EENS6_10device_ptrIsEENSG_IlEEPmS8_NS6_8equal_toIsEEEE10hipError_tPvRmT2_T3_mT4_T5_T6_T7_T8_P12ihipStream_tbENKUlT_T0_E_clISt17integral_constantIbLb1EES12_IbLb0EEEEDaSY_SZ_EUlSY_E_NS1_11comp_targetILNS1_3genE5ELNS1_11target_archE942ELNS1_3gpuE9ELNS1_3repE0EEENS1_30default_config_static_selectorELNS0_4arch9wavefront6targetE1EEEvT1_.kd
    .uniform_work_group_size: 1
    .uses_dynamic_stack: false
    .vgpr_count:     0
    .vgpr_spill_count: 0
    .wavefront_size: 64
  - .agpr_count:     0
    .args:
      - .offset:         0
        .size:           144
        .value_kind:     by_value
    .group_segment_fixed_size: 30720
    .kernarg_segment_align: 8
    .kernarg_segment_size: 144
    .language:       OpenCL C
    .language_version:
      - 2
      - 0
    .max_flat_workgroup_size: 256
    .name:           _ZN7rocprim17ROCPRIM_400000_NS6detail17trampoline_kernelINS0_14default_configENS1_29reduce_by_key_config_selectorIslN6thrust23THRUST_200600_302600_NS4plusIlEEEEZZNS1_33reduce_by_key_impl_wrapped_configILNS1_25lookback_scan_determinismE0ES3_S9_PsNS6_17constant_iteratorIiNS6_11use_defaultESE_EENS6_10device_ptrIsEENSG_IlEEPmS8_NS6_8equal_toIsEEEE10hipError_tPvRmT2_T3_mT4_T5_T6_T7_T8_P12ihipStream_tbENKUlT_T0_E_clISt17integral_constantIbLb1EES12_IbLb0EEEEDaSY_SZ_EUlSY_E_NS1_11comp_targetILNS1_3genE4ELNS1_11target_archE910ELNS1_3gpuE8ELNS1_3repE0EEENS1_30default_config_static_selectorELNS0_4arch9wavefront6targetE1EEEvT1_
    .private_segment_fixed_size: 0
    .sgpr_count:     68
    .sgpr_spill_count: 0
    .symbol:         _ZN7rocprim17ROCPRIM_400000_NS6detail17trampoline_kernelINS0_14default_configENS1_29reduce_by_key_config_selectorIslN6thrust23THRUST_200600_302600_NS4plusIlEEEEZZNS1_33reduce_by_key_impl_wrapped_configILNS1_25lookback_scan_determinismE0ES3_S9_PsNS6_17constant_iteratorIiNS6_11use_defaultESE_EENS6_10device_ptrIsEENSG_IlEEPmS8_NS6_8equal_toIsEEEE10hipError_tPvRmT2_T3_mT4_T5_T6_T7_T8_P12ihipStream_tbENKUlT_T0_E_clISt17integral_constantIbLb1EES12_IbLb0EEEEDaSY_SZ_EUlSY_E_NS1_11comp_targetILNS1_3genE4ELNS1_11target_archE910ELNS1_3gpuE8ELNS1_3repE0EEENS1_30default_config_static_selectorELNS0_4arch9wavefront6targetE1EEEvT1_.kd
    .uniform_work_group_size: 1
    .uses_dynamic_stack: false
    .vgpr_count:     127
    .vgpr_spill_count: 0
    .wavefront_size: 64
  - .agpr_count:     0
    .args:
      - .offset:         0
        .size:           144
        .value_kind:     by_value
    .group_segment_fixed_size: 0
    .kernarg_segment_align: 8
    .kernarg_segment_size: 144
    .language:       OpenCL C
    .language_version:
      - 2
      - 0
    .max_flat_workgroup_size: 256
    .name:           _ZN7rocprim17ROCPRIM_400000_NS6detail17trampoline_kernelINS0_14default_configENS1_29reduce_by_key_config_selectorIslN6thrust23THRUST_200600_302600_NS4plusIlEEEEZZNS1_33reduce_by_key_impl_wrapped_configILNS1_25lookback_scan_determinismE0ES3_S9_PsNS6_17constant_iteratorIiNS6_11use_defaultESE_EENS6_10device_ptrIsEENSG_IlEEPmS8_NS6_8equal_toIsEEEE10hipError_tPvRmT2_T3_mT4_T5_T6_T7_T8_P12ihipStream_tbENKUlT_T0_E_clISt17integral_constantIbLb1EES12_IbLb0EEEEDaSY_SZ_EUlSY_E_NS1_11comp_targetILNS1_3genE3ELNS1_11target_archE908ELNS1_3gpuE7ELNS1_3repE0EEENS1_30default_config_static_selectorELNS0_4arch9wavefront6targetE1EEEvT1_
    .private_segment_fixed_size: 0
    .sgpr_count:     4
    .sgpr_spill_count: 0
    .symbol:         _ZN7rocprim17ROCPRIM_400000_NS6detail17trampoline_kernelINS0_14default_configENS1_29reduce_by_key_config_selectorIslN6thrust23THRUST_200600_302600_NS4plusIlEEEEZZNS1_33reduce_by_key_impl_wrapped_configILNS1_25lookback_scan_determinismE0ES3_S9_PsNS6_17constant_iteratorIiNS6_11use_defaultESE_EENS6_10device_ptrIsEENSG_IlEEPmS8_NS6_8equal_toIsEEEE10hipError_tPvRmT2_T3_mT4_T5_T6_T7_T8_P12ihipStream_tbENKUlT_T0_E_clISt17integral_constantIbLb1EES12_IbLb0EEEEDaSY_SZ_EUlSY_E_NS1_11comp_targetILNS1_3genE3ELNS1_11target_archE908ELNS1_3gpuE7ELNS1_3repE0EEENS1_30default_config_static_selectorELNS0_4arch9wavefront6targetE1EEEvT1_.kd
    .uniform_work_group_size: 1
    .uses_dynamic_stack: false
    .vgpr_count:     0
    .vgpr_spill_count: 0
    .wavefront_size: 64
  - .agpr_count:     0
    .args:
      - .offset:         0
        .size:           144
        .value_kind:     by_value
    .group_segment_fixed_size: 0
    .kernarg_segment_align: 8
    .kernarg_segment_size: 144
    .language:       OpenCL C
    .language_version:
      - 2
      - 0
    .max_flat_workgroup_size: 256
    .name:           _ZN7rocprim17ROCPRIM_400000_NS6detail17trampoline_kernelINS0_14default_configENS1_29reduce_by_key_config_selectorIslN6thrust23THRUST_200600_302600_NS4plusIlEEEEZZNS1_33reduce_by_key_impl_wrapped_configILNS1_25lookback_scan_determinismE0ES3_S9_PsNS6_17constant_iteratorIiNS6_11use_defaultESE_EENS6_10device_ptrIsEENSG_IlEEPmS8_NS6_8equal_toIsEEEE10hipError_tPvRmT2_T3_mT4_T5_T6_T7_T8_P12ihipStream_tbENKUlT_T0_E_clISt17integral_constantIbLb1EES12_IbLb0EEEEDaSY_SZ_EUlSY_E_NS1_11comp_targetILNS1_3genE2ELNS1_11target_archE906ELNS1_3gpuE6ELNS1_3repE0EEENS1_30default_config_static_selectorELNS0_4arch9wavefront6targetE1EEEvT1_
    .private_segment_fixed_size: 0
    .sgpr_count:     4
    .sgpr_spill_count: 0
    .symbol:         _ZN7rocprim17ROCPRIM_400000_NS6detail17trampoline_kernelINS0_14default_configENS1_29reduce_by_key_config_selectorIslN6thrust23THRUST_200600_302600_NS4plusIlEEEEZZNS1_33reduce_by_key_impl_wrapped_configILNS1_25lookback_scan_determinismE0ES3_S9_PsNS6_17constant_iteratorIiNS6_11use_defaultESE_EENS6_10device_ptrIsEENSG_IlEEPmS8_NS6_8equal_toIsEEEE10hipError_tPvRmT2_T3_mT4_T5_T6_T7_T8_P12ihipStream_tbENKUlT_T0_E_clISt17integral_constantIbLb1EES12_IbLb0EEEEDaSY_SZ_EUlSY_E_NS1_11comp_targetILNS1_3genE2ELNS1_11target_archE906ELNS1_3gpuE6ELNS1_3repE0EEENS1_30default_config_static_selectorELNS0_4arch9wavefront6targetE1EEEvT1_.kd
    .uniform_work_group_size: 1
    .uses_dynamic_stack: false
    .vgpr_count:     0
    .vgpr_spill_count: 0
    .wavefront_size: 64
  - .agpr_count:     0
    .args:
      - .offset:         0
        .size:           144
        .value_kind:     by_value
    .group_segment_fixed_size: 0
    .kernarg_segment_align: 8
    .kernarg_segment_size: 144
    .language:       OpenCL C
    .language_version:
      - 2
      - 0
    .max_flat_workgroup_size: 256
    .name:           _ZN7rocprim17ROCPRIM_400000_NS6detail17trampoline_kernelINS0_14default_configENS1_29reduce_by_key_config_selectorIslN6thrust23THRUST_200600_302600_NS4plusIlEEEEZZNS1_33reduce_by_key_impl_wrapped_configILNS1_25lookback_scan_determinismE0ES3_S9_PsNS6_17constant_iteratorIiNS6_11use_defaultESE_EENS6_10device_ptrIsEENSG_IlEEPmS8_NS6_8equal_toIsEEEE10hipError_tPvRmT2_T3_mT4_T5_T6_T7_T8_P12ihipStream_tbENKUlT_T0_E_clISt17integral_constantIbLb1EES12_IbLb0EEEEDaSY_SZ_EUlSY_E_NS1_11comp_targetILNS1_3genE10ELNS1_11target_archE1201ELNS1_3gpuE5ELNS1_3repE0EEENS1_30default_config_static_selectorELNS0_4arch9wavefront6targetE1EEEvT1_
    .private_segment_fixed_size: 0
    .sgpr_count:     4
    .sgpr_spill_count: 0
    .symbol:         _ZN7rocprim17ROCPRIM_400000_NS6detail17trampoline_kernelINS0_14default_configENS1_29reduce_by_key_config_selectorIslN6thrust23THRUST_200600_302600_NS4plusIlEEEEZZNS1_33reduce_by_key_impl_wrapped_configILNS1_25lookback_scan_determinismE0ES3_S9_PsNS6_17constant_iteratorIiNS6_11use_defaultESE_EENS6_10device_ptrIsEENSG_IlEEPmS8_NS6_8equal_toIsEEEE10hipError_tPvRmT2_T3_mT4_T5_T6_T7_T8_P12ihipStream_tbENKUlT_T0_E_clISt17integral_constantIbLb1EES12_IbLb0EEEEDaSY_SZ_EUlSY_E_NS1_11comp_targetILNS1_3genE10ELNS1_11target_archE1201ELNS1_3gpuE5ELNS1_3repE0EEENS1_30default_config_static_selectorELNS0_4arch9wavefront6targetE1EEEvT1_.kd
    .uniform_work_group_size: 1
    .uses_dynamic_stack: false
    .vgpr_count:     0
    .vgpr_spill_count: 0
    .wavefront_size: 64
  - .agpr_count:     0
    .args:
      - .offset:         0
        .size:           144
        .value_kind:     by_value
    .group_segment_fixed_size: 0
    .kernarg_segment_align: 8
    .kernarg_segment_size: 144
    .language:       OpenCL C
    .language_version:
      - 2
      - 0
    .max_flat_workgroup_size: 256
    .name:           _ZN7rocprim17ROCPRIM_400000_NS6detail17trampoline_kernelINS0_14default_configENS1_29reduce_by_key_config_selectorIslN6thrust23THRUST_200600_302600_NS4plusIlEEEEZZNS1_33reduce_by_key_impl_wrapped_configILNS1_25lookback_scan_determinismE0ES3_S9_PsNS6_17constant_iteratorIiNS6_11use_defaultESE_EENS6_10device_ptrIsEENSG_IlEEPmS8_NS6_8equal_toIsEEEE10hipError_tPvRmT2_T3_mT4_T5_T6_T7_T8_P12ihipStream_tbENKUlT_T0_E_clISt17integral_constantIbLb1EES12_IbLb0EEEEDaSY_SZ_EUlSY_E_NS1_11comp_targetILNS1_3genE10ELNS1_11target_archE1200ELNS1_3gpuE4ELNS1_3repE0EEENS1_30default_config_static_selectorELNS0_4arch9wavefront6targetE1EEEvT1_
    .private_segment_fixed_size: 0
    .sgpr_count:     4
    .sgpr_spill_count: 0
    .symbol:         _ZN7rocprim17ROCPRIM_400000_NS6detail17trampoline_kernelINS0_14default_configENS1_29reduce_by_key_config_selectorIslN6thrust23THRUST_200600_302600_NS4plusIlEEEEZZNS1_33reduce_by_key_impl_wrapped_configILNS1_25lookback_scan_determinismE0ES3_S9_PsNS6_17constant_iteratorIiNS6_11use_defaultESE_EENS6_10device_ptrIsEENSG_IlEEPmS8_NS6_8equal_toIsEEEE10hipError_tPvRmT2_T3_mT4_T5_T6_T7_T8_P12ihipStream_tbENKUlT_T0_E_clISt17integral_constantIbLb1EES12_IbLb0EEEEDaSY_SZ_EUlSY_E_NS1_11comp_targetILNS1_3genE10ELNS1_11target_archE1200ELNS1_3gpuE4ELNS1_3repE0EEENS1_30default_config_static_selectorELNS0_4arch9wavefront6targetE1EEEvT1_.kd
    .uniform_work_group_size: 1
    .uses_dynamic_stack: false
    .vgpr_count:     0
    .vgpr_spill_count: 0
    .wavefront_size: 64
  - .agpr_count:     0
    .args:
      - .offset:         0
        .size:           144
        .value_kind:     by_value
    .group_segment_fixed_size: 0
    .kernarg_segment_align: 8
    .kernarg_segment_size: 144
    .language:       OpenCL C
    .language_version:
      - 2
      - 0
    .max_flat_workgroup_size: 256
    .name:           _ZN7rocprim17ROCPRIM_400000_NS6detail17trampoline_kernelINS0_14default_configENS1_29reduce_by_key_config_selectorIslN6thrust23THRUST_200600_302600_NS4plusIlEEEEZZNS1_33reduce_by_key_impl_wrapped_configILNS1_25lookback_scan_determinismE0ES3_S9_PsNS6_17constant_iteratorIiNS6_11use_defaultESE_EENS6_10device_ptrIsEENSG_IlEEPmS8_NS6_8equal_toIsEEEE10hipError_tPvRmT2_T3_mT4_T5_T6_T7_T8_P12ihipStream_tbENKUlT_T0_E_clISt17integral_constantIbLb1EES12_IbLb0EEEEDaSY_SZ_EUlSY_E_NS1_11comp_targetILNS1_3genE9ELNS1_11target_archE1100ELNS1_3gpuE3ELNS1_3repE0EEENS1_30default_config_static_selectorELNS0_4arch9wavefront6targetE1EEEvT1_
    .private_segment_fixed_size: 0
    .sgpr_count:     4
    .sgpr_spill_count: 0
    .symbol:         _ZN7rocprim17ROCPRIM_400000_NS6detail17trampoline_kernelINS0_14default_configENS1_29reduce_by_key_config_selectorIslN6thrust23THRUST_200600_302600_NS4plusIlEEEEZZNS1_33reduce_by_key_impl_wrapped_configILNS1_25lookback_scan_determinismE0ES3_S9_PsNS6_17constant_iteratorIiNS6_11use_defaultESE_EENS6_10device_ptrIsEENSG_IlEEPmS8_NS6_8equal_toIsEEEE10hipError_tPvRmT2_T3_mT4_T5_T6_T7_T8_P12ihipStream_tbENKUlT_T0_E_clISt17integral_constantIbLb1EES12_IbLb0EEEEDaSY_SZ_EUlSY_E_NS1_11comp_targetILNS1_3genE9ELNS1_11target_archE1100ELNS1_3gpuE3ELNS1_3repE0EEENS1_30default_config_static_selectorELNS0_4arch9wavefront6targetE1EEEvT1_.kd
    .uniform_work_group_size: 1
    .uses_dynamic_stack: false
    .vgpr_count:     0
    .vgpr_spill_count: 0
    .wavefront_size: 64
  - .agpr_count:     0
    .args:
      - .offset:         0
        .size:           144
        .value_kind:     by_value
    .group_segment_fixed_size: 0
    .kernarg_segment_align: 8
    .kernarg_segment_size: 144
    .language:       OpenCL C
    .language_version:
      - 2
      - 0
    .max_flat_workgroup_size: 256
    .name:           _ZN7rocprim17ROCPRIM_400000_NS6detail17trampoline_kernelINS0_14default_configENS1_29reduce_by_key_config_selectorIslN6thrust23THRUST_200600_302600_NS4plusIlEEEEZZNS1_33reduce_by_key_impl_wrapped_configILNS1_25lookback_scan_determinismE0ES3_S9_PsNS6_17constant_iteratorIiNS6_11use_defaultESE_EENS6_10device_ptrIsEENSG_IlEEPmS8_NS6_8equal_toIsEEEE10hipError_tPvRmT2_T3_mT4_T5_T6_T7_T8_P12ihipStream_tbENKUlT_T0_E_clISt17integral_constantIbLb1EES12_IbLb0EEEEDaSY_SZ_EUlSY_E_NS1_11comp_targetILNS1_3genE8ELNS1_11target_archE1030ELNS1_3gpuE2ELNS1_3repE0EEENS1_30default_config_static_selectorELNS0_4arch9wavefront6targetE1EEEvT1_
    .private_segment_fixed_size: 0
    .sgpr_count:     4
    .sgpr_spill_count: 0
    .symbol:         _ZN7rocprim17ROCPRIM_400000_NS6detail17trampoline_kernelINS0_14default_configENS1_29reduce_by_key_config_selectorIslN6thrust23THRUST_200600_302600_NS4plusIlEEEEZZNS1_33reduce_by_key_impl_wrapped_configILNS1_25lookback_scan_determinismE0ES3_S9_PsNS6_17constant_iteratorIiNS6_11use_defaultESE_EENS6_10device_ptrIsEENSG_IlEEPmS8_NS6_8equal_toIsEEEE10hipError_tPvRmT2_T3_mT4_T5_T6_T7_T8_P12ihipStream_tbENKUlT_T0_E_clISt17integral_constantIbLb1EES12_IbLb0EEEEDaSY_SZ_EUlSY_E_NS1_11comp_targetILNS1_3genE8ELNS1_11target_archE1030ELNS1_3gpuE2ELNS1_3repE0EEENS1_30default_config_static_selectorELNS0_4arch9wavefront6targetE1EEEvT1_.kd
    .uniform_work_group_size: 1
    .uses_dynamic_stack: false
    .vgpr_count:     0
    .vgpr_spill_count: 0
    .wavefront_size: 64
  - .agpr_count:     0
    .args:
      - .offset:         0
        .size:           144
        .value_kind:     by_value
    .group_segment_fixed_size: 0
    .kernarg_segment_align: 8
    .kernarg_segment_size: 144
    .language:       OpenCL C
    .language_version:
      - 2
      - 0
    .max_flat_workgroup_size: 256
    .name:           _ZN7rocprim17ROCPRIM_400000_NS6detail17trampoline_kernelINS0_14default_configENS1_29reduce_by_key_config_selectorIslN6thrust23THRUST_200600_302600_NS4plusIlEEEEZZNS1_33reduce_by_key_impl_wrapped_configILNS1_25lookback_scan_determinismE0ES3_S9_PsNS6_17constant_iteratorIiNS6_11use_defaultESE_EENS6_10device_ptrIsEENSG_IlEEPmS8_NS6_8equal_toIsEEEE10hipError_tPvRmT2_T3_mT4_T5_T6_T7_T8_P12ihipStream_tbENKUlT_T0_E_clISt17integral_constantIbLb0EES12_IbLb1EEEEDaSY_SZ_EUlSY_E_NS1_11comp_targetILNS1_3genE0ELNS1_11target_archE4294967295ELNS1_3gpuE0ELNS1_3repE0EEENS1_30default_config_static_selectorELNS0_4arch9wavefront6targetE1EEEvT1_
    .private_segment_fixed_size: 0
    .sgpr_count:     4
    .sgpr_spill_count: 0
    .symbol:         _ZN7rocprim17ROCPRIM_400000_NS6detail17trampoline_kernelINS0_14default_configENS1_29reduce_by_key_config_selectorIslN6thrust23THRUST_200600_302600_NS4plusIlEEEEZZNS1_33reduce_by_key_impl_wrapped_configILNS1_25lookback_scan_determinismE0ES3_S9_PsNS6_17constant_iteratorIiNS6_11use_defaultESE_EENS6_10device_ptrIsEENSG_IlEEPmS8_NS6_8equal_toIsEEEE10hipError_tPvRmT2_T3_mT4_T5_T6_T7_T8_P12ihipStream_tbENKUlT_T0_E_clISt17integral_constantIbLb0EES12_IbLb1EEEEDaSY_SZ_EUlSY_E_NS1_11comp_targetILNS1_3genE0ELNS1_11target_archE4294967295ELNS1_3gpuE0ELNS1_3repE0EEENS1_30default_config_static_selectorELNS0_4arch9wavefront6targetE1EEEvT1_.kd
    .uniform_work_group_size: 1
    .uses_dynamic_stack: false
    .vgpr_count:     0
    .vgpr_spill_count: 0
    .wavefront_size: 64
  - .agpr_count:     0
    .args:
      - .offset:         0
        .size:           144
        .value_kind:     by_value
    .group_segment_fixed_size: 0
    .kernarg_segment_align: 8
    .kernarg_segment_size: 144
    .language:       OpenCL C
    .language_version:
      - 2
      - 0
    .max_flat_workgroup_size: 256
    .name:           _ZN7rocprim17ROCPRIM_400000_NS6detail17trampoline_kernelINS0_14default_configENS1_29reduce_by_key_config_selectorIslN6thrust23THRUST_200600_302600_NS4plusIlEEEEZZNS1_33reduce_by_key_impl_wrapped_configILNS1_25lookback_scan_determinismE0ES3_S9_PsNS6_17constant_iteratorIiNS6_11use_defaultESE_EENS6_10device_ptrIsEENSG_IlEEPmS8_NS6_8equal_toIsEEEE10hipError_tPvRmT2_T3_mT4_T5_T6_T7_T8_P12ihipStream_tbENKUlT_T0_E_clISt17integral_constantIbLb0EES12_IbLb1EEEEDaSY_SZ_EUlSY_E_NS1_11comp_targetILNS1_3genE5ELNS1_11target_archE942ELNS1_3gpuE9ELNS1_3repE0EEENS1_30default_config_static_selectorELNS0_4arch9wavefront6targetE1EEEvT1_
    .private_segment_fixed_size: 0
    .sgpr_count:     4
    .sgpr_spill_count: 0
    .symbol:         _ZN7rocprim17ROCPRIM_400000_NS6detail17trampoline_kernelINS0_14default_configENS1_29reduce_by_key_config_selectorIslN6thrust23THRUST_200600_302600_NS4plusIlEEEEZZNS1_33reduce_by_key_impl_wrapped_configILNS1_25lookback_scan_determinismE0ES3_S9_PsNS6_17constant_iteratorIiNS6_11use_defaultESE_EENS6_10device_ptrIsEENSG_IlEEPmS8_NS6_8equal_toIsEEEE10hipError_tPvRmT2_T3_mT4_T5_T6_T7_T8_P12ihipStream_tbENKUlT_T0_E_clISt17integral_constantIbLb0EES12_IbLb1EEEEDaSY_SZ_EUlSY_E_NS1_11comp_targetILNS1_3genE5ELNS1_11target_archE942ELNS1_3gpuE9ELNS1_3repE0EEENS1_30default_config_static_selectorELNS0_4arch9wavefront6targetE1EEEvT1_.kd
    .uniform_work_group_size: 1
    .uses_dynamic_stack: false
    .vgpr_count:     0
    .vgpr_spill_count: 0
    .wavefront_size: 64
  - .agpr_count:     0
    .args:
      - .offset:         0
        .size:           144
        .value_kind:     by_value
    .group_segment_fixed_size: 30720
    .kernarg_segment_align: 8
    .kernarg_segment_size: 144
    .language:       OpenCL C
    .language_version:
      - 2
      - 0
    .max_flat_workgroup_size: 256
    .name:           _ZN7rocprim17ROCPRIM_400000_NS6detail17trampoline_kernelINS0_14default_configENS1_29reduce_by_key_config_selectorIslN6thrust23THRUST_200600_302600_NS4plusIlEEEEZZNS1_33reduce_by_key_impl_wrapped_configILNS1_25lookback_scan_determinismE0ES3_S9_PsNS6_17constant_iteratorIiNS6_11use_defaultESE_EENS6_10device_ptrIsEENSG_IlEEPmS8_NS6_8equal_toIsEEEE10hipError_tPvRmT2_T3_mT4_T5_T6_T7_T8_P12ihipStream_tbENKUlT_T0_E_clISt17integral_constantIbLb0EES12_IbLb1EEEEDaSY_SZ_EUlSY_E_NS1_11comp_targetILNS1_3genE4ELNS1_11target_archE910ELNS1_3gpuE8ELNS1_3repE0EEENS1_30default_config_static_selectorELNS0_4arch9wavefront6targetE1EEEvT1_
    .private_segment_fixed_size: 0
    .sgpr_count:     67
    .sgpr_spill_count: 0
    .symbol:         _ZN7rocprim17ROCPRIM_400000_NS6detail17trampoline_kernelINS0_14default_configENS1_29reduce_by_key_config_selectorIslN6thrust23THRUST_200600_302600_NS4plusIlEEEEZZNS1_33reduce_by_key_impl_wrapped_configILNS1_25lookback_scan_determinismE0ES3_S9_PsNS6_17constant_iteratorIiNS6_11use_defaultESE_EENS6_10device_ptrIsEENSG_IlEEPmS8_NS6_8equal_toIsEEEE10hipError_tPvRmT2_T3_mT4_T5_T6_T7_T8_P12ihipStream_tbENKUlT_T0_E_clISt17integral_constantIbLb0EES12_IbLb1EEEEDaSY_SZ_EUlSY_E_NS1_11comp_targetILNS1_3genE4ELNS1_11target_archE910ELNS1_3gpuE8ELNS1_3repE0EEENS1_30default_config_static_selectorELNS0_4arch9wavefront6targetE1EEEvT1_.kd
    .uniform_work_group_size: 1
    .uses_dynamic_stack: false
    .vgpr_count:     127
    .vgpr_spill_count: 0
    .wavefront_size: 64
  - .agpr_count:     0
    .args:
      - .offset:         0
        .size:           144
        .value_kind:     by_value
    .group_segment_fixed_size: 0
    .kernarg_segment_align: 8
    .kernarg_segment_size: 144
    .language:       OpenCL C
    .language_version:
      - 2
      - 0
    .max_flat_workgroup_size: 256
    .name:           _ZN7rocprim17ROCPRIM_400000_NS6detail17trampoline_kernelINS0_14default_configENS1_29reduce_by_key_config_selectorIslN6thrust23THRUST_200600_302600_NS4plusIlEEEEZZNS1_33reduce_by_key_impl_wrapped_configILNS1_25lookback_scan_determinismE0ES3_S9_PsNS6_17constant_iteratorIiNS6_11use_defaultESE_EENS6_10device_ptrIsEENSG_IlEEPmS8_NS6_8equal_toIsEEEE10hipError_tPvRmT2_T3_mT4_T5_T6_T7_T8_P12ihipStream_tbENKUlT_T0_E_clISt17integral_constantIbLb0EES12_IbLb1EEEEDaSY_SZ_EUlSY_E_NS1_11comp_targetILNS1_3genE3ELNS1_11target_archE908ELNS1_3gpuE7ELNS1_3repE0EEENS1_30default_config_static_selectorELNS0_4arch9wavefront6targetE1EEEvT1_
    .private_segment_fixed_size: 0
    .sgpr_count:     4
    .sgpr_spill_count: 0
    .symbol:         _ZN7rocprim17ROCPRIM_400000_NS6detail17trampoline_kernelINS0_14default_configENS1_29reduce_by_key_config_selectorIslN6thrust23THRUST_200600_302600_NS4plusIlEEEEZZNS1_33reduce_by_key_impl_wrapped_configILNS1_25lookback_scan_determinismE0ES3_S9_PsNS6_17constant_iteratorIiNS6_11use_defaultESE_EENS6_10device_ptrIsEENSG_IlEEPmS8_NS6_8equal_toIsEEEE10hipError_tPvRmT2_T3_mT4_T5_T6_T7_T8_P12ihipStream_tbENKUlT_T0_E_clISt17integral_constantIbLb0EES12_IbLb1EEEEDaSY_SZ_EUlSY_E_NS1_11comp_targetILNS1_3genE3ELNS1_11target_archE908ELNS1_3gpuE7ELNS1_3repE0EEENS1_30default_config_static_selectorELNS0_4arch9wavefront6targetE1EEEvT1_.kd
    .uniform_work_group_size: 1
    .uses_dynamic_stack: false
    .vgpr_count:     0
    .vgpr_spill_count: 0
    .wavefront_size: 64
  - .agpr_count:     0
    .args:
      - .offset:         0
        .size:           144
        .value_kind:     by_value
    .group_segment_fixed_size: 0
    .kernarg_segment_align: 8
    .kernarg_segment_size: 144
    .language:       OpenCL C
    .language_version:
      - 2
      - 0
    .max_flat_workgroup_size: 256
    .name:           _ZN7rocprim17ROCPRIM_400000_NS6detail17trampoline_kernelINS0_14default_configENS1_29reduce_by_key_config_selectorIslN6thrust23THRUST_200600_302600_NS4plusIlEEEEZZNS1_33reduce_by_key_impl_wrapped_configILNS1_25lookback_scan_determinismE0ES3_S9_PsNS6_17constant_iteratorIiNS6_11use_defaultESE_EENS6_10device_ptrIsEENSG_IlEEPmS8_NS6_8equal_toIsEEEE10hipError_tPvRmT2_T3_mT4_T5_T6_T7_T8_P12ihipStream_tbENKUlT_T0_E_clISt17integral_constantIbLb0EES12_IbLb1EEEEDaSY_SZ_EUlSY_E_NS1_11comp_targetILNS1_3genE2ELNS1_11target_archE906ELNS1_3gpuE6ELNS1_3repE0EEENS1_30default_config_static_selectorELNS0_4arch9wavefront6targetE1EEEvT1_
    .private_segment_fixed_size: 0
    .sgpr_count:     4
    .sgpr_spill_count: 0
    .symbol:         _ZN7rocprim17ROCPRIM_400000_NS6detail17trampoline_kernelINS0_14default_configENS1_29reduce_by_key_config_selectorIslN6thrust23THRUST_200600_302600_NS4plusIlEEEEZZNS1_33reduce_by_key_impl_wrapped_configILNS1_25lookback_scan_determinismE0ES3_S9_PsNS6_17constant_iteratorIiNS6_11use_defaultESE_EENS6_10device_ptrIsEENSG_IlEEPmS8_NS6_8equal_toIsEEEE10hipError_tPvRmT2_T3_mT4_T5_T6_T7_T8_P12ihipStream_tbENKUlT_T0_E_clISt17integral_constantIbLb0EES12_IbLb1EEEEDaSY_SZ_EUlSY_E_NS1_11comp_targetILNS1_3genE2ELNS1_11target_archE906ELNS1_3gpuE6ELNS1_3repE0EEENS1_30default_config_static_selectorELNS0_4arch9wavefront6targetE1EEEvT1_.kd
    .uniform_work_group_size: 1
    .uses_dynamic_stack: false
    .vgpr_count:     0
    .vgpr_spill_count: 0
    .wavefront_size: 64
  - .agpr_count:     0
    .args:
      - .offset:         0
        .size:           144
        .value_kind:     by_value
    .group_segment_fixed_size: 0
    .kernarg_segment_align: 8
    .kernarg_segment_size: 144
    .language:       OpenCL C
    .language_version:
      - 2
      - 0
    .max_flat_workgroup_size: 256
    .name:           _ZN7rocprim17ROCPRIM_400000_NS6detail17trampoline_kernelINS0_14default_configENS1_29reduce_by_key_config_selectorIslN6thrust23THRUST_200600_302600_NS4plusIlEEEEZZNS1_33reduce_by_key_impl_wrapped_configILNS1_25lookback_scan_determinismE0ES3_S9_PsNS6_17constant_iteratorIiNS6_11use_defaultESE_EENS6_10device_ptrIsEENSG_IlEEPmS8_NS6_8equal_toIsEEEE10hipError_tPvRmT2_T3_mT4_T5_T6_T7_T8_P12ihipStream_tbENKUlT_T0_E_clISt17integral_constantIbLb0EES12_IbLb1EEEEDaSY_SZ_EUlSY_E_NS1_11comp_targetILNS1_3genE10ELNS1_11target_archE1201ELNS1_3gpuE5ELNS1_3repE0EEENS1_30default_config_static_selectorELNS0_4arch9wavefront6targetE1EEEvT1_
    .private_segment_fixed_size: 0
    .sgpr_count:     4
    .sgpr_spill_count: 0
    .symbol:         _ZN7rocprim17ROCPRIM_400000_NS6detail17trampoline_kernelINS0_14default_configENS1_29reduce_by_key_config_selectorIslN6thrust23THRUST_200600_302600_NS4plusIlEEEEZZNS1_33reduce_by_key_impl_wrapped_configILNS1_25lookback_scan_determinismE0ES3_S9_PsNS6_17constant_iteratorIiNS6_11use_defaultESE_EENS6_10device_ptrIsEENSG_IlEEPmS8_NS6_8equal_toIsEEEE10hipError_tPvRmT2_T3_mT4_T5_T6_T7_T8_P12ihipStream_tbENKUlT_T0_E_clISt17integral_constantIbLb0EES12_IbLb1EEEEDaSY_SZ_EUlSY_E_NS1_11comp_targetILNS1_3genE10ELNS1_11target_archE1201ELNS1_3gpuE5ELNS1_3repE0EEENS1_30default_config_static_selectorELNS0_4arch9wavefront6targetE1EEEvT1_.kd
    .uniform_work_group_size: 1
    .uses_dynamic_stack: false
    .vgpr_count:     0
    .vgpr_spill_count: 0
    .wavefront_size: 64
  - .agpr_count:     0
    .args:
      - .offset:         0
        .size:           144
        .value_kind:     by_value
    .group_segment_fixed_size: 0
    .kernarg_segment_align: 8
    .kernarg_segment_size: 144
    .language:       OpenCL C
    .language_version:
      - 2
      - 0
    .max_flat_workgroup_size: 256
    .name:           _ZN7rocprim17ROCPRIM_400000_NS6detail17trampoline_kernelINS0_14default_configENS1_29reduce_by_key_config_selectorIslN6thrust23THRUST_200600_302600_NS4plusIlEEEEZZNS1_33reduce_by_key_impl_wrapped_configILNS1_25lookback_scan_determinismE0ES3_S9_PsNS6_17constant_iteratorIiNS6_11use_defaultESE_EENS6_10device_ptrIsEENSG_IlEEPmS8_NS6_8equal_toIsEEEE10hipError_tPvRmT2_T3_mT4_T5_T6_T7_T8_P12ihipStream_tbENKUlT_T0_E_clISt17integral_constantIbLb0EES12_IbLb1EEEEDaSY_SZ_EUlSY_E_NS1_11comp_targetILNS1_3genE10ELNS1_11target_archE1200ELNS1_3gpuE4ELNS1_3repE0EEENS1_30default_config_static_selectorELNS0_4arch9wavefront6targetE1EEEvT1_
    .private_segment_fixed_size: 0
    .sgpr_count:     4
    .sgpr_spill_count: 0
    .symbol:         _ZN7rocprim17ROCPRIM_400000_NS6detail17trampoline_kernelINS0_14default_configENS1_29reduce_by_key_config_selectorIslN6thrust23THRUST_200600_302600_NS4plusIlEEEEZZNS1_33reduce_by_key_impl_wrapped_configILNS1_25lookback_scan_determinismE0ES3_S9_PsNS6_17constant_iteratorIiNS6_11use_defaultESE_EENS6_10device_ptrIsEENSG_IlEEPmS8_NS6_8equal_toIsEEEE10hipError_tPvRmT2_T3_mT4_T5_T6_T7_T8_P12ihipStream_tbENKUlT_T0_E_clISt17integral_constantIbLb0EES12_IbLb1EEEEDaSY_SZ_EUlSY_E_NS1_11comp_targetILNS1_3genE10ELNS1_11target_archE1200ELNS1_3gpuE4ELNS1_3repE0EEENS1_30default_config_static_selectorELNS0_4arch9wavefront6targetE1EEEvT1_.kd
    .uniform_work_group_size: 1
    .uses_dynamic_stack: false
    .vgpr_count:     0
    .vgpr_spill_count: 0
    .wavefront_size: 64
  - .agpr_count:     0
    .args:
      - .offset:         0
        .size:           144
        .value_kind:     by_value
    .group_segment_fixed_size: 0
    .kernarg_segment_align: 8
    .kernarg_segment_size: 144
    .language:       OpenCL C
    .language_version:
      - 2
      - 0
    .max_flat_workgroup_size: 256
    .name:           _ZN7rocprim17ROCPRIM_400000_NS6detail17trampoline_kernelINS0_14default_configENS1_29reduce_by_key_config_selectorIslN6thrust23THRUST_200600_302600_NS4plusIlEEEEZZNS1_33reduce_by_key_impl_wrapped_configILNS1_25lookback_scan_determinismE0ES3_S9_PsNS6_17constant_iteratorIiNS6_11use_defaultESE_EENS6_10device_ptrIsEENSG_IlEEPmS8_NS6_8equal_toIsEEEE10hipError_tPvRmT2_T3_mT4_T5_T6_T7_T8_P12ihipStream_tbENKUlT_T0_E_clISt17integral_constantIbLb0EES12_IbLb1EEEEDaSY_SZ_EUlSY_E_NS1_11comp_targetILNS1_3genE9ELNS1_11target_archE1100ELNS1_3gpuE3ELNS1_3repE0EEENS1_30default_config_static_selectorELNS0_4arch9wavefront6targetE1EEEvT1_
    .private_segment_fixed_size: 0
    .sgpr_count:     4
    .sgpr_spill_count: 0
    .symbol:         _ZN7rocprim17ROCPRIM_400000_NS6detail17trampoline_kernelINS0_14default_configENS1_29reduce_by_key_config_selectorIslN6thrust23THRUST_200600_302600_NS4plusIlEEEEZZNS1_33reduce_by_key_impl_wrapped_configILNS1_25lookback_scan_determinismE0ES3_S9_PsNS6_17constant_iteratorIiNS6_11use_defaultESE_EENS6_10device_ptrIsEENSG_IlEEPmS8_NS6_8equal_toIsEEEE10hipError_tPvRmT2_T3_mT4_T5_T6_T7_T8_P12ihipStream_tbENKUlT_T0_E_clISt17integral_constantIbLb0EES12_IbLb1EEEEDaSY_SZ_EUlSY_E_NS1_11comp_targetILNS1_3genE9ELNS1_11target_archE1100ELNS1_3gpuE3ELNS1_3repE0EEENS1_30default_config_static_selectorELNS0_4arch9wavefront6targetE1EEEvT1_.kd
    .uniform_work_group_size: 1
    .uses_dynamic_stack: false
    .vgpr_count:     0
    .vgpr_spill_count: 0
    .wavefront_size: 64
  - .agpr_count:     0
    .args:
      - .offset:         0
        .size:           144
        .value_kind:     by_value
    .group_segment_fixed_size: 0
    .kernarg_segment_align: 8
    .kernarg_segment_size: 144
    .language:       OpenCL C
    .language_version:
      - 2
      - 0
    .max_flat_workgroup_size: 256
    .name:           _ZN7rocprim17ROCPRIM_400000_NS6detail17trampoline_kernelINS0_14default_configENS1_29reduce_by_key_config_selectorIslN6thrust23THRUST_200600_302600_NS4plusIlEEEEZZNS1_33reduce_by_key_impl_wrapped_configILNS1_25lookback_scan_determinismE0ES3_S9_PsNS6_17constant_iteratorIiNS6_11use_defaultESE_EENS6_10device_ptrIsEENSG_IlEEPmS8_NS6_8equal_toIsEEEE10hipError_tPvRmT2_T3_mT4_T5_T6_T7_T8_P12ihipStream_tbENKUlT_T0_E_clISt17integral_constantIbLb0EES12_IbLb1EEEEDaSY_SZ_EUlSY_E_NS1_11comp_targetILNS1_3genE8ELNS1_11target_archE1030ELNS1_3gpuE2ELNS1_3repE0EEENS1_30default_config_static_selectorELNS0_4arch9wavefront6targetE1EEEvT1_
    .private_segment_fixed_size: 0
    .sgpr_count:     4
    .sgpr_spill_count: 0
    .symbol:         _ZN7rocprim17ROCPRIM_400000_NS6detail17trampoline_kernelINS0_14default_configENS1_29reduce_by_key_config_selectorIslN6thrust23THRUST_200600_302600_NS4plusIlEEEEZZNS1_33reduce_by_key_impl_wrapped_configILNS1_25lookback_scan_determinismE0ES3_S9_PsNS6_17constant_iteratorIiNS6_11use_defaultESE_EENS6_10device_ptrIsEENSG_IlEEPmS8_NS6_8equal_toIsEEEE10hipError_tPvRmT2_T3_mT4_T5_T6_T7_T8_P12ihipStream_tbENKUlT_T0_E_clISt17integral_constantIbLb0EES12_IbLb1EEEEDaSY_SZ_EUlSY_E_NS1_11comp_targetILNS1_3genE8ELNS1_11target_archE1030ELNS1_3gpuE2ELNS1_3repE0EEENS1_30default_config_static_selectorELNS0_4arch9wavefront6targetE1EEEvT1_.kd
    .uniform_work_group_size: 1
    .uses_dynamic_stack: false
    .vgpr_count:     0
    .vgpr_spill_count: 0
    .wavefront_size: 64
  - .agpr_count:     0
    .args:
      - .offset:         0
        .size:           88
        .value_kind:     by_value
    .group_segment_fixed_size: 0
    .kernarg_segment_align: 8
    .kernarg_segment_size: 88
    .language:       OpenCL C
    .language_version:
      - 2
      - 0
    .max_flat_workgroup_size: 128
    .name:           _ZN7rocprim17ROCPRIM_400000_NS6detail17trampoline_kernelINS0_14default_configENS1_22reduce_config_selectorIN6thrust23THRUST_200600_302600_NS5tupleIblNS6_9null_typeES8_S8_S8_S8_S8_S8_S8_EEEEZNS1_11reduce_implILb1ES3_NS6_12zip_iteratorINS7_INS6_11hip_rocprim26transform_input_iterator_tIbPsNS6_6detail10functional5actorINSH_9compositeIJNSH_27transparent_binary_operatorINS6_8equal_toIvEEEENSI_INSH_8argumentILj0EEEEENSH_5valueIsEEEEEEEEENSD_19counting_iterator_tIlEES8_S8_S8_S8_S8_S8_S8_S8_EEEEPS9_S9_NSD_9__find_if7functorIS9_EEEE10hipError_tPvRmT1_T2_T3_mT4_P12ihipStream_tbEUlT_E0_NS1_11comp_targetILNS1_3genE0ELNS1_11target_archE4294967295ELNS1_3gpuE0ELNS1_3repE0EEENS1_30default_config_static_selectorELNS0_4arch9wavefront6targetE1EEEvS17_
    .private_segment_fixed_size: 0
    .sgpr_count:     4
    .sgpr_spill_count: 0
    .symbol:         _ZN7rocprim17ROCPRIM_400000_NS6detail17trampoline_kernelINS0_14default_configENS1_22reduce_config_selectorIN6thrust23THRUST_200600_302600_NS5tupleIblNS6_9null_typeES8_S8_S8_S8_S8_S8_S8_EEEEZNS1_11reduce_implILb1ES3_NS6_12zip_iteratorINS7_INS6_11hip_rocprim26transform_input_iterator_tIbPsNS6_6detail10functional5actorINSH_9compositeIJNSH_27transparent_binary_operatorINS6_8equal_toIvEEEENSI_INSH_8argumentILj0EEEEENSH_5valueIsEEEEEEEEENSD_19counting_iterator_tIlEES8_S8_S8_S8_S8_S8_S8_S8_EEEEPS9_S9_NSD_9__find_if7functorIS9_EEEE10hipError_tPvRmT1_T2_T3_mT4_P12ihipStream_tbEUlT_E0_NS1_11comp_targetILNS1_3genE0ELNS1_11target_archE4294967295ELNS1_3gpuE0ELNS1_3repE0EEENS1_30default_config_static_selectorELNS0_4arch9wavefront6targetE1EEEvS17_.kd
    .uniform_work_group_size: 1
    .uses_dynamic_stack: false
    .vgpr_count:     0
    .vgpr_spill_count: 0
    .wavefront_size: 64
  - .agpr_count:     0
    .args:
      - .offset:         0
        .size:           88
        .value_kind:     by_value
    .group_segment_fixed_size: 0
    .kernarg_segment_align: 8
    .kernarg_segment_size: 88
    .language:       OpenCL C
    .language_version:
      - 2
      - 0
    .max_flat_workgroup_size: 256
    .name:           _ZN7rocprim17ROCPRIM_400000_NS6detail17trampoline_kernelINS0_14default_configENS1_22reduce_config_selectorIN6thrust23THRUST_200600_302600_NS5tupleIblNS6_9null_typeES8_S8_S8_S8_S8_S8_S8_EEEEZNS1_11reduce_implILb1ES3_NS6_12zip_iteratorINS7_INS6_11hip_rocprim26transform_input_iterator_tIbPsNS6_6detail10functional5actorINSH_9compositeIJNSH_27transparent_binary_operatorINS6_8equal_toIvEEEENSI_INSH_8argumentILj0EEEEENSH_5valueIsEEEEEEEEENSD_19counting_iterator_tIlEES8_S8_S8_S8_S8_S8_S8_S8_EEEEPS9_S9_NSD_9__find_if7functorIS9_EEEE10hipError_tPvRmT1_T2_T3_mT4_P12ihipStream_tbEUlT_E0_NS1_11comp_targetILNS1_3genE5ELNS1_11target_archE942ELNS1_3gpuE9ELNS1_3repE0EEENS1_30default_config_static_selectorELNS0_4arch9wavefront6targetE1EEEvS17_
    .private_segment_fixed_size: 0
    .sgpr_count:     4
    .sgpr_spill_count: 0
    .symbol:         _ZN7rocprim17ROCPRIM_400000_NS6detail17trampoline_kernelINS0_14default_configENS1_22reduce_config_selectorIN6thrust23THRUST_200600_302600_NS5tupleIblNS6_9null_typeES8_S8_S8_S8_S8_S8_S8_EEEEZNS1_11reduce_implILb1ES3_NS6_12zip_iteratorINS7_INS6_11hip_rocprim26transform_input_iterator_tIbPsNS6_6detail10functional5actorINSH_9compositeIJNSH_27transparent_binary_operatorINS6_8equal_toIvEEEENSI_INSH_8argumentILj0EEEEENSH_5valueIsEEEEEEEEENSD_19counting_iterator_tIlEES8_S8_S8_S8_S8_S8_S8_S8_EEEEPS9_S9_NSD_9__find_if7functorIS9_EEEE10hipError_tPvRmT1_T2_T3_mT4_P12ihipStream_tbEUlT_E0_NS1_11comp_targetILNS1_3genE5ELNS1_11target_archE942ELNS1_3gpuE9ELNS1_3repE0EEENS1_30default_config_static_selectorELNS0_4arch9wavefront6targetE1EEEvS17_.kd
    .uniform_work_group_size: 1
    .uses_dynamic_stack: false
    .vgpr_count:     0
    .vgpr_spill_count: 0
    .wavefront_size: 64
  - .agpr_count:     0
    .args:
      - .offset:         0
        .size:           88
        .value_kind:     by_value
    .group_segment_fixed_size: 128
    .kernarg_segment_align: 8
    .kernarg_segment_size: 88
    .language:       OpenCL C
    .language_version:
      - 2
      - 0
    .max_flat_workgroup_size: 256
    .name:           _ZN7rocprim17ROCPRIM_400000_NS6detail17trampoline_kernelINS0_14default_configENS1_22reduce_config_selectorIN6thrust23THRUST_200600_302600_NS5tupleIblNS6_9null_typeES8_S8_S8_S8_S8_S8_S8_EEEEZNS1_11reduce_implILb1ES3_NS6_12zip_iteratorINS7_INS6_11hip_rocprim26transform_input_iterator_tIbPsNS6_6detail10functional5actorINSH_9compositeIJNSH_27transparent_binary_operatorINS6_8equal_toIvEEEENSI_INSH_8argumentILj0EEEEENSH_5valueIsEEEEEEEEENSD_19counting_iterator_tIlEES8_S8_S8_S8_S8_S8_S8_S8_EEEEPS9_S9_NSD_9__find_if7functorIS9_EEEE10hipError_tPvRmT1_T2_T3_mT4_P12ihipStream_tbEUlT_E0_NS1_11comp_targetILNS1_3genE4ELNS1_11target_archE910ELNS1_3gpuE8ELNS1_3repE0EEENS1_30default_config_static_selectorELNS0_4arch9wavefront6targetE1EEEvS17_
    .private_segment_fixed_size: 0
    .sgpr_count:     29
    .sgpr_spill_count: 0
    .symbol:         _ZN7rocprim17ROCPRIM_400000_NS6detail17trampoline_kernelINS0_14default_configENS1_22reduce_config_selectorIN6thrust23THRUST_200600_302600_NS5tupleIblNS6_9null_typeES8_S8_S8_S8_S8_S8_S8_EEEEZNS1_11reduce_implILb1ES3_NS6_12zip_iteratorINS7_INS6_11hip_rocprim26transform_input_iterator_tIbPsNS6_6detail10functional5actorINSH_9compositeIJNSH_27transparent_binary_operatorINS6_8equal_toIvEEEENSI_INSH_8argumentILj0EEEEENSH_5valueIsEEEEEEEEENSD_19counting_iterator_tIlEES8_S8_S8_S8_S8_S8_S8_S8_EEEEPS9_S9_NSD_9__find_if7functorIS9_EEEE10hipError_tPvRmT1_T2_T3_mT4_P12ihipStream_tbEUlT_E0_NS1_11comp_targetILNS1_3genE4ELNS1_11target_archE910ELNS1_3gpuE8ELNS1_3repE0EEENS1_30default_config_static_selectorELNS0_4arch9wavefront6targetE1EEEvS17_.kd
    .uniform_work_group_size: 1
    .uses_dynamic_stack: false
    .vgpr_count:     12
    .vgpr_spill_count: 0
    .wavefront_size: 64
  - .agpr_count:     0
    .args:
      - .offset:         0
        .size:           88
        .value_kind:     by_value
    .group_segment_fixed_size: 0
    .kernarg_segment_align: 8
    .kernarg_segment_size: 88
    .language:       OpenCL C
    .language_version:
      - 2
      - 0
    .max_flat_workgroup_size: 128
    .name:           _ZN7rocprim17ROCPRIM_400000_NS6detail17trampoline_kernelINS0_14default_configENS1_22reduce_config_selectorIN6thrust23THRUST_200600_302600_NS5tupleIblNS6_9null_typeES8_S8_S8_S8_S8_S8_S8_EEEEZNS1_11reduce_implILb1ES3_NS6_12zip_iteratorINS7_INS6_11hip_rocprim26transform_input_iterator_tIbPsNS6_6detail10functional5actorINSH_9compositeIJNSH_27transparent_binary_operatorINS6_8equal_toIvEEEENSI_INSH_8argumentILj0EEEEENSH_5valueIsEEEEEEEEENSD_19counting_iterator_tIlEES8_S8_S8_S8_S8_S8_S8_S8_EEEEPS9_S9_NSD_9__find_if7functorIS9_EEEE10hipError_tPvRmT1_T2_T3_mT4_P12ihipStream_tbEUlT_E0_NS1_11comp_targetILNS1_3genE3ELNS1_11target_archE908ELNS1_3gpuE7ELNS1_3repE0EEENS1_30default_config_static_selectorELNS0_4arch9wavefront6targetE1EEEvS17_
    .private_segment_fixed_size: 0
    .sgpr_count:     4
    .sgpr_spill_count: 0
    .symbol:         _ZN7rocprim17ROCPRIM_400000_NS6detail17trampoline_kernelINS0_14default_configENS1_22reduce_config_selectorIN6thrust23THRUST_200600_302600_NS5tupleIblNS6_9null_typeES8_S8_S8_S8_S8_S8_S8_EEEEZNS1_11reduce_implILb1ES3_NS6_12zip_iteratorINS7_INS6_11hip_rocprim26transform_input_iterator_tIbPsNS6_6detail10functional5actorINSH_9compositeIJNSH_27transparent_binary_operatorINS6_8equal_toIvEEEENSI_INSH_8argumentILj0EEEEENSH_5valueIsEEEEEEEEENSD_19counting_iterator_tIlEES8_S8_S8_S8_S8_S8_S8_S8_EEEEPS9_S9_NSD_9__find_if7functorIS9_EEEE10hipError_tPvRmT1_T2_T3_mT4_P12ihipStream_tbEUlT_E0_NS1_11comp_targetILNS1_3genE3ELNS1_11target_archE908ELNS1_3gpuE7ELNS1_3repE0EEENS1_30default_config_static_selectorELNS0_4arch9wavefront6targetE1EEEvS17_.kd
    .uniform_work_group_size: 1
    .uses_dynamic_stack: false
    .vgpr_count:     0
    .vgpr_spill_count: 0
    .wavefront_size: 64
  - .agpr_count:     0
    .args:
      - .offset:         0
        .size:           88
        .value_kind:     by_value
    .group_segment_fixed_size: 0
    .kernarg_segment_align: 8
    .kernarg_segment_size: 88
    .language:       OpenCL C
    .language_version:
      - 2
      - 0
    .max_flat_workgroup_size: 128
    .name:           _ZN7rocprim17ROCPRIM_400000_NS6detail17trampoline_kernelINS0_14default_configENS1_22reduce_config_selectorIN6thrust23THRUST_200600_302600_NS5tupleIblNS6_9null_typeES8_S8_S8_S8_S8_S8_S8_EEEEZNS1_11reduce_implILb1ES3_NS6_12zip_iteratorINS7_INS6_11hip_rocprim26transform_input_iterator_tIbPsNS6_6detail10functional5actorINSH_9compositeIJNSH_27transparent_binary_operatorINS6_8equal_toIvEEEENSI_INSH_8argumentILj0EEEEENSH_5valueIsEEEEEEEEENSD_19counting_iterator_tIlEES8_S8_S8_S8_S8_S8_S8_S8_EEEEPS9_S9_NSD_9__find_if7functorIS9_EEEE10hipError_tPvRmT1_T2_T3_mT4_P12ihipStream_tbEUlT_E0_NS1_11comp_targetILNS1_3genE2ELNS1_11target_archE906ELNS1_3gpuE6ELNS1_3repE0EEENS1_30default_config_static_selectorELNS0_4arch9wavefront6targetE1EEEvS17_
    .private_segment_fixed_size: 0
    .sgpr_count:     4
    .sgpr_spill_count: 0
    .symbol:         _ZN7rocprim17ROCPRIM_400000_NS6detail17trampoline_kernelINS0_14default_configENS1_22reduce_config_selectorIN6thrust23THRUST_200600_302600_NS5tupleIblNS6_9null_typeES8_S8_S8_S8_S8_S8_S8_EEEEZNS1_11reduce_implILb1ES3_NS6_12zip_iteratorINS7_INS6_11hip_rocprim26transform_input_iterator_tIbPsNS6_6detail10functional5actorINSH_9compositeIJNSH_27transparent_binary_operatorINS6_8equal_toIvEEEENSI_INSH_8argumentILj0EEEEENSH_5valueIsEEEEEEEEENSD_19counting_iterator_tIlEES8_S8_S8_S8_S8_S8_S8_S8_EEEEPS9_S9_NSD_9__find_if7functorIS9_EEEE10hipError_tPvRmT1_T2_T3_mT4_P12ihipStream_tbEUlT_E0_NS1_11comp_targetILNS1_3genE2ELNS1_11target_archE906ELNS1_3gpuE6ELNS1_3repE0EEENS1_30default_config_static_selectorELNS0_4arch9wavefront6targetE1EEEvS17_.kd
    .uniform_work_group_size: 1
    .uses_dynamic_stack: false
    .vgpr_count:     0
    .vgpr_spill_count: 0
    .wavefront_size: 64
  - .agpr_count:     0
    .args:
      - .offset:         0
        .size:           88
        .value_kind:     by_value
    .group_segment_fixed_size: 0
    .kernarg_segment_align: 8
    .kernarg_segment_size: 88
    .language:       OpenCL C
    .language_version:
      - 2
      - 0
    .max_flat_workgroup_size: 256
    .name:           _ZN7rocprim17ROCPRIM_400000_NS6detail17trampoline_kernelINS0_14default_configENS1_22reduce_config_selectorIN6thrust23THRUST_200600_302600_NS5tupleIblNS6_9null_typeES8_S8_S8_S8_S8_S8_S8_EEEEZNS1_11reduce_implILb1ES3_NS6_12zip_iteratorINS7_INS6_11hip_rocprim26transform_input_iterator_tIbPsNS6_6detail10functional5actorINSH_9compositeIJNSH_27transparent_binary_operatorINS6_8equal_toIvEEEENSI_INSH_8argumentILj0EEEEENSH_5valueIsEEEEEEEEENSD_19counting_iterator_tIlEES8_S8_S8_S8_S8_S8_S8_S8_EEEEPS9_S9_NSD_9__find_if7functorIS9_EEEE10hipError_tPvRmT1_T2_T3_mT4_P12ihipStream_tbEUlT_E0_NS1_11comp_targetILNS1_3genE10ELNS1_11target_archE1201ELNS1_3gpuE5ELNS1_3repE0EEENS1_30default_config_static_selectorELNS0_4arch9wavefront6targetE1EEEvS17_
    .private_segment_fixed_size: 0
    .sgpr_count:     4
    .sgpr_spill_count: 0
    .symbol:         _ZN7rocprim17ROCPRIM_400000_NS6detail17trampoline_kernelINS0_14default_configENS1_22reduce_config_selectorIN6thrust23THRUST_200600_302600_NS5tupleIblNS6_9null_typeES8_S8_S8_S8_S8_S8_S8_EEEEZNS1_11reduce_implILb1ES3_NS6_12zip_iteratorINS7_INS6_11hip_rocprim26transform_input_iterator_tIbPsNS6_6detail10functional5actorINSH_9compositeIJNSH_27transparent_binary_operatorINS6_8equal_toIvEEEENSI_INSH_8argumentILj0EEEEENSH_5valueIsEEEEEEEEENSD_19counting_iterator_tIlEES8_S8_S8_S8_S8_S8_S8_S8_EEEEPS9_S9_NSD_9__find_if7functorIS9_EEEE10hipError_tPvRmT1_T2_T3_mT4_P12ihipStream_tbEUlT_E0_NS1_11comp_targetILNS1_3genE10ELNS1_11target_archE1201ELNS1_3gpuE5ELNS1_3repE0EEENS1_30default_config_static_selectorELNS0_4arch9wavefront6targetE1EEEvS17_.kd
    .uniform_work_group_size: 1
    .uses_dynamic_stack: false
    .vgpr_count:     0
    .vgpr_spill_count: 0
    .wavefront_size: 64
  - .agpr_count:     0
    .args:
      - .offset:         0
        .size:           88
        .value_kind:     by_value
    .group_segment_fixed_size: 0
    .kernarg_segment_align: 8
    .kernarg_segment_size: 88
    .language:       OpenCL C
    .language_version:
      - 2
      - 0
    .max_flat_workgroup_size: 256
    .name:           _ZN7rocprim17ROCPRIM_400000_NS6detail17trampoline_kernelINS0_14default_configENS1_22reduce_config_selectorIN6thrust23THRUST_200600_302600_NS5tupleIblNS6_9null_typeES8_S8_S8_S8_S8_S8_S8_EEEEZNS1_11reduce_implILb1ES3_NS6_12zip_iteratorINS7_INS6_11hip_rocprim26transform_input_iterator_tIbPsNS6_6detail10functional5actorINSH_9compositeIJNSH_27transparent_binary_operatorINS6_8equal_toIvEEEENSI_INSH_8argumentILj0EEEEENSH_5valueIsEEEEEEEEENSD_19counting_iterator_tIlEES8_S8_S8_S8_S8_S8_S8_S8_EEEEPS9_S9_NSD_9__find_if7functorIS9_EEEE10hipError_tPvRmT1_T2_T3_mT4_P12ihipStream_tbEUlT_E0_NS1_11comp_targetILNS1_3genE10ELNS1_11target_archE1200ELNS1_3gpuE4ELNS1_3repE0EEENS1_30default_config_static_selectorELNS0_4arch9wavefront6targetE1EEEvS17_
    .private_segment_fixed_size: 0
    .sgpr_count:     4
    .sgpr_spill_count: 0
    .symbol:         _ZN7rocprim17ROCPRIM_400000_NS6detail17trampoline_kernelINS0_14default_configENS1_22reduce_config_selectorIN6thrust23THRUST_200600_302600_NS5tupleIblNS6_9null_typeES8_S8_S8_S8_S8_S8_S8_EEEEZNS1_11reduce_implILb1ES3_NS6_12zip_iteratorINS7_INS6_11hip_rocprim26transform_input_iterator_tIbPsNS6_6detail10functional5actorINSH_9compositeIJNSH_27transparent_binary_operatorINS6_8equal_toIvEEEENSI_INSH_8argumentILj0EEEEENSH_5valueIsEEEEEEEEENSD_19counting_iterator_tIlEES8_S8_S8_S8_S8_S8_S8_S8_EEEEPS9_S9_NSD_9__find_if7functorIS9_EEEE10hipError_tPvRmT1_T2_T3_mT4_P12ihipStream_tbEUlT_E0_NS1_11comp_targetILNS1_3genE10ELNS1_11target_archE1200ELNS1_3gpuE4ELNS1_3repE0EEENS1_30default_config_static_selectorELNS0_4arch9wavefront6targetE1EEEvS17_.kd
    .uniform_work_group_size: 1
    .uses_dynamic_stack: false
    .vgpr_count:     0
    .vgpr_spill_count: 0
    .wavefront_size: 64
  - .agpr_count:     0
    .args:
      - .offset:         0
        .size:           88
        .value_kind:     by_value
    .group_segment_fixed_size: 0
    .kernarg_segment_align: 8
    .kernarg_segment_size: 88
    .language:       OpenCL C
    .language_version:
      - 2
      - 0
    .max_flat_workgroup_size: 256
    .name:           _ZN7rocprim17ROCPRIM_400000_NS6detail17trampoline_kernelINS0_14default_configENS1_22reduce_config_selectorIN6thrust23THRUST_200600_302600_NS5tupleIblNS6_9null_typeES8_S8_S8_S8_S8_S8_S8_EEEEZNS1_11reduce_implILb1ES3_NS6_12zip_iteratorINS7_INS6_11hip_rocprim26transform_input_iterator_tIbPsNS6_6detail10functional5actorINSH_9compositeIJNSH_27transparent_binary_operatorINS6_8equal_toIvEEEENSI_INSH_8argumentILj0EEEEENSH_5valueIsEEEEEEEEENSD_19counting_iterator_tIlEES8_S8_S8_S8_S8_S8_S8_S8_EEEEPS9_S9_NSD_9__find_if7functorIS9_EEEE10hipError_tPvRmT1_T2_T3_mT4_P12ihipStream_tbEUlT_E0_NS1_11comp_targetILNS1_3genE9ELNS1_11target_archE1100ELNS1_3gpuE3ELNS1_3repE0EEENS1_30default_config_static_selectorELNS0_4arch9wavefront6targetE1EEEvS17_
    .private_segment_fixed_size: 0
    .sgpr_count:     4
    .sgpr_spill_count: 0
    .symbol:         _ZN7rocprim17ROCPRIM_400000_NS6detail17trampoline_kernelINS0_14default_configENS1_22reduce_config_selectorIN6thrust23THRUST_200600_302600_NS5tupleIblNS6_9null_typeES8_S8_S8_S8_S8_S8_S8_EEEEZNS1_11reduce_implILb1ES3_NS6_12zip_iteratorINS7_INS6_11hip_rocprim26transform_input_iterator_tIbPsNS6_6detail10functional5actorINSH_9compositeIJNSH_27transparent_binary_operatorINS6_8equal_toIvEEEENSI_INSH_8argumentILj0EEEEENSH_5valueIsEEEEEEEEENSD_19counting_iterator_tIlEES8_S8_S8_S8_S8_S8_S8_S8_EEEEPS9_S9_NSD_9__find_if7functorIS9_EEEE10hipError_tPvRmT1_T2_T3_mT4_P12ihipStream_tbEUlT_E0_NS1_11comp_targetILNS1_3genE9ELNS1_11target_archE1100ELNS1_3gpuE3ELNS1_3repE0EEENS1_30default_config_static_selectorELNS0_4arch9wavefront6targetE1EEEvS17_.kd
    .uniform_work_group_size: 1
    .uses_dynamic_stack: false
    .vgpr_count:     0
    .vgpr_spill_count: 0
    .wavefront_size: 64
  - .agpr_count:     0
    .args:
      - .offset:         0
        .size:           88
        .value_kind:     by_value
    .group_segment_fixed_size: 0
    .kernarg_segment_align: 8
    .kernarg_segment_size: 88
    .language:       OpenCL C
    .language_version:
      - 2
      - 0
    .max_flat_workgroup_size: 256
    .name:           _ZN7rocprim17ROCPRIM_400000_NS6detail17trampoline_kernelINS0_14default_configENS1_22reduce_config_selectorIN6thrust23THRUST_200600_302600_NS5tupleIblNS6_9null_typeES8_S8_S8_S8_S8_S8_S8_EEEEZNS1_11reduce_implILb1ES3_NS6_12zip_iteratorINS7_INS6_11hip_rocprim26transform_input_iterator_tIbPsNS6_6detail10functional5actorINSH_9compositeIJNSH_27transparent_binary_operatorINS6_8equal_toIvEEEENSI_INSH_8argumentILj0EEEEENSH_5valueIsEEEEEEEEENSD_19counting_iterator_tIlEES8_S8_S8_S8_S8_S8_S8_S8_EEEEPS9_S9_NSD_9__find_if7functorIS9_EEEE10hipError_tPvRmT1_T2_T3_mT4_P12ihipStream_tbEUlT_E0_NS1_11comp_targetILNS1_3genE8ELNS1_11target_archE1030ELNS1_3gpuE2ELNS1_3repE0EEENS1_30default_config_static_selectorELNS0_4arch9wavefront6targetE1EEEvS17_
    .private_segment_fixed_size: 0
    .sgpr_count:     4
    .sgpr_spill_count: 0
    .symbol:         _ZN7rocprim17ROCPRIM_400000_NS6detail17trampoline_kernelINS0_14default_configENS1_22reduce_config_selectorIN6thrust23THRUST_200600_302600_NS5tupleIblNS6_9null_typeES8_S8_S8_S8_S8_S8_S8_EEEEZNS1_11reduce_implILb1ES3_NS6_12zip_iteratorINS7_INS6_11hip_rocprim26transform_input_iterator_tIbPsNS6_6detail10functional5actorINSH_9compositeIJNSH_27transparent_binary_operatorINS6_8equal_toIvEEEENSI_INSH_8argumentILj0EEEEENSH_5valueIsEEEEEEEEENSD_19counting_iterator_tIlEES8_S8_S8_S8_S8_S8_S8_S8_EEEEPS9_S9_NSD_9__find_if7functorIS9_EEEE10hipError_tPvRmT1_T2_T3_mT4_P12ihipStream_tbEUlT_E0_NS1_11comp_targetILNS1_3genE8ELNS1_11target_archE1030ELNS1_3gpuE2ELNS1_3repE0EEENS1_30default_config_static_selectorELNS0_4arch9wavefront6targetE1EEEvS17_.kd
    .uniform_work_group_size: 1
    .uses_dynamic_stack: false
    .vgpr_count:     0
    .vgpr_spill_count: 0
    .wavefront_size: 64
  - .agpr_count:     0
    .args:
      - .offset:         0
        .size:           72
        .value_kind:     by_value
    .group_segment_fixed_size: 0
    .kernarg_segment_align: 8
    .kernarg_segment_size: 72
    .language:       OpenCL C
    .language_version:
      - 2
      - 0
    .max_flat_workgroup_size: 128
    .name:           _ZN7rocprim17ROCPRIM_400000_NS6detail17trampoline_kernelINS0_14default_configENS1_22reduce_config_selectorIN6thrust23THRUST_200600_302600_NS5tupleIblNS6_9null_typeES8_S8_S8_S8_S8_S8_S8_EEEEZNS1_11reduce_implILb1ES3_NS6_12zip_iteratorINS7_INS6_11hip_rocprim26transform_input_iterator_tIbPsNS6_6detail10functional5actorINSH_9compositeIJNSH_27transparent_binary_operatorINS6_8equal_toIvEEEENSI_INSH_8argumentILj0EEEEENSH_5valueIsEEEEEEEEENSD_19counting_iterator_tIlEES8_S8_S8_S8_S8_S8_S8_S8_EEEEPS9_S9_NSD_9__find_if7functorIS9_EEEE10hipError_tPvRmT1_T2_T3_mT4_P12ihipStream_tbEUlT_E1_NS1_11comp_targetILNS1_3genE0ELNS1_11target_archE4294967295ELNS1_3gpuE0ELNS1_3repE0EEENS1_30default_config_static_selectorELNS0_4arch9wavefront6targetE1EEEvS17_
    .private_segment_fixed_size: 0
    .sgpr_count:     4
    .sgpr_spill_count: 0
    .symbol:         _ZN7rocprim17ROCPRIM_400000_NS6detail17trampoline_kernelINS0_14default_configENS1_22reduce_config_selectorIN6thrust23THRUST_200600_302600_NS5tupleIblNS6_9null_typeES8_S8_S8_S8_S8_S8_S8_EEEEZNS1_11reduce_implILb1ES3_NS6_12zip_iteratorINS7_INS6_11hip_rocprim26transform_input_iterator_tIbPsNS6_6detail10functional5actorINSH_9compositeIJNSH_27transparent_binary_operatorINS6_8equal_toIvEEEENSI_INSH_8argumentILj0EEEEENSH_5valueIsEEEEEEEEENSD_19counting_iterator_tIlEES8_S8_S8_S8_S8_S8_S8_S8_EEEEPS9_S9_NSD_9__find_if7functorIS9_EEEE10hipError_tPvRmT1_T2_T3_mT4_P12ihipStream_tbEUlT_E1_NS1_11comp_targetILNS1_3genE0ELNS1_11target_archE4294967295ELNS1_3gpuE0ELNS1_3repE0EEENS1_30default_config_static_selectorELNS0_4arch9wavefront6targetE1EEEvS17_.kd
    .uniform_work_group_size: 1
    .uses_dynamic_stack: false
    .vgpr_count:     0
    .vgpr_spill_count: 0
    .wavefront_size: 64
  - .agpr_count:     0
    .args:
      - .offset:         0
        .size:           72
        .value_kind:     by_value
    .group_segment_fixed_size: 0
    .kernarg_segment_align: 8
    .kernarg_segment_size: 72
    .language:       OpenCL C
    .language_version:
      - 2
      - 0
    .max_flat_workgroup_size: 256
    .name:           _ZN7rocprim17ROCPRIM_400000_NS6detail17trampoline_kernelINS0_14default_configENS1_22reduce_config_selectorIN6thrust23THRUST_200600_302600_NS5tupleIblNS6_9null_typeES8_S8_S8_S8_S8_S8_S8_EEEEZNS1_11reduce_implILb1ES3_NS6_12zip_iteratorINS7_INS6_11hip_rocprim26transform_input_iterator_tIbPsNS6_6detail10functional5actorINSH_9compositeIJNSH_27transparent_binary_operatorINS6_8equal_toIvEEEENSI_INSH_8argumentILj0EEEEENSH_5valueIsEEEEEEEEENSD_19counting_iterator_tIlEES8_S8_S8_S8_S8_S8_S8_S8_EEEEPS9_S9_NSD_9__find_if7functorIS9_EEEE10hipError_tPvRmT1_T2_T3_mT4_P12ihipStream_tbEUlT_E1_NS1_11comp_targetILNS1_3genE5ELNS1_11target_archE942ELNS1_3gpuE9ELNS1_3repE0EEENS1_30default_config_static_selectorELNS0_4arch9wavefront6targetE1EEEvS17_
    .private_segment_fixed_size: 0
    .sgpr_count:     4
    .sgpr_spill_count: 0
    .symbol:         _ZN7rocprim17ROCPRIM_400000_NS6detail17trampoline_kernelINS0_14default_configENS1_22reduce_config_selectorIN6thrust23THRUST_200600_302600_NS5tupleIblNS6_9null_typeES8_S8_S8_S8_S8_S8_S8_EEEEZNS1_11reduce_implILb1ES3_NS6_12zip_iteratorINS7_INS6_11hip_rocprim26transform_input_iterator_tIbPsNS6_6detail10functional5actorINSH_9compositeIJNSH_27transparent_binary_operatorINS6_8equal_toIvEEEENSI_INSH_8argumentILj0EEEEENSH_5valueIsEEEEEEEEENSD_19counting_iterator_tIlEES8_S8_S8_S8_S8_S8_S8_S8_EEEEPS9_S9_NSD_9__find_if7functorIS9_EEEE10hipError_tPvRmT1_T2_T3_mT4_P12ihipStream_tbEUlT_E1_NS1_11comp_targetILNS1_3genE5ELNS1_11target_archE942ELNS1_3gpuE9ELNS1_3repE0EEENS1_30default_config_static_selectorELNS0_4arch9wavefront6targetE1EEEvS17_.kd
    .uniform_work_group_size: 1
    .uses_dynamic_stack: false
    .vgpr_count:     0
    .vgpr_spill_count: 0
    .wavefront_size: 64
  - .agpr_count:     0
    .args:
      - .offset:         0
        .size:           72
        .value_kind:     by_value
    .group_segment_fixed_size: 320
    .kernarg_segment_align: 8
    .kernarg_segment_size: 72
    .language:       OpenCL C
    .language_version:
      - 2
      - 0
    .max_flat_workgroup_size: 256
    .name:           _ZN7rocprim17ROCPRIM_400000_NS6detail17trampoline_kernelINS0_14default_configENS1_22reduce_config_selectorIN6thrust23THRUST_200600_302600_NS5tupleIblNS6_9null_typeES8_S8_S8_S8_S8_S8_S8_EEEEZNS1_11reduce_implILb1ES3_NS6_12zip_iteratorINS7_INS6_11hip_rocprim26transform_input_iterator_tIbPsNS6_6detail10functional5actorINSH_9compositeIJNSH_27transparent_binary_operatorINS6_8equal_toIvEEEENSI_INSH_8argumentILj0EEEEENSH_5valueIsEEEEEEEEENSD_19counting_iterator_tIlEES8_S8_S8_S8_S8_S8_S8_S8_EEEEPS9_S9_NSD_9__find_if7functorIS9_EEEE10hipError_tPvRmT1_T2_T3_mT4_P12ihipStream_tbEUlT_E1_NS1_11comp_targetILNS1_3genE4ELNS1_11target_archE910ELNS1_3gpuE8ELNS1_3repE0EEENS1_30default_config_static_selectorELNS0_4arch9wavefront6targetE1EEEvS17_
    .private_segment_fixed_size: 0
    .sgpr_count:     43
    .sgpr_spill_count: 0
    .symbol:         _ZN7rocprim17ROCPRIM_400000_NS6detail17trampoline_kernelINS0_14default_configENS1_22reduce_config_selectorIN6thrust23THRUST_200600_302600_NS5tupleIblNS6_9null_typeES8_S8_S8_S8_S8_S8_S8_EEEEZNS1_11reduce_implILb1ES3_NS6_12zip_iteratorINS7_INS6_11hip_rocprim26transform_input_iterator_tIbPsNS6_6detail10functional5actorINSH_9compositeIJNSH_27transparent_binary_operatorINS6_8equal_toIvEEEENSI_INSH_8argumentILj0EEEEENSH_5valueIsEEEEEEEEENSD_19counting_iterator_tIlEES8_S8_S8_S8_S8_S8_S8_S8_EEEEPS9_S9_NSD_9__find_if7functorIS9_EEEE10hipError_tPvRmT1_T2_T3_mT4_P12ihipStream_tbEUlT_E1_NS1_11comp_targetILNS1_3genE4ELNS1_11target_archE910ELNS1_3gpuE8ELNS1_3repE0EEENS1_30default_config_static_selectorELNS0_4arch9wavefront6targetE1EEEvS17_.kd
    .uniform_work_group_size: 1
    .uses_dynamic_stack: false
    .vgpr_count:     27
    .vgpr_spill_count: 0
    .wavefront_size: 64
  - .agpr_count:     0
    .args:
      - .offset:         0
        .size:           72
        .value_kind:     by_value
    .group_segment_fixed_size: 0
    .kernarg_segment_align: 8
    .kernarg_segment_size: 72
    .language:       OpenCL C
    .language_version:
      - 2
      - 0
    .max_flat_workgroup_size: 128
    .name:           _ZN7rocprim17ROCPRIM_400000_NS6detail17trampoline_kernelINS0_14default_configENS1_22reduce_config_selectorIN6thrust23THRUST_200600_302600_NS5tupleIblNS6_9null_typeES8_S8_S8_S8_S8_S8_S8_EEEEZNS1_11reduce_implILb1ES3_NS6_12zip_iteratorINS7_INS6_11hip_rocprim26transform_input_iterator_tIbPsNS6_6detail10functional5actorINSH_9compositeIJNSH_27transparent_binary_operatorINS6_8equal_toIvEEEENSI_INSH_8argumentILj0EEEEENSH_5valueIsEEEEEEEEENSD_19counting_iterator_tIlEES8_S8_S8_S8_S8_S8_S8_S8_EEEEPS9_S9_NSD_9__find_if7functorIS9_EEEE10hipError_tPvRmT1_T2_T3_mT4_P12ihipStream_tbEUlT_E1_NS1_11comp_targetILNS1_3genE3ELNS1_11target_archE908ELNS1_3gpuE7ELNS1_3repE0EEENS1_30default_config_static_selectorELNS0_4arch9wavefront6targetE1EEEvS17_
    .private_segment_fixed_size: 0
    .sgpr_count:     4
    .sgpr_spill_count: 0
    .symbol:         _ZN7rocprim17ROCPRIM_400000_NS6detail17trampoline_kernelINS0_14default_configENS1_22reduce_config_selectorIN6thrust23THRUST_200600_302600_NS5tupleIblNS6_9null_typeES8_S8_S8_S8_S8_S8_S8_EEEEZNS1_11reduce_implILb1ES3_NS6_12zip_iteratorINS7_INS6_11hip_rocprim26transform_input_iterator_tIbPsNS6_6detail10functional5actorINSH_9compositeIJNSH_27transparent_binary_operatorINS6_8equal_toIvEEEENSI_INSH_8argumentILj0EEEEENSH_5valueIsEEEEEEEEENSD_19counting_iterator_tIlEES8_S8_S8_S8_S8_S8_S8_S8_EEEEPS9_S9_NSD_9__find_if7functorIS9_EEEE10hipError_tPvRmT1_T2_T3_mT4_P12ihipStream_tbEUlT_E1_NS1_11comp_targetILNS1_3genE3ELNS1_11target_archE908ELNS1_3gpuE7ELNS1_3repE0EEENS1_30default_config_static_selectorELNS0_4arch9wavefront6targetE1EEEvS17_.kd
    .uniform_work_group_size: 1
    .uses_dynamic_stack: false
    .vgpr_count:     0
    .vgpr_spill_count: 0
    .wavefront_size: 64
  - .agpr_count:     0
    .args:
      - .offset:         0
        .size:           72
        .value_kind:     by_value
    .group_segment_fixed_size: 0
    .kernarg_segment_align: 8
    .kernarg_segment_size: 72
    .language:       OpenCL C
    .language_version:
      - 2
      - 0
    .max_flat_workgroup_size: 128
    .name:           _ZN7rocprim17ROCPRIM_400000_NS6detail17trampoline_kernelINS0_14default_configENS1_22reduce_config_selectorIN6thrust23THRUST_200600_302600_NS5tupleIblNS6_9null_typeES8_S8_S8_S8_S8_S8_S8_EEEEZNS1_11reduce_implILb1ES3_NS6_12zip_iteratorINS7_INS6_11hip_rocprim26transform_input_iterator_tIbPsNS6_6detail10functional5actorINSH_9compositeIJNSH_27transparent_binary_operatorINS6_8equal_toIvEEEENSI_INSH_8argumentILj0EEEEENSH_5valueIsEEEEEEEEENSD_19counting_iterator_tIlEES8_S8_S8_S8_S8_S8_S8_S8_EEEEPS9_S9_NSD_9__find_if7functorIS9_EEEE10hipError_tPvRmT1_T2_T3_mT4_P12ihipStream_tbEUlT_E1_NS1_11comp_targetILNS1_3genE2ELNS1_11target_archE906ELNS1_3gpuE6ELNS1_3repE0EEENS1_30default_config_static_selectorELNS0_4arch9wavefront6targetE1EEEvS17_
    .private_segment_fixed_size: 0
    .sgpr_count:     4
    .sgpr_spill_count: 0
    .symbol:         _ZN7rocprim17ROCPRIM_400000_NS6detail17trampoline_kernelINS0_14default_configENS1_22reduce_config_selectorIN6thrust23THRUST_200600_302600_NS5tupleIblNS6_9null_typeES8_S8_S8_S8_S8_S8_S8_EEEEZNS1_11reduce_implILb1ES3_NS6_12zip_iteratorINS7_INS6_11hip_rocprim26transform_input_iterator_tIbPsNS6_6detail10functional5actorINSH_9compositeIJNSH_27transparent_binary_operatorINS6_8equal_toIvEEEENSI_INSH_8argumentILj0EEEEENSH_5valueIsEEEEEEEEENSD_19counting_iterator_tIlEES8_S8_S8_S8_S8_S8_S8_S8_EEEEPS9_S9_NSD_9__find_if7functorIS9_EEEE10hipError_tPvRmT1_T2_T3_mT4_P12ihipStream_tbEUlT_E1_NS1_11comp_targetILNS1_3genE2ELNS1_11target_archE906ELNS1_3gpuE6ELNS1_3repE0EEENS1_30default_config_static_selectorELNS0_4arch9wavefront6targetE1EEEvS17_.kd
    .uniform_work_group_size: 1
    .uses_dynamic_stack: false
    .vgpr_count:     0
    .vgpr_spill_count: 0
    .wavefront_size: 64
  - .agpr_count:     0
    .args:
      - .offset:         0
        .size:           72
        .value_kind:     by_value
    .group_segment_fixed_size: 0
    .kernarg_segment_align: 8
    .kernarg_segment_size: 72
    .language:       OpenCL C
    .language_version:
      - 2
      - 0
    .max_flat_workgroup_size: 256
    .name:           _ZN7rocprim17ROCPRIM_400000_NS6detail17trampoline_kernelINS0_14default_configENS1_22reduce_config_selectorIN6thrust23THRUST_200600_302600_NS5tupleIblNS6_9null_typeES8_S8_S8_S8_S8_S8_S8_EEEEZNS1_11reduce_implILb1ES3_NS6_12zip_iteratorINS7_INS6_11hip_rocprim26transform_input_iterator_tIbPsNS6_6detail10functional5actorINSH_9compositeIJNSH_27transparent_binary_operatorINS6_8equal_toIvEEEENSI_INSH_8argumentILj0EEEEENSH_5valueIsEEEEEEEEENSD_19counting_iterator_tIlEES8_S8_S8_S8_S8_S8_S8_S8_EEEEPS9_S9_NSD_9__find_if7functorIS9_EEEE10hipError_tPvRmT1_T2_T3_mT4_P12ihipStream_tbEUlT_E1_NS1_11comp_targetILNS1_3genE10ELNS1_11target_archE1201ELNS1_3gpuE5ELNS1_3repE0EEENS1_30default_config_static_selectorELNS0_4arch9wavefront6targetE1EEEvS17_
    .private_segment_fixed_size: 0
    .sgpr_count:     4
    .sgpr_spill_count: 0
    .symbol:         _ZN7rocprim17ROCPRIM_400000_NS6detail17trampoline_kernelINS0_14default_configENS1_22reduce_config_selectorIN6thrust23THRUST_200600_302600_NS5tupleIblNS6_9null_typeES8_S8_S8_S8_S8_S8_S8_EEEEZNS1_11reduce_implILb1ES3_NS6_12zip_iteratorINS7_INS6_11hip_rocprim26transform_input_iterator_tIbPsNS6_6detail10functional5actorINSH_9compositeIJNSH_27transparent_binary_operatorINS6_8equal_toIvEEEENSI_INSH_8argumentILj0EEEEENSH_5valueIsEEEEEEEEENSD_19counting_iterator_tIlEES8_S8_S8_S8_S8_S8_S8_S8_EEEEPS9_S9_NSD_9__find_if7functorIS9_EEEE10hipError_tPvRmT1_T2_T3_mT4_P12ihipStream_tbEUlT_E1_NS1_11comp_targetILNS1_3genE10ELNS1_11target_archE1201ELNS1_3gpuE5ELNS1_3repE0EEENS1_30default_config_static_selectorELNS0_4arch9wavefront6targetE1EEEvS17_.kd
    .uniform_work_group_size: 1
    .uses_dynamic_stack: false
    .vgpr_count:     0
    .vgpr_spill_count: 0
    .wavefront_size: 64
  - .agpr_count:     0
    .args:
      - .offset:         0
        .size:           72
        .value_kind:     by_value
    .group_segment_fixed_size: 0
    .kernarg_segment_align: 8
    .kernarg_segment_size: 72
    .language:       OpenCL C
    .language_version:
      - 2
      - 0
    .max_flat_workgroup_size: 256
    .name:           _ZN7rocprim17ROCPRIM_400000_NS6detail17trampoline_kernelINS0_14default_configENS1_22reduce_config_selectorIN6thrust23THRUST_200600_302600_NS5tupleIblNS6_9null_typeES8_S8_S8_S8_S8_S8_S8_EEEEZNS1_11reduce_implILb1ES3_NS6_12zip_iteratorINS7_INS6_11hip_rocprim26transform_input_iterator_tIbPsNS6_6detail10functional5actorINSH_9compositeIJNSH_27transparent_binary_operatorINS6_8equal_toIvEEEENSI_INSH_8argumentILj0EEEEENSH_5valueIsEEEEEEEEENSD_19counting_iterator_tIlEES8_S8_S8_S8_S8_S8_S8_S8_EEEEPS9_S9_NSD_9__find_if7functorIS9_EEEE10hipError_tPvRmT1_T2_T3_mT4_P12ihipStream_tbEUlT_E1_NS1_11comp_targetILNS1_3genE10ELNS1_11target_archE1200ELNS1_3gpuE4ELNS1_3repE0EEENS1_30default_config_static_selectorELNS0_4arch9wavefront6targetE1EEEvS17_
    .private_segment_fixed_size: 0
    .sgpr_count:     4
    .sgpr_spill_count: 0
    .symbol:         _ZN7rocprim17ROCPRIM_400000_NS6detail17trampoline_kernelINS0_14default_configENS1_22reduce_config_selectorIN6thrust23THRUST_200600_302600_NS5tupleIblNS6_9null_typeES8_S8_S8_S8_S8_S8_S8_EEEEZNS1_11reduce_implILb1ES3_NS6_12zip_iteratorINS7_INS6_11hip_rocprim26transform_input_iterator_tIbPsNS6_6detail10functional5actorINSH_9compositeIJNSH_27transparent_binary_operatorINS6_8equal_toIvEEEENSI_INSH_8argumentILj0EEEEENSH_5valueIsEEEEEEEEENSD_19counting_iterator_tIlEES8_S8_S8_S8_S8_S8_S8_S8_EEEEPS9_S9_NSD_9__find_if7functorIS9_EEEE10hipError_tPvRmT1_T2_T3_mT4_P12ihipStream_tbEUlT_E1_NS1_11comp_targetILNS1_3genE10ELNS1_11target_archE1200ELNS1_3gpuE4ELNS1_3repE0EEENS1_30default_config_static_selectorELNS0_4arch9wavefront6targetE1EEEvS17_.kd
    .uniform_work_group_size: 1
    .uses_dynamic_stack: false
    .vgpr_count:     0
    .vgpr_spill_count: 0
    .wavefront_size: 64
  - .agpr_count:     0
    .args:
      - .offset:         0
        .size:           72
        .value_kind:     by_value
    .group_segment_fixed_size: 0
    .kernarg_segment_align: 8
    .kernarg_segment_size: 72
    .language:       OpenCL C
    .language_version:
      - 2
      - 0
    .max_flat_workgroup_size: 256
    .name:           _ZN7rocprim17ROCPRIM_400000_NS6detail17trampoline_kernelINS0_14default_configENS1_22reduce_config_selectorIN6thrust23THRUST_200600_302600_NS5tupleIblNS6_9null_typeES8_S8_S8_S8_S8_S8_S8_EEEEZNS1_11reduce_implILb1ES3_NS6_12zip_iteratorINS7_INS6_11hip_rocprim26transform_input_iterator_tIbPsNS6_6detail10functional5actorINSH_9compositeIJNSH_27transparent_binary_operatorINS6_8equal_toIvEEEENSI_INSH_8argumentILj0EEEEENSH_5valueIsEEEEEEEEENSD_19counting_iterator_tIlEES8_S8_S8_S8_S8_S8_S8_S8_EEEEPS9_S9_NSD_9__find_if7functorIS9_EEEE10hipError_tPvRmT1_T2_T3_mT4_P12ihipStream_tbEUlT_E1_NS1_11comp_targetILNS1_3genE9ELNS1_11target_archE1100ELNS1_3gpuE3ELNS1_3repE0EEENS1_30default_config_static_selectorELNS0_4arch9wavefront6targetE1EEEvS17_
    .private_segment_fixed_size: 0
    .sgpr_count:     4
    .sgpr_spill_count: 0
    .symbol:         _ZN7rocprim17ROCPRIM_400000_NS6detail17trampoline_kernelINS0_14default_configENS1_22reduce_config_selectorIN6thrust23THRUST_200600_302600_NS5tupleIblNS6_9null_typeES8_S8_S8_S8_S8_S8_S8_EEEEZNS1_11reduce_implILb1ES3_NS6_12zip_iteratorINS7_INS6_11hip_rocprim26transform_input_iterator_tIbPsNS6_6detail10functional5actorINSH_9compositeIJNSH_27transparent_binary_operatorINS6_8equal_toIvEEEENSI_INSH_8argumentILj0EEEEENSH_5valueIsEEEEEEEEENSD_19counting_iterator_tIlEES8_S8_S8_S8_S8_S8_S8_S8_EEEEPS9_S9_NSD_9__find_if7functorIS9_EEEE10hipError_tPvRmT1_T2_T3_mT4_P12ihipStream_tbEUlT_E1_NS1_11comp_targetILNS1_3genE9ELNS1_11target_archE1100ELNS1_3gpuE3ELNS1_3repE0EEENS1_30default_config_static_selectorELNS0_4arch9wavefront6targetE1EEEvS17_.kd
    .uniform_work_group_size: 1
    .uses_dynamic_stack: false
    .vgpr_count:     0
    .vgpr_spill_count: 0
    .wavefront_size: 64
  - .agpr_count:     0
    .args:
      - .offset:         0
        .size:           72
        .value_kind:     by_value
    .group_segment_fixed_size: 0
    .kernarg_segment_align: 8
    .kernarg_segment_size: 72
    .language:       OpenCL C
    .language_version:
      - 2
      - 0
    .max_flat_workgroup_size: 256
    .name:           _ZN7rocprim17ROCPRIM_400000_NS6detail17trampoline_kernelINS0_14default_configENS1_22reduce_config_selectorIN6thrust23THRUST_200600_302600_NS5tupleIblNS6_9null_typeES8_S8_S8_S8_S8_S8_S8_EEEEZNS1_11reduce_implILb1ES3_NS6_12zip_iteratorINS7_INS6_11hip_rocprim26transform_input_iterator_tIbPsNS6_6detail10functional5actorINSH_9compositeIJNSH_27transparent_binary_operatorINS6_8equal_toIvEEEENSI_INSH_8argumentILj0EEEEENSH_5valueIsEEEEEEEEENSD_19counting_iterator_tIlEES8_S8_S8_S8_S8_S8_S8_S8_EEEEPS9_S9_NSD_9__find_if7functorIS9_EEEE10hipError_tPvRmT1_T2_T3_mT4_P12ihipStream_tbEUlT_E1_NS1_11comp_targetILNS1_3genE8ELNS1_11target_archE1030ELNS1_3gpuE2ELNS1_3repE0EEENS1_30default_config_static_selectorELNS0_4arch9wavefront6targetE1EEEvS17_
    .private_segment_fixed_size: 0
    .sgpr_count:     4
    .sgpr_spill_count: 0
    .symbol:         _ZN7rocprim17ROCPRIM_400000_NS6detail17trampoline_kernelINS0_14default_configENS1_22reduce_config_selectorIN6thrust23THRUST_200600_302600_NS5tupleIblNS6_9null_typeES8_S8_S8_S8_S8_S8_S8_EEEEZNS1_11reduce_implILb1ES3_NS6_12zip_iteratorINS7_INS6_11hip_rocprim26transform_input_iterator_tIbPsNS6_6detail10functional5actorINSH_9compositeIJNSH_27transparent_binary_operatorINS6_8equal_toIvEEEENSI_INSH_8argumentILj0EEEEENSH_5valueIsEEEEEEEEENSD_19counting_iterator_tIlEES8_S8_S8_S8_S8_S8_S8_S8_EEEEPS9_S9_NSD_9__find_if7functorIS9_EEEE10hipError_tPvRmT1_T2_T3_mT4_P12ihipStream_tbEUlT_E1_NS1_11comp_targetILNS1_3genE8ELNS1_11target_archE1030ELNS1_3gpuE2ELNS1_3repE0EEENS1_30default_config_static_selectorELNS0_4arch9wavefront6targetE1EEEvS17_.kd
    .uniform_work_group_size: 1
    .uses_dynamic_stack: false
    .vgpr_count:     0
    .vgpr_spill_count: 0
    .wavefront_size: 64
  - .agpr_count:     0
    .args:
      - .offset:         0
        .size:           48
        .value_kind:     by_value
    .group_segment_fixed_size: 0
    .kernarg_segment_align: 8
    .kernarg_segment_size: 48
    .language:       OpenCL C
    .language_version:
      - 2
      - 0
    .max_flat_workgroup_size: 256
    .name:           _ZN7rocprim17ROCPRIM_400000_NS6detail17trampoline_kernelINS0_13kernel_configILj256ELj4ELj4294967295EEENS1_37radix_sort_block_sort_config_selectorIdlEEZNS1_21radix_sort_block_sortIS4_Lb0EPdS8_N6thrust23THRUST_200600_302600_NS10device_ptrIlEESC_NS0_19identity_decomposerEEE10hipError_tT1_T2_T3_T4_jRjT5_jjP12ihipStream_tbEUlT_E_NS1_11comp_targetILNS1_3genE0ELNS1_11target_archE4294967295ELNS1_3gpuE0ELNS1_3repE0EEENS1_44radix_sort_block_sort_config_static_selectorELNS0_4arch9wavefront6targetE1EEEvSF_
    .private_segment_fixed_size: 0
    .sgpr_count:     4
    .sgpr_spill_count: 0
    .symbol:         _ZN7rocprim17ROCPRIM_400000_NS6detail17trampoline_kernelINS0_13kernel_configILj256ELj4ELj4294967295EEENS1_37radix_sort_block_sort_config_selectorIdlEEZNS1_21radix_sort_block_sortIS4_Lb0EPdS8_N6thrust23THRUST_200600_302600_NS10device_ptrIlEESC_NS0_19identity_decomposerEEE10hipError_tT1_T2_T3_T4_jRjT5_jjP12ihipStream_tbEUlT_E_NS1_11comp_targetILNS1_3genE0ELNS1_11target_archE4294967295ELNS1_3gpuE0ELNS1_3repE0EEENS1_44radix_sort_block_sort_config_static_selectorELNS0_4arch9wavefront6targetE1EEEvSF_.kd
    .uniform_work_group_size: 1
    .uses_dynamic_stack: false
    .vgpr_count:     0
    .vgpr_spill_count: 0
    .wavefront_size: 64
  - .agpr_count:     0
    .args:
      - .offset:         0
        .size:           48
        .value_kind:     by_value
    .group_segment_fixed_size: 0
    .kernarg_segment_align: 8
    .kernarg_segment_size: 48
    .language:       OpenCL C
    .language_version:
      - 2
      - 0
    .max_flat_workgroup_size: 256
    .name:           _ZN7rocprim17ROCPRIM_400000_NS6detail17trampoline_kernelINS0_13kernel_configILj256ELj4ELj4294967295EEENS1_37radix_sort_block_sort_config_selectorIdlEEZNS1_21radix_sort_block_sortIS4_Lb0EPdS8_N6thrust23THRUST_200600_302600_NS10device_ptrIlEESC_NS0_19identity_decomposerEEE10hipError_tT1_T2_T3_T4_jRjT5_jjP12ihipStream_tbEUlT_E_NS1_11comp_targetILNS1_3genE5ELNS1_11target_archE942ELNS1_3gpuE9ELNS1_3repE0EEENS1_44radix_sort_block_sort_config_static_selectorELNS0_4arch9wavefront6targetE1EEEvSF_
    .private_segment_fixed_size: 0
    .sgpr_count:     4
    .sgpr_spill_count: 0
    .symbol:         _ZN7rocprim17ROCPRIM_400000_NS6detail17trampoline_kernelINS0_13kernel_configILj256ELj4ELj4294967295EEENS1_37radix_sort_block_sort_config_selectorIdlEEZNS1_21radix_sort_block_sortIS4_Lb0EPdS8_N6thrust23THRUST_200600_302600_NS10device_ptrIlEESC_NS0_19identity_decomposerEEE10hipError_tT1_T2_T3_T4_jRjT5_jjP12ihipStream_tbEUlT_E_NS1_11comp_targetILNS1_3genE5ELNS1_11target_archE942ELNS1_3gpuE9ELNS1_3repE0EEENS1_44radix_sort_block_sort_config_static_selectorELNS0_4arch9wavefront6targetE1EEEvSF_.kd
    .uniform_work_group_size: 1
    .uses_dynamic_stack: false
    .vgpr_count:     0
    .vgpr_spill_count: 0
    .wavefront_size: 64
  - .agpr_count:     0
    .args:
      - .offset:         0
        .size:           48
        .value_kind:     by_value
      - .offset:         48
        .size:           4
        .value_kind:     hidden_block_count_x
      - .offset:         52
        .size:           4
        .value_kind:     hidden_block_count_y
      - .offset:         56
        .size:           4
        .value_kind:     hidden_block_count_z
      - .offset:         60
        .size:           2
        .value_kind:     hidden_group_size_x
      - .offset:         62
        .size:           2
        .value_kind:     hidden_group_size_y
      - .offset:         64
        .size:           2
        .value_kind:     hidden_group_size_z
      - .offset:         66
        .size:           2
        .value_kind:     hidden_remainder_x
      - .offset:         68
        .size:           2
        .value_kind:     hidden_remainder_y
      - .offset:         70
        .size:           2
        .value_kind:     hidden_remainder_z
      - .offset:         88
        .size:           8
        .value_kind:     hidden_global_offset_x
      - .offset:         96
        .size:           8
        .value_kind:     hidden_global_offset_y
      - .offset:         104
        .size:           8
        .value_kind:     hidden_global_offset_z
      - .offset:         112
        .size:           2
        .value_kind:     hidden_grid_dims
    .group_segment_fixed_size: 8192
    .kernarg_segment_align: 8
    .kernarg_segment_size: 304
    .language:       OpenCL C
    .language_version:
      - 2
      - 0
    .max_flat_workgroup_size: 256
    .name:           _ZN7rocprim17ROCPRIM_400000_NS6detail17trampoline_kernelINS0_13kernel_configILj256ELj4ELj4294967295EEENS1_37radix_sort_block_sort_config_selectorIdlEEZNS1_21radix_sort_block_sortIS4_Lb0EPdS8_N6thrust23THRUST_200600_302600_NS10device_ptrIlEESC_NS0_19identity_decomposerEEE10hipError_tT1_T2_T3_T4_jRjT5_jjP12ihipStream_tbEUlT_E_NS1_11comp_targetILNS1_3genE4ELNS1_11target_archE910ELNS1_3gpuE8ELNS1_3repE0EEENS1_44radix_sort_block_sort_config_static_selectorELNS0_4arch9wavefront6targetE1EEEvSF_
    .private_segment_fixed_size: 0
    .sgpr_count:     52
    .sgpr_spill_count: 0
    .symbol:         _ZN7rocprim17ROCPRIM_400000_NS6detail17trampoline_kernelINS0_13kernel_configILj256ELj4ELj4294967295EEENS1_37radix_sort_block_sort_config_selectorIdlEEZNS1_21radix_sort_block_sortIS4_Lb0EPdS8_N6thrust23THRUST_200600_302600_NS10device_ptrIlEESC_NS0_19identity_decomposerEEE10hipError_tT1_T2_T3_T4_jRjT5_jjP12ihipStream_tbEUlT_E_NS1_11comp_targetILNS1_3genE4ELNS1_11target_archE910ELNS1_3gpuE8ELNS1_3repE0EEENS1_44radix_sort_block_sort_config_static_selectorELNS0_4arch9wavefront6targetE1EEEvSF_.kd
    .uniform_work_group_size: 1
    .uses_dynamic_stack: false
    .vgpr_count:     53
    .vgpr_spill_count: 0
    .wavefront_size: 64
  - .agpr_count:     0
    .args:
      - .offset:         0
        .size:           48
        .value_kind:     by_value
    .group_segment_fixed_size: 0
    .kernarg_segment_align: 8
    .kernarg_segment_size: 48
    .language:       OpenCL C
    .language_version:
      - 2
      - 0
    .max_flat_workgroup_size: 256
    .name:           _ZN7rocprim17ROCPRIM_400000_NS6detail17trampoline_kernelINS0_13kernel_configILj256ELj4ELj4294967295EEENS1_37radix_sort_block_sort_config_selectorIdlEEZNS1_21radix_sort_block_sortIS4_Lb0EPdS8_N6thrust23THRUST_200600_302600_NS10device_ptrIlEESC_NS0_19identity_decomposerEEE10hipError_tT1_T2_T3_T4_jRjT5_jjP12ihipStream_tbEUlT_E_NS1_11comp_targetILNS1_3genE3ELNS1_11target_archE908ELNS1_3gpuE7ELNS1_3repE0EEENS1_44radix_sort_block_sort_config_static_selectorELNS0_4arch9wavefront6targetE1EEEvSF_
    .private_segment_fixed_size: 0
    .sgpr_count:     4
    .sgpr_spill_count: 0
    .symbol:         _ZN7rocprim17ROCPRIM_400000_NS6detail17trampoline_kernelINS0_13kernel_configILj256ELj4ELj4294967295EEENS1_37radix_sort_block_sort_config_selectorIdlEEZNS1_21radix_sort_block_sortIS4_Lb0EPdS8_N6thrust23THRUST_200600_302600_NS10device_ptrIlEESC_NS0_19identity_decomposerEEE10hipError_tT1_T2_T3_T4_jRjT5_jjP12ihipStream_tbEUlT_E_NS1_11comp_targetILNS1_3genE3ELNS1_11target_archE908ELNS1_3gpuE7ELNS1_3repE0EEENS1_44radix_sort_block_sort_config_static_selectorELNS0_4arch9wavefront6targetE1EEEvSF_.kd
    .uniform_work_group_size: 1
    .uses_dynamic_stack: false
    .vgpr_count:     0
    .vgpr_spill_count: 0
    .wavefront_size: 64
  - .agpr_count:     0
    .args:
      - .offset:         0
        .size:           48
        .value_kind:     by_value
    .group_segment_fixed_size: 0
    .kernarg_segment_align: 8
    .kernarg_segment_size: 48
    .language:       OpenCL C
    .language_version:
      - 2
      - 0
    .max_flat_workgroup_size: 256
    .name:           _ZN7rocprim17ROCPRIM_400000_NS6detail17trampoline_kernelINS0_13kernel_configILj256ELj4ELj4294967295EEENS1_37radix_sort_block_sort_config_selectorIdlEEZNS1_21radix_sort_block_sortIS4_Lb0EPdS8_N6thrust23THRUST_200600_302600_NS10device_ptrIlEESC_NS0_19identity_decomposerEEE10hipError_tT1_T2_T3_T4_jRjT5_jjP12ihipStream_tbEUlT_E_NS1_11comp_targetILNS1_3genE2ELNS1_11target_archE906ELNS1_3gpuE6ELNS1_3repE0EEENS1_44radix_sort_block_sort_config_static_selectorELNS0_4arch9wavefront6targetE1EEEvSF_
    .private_segment_fixed_size: 0
    .sgpr_count:     4
    .sgpr_spill_count: 0
    .symbol:         _ZN7rocprim17ROCPRIM_400000_NS6detail17trampoline_kernelINS0_13kernel_configILj256ELj4ELj4294967295EEENS1_37radix_sort_block_sort_config_selectorIdlEEZNS1_21radix_sort_block_sortIS4_Lb0EPdS8_N6thrust23THRUST_200600_302600_NS10device_ptrIlEESC_NS0_19identity_decomposerEEE10hipError_tT1_T2_T3_T4_jRjT5_jjP12ihipStream_tbEUlT_E_NS1_11comp_targetILNS1_3genE2ELNS1_11target_archE906ELNS1_3gpuE6ELNS1_3repE0EEENS1_44radix_sort_block_sort_config_static_selectorELNS0_4arch9wavefront6targetE1EEEvSF_.kd
    .uniform_work_group_size: 1
    .uses_dynamic_stack: false
    .vgpr_count:     0
    .vgpr_spill_count: 0
    .wavefront_size: 64
  - .agpr_count:     0
    .args:
      - .offset:         0
        .size:           48
        .value_kind:     by_value
    .group_segment_fixed_size: 0
    .kernarg_segment_align: 8
    .kernarg_segment_size: 48
    .language:       OpenCL C
    .language_version:
      - 2
      - 0
    .max_flat_workgroup_size: 256
    .name:           _ZN7rocprim17ROCPRIM_400000_NS6detail17trampoline_kernelINS0_13kernel_configILj256ELj4ELj4294967295EEENS1_37radix_sort_block_sort_config_selectorIdlEEZNS1_21radix_sort_block_sortIS4_Lb0EPdS8_N6thrust23THRUST_200600_302600_NS10device_ptrIlEESC_NS0_19identity_decomposerEEE10hipError_tT1_T2_T3_T4_jRjT5_jjP12ihipStream_tbEUlT_E_NS1_11comp_targetILNS1_3genE10ELNS1_11target_archE1201ELNS1_3gpuE5ELNS1_3repE0EEENS1_44radix_sort_block_sort_config_static_selectorELNS0_4arch9wavefront6targetE1EEEvSF_
    .private_segment_fixed_size: 0
    .sgpr_count:     4
    .sgpr_spill_count: 0
    .symbol:         _ZN7rocprim17ROCPRIM_400000_NS6detail17trampoline_kernelINS0_13kernel_configILj256ELj4ELj4294967295EEENS1_37radix_sort_block_sort_config_selectorIdlEEZNS1_21radix_sort_block_sortIS4_Lb0EPdS8_N6thrust23THRUST_200600_302600_NS10device_ptrIlEESC_NS0_19identity_decomposerEEE10hipError_tT1_T2_T3_T4_jRjT5_jjP12ihipStream_tbEUlT_E_NS1_11comp_targetILNS1_3genE10ELNS1_11target_archE1201ELNS1_3gpuE5ELNS1_3repE0EEENS1_44radix_sort_block_sort_config_static_selectorELNS0_4arch9wavefront6targetE1EEEvSF_.kd
    .uniform_work_group_size: 1
    .uses_dynamic_stack: false
    .vgpr_count:     0
    .vgpr_spill_count: 0
    .wavefront_size: 64
  - .agpr_count:     0
    .args:
      - .offset:         0
        .size:           48
        .value_kind:     by_value
    .group_segment_fixed_size: 0
    .kernarg_segment_align: 8
    .kernarg_segment_size: 48
    .language:       OpenCL C
    .language_version:
      - 2
      - 0
    .max_flat_workgroup_size: 256
    .name:           _ZN7rocprim17ROCPRIM_400000_NS6detail17trampoline_kernelINS0_13kernel_configILj256ELj4ELj4294967295EEENS1_37radix_sort_block_sort_config_selectorIdlEEZNS1_21radix_sort_block_sortIS4_Lb0EPdS8_N6thrust23THRUST_200600_302600_NS10device_ptrIlEESC_NS0_19identity_decomposerEEE10hipError_tT1_T2_T3_T4_jRjT5_jjP12ihipStream_tbEUlT_E_NS1_11comp_targetILNS1_3genE10ELNS1_11target_archE1200ELNS1_3gpuE4ELNS1_3repE0EEENS1_44radix_sort_block_sort_config_static_selectorELNS0_4arch9wavefront6targetE1EEEvSF_
    .private_segment_fixed_size: 0
    .sgpr_count:     4
    .sgpr_spill_count: 0
    .symbol:         _ZN7rocprim17ROCPRIM_400000_NS6detail17trampoline_kernelINS0_13kernel_configILj256ELj4ELj4294967295EEENS1_37radix_sort_block_sort_config_selectorIdlEEZNS1_21radix_sort_block_sortIS4_Lb0EPdS8_N6thrust23THRUST_200600_302600_NS10device_ptrIlEESC_NS0_19identity_decomposerEEE10hipError_tT1_T2_T3_T4_jRjT5_jjP12ihipStream_tbEUlT_E_NS1_11comp_targetILNS1_3genE10ELNS1_11target_archE1200ELNS1_3gpuE4ELNS1_3repE0EEENS1_44radix_sort_block_sort_config_static_selectorELNS0_4arch9wavefront6targetE1EEEvSF_.kd
    .uniform_work_group_size: 1
    .uses_dynamic_stack: false
    .vgpr_count:     0
    .vgpr_spill_count: 0
    .wavefront_size: 64
  - .agpr_count:     0
    .args:
      - .offset:         0
        .size:           48
        .value_kind:     by_value
    .group_segment_fixed_size: 0
    .kernarg_segment_align: 8
    .kernarg_segment_size: 48
    .language:       OpenCL C
    .language_version:
      - 2
      - 0
    .max_flat_workgroup_size: 256
    .name:           _ZN7rocprim17ROCPRIM_400000_NS6detail17trampoline_kernelINS0_13kernel_configILj256ELj4ELj4294967295EEENS1_37radix_sort_block_sort_config_selectorIdlEEZNS1_21radix_sort_block_sortIS4_Lb0EPdS8_N6thrust23THRUST_200600_302600_NS10device_ptrIlEESC_NS0_19identity_decomposerEEE10hipError_tT1_T2_T3_T4_jRjT5_jjP12ihipStream_tbEUlT_E_NS1_11comp_targetILNS1_3genE9ELNS1_11target_archE1100ELNS1_3gpuE3ELNS1_3repE0EEENS1_44radix_sort_block_sort_config_static_selectorELNS0_4arch9wavefront6targetE1EEEvSF_
    .private_segment_fixed_size: 0
    .sgpr_count:     4
    .sgpr_spill_count: 0
    .symbol:         _ZN7rocprim17ROCPRIM_400000_NS6detail17trampoline_kernelINS0_13kernel_configILj256ELj4ELj4294967295EEENS1_37radix_sort_block_sort_config_selectorIdlEEZNS1_21radix_sort_block_sortIS4_Lb0EPdS8_N6thrust23THRUST_200600_302600_NS10device_ptrIlEESC_NS0_19identity_decomposerEEE10hipError_tT1_T2_T3_T4_jRjT5_jjP12ihipStream_tbEUlT_E_NS1_11comp_targetILNS1_3genE9ELNS1_11target_archE1100ELNS1_3gpuE3ELNS1_3repE0EEENS1_44radix_sort_block_sort_config_static_selectorELNS0_4arch9wavefront6targetE1EEEvSF_.kd
    .uniform_work_group_size: 1
    .uses_dynamic_stack: false
    .vgpr_count:     0
    .vgpr_spill_count: 0
    .wavefront_size: 64
  - .agpr_count:     0
    .args:
      - .offset:         0
        .size:           48
        .value_kind:     by_value
    .group_segment_fixed_size: 0
    .kernarg_segment_align: 8
    .kernarg_segment_size: 48
    .language:       OpenCL C
    .language_version:
      - 2
      - 0
    .max_flat_workgroup_size: 256
    .name:           _ZN7rocprim17ROCPRIM_400000_NS6detail17trampoline_kernelINS0_13kernel_configILj256ELj4ELj4294967295EEENS1_37radix_sort_block_sort_config_selectorIdlEEZNS1_21radix_sort_block_sortIS4_Lb0EPdS8_N6thrust23THRUST_200600_302600_NS10device_ptrIlEESC_NS0_19identity_decomposerEEE10hipError_tT1_T2_T3_T4_jRjT5_jjP12ihipStream_tbEUlT_E_NS1_11comp_targetILNS1_3genE8ELNS1_11target_archE1030ELNS1_3gpuE2ELNS1_3repE0EEENS1_44radix_sort_block_sort_config_static_selectorELNS0_4arch9wavefront6targetE1EEEvSF_
    .private_segment_fixed_size: 0
    .sgpr_count:     4
    .sgpr_spill_count: 0
    .symbol:         _ZN7rocprim17ROCPRIM_400000_NS6detail17trampoline_kernelINS0_13kernel_configILj256ELj4ELj4294967295EEENS1_37radix_sort_block_sort_config_selectorIdlEEZNS1_21radix_sort_block_sortIS4_Lb0EPdS8_N6thrust23THRUST_200600_302600_NS10device_ptrIlEESC_NS0_19identity_decomposerEEE10hipError_tT1_T2_T3_T4_jRjT5_jjP12ihipStream_tbEUlT_E_NS1_11comp_targetILNS1_3genE8ELNS1_11target_archE1030ELNS1_3gpuE2ELNS1_3repE0EEENS1_44radix_sort_block_sort_config_static_selectorELNS0_4arch9wavefront6targetE1EEEvSF_.kd
    .uniform_work_group_size: 1
    .uses_dynamic_stack: false
    .vgpr_count:     0
    .vgpr_spill_count: 0
    .wavefront_size: 64
  - .agpr_count:     0
    .args:           []
    .group_segment_fixed_size: 0
    .kernarg_segment_align: 4
    .kernarg_segment_size: 0
    .language:       OpenCL C
    .language_version:
      - 2
      - 0
    .max_flat_workgroup_size: 1024
    .name:           _ZN7rocprim17ROCPRIM_400000_NS6detail44device_merge_sort_compile_time_verifier_archINS1_11comp_targetILNS1_3genE0ELNS1_11target_archE4294967295ELNS1_3gpuE0ELNS1_3repE0EEES8_NS1_28merge_sort_block_sort_configILj256ELj4ELNS0_20block_sort_algorithmE0EEENS0_14default_configENS1_37merge_sort_block_sort_config_selectorIdlEENS1_38merge_sort_block_merge_config_selectorIdlEEEEvv
    .private_segment_fixed_size: 0
    .sgpr_count:     4
    .sgpr_spill_count: 0
    .symbol:         _ZN7rocprim17ROCPRIM_400000_NS6detail44device_merge_sort_compile_time_verifier_archINS1_11comp_targetILNS1_3genE0ELNS1_11target_archE4294967295ELNS1_3gpuE0ELNS1_3repE0EEES8_NS1_28merge_sort_block_sort_configILj256ELj4ELNS0_20block_sort_algorithmE0EEENS0_14default_configENS1_37merge_sort_block_sort_config_selectorIdlEENS1_38merge_sort_block_merge_config_selectorIdlEEEEvv.kd
    .uniform_work_group_size: 1
    .uses_dynamic_stack: false
    .vgpr_count:     0
    .vgpr_spill_count: 0
    .wavefront_size: 64
  - .agpr_count:     0
    .args:           []
    .group_segment_fixed_size: 0
    .kernarg_segment_align: 4
    .kernarg_segment_size: 0
    .language:       OpenCL C
    .language_version:
      - 2
      - 0
    .max_flat_workgroup_size: 1024
    .name:           _ZN7rocprim17ROCPRIM_400000_NS6detail44device_merge_sort_compile_time_verifier_archINS1_11comp_targetILNS1_3genE5ELNS1_11target_archE942ELNS1_3gpuE9ELNS1_3repE0EEES8_NS1_28merge_sort_block_sort_configILj256ELj4ELNS0_20block_sort_algorithmE0EEENS0_14default_configENS1_37merge_sort_block_sort_config_selectorIdlEENS1_38merge_sort_block_merge_config_selectorIdlEEEEvv
    .private_segment_fixed_size: 0
    .sgpr_count:     4
    .sgpr_spill_count: 0
    .symbol:         _ZN7rocprim17ROCPRIM_400000_NS6detail44device_merge_sort_compile_time_verifier_archINS1_11comp_targetILNS1_3genE5ELNS1_11target_archE942ELNS1_3gpuE9ELNS1_3repE0EEES8_NS1_28merge_sort_block_sort_configILj256ELj4ELNS0_20block_sort_algorithmE0EEENS0_14default_configENS1_37merge_sort_block_sort_config_selectorIdlEENS1_38merge_sort_block_merge_config_selectorIdlEEEEvv.kd
    .uniform_work_group_size: 1
    .uses_dynamic_stack: false
    .vgpr_count:     0
    .vgpr_spill_count: 0
    .wavefront_size: 64
  - .agpr_count:     0
    .args:           []
    .group_segment_fixed_size: 0
    .kernarg_segment_align: 4
    .kernarg_segment_size: 0
    .language:       OpenCL C
    .language_version:
      - 2
      - 0
    .max_flat_workgroup_size: 1024
    .name:           _ZN7rocprim17ROCPRIM_400000_NS6detail44device_merge_sort_compile_time_verifier_archINS1_11comp_targetILNS1_3genE4ELNS1_11target_archE910ELNS1_3gpuE8ELNS1_3repE0EEES8_NS1_28merge_sort_block_sort_configILj256ELj4ELNS0_20block_sort_algorithmE0EEENS0_14default_configENS1_37merge_sort_block_sort_config_selectorIdlEENS1_38merge_sort_block_merge_config_selectorIdlEEEEvv
    .private_segment_fixed_size: 0
    .sgpr_count:     4
    .sgpr_spill_count: 0
    .symbol:         _ZN7rocprim17ROCPRIM_400000_NS6detail44device_merge_sort_compile_time_verifier_archINS1_11comp_targetILNS1_3genE4ELNS1_11target_archE910ELNS1_3gpuE8ELNS1_3repE0EEES8_NS1_28merge_sort_block_sort_configILj256ELj4ELNS0_20block_sort_algorithmE0EEENS0_14default_configENS1_37merge_sort_block_sort_config_selectorIdlEENS1_38merge_sort_block_merge_config_selectorIdlEEEEvv.kd
    .uniform_work_group_size: 1
    .uses_dynamic_stack: false
    .vgpr_count:     0
    .vgpr_spill_count: 0
    .wavefront_size: 64
  - .agpr_count:     0
    .args:           []
    .group_segment_fixed_size: 0
    .kernarg_segment_align: 4
    .kernarg_segment_size: 0
    .language:       OpenCL C
    .language_version:
      - 2
      - 0
    .max_flat_workgroup_size: 1024
    .name:           _ZN7rocprim17ROCPRIM_400000_NS6detail44device_merge_sort_compile_time_verifier_archINS1_11comp_targetILNS1_3genE3ELNS1_11target_archE908ELNS1_3gpuE7ELNS1_3repE0EEES8_NS1_28merge_sort_block_sort_configILj256ELj4ELNS0_20block_sort_algorithmE0EEENS0_14default_configENS1_37merge_sort_block_sort_config_selectorIdlEENS1_38merge_sort_block_merge_config_selectorIdlEEEEvv
    .private_segment_fixed_size: 0
    .sgpr_count:     4
    .sgpr_spill_count: 0
    .symbol:         _ZN7rocprim17ROCPRIM_400000_NS6detail44device_merge_sort_compile_time_verifier_archINS1_11comp_targetILNS1_3genE3ELNS1_11target_archE908ELNS1_3gpuE7ELNS1_3repE0EEES8_NS1_28merge_sort_block_sort_configILj256ELj4ELNS0_20block_sort_algorithmE0EEENS0_14default_configENS1_37merge_sort_block_sort_config_selectorIdlEENS1_38merge_sort_block_merge_config_selectorIdlEEEEvv.kd
    .uniform_work_group_size: 1
    .uses_dynamic_stack: false
    .vgpr_count:     0
    .vgpr_spill_count: 0
    .wavefront_size: 64
  - .agpr_count:     0
    .args:           []
    .group_segment_fixed_size: 0
    .kernarg_segment_align: 4
    .kernarg_segment_size: 0
    .language:       OpenCL C
    .language_version:
      - 2
      - 0
    .max_flat_workgroup_size: 1024
    .name:           _ZN7rocprim17ROCPRIM_400000_NS6detail44device_merge_sort_compile_time_verifier_archINS1_11comp_targetILNS1_3genE2ELNS1_11target_archE906ELNS1_3gpuE6ELNS1_3repE0EEES8_NS1_28merge_sort_block_sort_configILj256ELj4ELNS0_20block_sort_algorithmE0EEENS0_14default_configENS1_37merge_sort_block_sort_config_selectorIdlEENS1_38merge_sort_block_merge_config_selectorIdlEEEEvv
    .private_segment_fixed_size: 0
    .sgpr_count:     4
    .sgpr_spill_count: 0
    .symbol:         _ZN7rocprim17ROCPRIM_400000_NS6detail44device_merge_sort_compile_time_verifier_archINS1_11comp_targetILNS1_3genE2ELNS1_11target_archE906ELNS1_3gpuE6ELNS1_3repE0EEES8_NS1_28merge_sort_block_sort_configILj256ELj4ELNS0_20block_sort_algorithmE0EEENS0_14default_configENS1_37merge_sort_block_sort_config_selectorIdlEENS1_38merge_sort_block_merge_config_selectorIdlEEEEvv.kd
    .uniform_work_group_size: 1
    .uses_dynamic_stack: false
    .vgpr_count:     0
    .vgpr_spill_count: 0
    .wavefront_size: 64
  - .agpr_count:     0
    .args:           []
    .group_segment_fixed_size: 0
    .kernarg_segment_align: 4
    .kernarg_segment_size: 0
    .language:       OpenCL C
    .language_version:
      - 2
      - 0
    .max_flat_workgroup_size: 1024
    .name:           _ZN7rocprim17ROCPRIM_400000_NS6detail44device_merge_sort_compile_time_verifier_archINS1_11comp_targetILNS1_3genE10ELNS1_11target_archE1201ELNS1_3gpuE5ELNS1_3repE0EEES8_NS1_28merge_sort_block_sort_configILj256ELj4ELNS0_20block_sort_algorithmE0EEENS0_14default_configENS1_37merge_sort_block_sort_config_selectorIdlEENS1_38merge_sort_block_merge_config_selectorIdlEEEEvv
    .private_segment_fixed_size: 0
    .sgpr_count:     4
    .sgpr_spill_count: 0
    .symbol:         _ZN7rocprim17ROCPRIM_400000_NS6detail44device_merge_sort_compile_time_verifier_archINS1_11comp_targetILNS1_3genE10ELNS1_11target_archE1201ELNS1_3gpuE5ELNS1_3repE0EEES8_NS1_28merge_sort_block_sort_configILj256ELj4ELNS0_20block_sort_algorithmE0EEENS0_14default_configENS1_37merge_sort_block_sort_config_selectorIdlEENS1_38merge_sort_block_merge_config_selectorIdlEEEEvv.kd
    .uniform_work_group_size: 1
    .uses_dynamic_stack: false
    .vgpr_count:     0
    .vgpr_spill_count: 0
    .wavefront_size: 64
  - .agpr_count:     0
    .args:           []
    .group_segment_fixed_size: 0
    .kernarg_segment_align: 4
    .kernarg_segment_size: 0
    .language:       OpenCL C
    .language_version:
      - 2
      - 0
    .max_flat_workgroup_size: 1024
    .name:           _ZN7rocprim17ROCPRIM_400000_NS6detail44device_merge_sort_compile_time_verifier_archINS1_11comp_targetILNS1_3genE10ELNS1_11target_archE1200ELNS1_3gpuE4ELNS1_3repE0EEENS3_ILS4_10ELS5_1201ELS6_5ELS7_0EEENS1_28merge_sort_block_sort_configILj256ELj4ELNS0_20block_sort_algorithmE0EEENS0_14default_configENS1_37merge_sort_block_sort_config_selectorIdlEENS1_38merge_sort_block_merge_config_selectorIdlEEEEvv
    .private_segment_fixed_size: 0
    .sgpr_count:     4
    .sgpr_spill_count: 0
    .symbol:         _ZN7rocprim17ROCPRIM_400000_NS6detail44device_merge_sort_compile_time_verifier_archINS1_11comp_targetILNS1_3genE10ELNS1_11target_archE1200ELNS1_3gpuE4ELNS1_3repE0EEENS3_ILS4_10ELS5_1201ELS6_5ELS7_0EEENS1_28merge_sort_block_sort_configILj256ELj4ELNS0_20block_sort_algorithmE0EEENS0_14default_configENS1_37merge_sort_block_sort_config_selectorIdlEENS1_38merge_sort_block_merge_config_selectorIdlEEEEvv.kd
    .uniform_work_group_size: 1
    .uses_dynamic_stack: false
    .vgpr_count:     0
    .vgpr_spill_count: 0
    .wavefront_size: 64
  - .agpr_count:     0
    .args:           []
    .group_segment_fixed_size: 0
    .kernarg_segment_align: 4
    .kernarg_segment_size: 0
    .language:       OpenCL C
    .language_version:
      - 2
      - 0
    .max_flat_workgroup_size: 1024
    .name:           _ZN7rocprim17ROCPRIM_400000_NS6detail44device_merge_sort_compile_time_verifier_archINS1_11comp_targetILNS1_3genE9ELNS1_11target_archE1100ELNS1_3gpuE3ELNS1_3repE0EEES8_NS1_28merge_sort_block_sort_configILj256ELj4ELNS0_20block_sort_algorithmE0EEENS0_14default_configENS1_37merge_sort_block_sort_config_selectorIdlEENS1_38merge_sort_block_merge_config_selectorIdlEEEEvv
    .private_segment_fixed_size: 0
    .sgpr_count:     4
    .sgpr_spill_count: 0
    .symbol:         _ZN7rocprim17ROCPRIM_400000_NS6detail44device_merge_sort_compile_time_verifier_archINS1_11comp_targetILNS1_3genE9ELNS1_11target_archE1100ELNS1_3gpuE3ELNS1_3repE0EEES8_NS1_28merge_sort_block_sort_configILj256ELj4ELNS0_20block_sort_algorithmE0EEENS0_14default_configENS1_37merge_sort_block_sort_config_selectorIdlEENS1_38merge_sort_block_merge_config_selectorIdlEEEEvv.kd
    .uniform_work_group_size: 1
    .uses_dynamic_stack: false
    .vgpr_count:     0
    .vgpr_spill_count: 0
    .wavefront_size: 64
  - .agpr_count:     0
    .args:           []
    .group_segment_fixed_size: 0
    .kernarg_segment_align: 4
    .kernarg_segment_size: 0
    .language:       OpenCL C
    .language_version:
      - 2
      - 0
    .max_flat_workgroup_size: 1024
    .name:           _ZN7rocprim17ROCPRIM_400000_NS6detail44device_merge_sort_compile_time_verifier_archINS1_11comp_targetILNS1_3genE8ELNS1_11target_archE1030ELNS1_3gpuE2ELNS1_3repE0EEES8_NS1_28merge_sort_block_sort_configILj256ELj4ELNS0_20block_sort_algorithmE0EEENS0_14default_configENS1_37merge_sort_block_sort_config_selectorIdlEENS1_38merge_sort_block_merge_config_selectorIdlEEEEvv
    .private_segment_fixed_size: 0
    .sgpr_count:     4
    .sgpr_spill_count: 0
    .symbol:         _ZN7rocprim17ROCPRIM_400000_NS6detail44device_merge_sort_compile_time_verifier_archINS1_11comp_targetILNS1_3genE8ELNS1_11target_archE1030ELNS1_3gpuE2ELNS1_3repE0EEES8_NS1_28merge_sort_block_sort_configILj256ELj4ELNS0_20block_sort_algorithmE0EEENS0_14default_configENS1_37merge_sort_block_sort_config_selectorIdlEENS1_38merge_sort_block_merge_config_selectorIdlEEEEvv.kd
    .uniform_work_group_size: 1
    .uses_dynamic_stack: false
    .vgpr_count:     0
    .vgpr_spill_count: 0
    .wavefront_size: 64
  - .agpr_count:     0
    .args:
      - .offset:         0
        .size:           40
        .value_kind:     by_value
    .group_segment_fixed_size: 0
    .kernarg_segment_align: 8
    .kernarg_segment_size: 40
    .language:       OpenCL C
    .language_version:
      - 2
      - 0
    .max_flat_workgroup_size: 128
    .name:           _ZN7rocprim17ROCPRIM_400000_NS6detail17trampoline_kernelINS0_14default_configENS1_38merge_sort_block_merge_config_selectorIdlEEZZNS1_27merge_sort_block_merge_implIS3_PdN6thrust23THRUST_200600_302600_NS10device_ptrIlEEjNS1_19radix_merge_compareILb0ELb0EdNS0_19identity_decomposerEEEEE10hipError_tT0_T1_T2_jT3_P12ihipStream_tbPNSt15iterator_traitsISG_E10value_typeEPNSM_ISH_E10value_typeEPSI_NS1_7vsmem_tEENKUlT_SG_SH_SI_E_clIS7_S7_PlSB_EESF_SV_SG_SH_SI_EUlSV_E_NS1_11comp_targetILNS1_3genE0ELNS1_11target_archE4294967295ELNS1_3gpuE0ELNS1_3repE0EEENS1_48merge_mergepath_partition_config_static_selectorELNS0_4arch9wavefront6targetE1EEEvSH_
    .private_segment_fixed_size: 0
    .sgpr_count:     4
    .sgpr_spill_count: 0
    .symbol:         _ZN7rocprim17ROCPRIM_400000_NS6detail17trampoline_kernelINS0_14default_configENS1_38merge_sort_block_merge_config_selectorIdlEEZZNS1_27merge_sort_block_merge_implIS3_PdN6thrust23THRUST_200600_302600_NS10device_ptrIlEEjNS1_19radix_merge_compareILb0ELb0EdNS0_19identity_decomposerEEEEE10hipError_tT0_T1_T2_jT3_P12ihipStream_tbPNSt15iterator_traitsISG_E10value_typeEPNSM_ISH_E10value_typeEPSI_NS1_7vsmem_tEENKUlT_SG_SH_SI_E_clIS7_S7_PlSB_EESF_SV_SG_SH_SI_EUlSV_E_NS1_11comp_targetILNS1_3genE0ELNS1_11target_archE4294967295ELNS1_3gpuE0ELNS1_3repE0EEENS1_48merge_mergepath_partition_config_static_selectorELNS0_4arch9wavefront6targetE1EEEvSH_.kd
    .uniform_work_group_size: 1
    .uses_dynamic_stack: false
    .vgpr_count:     0
    .vgpr_spill_count: 0
    .wavefront_size: 64
  - .agpr_count:     0
    .args:
      - .offset:         0
        .size:           40
        .value_kind:     by_value
    .group_segment_fixed_size: 0
    .kernarg_segment_align: 8
    .kernarg_segment_size: 40
    .language:       OpenCL C
    .language_version:
      - 2
      - 0
    .max_flat_workgroup_size: 128
    .name:           _ZN7rocprim17ROCPRIM_400000_NS6detail17trampoline_kernelINS0_14default_configENS1_38merge_sort_block_merge_config_selectorIdlEEZZNS1_27merge_sort_block_merge_implIS3_PdN6thrust23THRUST_200600_302600_NS10device_ptrIlEEjNS1_19radix_merge_compareILb0ELb0EdNS0_19identity_decomposerEEEEE10hipError_tT0_T1_T2_jT3_P12ihipStream_tbPNSt15iterator_traitsISG_E10value_typeEPNSM_ISH_E10value_typeEPSI_NS1_7vsmem_tEENKUlT_SG_SH_SI_E_clIS7_S7_PlSB_EESF_SV_SG_SH_SI_EUlSV_E_NS1_11comp_targetILNS1_3genE10ELNS1_11target_archE1201ELNS1_3gpuE5ELNS1_3repE0EEENS1_48merge_mergepath_partition_config_static_selectorELNS0_4arch9wavefront6targetE1EEEvSH_
    .private_segment_fixed_size: 0
    .sgpr_count:     4
    .sgpr_spill_count: 0
    .symbol:         _ZN7rocprim17ROCPRIM_400000_NS6detail17trampoline_kernelINS0_14default_configENS1_38merge_sort_block_merge_config_selectorIdlEEZZNS1_27merge_sort_block_merge_implIS3_PdN6thrust23THRUST_200600_302600_NS10device_ptrIlEEjNS1_19radix_merge_compareILb0ELb0EdNS0_19identity_decomposerEEEEE10hipError_tT0_T1_T2_jT3_P12ihipStream_tbPNSt15iterator_traitsISG_E10value_typeEPNSM_ISH_E10value_typeEPSI_NS1_7vsmem_tEENKUlT_SG_SH_SI_E_clIS7_S7_PlSB_EESF_SV_SG_SH_SI_EUlSV_E_NS1_11comp_targetILNS1_3genE10ELNS1_11target_archE1201ELNS1_3gpuE5ELNS1_3repE0EEENS1_48merge_mergepath_partition_config_static_selectorELNS0_4arch9wavefront6targetE1EEEvSH_.kd
    .uniform_work_group_size: 1
    .uses_dynamic_stack: false
    .vgpr_count:     0
    .vgpr_spill_count: 0
    .wavefront_size: 64
  - .agpr_count:     0
    .args:
      - .offset:         0
        .size:           40
        .value_kind:     by_value
    .group_segment_fixed_size: 0
    .kernarg_segment_align: 8
    .kernarg_segment_size: 40
    .language:       OpenCL C
    .language_version:
      - 2
      - 0
    .max_flat_workgroup_size: 128
    .name:           _ZN7rocprim17ROCPRIM_400000_NS6detail17trampoline_kernelINS0_14default_configENS1_38merge_sort_block_merge_config_selectorIdlEEZZNS1_27merge_sort_block_merge_implIS3_PdN6thrust23THRUST_200600_302600_NS10device_ptrIlEEjNS1_19radix_merge_compareILb0ELb0EdNS0_19identity_decomposerEEEEE10hipError_tT0_T1_T2_jT3_P12ihipStream_tbPNSt15iterator_traitsISG_E10value_typeEPNSM_ISH_E10value_typeEPSI_NS1_7vsmem_tEENKUlT_SG_SH_SI_E_clIS7_S7_PlSB_EESF_SV_SG_SH_SI_EUlSV_E_NS1_11comp_targetILNS1_3genE5ELNS1_11target_archE942ELNS1_3gpuE9ELNS1_3repE0EEENS1_48merge_mergepath_partition_config_static_selectorELNS0_4arch9wavefront6targetE1EEEvSH_
    .private_segment_fixed_size: 0
    .sgpr_count:     4
    .sgpr_spill_count: 0
    .symbol:         _ZN7rocprim17ROCPRIM_400000_NS6detail17trampoline_kernelINS0_14default_configENS1_38merge_sort_block_merge_config_selectorIdlEEZZNS1_27merge_sort_block_merge_implIS3_PdN6thrust23THRUST_200600_302600_NS10device_ptrIlEEjNS1_19radix_merge_compareILb0ELb0EdNS0_19identity_decomposerEEEEE10hipError_tT0_T1_T2_jT3_P12ihipStream_tbPNSt15iterator_traitsISG_E10value_typeEPNSM_ISH_E10value_typeEPSI_NS1_7vsmem_tEENKUlT_SG_SH_SI_E_clIS7_S7_PlSB_EESF_SV_SG_SH_SI_EUlSV_E_NS1_11comp_targetILNS1_3genE5ELNS1_11target_archE942ELNS1_3gpuE9ELNS1_3repE0EEENS1_48merge_mergepath_partition_config_static_selectorELNS0_4arch9wavefront6targetE1EEEvSH_.kd
    .uniform_work_group_size: 1
    .uses_dynamic_stack: false
    .vgpr_count:     0
    .vgpr_spill_count: 0
    .wavefront_size: 64
  - .agpr_count:     0
    .args:
      - .offset:         0
        .size:           40
        .value_kind:     by_value
    .group_segment_fixed_size: 0
    .kernarg_segment_align: 8
    .kernarg_segment_size: 40
    .language:       OpenCL C
    .language_version:
      - 2
      - 0
    .max_flat_workgroup_size: 128
    .name:           _ZN7rocprim17ROCPRIM_400000_NS6detail17trampoline_kernelINS0_14default_configENS1_38merge_sort_block_merge_config_selectorIdlEEZZNS1_27merge_sort_block_merge_implIS3_PdN6thrust23THRUST_200600_302600_NS10device_ptrIlEEjNS1_19radix_merge_compareILb0ELb0EdNS0_19identity_decomposerEEEEE10hipError_tT0_T1_T2_jT3_P12ihipStream_tbPNSt15iterator_traitsISG_E10value_typeEPNSM_ISH_E10value_typeEPSI_NS1_7vsmem_tEENKUlT_SG_SH_SI_E_clIS7_S7_PlSB_EESF_SV_SG_SH_SI_EUlSV_E_NS1_11comp_targetILNS1_3genE4ELNS1_11target_archE910ELNS1_3gpuE8ELNS1_3repE0EEENS1_48merge_mergepath_partition_config_static_selectorELNS0_4arch9wavefront6targetE1EEEvSH_
    .private_segment_fixed_size: 0
    .sgpr_count:     12
    .sgpr_spill_count: 0
    .symbol:         _ZN7rocprim17ROCPRIM_400000_NS6detail17trampoline_kernelINS0_14default_configENS1_38merge_sort_block_merge_config_selectorIdlEEZZNS1_27merge_sort_block_merge_implIS3_PdN6thrust23THRUST_200600_302600_NS10device_ptrIlEEjNS1_19radix_merge_compareILb0ELb0EdNS0_19identity_decomposerEEEEE10hipError_tT0_T1_T2_jT3_P12ihipStream_tbPNSt15iterator_traitsISG_E10value_typeEPNSM_ISH_E10value_typeEPSI_NS1_7vsmem_tEENKUlT_SG_SH_SI_E_clIS7_S7_PlSB_EESF_SV_SG_SH_SI_EUlSV_E_NS1_11comp_targetILNS1_3genE4ELNS1_11target_archE910ELNS1_3gpuE8ELNS1_3repE0EEENS1_48merge_mergepath_partition_config_static_selectorELNS0_4arch9wavefront6targetE1EEEvSH_.kd
    .uniform_work_group_size: 1
    .uses_dynamic_stack: false
    .vgpr_count:     20
    .vgpr_spill_count: 0
    .wavefront_size: 64
  - .agpr_count:     0
    .args:
      - .offset:         0
        .size:           40
        .value_kind:     by_value
    .group_segment_fixed_size: 0
    .kernarg_segment_align: 8
    .kernarg_segment_size: 40
    .language:       OpenCL C
    .language_version:
      - 2
      - 0
    .max_flat_workgroup_size: 128
    .name:           _ZN7rocprim17ROCPRIM_400000_NS6detail17trampoline_kernelINS0_14default_configENS1_38merge_sort_block_merge_config_selectorIdlEEZZNS1_27merge_sort_block_merge_implIS3_PdN6thrust23THRUST_200600_302600_NS10device_ptrIlEEjNS1_19radix_merge_compareILb0ELb0EdNS0_19identity_decomposerEEEEE10hipError_tT0_T1_T2_jT3_P12ihipStream_tbPNSt15iterator_traitsISG_E10value_typeEPNSM_ISH_E10value_typeEPSI_NS1_7vsmem_tEENKUlT_SG_SH_SI_E_clIS7_S7_PlSB_EESF_SV_SG_SH_SI_EUlSV_E_NS1_11comp_targetILNS1_3genE3ELNS1_11target_archE908ELNS1_3gpuE7ELNS1_3repE0EEENS1_48merge_mergepath_partition_config_static_selectorELNS0_4arch9wavefront6targetE1EEEvSH_
    .private_segment_fixed_size: 0
    .sgpr_count:     4
    .sgpr_spill_count: 0
    .symbol:         _ZN7rocprim17ROCPRIM_400000_NS6detail17trampoline_kernelINS0_14default_configENS1_38merge_sort_block_merge_config_selectorIdlEEZZNS1_27merge_sort_block_merge_implIS3_PdN6thrust23THRUST_200600_302600_NS10device_ptrIlEEjNS1_19radix_merge_compareILb0ELb0EdNS0_19identity_decomposerEEEEE10hipError_tT0_T1_T2_jT3_P12ihipStream_tbPNSt15iterator_traitsISG_E10value_typeEPNSM_ISH_E10value_typeEPSI_NS1_7vsmem_tEENKUlT_SG_SH_SI_E_clIS7_S7_PlSB_EESF_SV_SG_SH_SI_EUlSV_E_NS1_11comp_targetILNS1_3genE3ELNS1_11target_archE908ELNS1_3gpuE7ELNS1_3repE0EEENS1_48merge_mergepath_partition_config_static_selectorELNS0_4arch9wavefront6targetE1EEEvSH_.kd
    .uniform_work_group_size: 1
    .uses_dynamic_stack: false
    .vgpr_count:     0
    .vgpr_spill_count: 0
    .wavefront_size: 64
  - .agpr_count:     0
    .args:
      - .offset:         0
        .size:           40
        .value_kind:     by_value
    .group_segment_fixed_size: 0
    .kernarg_segment_align: 8
    .kernarg_segment_size: 40
    .language:       OpenCL C
    .language_version:
      - 2
      - 0
    .max_flat_workgroup_size: 128
    .name:           _ZN7rocprim17ROCPRIM_400000_NS6detail17trampoline_kernelINS0_14default_configENS1_38merge_sort_block_merge_config_selectorIdlEEZZNS1_27merge_sort_block_merge_implIS3_PdN6thrust23THRUST_200600_302600_NS10device_ptrIlEEjNS1_19radix_merge_compareILb0ELb0EdNS0_19identity_decomposerEEEEE10hipError_tT0_T1_T2_jT3_P12ihipStream_tbPNSt15iterator_traitsISG_E10value_typeEPNSM_ISH_E10value_typeEPSI_NS1_7vsmem_tEENKUlT_SG_SH_SI_E_clIS7_S7_PlSB_EESF_SV_SG_SH_SI_EUlSV_E_NS1_11comp_targetILNS1_3genE2ELNS1_11target_archE906ELNS1_3gpuE6ELNS1_3repE0EEENS1_48merge_mergepath_partition_config_static_selectorELNS0_4arch9wavefront6targetE1EEEvSH_
    .private_segment_fixed_size: 0
    .sgpr_count:     4
    .sgpr_spill_count: 0
    .symbol:         _ZN7rocprim17ROCPRIM_400000_NS6detail17trampoline_kernelINS0_14default_configENS1_38merge_sort_block_merge_config_selectorIdlEEZZNS1_27merge_sort_block_merge_implIS3_PdN6thrust23THRUST_200600_302600_NS10device_ptrIlEEjNS1_19radix_merge_compareILb0ELb0EdNS0_19identity_decomposerEEEEE10hipError_tT0_T1_T2_jT3_P12ihipStream_tbPNSt15iterator_traitsISG_E10value_typeEPNSM_ISH_E10value_typeEPSI_NS1_7vsmem_tEENKUlT_SG_SH_SI_E_clIS7_S7_PlSB_EESF_SV_SG_SH_SI_EUlSV_E_NS1_11comp_targetILNS1_3genE2ELNS1_11target_archE906ELNS1_3gpuE6ELNS1_3repE0EEENS1_48merge_mergepath_partition_config_static_selectorELNS0_4arch9wavefront6targetE1EEEvSH_.kd
    .uniform_work_group_size: 1
    .uses_dynamic_stack: false
    .vgpr_count:     0
    .vgpr_spill_count: 0
    .wavefront_size: 64
  - .agpr_count:     0
    .args:
      - .offset:         0
        .size:           40
        .value_kind:     by_value
    .group_segment_fixed_size: 0
    .kernarg_segment_align: 8
    .kernarg_segment_size: 40
    .language:       OpenCL C
    .language_version:
      - 2
      - 0
    .max_flat_workgroup_size: 128
    .name:           _ZN7rocprim17ROCPRIM_400000_NS6detail17trampoline_kernelINS0_14default_configENS1_38merge_sort_block_merge_config_selectorIdlEEZZNS1_27merge_sort_block_merge_implIS3_PdN6thrust23THRUST_200600_302600_NS10device_ptrIlEEjNS1_19radix_merge_compareILb0ELb0EdNS0_19identity_decomposerEEEEE10hipError_tT0_T1_T2_jT3_P12ihipStream_tbPNSt15iterator_traitsISG_E10value_typeEPNSM_ISH_E10value_typeEPSI_NS1_7vsmem_tEENKUlT_SG_SH_SI_E_clIS7_S7_PlSB_EESF_SV_SG_SH_SI_EUlSV_E_NS1_11comp_targetILNS1_3genE9ELNS1_11target_archE1100ELNS1_3gpuE3ELNS1_3repE0EEENS1_48merge_mergepath_partition_config_static_selectorELNS0_4arch9wavefront6targetE1EEEvSH_
    .private_segment_fixed_size: 0
    .sgpr_count:     4
    .sgpr_spill_count: 0
    .symbol:         _ZN7rocprim17ROCPRIM_400000_NS6detail17trampoline_kernelINS0_14default_configENS1_38merge_sort_block_merge_config_selectorIdlEEZZNS1_27merge_sort_block_merge_implIS3_PdN6thrust23THRUST_200600_302600_NS10device_ptrIlEEjNS1_19radix_merge_compareILb0ELb0EdNS0_19identity_decomposerEEEEE10hipError_tT0_T1_T2_jT3_P12ihipStream_tbPNSt15iterator_traitsISG_E10value_typeEPNSM_ISH_E10value_typeEPSI_NS1_7vsmem_tEENKUlT_SG_SH_SI_E_clIS7_S7_PlSB_EESF_SV_SG_SH_SI_EUlSV_E_NS1_11comp_targetILNS1_3genE9ELNS1_11target_archE1100ELNS1_3gpuE3ELNS1_3repE0EEENS1_48merge_mergepath_partition_config_static_selectorELNS0_4arch9wavefront6targetE1EEEvSH_.kd
    .uniform_work_group_size: 1
    .uses_dynamic_stack: false
    .vgpr_count:     0
    .vgpr_spill_count: 0
    .wavefront_size: 64
  - .agpr_count:     0
    .args:
      - .offset:         0
        .size:           40
        .value_kind:     by_value
    .group_segment_fixed_size: 0
    .kernarg_segment_align: 8
    .kernarg_segment_size: 40
    .language:       OpenCL C
    .language_version:
      - 2
      - 0
    .max_flat_workgroup_size: 128
    .name:           _ZN7rocprim17ROCPRIM_400000_NS6detail17trampoline_kernelINS0_14default_configENS1_38merge_sort_block_merge_config_selectorIdlEEZZNS1_27merge_sort_block_merge_implIS3_PdN6thrust23THRUST_200600_302600_NS10device_ptrIlEEjNS1_19radix_merge_compareILb0ELb0EdNS0_19identity_decomposerEEEEE10hipError_tT0_T1_T2_jT3_P12ihipStream_tbPNSt15iterator_traitsISG_E10value_typeEPNSM_ISH_E10value_typeEPSI_NS1_7vsmem_tEENKUlT_SG_SH_SI_E_clIS7_S7_PlSB_EESF_SV_SG_SH_SI_EUlSV_E_NS1_11comp_targetILNS1_3genE8ELNS1_11target_archE1030ELNS1_3gpuE2ELNS1_3repE0EEENS1_48merge_mergepath_partition_config_static_selectorELNS0_4arch9wavefront6targetE1EEEvSH_
    .private_segment_fixed_size: 0
    .sgpr_count:     4
    .sgpr_spill_count: 0
    .symbol:         _ZN7rocprim17ROCPRIM_400000_NS6detail17trampoline_kernelINS0_14default_configENS1_38merge_sort_block_merge_config_selectorIdlEEZZNS1_27merge_sort_block_merge_implIS3_PdN6thrust23THRUST_200600_302600_NS10device_ptrIlEEjNS1_19radix_merge_compareILb0ELb0EdNS0_19identity_decomposerEEEEE10hipError_tT0_T1_T2_jT3_P12ihipStream_tbPNSt15iterator_traitsISG_E10value_typeEPNSM_ISH_E10value_typeEPSI_NS1_7vsmem_tEENKUlT_SG_SH_SI_E_clIS7_S7_PlSB_EESF_SV_SG_SH_SI_EUlSV_E_NS1_11comp_targetILNS1_3genE8ELNS1_11target_archE1030ELNS1_3gpuE2ELNS1_3repE0EEENS1_48merge_mergepath_partition_config_static_selectorELNS0_4arch9wavefront6targetE1EEEvSH_.kd
    .uniform_work_group_size: 1
    .uses_dynamic_stack: false
    .vgpr_count:     0
    .vgpr_spill_count: 0
    .wavefront_size: 64
  - .agpr_count:     0
    .args:
      - .offset:         0
        .size:           64
        .value_kind:     by_value
    .group_segment_fixed_size: 0
    .kernarg_segment_align: 8
    .kernarg_segment_size: 64
    .language:       OpenCL C
    .language_version:
      - 2
      - 0
    .max_flat_workgroup_size: 1024
    .name:           _ZN7rocprim17ROCPRIM_400000_NS6detail17trampoline_kernelINS0_14default_configENS1_38merge_sort_block_merge_config_selectorIdlEEZZNS1_27merge_sort_block_merge_implIS3_PdN6thrust23THRUST_200600_302600_NS10device_ptrIlEEjNS1_19radix_merge_compareILb0ELb0EdNS0_19identity_decomposerEEEEE10hipError_tT0_T1_T2_jT3_P12ihipStream_tbPNSt15iterator_traitsISG_E10value_typeEPNSM_ISH_E10value_typeEPSI_NS1_7vsmem_tEENKUlT_SG_SH_SI_E_clIS7_S7_PlSB_EESF_SV_SG_SH_SI_EUlSV_E0_NS1_11comp_targetILNS1_3genE0ELNS1_11target_archE4294967295ELNS1_3gpuE0ELNS1_3repE0EEENS1_38merge_mergepath_config_static_selectorELNS0_4arch9wavefront6targetE1EEEvSH_
    .private_segment_fixed_size: 0
    .sgpr_count:     4
    .sgpr_spill_count: 0
    .symbol:         _ZN7rocprim17ROCPRIM_400000_NS6detail17trampoline_kernelINS0_14default_configENS1_38merge_sort_block_merge_config_selectorIdlEEZZNS1_27merge_sort_block_merge_implIS3_PdN6thrust23THRUST_200600_302600_NS10device_ptrIlEEjNS1_19radix_merge_compareILb0ELb0EdNS0_19identity_decomposerEEEEE10hipError_tT0_T1_T2_jT3_P12ihipStream_tbPNSt15iterator_traitsISG_E10value_typeEPNSM_ISH_E10value_typeEPSI_NS1_7vsmem_tEENKUlT_SG_SH_SI_E_clIS7_S7_PlSB_EESF_SV_SG_SH_SI_EUlSV_E0_NS1_11comp_targetILNS1_3genE0ELNS1_11target_archE4294967295ELNS1_3gpuE0ELNS1_3repE0EEENS1_38merge_mergepath_config_static_selectorELNS0_4arch9wavefront6targetE1EEEvSH_.kd
    .uniform_work_group_size: 1
    .uses_dynamic_stack: false
    .vgpr_count:     0
    .vgpr_spill_count: 0
    .wavefront_size: 64
  - .agpr_count:     0
    .args:
      - .offset:         0
        .size:           64
        .value_kind:     by_value
    .group_segment_fixed_size: 0
    .kernarg_segment_align: 8
    .kernarg_segment_size: 64
    .language:       OpenCL C
    .language_version:
      - 2
      - 0
    .max_flat_workgroup_size: 512
    .name:           _ZN7rocprim17ROCPRIM_400000_NS6detail17trampoline_kernelINS0_14default_configENS1_38merge_sort_block_merge_config_selectorIdlEEZZNS1_27merge_sort_block_merge_implIS3_PdN6thrust23THRUST_200600_302600_NS10device_ptrIlEEjNS1_19radix_merge_compareILb0ELb0EdNS0_19identity_decomposerEEEEE10hipError_tT0_T1_T2_jT3_P12ihipStream_tbPNSt15iterator_traitsISG_E10value_typeEPNSM_ISH_E10value_typeEPSI_NS1_7vsmem_tEENKUlT_SG_SH_SI_E_clIS7_S7_PlSB_EESF_SV_SG_SH_SI_EUlSV_E0_NS1_11comp_targetILNS1_3genE10ELNS1_11target_archE1201ELNS1_3gpuE5ELNS1_3repE0EEENS1_38merge_mergepath_config_static_selectorELNS0_4arch9wavefront6targetE1EEEvSH_
    .private_segment_fixed_size: 0
    .sgpr_count:     4
    .sgpr_spill_count: 0
    .symbol:         _ZN7rocprim17ROCPRIM_400000_NS6detail17trampoline_kernelINS0_14default_configENS1_38merge_sort_block_merge_config_selectorIdlEEZZNS1_27merge_sort_block_merge_implIS3_PdN6thrust23THRUST_200600_302600_NS10device_ptrIlEEjNS1_19radix_merge_compareILb0ELb0EdNS0_19identity_decomposerEEEEE10hipError_tT0_T1_T2_jT3_P12ihipStream_tbPNSt15iterator_traitsISG_E10value_typeEPNSM_ISH_E10value_typeEPSI_NS1_7vsmem_tEENKUlT_SG_SH_SI_E_clIS7_S7_PlSB_EESF_SV_SG_SH_SI_EUlSV_E0_NS1_11comp_targetILNS1_3genE10ELNS1_11target_archE1201ELNS1_3gpuE5ELNS1_3repE0EEENS1_38merge_mergepath_config_static_selectorELNS0_4arch9wavefront6targetE1EEEvSH_.kd
    .uniform_work_group_size: 1
    .uses_dynamic_stack: false
    .vgpr_count:     0
    .vgpr_spill_count: 0
    .wavefront_size: 64
  - .agpr_count:     0
    .args:
      - .offset:         0
        .size:           64
        .value_kind:     by_value
    .group_segment_fixed_size: 0
    .kernarg_segment_align: 8
    .kernarg_segment_size: 64
    .language:       OpenCL C
    .language_version:
      - 2
      - 0
    .max_flat_workgroup_size: 256
    .name:           _ZN7rocprim17ROCPRIM_400000_NS6detail17trampoline_kernelINS0_14default_configENS1_38merge_sort_block_merge_config_selectorIdlEEZZNS1_27merge_sort_block_merge_implIS3_PdN6thrust23THRUST_200600_302600_NS10device_ptrIlEEjNS1_19radix_merge_compareILb0ELb0EdNS0_19identity_decomposerEEEEE10hipError_tT0_T1_T2_jT3_P12ihipStream_tbPNSt15iterator_traitsISG_E10value_typeEPNSM_ISH_E10value_typeEPSI_NS1_7vsmem_tEENKUlT_SG_SH_SI_E_clIS7_S7_PlSB_EESF_SV_SG_SH_SI_EUlSV_E0_NS1_11comp_targetILNS1_3genE5ELNS1_11target_archE942ELNS1_3gpuE9ELNS1_3repE0EEENS1_38merge_mergepath_config_static_selectorELNS0_4arch9wavefront6targetE1EEEvSH_
    .private_segment_fixed_size: 0
    .sgpr_count:     4
    .sgpr_spill_count: 0
    .symbol:         _ZN7rocprim17ROCPRIM_400000_NS6detail17trampoline_kernelINS0_14default_configENS1_38merge_sort_block_merge_config_selectorIdlEEZZNS1_27merge_sort_block_merge_implIS3_PdN6thrust23THRUST_200600_302600_NS10device_ptrIlEEjNS1_19radix_merge_compareILb0ELb0EdNS0_19identity_decomposerEEEEE10hipError_tT0_T1_T2_jT3_P12ihipStream_tbPNSt15iterator_traitsISG_E10value_typeEPNSM_ISH_E10value_typeEPSI_NS1_7vsmem_tEENKUlT_SG_SH_SI_E_clIS7_S7_PlSB_EESF_SV_SG_SH_SI_EUlSV_E0_NS1_11comp_targetILNS1_3genE5ELNS1_11target_archE942ELNS1_3gpuE9ELNS1_3repE0EEENS1_38merge_mergepath_config_static_selectorELNS0_4arch9wavefront6targetE1EEEvSH_.kd
    .uniform_work_group_size: 1
    .uses_dynamic_stack: false
    .vgpr_count:     0
    .vgpr_spill_count: 0
    .wavefront_size: 64
  - .agpr_count:     0
    .args:
      - .offset:         0
        .size:           64
        .value_kind:     by_value
      - .offset:         64
        .size:           4
        .value_kind:     hidden_block_count_x
      - .offset:         68
        .size:           4
        .value_kind:     hidden_block_count_y
      - .offset:         72
        .size:           4
        .value_kind:     hidden_block_count_z
      - .offset:         76
        .size:           2
        .value_kind:     hidden_group_size_x
      - .offset:         78
        .size:           2
        .value_kind:     hidden_group_size_y
      - .offset:         80
        .size:           2
        .value_kind:     hidden_group_size_z
      - .offset:         82
        .size:           2
        .value_kind:     hidden_remainder_x
      - .offset:         84
        .size:           2
        .value_kind:     hidden_remainder_y
      - .offset:         86
        .size:           2
        .value_kind:     hidden_remainder_z
      - .offset:         104
        .size:           8
        .value_kind:     hidden_global_offset_x
      - .offset:         112
        .size:           8
        .value_kind:     hidden_global_offset_y
      - .offset:         120
        .size:           8
        .value_kind:     hidden_global_offset_z
      - .offset:         128
        .size:           2
        .value_kind:     hidden_grid_dims
    .group_segment_fixed_size: 8448
    .kernarg_segment_align: 8
    .kernarg_segment_size: 320
    .language:       OpenCL C
    .language_version:
      - 2
      - 0
    .max_flat_workgroup_size: 512
    .name:           _ZN7rocprim17ROCPRIM_400000_NS6detail17trampoline_kernelINS0_14default_configENS1_38merge_sort_block_merge_config_selectorIdlEEZZNS1_27merge_sort_block_merge_implIS3_PdN6thrust23THRUST_200600_302600_NS10device_ptrIlEEjNS1_19radix_merge_compareILb0ELb0EdNS0_19identity_decomposerEEEEE10hipError_tT0_T1_T2_jT3_P12ihipStream_tbPNSt15iterator_traitsISG_E10value_typeEPNSM_ISH_E10value_typeEPSI_NS1_7vsmem_tEENKUlT_SG_SH_SI_E_clIS7_S7_PlSB_EESF_SV_SG_SH_SI_EUlSV_E0_NS1_11comp_targetILNS1_3genE4ELNS1_11target_archE910ELNS1_3gpuE8ELNS1_3repE0EEENS1_38merge_mergepath_config_static_selectorELNS0_4arch9wavefront6targetE1EEEvSH_
    .private_segment_fixed_size: 0
    .sgpr_count:     35
    .sgpr_spill_count: 0
    .symbol:         _ZN7rocprim17ROCPRIM_400000_NS6detail17trampoline_kernelINS0_14default_configENS1_38merge_sort_block_merge_config_selectorIdlEEZZNS1_27merge_sort_block_merge_implIS3_PdN6thrust23THRUST_200600_302600_NS10device_ptrIlEEjNS1_19radix_merge_compareILb0ELb0EdNS0_19identity_decomposerEEEEE10hipError_tT0_T1_T2_jT3_P12ihipStream_tbPNSt15iterator_traitsISG_E10value_typeEPNSM_ISH_E10value_typeEPSI_NS1_7vsmem_tEENKUlT_SG_SH_SI_E_clIS7_S7_PlSB_EESF_SV_SG_SH_SI_EUlSV_E0_NS1_11comp_targetILNS1_3genE4ELNS1_11target_archE910ELNS1_3gpuE8ELNS1_3repE0EEENS1_38merge_mergepath_config_static_selectorELNS0_4arch9wavefront6targetE1EEEvSH_.kd
    .uniform_work_group_size: 1
    .uses_dynamic_stack: false
    .vgpr_count:     24
    .vgpr_spill_count: 0
    .wavefront_size: 64
  - .agpr_count:     0
    .args:
      - .offset:         0
        .size:           64
        .value_kind:     by_value
    .group_segment_fixed_size: 0
    .kernarg_segment_align: 8
    .kernarg_segment_size: 64
    .language:       OpenCL C
    .language_version:
      - 2
      - 0
    .max_flat_workgroup_size: 1024
    .name:           _ZN7rocprim17ROCPRIM_400000_NS6detail17trampoline_kernelINS0_14default_configENS1_38merge_sort_block_merge_config_selectorIdlEEZZNS1_27merge_sort_block_merge_implIS3_PdN6thrust23THRUST_200600_302600_NS10device_ptrIlEEjNS1_19radix_merge_compareILb0ELb0EdNS0_19identity_decomposerEEEEE10hipError_tT0_T1_T2_jT3_P12ihipStream_tbPNSt15iterator_traitsISG_E10value_typeEPNSM_ISH_E10value_typeEPSI_NS1_7vsmem_tEENKUlT_SG_SH_SI_E_clIS7_S7_PlSB_EESF_SV_SG_SH_SI_EUlSV_E0_NS1_11comp_targetILNS1_3genE3ELNS1_11target_archE908ELNS1_3gpuE7ELNS1_3repE0EEENS1_38merge_mergepath_config_static_selectorELNS0_4arch9wavefront6targetE1EEEvSH_
    .private_segment_fixed_size: 0
    .sgpr_count:     4
    .sgpr_spill_count: 0
    .symbol:         _ZN7rocprim17ROCPRIM_400000_NS6detail17trampoline_kernelINS0_14default_configENS1_38merge_sort_block_merge_config_selectorIdlEEZZNS1_27merge_sort_block_merge_implIS3_PdN6thrust23THRUST_200600_302600_NS10device_ptrIlEEjNS1_19radix_merge_compareILb0ELb0EdNS0_19identity_decomposerEEEEE10hipError_tT0_T1_T2_jT3_P12ihipStream_tbPNSt15iterator_traitsISG_E10value_typeEPNSM_ISH_E10value_typeEPSI_NS1_7vsmem_tEENKUlT_SG_SH_SI_E_clIS7_S7_PlSB_EESF_SV_SG_SH_SI_EUlSV_E0_NS1_11comp_targetILNS1_3genE3ELNS1_11target_archE908ELNS1_3gpuE7ELNS1_3repE0EEENS1_38merge_mergepath_config_static_selectorELNS0_4arch9wavefront6targetE1EEEvSH_.kd
    .uniform_work_group_size: 1
    .uses_dynamic_stack: false
    .vgpr_count:     0
    .vgpr_spill_count: 0
    .wavefront_size: 64
  - .agpr_count:     0
    .args:
      - .offset:         0
        .size:           64
        .value_kind:     by_value
    .group_segment_fixed_size: 0
    .kernarg_segment_align: 8
    .kernarg_segment_size: 64
    .language:       OpenCL C
    .language_version:
      - 2
      - 0
    .max_flat_workgroup_size: 256
    .name:           _ZN7rocprim17ROCPRIM_400000_NS6detail17trampoline_kernelINS0_14default_configENS1_38merge_sort_block_merge_config_selectorIdlEEZZNS1_27merge_sort_block_merge_implIS3_PdN6thrust23THRUST_200600_302600_NS10device_ptrIlEEjNS1_19radix_merge_compareILb0ELb0EdNS0_19identity_decomposerEEEEE10hipError_tT0_T1_T2_jT3_P12ihipStream_tbPNSt15iterator_traitsISG_E10value_typeEPNSM_ISH_E10value_typeEPSI_NS1_7vsmem_tEENKUlT_SG_SH_SI_E_clIS7_S7_PlSB_EESF_SV_SG_SH_SI_EUlSV_E0_NS1_11comp_targetILNS1_3genE2ELNS1_11target_archE906ELNS1_3gpuE6ELNS1_3repE0EEENS1_38merge_mergepath_config_static_selectorELNS0_4arch9wavefront6targetE1EEEvSH_
    .private_segment_fixed_size: 0
    .sgpr_count:     4
    .sgpr_spill_count: 0
    .symbol:         _ZN7rocprim17ROCPRIM_400000_NS6detail17trampoline_kernelINS0_14default_configENS1_38merge_sort_block_merge_config_selectorIdlEEZZNS1_27merge_sort_block_merge_implIS3_PdN6thrust23THRUST_200600_302600_NS10device_ptrIlEEjNS1_19radix_merge_compareILb0ELb0EdNS0_19identity_decomposerEEEEE10hipError_tT0_T1_T2_jT3_P12ihipStream_tbPNSt15iterator_traitsISG_E10value_typeEPNSM_ISH_E10value_typeEPSI_NS1_7vsmem_tEENKUlT_SG_SH_SI_E_clIS7_S7_PlSB_EESF_SV_SG_SH_SI_EUlSV_E0_NS1_11comp_targetILNS1_3genE2ELNS1_11target_archE906ELNS1_3gpuE6ELNS1_3repE0EEENS1_38merge_mergepath_config_static_selectorELNS0_4arch9wavefront6targetE1EEEvSH_.kd
    .uniform_work_group_size: 1
    .uses_dynamic_stack: false
    .vgpr_count:     0
    .vgpr_spill_count: 0
    .wavefront_size: 64
  - .agpr_count:     0
    .args:
      - .offset:         0
        .size:           64
        .value_kind:     by_value
    .group_segment_fixed_size: 0
    .kernarg_segment_align: 8
    .kernarg_segment_size: 64
    .language:       OpenCL C
    .language_version:
      - 2
      - 0
    .max_flat_workgroup_size: 1024
    .name:           _ZN7rocprim17ROCPRIM_400000_NS6detail17trampoline_kernelINS0_14default_configENS1_38merge_sort_block_merge_config_selectorIdlEEZZNS1_27merge_sort_block_merge_implIS3_PdN6thrust23THRUST_200600_302600_NS10device_ptrIlEEjNS1_19radix_merge_compareILb0ELb0EdNS0_19identity_decomposerEEEEE10hipError_tT0_T1_T2_jT3_P12ihipStream_tbPNSt15iterator_traitsISG_E10value_typeEPNSM_ISH_E10value_typeEPSI_NS1_7vsmem_tEENKUlT_SG_SH_SI_E_clIS7_S7_PlSB_EESF_SV_SG_SH_SI_EUlSV_E0_NS1_11comp_targetILNS1_3genE9ELNS1_11target_archE1100ELNS1_3gpuE3ELNS1_3repE0EEENS1_38merge_mergepath_config_static_selectorELNS0_4arch9wavefront6targetE1EEEvSH_
    .private_segment_fixed_size: 0
    .sgpr_count:     4
    .sgpr_spill_count: 0
    .symbol:         _ZN7rocprim17ROCPRIM_400000_NS6detail17trampoline_kernelINS0_14default_configENS1_38merge_sort_block_merge_config_selectorIdlEEZZNS1_27merge_sort_block_merge_implIS3_PdN6thrust23THRUST_200600_302600_NS10device_ptrIlEEjNS1_19radix_merge_compareILb0ELb0EdNS0_19identity_decomposerEEEEE10hipError_tT0_T1_T2_jT3_P12ihipStream_tbPNSt15iterator_traitsISG_E10value_typeEPNSM_ISH_E10value_typeEPSI_NS1_7vsmem_tEENKUlT_SG_SH_SI_E_clIS7_S7_PlSB_EESF_SV_SG_SH_SI_EUlSV_E0_NS1_11comp_targetILNS1_3genE9ELNS1_11target_archE1100ELNS1_3gpuE3ELNS1_3repE0EEENS1_38merge_mergepath_config_static_selectorELNS0_4arch9wavefront6targetE1EEEvSH_.kd
    .uniform_work_group_size: 1
    .uses_dynamic_stack: false
    .vgpr_count:     0
    .vgpr_spill_count: 0
    .wavefront_size: 64
  - .agpr_count:     0
    .args:
      - .offset:         0
        .size:           64
        .value_kind:     by_value
    .group_segment_fixed_size: 0
    .kernarg_segment_align: 8
    .kernarg_segment_size: 64
    .language:       OpenCL C
    .language_version:
      - 2
      - 0
    .max_flat_workgroup_size: 1024
    .name:           _ZN7rocprim17ROCPRIM_400000_NS6detail17trampoline_kernelINS0_14default_configENS1_38merge_sort_block_merge_config_selectorIdlEEZZNS1_27merge_sort_block_merge_implIS3_PdN6thrust23THRUST_200600_302600_NS10device_ptrIlEEjNS1_19radix_merge_compareILb0ELb0EdNS0_19identity_decomposerEEEEE10hipError_tT0_T1_T2_jT3_P12ihipStream_tbPNSt15iterator_traitsISG_E10value_typeEPNSM_ISH_E10value_typeEPSI_NS1_7vsmem_tEENKUlT_SG_SH_SI_E_clIS7_S7_PlSB_EESF_SV_SG_SH_SI_EUlSV_E0_NS1_11comp_targetILNS1_3genE8ELNS1_11target_archE1030ELNS1_3gpuE2ELNS1_3repE0EEENS1_38merge_mergepath_config_static_selectorELNS0_4arch9wavefront6targetE1EEEvSH_
    .private_segment_fixed_size: 0
    .sgpr_count:     4
    .sgpr_spill_count: 0
    .symbol:         _ZN7rocprim17ROCPRIM_400000_NS6detail17trampoline_kernelINS0_14default_configENS1_38merge_sort_block_merge_config_selectorIdlEEZZNS1_27merge_sort_block_merge_implIS3_PdN6thrust23THRUST_200600_302600_NS10device_ptrIlEEjNS1_19radix_merge_compareILb0ELb0EdNS0_19identity_decomposerEEEEE10hipError_tT0_T1_T2_jT3_P12ihipStream_tbPNSt15iterator_traitsISG_E10value_typeEPNSM_ISH_E10value_typeEPSI_NS1_7vsmem_tEENKUlT_SG_SH_SI_E_clIS7_S7_PlSB_EESF_SV_SG_SH_SI_EUlSV_E0_NS1_11comp_targetILNS1_3genE8ELNS1_11target_archE1030ELNS1_3gpuE2ELNS1_3repE0EEENS1_38merge_mergepath_config_static_selectorELNS0_4arch9wavefront6targetE1EEEvSH_.kd
    .uniform_work_group_size: 1
    .uses_dynamic_stack: false
    .vgpr_count:     0
    .vgpr_spill_count: 0
    .wavefront_size: 64
  - .agpr_count:     0
    .args:
      - .offset:         0
        .size:           48
        .value_kind:     by_value
    .group_segment_fixed_size: 0
    .kernarg_segment_align: 8
    .kernarg_segment_size: 48
    .language:       OpenCL C
    .language_version:
      - 2
      - 0
    .max_flat_workgroup_size: 256
    .name:           _ZN7rocprim17ROCPRIM_400000_NS6detail17trampoline_kernelINS0_14default_configENS1_38merge_sort_block_merge_config_selectorIdlEEZZNS1_27merge_sort_block_merge_implIS3_PdN6thrust23THRUST_200600_302600_NS10device_ptrIlEEjNS1_19radix_merge_compareILb0ELb0EdNS0_19identity_decomposerEEEEE10hipError_tT0_T1_T2_jT3_P12ihipStream_tbPNSt15iterator_traitsISG_E10value_typeEPNSM_ISH_E10value_typeEPSI_NS1_7vsmem_tEENKUlT_SG_SH_SI_E_clIS7_S7_PlSB_EESF_SV_SG_SH_SI_EUlSV_E1_NS1_11comp_targetILNS1_3genE0ELNS1_11target_archE4294967295ELNS1_3gpuE0ELNS1_3repE0EEENS1_36merge_oddeven_config_static_selectorELNS0_4arch9wavefront6targetE1EEEvSH_
    .private_segment_fixed_size: 0
    .sgpr_count:     4
    .sgpr_spill_count: 0
    .symbol:         _ZN7rocprim17ROCPRIM_400000_NS6detail17trampoline_kernelINS0_14default_configENS1_38merge_sort_block_merge_config_selectorIdlEEZZNS1_27merge_sort_block_merge_implIS3_PdN6thrust23THRUST_200600_302600_NS10device_ptrIlEEjNS1_19radix_merge_compareILb0ELb0EdNS0_19identity_decomposerEEEEE10hipError_tT0_T1_T2_jT3_P12ihipStream_tbPNSt15iterator_traitsISG_E10value_typeEPNSM_ISH_E10value_typeEPSI_NS1_7vsmem_tEENKUlT_SG_SH_SI_E_clIS7_S7_PlSB_EESF_SV_SG_SH_SI_EUlSV_E1_NS1_11comp_targetILNS1_3genE0ELNS1_11target_archE4294967295ELNS1_3gpuE0ELNS1_3repE0EEENS1_36merge_oddeven_config_static_selectorELNS0_4arch9wavefront6targetE1EEEvSH_.kd
    .uniform_work_group_size: 1
    .uses_dynamic_stack: false
    .vgpr_count:     0
    .vgpr_spill_count: 0
    .wavefront_size: 64
  - .agpr_count:     0
    .args:
      - .offset:         0
        .size:           48
        .value_kind:     by_value
    .group_segment_fixed_size: 0
    .kernarg_segment_align: 8
    .kernarg_segment_size: 48
    .language:       OpenCL C
    .language_version:
      - 2
      - 0
    .max_flat_workgroup_size: 256
    .name:           _ZN7rocprim17ROCPRIM_400000_NS6detail17trampoline_kernelINS0_14default_configENS1_38merge_sort_block_merge_config_selectorIdlEEZZNS1_27merge_sort_block_merge_implIS3_PdN6thrust23THRUST_200600_302600_NS10device_ptrIlEEjNS1_19radix_merge_compareILb0ELb0EdNS0_19identity_decomposerEEEEE10hipError_tT0_T1_T2_jT3_P12ihipStream_tbPNSt15iterator_traitsISG_E10value_typeEPNSM_ISH_E10value_typeEPSI_NS1_7vsmem_tEENKUlT_SG_SH_SI_E_clIS7_S7_PlSB_EESF_SV_SG_SH_SI_EUlSV_E1_NS1_11comp_targetILNS1_3genE10ELNS1_11target_archE1201ELNS1_3gpuE5ELNS1_3repE0EEENS1_36merge_oddeven_config_static_selectorELNS0_4arch9wavefront6targetE1EEEvSH_
    .private_segment_fixed_size: 0
    .sgpr_count:     4
    .sgpr_spill_count: 0
    .symbol:         _ZN7rocprim17ROCPRIM_400000_NS6detail17trampoline_kernelINS0_14default_configENS1_38merge_sort_block_merge_config_selectorIdlEEZZNS1_27merge_sort_block_merge_implIS3_PdN6thrust23THRUST_200600_302600_NS10device_ptrIlEEjNS1_19radix_merge_compareILb0ELb0EdNS0_19identity_decomposerEEEEE10hipError_tT0_T1_T2_jT3_P12ihipStream_tbPNSt15iterator_traitsISG_E10value_typeEPNSM_ISH_E10value_typeEPSI_NS1_7vsmem_tEENKUlT_SG_SH_SI_E_clIS7_S7_PlSB_EESF_SV_SG_SH_SI_EUlSV_E1_NS1_11comp_targetILNS1_3genE10ELNS1_11target_archE1201ELNS1_3gpuE5ELNS1_3repE0EEENS1_36merge_oddeven_config_static_selectorELNS0_4arch9wavefront6targetE1EEEvSH_.kd
    .uniform_work_group_size: 1
    .uses_dynamic_stack: false
    .vgpr_count:     0
    .vgpr_spill_count: 0
    .wavefront_size: 64
  - .agpr_count:     0
    .args:
      - .offset:         0
        .size:           48
        .value_kind:     by_value
    .group_segment_fixed_size: 0
    .kernarg_segment_align: 8
    .kernarg_segment_size: 48
    .language:       OpenCL C
    .language_version:
      - 2
      - 0
    .max_flat_workgroup_size: 256
    .name:           _ZN7rocprim17ROCPRIM_400000_NS6detail17trampoline_kernelINS0_14default_configENS1_38merge_sort_block_merge_config_selectorIdlEEZZNS1_27merge_sort_block_merge_implIS3_PdN6thrust23THRUST_200600_302600_NS10device_ptrIlEEjNS1_19radix_merge_compareILb0ELb0EdNS0_19identity_decomposerEEEEE10hipError_tT0_T1_T2_jT3_P12ihipStream_tbPNSt15iterator_traitsISG_E10value_typeEPNSM_ISH_E10value_typeEPSI_NS1_7vsmem_tEENKUlT_SG_SH_SI_E_clIS7_S7_PlSB_EESF_SV_SG_SH_SI_EUlSV_E1_NS1_11comp_targetILNS1_3genE5ELNS1_11target_archE942ELNS1_3gpuE9ELNS1_3repE0EEENS1_36merge_oddeven_config_static_selectorELNS0_4arch9wavefront6targetE1EEEvSH_
    .private_segment_fixed_size: 0
    .sgpr_count:     4
    .sgpr_spill_count: 0
    .symbol:         _ZN7rocprim17ROCPRIM_400000_NS6detail17trampoline_kernelINS0_14default_configENS1_38merge_sort_block_merge_config_selectorIdlEEZZNS1_27merge_sort_block_merge_implIS3_PdN6thrust23THRUST_200600_302600_NS10device_ptrIlEEjNS1_19radix_merge_compareILb0ELb0EdNS0_19identity_decomposerEEEEE10hipError_tT0_T1_T2_jT3_P12ihipStream_tbPNSt15iterator_traitsISG_E10value_typeEPNSM_ISH_E10value_typeEPSI_NS1_7vsmem_tEENKUlT_SG_SH_SI_E_clIS7_S7_PlSB_EESF_SV_SG_SH_SI_EUlSV_E1_NS1_11comp_targetILNS1_3genE5ELNS1_11target_archE942ELNS1_3gpuE9ELNS1_3repE0EEENS1_36merge_oddeven_config_static_selectorELNS0_4arch9wavefront6targetE1EEEvSH_.kd
    .uniform_work_group_size: 1
    .uses_dynamic_stack: false
    .vgpr_count:     0
    .vgpr_spill_count: 0
    .wavefront_size: 64
  - .agpr_count:     0
    .args:
      - .offset:         0
        .size:           48
        .value_kind:     by_value
    .group_segment_fixed_size: 0
    .kernarg_segment_align: 8
    .kernarg_segment_size: 48
    .language:       OpenCL C
    .language_version:
      - 2
      - 0
    .max_flat_workgroup_size: 256
    .name:           _ZN7rocprim17ROCPRIM_400000_NS6detail17trampoline_kernelINS0_14default_configENS1_38merge_sort_block_merge_config_selectorIdlEEZZNS1_27merge_sort_block_merge_implIS3_PdN6thrust23THRUST_200600_302600_NS10device_ptrIlEEjNS1_19radix_merge_compareILb0ELb0EdNS0_19identity_decomposerEEEEE10hipError_tT0_T1_T2_jT3_P12ihipStream_tbPNSt15iterator_traitsISG_E10value_typeEPNSM_ISH_E10value_typeEPSI_NS1_7vsmem_tEENKUlT_SG_SH_SI_E_clIS7_S7_PlSB_EESF_SV_SG_SH_SI_EUlSV_E1_NS1_11comp_targetILNS1_3genE4ELNS1_11target_archE910ELNS1_3gpuE8ELNS1_3repE0EEENS1_36merge_oddeven_config_static_selectorELNS0_4arch9wavefront6targetE1EEEvSH_
    .private_segment_fixed_size: 0
    .sgpr_count:     28
    .sgpr_spill_count: 0
    .symbol:         _ZN7rocprim17ROCPRIM_400000_NS6detail17trampoline_kernelINS0_14default_configENS1_38merge_sort_block_merge_config_selectorIdlEEZZNS1_27merge_sort_block_merge_implIS3_PdN6thrust23THRUST_200600_302600_NS10device_ptrIlEEjNS1_19radix_merge_compareILb0ELb0EdNS0_19identity_decomposerEEEEE10hipError_tT0_T1_T2_jT3_P12ihipStream_tbPNSt15iterator_traitsISG_E10value_typeEPNSM_ISH_E10value_typeEPSI_NS1_7vsmem_tEENKUlT_SG_SH_SI_E_clIS7_S7_PlSB_EESF_SV_SG_SH_SI_EUlSV_E1_NS1_11comp_targetILNS1_3genE4ELNS1_11target_archE910ELNS1_3gpuE8ELNS1_3repE0EEENS1_36merge_oddeven_config_static_selectorELNS0_4arch9wavefront6targetE1EEEvSH_.kd
    .uniform_work_group_size: 1
    .uses_dynamic_stack: false
    .vgpr_count:     17
    .vgpr_spill_count: 0
    .wavefront_size: 64
  - .agpr_count:     0
    .args:
      - .offset:         0
        .size:           48
        .value_kind:     by_value
    .group_segment_fixed_size: 0
    .kernarg_segment_align: 8
    .kernarg_segment_size: 48
    .language:       OpenCL C
    .language_version:
      - 2
      - 0
    .max_flat_workgroup_size: 256
    .name:           _ZN7rocprim17ROCPRIM_400000_NS6detail17trampoline_kernelINS0_14default_configENS1_38merge_sort_block_merge_config_selectorIdlEEZZNS1_27merge_sort_block_merge_implIS3_PdN6thrust23THRUST_200600_302600_NS10device_ptrIlEEjNS1_19radix_merge_compareILb0ELb0EdNS0_19identity_decomposerEEEEE10hipError_tT0_T1_T2_jT3_P12ihipStream_tbPNSt15iterator_traitsISG_E10value_typeEPNSM_ISH_E10value_typeEPSI_NS1_7vsmem_tEENKUlT_SG_SH_SI_E_clIS7_S7_PlSB_EESF_SV_SG_SH_SI_EUlSV_E1_NS1_11comp_targetILNS1_3genE3ELNS1_11target_archE908ELNS1_3gpuE7ELNS1_3repE0EEENS1_36merge_oddeven_config_static_selectorELNS0_4arch9wavefront6targetE1EEEvSH_
    .private_segment_fixed_size: 0
    .sgpr_count:     4
    .sgpr_spill_count: 0
    .symbol:         _ZN7rocprim17ROCPRIM_400000_NS6detail17trampoline_kernelINS0_14default_configENS1_38merge_sort_block_merge_config_selectorIdlEEZZNS1_27merge_sort_block_merge_implIS3_PdN6thrust23THRUST_200600_302600_NS10device_ptrIlEEjNS1_19radix_merge_compareILb0ELb0EdNS0_19identity_decomposerEEEEE10hipError_tT0_T1_T2_jT3_P12ihipStream_tbPNSt15iterator_traitsISG_E10value_typeEPNSM_ISH_E10value_typeEPSI_NS1_7vsmem_tEENKUlT_SG_SH_SI_E_clIS7_S7_PlSB_EESF_SV_SG_SH_SI_EUlSV_E1_NS1_11comp_targetILNS1_3genE3ELNS1_11target_archE908ELNS1_3gpuE7ELNS1_3repE0EEENS1_36merge_oddeven_config_static_selectorELNS0_4arch9wavefront6targetE1EEEvSH_.kd
    .uniform_work_group_size: 1
    .uses_dynamic_stack: false
    .vgpr_count:     0
    .vgpr_spill_count: 0
    .wavefront_size: 64
  - .agpr_count:     0
    .args:
      - .offset:         0
        .size:           48
        .value_kind:     by_value
    .group_segment_fixed_size: 0
    .kernarg_segment_align: 8
    .kernarg_segment_size: 48
    .language:       OpenCL C
    .language_version:
      - 2
      - 0
    .max_flat_workgroup_size: 256
    .name:           _ZN7rocprim17ROCPRIM_400000_NS6detail17trampoline_kernelINS0_14default_configENS1_38merge_sort_block_merge_config_selectorIdlEEZZNS1_27merge_sort_block_merge_implIS3_PdN6thrust23THRUST_200600_302600_NS10device_ptrIlEEjNS1_19radix_merge_compareILb0ELb0EdNS0_19identity_decomposerEEEEE10hipError_tT0_T1_T2_jT3_P12ihipStream_tbPNSt15iterator_traitsISG_E10value_typeEPNSM_ISH_E10value_typeEPSI_NS1_7vsmem_tEENKUlT_SG_SH_SI_E_clIS7_S7_PlSB_EESF_SV_SG_SH_SI_EUlSV_E1_NS1_11comp_targetILNS1_3genE2ELNS1_11target_archE906ELNS1_3gpuE6ELNS1_3repE0EEENS1_36merge_oddeven_config_static_selectorELNS0_4arch9wavefront6targetE1EEEvSH_
    .private_segment_fixed_size: 0
    .sgpr_count:     4
    .sgpr_spill_count: 0
    .symbol:         _ZN7rocprim17ROCPRIM_400000_NS6detail17trampoline_kernelINS0_14default_configENS1_38merge_sort_block_merge_config_selectorIdlEEZZNS1_27merge_sort_block_merge_implIS3_PdN6thrust23THRUST_200600_302600_NS10device_ptrIlEEjNS1_19radix_merge_compareILb0ELb0EdNS0_19identity_decomposerEEEEE10hipError_tT0_T1_T2_jT3_P12ihipStream_tbPNSt15iterator_traitsISG_E10value_typeEPNSM_ISH_E10value_typeEPSI_NS1_7vsmem_tEENKUlT_SG_SH_SI_E_clIS7_S7_PlSB_EESF_SV_SG_SH_SI_EUlSV_E1_NS1_11comp_targetILNS1_3genE2ELNS1_11target_archE906ELNS1_3gpuE6ELNS1_3repE0EEENS1_36merge_oddeven_config_static_selectorELNS0_4arch9wavefront6targetE1EEEvSH_.kd
    .uniform_work_group_size: 1
    .uses_dynamic_stack: false
    .vgpr_count:     0
    .vgpr_spill_count: 0
    .wavefront_size: 64
  - .agpr_count:     0
    .args:
      - .offset:         0
        .size:           48
        .value_kind:     by_value
    .group_segment_fixed_size: 0
    .kernarg_segment_align: 8
    .kernarg_segment_size: 48
    .language:       OpenCL C
    .language_version:
      - 2
      - 0
    .max_flat_workgroup_size: 256
    .name:           _ZN7rocprim17ROCPRIM_400000_NS6detail17trampoline_kernelINS0_14default_configENS1_38merge_sort_block_merge_config_selectorIdlEEZZNS1_27merge_sort_block_merge_implIS3_PdN6thrust23THRUST_200600_302600_NS10device_ptrIlEEjNS1_19radix_merge_compareILb0ELb0EdNS0_19identity_decomposerEEEEE10hipError_tT0_T1_T2_jT3_P12ihipStream_tbPNSt15iterator_traitsISG_E10value_typeEPNSM_ISH_E10value_typeEPSI_NS1_7vsmem_tEENKUlT_SG_SH_SI_E_clIS7_S7_PlSB_EESF_SV_SG_SH_SI_EUlSV_E1_NS1_11comp_targetILNS1_3genE9ELNS1_11target_archE1100ELNS1_3gpuE3ELNS1_3repE0EEENS1_36merge_oddeven_config_static_selectorELNS0_4arch9wavefront6targetE1EEEvSH_
    .private_segment_fixed_size: 0
    .sgpr_count:     4
    .sgpr_spill_count: 0
    .symbol:         _ZN7rocprim17ROCPRIM_400000_NS6detail17trampoline_kernelINS0_14default_configENS1_38merge_sort_block_merge_config_selectorIdlEEZZNS1_27merge_sort_block_merge_implIS3_PdN6thrust23THRUST_200600_302600_NS10device_ptrIlEEjNS1_19radix_merge_compareILb0ELb0EdNS0_19identity_decomposerEEEEE10hipError_tT0_T1_T2_jT3_P12ihipStream_tbPNSt15iterator_traitsISG_E10value_typeEPNSM_ISH_E10value_typeEPSI_NS1_7vsmem_tEENKUlT_SG_SH_SI_E_clIS7_S7_PlSB_EESF_SV_SG_SH_SI_EUlSV_E1_NS1_11comp_targetILNS1_3genE9ELNS1_11target_archE1100ELNS1_3gpuE3ELNS1_3repE0EEENS1_36merge_oddeven_config_static_selectorELNS0_4arch9wavefront6targetE1EEEvSH_.kd
    .uniform_work_group_size: 1
    .uses_dynamic_stack: false
    .vgpr_count:     0
    .vgpr_spill_count: 0
    .wavefront_size: 64
  - .agpr_count:     0
    .args:
      - .offset:         0
        .size:           48
        .value_kind:     by_value
    .group_segment_fixed_size: 0
    .kernarg_segment_align: 8
    .kernarg_segment_size: 48
    .language:       OpenCL C
    .language_version:
      - 2
      - 0
    .max_flat_workgroup_size: 256
    .name:           _ZN7rocprim17ROCPRIM_400000_NS6detail17trampoline_kernelINS0_14default_configENS1_38merge_sort_block_merge_config_selectorIdlEEZZNS1_27merge_sort_block_merge_implIS3_PdN6thrust23THRUST_200600_302600_NS10device_ptrIlEEjNS1_19radix_merge_compareILb0ELb0EdNS0_19identity_decomposerEEEEE10hipError_tT0_T1_T2_jT3_P12ihipStream_tbPNSt15iterator_traitsISG_E10value_typeEPNSM_ISH_E10value_typeEPSI_NS1_7vsmem_tEENKUlT_SG_SH_SI_E_clIS7_S7_PlSB_EESF_SV_SG_SH_SI_EUlSV_E1_NS1_11comp_targetILNS1_3genE8ELNS1_11target_archE1030ELNS1_3gpuE2ELNS1_3repE0EEENS1_36merge_oddeven_config_static_selectorELNS0_4arch9wavefront6targetE1EEEvSH_
    .private_segment_fixed_size: 0
    .sgpr_count:     4
    .sgpr_spill_count: 0
    .symbol:         _ZN7rocprim17ROCPRIM_400000_NS6detail17trampoline_kernelINS0_14default_configENS1_38merge_sort_block_merge_config_selectorIdlEEZZNS1_27merge_sort_block_merge_implIS3_PdN6thrust23THRUST_200600_302600_NS10device_ptrIlEEjNS1_19radix_merge_compareILb0ELb0EdNS0_19identity_decomposerEEEEE10hipError_tT0_T1_T2_jT3_P12ihipStream_tbPNSt15iterator_traitsISG_E10value_typeEPNSM_ISH_E10value_typeEPSI_NS1_7vsmem_tEENKUlT_SG_SH_SI_E_clIS7_S7_PlSB_EESF_SV_SG_SH_SI_EUlSV_E1_NS1_11comp_targetILNS1_3genE8ELNS1_11target_archE1030ELNS1_3gpuE2ELNS1_3repE0EEENS1_36merge_oddeven_config_static_selectorELNS0_4arch9wavefront6targetE1EEEvSH_.kd
    .uniform_work_group_size: 1
    .uses_dynamic_stack: false
    .vgpr_count:     0
    .vgpr_spill_count: 0
    .wavefront_size: 64
  - .agpr_count:     0
    .args:
      - .offset:         0
        .size:           40
        .value_kind:     by_value
    .group_segment_fixed_size: 0
    .kernarg_segment_align: 8
    .kernarg_segment_size: 40
    .language:       OpenCL C
    .language_version:
      - 2
      - 0
    .max_flat_workgroup_size: 128
    .name:           _ZN7rocprim17ROCPRIM_400000_NS6detail17trampoline_kernelINS0_14default_configENS1_38merge_sort_block_merge_config_selectorIdlEEZZNS1_27merge_sort_block_merge_implIS3_PdN6thrust23THRUST_200600_302600_NS10device_ptrIlEEjNS1_19radix_merge_compareILb0ELb0EdNS0_19identity_decomposerEEEEE10hipError_tT0_T1_T2_jT3_P12ihipStream_tbPNSt15iterator_traitsISG_E10value_typeEPNSM_ISH_E10value_typeEPSI_NS1_7vsmem_tEENKUlT_SG_SH_SI_E_clIS7_S7_SB_PlEESF_SV_SG_SH_SI_EUlSV_E_NS1_11comp_targetILNS1_3genE0ELNS1_11target_archE4294967295ELNS1_3gpuE0ELNS1_3repE0EEENS1_48merge_mergepath_partition_config_static_selectorELNS0_4arch9wavefront6targetE1EEEvSH_
    .private_segment_fixed_size: 0
    .sgpr_count:     4
    .sgpr_spill_count: 0
    .symbol:         _ZN7rocprim17ROCPRIM_400000_NS6detail17trampoline_kernelINS0_14default_configENS1_38merge_sort_block_merge_config_selectorIdlEEZZNS1_27merge_sort_block_merge_implIS3_PdN6thrust23THRUST_200600_302600_NS10device_ptrIlEEjNS1_19radix_merge_compareILb0ELb0EdNS0_19identity_decomposerEEEEE10hipError_tT0_T1_T2_jT3_P12ihipStream_tbPNSt15iterator_traitsISG_E10value_typeEPNSM_ISH_E10value_typeEPSI_NS1_7vsmem_tEENKUlT_SG_SH_SI_E_clIS7_S7_SB_PlEESF_SV_SG_SH_SI_EUlSV_E_NS1_11comp_targetILNS1_3genE0ELNS1_11target_archE4294967295ELNS1_3gpuE0ELNS1_3repE0EEENS1_48merge_mergepath_partition_config_static_selectorELNS0_4arch9wavefront6targetE1EEEvSH_.kd
    .uniform_work_group_size: 1
    .uses_dynamic_stack: false
    .vgpr_count:     0
    .vgpr_spill_count: 0
    .wavefront_size: 64
  - .agpr_count:     0
    .args:
      - .offset:         0
        .size:           40
        .value_kind:     by_value
    .group_segment_fixed_size: 0
    .kernarg_segment_align: 8
    .kernarg_segment_size: 40
    .language:       OpenCL C
    .language_version:
      - 2
      - 0
    .max_flat_workgroup_size: 128
    .name:           _ZN7rocprim17ROCPRIM_400000_NS6detail17trampoline_kernelINS0_14default_configENS1_38merge_sort_block_merge_config_selectorIdlEEZZNS1_27merge_sort_block_merge_implIS3_PdN6thrust23THRUST_200600_302600_NS10device_ptrIlEEjNS1_19radix_merge_compareILb0ELb0EdNS0_19identity_decomposerEEEEE10hipError_tT0_T1_T2_jT3_P12ihipStream_tbPNSt15iterator_traitsISG_E10value_typeEPNSM_ISH_E10value_typeEPSI_NS1_7vsmem_tEENKUlT_SG_SH_SI_E_clIS7_S7_SB_PlEESF_SV_SG_SH_SI_EUlSV_E_NS1_11comp_targetILNS1_3genE10ELNS1_11target_archE1201ELNS1_3gpuE5ELNS1_3repE0EEENS1_48merge_mergepath_partition_config_static_selectorELNS0_4arch9wavefront6targetE1EEEvSH_
    .private_segment_fixed_size: 0
    .sgpr_count:     4
    .sgpr_spill_count: 0
    .symbol:         _ZN7rocprim17ROCPRIM_400000_NS6detail17trampoline_kernelINS0_14default_configENS1_38merge_sort_block_merge_config_selectorIdlEEZZNS1_27merge_sort_block_merge_implIS3_PdN6thrust23THRUST_200600_302600_NS10device_ptrIlEEjNS1_19radix_merge_compareILb0ELb0EdNS0_19identity_decomposerEEEEE10hipError_tT0_T1_T2_jT3_P12ihipStream_tbPNSt15iterator_traitsISG_E10value_typeEPNSM_ISH_E10value_typeEPSI_NS1_7vsmem_tEENKUlT_SG_SH_SI_E_clIS7_S7_SB_PlEESF_SV_SG_SH_SI_EUlSV_E_NS1_11comp_targetILNS1_3genE10ELNS1_11target_archE1201ELNS1_3gpuE5ELNS1_3repE0EEENS1_48merge_mergepath_partition_config_static_selectorELNS0_4arch9wavefront6targetE1EEEvSH_.kd
    .uniform_work_group_size: 1
    .uses_dynamic_stack: false
    .vgpr_count:     0
    .vgpr_spill_count: 0
    .wavefront_size: 64
  - .agpr_count:     0
    .args:
      - .offset:         0
        .size:           40
        .value_kind:     by_value
    .group_segment_fixed_size: 0
    .kernarg_segment_align: 8
    .kernarg_segment_size: 40
    .language:       OpenCL C
    .language_version:
      - 2
      - 0
    .max_flat_workgroup_size: 128
    .name:           _ZN7rocprim17ROCPRIM_400000_NS6detail17trampoline_kernelINS0_14default_configENS1_38merge_sort_block_merge_config_selectorIdlEEZZNS1_27merge_sort_block_merge_implIS3_PdN6thrust23THRUST_200600_302600_NS10device_ptrIlEEjNS1_19radix_merge_compareILb0ELb0EdNS0_19identity_decomposerEEEEE10hipError_tT0_T1_T2_jT3_P12ihipStream_tbPNSt15iterator_traitsISG_E10value_typeEPNSM_ISH_E10value_typeEPSI_NS1_7vsmem_tEENKUlT_SG_SH_SI_E_clIS7_S7_SB_PlEESF_SV_SG_SH_SI_EUlSV_E_NS1_11comp_targetILNS1_3genE5ELNS1_11target_archE942ELNS1_3gpuE9ELNS1_3repE0EEENS1_48merge_mergepath_partition_config_static_selectorELNS0_4arch9wavefront6targetE1EEEvSH_
    .private_segment_fixed_size: 0
    .sgpr_count:     4
    .sgpr_spill_count: 0
    .symbol:         _ZN7rocprim17ROCPRIM_400000_NS6detail17trampoline_kernelINS0_14default_configENS1_38merge_sort_block_merge_config_selectorIdlEEZZNS1_27merge_sort_block_merge_implIS3_PdN6thrust23THRUST_200600_302600_NS10device_ptrIlEEjNS1_19radix_merge_compareILb0ELb0EdNS0_19identity_decomposerEEEEE10hipError_tT0_T1_T2_jT3_P12ihipStream_tbPNSt15iterator_traitsISG_E10value_typeEPNSM_ISH_E10value_typeEPSI_NS1_7vsmem_tEENKUlT_SG_SH_SI_E_clIS7_S7_SB_PlEESF_SV_SG_SH_SI_EUlSV_E_NS1_11comp_targetILNS1_3genE5ELNS1_11target_archE942ELNS1_3gpuE9ELNS1_3repE0EEENS1_48merge_mergepath_partition_config_static_selectorELNS0_4arch9wavefront6targetE1EEEvSH_.kd
    .uniform_work_group_size: 1
    .uses_dynamic_stack: false
    .vgpr_count:     0
    .vgpr_spill_count: 0
    .wavefront_size: 64
  - .agpr_count:     0
    .args:
      - .offset:         0
        .size:           40
        .value_kind:     by_value
    .group_segment_fixed_size: 0
    .kernarg_segment_align: 8
    .kernarg_segment_size: 40
    .language:       OpenCL C
    .language_version:
      - 2
      - 0
    .max_flat_workgroup_size: 128
    .name:           _ZN7rocprim17ROCPRIM_400000_NS6detail17trampoline_kernelINS0_14default_configENS1_38merge_sort_block_merge_config_selectorIdlEEZZNS1_27merge_sort_block_merge_implIS3_PdN6thrust23THRUST_200600_302600_NS10device_ptrIlEEjNS1_19radix_merge_compareILb0ELb0EdNS0_19identity_decomposerEEEEE10hipError_tT0_T1_T2_jT3_P12ihipStream_tbPNSt15iterator_traitsISG_E10value_typeEPNSM_ISH_E10value_typeEPSI_NS1_7vsmem_tEENKUlT_SG_SH_SI_E_clIS7_S7_SB_PlEESF_SV_SG_SH_SI_EUlSV_E_NS1_11comp_targetILNS1_3genE4ELNS1_11target_archE910ELNS1_3gpuE8ELNS1_3repE0EEENS1_48merge_mergepath_partition_config_static_selectorELNS0_4arch9wavefront6targetE1EEEvSH_
    .private_segment_fixed_size: 0
    .sgpr_count:     12
    .sgpr_spill_count: 0
    .symbol:         _ZN7rocprim17ROCPRIM_400000_NS6detail17trampoline_kernelINS0_14default_configENS1_38merge_sort_block_merge_config_selectorIdlEEZZNS1_27merge_sort_block_merge_implIS3_PdN6thrust23THRUST_200600_302600_NS10device_ptrIlEEjNS1_19radix_merge_compareILb0ELb0EdNS0_19identity_decomposerEEEEE10hipError_tT0_T1_T2_jT3_P12ihipStream_tbPNSt15iterator_traitsISG_E10value_typeEPNSM_ISH_E10value_typeEPSI_NS1_7vsmem_tEENKUlT_SG_SH_SI_E_clIS7_S7_SB_PlEESF_SV_SG_SH_SI_EUlSV_E_NS1_11comp_targetILNS1_3genE4ELNS1_11target_archE910ELNS1_3gpuE8ELNS1_3repE0EEENS1_48merge_mergepath_partition_config_static_selectorELNS0_4arch9wavefront6targetE1EEEvSH_.kd
    .uniform_work_group_size: 1
    .uses_dynamic_stack: false
    .vgpr_count:     20
    .vgpr_spill_count: 0
    .wavefront_size: 64
  - .agpr_count:     0
    .args:
      - .offset:         0
        .size:           40
        .value_kind:     by_value
    .group_segment_fixed_size: 0
    .kernarg_segment_align: 8
    .kernarg_segment_size: 40
    .language:       OpenCL C
    .language_version:
      - 2
      - 0
    .max_flat_workgroup_size: 128
    .name:           _ZN7rocprim17ROCPRIM_400000_NS6detail17trampoline_kernelINS0_14default_configENS1_38merge_sort_block_merge_config_selectorIdlEEZZNS1_27merge_sort_block_merge_implIS3_PdN6thrust23THRUST_200600_302600_NS10device_ptrIlEEjNS1_19radix_merge_compareILb0ELb0EdNS0_19identity_decomposerEEEEE10hipError_tT0_T1_T2_jT3_P12ihipStream_tbPNSt15iterator_traitsISG_E10value_typeEPNSM_ISH_E10value_typeEPSI_NS1_7vsmem_tEENKUlT_SG_SH_SI_E_clIS7_S7_SB_PlEESF_SV_SG_SH_SI_EUlSV_E_NS1_11comp_targetILNS1_3genE3ELNS1_11target_archE908ELNS1_3gpuE7ELNS1_3repE0EEENS1_48merge_mergepath_partition_config_static_selectorELNS0_4arch9wavefront6targetE1EEEvSH_
    .private_segment_fixed_size: 0
    .sgpr_count:     4
    .sgpr_spill_count: 0
    .symbol:         _ZN7rocprim17ROCPRIM_400000_NS6detail17trampoline_kernelINS0_14default_configENS1_38merge_sort_block_merge_config_selectorIdlEEZZNS1_27merge_sort_block_merge_implIS3_PdN6thrust23THRUST_200600_302600_NS10device_ptrIlEEjNS1_19radix_merge_compareILb0ELb0EdNS0_19identity_decomposerEEEEE10hipError_tT0_T1_T2_jT3_P12ihipStream_tbPNSt15iterator_traitsISG_E10value_typeEPNSM_ISH_E10value_typeEPSI_NS1_7vsmem_tEENKUlT_SG_SH_SI_E_clIS7_S7_SB_PlEESF_SV_SG_SH_SI_EUlSV_E_NS1_11comp_targetILNS1_3genE3ELNS1_11target_archE908ELNS1_3gpuE7ELNS1_3repE0EEENS1_48merge_mergepath_partition_config_static_selectorELNS0_4arch9wavefront6targetE1EEEvSH_.kd
    .uniform_work_group_size: 1
    .uses_dynamic_stack: false
    .vgpr_count:     0
    .vgpr_spill_count: 0
    .wavefront_size: 64
  - .agpr_count:     0
    .args:
      - .offset:         0
        .size:           40
        .value_kind:     by_value
    .group_segment_fixed_size: 0
    .kernarg_segment_align: 8
    .kernarg_segment_size: 40
    .language:       OpenCL C
    .language_version:
      - 2
      - 0
    .max_flat_workgroup_size: 128
    .name:           _ZN7rocprim17ROCPRIM_400000_NS6detail17trampoline_kernelINS0_14default_configENS1_38merge_sort_block_merge_config_selectorIdlEEZZNS1_27merge_sort_block_merge_implIS3_PdN6thrust23THRUST_200600_302600_NS10device_ptrIlEEjNS1_19radix_merge_compareILb0ELb0EdNS0_19identity_decomposerEEEEE10hipError_tT0_T1_T2_jT3_P12ihipStream_tbPNSt15iterator_traitsISG_E10value_typeEPNSM_ISH_E10value_typeEPSI_NS1_7vsmem_tEENKUlT_SG_SH_SI_E_clIS7_S7_SB_PlEESF_SV_SG_SH_SI_EUlSV_E_NS1_11comp_targetILNS1_3genE2ELNS1_11target_archE906ELNS1_3gpuE6ELNS1_3repE0EEENS1_48merge_mergepath_partition_config_static_selectorELNS0_4arch9wavefront6targetE1EEEvSH_
    .private_segment_fixed_size: 0
    .sgpr_count:     4
    .sgpr_spill_count: 0
    .symbol:         _ZN7rocprim17ROCPRIM_400000_NS6detail17trampoline_kernelINS0_14default_configENS1_38merge_sort_block_merge_config_selectorIdlEEZZNS1_27merge_sort_block_merge_implIS3_PdN6thrust23THRUST_200600_302600_NS10device_ptrIlEEjNS1_19radix_merge_compareILb0ELb0EdNS0_19identity_decomposerEEEEE10hipError_tT0_T1_T2_jT3_P12ihipStream_tbPNSt15iterator_traitsISG_E10value_typeEPNSM_ISH_E10value_typeEPSI_NS1_7vsmem_tEENKUlT_SG_SH_SI_E_clIS7_S7_SB_PlEESF_SV_SG_SH_SI_EUlSV_E_NS1_11comp_targetILNS1_3genE2ELNS1_11target_archE906ELNS1_3gpuE6ELNS1_3repE0EEENS1_48merge_mergepath_partition_config_static_selectorELNS0_4arch9wavefront6targetE1EEEvSH_.kd
    .uniform_work_group_size: 1
    .uses_dynamic_stack: false
    .vgpr_count:     0
    .vgpr_spill_count: 0
    .wavefront_size: 64
  - .agpr_count:     0
    .args:
      - .offset:         0
        .size:           40
        .value_kind:     by_value
    .group_segment_fixed_size: 0
    .kernarg_segment_align: 8
    .kernarg_segment_size: 40
    .language:       OpenCL C
    .language_version:
      - 2
      - 0
    .max_flat_workgroup_size: 128
    .name:           _ZN7rocprim17ROCPRIM_400000_NS6detail17trampoline_kernelINS0_14default_configENS1_38merge_sort_block_merge_config_selectorIdlEEZZNS1_27merge_sort_block_merge_implIS3_PdN6thrust23THRUST_200600_302600_NS10device_ptrIlEEjNS1_19radix_merge_compareILb0ELb0EdNS0_19identity_decomposerEEEEE10hipError_tT0_T1_T2_jT3_P12ihipStream_tbPNSt15iterator_traitsISG_E10value_typeEPNSM_ISH_E10value_typeEPSI_NS1_7vsmem_tEENKUlT_SG_SH_SI_E_clIS7_S7_SB_PlEESF_SV_SG_SH_SI_EUlSV_E_NS1_11comp_targetILNS1_3genE9ELNS1_11target_archE1100ELNS1_3gpuE3ELNS1_3repE0EEENS1_48merge_mergepath_partition_config_static_selectorELNS0_4arch9wavefront6targetE1EEEvSH_
    .private_segment_fixed_size: 0
    .sgpr_count:     4
    .sgpr_spill_count: 0
    .symbol:         _ZN7rocprim17ROCPRIM_400000_NS6detail17trampoline_kernelINS0_14default_configENS1_38merge_sort_block_merge_config_selectorIdlEEZZNS1_27merge_sort_block_merge_implIS3_PdN6thrust23THRUST_200600_302600_NS10device_ptrIlEEjNS1_19radix_merge_compareILb0ELb0EdNS0_19identity_decomposerEEEEE10hipError_tT0_T1_T2_jT3_P12ihipStream_tbPNSt15iterator_traitsISG_E10value_typeEPNSM_ISH_E10value_typeEPSI_NS1_7vsmem_tEENKUlT_SG_SH_SI_E_clIS7_S7_SB_PlEESF_SV_SG_SH_SI_EUlSV_E_NS1_11comp_targetILNS1_3genE9ELNS1_11target_archE1100ELNS1_3gpuE3ELNS1_3repE0EEENS1_48merge_mergepath_partition_config_static_selectorELNS0_4arch9wavefront6targetE1EEEvSH_.kd
    .uniform_work_group_size: 1
    .uses_dynamic_stack: false
    .vgpr_count:     0
    .vgpr_spill_count: 0
    .wavefront_size: 64
  - .agpr_count:     0
    .args:
      - .offset:         0
        .size:           40
        .value_kind:     by_value
    .group_segment_fixed_size: 0
    .kernarg_segment_align: 8
    .kernarg_segment_size: 40
    .language:       OpenCL C
    .language_version:
      - 2
      - 0
    .max_flat_workgroup_size: 128
    .name:           _ZN7rocprim17ROCPRIM_400000_NS6detail17trampoline_kernelINS0_14default_configENS1_38merge_sort_block_merge_config_selectorIdlEEZZNS1_27merge_sort_block_merge_implIS3_PdN6thrust23THRUST_200600_302600_NS10device_ptrIlEEjNS1_19radix_merge_compareILb0ELb0EdNS0_19identity_decomposerEEEEE10hipError_tT0_T1_T2_jT3_P12ihipStream_tbPNSt15iterator_traitsISG_E10value_typeEPNSM_ISH_E10value_typeEPSI_NS1_7vsmem_tEENKUlT_SG_SH_SI_E_clIS7_S7_SB_PlEESF_SV_SG_SH_SI_EUlSV_E_NS1_11comp_targetILNS1_3genE8ELNS1_11target_archE1030ELNS1_3gpuE2ELNS1_3repE0EEENS1_48merge_mergepath_partition_config_static_selectorELNS0_4arch9wavefront6targetE1EEEvSH_
    .private_segment_fixed_size: 0
    .sgpr_count:     4
    .sgpr_spill_count: 0
    .symbol:         _ZN7rocprim17ROCPRIM_400000_NS6detail17trampoline_kernelINS0_14default_configENS1_38merge_sort_block_merge_config_selectorIdlEEZZNS1_27merge_sort_block_merge_implIS3_PdN6thrust23THRUST_200600_302600_NS10device_ptrIlEEjNS1_19radix_merge_compareILb0ELb0EdNS0_19identity_decomposerEEEEE10hipError_tT0_T1_T2_jT3_P12ihipStream_tbPNSt15iterator_traitsISG_E10value_typeEPNSM_ISH_E10value_typeEPSI_NS1_7vsmem_tEENKUlT_SG_SH_SI_E_clIS7_S7_SB_PlEESF_SV_SG_SH_SI_EUlSV_E_NS1_11comp_targetILNS1_3genE8ELNS1_11target_archE1030ELNS1_3gpuE2ELNS1_3repE0EEENS1_48merge_mergepath_partition_config_static_selectorELNS0_4arch9wavefront6targetE1EEEvSH_.kd
    .uniform_work_group_size: 1
    .uses_dynamic_stack: false
    .vgpr_count:     0
    .vgpr_spill_count: 0
    .wavefront_size: 64
  - .agpr_count:     0
    .args:
      - .offset:         0
        .size:           64
        .value_kind:     by_value
    .group_segment_fixed_size: 0
    .kernarg_segment_align: 8
    .kernarg_segment_size: 64
    .language:       OpenCL C
    .language_version:
      - 2
      - 0
    .max_flat_workgroup_size: 1024
    .name:           _ZN7rocprim17ROCPRIM_400000_NS6detail17trampoline_kernelINS0_14default_configENS1_38merge_sort_block_merge_config_selectorIdlEEZZNS1_27merge_sort_block_merge_implIS3_PdN6thrust23THRUST_200600_302600_NS10device_ptrIlEEjNS1_19radix_merge_compareILb0ELb0EdNS0_19identity_decomposerEEEEE10hipError_tT0_T1_T2_jT3_P12ihipStream_tbPNSt15iterator_traitsISG_E10value_typeEPNSM_ISH_E10value_typeEPSI_NS1_7vsmem_tEENKUlT_SG_SH_SI_E_clIS7_S7_SB_PlEESF_SV_SG_SH_SI_EUlSV_E0_NS1_11comp_targetILNS1_3genE0ELNS1_11target_archE4294967295ELNS1_3gpuE0ELNS1_3repE0EEENS1_38merge_mergepath_config_static_selectorELNS0_4arch9wavefront6targetE1EEEvSH_
    .private_segment_fixed_size: 0
    .sgpr_count:     4
    .sgpr_spill_count: 0
    .symbol:         _ZN7rocprim17ROCPRIM_400000_NS6detail17trampoline_kernelINS0_14default_configENS1_38merge_sort_block_merge_config_selectorIdlEEZZNS1_27merge_sort_block_merge_implIS3_PdN6thrust23THRUST_200600_302600_NS10device_ptrIlEEjNS1_19radix_merge_compareILb0ELb0EdNS0_19identity_decomposerEEEEE10hipError_tT0_T1_T2_jT3_P12ihipStream_tbPNSt15iterator_traitsISG_E10value_typeEPNSM_ISH_E10value_typeEPSI_NS1_7vsmem_tEENKUlT_SG_SH_SI_E_clIS7_S7_SB_PlEESF_SV_SG_SH_SI_EUlSV_E0_NS1_11comp_targetILNS1_3genE0ELNS1_11target_archE4294967295ELNS1_3gpuE0ELNS1_3repE0EEENS1_38merge_mergepath_config_static_selectorELNS0_4arch9wavefront6targetE1EEEvSH_.kd
    .uniform_work_group_size: 1
    .uses_dynamic_stack: false
    .vgpr_count:     0
    .vgpr_spill_count: 0
    .wavefront_size: 64
  - .agpr_count:     0
    .args:
      - .offset:         0
        .size:           64
        .value_kind:     by_value
    .group_segment_fixed_size: 0
    .kernarg_segment_align: 8
    .kernarg_segment_size: 64
    .language:       OpenCL C
    .language_version:
      - 2
      - 0
    .max_flat_workgroup_size: 512
    .name:           _ZN7rocprim17ROCPRIM_400000_NS6detail17trampoline_kernelINS0_14default_configENS1_38merge_sort_block_merge_config_selectorIdlEEZZNS1_27merge_sort_block_merge_implIS3_PdN6thrust23THRUST_200600_302600_NS10device_ptrIlEEjNS1_19radix_merge_compareILb0ELb0EdNS0_19identity_decomposerEEEEE10hipError_tT0_T1_T2_jT3_P12ihipStream_tbPNSt15iterator_traitsISG_E10value_typeEPNSM_ISH_E10value_typeEPSI_NS1_7vsmem_tEENKUlT_SG_SH_SI_E_clIS7_S7_SB_PlEESF_SV_SG_SH_SI_EUlSV_E0_NS1_11comp_targetILNS1_3genE10ELNS1_11target_archE1201ELNS1_3gpuE5ELNS1_3repE0EEENS1_38merge_mergepath_config_static_selectorELNS0_4arch9wavefront6targetE1EEEvSH_
    .private_segment_fixed_size: 0
    .sgpr_count:     4
    .sgpr_spill_count: 0
    .symbol:         _ZN7rocprim17ROCPRIM_400000_NS6detail17trampoline_kernelINS0_14default_configENS1_38merge_sort_block_merge_config_selectorIdlEEZZNS1_27merge_sort_block_merge_implIS3_PdN6thrust23THRUST_200600_302600_NS10device_ptrIlEEjNS1_19radix_merge_compareILb0ELb0EdNS0_19identity_decomposerEEEEE10hipError_tT0_T1_T2_jT3_P12ihipStream_tbPNSt15iterator_traitsISG_E10value_typeEPNSM_ISH_E10value_typeEPSI_NS1_7vsmem_tEENKUlT_SG_SH_SI_E_clIS7_S7_SB_PlEESF_SV_SG_SH_SI_EUlSV_E0_NS1_11comp_targetILNS1_3genE10ELNS1_11target_archE1201ELNS1_3gpuE5ELNS1_3repE0EEENS1_38merge_mergepath_config_static_selectorELNS0_4arch9wavefront6targetE1EEEvSH_.kd
    .uniform_work_group_size: 1
    .uses_dynamic_stack: false
    .vgpr_count:     0
    .vgpr_spill_count: 0
    .wavefront_size: 64
  - .agpr_count:     0
    .args:
      - .offset:         0
        .size:           64
        .value_kind:     by_value
    .group_segment_fixed_size: 0
    .kernarg_segment_align: 8
    .kernarg_segment_size: 64
    .language:       OpenCL C
    .language_version:
      - 2
      - 0
    .max_flat_workgroup_size: 256
    .name:           _ZN7rocprim17ROCPRIM_400000_NS6detail17trampoline_kernelINS0_14default_configENS1_38merge_sort_block_merge_config_selectorIdlEEZZNS1_27merge_sort_block_merge_implIS3_PdN6thrust23THRUST_200600_302600_NS10device_ptrIlEEjNS1_19radix_merge_compareILb0ELb0EdNS0_19identity_decomposerEEEEE10hipError_tT0_T1_T2_jT3_P12ihipStream_tbPNSt15iterator_traitsISG_E10value_typeEPNSM_ISH_E10value_typeEPSI_NS1_7vsmem_tEENKUlT_SG_SH_SI_E_clIS7_S7_SB_PlEESF_SV_SG_SH_SI_EUlSV_E0_NS1_11comp_targetILNS1_3genE5ELNS1_11target_archE942ELNS1_3gpuE9ELNS1_3repE0EEENS1_38merge_mergepath_config_static_selectorELNS0_4arch9wavefront6targetE1EEEvSH_
    .private_segment_fixed_size: 0
    .sgpr_count:     4
    .sgpr_spill_count: 0
    .symbol:         _ZN7rocprim17ROCPRIM_400000_NS6detail17trampoline_kernelINS0_14default_configENS1_38merge_sort_block_merge_config_selectorIdlEEZZNS1_27merge_sort_block_merge_implIS3_PdN6thrust23THRUST_200600_302600_NS10device_ptrIlEEjNS1_19radix_merge_compareILb0ELb0EdNS0_19identity_decomposerEEEEE10hipError_tT0_T1_T2_jT3_P12ihipStream_tbPNSt15iterator_traitsISG_E10value_typeEPNSM_ISH_E10value_typeEPSI_NS1_7vsmem_tEENKUlT_SG_SH_SI_E_clIS7_S7_SB_PlEESF_SV_SG_SH_SI_EUlSV_E0_NS1_11comp_targetILNS1_3genE5ELNS1_11target_archE942ELNS1_3gpuE9ELNS1_3repE0EEENS1_38merge_mergepath_config_static_selectorELNS0_4arch9wavefront6targetE1EEEvSH_.kd
    .uniform_work_group_size: 1
    .uses_dynamic_stack: false
    .vgpr_count:     0
    .vgpr_spill_count: 0
    .wavefront_size: 64
  - .agpr_count:     0
    .args:
      - .offset:         0
        .size:           64
        .value_kind:     by_value
      - .offset:         64
        .size:           4
        .value_kind:     hidden_block_count_x
      - .offset:         68
        .size:           4
        .value_kind:     hidden_block_count_y
      - .offset:         72
        .size:           4
        .value_kind:     hidden_block_count_z
      - .offset:         76
        .size:           2
        .value_kind:     hidden_group_size_x
      - .offset:         78
        .size:           2
        .value_kind:     hidden_group_size_y
      - .offset:         80
        .size:           2
        .value_kind:     hidden_group_size_z
      - .offset:         82
        .size:           2
        .value_kind:     hidden_remainder_x
      - .offset:         84
        .size:           2
        .value_kind:     hidden_remainder_y
      - .offset:         86
        .size:           2
        .value_kind:     hidden_remainder_z
      - .offset:         104
        .size:           8
        .value_kind:     hidden_global_offset_x
      - .offset:         112
        .size:           8
        .value_kind:     hidden_global_offset_y
      - .offset:         120
        .size:           8
        .value_kind:     hidden_global_offset_z
      - .offset:         128
        .size:           2
        .value_kind:     hidden_grid_dims
    .group_segment_fixed_size: 8448
    .kernarg_segment_align: 8
    .kernarg_segment_size: 320
    .language:       OpenCL C
    .language_version:
      - 2
      - 0
    .max_flat_workgroup_size: 512
    .name:           _ZN7rocprim17ROCPRIM_400000_NS6detail17trampoline_kernelINS0_14default_configENS1_38merge_sort_block_merge_config_selectorIdlEEZZNS1_27merge_sort_block_merge_implIS3_PdN6thrust23THRUST_200600_302600_NS10device_ptrIlEEjNS1_19radix_merge_compareILb0ELb0EdNS0_19identity_decomposerEEEEE10hipError_tT0_T1_T2_jT3_P12ihipStream_tbPNSt15iterator_traitsISG_E10value_typeEPNSM_ISH_E10value_typeEPSI_NS1_7vsmem_tEENKUlT_SG_SH_SI_E_clIS7_S7_SB_PlEESF_SV_SG_SH_SI_EUlSV_E0_NS1_11comp_targetILNS1_3genE4ELNS1_11target_archE910ELNS1_3gpuE8ELNS1_3repE0EEENS1_38merge_mergepath_config_static_selectorELNS0_4arch9wavefront6targetE1EEEvSH_
    .private_segment_fixed_size: 0
    .sgpr_count:     35
    .sgpr_spill_count: 0
    .symbol:         _ZN7rocprim17ROCPRIM_400000_NS6detail17trampoline_kernelINS0_14default_configENS1_38merge_sort_block_merge_config_selectorIdlEEZZNS1_27merge_sort_block_merge_implIS3_PdN6thrust23THRUST_200600_302600_NS10device_ptrIlEEjNS1_19radix_merge_compareILb0ELb0EdNS0_19identity_decomposerEEEEE10hipError_tT0_T1_T2_jT3_P12ihipStream_tbPNSt15iterator_traitsISG_E10value_typeEPNSM_ISH_E10value_typeEPSI_NS1_7vsmem_tEENKUlT_SG_SH_SI_E_clIS7_S7_SB_PlEESF_SV_SG_SH_SI_EUlSV_E0_NS1_11comp_targetILNS1_3genE4ELNS1_11target_archE910ELNS1_3gpuE8ELNS1_3repE0EEENS1_38merge_mergepath_config_static_selectorELNS0_4arch9wavefront6targetE1EEEvSH_.kd
    .uniform_work_group_size: 1
    .uses_dynamic_stack: false
    .vgpr_count:     24
    .vgpr_spill_count: 0
    .wavefront_size: 64
  - .agpr_count:     0
    .args:
      - .offset:         0
        .size:           64
        .value_kind:     by_value
    .group_segment_fixed_size: 0
    .kernarg_segment_align: 8
    .kernarg_segment_size: 64
    .language:       OpenCL C
    .language_version:
      - 2
      - 0
    .max_flat_workgroup_size: 1024
    .name:           _ZN7rocprim17ROCPRIM_400000_NS6detail17trampoline_kernelINS0_14default_configENS1_38merge_sort_block_merge_config_selectorIdlEEZZNS1_27merge_sort_block_merge_implIS3_PdN6thrust23THRUST_200600_302600_NS10device_ptrIlEEjNS1_19radix_merge_compareILb0ELb0EdNS0_19identity_decomposerEEEEE10hipError_tT0_T1_T2_jT3_P12ihipStream_tbPNSt15iterator_traitsISG_E10value_typeEPNSM_ISH_E10value_typeEPSI_NS1_7vsmem_tEENKUlT_SG_SH_SI_E_clIS7_S7_SB_PlEESF_SV_SG_SH_SI_EUlSV_E0_NS1_11comp_targetILNS1_3genE3ELNS1_11target_archE908ELNS1_3gpuE7ELNS1_3repE0EEENS1_38merge_mergepath_config_static_selectorELNS0_4arch9wavefront6targetE1EEEvSH_
    .private_segment_fixed_size: 0
    .sgpr_count:     4
    .sgpr_spill_count: 0
    .symbol:         _ZN7rocprim17ROCPRIM_400000_NS6detail17trampoline_kernelINS0_14default_configENS1_38merge_sort_block_merge_config_selectorIdlEEZZNS1_27merge_sort_block_merge_implIS3_PdN6thrust23THRUST_200600_302600_NS10device_ptrIlEEjNS1_19radix_merge_compareILb0ELb0EdNS0_19identity_decomposerEEEEE10hipError_tT0_T1_T2_jT3_P12ihipStream_tbPNSt15iterator_traitsISG_E10value_typeEPNSM_ISH_E10value_typeEPSI_NS1_7vsmem_tEENKUlT_SG_SH_SI_E_clIS7_S7_SB_PlEESF_SV_SG_SH_SI_EUlSV_E0_NS1_11comp_targetILNS1_3genE3ELNS1_11target_archE908ELNS1_3gpuE7ELNS1_3repE0EEENS1_38merge_mergepath_config_static_selectorELNS0_4arch9wavefront6targetE1EEEvSH_.kd
    .uniform_work_group_size: 1
    .uses_dynamic_stack: false
    .vgpr_count:     0
    .vgpr_spill_count: 0
    .wavefront_size: 64
  - .agpr_count:     0
    .args:
      - .offset:         0
        .size:           64
        .value_kind:     by_value
    .group_segment_fixed_size: 0
    .kernarg_segment_align: 8
    .kernarg_segment_size: 64
    .language:       OpenCL C
    .language_version:
      - 2
      - 0
    .max_flat_workgroup_size: 256
    .name:           _ZN7rocprim17ROCPRIM_400000_NS6detail17trampoline_kernelINS0_14default_configENS1_38merge_sort_block_merge_config_selectorIdlEEZZNS1_27merge_sort_block_merge_implIS3_PdN6thrust23THRUST_200600_302600_NS10device_ptrIlEEjNS1_19radix_merge_compareILb0ELb0EdNS0_19identity_decomposerEEEEE10hipError_tT0_T1_T2_jT3_P12ihipStream_tbPNSt15iterator_traitsISG_E10value_typeEPNSM_ISH_E10value_typeEPSI_NS1_7vsmem_tEENKUlT_SG_SH_SI_E_clIS7_S7_SB_PlEESF_SV_SG_SH_SI_EUlSV_E0_NS1_11comp_targetILNS1_3genE2ELNS1_11target_archE906ELNS1_3gpuE6ELNS1_3repE0EEENS1_38merge_mergepath_config_static_selectorELNS0_4arch9wavefront6targetE1EEEvSH_
    .private_segment_fixed_size: 0
    .sgpr_count:     4
    .sgpr_spill_count: 0
    .symbol:         _ZN7rocprim17ROCPRIM_400000_NS6detail17trampoline_kernelINS0_14default_configENS1_38merge_sort_block_merge_config_selectorIdlEEZZNS1_27merge_sort_block_merge_implIS3_PdN6thrust23THRUST_200600_302600_NS10device_ptrIlEEjNS1_19radix_merge_compareILb0ELb0EdNS0_19identity_decomposerEEEEE10hipError_tT0_T1_T2_jT3_P12ihipStream_tbPNSt15iterator_traitsISG_E10value_typeEPNSM_ISH_E10value_typeEPSI_NS1_7vsmem_tEENKUlT_SG_SH_SI_E_clIS7_S7_SB_PlEESF_SV_SG_SH_SI_EUlSV_E0_NS1_11comp_targetILNS1_3genE2ELNS1_11target_archE906ELNS1_3gpuE6ELNS1_3repE0EEENS1_38merge_mergepath_config_static_selectorELNS0_4arch9wavefront6targetE1EEEvSH_.kd
    .uniform_work_group_size: 1
    .uses_dynamic_stack: false
    .vgpr_count:     0
    .vgpr_spill_count: 0
    .wavefront_size: 64
  - .agpr_count:     0
    .args:
      - .offset:         0
        .size:           64
        .value_kind:     by_value
    .group_segment_fixed_size: 0
    .kernarg_segment_align: 8
    .kernarg_segment_size: 64
    .language:       OpenCL C
    .language_version:
      - 2
      - 0
    .max_flat_workgroup_size: 1024
    .name:           _ZN7rocprim17ROCPRIM_400000_NS6detail17trampoline_kernelINS0_14default_configENS1_38merge_sort_block_merge_config_selectorIdlEEZZNS1_27merge_sort_block_merge_implIS3_PdN6thrust23THRUST_200600_302600_NS10device_ptrIlEEjNS1_19radix_merge_compareILb0ELb0EdNS0_19identity_decomposerEEEEE10hipError_tT0_T1_T2_jT3_P12ihipStream_tbPNSt15iterator_traitsISG_E10value_typeEPNSM_ISH_E10value_typeEPSI_NS1_7vsmem_tEENKUlT_SG_SH_SI_E_clIS7_S7_SB_PlEESF_SV_SG_SH_SI_EUlSV_E0_NS1_11comp_targetILNS1_3genE9ELNS1_11target_archE1100ELNS1_3gpuE3ELNS1_3repE0EEENS1_38merge_mergepath_config_static_selectorELNS0_4arch9wavefront6targetE1EEEvSH_
    .private_segment_fixed_size: 0
    .sgpr_count:     4
    .sgpr_spill_count: 0
    .symbol:         _ZN7rocprim17ROCPRIM_400000_NS6detail17trampoline_kernelINS0_14default_configENS1_38merge_sort_block_merge_config_selectorIdlEEZZNS1_27merge_sort_block_merge_implIS3_PdN6thrust23THRUST_200600_302600_NS10device_ptrIlEEjNS1_19radix_merge_compareILb0ELb0EdNS0_19identity_decomposerEEEEE10hipError_tT0_T1_T2_jT3_P12ihipStream_tbPNSt15iterator_traitsISG_E10value_typeEPNSM_ISH_E10value_typeEPSI_NS1_7vsmem_tEENKUlT_SG_SH_SI_E_clIS7_S7_SB_PlEESF_SV_SG_SH_SI_EUlSV_E0_NS1_11comp_targetILNS1_3genE9ELNS1_11target_archE1100ELNS1_3gpuE3ELNS1_3repE0EEENS1_38merge_mergepath_config_static_selectorELNS0_4arch9wavefront6targetE1EEEvSH_.kd
    .uniform_work_group_size: 1
    .uses_dynamic_stack: false
    .vgpr_count:     0
    .vgpr_spill_count: 0
    .wavefront_size: 64
  - .agpr_count:     0
    .args:
      - .offset:         0
        .size:           64
        .value_kind:     by_value
    .group_segment_fixed_size: 0
    .kernarg_segment_align: 8
    .kernarg_segment_size: 64
    .language:       OpenCL C
    .language_version:
      - 2
      - 0
    .max_flat_workgroup_size: 1024
    .name:           _ZN7rocprim17ROCPRIM_400000_NS6detail17trampoline_kernelINS0_14default_configENS1_38merge_sort_block_merge_config_selectorIdlEEZZNS1_27merge_sort_block_merge_implIS3_PdN6thrust23THRUST_200600_302600_NS10device_ptrIlEEjNS1_19radix_merge_compareILb0ELb0EdNS0_19identity_decomposerEEEEE10hipError_tT0_T1_T2_jT3_P12ihipStream_tbPNSt15iterator_traitsISG_E10value_typeEPNSM_ISH_E10value_typeEPSI_NS1_7vsmem_tEENKUlT_SG_SH_SI_E_clIS7_S7_SB_PlEESF_SV_SG_SH_SI_EUlSV_E0_NS1_11comp_targetILNS1_3genE8ELNS1_11target_archE1030ELNS1_3gpuE2ELNS1_3repE0EEENS1_38merge_mergepath_config_static_selectorELNS0_4arch9wavefront6targetE1EEEvSH_
    .private_segment_fixed_size: 0
    .sgpr_count:     4
    .sgpr_spill_count: 0
    .symbol:         _ZN7rocprim17ROCPRIM_400000_NS6detail17trampoline_kernelINS0_14default_configENS1_38merge_sort_block_merge_config_selectorIdlEEZZNS1_27merge_sort_block_merge_implIS3_PdN6thrust23THRUST_200600_302600_NS10device_ptrIlEEjNS1_19radix_merge_compareILb0ELb0EdNS0_19identity_decomposerEEEEE10hipError_tT0_T1_T2_jT3_P12ihipStream_tbPNSt15iterator_traitsISG_E10value_typeEPNSM_ISH_E10value_typeEPSI_NS1_7vsmem_tEENKUlT_SG_SH_SI_E_clIS7_S7_SB_PlEESF_SV_SG_SH_SI_EUlSV_E0_NS1_11comp_targetILNS1_3genE8ELNS1_11target_archE1030ELNS1_3gpuE2ELNS1_3repE0EEENS1_38merge_mergepath_config_static_selectorELNS0_4arch9wavefront6targetE1EEEvSH_.kd
    .uniform_work_group_size: 1
    .uses_dynamic_stack: false
    .vgpr_count:     0
    .vgpr_spill_count: 0
    .wavefront_size: 64
  - .agpr_count:     0
    .args:
      - .offset:         0
        .size:           48
        .value_kind:     by_value
    .group_segment_fixed_size: 0
    .kernarg_segment_align: 8
    .kernarg_segment_size: 48
    .language:       OpenCL C
    .language_version:
      - 2
      - 0
    .max_flat_workgroup_size: 256
    .name:           _ZN7rocprim17ROCPRIM_400000_NS6detail17trampoline_kernelINS0_14default_configENS1_38merge_sort_block_merge_config_selectorIdlEEZZNS1_27merge_sort_block_merge_implIS3_PdN6thrust23THRUST_200600_302600_NS10device_ptrIlEEjNS1_19radix_merge_compareILb0ELb0EdNS0_19identity_decomposerEEEEE10hipError_tT0_T1_T2_jT3_P12ihipStream_tbPNSt15iterator_traitsISG_E10value_typeEPNSM_ISH_E10value_typeEPSI_NS1_7vsmem_tEENKUlT_SG_SH_SI_E_clIS7_S7_SB_PlEESF_SV_SG_SH_SI_EUlSV_E1_NS1_11comp_targetILNS1_3genE0ELNS1_11target_archE4294967295ELNS1_3gpuE0ELNS1_3repE0EEENS1_36merge_oddeven_config_static_selectorELNS0_4arch9wavefront6targetE1EEEvSH_
    .private_segment_fixed_size: 0
    .sgpr_count:     4
    .sgpr_spill_count: 0
    .symbol:         _ZN7rocprim17ROCPRIM_400000_NS6detail17trampoline_kernelINS0_14default_configENS1_38merge_sort_block_merge_config_selectorIdlEEZZNS1_27merge_sort_block_merge_implIS3_PdN6thrust23THRUST_200600_302600_NS10device_ptrIlEEjNS1_19radix_merge_compareILb0ELb0EdNS0_19identity_decomposerEEEEE10hipError_tT0_T1_T2_jT3_P12ihipStream_tbPNSt15iterator_traitsISG_E10value_typeEPNSM_ISH_E10value_typeEPSI_NS1_7vsmem_tEENKUlT_SG_SH_SI_E_clIS7_S7_SB_PlEESF_SV_SG_SH_SI_EUlSV_E1_NS1_11comp_targetILNS1_3genE0ELNS1_11target_archE4294967295ELNS1_3gpuE0ELNS1_3repE0EEENS1_36merge_oddeven_config_static_selectorELNS0_4arch9wavefront6targetE1EEEvSH_.kd
    .uniform_work_group_size: 1
    .uses_dynamic_stack: false
    .vgpr_count:     0
    .vgpr_spill_count: 0
    .wavefront_size: 64
  - .agpr_count:     0
    .args:
      - .offset:         0
        .size:           48
        .value_kind:     by_value
    .group_segment_fixed_size: 0
    .kernarg_segment_align: 8
    .kernarg_segment_size: 48
    .language:       OpenCL C
    .language_version:
      - 2
      - 0
    .max_flat_workgroup_size: 256
    .name:           _ZN7rocprim17ROCPRIM_400000_NS6detail17trampoline_kernelINS0_14default_configENS1_38merge_sort_block_merge_config_selectorIdlEEZZNS1_27merge_sort_block_merge_implIS3_PdN6thrust23THRUST_200600_302600_NS10device_ptrIlEEjNS1_19radix_merge_compareILb0ELb0EdNS0_19identity_decomposerEEEEE10hipError_tT0_T1_T2_jT3_P12ihipStream_tbPNSt15iterator_traitsISG_E10value_typeEPNSM_ISH_E10value_typeEPSI_NS1_7vsmem_tEENKUlT_SG_SH_SI_E_clIS7_S7_SB_PlEESF_SV_SG_SH_SI_EUlSV_E1_NS1_11comp_targetILNS1_3genE10ELNS1_11target_archE1201ELNS1_3gpuE5ELNS1_3repE0EEENS1_36merge_oddeven_config_static_selectorELNS0_4arch9wavefront6targetE1EEEvSH_
    .private_segment_fixed_size: 0
    .sgpr_count:     4
    .sgpr_spill_count: 0
    .symbol:         _ZN7rocprim17ROCPRIM_400000_NS6detail17trampoline_kernelINS0_14default_configENS1_38merge_sort_block_merge_config_selectorIdlEEZZNS1_27merge_sort_block_merge_implIS3_PdN6thrust23THRUST_200600_302600_NS10device_ptrIlEEjNS1_19radix_merge_compareILb0ELb0EdNS0_19identity_decomposerEEEEE10hipError_tT0_T1_T2_jT3_P12ihipStream_tbPNSt15iterator_traitsISG_E10value_typeEPNSM_ISH_E10value_typeEPSI_NS1_7vsmem_tEENKUlT_SG_SH_SI_E_clIS7_S7_SB_PlEESF_SV_SG_SH_SI_EUlSV_E1_NS1_11comp_targetILNS1_3genE10ELNS1_11target_archE1201ELNS1_3gpuE5ELNS1_3repE0EEENS1_36merge_oddeven_config_static_selectorELNS0_4arch9wavefront6targetE1EEEvSH_.kd
    .uniform_work_group_size: 1
    .uses_dynamic_stack: false
    .vgpr_count:     0
    .vgpr_spill_count: 0
    .wavefront_size: 64
  - .agpr_count:     0
    .args:
      - .offset:         0
        .size:           48
        .value_kind:     by_value
    .group_segment_fixed_size: 0
    .kernarg_segment_align: 8
    .kernarg_segment_size: 48
    .language:       OpenCL C
    .language_version:
      - 2
      - 0
    .max_flat_workgroup_size: 256
    .name:           _ZN7rocprim17ROCPRIM_400000_NS6detail17trampoline_kernelINS0_14default_configENS1_38merge_sort_block_merge_config_selectorIdlEEZZNS1_27merge_sort_block_merge_implIS3_PdN6thrust23THRUST_200600_302600_NS10device_ptrIlEEjNS1_19radix_merge_compareILb0ELb0EdNS0_19identity_decomposerEEEEE10hipError_tT0_T1_T2_jT3_P12ihipStream_tbPNSt15iterator_traitsISG_E10value_typeEPNSM_ISH_E10value_typeEPSI_NS1_7vsmem_tEENKUlT_SG_SH_SI_E_clIS7_S7_SB_PlEESF_SV_SG_SH_SI_EUlSV_E1_NS1_11comp_targetILNS1_3genE5ELNS1_11target_archE942ELNS1_3gpuE9ELNS1_3repE0EEENS1_36merge_oddeven_config_static_selectorELNS0_4arch9wavefront6targetE1EEEvSH_
    .private_segment_fixed_size: 0
    .sgpr_count:     4
    .sgpr_spill_count: 0
    .symbol:         _ZN7rocprim17ROCPRIM_400000_NS6detail17trampoline_kernelINS0_14default_configENS1_38merge_sort_block_merge_config_selectorIdlEEZZNS1_27merge_sort_block_merge_implIS3_PdN6thrust23THRUST_200600_302600_NS10device_ptrIlEEjNS1_19radix_merge_compareILb0ELb0EdNS0_19identity_decomposerEEEEE10hipError_tT0_T1_T2_jT3_P12ihipStream_tbPNSt15iterator_traitsISG_E10value_typeEPNSM_ISH_E10value_typeEPSI_NS1_7vsmem_tEENKUlT_SG_SH_SI_E_clIS7_S7_SB_PlEESF_SV_SG_SH_SI_EUlSV_E1_NS1_11comp_targetILNS1_3genE5ELNS1_11target_archE942ELNS1_3gpuE9ELNS1_3repE0EEENS1_36merge_oddeven_config_static_selectorELNS0_4arch9wavefront6targetE1EEEvSH_.kd
    .uniform_work_group_size: 1
    .uses_dynamic_stack: false
    .vgpr_count:     0
    .vgpr_spill_count: 0
    .wavefront_size: 64
  - .agpr_count:     0
    .args:
      - .offset:         0
        .size:           48
        .value_kind:     by_value
    .group_segment_fixed_size: 0
    .kernarg_segment_align: 8
    .kernarg_segment_size: 48
    .language:       OpenCL C
    .language_version:
      - 2
      - 0
    .max_flat_workgroup_size: 256
    .name:           _ZN7rocprim17ROCPRIM_400000_NS6detail17trampoline_kernelINS0_14default_configENS1_38merge_sort_block_merge_config_selectorIdlEEZZNS1_27merge_sort_block_merge_implIS3_PdN6thrust23THRUST_200600_302600_NS10device_ptrIlEEjNS1_19radix_merge_compareILb0ELb0EdNS0_19identity_decomposerEEEEE10hipError_tT0_T1_T2_jT3_P12ihipStream_tbPNSt15iterator_traitsISG_E10value_typeEPNSM_ISH_E10value_typeEPSI_NS1_7vsmem_tEENKUlT_SG_SH_SI_E_clIS7_S7_SB_PlEESF_SV_SG_SH_SI_EUlSV_E1_NS1_11comp_targetILNS1_3genE4ELNS1_11target_archE910ELNS1_3gpuE8ELNS1_3repE0EEENS1_36merge_oddeven_config_static_selectorELNS0_4arch9wavefront6targetE1EEEvSH_
    .private_segment_fixed_size: 0
    .sgpr_count:     28
    .sgpr_spill_count: 0
    .symbol:         _ZN7rocprim17ROCPRIM_400000_NS6detail17trampoline_kernelINS0_14default_configENS1_38merge_sort_block_merge_config_selectorIdlEEZZNS1_27merge_sort_block_merge_implIS3_PdN6thrust23THRUST_200600_302600_NS10device_ptrIlEEjNS1_19radix_merge_compareILb0ELb0EdNS0_19identity_decomposerEEEEE10hipError_tT0_T1_T2_jT3_P12ihipStream_tbPNSt15iterator_traitsISG_E10value_typeEPNSM_ISH_E10value_typeEPSI_NS1_7vsmem_tEENKUlT_SG_SH_SI_E_clIS7_S7_SB_PlEESF_SV_SG_SH_SI_EUlSV_E1_NS1_11comp_targetILNS1_3genE4ELNS1_11target_archE910ELNS1_3gpuE8ELNS1_3repE0EEENS1_36merge_oddeven_config_static_selectorELNS0_4arch9wavefront6targetE1EEEvSH_.kd
    .uniform_work_group_size: 1
    .uses_dynamic_stack: false
    .vgpr_count:     17
    .vgpr_spill_count: 0
    .wavefront_size: 64
  - .agpr_count:     0
    .args:
      - .offset:         0
        .size:           48
        .value_kind:     by_value
    .group_segment_fixed_size: 0
    .kernarg_segment_align: 8
    .kernarg_segment_size: 48
    .language:       OpenCL C
    .language_version:
      - 2
      - 0
    .max_flat_workgroup_size: 256
    .name:           _ZN7rocprim17ROCPRIM_400000_NS6detail17trampoline_kernelINS0_14default_configENS1_38merge_sort_block_merge_config_selectorIdlEEZZNS1_27merge_sort_block_merge_implIS3_PdN6thrust23THRUST_200600_302600_NS10device_ptrIlEEjNS1_19radix_merge_compareILb0ELb0EdNS0_19identity_decomposerEEEEE10hipError_tT0_T1_T2_jT3_P12ihipStream_tbPNSt15iterator_traitsISG_E10value_typeEPNSM_ISH_E10value_typeEPSI_NS1_7vsmem_tEENKUlT_SG_SH_SI_E_clIS7_S7_SB_PlEESF_SV_SG_SH_SI_EUlSV_E1_NS1_11comp_targetILNS1_3genE3ELNS1_11target_archE908ELNS1_3gpuE7ELNS1_3repE0EEENS1_36merge_oddeven_config_static_selectorELNS0_4arch9wavefront6targetE1EEEvSH_
    .private_segment_fixed_size: 0
    .sgpr_count:     4
    .sgpr_spill_count: 0
    .symbol:         _ZN7rocprim17ROCPRIM_400000_NS6detail17trampoline_kernelINS0_14default_configENS1_38merge_sort_block_merge_config_selectorIdlEEZZNS1_27merge_sort_block_merge_implIS3_PdN6thrust23THRUST_200600_302600_NS10device_ptrIlEEjNS1_19radix_merge_compareILb0ELb0EdNS0_19identity_decomposerEEEEE10hipError_tT0_T1_T2_jT3_P12ihipStream_tbPNSt15iterator_traitsISG_E10value_typeEPNSM_ISH_E10value_typeEPSI_NS1_7vsmem_tEENKUlT_SG_SH_SI_E_clIS7_S7_SB_PlEESF_SV_SG_SH_SI_EUlSV_E1_NS1_11comp_targetILNS1_3genE3ELNS1_11target_archE908ELNS1_3gpuE7ELNS1_3repE0EEENS1_36merge_oddeven_config_static_selectorELNS0_4arch9wavefront6targetE1EEEvSH_.kd
    .uniform_work_group_size: 1
    .uses_dynamic_stack: false
    .vgpr_count:     0
    .vgpr_spill_count: 0
    .wavefront_size: 64
  - .agpr_count:     0
    .args:
      - .offset:         0
        .size:           48
        .value_kind:     by_value
    .group_segment_fixed_size: 0
    .kernarg_segment_align: 8
    .kernarg_segment_size: 48
    .language:       OpenCL C
    .language_version:
      - 2
      - 0
    .max_flat_workgroup_size: 256
    .name:           _ZN7rocprim17ROCPRIM_400000_NS6detail17trampoline_kernelINS0_14default_configENS1_38merge_sort_block_merge_config_selectorIdlEEZZNS1_27merge_sort_block_merge_implIS3_PdN6thrust23THRUST_200600_302600_NS10device_ptrIlEEjNS1_19radix_merge_compareILb0ELb0EdNS0_19identity_decomposerEEEEE10hipError_tT0_T1_T2_jT3_P12ihipStream_tbPNSt15iterator_traitsISG_E10value_typeEPNSM_ISH_E10value_typeEPSI_NS1_7vsmem_tEENKUlT_SG_SH_SI_E_clIS7_S7_SB_PlEESF_SV_SG_SH_SI_EUlSV_E1_NS1_11comp_targetILNS1_3genE2ELNS1_11target_archE906ELNS1_3gpuE6ELNS1_3repE0EEENS1_36merge_oddeven_config_static_selectorELNS0_4arch9wavefront6targetE1EEEvSH_
    .private_segment_fixed_size: 0
    .sgpr_count:     4
    .sgpr_spill_count: 0
    .symbol:         _ZN7rocprim17ROCPRIM_400000_NS6detail17trampoline_kernelINS0_14default_configENS1_38merge_sort_block_merge_config_selectorIdlEEZZNS1_27merge_sort_block_merge_implIS3_PdN6thrust23THRUST_200600_302600_NS10device_ptrIlEEjNS1_19radix_merge_compareILb0ELb0EdNS0_19identity_decomposerEEEEE10hipError_tT0_T1_T2_jT3_P12ihipStream_tbPNSt15iterator_traitsISG_E10value_typeEPNSM_ISH_E10value_typeEPSI_NS1_7vsmem_tEENKUlT_SG_SH_SI_E_clIS7_S7_SB_PlEESF_SV_SG_SH_SI_EUlSV_E1_NS1_11comp_targetILNS1_3genE2ELNS1_11target_archE906ELNS1_3gpuE6ELNS1_3repE0EEENS1_36merge_oddeven_config_static_selectorELNS0_4arch9wavefront6targetE1EEEvSH_.kd
    .uniform_work_group_size: 1
    .uses_dynamic_stack: false
    .vgpr_count:     0
    .vgpr_spill_count: 0
    .wavefront_size: 64
  - .agpr_count:     0
    .args:
      - .offset:         0
        .size:           48
        .value_kind:     by_value
    .group_segment_fixed_size: 0
    .kernarg_segment_align: 8
    .kernarg_segment_size: 48
    .language:       OpenCL C
    .language_version:
      - 2
      - 0
    .max_flat_workgroup_size: 256
    .name:           _ZN7rocprim17ROCPRIM_400000_NS6detail17trampoline_kernelINS0_14default_configENS1_38merge_sort_block_merge_config_selectorIdlEEZZNS1_27merge_sort_block_merge_implIS3_PdN6thrust23THRUST_200600_302600_NS10device_ptrIlEEjNS1_19radix_merge_compareILb0ELb0EdNS0_19identity_decomposerEEEEE10hipError_tT0_T1_T2_jT3_P12ihipStream_tbPNSt15iterator_traitsISG_E10value_typeEPNSM_ISH_E10value_typeEPSI_NS1_7vsmem_tEENKUlT_SG_SH_SI_E_clIS7_S7_SB_PlEESF_SV_SG_SH_SI_EUlSV_E1_NS1_11comp_targetILNS1_3genE9ELNS1_11target_archE1100ELNS1_3gpuE3ELNS1_3repE0EEENS1_36merge_oddeven_config_static_selectorELNS0_4arch9wavefront6targetE1EEEvSH_
    .private_segment_fixed_size: 0
    .sgpr_count:     4
    .sgpr_spill_count: 0
    .symbol:         _ZN7rocprim17ROCPRIM_400000_NS6detail17trampoline_kernelINS0_14default_configENS1_38merge_sort_block_merge_config_selectorIdlEEZZNS1_27merge_sort_block_merge_implIS3_PdN6thrust23THRUST_200600_302600_NS10device_ptrIlEEjNS1_19radix_merge_compareILb0ELb0EdNS0_19identity_decomposerEEEEE10hipError_tT0_T1_T2_jT3_P12ihipStream_tbPNSt15iterator_traitsISG_E10value_typeEPNSM_ISH_E10value_typeEPSI_NS1_7vsmem_tEENKUlT_SG_SH_SI_E_clIS7_S7_SB_PlEESF_SV_SG_SH_SI_EUlSV_E1_NS1_11comp_targetILNS1_3genE9ELNS1_11target_archE1100ELNS1_3gpuE3ELNS1_3repE0EEENS1_36merge_oddeven_config_static_selectorELNS0_4arch9wavefront6targetE1EEEvSH_.kd
    .uniform_work_group_size: 1
    .uses_dynamic_stack: false
    .vgpr_count:     0
    .vgpr_spill_count: 0
    .wavefront_size: 64
  - .agpr_count:     0
    .args:
      - .offset:         0
        .size:           48
        .value_kind:     by_value
    .group_segment_fixed_size: 0
    .kernarg_segment_align: 8
    .kernarg_segment_size: 48
    .language:       OpenCL C
    .language_version:
      - 2
      - 0
    .max_flat_workgroup_size: 256
    .name:           _ZN7rocprim17ROCPRIM_400000_NS6detail17trampoline_kernelINS0_14default_configENS1_38merge_sort_block_merge_config_selectorIdlEEZZNS1_27merge_sort_block_merge_implIS3_PdN6thrust23THRUST_200600_302600_NS10device_ptrIlEEjNS1_19radix_merge_compareILb0ELb0EdNS0_19identity_decomposerEEEEE10hipError_tT0_T1_T2_jT3_P12ihipStream_tbPNSt15iterator_traitsISG_E10value_typeEPNSM_ISH_E10value_typeEPSI_NS1_7vsmem_tEENKUlT_SG_SH_SI_E_clIS7_S7_SB_PlEESF_SV_SG_SH_SI_EUlSV_E1_NS1_11comp_targetILNS1_3genE8ELNS1_11target_archE1030ELNS1_3gpuE2ELNS1_3repE0EEENS1_36merge_oddeven_config_static_selectorELNS0_4arch9wavefront6targetE1EEEvSH_
    .private_segment_fixed_size: 0
    .sgpr_count:     4
    .sgpr_spill_count: 0
    .symbol:         _ZN7rocprim17ROCPRIM_400000_NS6detail17trampoline_kernelINS0_14default_configENS1_38merge_sort_block_merge_config_selectorIdlEEZZNS1_27merge_sort_block_merge_implIS3_PdN6thrust23THRUST_200600_302600_NS10device_ptrIlEEjNS1_19radix_merge_compareILb0ELb0EdNS0_19identity_decomposerEEEEE10hipError_tT0_T1_T2_jT3_P12ihipStream_tbPNSt15iterator_traitsISG_E10value_typeEPNSM_ISH_E10value_typeEPSI_NS1_7vsmem_tEENKUlT_SG_SH_SI_E_clIS7_S7_SB_PlEESF_SV_SG_SH_SI_EUlSV_E1_NS1_11comp_targetILNS1_3genE8ELNS1_11target_archE1030ELNS1_3gpuE2ELNS1_3repE0EEENS1_36merge_oddeven_config_static_selectorELNS0_4arch9wavefront6targetE1EEEvSH_.kd
    .uniform_work_group_size: 1
    .uses_dynamic_stack: false
    .vgpr_count:     0
    .vgpr_spill_count: 0
    .wavefront_size: 64
  - .agpr_count:     0
    .args:
      - .offset:         0
        .size:           40
        .value_kind:     by_value
    .group_segment_fixed_size: 0
    .kernarg_segment_align: 8
    .kernarg_segment_size: 40
    .language:       OpenCL C
    .language_version:
      - 2
      - 0
    .max_flat_workgroup_size: 128
    .name:           _ZN7rocprim17ROCPRIM_400000_NS6detail17trampoline_kernelINS0_14default_configENS1_25transform_config_selectorIdLb1EEEZNS1_14transform_implILb1ES3_S5_PdS7_NS0_8identityIdEEEE10hipError_tT2_T3_mT4_P12ihipStream_tbEUlT_E_NS1_11comp_targetILNS1_3genE0ELNS1_11target_archE4294967295ELNS1_3gpuE0ELNS1_3repE0EEENS1_30default_config_static_selectorELNS0_4arch9wavefront6targetE1EEEvT1_
    .private_segment_fixed_size: 0
    .sgpr_count:     4
    .sgpr_spill_count: 0
    .symbol:         _ZN7rocprim17ROCPRIM_400000_NS6detail17trampoline_kernelINS0_14default_configENS1_25transform_config_selectorIdLb1EEEZNS1_14transform_implILb1ES3_S5_PdS7_NS0_8identityIdEEEE10hipError_tT2_T3_mT4_P12ihipStream_tbEUlT_E_NS1_11comp_targetILNS1_3genE0ELNS1_11target_archE4294967295ELNS1_3gpuE0ELNS1_3repE0EEENS1_30default_config_static_selectorELNS0_4arch9wavefront6targetE1EEEvT1_.kd
    .uniform_work_group_size: 1
    .uses_dynamic_stack: false
    .vgpr_count:     0
    .vgpr_spill_count: 0
    .wavefront_size: 64
  - .agpr_count:     0
    .args:
      - .offset:         0
        .size:           40
        .value_kind:     by_value
    .group_segment_fixed_size: 0
    .kernarg_segment_align: 8
    .kernarg_segment_size: 40
    .language:       OpenCL C
    .language_version:
      - 2
      - 0
    .max_flat_workgroup_size: 1024
    .name:           _ZN7rocprim17ROCPRIM_400000_NS6detail17trampoline_kernelINS0_14default_configENS1_25transform_config_selectorIdLb1EEEZNS1_14transform_implILb1ES3_S5_PdS7_NS0_8identityIdEEEE10hipError_tT2_T3_mT4_P12ihipStream_tbEUlT_E_NS1_11comp_targetILNS1_3genE10ELNS1_11target_archE1201ELNS1_3gpuE5ELNS1_3repE0EEENS1_30default_config_static_selectorELNS0_4arch9wavefront6targetE1EEEvT1_
    .private_segment_fixed_size: 0
    .sgpr_count:     4
    .sgpr_spill_count: 0
    .symbol:         _ZN7rocprim17ROCPRIM_400000_NS6detail17trampoline_kernelINS0_14default_configENS1_25transform_config_selectorIdLb1EEEZNS1_14transform_implILb1ES3_S5_PdS7_NS0_8identityIdEEEE10hipError_tT2_T3_mT4_P12ihipStream_tbEUlT_E_NS1_11comp_targetILNS1_3genE10ELNS1_11target_archE1201ELNS1_3gpuE5ELNS1_3repE0EEENS1_30default_config_static_selectorELNS0_4arch9wavefront6targetE1EEEvT1_.kd
    .uniform_work_group_size: 1
    .uses_dynamic_stack: false
    .vgpr_count:     0
    .vgpr_spill_count: 0
    .wavefront_size: 64
  - .agpr_count:     0
    .args:
      - .offset:         0
        .size:           40
        .value_kind:     by_value
    .group_segment_fixed_size: 0
    .kernarg_segment_align: 8
    .kernarg_segment_size: 40
    .language:       OpenCL C
    .language_version:
      - 2
      - 0
    .max_flat_workgroup_size: 1024
    .name:           _ZN7rocprim17ROCPRIM_400000_NS6detail17trampoline_kernelINS0_14default_configENS1_25transform_config_selectorIdLb1EEEZNS1_14transform_implILb1ES3_S5_PdS7_NS0_8identityIdEEEE10hipError_tT2_T3_mT4_P12ihipStream_tbEUlT_E_NS1_11comp_targetILNS1_3genE5ELNS1_11target_archE942ELNS1_3gpuE9ELNS1_3repE0EEENS1_30default_config_static_selectorELNS0_4arch9wavefront6targetE1EEEvT1_
    .private_segment_fixed_size: 0
    .sgpr_count:     4
    .sgpr_spill_count: 0
    .symbol:         _ZN7rocprim17ROCPRIM_400000_NS6detail17trampoline_kernelINS0_14default_configENS1_25transform_config_selectorIdLb1EEEZNS1_14transform_implILb1ES3_S5_PdS7_NS0_8identityIdEEEE10hipError_tT2_T3_mT4_P12ihipStream_tbEUlT_E_NS1_11comp_targetILNS1_3genE5ELNS1_11target_archE942ELNS1_3gpuE9ELNS1_3repE0EEENS1_30default_config_static_selectorELNS0_4arch9wavefront6targetE1EEEvT1_.kd
    .uniform_work_group_size: 1
    .uses_dynamic_stack: false
    .vgpr_count:     0
    .vgpr_spill_count: 0
    .wavefront_size: 64
  - .agpr_count:     0
    .args:
      - .offset:         0
        .size:           40
        .value_kind:     by_value
      - .offset:         40
        .size:           4
        .value_kind:     hidden_block_count_x
      - .offset:         44
        .size:           4
        .value_kind:     hidden_block_count_y
      - .offset:         48
        .size:           4
        .value_kind:     hidden_block_count_z
      - .offset:         52
        .size:           2
        .value_kind:     hidden_group_size_x
      - .offset:         54
        .size:           2
        .value_kind:     hidden_group_size_y
      - .offset:         56
        .size:           2
        .value_kind:     hidden_group_size_z
      - .offset:         58
        .size:           2
        .value_kind:     hidden_remainder_x
      - .offset:         60
        .size:           2
        .value_kind:     hidden_remainder_y
      - .offset:         62
        .size:           2
        .value_kind:     hidden_remainder_z
      - .offset:         80
        .size:           8
        .value_kind:     hidden_global_offset_x
      - .offset:         88
        .size:           8
        .value_kind:     hidden_global_offset_y
      - .offset:         96
        .size:           8
        .value_kind:     hidden_global_offset_z
      - .offset:         104
        .size:           2
        .value_kind:     hidden_grid_dims
    .group_segment_fixed_size: 0
    .kernarg_segment_align: 8
    .kernarg_segment_size: 296
    .language:       OpenCL C
    .language_version:
      - 2
      - 0
    .max_flat_workgroup_size: 1024
    .name:           _ZN7rocprim17ROCPRIM_400000_NS6detail17trampoline_kernelINS0_14default_configENS1_25transform_config_selectorIdLb1EEEZNS1_14transform_implILb1ES3_S5_PdS7_NS0_8identityIdEEEE10hipError_tT2_T3_mT4_P12ihipStream_tbEUlT_E_NS1_11comp_targetILNS1_3genE4ELNS1_11target_archE910ELNS1_3gpuE8ELNS1_3repE0EEENS1_30default_config_static_selectorELNS0_4arch9wavefront6targetE1EEEvT1_
    .private_segment_fixed_size: 0
    .sgpr_count:     20
    .sgpr_spill_count: 0
    .symbol:         _ZN7rocprim17ROCPRIM_400000_NS6detail17trampoline_kernelINS0_14default_configENS1_25transform_config_selectorIdLb1EEEZNS1_14transform_implILb1ES3_S5_PdS7_NS0_8identityIdEEEE10hipError_tT2_T3_mT4_P12ihipStream_tbEUlT_E_NS1_11comp_targetILNS1_3genE4ELNS1_11target_archE910ELNS1_3gpuE8ELNS1_3repE0EEENS1_30default_config_static_selectorELNS0_4arch9wavefront6targetE1EEEvT1_.kd
    .uniform_work_group_size: 1
    .uses_dynamic_stack: false
    .vgpr_count:     7
    .vgpr_spill_count: 0
    .wavefront_size: 64
  - .agpr_count:     0
    .args:
      - .offset:         0
        .size:           40
        .value_kind:     by_value
    .group_segment_fixed_size: 0
    .kernarg_segment_align: 8
    .kernarg_segment_size: 40
    .language:       OpenCL C
    .language_version:
      - 2
      - 0
    .max_flat_workgroup_size: 128
    .name:           _ZN7rocprim17ROCPRIM_400000_NS6detail17trampoline_kernelINS0_14default_configENS1_25transform_config_selectorIdLb1EEEZNS1_14transform_implILb1ES3_S5_PdS7_NS0_8identityIdEEEE10hipError_tT2_T3_mT4_P12ihipStream_tbEUlT_E_NS1_11comp_targetILNS1_3genE3ELNS1_11target_archE908ELNS1_3gpuE7ELNS1_3repE0EEENS1_30default_config_static_selectorELNS0_4arch9wavefront6targetE1EEEvT1_
    .private_segment_fixed_size: 0
    .sgpr_count:     4
    .sgpr_spill_count: 0
    .symbol:         _ZN7rocprim17ROCPRIM_400000_NS6detail17trampoline_kernelINS0_14default_configENS1_25transform_config_selectorIdLb1EEEZNS1_14transform_implILb1ES3_S5_PdS7_NS0_8identityIdEEEE10hipError_tT2_T3_mT4_P12ihipStream_tbEUlT_E_NS1_11comp_targetILNS1_3genE3ELNS1_11target_archE908ELNS1_3gpuE7ELNS1_3repE0EEENS1_30default_config_static_selectorELNS0_4arch9wavefront6targetE1EEEvT1_.kd
    .uniform_work_group_size: 1
    .uses_dynamic_stack: false
    .vgpr_count:     0
    .vgpr_spill_count: 0
    .wavefront_size: 64
  - .agpr_count:     0
    .args:
      - .offset:         0
        .size:           40
        .value_kind:     by_value
    .group_segment_fixed_size: 0
    .kernarg_segment_align: 8
    .kernarg_segment_size: 40
    .language:       OpenCL C
    .language_version:
      - 2
      - 0
    .max_flat_workgroup_size: 1024
    .name:           _ZN7rocprim17ROCPRIM_400000_NS6detail17trampoline_kernelINS0_14default_configENS1_25transform_config_selectorIdLb1EEEZNS1_14transform_implILb1ES3_S5_PdS7_NS0_8identityIdEEEE10hipError_tT2_T3_mT4_P12ihipStream_tbEUlT_E_NS1_11comp_targetILNS1_3genE2ELNS1_11target_archE906ELNS1_3gpuE6ELNS1_3repE0EEENS1_30default_config_static_selectorELNS0_4arch9wavefront6targetE1EEEvT1_
    .private_segment_fixed_size: 0
    .sgpr_count:     4
    .sgpr_spill_count: 0
    .symbol:         _ZN7rocprim17ROCPRIM_400000_NS6detail17trampoline_kernelINS0_14default_configENS1_25transform_config_selectorIdLb1EEEZNS1_14transform_implILb1ES3_S5_PdS7_NS0_8identityIdEEEE10hipError_tT2_T3_mT4_P12ihipStream_tbEUlT_E_NS1_11comp_targetILNS1_3genE2ELNS1_11target_archE906ELNS1_3gpuE6ELNS1_3repE0EEENS1_30default_config_static_selectorELNS0_4arch9wavefront6targetE1EEEvT1_.kd
    .uniform_work_group_size: 1
    .uses_dynamic_stack: false
    .vgpr_count:     0
    .vgpr_spill_count: 0
    .wavefront_size: 64
  - .agpr_count:     0
    .args:
      - .offset:         0
        .size:           40
        .value_kind:     by_value
    .group_segment_fixed_size: 0
    .kernarg_segment_align: 8
    .kernarg_segment_size: 40
    .language:       OpenCL C
    .language_version:
      - 2
      - 0
    .max_flat_workgroup_size: 1024
    .name:           _ZN7rocprim17ROCPRIM_400000_NS6detail17trampoline_kernelINS0_14default_configENS1_25transform_config_selectorIdLb1EEEZNS1_14transform_implILb1ES3_S5_PdS7_NS0_8identityIdEEEE10hipError_tT2_T3_mT4_P12ihipStream_tbEUlT_E_NS1_11comp_targetILNS1_3genE9ELNS1_11target_archE1100ELNS1_3gpuE3ELNS1_3repE0EEENS1_30default_config_static_selectorELNS0_4arch9wavefront6targetE1EEEvT1_
    .private_segment_fixed_size: 0
    .sgpr_count:     4
    .sgpr_spill_count: 0
    .symbol:         _ZN7rocprim17ROCPRIM_400000_NS6detail17trampoline_kernelINS0_14default_configENS1_25transform_config_selectorIdLb1EEEZNS1_14transform_implILb1ES3_S5_PdS7_NS0_8identityIdEEEE10hipError_tT2_T3_mT4_P12ihipStream_tbEUlT_E_NS1_11comp_targetILNS1_3genE9ELNS1_11target_archE1100ELNS1_3gpuE3ELNS1_3repE0EEENS1_30default_config_static_selectorELNS0_4arch9wavefront6targetE1EEEvT1_.kd
    .uniform_work_group_size: 1
    .uses_dynamic_stack: false
    .vgpr_count:     0
    .vgpr_spill_count: 0
    .wavefront_size: 64
  - .agpr_count:     0
    .args:
      - .offset:         0
        .size:           40
        .value_kind:     by_value
    .group_segment_fixed_size: 0
    .kernarg_segment_align: 8
    .kernarg_segment_size: 40
    .language:       OpenCL C
    .language_version:
      - 2
      - 0
    .max_flat_workgroup_size: 1024
    .name:           _ZN7rocprim17ROCPRIM_400000_NS6detail17trampoline_kernelINS0_14default_configENS1_25transform_config_selectorIdLb1EEEZNS1_14transform_implILb1ES3_S5_PdS7_NS0_8identityIdEEEE10hipError_tT2_T3_mT4_P12ihipStream_tbEUlT_E_NS1_11comp_targetILNS1_3genE8ELNS1_11target_archE1030ELNS1_3gpuE2ELNS1_3repE0EEENS1_30default_config_static_selectorELNS0_4arch9wavefront6targetE1EEEvT1_
    .private_segment_fixed_size: 0
    .sgpr_count:     4
    .sgpr_spill_count: 0
    .symbol:         _ZN7rocprim17ROCPRIM_400000_NS6detail17trampoline_kernelINS0_14default_configENS1_25transform_config_selectorIdLb1EEEZNS1_14transform_implILb1ES3_S5_PdS7_NS0_8identityIdEEEE10hipError_tT2_T3_mT4_P12ihipStream_tbEUlT_E_NS1_11comp_targetILNS1_3genE8ELNS1_11target_archE1030ELNS1_3gpuE2ELNS1_3repE0EEENS1_30default_config_static_selectorELNS0_4arch9wavefront6targetE1EEEvT1_.kd
    .uniform_work_group_size: 1
    .uses_dynamic_stack: false
    .vgpr_count:     0
    .vgpr_spill_count: 0
    .wavefront_size: 64
  - .agpr_count:     0
    .args:
      - .offset:         0
        .size:           40
        .value_kind:     by_value
    .group_segment_fixed_size: 0
    .kernarg_segment_align: 8
    .kernarg_segment_size: 40
    .language:       OpenCL C
    .language_version:
      - 2
      - 0
    .max_flat_workgroup_size: 512
    .name:           _ZN7rocprim17ROCPRIM_400000_NS6detail17trampoline_kernelINS0_14default_configENS1_35radix_sort_onesweep_config_selectorIdlEEZNS1_34radix_sort_onesweep_global_offsetsIS3_Lb0EPdN6thrust23THRUST_200600_302600_NS10device_ptrIlEEjNS0_19identity_decomposerEEE10hipError_tT1_T2_PT3_SG_jT4_jjP12ihipStream_tbEUlT_E_NS1_11comp_targetILNS1_3genE0ELNS1_11target_archE4294967295ELNS1_3gpuE0ELNS1_3repE0EEENS1_52radix_sort_onesweep_histogram_config_static_selectorELNS0_4arch9wavefront6targetE1EEEvSE_
    .private_segment_fixed_size: 0
    .sgpr_count:     4
    .sgpr_spill_count: 0
    .symbol:         _ZN7rocprim17ROCPRIM_400000_NS6detail17trampoline_kernelINS0_14default_configENS1_35radix_sort_onesweep_config_selectorIdlEEZNS1_34radix_sort_onesweep_global_offsetsIS3_Lb0EPdN6thrust23THRUST_200600_302600_NS10device_ptrIlEEjNS0_19identity_decomposerEEE10hipError_tT1_T2_PT3_SG_jT4_jjP12ihipStream_tbEUlT_E_NS1_11comp_targetILNS1_3genE0ELNS1_11target_archE4294967295ELNS1_3gpuE0ELNS1_3repE0EEENS1_52radix_sort_onesweep_histogram_config_static_selectorELNS0_4arch9wavefront6targetE1EEEvSE_.kd
    .uniform_work_group_size: 1
    .uses_dynamic_stack: false
    .vgpr_count:     0
    .vgpr_spill_count: 0
    .wavefront_size: 64
  - .agpr_count:     0
    .args:
      - .offset:         0
        .size:           40
        .value_kind:     by_value
    .group_segment_fixed_size: 0
    .kernarg_segment_align: 8
    .kernarg_segment_size: 40
    .language:       OpenCL C
    .language_version:
      - 2
      - 0
    .max_flat_workgroup_size: 1024
    .name:           _ZN7rocprim17ROCPRIM_400000_NS6detail17trampoline_kernelINS0_14default_configENS1_35radix_sort_onesweep_config_selectorIdlEEZNS1_34radix_sort_onesweep_global_offsetsIS3_Lb0EPdN6thrust23THRUST_200600_302600_NS10device_ptrIlEEjNS0_19identity_decomposerEEE10hipError_tT1_T2_PT3_SG_jT4_jjP12ihipStream_tbEUlT_E_NS1_11comp_targetILNS1_3genE6ELNS1_11target_archE950ELNS1_3gpuE13ELNS1_3repE0EEENS1_52radix_sort_onesweep_histogram_config_static_selectorELNS0_4arch9wavefront6targetE1EEEvSE_
    .private_segment_fixed_size: 0
    .sgpr_count:     4
    .sgpr_spill_count: 0
    .symbol:         _ZN7rocprim17ROCPRIM_400000_NS6detail17trampoline_kernelINS0_14default_configENS1_35radix_sort_onesweep_config_selectorIdlEEZNS1_34radix_sort_onesweep_global_offsetsIS3_Lb0EPdN6thrust23THRUST_200600_302600_NS10device_ptrIlEEjNS0_19identity_decomposerEEE10hipError_tT1_T2_PT3_SG_jT4_jjP12ihipStream_tbEUlT_E_NS1_11comp_targetILNS1_3genE6ELNS1_11target_archE950ELNS1_3gpuE13ELNS1_3repE0EEENS1_52radix_sort_onesweep_histogram_config_static_selectorELNS0_4arch9wavefront6targetE1EEEvSE_.kd
    .uniform_work_group_size: 1
    .uses_dynamic_stack: false
    .vgpr_count:     0
    .vgpr_spill_count: 0
    .wavefront_size: 64
  - .agpr_count:     0
    .args:
      - .offset:         0
        .size:           40
        .value_kind:     by_value
    .group_segment_fixed_size: 0
    .kernarg_segment_align: 8
    .kernarg_segment_size: 40
    .language:       OpenCL C
    .language_version:
      - 2
      - 0
    .max_flat_workgroup_size: 1024
    .name:           _ZN7rocprim17ROCPRIM_400000_NS6detail17trampoline_kernelINS0_14default_configENS1_35radix_sort_onesweep_config_selectorIdlEEZNS1_34radix_sort_onesweep_global_offsetsIS3_Lb0EPdN6thrust23THRUST_200600_302600_NS10device_ptrIlEEjNS0_19identity_decomposerEEE10hipError_tT1_T2_PT3_SG_jT4_jjP12ihipStream_tbEUlT_E_NS1_11comp_targetILNS1_3genE5ELNS1_11target_archE942ELNS1_3gpuE9ELNS1_3repE0EEENS1_52radix_sort_onesweep_histogram_config_static_selectorELNS0_4arch9wavefront6targetE1EEEvSE_
    .private_segment_fixed_size: 0
    .sgpr_count:     4
    .sgpr_spill_count: 0
    .symbol:         _ZN7rocprim17ROCPRIM_400000_NS6detail17trampoline_kernelINS0_14default_configENS1_35radix_sort_onesweep_config_selectorIdlEEZNS1_34radix_sort_onesweep_global_offsetsIS3_Lb0EPdN6thrust23THRUST_200600_302600_NS10device_ptrIlEEjNS0_19identity_decomposerEEE10hipError_tT1_T2_PT3_SG_jT4_jjP12ihipStream_tbEUlT_E_NS1_11comp_targetILNS1_3genE5ELNS1_11target_archE942ELNS1_3gpuE9ELNS1_3repE0EEENS1_52radix_sort_onesweep_histogram_config_static_selectorELNS0_4arch9wavefront6targetE1EEEvSE_.kd
    .uniform_work_group_size: 1
    .uses_dynamic_stack: false
    .vgpr_count:     0
    .vgpr_spill_count: 0
    .wavefront_size: 64
  - .agpr_count:     0
    .args:
      - .offset:         0
        .size:           40
        .value_kind:     by_value
    .group_segment_fixed_size: 0
    .kernarg_segment_align: 8
    .kernarg_segment_size: 40
    .language:       OpenCL C
    .language_version:
      - 2
      - 0
    .max_flat_workgroup_size: 512
    .name:           _ZN7rocprim17ROCPRIM_400000_NS6detail17trampoline_kernelINS0_14default_configENS1_35radix_sort_onesweep_config_selectorIdlEEZNS1_34radix_sort_onesweep_global_offsetsIS3_Lb0EPdN6thrust23THRUST_200600_302600_NS10device_ptrIlEEjNS0_19identity_decomposerEEE10hipError_tT1_T2_PT3_SG_jT4_jjP12ihipStream_tbEUlT_E_NS1_11comp_targetILNS1_3genE2ELNS1_11target_archE906ELNS1_3gpuE6ELNS1_3repE0EEENS1_52radix_sort_onesweep_histogram_config_static_selectorELNS0_4arch9wavefront6targetE1EEEvSE_
    .private_segment_fixed_size: 0
    .sgpr_count:     4
    .sgpr_spill_count: 0
    .symbol:         _ZN7rocprim17ROCPRIM_400000_NS6detail17trampoline_kernelINS0_14default_configENS1_35radix_sort_onesweep_config_selectorIdlEEZNS1_34radix_sort_onesweep_global_offsetsIS3_Lb0EPdN6thrust23THRUST_200600_302600_NS10device_ptrIlEEjNS0_19identity_decomposerEEE10hipError_tT1_T2_PT3_SG_jT4_jjP12ihipStream_tbEUlT_E_NS1_11comp_targetILNS1_3genE2ELNS1_11target_archE906ELNS1_3gpuE6ELNS1_3repE0EEENS1_52radix_sort_onesweep_histogram_config_static_selectorELNS0_4arch9wavefront6targetE1EEEvSE_.kd
    .uniform_work_group_size: 1
    .uses_dynamic_stack: false
    .vgpr_count:     0
    .vgpr_spill_count: 0
    .wavefront_size: 64
  - .agpr_count:     0
    .args:
      - .offset:         0
        .size:           40
        .value_kind:     by_value
    .group_segment_fixed_size: 32768
    .kernarg_segment_align: 8
    .kernarg_segment_size: 40
    .language:       OpenCL C
    .language_version:
      - 2
      - 0
    .max_flat_workgroup_size: 1024
    .name:           _ZN7rocprim17ROCPRIM_400000_NS6detail17trampoline_kernelINS0_14default_configENS1_35radix_sort_onesweep_config_selectorIdlEEZNS1_34radix_sort_onesweep_global_offsetsIS3_Lb0EPdN6thrust23THRUST_200600_302600_NS10device_ptrIlEEjNS0_19identity_decomposerEEE10hipError_tT1_T2_PT3_SG_jT4_jjP12ihipStream_tbEUlT_E_NS1_11comp_targetILNS1_3genE4ELNS1_11target_archE910ELNS1_3gpuE8ELNS1_3repE0EEENS1_52radix_sort_onesweep_histogram_config_static_selectorELNS0_4arch9wavefront6targetE1EEEvSE_
    .private_segment_fixed_size: 0
    .sgpr_count:     23
    .sgpr_spill_count: 0
    .symbol:         _ZN7rocprim17ROCPRIM_400000_NS6detail17trampoline_kernelINS0_14default_configENS1_35radix_sort_onesweep_config_selectorIdlEEZNS1_34radix_sort_onesweep_global_offsetsIS3_Lb0EPdN6thrust23THRUST_200600_302600_NS10device_ptrIlEEjNS0_19identity_decomposerEEE10hipError_tT1_T2_PT3_SG_jT4_jjP12ihipStream_tbEUlT_E_NS1_11comp_targetILNS1_3genE4ELNS1_11target_archE910ELNS1_3gpuE8ELNS1_3repE0EEENS1_52radix_sort_onesweep_histogram_config_static_selectorELNS0_4arch9wavefront6targetE1EEEvSE_.kd
    .uniform_work_group_size: 1
    .uses_dynamic_stack: false
    .vgpr_count:     28
    .vgpr_spill_count: 0
    .wavefront_size: 64
  - .agpr_count:     0
    .args:
      - .offset:         0
        .size:           40
        .value_kind:     by_value
    .group_segment_fixed_size: 0
    .kernarg_segment_align: 8
    .kernarg_segment_size: 40
    .language:       OpenCL C
    .language_version:
      - 2
      - 0
    .max_flat_workgroup_size: 512
    .name:           _ZN7rocprim17ROCPRIM_400000_NS6detail17trampoline_kernelINS0_14default_configENS1_35radix_sort_onesweep_config_selectorIdlEEZNS1_34radix_sort_onesweep_global_offsetsIS3_Lb0EPdN6thrust23THRUST_200600_302600_NS10device_ptrIlEEjNS0_19identity_decomposerEEE10hipError_tT1_T2_PT3_SG_jT4_jjP12ihipStream_tbEUlT_E_NS1_11comp_targetILNS1_3genE3ELNS1_11target_archE908ELNS1_3gpuE7ELNS1_3repE0EEENS1_52radix_sort_onesweep_histogram_config_static_selectorELNS0_4arch9wavefront6targetE1EEEvSE_
    .private_segment_fixed_size: 0
    .sgpr_count:     4
    .sgpr_spill_count: 0
    .symbol:         _ZN7rocprim17ROCPRIM_400000_NS6detail17trampoline_kernelINS0_14default_configENS1_35radix_sort_onesweep_config_selectorIdlEEZNS1_34radix_sort_onesweep_global_offsetsIS3_Lb0EPdN6thrust23THRUST_200600_302600_NS10device_ptrIlEEjNS0_19identity_decomposerEEE10hipError_tT1_T2_PT3_SG_jT4_jjP12ihipStream_tbEUlT_E_NS1_11comp_targetILNS1_3genE3ELNS1_11target_archE908ELNS1_3gpuE7ELNS1_3repE0EEENS1_52radix_sort_onesweep_histogram_config_static_selectorELNS0_4arch9wavefront6targetE1EEEvSE_.kd
    .uniform_work_group_size: 1
    .uses_dynamic_stack: false
    .vgpr_count:     0
    .vgpr_spill_count: 0
    .wavefront_size: 64
  - .agpr_count:     0
    .args:
      - .offset:         0
        .size:           40
        .value_kind:     by_value
    .group_segment_fixed_size: 0
    .kernarg_segment_align: 8
    .kernarg_segment_size: 40
    .language:       OpenCL C
    .language_version:
      - 2
      - 0
    .max_flat_workgroup_size: 1024
    .name:           _ZN7rocprim17ROCPRIM_400000_NS6detail17trampoline_kernelINS0_14default_configENS1_35radix_sort_onesweep_config_selectorIdlEEZNS1_34radix_sort_onesweep_global_offsetsIS3_Lb0EPdN6thrust23THRUST_200600_302600_NS10device_ptrIlEEjNS0_19identity_decomposerEEE10hipError_tT1_T2_PT3_SG_jT4_jjP12ihipStream_tbEUlT_E_NS1_11comp_targetILNS1_3genE10ELNS1_11target_archE1201ELNS1_3gpuE5ELNS1_3repE0EEENS1_52radix_sort_onesweep_histogram_config_static_selectorELNS0_4arch9wavefront6targetE1EEEvSE_
    .private_segment_fixed_size: 0
    .sgpr_count:     4
    .sgpr_spill_count: 0
    .symbol:         _ZN7rocprim17ROCPRIM_400000_NS6detail17trampoline_kernelINS0_14default_configENS1_35radix_sort_onesweep_config_selectorIdlEEZNS1_34radix_sort_onesweep_global_offsetsIS3_Lb0EPdN6thrust23THRUST_200600_302600_NS10device_ptrIlEEjNS0_19identity_decomposerEEE10hipError_tT1_T2_PT3_SG_jT4_jjP12ihipStream_tbEUlT_E_NS1_11comp_targetILNS1_3genE10ELNS1_11target_archE1201ELNS1_3gpuE5ELNS1_3repE0EEENS1_52radix_sort_onesweep_histogram_config_static_selectorELNS0_4arch9wavefront6targetE1EEEvSE_.kd
    .uniform_work_group_size: 1
    .uses_dynamic_stack: false
    .vgpr_count:     0
    .vgpr_spill_count: 0
    .wavefront_size: 64
  - .agpr_count:     0
    .args:
      - .offset:         0
        .size:           40
        .value_kind:     by_value
    .group_segment_fixed_size: 0
    .kernarg_segment_align: 8
    .kernarg_segment_size: 40
    .language:       OpenCL C
    .language_version:
      - 2
      - 0
    .max_flat_workgroup_size: 1024
    .name:           _ZN7rocprim17ROCPRIM_400000_NS6detail17trampoline_kernelINS0_14default_configENS1_35radix_sort_onesweep_config_selectorIdlEEZNS1_34radix_sort_onesweep_global_offsetsIS3_Lb0EPdN6thrust23THRUST_200600_302600_NS10device_ptrIlEEjNS0_19identity_decomposerEEE10hipError_tT1_T2_PT3_SG_jT4_jjP12ihipStream_tbEUlT_E_NS1_11comp_targetILNS1_3genE9ELNS1_11target_archE1100ELNS1_3gpuE3ELNS1_3repE0EEENS1_52radix_sort_onesweep_histogram_config_static_selectorELNS0_4arch9wavefront6targetE1EEEvSE_
    .private_segment_fixed_size: 0
    .sgpr_count:     4
    .sgpr_spill_count: 0
    .symbol:         _ZN7rocprim17ROCPRIM_400000_NS6detail17trampoline_kernelINS0_14default_configENS1_35radix_sort_onesweep_config_selectorIdlEEZNS1_34radix_sort_onesweep_global_offsetsIS3_Lb0EPdN6thrust23THRUST_200600_302600_NS10device_ptrIlEEjNS0_19identity_decomposerEEE10hipError_tT1_T2_PT3_SG_jT4_jjP12ihipStream_tbEUlT_E_NS1_11comp_targetILNS1_3genE9ELNS1_11target_archE1100ELNS1_3gpuE3ELNS1_3repE0EEENS1_52radix_sort_onesweep_histogram_config_static_selectorELNS0_4arch9wavefront6targetE1EEEvSE_.kd
    .uniform_work_group_size: 1
    .uses_dynamic_stack: false
    .vgpr_count:     0
    .vgpr_spill_count: 0
    .wavefront_size: 64
  - .agpr_count:     0
    .args:
      - .offset:         0
        .size:           40
        .value_kind:     by_value
    .group_segment_fixed_size: 0
    .kernarg_segment_align: 8
    .kernarg_segment_size: 40
    .language:       OpenCL C
    .language_version:
      - 2
      - 0
    .max_flat_workgroup_size: 1024
    .name:           _ZN7rocprim17ROCPRIM_400000_NS6detail17trampoline_kernelINS0_14default_configENS1_35radix_sort_onesweep_config_selectorIdlEEZNS1_34radix_sort_onesweep_global_offsetsIS3_Lb0EPdN6thrust23THRUST_200600_302600_NS10device_ptrIlEEjNS0_19identity_decomposerEEE10hipError_tT1_T2_PT3_SG_jT4_jjP12ihipStream_tbEUlT_E_NS1_11comp_targetILNS1_3genE8ELNS1_11target_archE1030ELNS1_3gpuE2ELNS1_3repE0EEENS1_52radix_sort_onesweep_histogram_config_static_selectorELNS0_4arch9wavefront6targetE1EEEvSE_
    .private_segment_fixed_size: 0
    .sgpr_count:     4
    .sgpr_spill_count: 0
    .symbol:         _ZN7rocprim17ROCPRIM_400000_NS6detail17trampoline_kernelINS0_14default_configENS1_35radix_sort_onesweep_config_selectorIdlEEZNS1_34radix_sort_onesweep_global_offsetsIS3_Lb0EPdN6thrust23THRUST_200600_302600_NS10device_ptrIlEEjNS0_19identity_decomposerEEE10hipError_tT1_T2_PT3_SG_jT4_jjP12ihipStream_tbEUlT_E_NS1_11comp_targetILNS1_3genE8ELNS1_11target_archE1030ELNS1_3gpuE2ELNS1_3repE0EEENS1_52radix_sort_onesweep_histogram_config_static_selectorELNS0_4arch9wavefront6targetE1EEEvSE_.kd
    .uniform_work_group_size: 1
    .uses_dynamic_stack: false
    .vgpr_count:     0
    .vgpr_spill_count: 0
    .wavefront_size: 64
  - .agpr_count:     0
    .args:
      - .address_space:  global
        .offset:         0
        .size:           8
        .value_kind:     global_buffer
    .group_segment_fixed_size: 0
    .kernarg_segment_align: 8
    .kernarg_segment_size: 8
    .language:       OpenCL C
    .language_version:
      - 2
      - 0
    .max_flat_workgroup_size: 512
    .name:           _ZN7rocprim17ROCPRIM_400000_NS6detail17trampoline_kernelINS0_14default_configENS1_35radix_sort_onesweep_config_selectorIdlEEZNS1_34radix_sort_onesweep_global_offsetsIS3_Lb0EPdN6thrust23THRUST_200600_302600_NS10device_ptrIlEEjNS0_19identity_decomposerEEE10hipError_tT1_T2_PT3_SG_jT4_jjP12ihipStream_tbEUlT_E0_NS1_11comp_targetILNS1_3genE0ELNS1_11target_archE4294967295ELNS1_3gpuE0ELNS1_3repE0EEENS1_52radix_sort_onesweep_histogram_config_static_selectorELNS0_4arch9wavefront6targetE1EEEvSE_
    .private_segment_fixed_size: 0
    .sgpr_count:     4
    .sgpr_spill_count: 0
    .symbol:         _ZN7rocprim17ROCPRIM_400000_NS6detail17trampoline_kernelINS0_14default_configENS1_35radix_sort_onesweep_config_selectorIdlEEZNS1_34radix_sort_onesweep_global_offsetsIS3_Lb0EPdN6thrust23THRUST_200600_302600_NS10device_ptrIlEEjNS0_19identity_decomposerEEE10hipError_tT1_T2_PT3_SG_jT4_jjP12ihipStream_tbEUlT_E0_NS1_11comp_targetILNS1_3genE0ELNS1_11target_archE4294967295ELNS1_3gpuE0ELNS1_3repE0EEENS1_52radix_sort_onesweep_histogram_config_static_selectorELNS0_4arch9wavefront6targetE1EEEvSE_.kd
    .uniform_work_group_size: 1
    .uses_dynamic_stack: false
    .vgpr_count:     0
    .vgpr_spill_count: 0
    .wavefront_size: 64
  - .agpr_count:     0
    .args:
      - .address_space:  global
        .offset:         0
        .size:           8
        .value_kind:     global_buffer
    .group_segment_fixed_size: 0
    .kernarg_segment_align: 8
    .kernarg_segment_size: 8
    .language:       OpenCL C
    .language_version:
      - 2
      - 0
    .max_flat_workgroup_size: 1024
    .name:           _ZN7rocprim17ROCPRIM_400000_NS6detail17trampoline_kernelINS0_14default_configENS1_35radix_sort_onesweep_config_selectorIdlEEZNS1_34radix_sort_onesweep_global_offsetsIS3_Lb0EPdN6thrust23THRUST_200600_302600_NS10device_ptrIlEEjNS0_19identity_decomposerEEE10hipError_tT1_T2_PT3_SG_jT4_jjP12ihipStream_tbEUlT_E0_NS1_11comp_targetILNS1_3genE6ELNS1_11target_archE950ELNS1_3gpuE13ELNS1_3repE0EEENS1_52radix_sort_onesweep_histogram_config_static_selectorELNS0_4arch9wavefront6targetE1EEEvSE_
    .private_segment_fixed_size: 0
    .sgpr_count:     4
    .sgpr_spill_count: 0
    .symbol:         _ZN7rocprim17ROCPRIM_400000_NS6detail17trampoline_kernelINS0_14default_configENS1_35radix_sort_onesweep_config_selectorIdlEEZNS1_34radix_sort_onesweep_global_offsetsIS3_Lb0EPdN6thrust23THRUST_200600_302600_NS10device_ptrIlEEjNS0_19identity_decomposerEEE10hipError_tT1_T2_PT3_SG_jT4_jjP12ihipStream_tbEUlT_E0_NS1_11comp_targetILNS1_3genE6ELNS1_11target_archE950ELNS1_3gpuE13ELNS1_3repE0EEENS1_52radix_sort_onesweep_histogram_config_static_selectorELNS0_4arch9wavefront6targetE1EEEvSE_.kd
    .uniform_work_group_size: 1
    .uses_dynamic_stack: false
    .vgpr_count:     0
    .vgpr_spill_count: 0
    .wavefront_size: 64
  - .agpr_count:     0
    .args:
      - .address_space:  global
        .offset:         0
        .size:           8
        .value_kind:     global_buffer
    .group_segment_fixed_size: 0
    .kernarg_segment_align: 8
    .kernarg_segment_size: 8
    .language:       OpenCL C
    .language_version:
      - 2
      - 0
    .max_flat_workgroup_size: 1024
    .name:           _ZN7rocprim17ROCPRIM_400000_NS6detail17trampoline_kernelINS0_14default_configENS1_35radix_sort_onesweep_config_selectorIdlEEZNS1_34radix_sort_onesweep_global_offsetsIS3_Lb0EPdN6thrust23THRUST_200600_302600_NS10device_ptrIlEEjNS0_19identity_decomposerEEE10hipError_tT1_T2_PT3_SG_jT4_jjP12ihipStream_tbEUlT_E0_NS1_11comp_targetILNS1_3genE5ELNS1_11target_archE942ELNS1_3gpuE9ELNS1_3repE0EEENS1_52radix_sort_onesweep_histogram_config_static_selectorELNS0_4arch9wavefront6targetE1EEEvSE_
    .private_segment_fixed_size: 0
    .sgpr_count:     4
    .sgpr_spill_count: 0
    .symbol:         _ZN7rocprim17ROCPRIM_400000_NS6detail17trampoline_kernelINS0_14default_configENS1_35radix_sort_onesweep_config_selectorIdlEEZNS1_34radix_sort_onesweep_global_offsetsIS3_Lb0EPdN6thrust23THRUST_200600_302600_NS10device_ptrIlEEjNS0_19identity_decomposerEEE10hipError_tT1_T2_PT3_SG_jT4_jjP12ihipStream_tbEUlT_E0_NS1_11comp_targetILNS1_3genE5ELNS1_11target_archE942ELNS1_3gpuE9ELNS1_3repE0EEENS1_52radix_sort_onesweep_histogram_config_static_selectorELNS0_4arch9wavefront6targetE1EEEvSE_.kd
    .uniform_work_group_size: 1
    .uses_dynamic_stack: false
    .vgpr_count:     0
    .vgpr_spill_count: 0
    .wavefront_size: 64
  - .agpr_count:     0
    .args:
      - .address_space:  global
        .offset:         0
        .size:           8
        .value_kind:     global_buffer
    .group_segment_fixed_size: 0
    .kernarg_segment_align: 8
    .kernarg_segment_size: 8
    .language:       OpenCL C
    .language_version:
      - 2
      - 0
    .max_flat_workgroup_size: 512
    .name:           _ZN7rocprim17ROCPRIM_400000_NS6detail17trampoline_kernelINS0_14default_configENS1_35radix_sort_onesweep_config_selectorIdlEEZNS1_34radix_sort_onesweep_global_offsetsIS3_Lb0EPdN6thrust23THRUST_200600_302600_NS10device_ptrIlEEjNS0_19identity_decomposerEEE10hipError_tT1_T2_PT3_SG_jT4_jjP12ihipStream_tbEUlT_E0_NS1_11comp_targetILNS1_3genE2ELNS1_11target_archE906ELNS1_3gpuE6ELNS1_3repE0EEENS1_52radix_sort_onesweep_histogram_config_static_selectorELNS0_4arch9wavefront6targetE1EEEvSE_
    .private_segment_fixed_size: 0
    .sgpr_count:     4
    .sgpr_spill_count: 0
    .symbol:         _ZN7rocprim17ROCPRIM_400000_NS6detail17trampoline_kernelINS0_14default_configENS1_35radix_sort_onesweep_config_selectorIdlEEZNS1_34radix_sort_onesweep_global_offsetsIS3_Lb0EPdN6thrust23THRUST_200600_302600_NS10device_ptrIlEEjNS0_19identity_decomposerEEE10hipError_tT1_T2_PT3_SG_jT4_jjP12ihipStream_tbEUlT_E0_NS1_11comp_targetILNS1_3genE2ELNS1_11target_archE906ELNS1_3gpuE6ELNS1_3repE0EEENS1_52radix_sort_onesweep_histogram_config_static_selectorELNS0_4arch9wavefront6targetE1EEEvSE_.kd
    .uniform_work_group_size: 1
    .uses_dynamic_stack: false
    .vgpr_count:     0
    .vgpr_spill_count: 0
    .wavefront_size: 64
  - .agpr_count:     0
    .args:
      - .address_space:  global
        .offset:         0
        .size:           8
        .value_kind:     global_buffer
    .group_segment_fixed_size: 64
    .kernarg_segment_align: 8
    .kernarg_segment_size: 8
    .language:       OpenCL C
    .language_version:
      - 2
      - 0
    .max_flat_workgroup_size: 1024
    .name:           _ZN7rocprim17ROCPRIM_400000_NS6detail17trampoline_kernelINS0_14default_configENS1_35radix_sort_onesweep_config_selectorIdlEEZNS1_34radix_sort_onesweep_global_offsetsIS3_Lb0EPdN6thrust23THRUST_200600_302600_NS10device_ptrIlEEjNS0_19identity_decomposerEEE10hipError_tT1_T2_PT3_SG_jT4_jjP12ihipStream_tbEUlT_E0_NS1_11comp_targetILNS1_3genE4ELNS1_11target_archE910ELNS1_3gpuE8ELNS1_3repE0EEENS1_52radix_sort_onesweep_histogram_config_static_selectorELNS0_4arch9wavefront6targetE1EEEvSE_
    .private_segment_fixed_size: 0
    .sgpr_count:     18
    .sgpr_spill_count: 0
    .symbol:         _ZN7rocprim17ROCPRIM_400000_NS6detail17trampoline_kernelINS0_14default_configENS1_35radix_sort_onesweep_config_selectorIdlEEZNS1_34radix_sort_onesweep_global_offsetsIS3_Lb0EPdN6thrust23THRUST_200600_302600_NS10device_ptrIlEEjNS0_19identity_decomposerEEE10hipError_tT1_T2_PT3_SG_jT4_jjP12ihipStream_tbEUlT_E0_NS1_11comp_targetILNS1_3genE4ELNS1_11target_archE910ELNS1_3gpuE8ELNS1_3repE0EEENS1_52radix_sort_onesweep_histogram_config_static_selectorELNS0_4arch9wavefront6targetE1EEEvSE_.kd
    .uniform_work_group_size: 1
    .uses_dynamic_stack: false
    .vgpr_count:     7
    .vgpr_spill_count: 0
    .wavefront_size: 64
  - .agpr_count:     0
    .args:
      - .address_space:  global
        .offset:         0
        .size:           8
        .value_kind:     global_buffer
    .group_segment_fixed_size: 0
    .kernarg_segment_align: 8
    .kernarg_segment_size: 8
    .language:       OpenCL C
    .language_version:
      - 2
      - 0
    .max_flat_workgroup_size: 512
    .name:           _ZN7rocprim17ROCPRIM_400000_NS6detail17trampoline_kernelINS0_14default_configENS1_35radix_sort_onesweep_config_selectorIdlEEZNS1_34radix_sort_onesweep_global_offsetsIS3_Lb0EPdN6thrust23THRUST_200600_302600_NS10device_ptrIlEEjNS0_19identity_decomposerEEE10hipError_tT1_T2_PT3_SG_jT4_jjP12ihipStream_tbEUlT_E0_NS1_11comp_targetILNS1_3genE3ELNS1_11target_archE908ELNS1_3gpuE7ELNS1_3repE0EEENS1_52radix_sort_onesweep_histogram_config_static_selectorELNS0_4arch9wavefront6targetE1EEEvSE_
    .private_segment_fixed_size: 0
    .sgpr_count:     4
    .sgpr_spill_count: 0
    .symbol:         _ZN7rocprim17ROCPRIM_400000_NS6detail17trampoline_kernelINS0_14default_configENS1_35radix_sort_onesweep_config_selectorIdlEEZNS1_34radix_sort_onesweep_global_offsetsIS3_Lb0EPdN6thrust23THRUST_200600_302600_NS10device_ptrIlEEjNS0_19identity_decomposerEEE10hipError_tT1_T2_PT3_SG_jT4_jjP12ihipStream_tbEUlT_E0_NS1_11comp_targetILNS1_3genE3ELNS1_11target_archE908ELNS1_3gpuE7ELNS1_3repE0EEENS1_52radix_sort_onesweep_histogram_config_static_selectorELNS0_4arch9wavefront6targetE1EEEvSE_.kd
    .uniform_work_group_size: 1
    .uses_dynamic_stack: false
    .vgpr_count:     0
    .vgpr_spill_count: 0
    .wavefront_size: 64
  - .agpr_count:     0
    .args:
      - .address_space:  global
        .offset:         0
        .size:           8
        .value_kind:     global_buffer
    .group_segment_fixed_size: 0
    .kernarg_segment_align: 8
    .kernarg_segment_size: 8
    .language:       OpenCL C
    .language_version:
      - 2
      - 0
    .max_flat_workgroup_size: 1024
    .name:           _ZN7rocprim17ROCPRIM_400000_NS6detail17trampoline_kernelINS0_14default_configENS1_35radix_sort_onesweep_config_selectorIdlEEZNS1_34radix_sort_onesweep_global_offsetsIS3_Lb0EPdN6thrust23THRUST_200600_302600_NS10device_ptrIlEEjNS0_19identity_decomposerEEE10hipError_tT1_T2_PT3_SG_jT4_jjP12ihipStream_tbEUlT_E0_NS1_11comp_targetILNS1_3genE10ELNS1_11target_archE1201ELNS1_3gpuE5ELNS1_3repE0EEENS1_52radix_sort_onesweep_histogram_config_static_selectorELNS0_4arch9wavefront6targetE1EEEvSE_
    .private_segment_fixed_size: 0
    .sgpr_count:     4
    .sgpr_spill_count: 0
    .symbol:         _ZN7rocprim17ROCPRIM_400000_NS6detail17trampoline_kernelINS0_14default_configENS1_35radix_sort_onesweep_config_selectorIdlEEZNS1_34radix_sort_onesweep_global_offsetsIS3_Lb0EPdN6thrust23THRUST_200600_302600_NS10device_ptrIlEEjNS0_19identity_decomposerEEE10hipError_tT1_T2_PT3_SG_jT4_jjP12ihipStream_tbEUlT_E0_NS1_11comp_targetILNS1_3genE10ELNS1_11target_archE1201ELNS1_3gpuE5ELNS1_3repE0EEENS1_52radix_sort_onesweep_histogram_config_static_selectorELNS0_4arch9wavefront6targetE1EEEvSE_.kd
    .uniform_work_group_size: 1
    .uses_dynamic_stack: false
    .vgpr_count:     0
    .vgpr_spill_count: 0
    .wavefront_size: 64
  - .agpr_count:     0
    .args:
      - .address_space:  global
        .offset:         0
        .size:           8
        .value_kind:     global_buffer
    .group_segment_fixed_size: 0
    .kernarg_segment_align: 8
    .kernarg_segment_size: 8
    .language:       OpenCL C
    .language_version:
      - 2
      - 0
    .max_flat_workgroup_size: 1024
    .name:           _ZN7rocprim17ROCPRIM_400000_NS6detail17trampoline_kernelINS0_14default_configENS1_35radix_sort_onesweep_config_selectorIdlEEZNS1_34radix_sort_onesweep_global_offsetsIS3_Lb0EPdN6thrust23THRUST_200600_302600_NS10device_ptrIlEEjNS0_19identity_decomposerEEE10hipError_tT1_T2_PT3_SG_jT4_jjP12ihipStream_tbEUlT_E0_NS1_11comp_targetILNS1_3genE9ELNS1_11target_archE1100ELNS1_3gpuE3ELNS1_3repE0EEENS1_52radix_sort_onesweep_histogram_config_static_selectorELNS0_4arch9wavefront6targetE1EEEvSE_
    .private_segment_fixed_size: 0
    .sgpr_count:     4
    .sgpr_spill_count: 0
    .symbol:         _ZN7rocprim17ROCPRIM_400000_NS6detail17trampoline_kernelINS0_14default_configENS1_35radix_sort_onesweep_config_selectorIdlEEZNS1_34radix_sort_onesweep_global_offsetsIS3_Lb0EPdN6thrust23THRUST_200600_302600_NS10device_ptrIlEEjNS0_19identity_decomposerEEE10hipError_tT1_T2_PT3_SG_jT4_jjP12ihipStream_tbEUlT_E0_NS1_11comp_targetILNS1_3genE9ELNS1_11target_archE1100ELNS1_3gpuE3ELNS1_3repE0EEENS1_52radix_sort_onesweep_histogram_config_static_selectorELNS0_4arch9wavefront6targetE1EEEvSE_.kd
    .uniform_work_group_size: 1
    .uses_dynamic_stack: false
    .vgpr_count:     0
    .vgpr_spill_count: 0
    .wavefront_size: 64
  - .agpr_count:     0
    .args:
      - .address_space:  global
        .offset:         0
        .size:           8
        .value_kind:     global_buffer
    .group_segment_fixed_size: 0
    .kernarg_segment_align: 8
    .kernarg_segment_size: 8
    .language:       OpenCL C
    .language_version:
      - 2
      - 0
    .max_flat_workgroup_size: 1024
    .name:           _ZN7rocprim17ROCPRIM_400000_NS6detail17trampoline_kernelINS0_14default_configENS1_35radix_sort_onesweep_config_selectorIdlEEZNS1_34radix_sort_onesweep_global_offsetsIS3_Lb0EPdN6thrust23THRUST_200600_302600_NS10device_ptrIlEEjNS0_19identity_decomposerEEE10hipError_tT1_T2_PT3_SG_jT4_jjP12ihipStream_tbEUlT_E0_NS1_11comp_targetILNS1_3genE8ELNS1_11target_archE1030ELNS1_3gpuE2ELNS1_3repE0EEENS1_52radix_sort_onesweep_histogram_config_static_selectorELNS0_4arch9wavefront6targetE1EEEvSE_
    .private_segment_fixed_size: 0
    .sgpr_count:     4
    .sgpr_spill_count: 0
    .symbol:         _ZN7rocprim17ROCPRIM_400000_NS6detail17trampoline_kernelINS0_14default_configENS1_35radix_sort_onesweep_config_selectorIdlEEZNS1_34radix_sort_onesweep_global_offsetsIS3_Lb0EPdN6thrust23THRUST_200600_302600_NS10device_ptrIlEEjNS0_19identity_decomposerEEE10hipError_tT1_T2_PT3_SG_jT4_jjP12ihipStream_tbEUlT_E0_NS1_11comp_targetILNS1_3genE8ELNS1_11target_archE1030ELNS1_3gpuE2ELNS1_3repE0EEENS1_52radix_sort_onesweep_histogram_config_static_selectorELNS0_4arch9wavefront6targetE1EEEvSE_.kd
    .uniform_work_group_size: 1
    .uses_dynamic_stack: false
    .vgpr_count:     0
    .vgpr_spill_count: 0
    .wavefront_size: 64
  - .agpr_count:     0
    .args:
      - .offset:         0
        .size:           88
        .value_kind:     by_value
    .group_segment_fixed_size: 0
    .kernarg_segment_align: 8
    .kernarg_segment_size: 88
    .language:       OpenCL C
    .language_version:
      - 2
      - 0
    .max_flat_workgroup_size: 512
    .name:           _ZN7rocprim17ROCPRIM_400000_NS6detail17trampoline_kernelINS0_14default_configENS1_35radix_sort_onesweep_config_selectorIdlEEZZNS1_29radix_sort_onesweep_iterationIS3_Lb0EPdS7_N6thrust23THRUST_200600_302600_NS10device_ptrIlEESB_jNS0_19identity_decomposerENS1_16block_id_wrapperIjLb1EEEEE10hipError_tT1_PNSt15iterator_traitsISG_E10value_typeET2_T3_PNSH_ISM_E10value_typeET4_T5_PSR_SS_PNS1_23onesweep_lookback_stateEbbT6_jjT7_P12ihipStream_tbENKUlT_T0_SG_SL_E_clIS7_S7_SB_SB_EEDaSZ_S10_SG_SL_EUlSZ_E_NS1_11comp_targetILNS1_3genE0ELNS1_11target_archE4294967295ELNS1_3gpuE0ELNS1_3repE0EEENS1_47radix_sort_onesweep_sort_config_static_selectorELNS0_4arch9wavefront6targetE1EEEvSG_
    .private_segment_fixed_size: 0
    .sgpr_count:     4
    .sgpr_spill_count: 0
    .symbol:         _ZN7rocprim17ROCPRIM_400000_NS6detail17trampoline_kernelINS0_14default_configENS1_35radix_sort_onesweep_config_selectorIdlEEZZNS1_29radix_sort_onesweep_iterationIS3_Lb0EPdS7_N6thrust23THRUST_200600_302600_NS10device_ptrIlEESB_jNS0_19identity_decomposerENS1_16block_id_wrapperIjLb1EEEEE10hipError_tT1_PNSt15iterator_traitsISG_E10value_typeET2_T3_PNSH_ISM_E10value_typeET4_T5_PSR_SS_PNS1_23onesweep_lookback_stateEbbT6_jjT7_P12ihipStream_tbENKUlT_T0_SG_SL_E_clIS7_S7_SB_SB_EEDaSZ_S10_SG_SL_EUlSZ_E_NS1_11comp_targetILNS1_3genE0ELNS1_11target_archE4294967295ELNS1_3gpuE0ELNS1_3repE0EEENS1_47radix_sort_onesweep_sort_config_static_selectorELNS0_4arch9wavefront6targetE1EEEvSG_.kd
    .uniform_work_group_size: 1
    .uses_dynamic_stack: false
    .vgpr_count:     0
    .vgpr_spill_count: 0
    .wavefront_size: 64
  - .agpr_count:     0
    .args:
      - .offset:         0
        .size:           88
        .value_kind:     by_value
    .group_segment_fixed_size: 0
    .kernarg_segment_align: 8
    .kernarg_segment_size: 88
    .language:       OpenCL C
    .language_version:
      - 2
      - 0
    .max_flat_workgroup_size: 1024
    .name:           _ZN7rocprim17ROCPRIM_400000_NS6detail17trampoline_kernelINS0_14default_configENS1_35radix_sort_onesweep_config_selectorIdlEEZZNS1_29radix_sort_onesweep_iterationIS3_Lb0EPdS7_N6thrust23THRUST_200600_302600_NS10device_ptrIlEESB_jNS0_19identity_decomposerENS1_16block_id_wrapperIjLb1EEEEE10hipError_tT1_PNSt15iterator_traitsISG_E10value_typeET2_T3_PNSH_ISM_E10value_typeET4_T5_PSR_SS_PNS1_23onesweep_lookback_stateEbbT6_jjT7_P12ihipStream_tbENKUlT_T0_SG_SL_E_clIS7_S7_SB_SB_EEDaSZ_S10_SG_SL_EUlSZ_E_NS1_11comp_targetILNS1_3genE6ELNS1_11target_archE950ELNS1_3gpuE13ELNS1_3repE0EEENS1_47radix_sort_onesweep_sort_config_static_selectorELNS0_4arch9wavefront6targetE1EEEvSG_
    .private_segment_fixed_size: 0
    .sgpr_count:     4
    .sgpr_spill_count: 0
    .symbol:         _ZN7rocprim17ROCPRIM_400000_NS6detail17trampoline_kernelINS0_14default_configENS1_35radix_sort_onesweep_config_selectorIdlEEZZNS1_29radix_sort_onesweep_iterationIS3_Lb0EPdS7_N6thrust23THRUST_200600_302600_NS10device_ptrIlEESB_jNS0_19identity_decomposerENS1_16block_id_wrapperIjLb1EEEEE10hipError_tT1_PNSt15iterator_traitsISG_E10value_typeET2_T3_PNSH_ISM_E10value_typeET4_T5_PSR_SS_PNS1_23onesweep_lookback_stateEbbT6_jjT7_P12ihipStream_tbENKUlT_T0_SG_SL_E_clIS7_S7_SB_SB_EEDaSZ_S10_SG_SL_EUlSZ_E_NS1_11comp_targetILNS1_3genE6ELNS1_11target_archE950ELNS1_3gpuE13ELNS1_3repE0EEENS1_47radix_sort_onesweep_sort_config_static_selectorELNS0_4arch9wavefront6targetE1EEEvSG_.kd
    .uniform_work_group_size: 1
    .uses_dynamic_stack: false
    .vgpr_count:     0
    .vgpr_spill_count: 0
    .wavefront_size: 64
  - .agpr_count:     0
    .args:
      - .offset:         0
        .size:           88
        .value_kind:     by_value
    .group_segment_fixed_size: 0
    .kernarg_segment_align: 8
    .kernarg_segment_size: 88
    .language:       OpenCL C
    .language_version:
      - 2
      - 0
    .max_flat_workgroup_size: 1024
    .name:           _ZN7rocprim17ROCPRIM_400000_NS6detail17trampoline_kernelINS0_14default_configENS1_35radix_sort_onesweep_config_selectorIdlEEZZNS1_29radix_sort_onesweep_iterationIS3_Lb0EPdS7_N6thrust23THRUST_200600_302600_NS10device_ptrIlEESB_jNS0_19identity_decomposerENS1_16block_id_wrapperIjLb1EEEEE10hipError_tT1_PNSt15iterator_traitsISG_E10value_typeET2_T3_PNSH_ISM_E10value_typeET4_T5_PSR_SS_PNS1_23onesweep_lookback_stateEbbT6_jjT7_P12ihipStream_tbENKUlT_T0_SG_SL_E_clIS7_S7_SB_SB_EEDaSZ_S10_SG_SL_EUlSZ_E_NS1_11comp_targetILNS1_3genE5ELNS1_11target_archE942ELNS1_3gpuE9ELNS1_3repE0EEENS1_47radix_sort_onesweep_sort_config_static_selectorELNS0_4arch9wavefront6targetE1EEEvSG_
    .private_segment_fixed_size: 0
    .sgpr_count:     4
    .sgpr_spill_count: 0
    .symbol:         _ZN7rocprim17ROCPRIM_400000_NS6detail17trampoline_kernelINS0_14default_configENS1_35radix_sort_onesweep_config_selectorIdlEEZZNS1_29radix_sort_onesweep_iterationIS3_Lb0EPdS7_N6thrust23THRUST_200600_302600_NS10device_ptrIlEESB_jNS0_19identity_decomposerENS1_16block_id_wrapperIjLb1EEEEE10hipError_tT1_PNSt15iterator_traitsISG_E10value_typeET2_T3_PNSH_ISM_E10value_typeET4_T5_PSR_SS_PNS1_23onesweep_lookback_stateEbbT6_jjT7_P12ihipStream_tbENKUlT_T0_SG_SL_E_clIS7_S7_SB_SB_EEDaSZ_S10_SG_SL_EUlSZ_E_NS1_11comp_targetILNS1_3genE5ELNS1_11target_archE942ELNS1_3gpuE9ELNS1_3repE0EEENS1_47radix_sort_onesweep_sort_config_static_selectorELNS0_4arch9wavefront6targetE1EEEvSG_.kd
    .uniform_work_group_size: 1
    .uses_dynamic_stack: false
    .vgpr_count:     0
    .vgpr_spill_count: 0
    .wavefront_size: 64
  - .agpr_count:     0
    .args:
      - .offset:         0
        .size:           88
        .value_kind:     by_value
    .group_segment_fixed_size: 0
    .kernarg_segment_align: 8
    .kernarg_segment_size: 88
    .language:       OpenCL C
    .language_version:
      - 2
      - 0
    .max_flat_workgroup_size: 512
    .name:           _ZN7rocprim17ROCPRIM_400000_NS6detail17trampoline_kernelINS0_14default_configENS1_35radix_sort_onesweep_config_selectorIdlEEZZNS1_29radix_sort_onesweep_iterationIS3_Lb0EPdS7_N6thrust23THRUST_200600_302600_NS10device_ptrIlEESB_jNS0_19identity_decomposerENS1_16block_id_wrapperIjLb1EEEEE10hipError_tT1_PNSt15iterator_traitsISG_E10value_typeET2_T3_PNSH_ISM_E10value_typeET4_T5_PSR_SS_PNS1_23onesweep_lookback_stateEbbT6_jjT7_P12ihipStream_tbENKUlT_T0_SG_SL_E_clIS7_S7_SB_SB_EEDaSZ_S10_SG_SL_EUlSZ_E_NS1_11comp_targetILNS1_3genE2ELNS1_11target_archE906ELNS1_3gpuE6ELNS1_3repE0EEENS1_47radix_sort_onesweep_sort_config_static_selectorELNS0_4arch9wavefront6targetE1EEEvSG_
    .private_segment_fixed_size: 0
    .sgpr_count:     4
    .sgpr_spill_count: 0
    .symbol:         _ZN7rocprim17ROCPRIM_400000_NS6detail17trampoline_kernelINS0_14default_configENS1_35radix_sort_onesweep_config_selectorIdlEEZZNS1_29radix_sort_onesweep_iterationIS3_Lb0EPdS7_N6thrust23THRUST_200600_302600_NS10device_ptrIlEESB_jNS0_19identity_decomposerENS1_16block_id_wrapperIjLb1EEEEE10hipError_tT1_PNSt15iterator_traitsISG_E10value_typeET2_T3_PNSH_ISM_E10value_typeET4_T5_PSR_SS_PNS1_23onesweep_lookback_stateEbbT6_jjT7_P12ihipStream_tbENKUlT_T0_SG_SL_E_clIS7_S7_SB_SB_EEDaSZ_S10_SG_SL_EUlSZ_E_NS1_11comp_targetILNS1_3genE2ELNS1_11target_archE906ELNS1_3gpuE6ELNS1_3repE0EEENS1_47radix_sort_onesweep_sort_config_static_selectorELNS0_4arch9wavefront6targetE1EEEvSG_.kd
    .uniform_work_group_size: 1
    .uses_dynamic_stack: false
    .vgpr_count:     0
    .vgpr_spill_count: 0
    .wavefront_size: 64
  - .agpr_count:     0
    .args:
      - .offset:         0
        .size:           88
        .value_kind:     by_value
      - .offset:         88
        .size:           4
        .value_kind:     hidden_block_count_x
      - .offset:         92
        .size:           4
        .value_kind:     hidden_block_count_y
      - .offset:         96
        .size:           4
        .value_kind:     hidden_block_count_z
      - .offset:         100
        .size:           2
        .value_kind:     hidden_group_size_x
      - .offset:         102
        .size:           2
        .value_kind:     hidden_group_size_y
      - .offset:         104
        .size:           2
        .value_kind:     hidden_group_size_z
      - .offset:         106
        .size:           2
        .value_kind:     hidden_remainder_x
      - .offset:         108
        .size:           2
        .value_kind:     hidden_remainder_y
      - .offset:         110
        .size:           2
        .value_kind:     hidden_remainder_z
      - .offset:         128
        .size:           8
        .value_kind:     hidden_global_offset_x
      - .offset:         136
        .size:           8
        .value_kind:     hidden_global_offset_y
      - .offset:         144
        .size:           8
        .value_kind:     hidden_global_offset_z
      - .offset:         152
        .size:           2
        .value_kind:     hidden_grid_dims
    .group_segment_fixed_size: 20552
    .kernarg_segment_align: 8
    .kernarg_segment_size: 344
    .language:       OpenCL C
    .language_version:
      - 2
      - 0
    .max_flat_workgroup_size: 1024
    .name:           _ZN7rocprim17ROCPRIM_400000_NS6detail17trampoline_kernelINS0_14default_configENS1_35radix_sort_onesweep_config_selectorIdlEEZZNS1_29radix_sort_onesweep_iterationIS3_Lb0EPdS7_N6thrust23THRUST_200600_302600_NS10device_ptrIlEESB_jNS0_19identity_decomposerENS1_16block_id_wrapperIjLb1EEEEE10hipError_tT1_PNSt15iterator_traitsISG_E10value_typeET2_T3_PNSH_ISM_E10value_typeET4_T5_PSR_SS_PNS1_23onesweep_lookback_stateEbbT6_jjT7_P12ihipStream_tbENKUlT_T0_SG_SL_E_clIS7_S7_SB_SB_EEDaSZ_S10_SG_SL_EUlSZ_E_NS1_11comp_targetILNS1_3genE4ELNS1_11target_archE910ELNS1_3gpuE8ELNS1_3repE0EEENS1_47radix_sort_onesweep_sort_config_static_selectorELNS0_4arch9wavefront6targetE1EEEvSG_
    .private_segment_fixed_size: 0
    .sgpr_count:     60
    .sgpr_spill_count: 0
    .symbol:         _ZN7rocprim17ROCPRIM_400000_NS6detail17trampoline_kernelINS0_14default_configENS1_35radix_sort_onesweep_config_selectorIdlEEZZNS1_29radix_sort_onesweep_iterationIS3_Lb0EPdS7_N6thrust23THRUST_200600_302600_NS10device_ptrIlEESB_jNS0_19identity_decomposerENS1_16block_id_wrapperIjLb1EEEEE10hipError_tT1_PNSt15iterator_traitsISG_E10value_typeET2_T3_PNSH_ISM_E10value_typeET4_T5_PSR_SS_PNS1_23onesweep_lookback_stateEbbT6_jjT7_P12ihipStream_tbENKUlT_T0_SG_SL_E_clIS7_S7_SB_SB_EEDaSZ_S10_SG_SL_EUlSZ_E_NS1_11comp_targetILNS1_3genE4ELNS1_11target_archE910ELNS1_3gpuE8ELNS1_3repE0EEENS1_47radix_sort_onesweep_sort_config_static_selectorELNS0_4arch9wavefront6targetE1EEEvSG_.kd
    .uniform_work_group_size: 1
    .uses_dynamic_stack: false
    .vgpr_count:     57
    .vgpr_spill_count: 0
    .wavefront_size: 64
  - .agpr_count:     0
    .args:
      - .offset:         0
        .size:           88
        .value_kind:     by_value
    .group_segment_fixed_size: 0
    .kernarg_segment_align: 8
    .kernarg_segment_size: 88
    .language:       OpenCL C
    .language_version:
      - 2
      - 0
    .max_flat_workgroup_size: 512
    .name:           _ZN7rocprim17ROCPRIM_400000_NS6detail17trampoline_kernelINS0_14default_configENS1_35radix_sort_onesweep_config_selectorIdlEEZZNS1_29radix_sort_onesweep_iterationIS3_Lb0EPdS7_N6thrust23THRUST_200600_302600_NS10device_ptrIlEESB_jNS0_19identity_decomposerENS1_16block_id_wrapperIjLb1EEEEE10hipError_tT1_PNSt15iterator_traitsISG_E10value_typeET2_T3_PNSH_ISM_E10value_typeET4_T5_PSR_SS_PNS1_23onesweep_lookback_stateEbbT6_jjT7_P12ihipStream_tbENKUlT_T0_SG_SL_E_clIS7_S7_SB_SB_EEDaSZ_S10_SG_SL_EUlSZ_E_NS1_11comp_targetILNS1_3genE3ELNS1_11target_archE908ELNS1_3gpuE7ELNS1_3repE0EEENS1_47radix_sort_onesweep_sort_config_static_selectorELNS0_4arch9wavefront6targetE1EEEvSG_
    .private_segment_fixed_size: 0
    .sgpr_count:     4
    .sgpr_spill_count: 0
    .symbol:         _ZN7rocprim17ROCPRIM_400000_NS6detail17trampoline_kernelINS0_14default_configENS1_35radix_sort_onesweep_config_selectorIdlEEZZNS1_29radix_sort_onesweep_iterationIS3_Lb0EPdS7_N6thrust23THRUST_200600_302600_NS10device_ptrIlEESB_jNS0_19identity_decomposerENS1_16block_id_wrapperIjLb1EEEEE10hipError_tT1_PNSt15iterator_traitsISG_E10value_typeET2_T3_PNSH_ISM_E10value_typeET4_T5_PSR_SS_PNS1_23onesweep_lookback_stateEbbT6_jjT7_P12ihipStream_tbENKUlT_T0_SG_SL_E_clIS7_S7_SB_SB_EEDaSZ_S10_SG_SL_EUlSZ_E_NS1_11comp_targetILNS1_3genE3ELNS1_11target_archE908ELNS1_3gpuE7ELNS1_3repE0EEENS1_47radix_sort_onesweep_sort_config_static_selectorELNS0_4arch9wavefront6targetE1EEEvSG_.kd
    .uniform_work_group_size: 1
    .uses_dynamic_stack: false
    .vgpr_count:     0
    .vgpr_spill_count: 0
    .wavefront_size: 64
  - .agpr_count:     0
    .args:
      - .offset:         0
        .size:           88
        .value_kind:     by_value
    .group_segment_fixed_size: 0
    .kernarg_segment_align: 8
    .kernarg_segment_size: 88
    .language:       OpenCL C
    .language_version:
      - 2
      - 0
    .max_flat_workgroup_size: 1024
    .name:           _ZN7rocprim17ROCPRIM_400000_NS6detail17trampoline_kernelINS0_14default_configENS1_35radix_sort_onesweep_config_selectorIdlEEZZNS1_29radix_sort_onesweep_iterationIS3_Lb0EPdS7_N6thrust23THRUST_200600_302600_NS10device_ptrIlEESB_jNS0_19identity_decomposerENS1_16block_id_wrapperIjLb1EEEEE10hipError_tT1_PNSt15iterator_traitsISG_E10value_typeET2_T3_PNSH_ISM_E10value_typeET4_T5_PSR_SS_PNS1_23onesweep_lookback_stateEbbT6_jjT7_P12ihipStream_tbENKUlT_T0_SG_SL_E_clIS7_S7_SB_SB_EEDaSZ_S10_SG_SL_EUlSZ_E_NS1_11comp_targetILNS1_3genE10ELNS1_11target_archE1201ELNS1_3gpuE5ELNS1_3repE0EEENS1_47radix_sort_onesweep_sort_config_static_selectorELNS0_4arch9wavefront6targetE1EEEvSG_
    .private_segment_fixed_size: 0
    .sgpr_count:     4
    .sgpr_spill_count: 0
    .symbol:         _ZN7rocprim17ROCPRIM_400000_NS6detail17trampoline_kernelINS0_14default_configENS1_35radix_sort_onesweep_config_selectorIdlEEZZNS1_29radix_sort_onesweep_iterationIS3_Lb0EPdS7_N6thrust23THRUST_200600_302600_NS10device_ptrIlEESB_jNS0_19identity_decomposerENS1_16block_id_wrapperIjLb1EEEEE10hipError_tT1_PNSt15iterator_traitsISG_E10value_typeET2_T3_PNSH_ISM_E10value_typeET4_T5_PSR_SS_PNS1_23onesweep_lookback_stateEbbT6_jjT7_P12ihipStream_tbENKUlT_T0_SG_SL_E_clIS7_S7_SB_SB_EEDaSZ_S10_SG_SL_EUlSZ_E_NS1_11comp_targetILNS1_3genE10ELNS1_11target_archE1201ELNS1_3gpuE5ELNS1_3repE0EEENS1_47radix_sort_onesweep_sort_config_static_selectorELNS0_4arch9wavefront6targetE1EEEvSG_.kd
    .uniform_work_group_size: 1
    .uses_dynamic_stack: false
    .vgpr_count:     0
    .vgpr_spill_count: 0
    .wavefront_size: 64
  - .agpr_count:     0
    .args:
      - .offset:         0
        .size:           88
        .value_kind:     by_value
    .group_segment_fixed_size: 0
    .kernarg_segment_align: 8
    .kernarg_segment_size: 88
    .language:       OpenCL C
    .language_version:
      - 2
      - 0
    .max_flat_workgroup_size: 1024
    .name:           _ZN7rocprim17ROCPRIM_400000_NS6detail17trampoline_kernelINS0_14default_configENS1_35radix_sort_onesweep_config_selectorIdlEEZZNS1_29radix_sort_onesweep_iterationIS3_Lb0EPdS7_N6thrust23THRUST_200600_302600_NS10device_ptrIlEESB_jNS0_19identity_decomposerENS1_16block_id_wrapperIjLb1EEEEE10hipError_tT1_PNSt15iterator_traitsISG_E10value_typeET2_T3_PNSH_ISM_E10value_typeET4_T5_PSR_SS_PNS1_23onesweep_lookback_stateEbbT6_jjT7_P12ihipStream_tbENKUlT_T0_SG_SL_E_clIS7_S7_SB_SB_EEDaSZ_S10_SG_SL_EUlSZ_E_NS1_11comp_targetILNS1_3genE9ELNS1_11target_archE1100ELNS1_3gpuE3ELNS1_3repE0EEENS1_47radix_sort_onesweep_sort_config_static_selectorELNS0_4arch9wavefront6targetE1EEEvSG_
    .private_segment_fixed_size: 0
    .sgpr_count:     4
    .sgpr_spill_count: 0
    .symbol:         _ZN7rocprim17ROCPRIM_400000_NS6detail17trampoline_kernelINS0_14default_configENS1_35radix_sort_onesweep_config_selectorIdlEEZZNS1_29radix_sort_onesweep_iterationIS3_Lb0EPdS7_N6thrust23THRUST_200600_302600_NS10device_ptrIlEESB_jNS0_19identity_decomposerENS1_16block_id_wrapperIjLb1EEEEE10hipError_tT1_PNSt15iterator_traitsISG_E10value_typeET2_T3_PNSH_ISM_E10value_typeET4_T5_PSR_SS_PNS1_23onesweep_lookback_stateEbbT6_jjT7_P12ihipStream_tbENKUlT_T0_SG_SL_E_clIS7_S7_SB_SB_EEDaSZ_S10_SG_SL_EUlSZ_E_NS1_11comp_targetILNS1_3genE9ELNS1_11target_archE1100ELNS1_3gpuE3ELNS1_3repE0EEENS1_47radix_sort_onesweep_sort_config_static_selectorELNS0_4arch9wavefront6targetE1EEEvSG_.kd
    .uniform_work_group_size: 1
    .uses_dynamic_stack: false
    .vgpr_count:     0
    .vgpr_spill_count: 0
    .wavefront_size: 64
  - .agpr_count:     0
    .args:
      - .offset:         0
        .size:           88
        .value_kind:     by_value
    .group_segment_fixed_size: 0
    .kernarg_segment_align: 8
    .kernarg_segment_size: 88
    .language:       OpenCL C
    .language_version:
      - 2
      - 0
    .max_flat_workgroup_size: 1024
    .name:           _ZN7rocprim17ROCPRIM_400000_NS6detail17trampoline_kernelINS0_14default_configENS1_35radix_sort_onesweep_config_selectorIdlEEZZNS1_29radix_sort_onesweep_iterationIS3_Lb0EPdS7_N6thrust23THRUST_200600_302600_NS10device_ptrIlEESB_jNS0_19identity_decomposerENS1_16block_id_wrapperIjLb1EEEEE10hipError_tT1_PNSt15iterator_traitsISG_E10value_typeET2_T3_PNSH_ISM_E10value_typeET4_T5_PSR_SS_PNS1_23onesweep_lookback_stateEbbT6_jjT7_P12ihipStream_tbENKUlT_T0_SG_SL_E_clIS7_S7_SB_SB_EEDaSZ_S10_SG_SL_EUlSZ_E_NS1_11comp_targetILNS1_3genE8ELNS1_11target_archE1030ELNS1_3gpuE2ELNS1_3repE0EEENS1_47radix_sort_onesweep_sort_config_static_selectorELNS0_4arch9wavefront6targetE1EEEvSG_
    .private_segment_fixed_size: 0
    .sgpr_count:     4
    .sgpr_spill_count: 0
    .symbol:         _ZN7rocprim17ROCPRIM_400000_NS6detail17trampoline_kernelINS0_14default_configENS1_35radix_sort_onesweep_config_selectorIdlEEZZNS1_29radix_sort_onesweep_iterationIS3_Lb0EPdS7_N6thrust23THRUST_200600_302600_NS10device_ptrIlEESB_jNS0_19identity_decomposerENS1_16block_id_wrapperIjLb1EEEEE10hipError_tT1_PNSt15iterator_traitsISG_E10value_typeET2_T3_PNSH_ISM_E10value_typeET4_T5_PSR_SS_PNS1_23onesweep_lookback_stateEbbT6_jjT7_P12ihipStream_tbENKUlT_T0_SG_SL_E_clIS7_S7_SB_SB_EEDaSZ_S10_SG_SL_EUlSZ_E_NS1_11comp_targetILNS1_3genE8ELNS1_11target_archE1030ELNS1_3gpuE2ELNS1_3repE0EEENS1_47radix_sort_onesweep_sort_config_static_selectorELNS0_4arch9wavefront6targetE1EEEvSG_.kd
    .uniform_work_group_size: 1
    .uses_dynamic_stack: false
    .vgpr_count:     0
    .vgpr_spill_count: 0
    .wavefront_size: 64
  - .agpr_count:     0
    .args:
      - .offset:         0
        .size:           88
        .value_kind:     by_value
    .group_segment_fixed_size: 0
    .kernarg_segment_align: 8
    .kernarg_segment_size: 88
    .language:       OpenCL C
    .language_version:
      - 2
      - 0
    .max_flat_workgroup_size: 512
    .name:           _ZN7rocprim17ROCPRIM_400000_NS6detail17trampoline_kernelINS0_14default_configENS1_35radix_sort_onesweep_config_selectorIdlEEZZNS1_29radix_sort_onesweep_iterationIS3_Lb0EPdS7_N6thrust23THRUST_200600_302600_NS10device_ptrIlEESB_jNS0_19identity_decomposerENS1_16block_id_wrapperIjLb1EEEEE10hipError_tT1_PNSt15iterator_traitsISG_E10value_typeET2_T3_PNSH_ISM_E10value_typeET4_T5_PSR_SS_PNS1_23onesweep_lookback_stateEbbT6_jjT7_P12ihipStream_tbENKUlT_T0_SG_SL_E_clIS7_S7_SB_PlEEDaSZ_S10_SG_SL_EUlSZ_E_NS1_11comp_targetILNS1_3genE0ELNS1_11target_archE4294967295ELNS1_3gpuE0ELNS1_3repE0EEENS1_47radix_sort_onesweep_sort_config_static_selectorELNS0_4arch9wavefront6targetE1EEEvSG_
    .private_segment_fixed_size: 0
    .sgpr_count:     4
    .sgpr_spill_count: 0
    .symbol:         _ZN7rocprim17ROCPRIM_400000_NS6detail17trampoline_kernelINS0_14default_configENS1_35radix_sort_onesweep_config_selectorIdlEEZZNS1_29radix_sort_onesweep_iterationIS3_Lb0EPdS7_N6thrust23THRUST_200600_302600_NS10device_ptrIlEESB_jNS0_19identity_decomposerENS1_16block_id_wrapperIjLb1EEEEE10hipError_tT1_PNSt15iterator_traitsISG_E10value_typeET2_T3_PNSH_ISM_E10value_typeET4_T5_PSR_SS_PNS1_23onesweep_lookback_stateEbbT6_jjT7_P12ihipStream_tbENKUlT_T0_SG_SL_E_clIS7_S7_SB_PlEEDaSZ_S10_SG_SL_EUlSZ_E_NS1_11comp_targetILNS1_3genE0ELNS1_11target_archE4294967295ELNS1_3gpuE0ELNS1_3repE0EEENS1_47radix_sort_onesweep_sort_config_static_selectorELNS0_4arch9wavefront6targetE1EEEvSG_.kd
    .uniform_work_group_size: 1
    .uses_dynamic_stack: false
    .vgpr_count:     0
    .vgpr_spill_count: 0
    .wavefront_size: 64
  - .agpr_count:     0
    .args:
      - .offset:         0
        .size:           88
        .value_kind:     by_value
    .group_segment_fixed_size: 0
    .kernarg_segment_align: 8
    .kernarg_segment_size: 88
    .language:       OpenCL C
    .language_version:
      - 2
      - 0
    .max_flat_workgroup_size: 1024
    .name:           _ZN7rocprim17ROCPRIM_400000_NS6detail17trampoline_kernelINS0_14default_configENS1_35radix_sort_onesweep_config_selectorIdlEEZZNS1_29radix_sort_onesweep_iterationIS3_Lb0EPdS7_N6thrust23THRUST_200600_302600_NS10device_ptrIlEESB_jNS0_19identity_decomposerENS1_16block_id_wrapperIjLb1EEEEE10hipError_tT1_PNSt15iterator_traitsISG_E10value_typeET2_T3_PNSH_ISM_E10value_typeET4_T5_PSR_SS_PNS1_23onesweep_lookback_stateEbbT6_jjT7_P12ihipStream_tbENKUlT_T0_SG_SL_E_clIS7_S7_SB_PlEEDaSZ_S10_SG_SL_EUlSZ_E_NS1_11comp_targetILNS1_3genE6ELNS1_11target_archE950ELNS1_3gpuE13ELNS1_3repE0EEENS1_47radix_sort_onesweep_sort_config_static_selectorELNS0_4arch9wavefront6targetE1EEEvSG_
    .private_segment_fixed_size: 0
    .sgpr_count:     4
    .sgpr_spill_count: 0
    .symbol:         _ZN7rocprim17ROCPRIM_400000_NS6detail17trampoline_kernelINS0_14default_configENS1_35radix_sort_onesweep_config_selectorIdlEEZZNS1_29radix_sort_onesweep_iterationIS3_Lb0EPdS7_N6thrust23THRUST_200600_302600_NS10device_ptrIlEESB_jNS0_19identity_decomposerENS1_16block_id_wrapperIjLb1EEEEE10hipError_tT1_PNSt15iterator_traitsISG_E10value_typeET2_T3_PNSH_ISM_E10value_typeET4_T5_PSR_SS_PNS1_23onesweep_lookback_stateEbbT6_jjT7_P12ihipStream_tbENKUlT_T0_SG_SL_E_clIS7_S7_SB_PlEEDaSZ_S10_SG_SL_EUlSZ_E_NS1_11comp_targetILNS1_3genE6ELNS1_11target_archE950ELNS1_3gpuE13ELNS1_3repE0EEENS1_47radix_sort_onesweep_sort_config_static_selectorELNS0_4arch9wavefront6targetE1EEEvSG_.kd
    .uniform_work_group_size: 1
    .uses_dynamic_stack: false
    .vgpr_count:     0
    .vgpr_spill_count: 0
    .wavefront_size: 64
  - .agpr_count:     0
    .args:
      - .offset:         0
        .size:           88
        .value_kind:     by_value
    .group_segment_fixed_size: 0
    .kernarg_segment_align: 8
    .kernarg_segment_size: 88
    .language:       OpenCL C
    .language_version:
      - 2
      - 0
    .max_flat_workgroup_size: 1024
    .name:           _ZN7rocprim17ROCPRIM_400000_NS6detail17trampoline_kernelINS0_14default_configENS1_35radix_sort_onesweep_config_selectorIdlEEZZNS1_29radix_sort_onesweep_iterationIS3_Lb0EPdS7_N6thrust23THRUST_200600_302600_NS10device_ptrIlEESB_jNS0_19identity_decomposerENS1_16block_id_wrapperIjLb1EEEEE10hipError_tT1_PNSt15iterator_traitsISG_E10value_typeET2_T3_PNSH_ISM_E10value_typeET4_T5_PSR_SS_PNS1_23onesweep_lookback_stateEbbT6_jjT7_P12ihipStream_tbENKUlT_T0_SG_SL_E_clIS7_S7_SB_PlEEDaSZ_S10_SG_SL_EUlSZ_E_NS1_11comp_targetILNS1_3genE5ELNS1_11target_archE942ELNS1_3gpuE9ELNS1_3repE0EEENS1_47radix_sort_onesweep_sort_config_static_selectorELNS0_4arch9wavefront6targetE1EEEvSG_
    .private_segment_fixed_size: 0
    .sgpr_count:     4
    .sgpr_spill_count: 0
    .symbol:         _ZN7rocprim17ROCPRIM_400000_NS6detail17trampoline_kernelINS0_14default_configENS1_35radix_sort_onesweep_config_selectorIdlEEZZNS1_29radix_sort_onesweep_iterationIS3_Lb0EPdS7_N6thrust23THRUST_200600_302600_NS10device_ptrIlEESB_jNS0_19identity_decomposerENS1_16block_id_wrapperIjLb1EEEEE10hipError_tT1_PNSt15iterator_traitsISG_E10value_typeET2_T3_PNSH_ISM_E10value_typeET4_T5_PSR_SS_PNS1_23onesweep_lookback_stateEbbT6_jjT7_P12ihipStream_tbENKUlT_T0_SG_SL_E_clIS7_S7_SB_PlEEDaSZ_S10_SG_SL_EUlSZ_E_NS1_11comp_targetILNS1_3genE5ELNS1_11target_archE942ELNS1_3gpuE9ELNS1_3repE0EEENS1_47radix_sort_onesweep_sort_config_static_selectorELNS0_4arch9wavefront6targetE1EEEvSG_.kd
    .uniform_work_group_size: 1
    .uses_dynamic_stack: false
    .vgpr_count:     0
    .vgpr_spill_count: 0
    .wavefront_size: 64
  - .agpr_count:     0
    .args:
      - .offset:         0
        .size:           88
        .value_kind:     by_value
    .group_segment_fixed_size: 0
    .kernarg_segment_align: 8
    .kernarg_segment_size: 88
    .language:       OpenCL C
    .language_version:
      - 2
      - 0
    .max_flat_workgroup_size: 512
    .name:           _ZN7rocprim17ROCPRIM_400000_NS6detail17trampoline_kernelINS0_14default_configENS1_35radix_sort_onesweep_config_selectorIdlEEZZNS1_29radix_sort_onesweep_iterationIS3_Lb0EPdS7_N6thrust23THRUST_200600_302600_NS10device_ptrIlEESB_jNS0_19identity_decomposerENS1_16block_id_wrapperIjLb1EEEEE10hipError_tT1_PNSt15iterator_traitsISG_E10value_typeET2_T3_PNSH_ISM_E10value_typeET4_T5_PSR_SS_PNS1_23onesweep_lookback_stateEbbT6_jjT7_P12ihipStream_tbENKUlT_T0_SG_SL_E_clIS7_S7_SB_PlEEDaSZ_S10_SG_SL_EUlSZ_E_NS1_11comp_targetILNS1_3genE2ELNS1_11target_archE906ELNS1_3gpuE6ELNS1_3repE0EEENS1_47radix_sort_onesweep_sort_config_static_selectorELNS0_4arch9wavefront6targetE1EEEvSG_
    .private_segment_fixed_size: 0
    .sgpr_count:     4
    .sgpr_spill_count: 0
    .symbol:         _ZN7rocprim17ROCPRIM_400000_NS6detail17trampoline_kernelINS0_14default_configENS1_35radix_sort_onesweep_config_selectorIdlEEZZNS1_29radix_sort_onesweep_iterationIS3_Lb0EPdS7_N6thrust23THRUST_200600_302600_NS10device_ptrIlEESB_jNS0_19identity_decomposerENS1_16block_id_wrapperIjLb1EEEEE10hipError_tT1_PNSt15iterator_traitsISG_E10value_typeET2_T3_PNSH_ISM_E10value_typeET4_T5_PSR_SS_PNS1_23onesweep_lookback_stateEbbT6_jjT7_P12ihipStream_tbENKUlT_T0_SG_SL_E_clIS7_S7_SB_PlEEDaSZ_S10_SG_SL_EUlSZ_E_NS1_11comp_targetILNS1_3genE2ELNS1_11target_archE906ELNS1_3gpuE6ELNS1_3repE0EEENS1_47radix_sort_onesweep_sort_config_static_selectorELNS0_4arch9wavefront6targetE1EEEvSG_.kd
    .uniform_work_group_size: 1
    .uses_dynamic_stack: false
    .vgpr_count:     0
    .vgpr_spill_count: 0
    .wavefront_size: 64
  - .agpr_count:     0
    .args:
      - .offset:         0
        .size:           88
        .value_kind:     by_value
      - .offset:         88
        .size:           4
        .value_kind:     hidden_block_count_x
      - .offset:         92
        .size:           4
        .value_kind:     hidden_block_count_y
      - .offset:         96
        .size:           4
        .value_kind:     hidden_block_count_z
      - .offset:         100
        .size:           2
        .value_kind:     hidden_group_size_x
      - .offset:         102
        .size:           2
        .value_kind:     hidden_group_size_y
      - .offset:         104
        .size:           2
        .value_kind:     hidden_group_size_z
      - .offset:         106
        .size:           2
        .value_kind:     hidden_remainder_x
      - .offset:         108
        .size:           2
        .value_kind:     hidden_remainder_y
      - .offset:         110
        .size:           2
        .value_kind:     hidden_remainder_z
      - .offset:         128
        .size:           8
        .value_kind:     hidden_global_offset_x
      - .offset:         136
        .size:           8
        .value_kind:     hidden_global_offset_y
      - .offset:         144
        .size:           8
        .value_kind:     hidden_global_offset_z
      - .offset:         152
        .size:           2
        .value_kind:     hidden_grid_dims
    .group_segment_fixed_size: 20552
    .kernarg_segment_align: 8
    .kernarg_segment_size: 344
    .language:       OpenCL C
    .language_version:
      - 2
      - 0
    .max_flat_workgroup_size: 1024
    .name:           _ZN7rocprim17ROCPRIM_400000_NS6detail17trampoline_kernelINS0_14default_configENS1_35radix_sort_onesweep_config_selectorIdlEEZZNS1_29radix_sort_onesweep_iterationIS3_Lb0EPdS7_N6thrust23THRUST_200600_302600_NS10device_ptrIlEESB_jNS0_19identity_decomposerENS1_16block_id_wrapperIjLb1EEEEE10hipError_tT1_PNSt15iterator_traitsISG_E10value_typeET2_T3_PNSH_ISM_E10value_typeET4_T5_PSR_SS_PNS1_23onesweep_lookback_stateEbbT6_jjT7_P12ihipStream_tbENKUlT_T0_SG_SL_E_clIS7_S7_SB_PlEEDaSZ_S10_SG_SL_EUlSZ_E_NS1_11comp_targetILNS1_3genE4ELNS1_11target_archE910ELNS1_3gpuE8ELNS1_3repE0EEENS1_47radix_sort_onesweep_sort_config_static_selectorELNS0_4arch9wavefront6targetE1EEEvSG_
    .private_segment_fixed_size: 0
    .sgpr_count:     60
    .sgpr_spill_count: 0
    .symbol:         _ZN7rocprim17ROCPRIM_400000_NS6detail17trampoline_kernelINS0_14default_configENS1_35radix_sort_onesweep_config_selectorIdlEEZZNS1_29radix_sort_onesweep_iterationIS3_Lb0EPdS7_N6thrust23THRUST_200600_302600_NS10device_ptrIlEESB_jNS0_19identity_decomposerENS1_16block_id_wrapperIjLb1EEEEE10hipError_tT1_PNSt15iterator_traitsISG_E10value_typeET2_T3_PNSH_ISM_E10value_typeET4_T5_PSR_SS_PNS1_23onesweep_lookback_stateEbbT6_jjT7_P12ihipStream_tbENKUlT_T0_SG_SL_E_clIS7_S7_SB_PlEEDaSZ_S10_SG_SL_EUlSZ_E_NS1_11comp_targetILNS1_3genE4ELNS1_11target_archE910ELNS1_3gpuE8ELNS1_3repE0EEENS1_47radix_sort_onesweep_sort_config_static_selectorELNS0_4arch9wavefront6targetE1EEEvSG_.kd
    .uniform_work_group_size: 1
    .uses_dynamic_stack: false
    .vgpr_count:     57
    .vgpr_spill_count: 0
    .wavefront_size: 64
  - .agpr_count:     0
    .args:
      - .offset:         0
        .size:           88
        .value_kind:     by_value
    .group_segment_fixed_size: 0
    .kernarg_segment_align: 8
    .kernarg_segment_size: 88
    .language:       OpenCL C
    .language_version:
      - 2
      - 0
    .max_flat_workgroup_size: 512
    .name:           _ZN7rocprim17ROCPRIM_400000_NS6detail17trampoline_kernelINS0_14default_configENS1_35radix_sort_onesweep_config_selectorIdlEEZZNS1_29radix_sort_onesweep_iterationIS3_Lb0EPdS7_N6thrust23THRUST_200600_302600_NS10device_ptrIlEESB_jNS0_19identity_decomposerENS1_16block_id_wrapperIjLb1EEEEE10hipError_tT1_PNSt15iterator_traitsISG_E10value_typeET2_T3_PNSH_ISM_E10value_typeET4_T5_PSR_SS_PNS1_23onesweep_lookback_stateEbbT6_jjT7_P12ihipStream_tbENKUlT_T0_SG_SL_E_clIS7_S7_SB_PlEEDaSZ_S10_SG_SL_EUlSZ_E_NS1_11comp_targetILNS1_3genE3ELNS1_11target_archE908ELNS1_3gpuE7ELNS1_3repE0EEENS1_47radix_sort_onesweep_sort_config_static_selectorELNS0_4arch9wavefront6targetE1EEEvSG_
    .private_segment_fixed_size: 0
    .sgpr_count:     4
    .sgpr_spill_count: 0
    .symbol:         _ZN7rocprim17ROCPRIM_400000_NS6detail17trampoline_kernelINS0_14default_configENS1_35radix_sort_onesweep_config_selectorIdlEEZZNS1_29radix_sort_onesweep_iterationIS3_Lb0EPdS7_N6thrust23THRUST_200600_302600_NS10device_ptrIlEESB_jNS0_19identity_decomposerENS1_16block_id_wrapperIjLb1EEEEE10hipError_tT1_PNSt15iterator_traitsISG_E10value_typeET2_T3_PNSH_ISM_E10value_typeET4_T5_PSR_SS_PNS1_23onesweep_lookback_stateEbbT6_jjT7_P12ihipStream_tbENKUlT_T0_SG_SL_E_clIS7_S7_SB_PlEEDaSZ_S10_SG_SL_EUlSZ_E_NS1_11comp_targetILNS1_3genE3ELNS1_11target_archE908ELNS1_3gpuE7ELNS1_3repE0EEENS1_47radix_sort_onesweep_sort_config_static_selectorELNS0_4arch9wavefront6targetE1EEEvSG_.kd
    .uniform_work_group_size: 1
    .uses_dynamic_stack: false
    .vgpr_count:     0
    .vgpr_spill_count: 0
    .wavefront_size: 64
  - .agpr_count:     0
    .args:
      - .offset:         0
        .size:           88
        .value_kind:     by_value
    .group_segment_fixed_size: 0
    .kernarg_segment_align: 8
    .kernarg_segment_size: 88
    .language:       OpenCL C
    .language_version:
      - 2
      - 0
    .max_flat_workgroup_size: 1024
    .name:           _ZN7rocprim17ROCPRIM_400000_NS6detail17trampoline_kernelINS0_14default_configENS1_35radix_sort_onesweep_config_selectorIdlEEZZNS1_29radix_sort_onesweep_iterationIS3_Lb0EPdS7_N6thrust23THRUST_200600_302600_NS10device_ptrIlEESB_jNS0_19identity_decomposerENS1_16block_id_wrapperIjLb1EEEEE10hipError_tT1_PNSt15iterator_traitsISG_E10value_typeET2_T3_PNSH_ISM_E10value_typeET4_T5_PSR_SS_PNS1_23onesweep_lookback_stateEbbT6_jjT7_P12ihipStream_tbENKUlT_T0_SG_SL_E_clIS7_S7_SB_PlEEDaSZ_S10_SG_SL_EUlSZ_E_NS1_11comp_targetILNS1_3genE10ELNS1_11target_archE1201ELNS1_3gpuE5ELNS1_3repE0EEENS1_47radix_sort_onesweep_sort_config_static_selectorELNS0_4arch9wavefront6targetE1EEEvSG_
    .private_segment_fixed_size: 0
    .sgpr_count:     4
    .sgpr_spill_count: 0
    .symbol:         _ZN7rocprim17ROCPRIM_400000_NS6detail17trampoline_kernelINS0_14default_configENS1_35radix_sort_onesweep_config_selectorIdlEEZZNS1_29radix_sort_onesweep_iterationIS3_Lb0EPdS7_N6thrust23THRUST_200600_302600_NS10device_ptrIlEESB_jNS0_19identity_decomposerENS1_16block_id_wrapperIjLb1EEEEE10hipError_tT1_PNSt15iterator_traitsISG_E10value_typeET2_T3_PNSH_ISM_E10value_typeET4_T5_PSR_SS_PNS1_23onesweep_lookback_stateEbbT6_jjT7_P12ihipStream_tbENKUlT_T0_SG_SL_E_clIS7_S7_SB_PlEEDaSZ_S10_SG_SL_EUlSZ_E_NS1_11comp_targetILNS1_3genE10ELNS1_11target_archE1201ELNS1_3gpuE5ELNS1_3repE0EEENS1_47radix_sort_onesweep_sort_config_static_selectorELNS0_4arch9wavefront6targetE1EEEvSG_.kd
    .uniform_work_group_size: 1
    .uses_dynamic_stack: false
    .vgpr_count:     0
    .vgpr_spill_count: 0
    .wavefront_size: 64
  - .agpr_count:     0
    .args:
      - .offset:         0
        .size:           88
        .value_kind:     by_value
    .group_segment_fixed_size: 0
    .kernarg_segment_align: 8
    .kernarg_segment_size: 88
    .language:       OpenCL C
    .language_version:
      - 2
      - 0
    .max_flat_workgroup_size: 1024
    .name:           _ZN7rocprim17ROCPRIM_400000_NS6detail17trampoline_kernelINS0_14default_configENS1_35radix_sort_onesweep_config_selectorIdlEEZZNS1_29radix_sort_onesweep_iterationIS3_Lb0EPdS7_N6thrust23THRUST_200600_302600_NS10device_ptrIlEESB_jNS0_19identity_decomposerENS1_16block_id_wrapperIjLb1EEEEE10hipError_tT1_PNSt15iterator_traitsISG_E10value_typeET2_T3_PNSH_ISM_E10value_typeET4_T5_PSR_SS_PNS1_23onesweep_lookback_stateEbbT6_jjT7_P12ihipStream_tbENKUlT_T0_SG_SL_E_clIS7_S7_SB_PlEEDaSZ_S10_SG_SL_EUlSZ_E_NS1_11comp_targetILNS1_3genE9ELNS1_11target_archE1100ELNS1_3gpuE3ELNS1_3repE0EEENS1_47radix_sort_onesweep_sort_config_static_selectorELNS0_4arch9wavefront6targetE1EEEvSG_
    .private_segment_fixed_size: 0
    .sgpr_count:     4
    .sgpr_spill_count: 0
    .symbol:         _ZN7rocprim17ROCPRIM_400000_NS6detail17trampoline_kernelINS0_14default_configENS1_35radix_sort_onesweep_config_selectorIdlEEZZNS1_29radix_sort_onesweep_iterationIS3_Lb0EPdS7_N6thrust23THRUST_200600_302600_NS10device_ptrIlEESB_jNS0_19identity_decomposerENS1_16block_id_wrapperIjLb1EEEEE10hipError_tT1_PNSt15iterator_traitsISG_E10value_typeET2_T3_PNSH_ISM_E10value_typeET4_T5_PSR_SS_PNS1_23onesweep_lookback_stateEbbT6_jjT7_P12ihipStream_tbENKUlT_T0_SG_SL_E_clIS7_S7_SB_PlEEDaSZ_S10_SG_SL_EUlSZ_E_NS1_11comp_targetILNS1_3genE9ELNS1_11target_archE1100ELNS1_3gpuE3ELNS1_3repE0EEENS1_47radix_sort_onesweep_sort_config_static_selectorELNS0_4arch9wavefront6targetE1EEEvSG_.kd
    .uniform_work_group_size: 1
    .uses_dynamic_stack: false
    .vgpr_count:     0
    .vgpr_spill_count: 0
    .wavefront_size: 64
  - .agpr_count:     0
    .args:
      - .offset:         0
        .size:           88
        .value_kind:     by_value
    .group_segment_fixed_size: 0
    .kernarg_segment_align: 8
    .kernarg_segment_size: 88
    .language:       OpenCL C
    .language_version:
      - 2
      - 0
    .max_flat_workgroup_size: 1024
    .name:           _ZN7rocprim17ROCPRIM_400000_NS6detail17trampoline_kernelINS0_14default_configENS1_35radix_sort_onesweep_config_selectorIdlEEZZNS1_29radix_sort_onesweep_iterationIS3_Lb0EPdS7_N6thrust23THRUST_200600_302600_NS10device_ptrIlEESB_jNS0_19identity_decomposerENS1_16block_id_wrapperIjLb1EEEEE10hipError_tT1_PNSt15iterator_traitsISG_E10value_typeET2_T3_PNSH_ISM_E10value_typeET4_T5_PSR_SS_PNS1_23onesweep_lookback_stateEbbT6_jjT7_P12ihipStream_tbENKUlT_T0_SG_SL_E_clIS7_S7_SB_PlEEDaSZ_S10_SG_SL_EUlSZ_E_NS1_11comp_targetILNS1_3genE8ELNS1_11target_archE1030ELNS1_3gpuE2ELNS1_3repE0EEENS1_47radix_sort_onesweep_sort_config_static_selectorELNS0_4arch9wavefront6targetE1EEEvSG_
    .private_segment_fixed_size: 0
    .sgpr_count:     4
    .sgpr_spill_count: 0
    .symbol:         _ZN7rocprim17ROCPRIM_400000_NS6detail17trampoline_kernelINS0_14default_configENS1_35radix_sort_onesweep_config_selectorIdlEEZZNS1_29radix_sort_onesweep_iterationIS3_Lb0EPdS7_N6thrust23THRUST_200600_302600_NS10device_ptrIlEESB_jNS0_19identity_decomposerENS1_16block_id_wrapperIjLb1EEEEE10hipError_tT1_PNSt15iterator_traitsISG_E10value_typeET2_T3_PNSH_ISM_E10value_typeET4_T5_PSR_SS_PNS1_23onesweep_lookback_stateEbbT6_jjT7_P12ihipStream_tbENKUlT_T0_SG_SL_E_clIS7_S7_SB_PlEEDaSZ_S10_SG_SL_EUlSZ_E_NS1_11comp_targetILNS1_3genE8ELNS1_11target_archE1030ELNS1_3gpuE2ELNS1_3repE0EEENS1_47radix_sort_onesweep_sort_config_static_selectorELNS0_4arch9wavefront6targetE1EEEvSG_.kd
    .uniform_work_group_size: 1
    .uses_dynamic_stack: false
    .vgpr_count:     0
    .vgpr_spill_count: 0
    .wavefront_size: 64
  - .agpr_count:     0
    .args:
      - .offset:         0
        .size:           88
        .value_kind:     by_value
    .group_segment_fixed_size: 0
    .kernarg_segment_align: 8
    .kernarg_segment_size: 88
    .language:       OpenCL C
    .language_version:
      - 2
      - 0
    .max_flat_workgroup_size: 512
    .name:           _ZN7rocprim17ROCPRIM_400000_NS6detail17trampoline_kernelINS0_14default_configENS1_35radix_sort_onesweep_config_selectorIdlEEZZNS1_29radix_sort_onesweep_iterationIS3_Lb0EPdS7_N6thrust23THRUST_200600_302600_NS10device_ptrIlEESB_jNS0_19identity_decomposerENS1_16block_id_wrapperIjLb1EEEEE10hipError_tT1_PNSt15iterator_traitsISG_E10value_typeET2_T3_PNSH_ISM_E10value_typeET4_T5_PSR_SS_PNS1_23onesweep_lookback_stateEbbT6_jjT7_P12ihipStream_tbENKUlT_T0_SG_SL_E_clIS7_S7_PlSB_EEDaSZ_S10_SG_SL_EUlSZ_E_NS1_11comp_targetILNS1_3genE0ELNS1_11target_archE4294967295ELNS1_3gpuE0ELNS1_3repE0EEENS1_47radix_sort_onesweep_sort_config_static_selectorELNS0_4arch9wavefront6targetE1EEEvSG_
    .private_segment_fixed_size: 0
    .sgpr_count:     4
    .sgpr_spill_count: 0
    .symbol:         _ZN7rocprim17ROCPRIM_400000_NS6detail17trampoline_kernelINS0_14default_configENS1_35radix_sort_onesweep_config_selectorIdlEEZZNS1_29radix_sort_onesweep_iterationIS3_Lb0EPdS7_N6thrust23THRUST_200600_302600_NS10device_ptrIlEESB_jNS0_19identity_decomposerENS1_16block_id_wrapperIjLb1EEEEE10hipError_tT1_PNSt15iterator_traitsISG_E10value_typeET2_T3_PNSH_ISM_E10value_typeET4_T5_PSR_SS_PNS1_23onesweep_lookback_stateEbbT6_jjT7_P12ihipStream_tbENKUlT_T0_SG_SL_E_clIS7_S7_PlSB_EEDaSZ_S10_SG_SL_EUlSZ_E_NS1_11comp_targetILNS1_3genE0ELNS1_11target_archE4294967295ELNS1_3gpuE0ELNS1_3repE0EEENS1_47radix_sort_onesweep_sort_config_static_selectorELNS0_4arch9wavefront6targetE1EEEvSG_.kd
    .uniform_work_group_size: 1
    .uses_dynamic_stack: false
    .vgpr_count:     0
    .vgpr_spill_count: 0
    .wavefront_size: 64
  - .agpr_count:     0
    .args:
      - .offset:         0
        .size:           88
        .value_kind:     by_value
    .group_segment_fixed_size: 0
    .kernarg_segment_align: 8
    .kernarg_segment_size: 88
    .language:       OpenCL C
    .language_version:
      - 2
      - 0
    .max_flat_workgroup_size: 1024
    .name:           _ZN7rocprim17ROCPRIM_400000_NS6detail17trampoline_kernelINS0_14default_configENS1_35radix_sort_onesweep_config_selectorIdlEEZZNS1_29radix_sort_onesweep_iterationIS3_Lb0EPdS7_N6thrust23THRUST_200600_302600_NS10device_ptrIlEESB_jNS0_19identity_decomposerENS1_16block_id_wrapperIjLb1EEEEE10hipError_tT1_PNSt15iterator_traitsISG_E10value_typeET2_T3_PNSH_ISM_E10value_typeET4_T5_PSR_SS_PNS1_23onesweep_lookback_stateEbbT6_jjT7_P12ihipStream_tbENKUlT_T0_SG_SL_E_clIS7_S7_PlSB_EEDaSZ_S10_SG_SL_EUlSZ_E_NS1_11comp_targetILNS1_3genE6ELNS1_11target_archE950ELNS1_3gpuE13ELNS1_3repE0EEENS1_47radix_sort_onesweep_sort_config_static_selectorELNS0_4arch9wavefront6targetE1EEEvSG_
    .private_segment_fixed_size: 0
    .sgpr_count:     4
    .sgpr_spill_count: 0
    .symbol:         _ZN7rocprim17ROCPRIM_400000_NS6detail17trampoline_kernelINS0_14default_configENS1_35radix_sort_onesweep_config_selectorIdlEEZZNS1_29radix_sort_onesweep_iterationIS3_Lb0EPdS7_N6thrust23THRUST_200600_302600_NS10device_ptrIlEESB_jNS0_19identity_decomposerENS1_16block_id_wrapperIjLb1EEEEE10hipError_tT1_PNSt15iterator_traitsISG_E10value_typeET2_T3_PNSH_ISM_E10value_typeET4_T5_PSR_SS_PNS1_23onesweep_lookback_stateEbbT6_jjT7_P12ihipStream_tbENKUlT_T0_SG_SL_E_clIS7_S7_PlSB_EEDaSZ_S10_SG_SL_EUlSZ_E_NS1_11comp_targetILNS1_3genE6ELNS1_11target_archE950ELNS1_3gpuE13ELNS1_3repE0EEENS1_47radix_sort_onesweep_sort_config_static_selectorELNS0_4arch9wavefront6targetE1EEEvSG_.kd
    .uniform_work_group_size: 1
    .uses_dynamic_stack: false
    .vgpr_count:     0
    .vgpr_spill_count: 0
    .wavefront_size: 64
  - .agpr_count:     0
    .args:
      - .offset:         0
        .size:           88
        .value_kind:     by_value
    .group_segment_fixed_size: 0
    .kernarg_segment_align: 8
    .kernarg_segment_size: 88
    .language:       OpenCL C
    .language_version:
      - 2
      - 0
    .max_flat_workgroup_size: 1024
    .name:           _ZN7rocprim17ROCPRIM_400000_NS6detail17trampoline_kernelINS0_14default_configENS1_35radix_sort_onesweep_config_selectorIdlEEZZNS1_29radix_sort_onesweep_iterationIS3_Lb0EPdS7_N6thrust23THRUST_200600_302600_NS10device_ptrIlEESB_jNS0_19identity_decomposerENS1_16block_id_wrapperIjLb1EEEEE10hipError_tT1_PNSt15iterator_traitsISG_E10value_typeET2_T3_PNSH_ISM_E10value_typeET4_T5_PSR_SS_PNS1_23onesweep_lookback_stateEbbT6_jjT7_P12ihipStream_tbENKUlT_T0_SG_SL_E_clIS7_S7_PlSB_EEDaSZ_S10_SG_SL_EUlSZ_E_NS1_11comp_targetILNS1_3genE5ELNS1_11target_archE942ELNS1_3gpuE9ELNS1_3repE0EEENS1_47radix_sort_onesweep_sort_config_static_selectorELNS0_4arch9wavefront6targetE1EEEvSG_
    .private_segment_fixed_size: 0
    .sgpr_count:     4
    .sgpr_spill_count: 0
    .symbol:         _ZN7rocprim17ROCPRIM_400000_NS6detail17trampoline_kernelINS0_14default_configENS1_35radix_sort_onesweep_config_selectorIdlEEZZNS1_29radix_sort_onesweep_iterationIS3_Lb0EPdS7_N6thrust23THRUST_200600_302600_NS10device_ptrIlEESB_jNS0_19identity_decomposerENS1_16block_id_wrapperIjLb1EEEEE10hipError_tT1_PNSt15iterator_traitsISG_E10value_typeET2_T3_PNSH_ISM_E10value_typeET4_T5_PSR_SS_PNS1_23onesweep_lookback_stateEbbT6_jjT7_P12ihipStream_tbENKUlT_T0_SG_SL_E_clIS7_S7_PlSB_EEDaSZ_S10_SG_SL_EUlSZ_E_NS1_11comp_targetILNS1_3genE5ELNS1_11target_archE942ELNS1_3gpuE9ELNS1_3repE0EEENS1_47radix_sort_onesweep_sort_config_static_selectorELNS0_4arch9wavefront6targetE1EEEvSG_.kd
    .uniform_work_group_size: 1
    .uses_dynamic_stack: false
    .vgpr_count:     0
    .vgpr_spill_count: 0
    .wavefront_size: 64
  - .agpr_count:     0
    .args:
      - .offset:         0
        .size:           88
        .value_kind:     by_value
    .group_segment_fixed_size: 0
    .kernarg_segment_align: 8
    .kernarg_segment_size: 88
    .language:       OpenCL C
    .language_version:
      - 2
      - 0
    .max_flat_workgroup_size: 512
    .name:           _ZN7rocprim17ROCPRIM_400000_NS6detail17trampoline_kernelINS0_14default_configENS1_35radix_sort_onesweep_config_selectorIdlEEZZNS1_29radix_sort_onesweep_iterationIS3_Lb0EPdS7_N6thrust23THRUST_200600_302600_NS10device_ptrIlEESB_jNS0_19identity_decomposerENS1_16block_id_wrapperIjLb1EEEEE10hipError_tT1_PNSt15iterator_traitsISG_E10value_typeET2_T3_PNSH_ISM_E10value_typeET4_T5_PSR_SS_PNS1_23onesweep_lookback_stateEbbT6_jjT7_P12ihipStream_tbENKUlT_T0_SG_SL_E_clIS7_S7_PlSB_EEDaSZ_S10_SG_SL_EUlSZ_E_NS1_11comp_targetILNS1_3genE2ELNS1_11target_archE906ELNS1_3gpuE6ELNS1_3repE0EEENS1_47radix_sort_onesweep_sort_config_static_selectorELNS0_4arch9wavefront6targetE1EEEvSG_
    .private_segment_fixed_size: 0
    .sgpr_count:     4
    .sgpr_spill_count: 0
    .symbol:         _ZN7rocprim17ROCPRIM_400000_NS6detail17trampoline_kernelINS0_14default_configENS1_35radix_sort_onesweep_config_selectorIdlEEZZNS1_29radix_sort_onesweep_iterationIS3_Lb0EPdS7_N6thrust23THRUST_200600_302600_NS10device_ptrIlEESB_jNS0_19identity_decomposerENS1_16block_id_wrapperIjLb1EEEEE10hipError_tT1_PNSt15iterator_traitsISG_E10value_typeET2_T3_PNSH_ISM_E10value_typeET4_T5_PSR_SS_PNS1_23onesweep_lookback_stateEbbT6_jjT7_P12ihipStream_tbENKUlT_T0_SG_SL_E_clIS7_S7_PlSB_EEDaSZ_S10_SG_SL_EUlSZ_E_NS1_11comp_targetILNS1_3genE2ELNS1_11target_archE906ELNS1_3gpuE6ELNS1_3repE0EEENS1_47radix_sort_onesweep_sort_config_static_selectorELNS0_4arch9wavefront6targetE1EEEvSG_.kd
    .uniform_work_group_size: 1
    .uses_dynamic_stack: false
    .vgpr_count:     0
    .vgpr_spill_count: 0
    .wavefront_size: 64
  - .agpr_count:     0
    .args:
      - .offset:         0
        .size:           88
        .value_kind:     by_value
      - .offset:         88
        .size:           4
        .value_kind:     hidden_block_count_x
      - .offset:         92
        .size:           4
        .value_kind:     hidden_block_count_y
      - .offset:         96
        .size:           4
        .value_kind:     hidden_block_count_z
      - .offset:         100
        .size:           2
        .value_kind:     hidden_group_size_x
      - .offset:         102
        .size:           2
        .value_kind:     hidden_group_size_y
      - .offset:         104
        .size:           2
        .value_kind:     hidden_group_size_z
      - .offset:         106
        .size:           2
        .value_kind:     hidden_remainder_x
      - .offset:         108
        .size:           2
        .value_kind:     hidden_remainder_y
      - .offset:         110
        .size:           2
        .value_kind:     hidden_remainder_z
      - .offset:         128
        .size:           8
        .value_kind:     hidden_global_offset_x
      - .offset:         136
        .size:           8
        .value_kind:     hidden_global_offset_y
      - .offset:         144
        .size:           8
        .value_kind:     hidden_global_offset_z
      - .offset:         152
        .size:           2
        .value_kind:     hidden_grid_dims
    .group_segment_fixed_size: 20552
    .kernarg_segment_align: 8
    .kernarg_segment_size: 344
    .language:       OpenCL C
    .language_version:
      - 2
      - 0
    .max_flat_workgroup_size: 1024
    .name:           _ZN7rocprim17ROCPRIM_400000_NS6detail17trampoline_kernelINS0_14default_configENS1_35radix_sort_onesweep_config_selectorIdlEEZZNS1_29radix_sort_onesweep_iterationIS3_Lb0EPdS7_N6thrust23THRUST_200600_302600_NS10device_ptrIlEESB_jNS0_19identity_decomposerENS1_16block_id_wrapperIjLb1EEEEE10hipError_tT1_PNSt15iterator_traitsISG_E10value_typeET2_T3_PNSH_ISM_E10value_typeET4_T5_PSR_SS_PNS1_23onesweep_lookback_stateEbbT6_jjT7_P12ihipStream_tbENKUlT_T0_SG_SL_E_clIS7_S7_PlSB_EEDaSZ_S10_SG_SL_EUlSZ_E_NS1_11comp_targetILNS1_3genE4ELNS1_11target_archE910ELNS1_3gpuE8ELNS1_3repE0EEENS1_47radix_sort_onesweep_sort_config_static_selectorELNS0_4arch9wavefront6targetE1EEEvSG_
    .private_segment_fixed_size: 0
    .sgpr_count:     60
    .sgpr_spill_count: 0
    .symbol:         _ZN7rocprim17ROCPRIM_400000_NS6detail17trampoline_kernelINS0_14default_configENS1_35radix_sort_onesweep_config_selectorIdlEEZZNS1_29radix_sort_onesweep_iterationIS3_Lb0EPdS7_N6thrust23THRUST_200600_302600_NS10device_ptrIlEESB_jNS0_19identity_decomposerENS1_16block_id_wrapperIjLb1EEEEE10hipError_tT1_PNSt15iterator_traitsISG_E10value_typeET2_T3_PNSH_ISM_E10value_typeET4_T5_PSR_SS_PNS1_23onesweep_lookback_stateEbbT6_jjT7_P12ihipStream_tbENKUlT_T0_SG_SL_E_clIS7_S7_PlSB_EEDaSZ_S10_SG_SL_EUlSZ_E_NS1_11comp_targetILNS1_3genE4ELNS1_11target_archE910ELNS1_3gpuE8ELNS1_3repE0EEENS1_47radix_sort_onesweep_sort_config_static_selectorELNS0_4arch9wavefront6targetE1EEEvSG_.kd
    .uniform_work_group_size: 1
    .uses_dynamic_stack: false
    .vgpr_count:     57
    .vgpr_spill_count: 0
    .wavefront_size: 64
  - .agpr_count:     0
    .args:
      - .offset:         0
        .size:           88
        .value_kind:     by_value
    .group_segment_fixed_size: 0
    .kernarg_segment_align: 8
    .kernarg_segment_size: 88
    .language:       OpenCL C
    .language_version:
      - 2
      - 0
    .max_flat_workgroup_size: 512
    .name:           _ZN7rocprim17ROCPRIM_400000_NS6detail17trampoline_kernelINS0_14default_configENS1_35radix_sort_onesweep_config_selectorIdlEEZZNS1_29radix_sort_onesweep_iterationIS3_Lb0EPdS7_N6thrust23THRUST_200600_302600_NS10device_ptrIlEESB_jNS0_19identity_decomposerENS1_16block_id_wrapperIjLb1EEEEE10hipError_tT1_PNSt15iterator_traitsISG_E10value_typeET2_T3_PNSH_ISM_E10value_typeET4_T5_PSR_SS_PNS1_23onesweep_lookback_stateEbbT6_jjT7_P12ihipStream_tbENKUlT_T0_SG_SL_E_clIS7_S7_PlSB_EEDaSZ_S10_SG_SL_EUlSZ_E_NS1_11comp_targetILNS1_3genE3ELNS1_11target_archE908ELNS1_3gpuE7ELNS1_3repE0EEENS1_47radix_sort_onesweep_sort_config_static_selectorELNS0_4arch9wavefront6targetE1EEEvSG_
    .private_segment_fixed_size: 0
    .sgpr_count:     4
    .sgpr_spill_count: 0
    .symbol:         _ZN7rocprim17ROCPRIM_400000_NS6detail17trampoline_kernelINS0_14default_configENS1_35radix_sort_onesweep_config_selectorIdlEEZZNS1_29radix_sort_onesweep_iterationIS3_Lb0EPdS7_N6thrust23THRUST_200600_302600_NS10device_ptrIlEESB_jNS0_19identity_decomposerENS1_16block_id_wrapperIjLb1EEEEE10hipError_tT1_PNSt15iterator_traitsISG_E10value_typeET2_T3_PNSH_ISM_E10value_typeET4_T5_PSR_SS_PNS1_23onesweep_lookback_stateEbbT6_jjT7_P12ihipStream_tbENKUlT_T0_SG_SL_E_clIS7_S7_PlSB_EEDaSZ_S10_SG_SL_EUlSZ_E_NS1_11comp_targetILNS1_3genE3ELNS1_11target_archE908ELNS1_3gpuE7ELNS1_3repE0EEENS1_47radix_sort_onesweep_sort_config_static_selectorELNS0_4arch9wavefront6targetE1EEEvSG_.kd
    .uniform_work_group_size: 1
    .uses_dynamic_stack: false
    .vgpr_count:     0
    .vgpr_spill_count: 0
    .wavefront_size: 64
  - .agpr_count:     0
    .args:
      - .offset:         0
        .size:           88
        .value_kind:     by_value
    .group_segment_fixed_size: 0
    .kernarg_segment_align: 8
    .kernarg_segment_size: 88
    .language:       OpenCL C
    .language_version:
      - 2
      - 0
    .max_flat_workgroup_size: 1024
    .name:           _ZN7rocprim17ROCPRIM_400000_NS6detail17trampoline_kernelINS0_14default_configENS1_35radix_sort_onesweep_config_selectorIdlEEZZNS1_29radix_sort_onesweep_iterationIS3_Lb0EPdS7_N6thrust23THRUST_200600_302600_NS10device_ptrIlEESB_jNS0_19identity_decomposerENS1_16block_id_wrapperIjLb1EEEEE10hipError_tT1_PNSt15iterator_traitsISG_E10value_typeET2_T3_PNSH_ISM_E10value_typeET4_T5_PSR_SS_PNS1_23onesweep_lookback_stateEbbT6_jjT7_P12ihipStream_tbENKUlT_T0_SG_SL_E_clIS7_S7_PlSB_EEDaSZ_S10_SG_SL_EUlSZ_E_NS1_11comp_targetILNS1_3genE10ELNS1_11target_archE1201ELNS1_3gpuE5ELNS1_3repE0EEENS1_47radix_sort_onesweep_sort_config_static_selectorELNS0_4arch9wavefront6targetE1EEEvSG_
    .private_segment_fixed_size: 0
    .sgpr_count:     4
    .sgpr_spill_count: 0
    .symbol:         _ZN7rocprim17ROCPRIM_400000_NS6detail17trampoline_kernelINS0_14default_configENS1_35radix_sort_onesweep_config_selectorIdlEEZZNS1_29radix_sort_onesweep_iterationIS3_Lb0EPdS7_N6thrust23THRUST_200600_302600_NS10device_ptrIlEESB_jNS0_19identity_decomposerENS1_16block_id_wrapperIjLb1EEEEE10hipError_tT1_PNSt15iterator_traitsISG_E10value_typeET2_T3_PNSH_ISM_E10value_typeET4_T5_PSR_SS_PNS1_23onesweep_lookback_stateEbbT6_jjT7_P12ihipStream_tbENKUlT_T0_SG_SL_E_clIS7_S7_PlSB_EEDaSZ_S10_SG_SL_EUlSZ_E_NS1_11comp_targetILNS1_3genE10ELNS1_11target_archE1201ELNS1_3gpuE5ELNS1_3repE0EEENS1_47radix_sort_onesweep_sort_config_static_selectorELNS0_4arch9wavefront6targetE1EEEvSG_.kd
    .uniform_work_group_size: 1
    .uses_dynamic_stack: false
    .vgpr_count:     0
    .vgpr_spill_count: 0
    .wavefront_size: 64
  - .agpr_count:     0
    .args:
      - .offset:         0
        .size:           88
        .value_kind:     by_value
    .group_segment_fixed_size: 0
    .kernarg_segment_align: 8
    .kernarg_segment_size: 88
    .language:       OpenCL C
    .language_version:
      - 2
      - 0
    .max_flat_workgroup_size: 1024
    .name:           _ZN7rocprim17ROCPRIM_400000_NS6detail17trampoline_kernelINS0_14default_configENS1_35radix_sort_onesweep_config_selectorIdlEEZZNS1_29radix_sort_onesweep_iterationIS3_Lb0EPdS7_N6thrust23THRUST_200600_302600_NS10device_ptrIlEESB_jNS0_19identity_decomposerENS1_16block_id_wrapperIjLb1EEEEE10hipError_tT1_PNSt15iterator_traitsISG_E10value_typeET2_T3_PNSH_ISM_E10value_typeET4_T5_PSR_SS_PNS1_23onesweep_lookback_stateEbbT6_jjT7_P12ihipStream_tbENKUlT_T0_SG_SL_E_clIS7_S7_PlSB_EEDaSZ_S10_SG_SL_EUlSZ_E_NS1_11comp_targetILNS1_3genE9ELNS1_11target_archE1100ELNS1_3gpuE3ELNS1_3repE0EEENS1_47radix_sort_onesweep_sort_config_static_selectorELNS0_4arch9wavefront6targetE1EEEvSG_
    .private_segment_fixed_size: 0
    .sgpr_count:     4
    .sgpr_spill_count: 0
    .symbol:         _ZN7rocprim17ROCPRIM_400000_NS6detail17trampoline_kernelINS0_14default_configENS1_35radix_sort_onesweep_config_selectorIdlEEZZNS1_29radix_sort_onesweep_iterationIS3_Lb0EPdS7_N6thrust23THRUST_200600_302600_NS10device_ptrIlEESB_jNS0_19identity_decomposerENS1_16block_id_wrapperIjLb1EEEEE10hipError_tT1_PNSt15iterator_traitsISG_E10value_typeET2_T3_PNSH_ISM_E10value_typeET4_T5_PSR_SS_PNS1_23onesweep_lookback_stateEbbT6_jjT7_P12ihipStream_tbENKUlT_T0_SG_SL_E_clIS7_S7_PlSB_EEDaSZ_S10_SG_SL_EUlSZ_E_NS1_11comp_targetILNS1_3genE9ELNS1_11target_archE1100ELNS1_3gpuE3ELNS1_3repE0EEENS1_47radix_sort_onesweep_sort_config_static_selectorELNS0_4arch9wavefront6targetE1EEEvSG_.kd
    .uniform_work_group_size: 1
    .uses_dynamic_stack: false
    .vgpr_count:     0
    .vgpr_spill_count: 0
    .wavefront_size: 64
  - .agpr_count:     0
    .args:
      - .offset:         0
        .size:           88
        .value_kind:     by_value
    .group_segment_fixed_size: 0
    .kernarg_segment_align: 8
    .kernarg_segment_size: 88
    .language:       OpenCL C
    .language_version:
      - 2
      - 0
    .max_flat_workgroup_size: 1024
    .name:           _ZN7rocprim17ROCPRIM_400000_NS6detail17trampoline_kernelINS0_14default_configENS1_35radix_sort_onesweep_config_selectorIdlEEZZNS1_29radix_sort_onesweep_iterationIS3_Lb0EPdS7_N6thrust23THRUST_200600_302600_NS10device_ptrIlEESB_jNS0_19identity_decomposerENS1_16block_id_wrapperIjLb1EEEEE10hipError_tT1_PNSt15iterator_traitsISG_E10value_typeET2_T3_PNSH_ISM_E10value_typeET4_T5_PSR_SS_PNS1_23onesweep_lookback_stateEbbT6_jjT7_P12ihipStream_tbENKUlT_T0_SG_SL_E_clIS7_S7_PlSB_EEDaSZ_S10_SG_SL_EUlSZ_E_NS1_11comp_targetILNS1_3genE8ELNS1_11target_archE1030ELNS1_3gpuE2ELNS1_3repE0EEENS1_47radix_sort_onesweep_sort_config_static_selectorELNS0_4arch9wavefront6targetE1EEEvSG_
    .private_segment_fixed_size: 0
    .sgpr_count:     4
    .sgpr_spill_count: 0
    .symbol:         _ZN7rocprim17ROCPRIM_400000_NS6detail17trampoline_kernelINS0_14default_configENS1_35radix_sort_onesweep_config_selectorIdlEEZZNS1_29radix_sort_onesweep_iterationIS3_Lb0EPdS7_N6thrust23THRUST_200600_302600_NS10device_ptrIlEESB_jNS0_19identity_decomposerENS1_16block_id_wrapperIjLb1EEEEE10hipError_tT1_PNSt15iterator_traitsISG_E10value_typeET2_T3_PNSH_ISM_E10value_typeET4_T5_PSR_SS_PNS1_23onesweep_lookback_stateEbbT6_jjT7_P12ihipStream_tbENKUlT_T0_SG_SL_E_clIS7_S7_PlSB_EEDaSZ_S10_SG_SL_EUlSZ_E_NS1_11comp_targetILNS1_3genE8ELNS1_11target_archE1030ELNS1_3gpuE2ELNS1_3repE0EEENS1_47radix_sort_onesweep_sort_config_static_selectorELNS0_4arch9wavefront6targetE1EEEvSG_.kd
    .uniform_work_group_size: 1
    .uses_dynamic_stack: false
    .vgpr_count:     0
    .vgpr_spill_count: 0
    .wavefront_size: 64
  - .agpr_count:     0
    .args:
      - .offset:         0
        .size:           88
        .value_kind:     by_value
    .group_segment_fixed_size: 0
    .kernarg_segment_align: 8
    .kernarg_segment_size: 88
    .language:       OpenCL C
    .language_version:
      - 2
      - 0
    .max_flat_workgroup_size: 512
    .name:           _ZN7rocprim17ROCPRIM_400000_NS6detail17trampoline_kernelINS0_14default_configENS1_35radix_sort_onesweep_config_selectorIdlEEZZNS1_29radix_sort_onesweep_iterationIS3_Lb0EPdS7_N6thrust23THRUST_200600_302600_NS10device_ptrIlEESB_jNS0_19identity_decomposerENS1_16block_id_wrapperIjLb0EEEEE10hipError_tT1_PNSt15iterator_traitsISG_E10value_typeET2_T3_PNSH_ISM_E10value_typeET4_T5_PSR_SS_PNS1_23onesweep_lookback_stateEbbT6_jjT7_P12ihipStream_tbENKUlT_T0_SG_SL_E_clIS7_S7_SB_SB_EEDaSZ_S10_SG_SL_EUlSZ_E_NS1_11comp_targetILNS1_3genE0ELNS1_11target_archE4294967295ELNS1_3gpuE0ELNS1_3repE0EEENS1_47radix_sort_onesweep_sort_config_static_selectorELNS0_4arch9wavefront6targetE1EEEvSG_
    .private_segment_fixed_size: 0
    .sgpr_count:     4
    .sgpr_spill_count: 0
    .symbol:         _ZN7rocprim17ROCPRIM_400000_NS6detail17trampoline_kernelINS0_14default_configENS1_35radix_sort_onesweep_config_selectorIdlEEZZNS1_29radix_sort_onesweep_iterationIS3_Lb0EPdS7_N6thrust23THRUST_200600_302600_NS10device_ptrIlEESB_jNS0_19identity_decomposerENS1_16block_id_wrapperIjLb0EEEEE10hipError_tT1_PNSt15iterator_traitsISG_E10value_typeET2_T3_PNSH_ISM_E10value_typeET4_T5_PSR_SS_PNS1_23onesweep_lookback_stateEbbT6_jjT7_P12ihipStream_tbENKUlT_T0_SG_SL_E_clIS7_S7_SB_SB_EEDaSZ_S10_SG_SL_EUlSZ_E_NS1_11comp_targetILNS1_3genE0ELNS1_11target_archE4294967295ELNS1_3gpuE0ELNS1_3repE0EEENS1_47radix_sort_onesweep_sort_config_static_selectorELNS0_4arch9wavefront6targetE1EEEvSG_.kd
    .uniform_work_group_size: 1
    .uses_dynamic_stack: false
    .vgpr_count:     0
    .vgpr_spill_count: 0
    .wavefront_size: 64
  - .agpr_count:     0
    .args:
      - .offset:         0
        .size:           88
        .value_kind:     by_value
    .group_segment_fixed_size: 0
    .kernarg_segment_align: 8
    .kernarg_segment_size: 88
    .language:       OpenCL C
    .language_version:
      - 2
      - 0
    .max_flat_workgroup_size: 1024
    .name:           _ZN7rocprim17ROCPRIM_400000_NS6detail17trampoline_kernelINS0_14default_configENS1_35radix_sort_onesweep_config_selectorIdlEEZZNS1_29radix_sort_onesweep_iterationIS3_Lb0EPdS7_N6thrust23THRUST_200600_302600_NS10device_ptrIlEESB_jNS0_19identity_decomposerENS1_16block_id_wrapperIjLb0EEEEE10hipError_tT1_PNSt15iterator_traitsISG_E10value_typeET2_T3_PNSH_ISM_E10value_typeET4_T5_PSR_SS_PNS1_23onesweep_lookback_stateEbbT6_jjT7_P12ihipStream_tbENKUlT_T0_SG_SL_E_clIS7_S7_SB_SB_EEDaSZ_S10_SG_SL_EUlSZ_E_NS1_11comp_targetILNS1_3genE6ELNS1_11target_archE950ELNS1_3gpuE13ELNS1_3repE0EEENS1_47radix_sort_onesweep_sort_config_static_selectorELNS0_4arch9wavefront6targetE1EEEvSG_
    .private_segment_fixed_size: 0
    .sgpr_count:     4
    .sgpr_spill_count: 0
    .symbol:         _ZN7rocprim17ROCPRIM_400000_NS6detail17trampoline_kernelINS0_14default_configENS1_35radix_sort_onesweep_config_selectorIdlEEZZNS1_29radix_sort_onesweep_iterationIS3_Lb0EPdS7_N6thrust23THRUST_200600_302600_NS10device_ptrIlEESB_jNS0_19identity_decomposerENS1_16block_id_wrapperIjLb0EEEEE10hipError_tT1_PNSt15iterator_traitsISG_E10value_typeET2_T3_PNSH_ISM_E10value_typeET4_T5_PSR_SS_PNS1_23onesweep_lookback_stateEbbT6_jjT7_P12ihipStream_tbENKUlT_T0_SG_SL_E_clIS7_S7_SB_SB_EEDaSZ_S10_SG_SL_EUlSZ_E_NS1_11comp_targetILNS1_3genE6ELNS1_11target_archE950ELNS1_3gpuE13ELNS1_3repE0EEENS1_47radix_sort_onesweep_sort_config_static_selectorELNS0_4arch9wavefront6targetE1EEEvSG_.kd
    .uniform_work_group_size: 1
    .uses_dynamic_stack: false
    .vgpr_count:     0
    .vgpr_spill_count: 0
    .wavefront_size: 64
  - .agpr_count:     0
    .args:
      - .offset:         0
        .size:           88
        .value_kind:     by_value
    .group_segment_fixed_size: 0
    .kernarg_segment_align: 8
    .kernarg_segment_size: 88
    .language:       OpenCL C
    .language_version:
      - 2
      - 0
    .max_flat_workgroup_size: 1024
    .name:           _ZN7rocprim17ROCPRIM_400000_NS6detail17trampoline_kernelINS0_14default_configENS1_35radix_sort_onesweep_config_selectorIdlEEZZNS1_29radix_sort_onesweep_iterationIS3_Lb0EPdS7_N6thrust23THRUST_200600_302600_NS10device_ptrIlEESB_jNS0_19identity_decomposerENS1_16block_id_wrapperIjLb0EEEEE10hipError_tT1_PNSt15iterator_traitsISG_E10value_typeET2_T3_PNSH_ISM_E10value_typeET4_T5_PSR_SS_PNS1_23onesweep_lookback_stateEbbT6_jjT7_P12ihipStream_tbENKUlT_T0_SG_SL_E_clIS7_S7_SB_SB_EEDaSZ_S10_SG_SL_EUlSZ_E_NS1_11comp_targetILNS1_3genE5ELNS1_11target_archE942ELNS1_3gpuE9ELNS1_3repE0EEENS1_47radix_sort_onesweep_sort_config_static_selectorELNS0_4arch9wavefront6targetE1EEEvSG_
    .private_segment_fixed_size: 0
    .sgpr_count:     4
    .sgpr_spill_count: 0
    .symbol:         _ZN7rocprim17ROCPRIM_400000_NS6detail17trampoline_kernelINS0_14default_configENS1_35radix_sort_onesweep_config_selectorIdlEEZZNS1_29radix_sort_onesweep_iterationIS3_Lb0EPdS7_N6thrust23THRUST_200600_302600_NS10device_ptrIlEESB_jNS0_19identity_decomposerENS1_16block_id_wrapperIjLb0EEEEE10hipError_tT1_PNSt15iterator_traitsISG_E10value_typeET2_T3_PNSH_ISM_E10value_typeET4_T5_PSR_SS_PNS1_23onesweep_lookback_stateEbbT6_jjT7_P12ihipStream_tbENKUlT_T0_SG_SL_E_clIS7_S7_SB_SB_EEDaSZ_S10_SG_SL_EUlSZ_E_NS1_11comp_targetILNS1_3genE5ELNS1_11target_archE942ELNS1_3gpuE9ELNS1_3repE0EEENS1_47radix_sort_onesweep_sort_config_static_selectorELNS0_4arch9wavefront6targetE1EEEvSG_.kd
    .uniform_work_group_size: 1
    .uses_dynamic_stack: false
    .vgpr_count:     0
    .vgpr_spill_count: 0
    .wavefront_size: 64
  - .agpr_count:     0
    .args:
      - .offset:         0
        .size:           88
        .value_kind:     by_value
    .group_segment_fixed_size: 0
    .kernarg_segment_align: 8
    .kernarg_segment_size: 88
    .language:       OpenCL C
    .language_version:
      - 2
      - 0
    .max_flat_workgroup_size: 512
    .name:           _ZN7rocprim17ROCPRIM_400000_NS6detail17trampoline_kernelINS0_14default_configENS1_35radix_sort_onesweep_config_selectorIdlEEZZNS1_29radix_sort_onesweep_iterationIS3_Lb0EPdS7_N6thrust23THRUST_200600_302600_NS10device_ptrIlEESB_jNS0_19identity_decomposerENS1_16block_id_wrapperIjLb0EEEEE10hipError_tT1_PNSt15iterator_traitsISG_E10value_typeET2_T3_PNSH_ISM_E10value_typeET4_T5_PSR_SS_PNS1_23onesweep_lookback_stateEbbT6_jjT7_P12ihipStream_tbENKUlT_T0_SG_SL_E_clIS7_S7_SB_SB_EEDaSZ_S10_SG_SL_EUlSZ_E_NS1_11comp_targetILNS1_3genE2ELNS1_11target_archE906ELNS1_3gpuE6ELNS1_3repE0EEENS1_47radix_sort_onesweep_sort_config_static_selectorELNS0_4arch9wavefront6targetE1EEEvSG_
    .private_segment_fixed_size: 0
    .sgpr_count:     4
    .sgpr_spill_count: 0
    .symbol:         _ZN7rocprim17ROCPRIM_400000_NS6detail17trampoline_kernelINS0_14default_configENS1_35radix_sort_onesweep_config_selectorIdlEEZZNS1_29radix_sort_onesweep_iterationIS3_Lb0EPdS7_N6thrust23THRUST_200600_302600_NS10device_ptrIlEESB_jNS0_19identity_decomposerENS1_16block_id_wrapperIjLb0EEEEE10hipError_tT1_PNSt15iterator_traitsISG_E10value_typeET2_T3_PNSH_ISM_E10value_typeET4_T5_PSR_SS_PNS1_23onesweep_lookback_stateEbbT6_jjT7_P12ihipStream_tbENKUlT_T0_SG_SL_E_clIS7_S7_SB_SB_EEDaSZ_S10_SG_SL_EUlSZ_E_NS1_11comp_targetILNS1_3genE2ELNS1_11target_archE906ELNS1_3gpuE6ELNS1_3repE0EEENS1_47radix_sort_onesweep_sort_config_static_selectorELNS0_4arch9wavefront6targetE1EEEvSG_.kd
    .uniform_work_group_size: 1
    .uses_dynamic_stack: false
    .vgpr_count:     0
    .vgpr_spill_count: 0
    .wavefront_size: 64
  - .agpr_count:     0
    .args:
      - .offset:         0
        .size:           88
        .value_kind:     by_value
      - .offset:         88
        .size:           4
        .value_kind:     hidden_block_count_x
      - .offset:         92
        .size:           4
        .value_kind:     hidden_block_count_y
      - .offset:         96
        .size:           4
        .value_kind:     hidden_block_count_z
      - .offset:         100
        .size:           2
        .value_kind:     hidden_group_size_x
      - .offset:         102
        .size:           2
        .value_kind:     hidden_group_size_y
      - .offset:         104
        .size:           2
        .value_kind:     hidden_group_size_z
      - .offset:         106
        .size:           2
        .value_kind:     hidden_remainder_x
      - .offset:         108
        .size:           2
        .value_kind:     hidden_remainder_y
      - .offset:         110
        .size:           2
        .value_kind:     hidden_remainder_z
      - .offset:         128
        .size:           8
        .value_kind:     hidden_global_offset_x
      - .offset:         136
        .size:           8
        .value_kind:     hidden_global_offset_y
      - .offset:         144
        .size:           8
        .value_kind:     hidden_global_offset_z
      - .offset:         152
        .size:           2
        .value_kind:     hidden_grid_dims
    .group_segment_fixed_size: 20552
    .kernarg_segment_align: 8
    .kernarg_segment_size: 344
    .language:       OpenCL C
    .language_version:
      - 2
      - 0
    .max_flat_workgroup_size: 1024
    .name:           _ZN7rocprim17ROCPRIM_400000_NS6detail17trampoline_kernelINS0_14default_configENS1_35radix_sort_onesweep_config_selectorIdlEEZZNS1_29radix_sort_onesweep_iterationIS3_Lb0EPdS7_N6thrust23THRUST_200600_302600_NS10device_ptrIlEESB_jNS0_19identity_decomposerENS1_16block_id_wrapperIjLb0EEEEE10hipError_tT1_PNSt15iterator_traitsISG_E10value_typeET2_T3_PNSH_ISM_E10value_typeET4_T5_PSR_SS_PNS1_23onesweep_lookback_stateEbbT6_jjT7_P12ihipStream_tbENKUlT_T0_SG_SL_E_clIS7_S7_SB_SB_EEDaSZ_S10_SG_SL_EUlSZ_E_NS1_11comp_targetILNS1_3genE4ELNS1_11target_archE910ELNS1_3gpuE8ELNS1_3repE0EEENS1_47radix_sort_onesweep_sort_config_static_selectorELNS0_4arch9wavefront6targetE1EEEvSG_
    .private_segment_fixed_size: 0
    .sgpr_count:     57
    .sgpr_spill_count: 0
    .symbol:         _ZN7rocprim17ROCPRIM_400000_NS6detail17trampoline_kernelINS0_14default_configENS1_35radix_sort_onesweep_config_selectorIdlEEZZNS1_29radix_sort_onesweep_iterationIS3_Lb0EPdS7_N6thrust23THRUST_200600_302600_NS10device_ptrIlEESB_jNS0_19identity_decomposerENS1_16block_id_wrapperIjLb0EEEEE10hipError_tT1_PNSt15iterator_traitsISG_E10value_typeET2_T3_PNSH_ISM_E10value_typeET4_T5_PSR_SS_PNS1_23onesweep_lookback_stateEbbT6_jjT7_P12ihipStream_tbENKUlT_T0_SG_SL_E_clIS7_S7_SB_SB_EEDaSZ_S10_SG_SL_EUlSZ_E_NS1_11comp_targetILNS1_3genE4ELNS1_11target_archE910ELNS1_3gpuE8ELNS1_3repE0EEENS1_47radix_sort_onesweep_sort_config_static_selectorELNS0_4arch9wavefront6targetE1EEEvSG_.kd
    .uniform_work_group_size: 1
    .uses_dynamic_stack: false
    .vgpr_count:     57
    .vgpr_spill_count: 0
    .wavefront_size: 64
  - .agpr_count:     0
    .args:
      - .offset:         0
        .size:           88
        .value_kind:     by_value
    .group_segment_fixed_size: 0
    .kernarg_segment_align: 8
    .kernarg_segment_size: 88
    .language:       OpenCL C
    .language_version:
      - 2
      - 0
    .max_flat_workgroup_size: 512
    .name:           _ZN7rocprim17ROCPRIM_400000_NS6detail17trampoline_kernelINS0_14default_configENS1_35radix_sort_onesweep_config_selectorIdlEEZZNS1_29radix_sort_onesweep_iterationIS3_Lb0EPdS7_N6thrust23THRUST_200600_302600_NS10device_ptrIlEESB_jNS0_19identity_decomposerENS1_16block_id_wrapperIjLb0EEEEE10hipError_tT1_PNSt15iterator_traitsISG_E10value_typeET2_T3_PNSH_ISM_E10value_typeET4_T5_PSR_SS_PNS1_23onesweep_lookback_stateEbbT6_jjT7_P12ihipStream_tbENKUlT_T0_SG_SL_E_clIS7_S7_SB_SB_EEDaSZ_S10_SG_SL_EUlSZ_E_NS1_11comp_targetILNS1_3genE3ELNS1_11target_archE908ELNS1_3gpuE7ELNS1_3repE0EEENS1_47radix_sort_onesweep_sort_config_static_selectorELNS0_4arch9wavefront6targetE1EEEvSG_
    .private_segment_fixed_size: 0
    .sgpr_count:     4
    .sgpr_spill_count: 0
    .symbol:         _ZN7rocprim17ROCPRIM_400000_NS6detail17trampoline_kernelINS0_14default_configENS1_35radix_sort_onesweep_config_selectorIdlEEZZNS1_29radix_sort_onesweep_iterationIS3_Lb0EPdS7_N6thrust23THRUST_200600_302600_NS10device_ptrIlEESB_jNS0_19identity_decomposerENS1_16block_id_wrapperIjLb0EEEEE10hipError_tT1_PNSt15iterator_traitsISG_E10value_typeET2_T3_PNSH_ISM_E10value_typeET4_T5_PSR_SS_PNS1_23onesweep_lookback_stateEbbT6_jjT7_P12ihipStream_tbENKUlT_T0_SG_SL_E_clIS7_S7_SB_SB_EEDaSZ_S10_SG_SL_EUlSZ_E_NS1_11comp_targetILNS1_3genE3ELNS1_11target_archE908ELNS1_3gpuE7ELNS1_3repE0EEENS1_47radix_sort_onesweep_sort_config_static_selectorELNS0_4arch9wavefront6targetE1EEEvSG_.kd
    .uniform_work_group_size: 1
    .uses_dynamic_stack: false
    .vgpr_count:     0
    .vgpr_spill_count: 0
    .wavefront_size: 64
  - .agpr_count:     0
    .args:
      - .offset:         0
        .size:           88
        .value_kind:     by_value
    .group_segment_fixed_size: 0
    .kernarg_segment_align: 8
    .kernarg_segment_size: 88
    .language:       OpenCL C
    .language_version:
      - 2
      - 0
    .max_flat_workgroup_size: 1024
    .name:           _ZN7rocprim17ROCPRIM_400000_NS6detail17trampoline_kernelINS0_14default_configENS1_35radix_sort_onesweep_config_selectorIdlEEZZNS1_29radix_sort_onesweep_iterationIS3_Lb0EPdS7_N6thrust23THRUST_200600_302600_NS10device_ptrIlEESB_jNS0_19identity_decomposerENS1_16block_id_wrapperIjLb0EEEEE10hipError_tT1_PNSt15iterator_traitsISG_E10value_typeET2_T3_PNSH_ISM_E10value_typeET4_T5_PSR_SS_PNS1_23onesweep_lookback_stateEbbT6_jjT7_P12ihipStream_tbENKUlT_T0_SG_SL_E_clIS7_S7_SB_SB_EEDaSZ_S10_SG_SL_EUlSZ_E_NS1_11comp_targetILNS1_3genE10ELNS1_11target_archE1201ELNS1_3gpuE5ELNS1_3repE0EEENS1_47radix_sort_onesweep_sort_config_static_selectorELNS0_4arch9wavefront6targetE1EEEvSG_
    .private_segment_fixed_size: 0
    .sgpr_count:     4
    .sgpr_spill_count: 0
    .symbol:         _ZN7rocprim17ROCPRIM_400000_NS6detail17trampoline_kernelINS0_14default_configENS1_35radix_sort_onesweep_config_selectorIdlEEZZNS1_29radix_sort_onesweep_iterationIS3_Lb0EPdS7_N6thrust23THRUST_200600_302600_NS10device_ptrIlEESB_jNS0_19identity_decomposerENS1_16block_id_wrapperIjLb0EEEEE10hipError_tT1_PNSt15iterator_traitsISG_E10value_typeET2_T3_PNSH_ISM_E10value_typeET4_T5_PSR_SS_PNS1_23onesweep_lookback_stateEbbT6_jjT7_P12ihipStream_tbENKUlT_T0_SG_SL_E_clIS7_S7_SB_SB_EEDaSZ_S10_SG_SL_EUlSZ_E_NS1_11comp_targetILNS1_3genE10ELNS1_11target_archE1201ELNS1_3gpuE5ELNS1_3repE0EEENS1_47radix_sort_onesweep_sort_config_static_selectorELNS0_4arch9wavefront6targetE1EEEvSG_.kd
    .uniform_work_group_size: 1
    .uses_dynamic_stack: false
    .vgpr_count:     0
    .vgpr_spill_count: 0
    .wavefront_size: 64
  - .agpr_count:     0
    .args:
      - .offset:         0
        .size:           88
        .value_kind:     by_value
    .group_segment_fixed_size: 0
    .kernarg_segment_align: 8
    .kernarg_segment_size: 88
    .language:       OpenCL C
    .language_version:
      - 2
      - 0
    .max_flat_workgroup_size: 1024
    .name:           _ZN7rocprim17ROCPRIM_400000_NS6detail17trampoline_kernelINS0_14default_configENS1_35radix_sort_onesweep_config_selectorIdlEEZZNS1_29radix_sort_onesweep_iterationIS3_Lb0EPdS7_N6thrust23THRUST_200600_302600_NS10device_ptrIlEESB_jNS0_19identity_decomposerENS1_16block_id_wrapperIjLb0EEEEE10hipError_tT1_PNSt15iterator_traitsISG_E10value_typeET2_T3_PNSH_ISM_E10value_typeET4_T5_PSR_SS_PNS1_23onesweep_lookback_stateEbbT6_jjT7_P12ihipStream_tbENKUlT_T0_SG_SL_E_clIS7_S7_SB_SB_EEDaSZ_S10_SG_SL_EUlSZ_E_NS1_11comp_targetILNS1_3genE9ELNS1_11target_archE1100ELNS1_3gpuE3ELNS1_3repE0EEENS1_47radix_sort_onesweep_sort_config_static_selectorELNS0_4arch9wavefront6targetE1EEEvSG_
    .private_segment_fixed_size: 0
    .sgpr_count:     4
    .sgpr_spill_count: 0
    .symbol:         _ZN7rocprim17ROCPRIM_400000_NS6detail17trampoline_kernelINS0_14default_configENS1_35radix_sort_onesweep_config_selectorIdlEEZZNS1_29radix_sort_onesweep_iterationIS3_Lb0EPdS7_N6thrust23THRUST_200600_302600_NS10device_ptrIlEESB_jNS0_19identity_decomposerENS1_16block_id_wrapperIjLb0EEEEE10hipError_tT1_PNSt15iterator_traitsISG_E10value_typeET2_T3_PNSH_ISM_E10value_typeET4_T5_PSR_SS_PNS1_23onesweep_lookback_stateEbbT6_jjT7_P12ihipStream_tbENKUlT_T0_SG_SL_E_clIS7_S7_SB_SB_EEDaSZ_S10_SG_SL_EUlSZ_E_NS1_11comp_targetILNS1_3genE9ELNS1_11target_archE1100ELNS1_3gpuE3ELNS1_3repE0EEENS1_47radix_sort_onesweep_sort_config_static_selectorELNS0_4arch9wavefront6targetE1EEEvSG_.kd
    .uniform_work_group_size: 1
    .uses_dynamic_stack: false
    .vgpr_count:     0
    .vgpr_spill_count: 0
    .wavefront_size: 64
  - .agpr_count:     0
    .args:
      - .offset:         0
        .size:           88
        .value_kind:     by_value
    .group_segment_fixed_size: 0
    .kernarg_segment_align: 8
    .kernarg_segment_size: 88
    .language:       OpenCL C
    .language_version:
      - 2
      - 0
    .max_flat_workgroup_size: 1024
    .name:           _ZN7rocprim17ROCPRIM_400000_NS6detail17trampoline_kernelINS0_14default_configENS1_35radix_sort_onesweep_config_selectorIdlEEZZNS1_29radix_sort_onesweep_iterationIS3_Lb0EPdS7_N6thrust23THRUST_200600_302600_NS10device_ptrIlEESB_jNS0_19identity_decomposerENS1_16block_id_wrapperIjLb0EEEEE10hipError_tT1_PNSt15iterator_traitsISG_E10value_typeET2_T3_PNSH_ISM_E10value_typeET4_T5_PSR_SS_PNS1_23onesweep_lookback_stateEbbT6_jjT7_P12ihipStream_tbENKUlT_T0_SG_SL_E_clIS7_S7_SB_SB_EEDaSZ_S10_SG_SL_EUlSZ_E_NS1_11comp_targetILNS1_3genE8ELNS1_11target_archE1030ELNS1_3gpuE2ELNS1_3repE0EEENS1_47radix_sort_onesweep_sort_config_static_selectorELNS0_4arch9wavefront6targetE1EEEvSG_
    .private_segment_fixed_size: 0
    .sgpr_count:     4
    .sgpr_spill_count: 0
    .symbol:         _ZN7rocprim17ROCPRIM_400000_NS6detail17trampoline_kernelINS0_14default_configENS1_35radix_sort_onesweep_config_selectorIdlEEZZNS1_29radix_sort_onesweep_iterationIS3_Lb0EPdS7_N6thrust23THRUST_200600_302600_NS10device_ptrIlEESB_jNS0_19identity_decomposerENS1_16block_id_wrapperIjLb0EEEEE10hipError_tT1_PNSt15iterator_traitsISG_E10value_typeET2_T3_PNSH_ISM_E10value_typeET4_T5_PSR_SS_PNS1_23onesweep_lookback_stateEbbT6_jjT7_P12ihipStream_tbENKUlT_T0_SG_SL_E_clIS7_S7_SB_SB_EEDaSZ_S10_SG_SL_EUlSZ_E_NS1_11comp_targetILNS1_3genE8ELNS1_11target_archE1030ELNS1_3gpuE2ELNS1_3repE0EEENS1_47radix_sort_onesweep_sort_config_static_selectorELNS0_4arch9wavefront6targetE1EEEvSG_.kd
    .uniform_work_group_size: 1
    .uses_dynamic_stack: false
    .vgpr_count:     0
    .vgpr_spill_count: 0
    .wavefront_size: 64
  - .agpr_count:     0
    .args:
      - .offset:         0
        .size:           88
        .value_kind:     by_value
    .group_segment_fixed_size: 0
    .kernarg_segment_align: 8
    .kernarg_segment_size: 88
    .language:       OpenCL C
    .language_version:
      - 2
      - 0
    .max_flat_workgroup_size: 512
    .name:           _ZN7rocprim17ROCPRIM_400000_NS6detail17trampoline_kernelINS0_14default_configENS1_35radix_sort_onesweep_config_selectorIdlEEZZNS1_29radix_sort_onesweep_iterationIS3_Lb0EPdS7_N6thrust23THRUST_200600_302600_NS10device_ptrIlEESB_jNS0_19identity_decomposerENS1_16block_id_wrapperIjLb0EEEEE10hipError_tT1_PNSt15iterator_traitsISG_E10value_typeET2_T3_PNSH_ISM_E10value_typeET4_T5_PSR_SS_PNS1_23onesweep_lookback_stateEbbT6_jjT7_P12ihipStream_tbENKUlT_T0_SG_SL_E_clIS7_S7_SB_PlEEDaSZ_S10_SG_SL_EUlSZ_E_NS1_11comp_targetILNS1_3genE0ELNS1_11target_archE4294967295ELNS1_3gpuE0ELNS1_3repE0EEENS1_47radix_sort_onesweep_sort_config_static_selectorELNS0_4arch9wavefront6targetE1EEEvSG_
    .private_segment_fixed_size: 0
    .sgpr_count:     4
    .sgpr_spill_count: 0
    .symbol:         _ZN7rocprim17ROCPRIM_400000_NS6detail17trampoline_kernelINS0_14default_configENS1_35radix_sort_onesweep_config_selectorIdlEEZZNS1_29radix_sort_onesweep_iterationIS3_Lb0EPdS7_N6thrust23THRUST_200600_302600_NS10device_ptrIlEESB_jNS0_19identity_decomposerENS1_16block_id_wrapperIjLb0EEEEE10hipError_tT1_PNSt15iterator_traitsISG_E10value_typeET2_T3_PNSH_ISM_E10value_typeET4_T5_PSR_SS_PNS1_23onesweep_lookback_stateEbbT6_jjT7_P12ihipStream_tbENKUlT_T0_SG_SL_E_clIS7_S7_SB_PlEEDaSZ_S10_SG_SL_EUlSZ_E_NS1_11comp_targetILNS1_3genE0ELNS1_11target_archE4294967295ELNS1_3gpuE0ELNS1_3repE0EEENS1_47radix_sort_onesweep_sort_config_static_selectorELNS0_4arch9wavefront6targetE1EEEvSG_.kd
    .uniform_work_group_size: 1
    .uses_dynamic_stack: false
    .vgpr_count:     0
    .vgpr_spill_count: 0
    .wavefront_size: 64
  - .agpr_count:     0
    .args:
      - .offset:         0
        .size:           88
        .value_kind:     by_value
    .group_segment_fixed_size: 0
    .kernarg_segment_align: 8
    .kernarg_segment_size: 88
    .language:       OpenCL C
    .language_version:
      - 2
      - 0
    .max_flat_workgroup_size: 1024
    .name:           _ZN7rocprim17ROCPRIM_400000_NS6detail17trampoline_kernelINS0_14default_configENS1_35radix_sort_onesweep_config_selectorIdlEEZZNS1_29radix_sort_onesweep_iterationIS3_Lb0EPdS7_N6thrust23THRUST_200600_302600_NS10device_ptrIlEESB_jNS0_19identity_decomposerENS1_16block_id_wrapperIjLb0EEEEE10hipError_tT1_PNSt15iterator_traitsISG_E10value_typeET2_T3_PNSH_ISM_E10value_typeET4_T5_PSR_SS_PNS1_23onesweep_lookback_stateEbbT6_jjT7_P12ihipStream_tbENKUlT_T0_SG_SL_E_clIS7_S7_SB_PlEEDaSZ_S10_SG_SL_EUlSZ_E_NS1_11comp_targetILNS1_3genE6ELNS1_11target_archE950ELNS1_3gpuE13ELNS1_3repE0EEENS1_47radix_sort_onesweep_sort_config_static_selectorELNS0_4arch9wavefront6targetE1EEEvSG_
    .private_segment_fixed_size: 0
    .sgpr_count:     4
    .sgpr_spill_count: 0
    .symbol:         _ZN7rocprim17ROCPRIM_400000_NS6detail17trampoline_kernelINS0_14default_configENS1_35radix_sort_onesweep_config_selectorIdlEEZZNS1_29radix_sort_onesweep_iterationIS3_Lb0EPdS7_N6thrust23THRUST_200600_302600_NS10device_ptrIlEESB_jNS0_19identity_decomposerENS1_16block_id_wrapperIjLb0EEEEE10hipError_tT1_PNSt15iterator_traitsISG_E10value_typeET2_T3_PNSH_ISM_E10value_typeET4_T5_PSR_SS_PNS1_23onesweep_lookback_stateEbbT6_jjT7_P12ihipStream_tbENKUlT_T0_SG_SL_E_clIS7_S7_SB_PlEEDaSZ_S10_SG_SL_EUlSZ_E_NS1_11comp_targetILNS1_3genE6ELNS1_11target_archE950ELNS1_3gpuE13ELNS1_3repE0EEENS1_47radix_sort_onesweep_sort_config_static_selectorELNS0_4arch9wavefront6targetE1EEEvSG_.kd
    .uniform_work_group_size: 1
    .uses_dynamic_stack: false
    .vgpr_count:     0
    .vgpr_spill_count: 0
    .wavefront_size: 64
  - .agpr_count:     0
    .args:
      - .offset:         0
        .size:           88
        .value_kind:     by_value
    .group_segment_fixed_size: 0
    .kernarg_segment_align: 8
    .kernarg_segment_size: 88
    .language:       OpenCL C
    .language_version:
      - 2
      - 0
    .max_flat_workgroup_size: 1024
    .name:           _ZN7rocprim17ROCPRIM_400000_NS6detail17trampoline_kernelINS0_14default_configENS1_35radix_sort_onesweep_config_selectorIdlEEZZNS1_29radix_sort_onesweep_iterationIS3_Lb0EPdS7_N6thrust23THRUST_200600_302600_NS10device_ptrIlEESB_jNS0_19identity_decomposerENS1_16block_id_wrapperIjLb0EEEEE10hipError_tT1_PNSt15iterator_traitsISG_E10value_typeET2_T3_PNSH_ISM_E10value_typeET4_T5_PSR_SS_PNS1_23onesweep_lookback_stateEbbT6_jjT7_P12ihipStream_tbENKUlT_T0_SG_SL_E_clIS7_S7_SB_PlEEDaSZ_S10_SG_SL_EUlSZ_E_NS1_11comp_targetILNS1_3genE5ELNS1_11target_archE942ELNS1_3gpuE9ELNS1_3repE0EEENS1_47radix_sort_onesweep_sort_config_static_selectorELNS0_4arch9wavefront6targetE1EEEvSG_
    .private_segment_fixed_size: 0
    .sgpr_count:     4
    .sgpr_spill_count: 0
    .symbol:         _ZN7rocprim17ROCPRIM_400000_NS6detail17trampoline_kernelINS0_14default_configENS1_35radix_sort_onesweep_config_selectorIdlEEZZNS1_29radix_sort_onesweep_iterationIS3_Lb0EPdS7_N6thrust23THRUST_200600_302600_NS10device_ptrIlEESB_jNS0_19identity_decomposerENS1_16block_id_wrapperIjLb0EEEEE10hipError_tT1_PNSt15iterator_traitsISG_E10value_typeET2_T3_PNSH_ISM_E10value_typeET4_T5_PSR_SS_PNS1_23onesweep_lookback_stateEbbT6_jjT7_P12ihipStream_tbENKUlT_T0_SG_SL_E_clIS7_S7_SB_PlEEDaSZ_S10_SG_SL_EUlSZ_E_NS1_11comp_targetILNS1_3genE5ELNS1_11target_archE942ELNS1_3gpuE9ELNS1_3repE0EEENS1_47radix_sort_onesweep_sort_config_static_selectorELNS0_4arch9wavefront6targetE1EEEvSG_.kd
    .uniform_work_group_size: 1
    .uses_dynamic_stack: false
    .vgpr_count:     0
    .vgpr_spill_count: 0
    .wavefront_size: 64
  - .agpr_count:     0
    .args:
      - .offset:         0
        .size:           88
        .value_kind:     by_value
    .group_segment_fixed_size: 0
    .kernarg_segment_align: 8
    .kernarg_segment_size: 88
    .language:       OpenCL C
    .language_version:
      - 2
      - 0
    .max_flat_workgroup_size: 512
    .name:           _ZN7rocprim17ROCPRIM_400000_NS6detail17trampoline_kernelINS0_14default_configENS1_35radix_sort_onesweep_config_selectorIdlEEZZNS1_29radix_sort_onesweep_iterationIS3_Lb0EPdS7_N6thrust23THRUST_200600_302600_NS10device_ptrIlEESB_jNS0_19identity_decomposerENS1_16block_id_wrapperIjLb0EEEEE10hipError_tT1_PNSt15iterator_traitsISG_E10value_typeET2_T3_PNSH_ISM_E10value_typeET4_T5_PSR_SS_PNS1_23onesweep_lookback_stateEbbT6_jjT7_P12ihipStream_tbENKUlT_T0_SG_SL_E_clIS7_S7_SB_PlEEDaSZ_S10_SG_SL_EUlSZ_E_NS1_11comp_targetILNS1_3genE2ELNS1_11target_archE906ELNS1_3gpuE6ELNS1_3repE0EEENS1_47radix_sort_onesweep_sort_config_static_selectorELNS0_4arch9wavefront6targetE1EEEvSG_
    .private_segment_fixed_size: 0
    .sgpr_count:     4
    .sgpr_spill_count: 0
    .symbol:         _ZN7rocprim17ROCPRIM_400000_NS6detail17trampoline_kernelINS0_14default_configENS1_35radix_sort_onesweep_config_selectorIdlEEZZNS1_29radix_sort_onesweep_iterationIS3_Lb0EPdS7_N6thrust23THRUST_200600_302600_NS10device_ptrIlEESB_jNS0_19identity_decomposerENS1_16block_id_wrapperIjLb0EEEEE10hipError_tT1_PNSt15iterator_traitsISG_E10value_typeET2_T3_PNSH_ISM_E10value_typeET4_T5_PSR_SS_PNS1_23onesweep_lookback_stateEbbT6_jjT7_P12ihipStream_tbENKUlT_T0_SG_SL_E_clIS7_S7_SB_PlEEDaSZ_S10_SG_SL_EUlSZ_E_NS1_11comp_targetILNS1_3genE2ELNS1_11target_archE906ELNS1_3gpuE6ELNS1_3repE0EEENS1_47radix_sort_onesweep_sort_config_static_selectorELNS0_4arch9wavefront6targetE1EEEvSG_.kd
    .uniform_work_group_size: 1
    .uses_dynamic_stack: false
    .vgpr_count:     0
    .vgpr_spill_count: 0
    .wavefront_size: 64
  - .agpr_count:     0
    .args:
      - .offset:         0
        .size:           88
        .value_kind:     by_value
      - .offset:         88
        .size:           4
        .value_kind:     hidden_block_count_x
      - .offset:         92
        .size:           4
        .value_kind:     hidden_block_count_y
      - .offset:         96
        .size:           4
        .value_kind:     hidden_block_count_z
      - .offset:         100
        .size:           2
        .value_kind:     hidden_group_size_x
      - .offset:         102
        .size:           2
        .value_kind:     hidden_group_size_y
      - .offset:         104
        .size:           2
        .value_kind:     hidden_group_size_z
      - .offset:         106
        .size:           2
        .value_kind:     hidden_remainder_x
      - .offset:         108
        .size:           2
        .value_kind:     hidden_remainder_y
      - .offset:         110
        .size:           2
        .value_kind:     hidden_remainder_z
      - .offset:         128
        .size:           8
        .value_kind:     hidden_global_offset_x
      - .offset:         136
        .size:           8
        .value_kind:     hidden_global_offset_y
      - .offset:         144
        .size:           8
        .value_kind:     hidden_global_offset_z
      - .offset:         152
        .size:           2
        .value_kind:     hidden_grid_dims
    .group_segment_fixed_size: 20552
    .kernarg_segment_align: 8
    .kernarg_segment_size: 344
    .language:       OpenCL C
    .language_version:
      - 2
      - 0
    .max_flat_workgroup_size: 1024
    .name:           _ZN7rocprim17ROCPRIM_400000_NS6detail17trampoline_kernelINS0_14default_configENS1_35radix_sort_onesweep_config_selectorIdlEEZZNS1_29radix_sort_onesweep_iterationIS3_Lb0EPdS7_N6thrust23THRUST_200600_302600_NS10device_ptrIlEESB_jNS0_19identity_decomposerENS1_16block_id_wrapperIjLb0EEEEE10hipError_tT1_PNSt15iterator_traitsISG_E10value_typeET2_T3_PNSH_ISM_E10value_typeET4_T5_PSR_SS_PNS1_23onesweep_lookback_stateEbbT6_jjT7_P12ihipStream_tbENKUlT_T0_SG_SL_E_clIS7_S7_SB_PlEEDaSZ_S10_SG_SL_EUlSZ_E_NS1_11comp_targetILNS1_3genE4ELNS1_11target_archE910ELNS1_3gpuE8ELNS1_3repE0EEENS1_47radix_sort_onesweep_sort_config_static_selectorELNS0_4arch9wavefront6targetE1EEEvSG_
    .private_segment_fixed_size: 0
    .sgpr_count:     57
    .sgpr_spill_count: 0
    .symbol:         _ZN7rocprim17ROCPRIM_400000_NS6detail17trampoline_kernelINS0_14default_configENS1_35radix_sort_onesweep_config_selectorIdlEEZZNS1_29radix_sort_onesweep_iterationIS3_Lb0EPdS7_N6thrust23THRUST_200600_302600_NS10device_ptrIlEESB_jNS0_19identity_decomposerENS1_16block_id_wrapperIjLb0EEEEE10hipError_tT1_PNSt15iterator_traitsISG_E10value_typeET2_T3_PNSH_ISM_E10value_typeET4_T5_PSR_SS_PNS1_23onesweep_lookback_stateEbbT6_jjT7_P12ihipStream_tbENKUlT_T0_SG_SL_E_clIS7_S7_SB_PlEEDaSZ_S10_SG_SL_EUlSZ_E_NS1_11comp_targetILNS1_3genE4ELNS1_11target_archE910ELNS1_3gpuE8ELNS1_3repE0EEENS1_47radix_sort_onesweep_sort_config_static_selectorELNS0_4arch9wavefront6targetE1EEEvSG_.kd
    .uniform_work_group_size: 1
    .uses_dynamic_stack: false
    .vgpr_count:     57
    .vgpr_spill_count: 0
    .wavefront_size: 64
  - .agpr_count:     0
    .args:
      - .offset:         0
        .size:           88
        .value_kind:     by_value
    .group_segment_fixed_size: 0
    .kernarg_segment_align: 8
    .kernarg_segment_size: 88
    .language:       OpenCL C
    .language_version:
      - 2
      - 0
    .max_flat_workgroup_size: 512
    .name:           _ZN7rocprim17ROCPRIM_400000_NS6detail17trampoline_kernelINS0_14default_configENS1_35radix_sort_onesweep_config_selectorIdlEEZZNS1_29radix_sort_onesweep_iterationIS3_Lb0EPdS7_N6thrust23THRUST_200600_302600_NS10device_ptrIlEESB_jNS0_19identity_decomposerENS1_16block_id_wrapperIjLb0EEEEE10hipError_tT1_PNSt15iterator_traitsISG_E10value_typeET2_T3_PNSH_ISM_E10value_typeET4_T5_PSR_SS_PNS1_23onesweep_lookback_stateEbbT6_jjT7_P12ihipStream_tbENKUlT_T0_SG_SL_E_clIS7_S7_SB_PlEEDaSZ_S10_SG_SL_EUlSZ_E_NS1_11comp_targetILNS1_3genE3ELNS1_11target_archE908ELNS1_3gpuE7ELNS1_3repE0EEENS1_47radix_sort_onesweep_sort_config_static_selectorELNS0_4arch9wavefront6targetE1EEEvSG_
    .private_segment_fixed_size: 0
    .sgpr_count:     4
    .sgpr_spill_count: 0
    .symbol:         _ZN7rocprim17ROCPRIM_400000_NS6detail17trampoline_kernelINS0_14default_configENS1_35radix_sort_onesweep_config_selectorIdlEEZZNS1_29radix_sort_onesweep_iterationIS3_Lb0EPdS7_N6thrust23THRUST_200600_302600_NS10device_ptrIlEESB_jNS0_19identity_decomposerENS1_16block_id_wrapperIjLb0EEEEE10hipError_tT1_PNSt15iterator_traitsISG_E10value_typeET2_T3_PNSH_ISM_E10value_typeET4_T5_PSR_SS_PNS1_23onesweep_lookback_stateEbbT6_jjT7_P12ihipStream_tbENKUlT_T0_SG_SL_E_clIS7_S7_SB_PlEEDaSZ_S10_SG_SL_EUlSZ_E_NS1_11comp_targetILNS1_3genE3ELNS1_11target_archE908ELNS1_3gpuE7ELNS1_3repE0EEENS1_47radix_sort_onesweep_sort_config_static_selectorELNS0_4arch9wavefront6targetE1EEEvSG_.kd
    .uniform_work_group_size: 1
    .uses_dynamic_stack: false
    .vgpr_count:     0
    .vgpr_spill_count: 0
    .wavefront_size: 64
  - .agpr_count:     0
    .args:
      - .offset:         0
        .size:           88
        .value_kind:     by_value
    .group_segment_fixed_size: 0
    .kernarg_segment_align: 8
    .kernarg_segment_size: 88
    .language:       OpenCL C
    .language_version:
      - 2
      - 0
    .max_flat_workgroup_size: 1024
    .name:           _ZN7rocprim17ROCPRIM_400000_NS6detail17trampoline_kernelINS0_14default_configENS1_35radix_sort_onesweep_config_selectorIdlEEZZNS1_29radix_sort_onesweep_iterationIS3_Lb0EPdS7_N6thrust23THRUST_200600_302600_NS10device_ptrIlEESB_jNS0_19identity_decomposerENS1_16block_id_wrapperIjLb0EEEEE10hipError_tT1_PNSt15iterator_traitsISG_E10value_typeET2_T3_PNSH_ISM_E10value_typeET4_T5_PSR_SS_PNS1_23onesweep_lookback_stateEbbT6_jjT7_P12ihipStream_tbENKUlT_T0_SG_SL_E_clIS7_S7_SB_PlEEDaSZ_S10_SG_SL_EUlSZ_E_NS1_11comp_targetILNS1_3genE10ELNS1_11target_archE1201ELNS1_3gpuE5ELNS1_3repE0EEENS1_47radix_sort_onesweep_sort_config_static_selectorELNS0_4arch9wavefront6targetE1EEEvSG_
    .private_segment_fixed_size: 0
    .sgpr_count:     4
    .sgpr_spill_count: 0
    .symbol:         _ZN7rocprim17ROCPRIM_400000_NS6detail17trampoline_kernelINS0_14default_configENS1_35radix_sort_onesweep_config_selectorIdlEEZZNS1_29radix_sort_onesweep_iterationIS3_Lb0EPdS7_N6thrust23THRUST_200600_302600_NS10device_ptrIlEESB_jNS0_19identity_decomposerENS1_16block_id_wrapperIjLb0EEEEE10hipError_tT1_PNSt15iterator_traitsISG_E10value_typeET2_T3_PNSH_ISM_E10value_typeET4_T5_PSR_SS_PNS1_23onesweep_lookback_stateEbbT6_jjT7_P12ihipStream_tbENKUlT_T0_SG_SL_E_clIS7_S7_SB_PlEEDaSZ_S10_SG_SL_EUlSZ_E_NS1_11comp_targetILNS1_3genE10ELNS1_11target_archE1201ELNS1_3gpuE5ELNS1_3repE0EEENS1_47radix_sort_onesweep_sort_config_static_selectorELNS0_4arch9wavefront6targetE1EEEvSG_.kd
    .uniform_work_group_size: 1
    .uses_dynamic_stack: false
    .vgpr_count:     0
    .vgpr_spill_count: 0
    .wavefront_size: 64
  - .agpr_count:     0
    .args:
      - .offset:         0
        .size:           88
        .value_kind:     by_value
    .group_segment_fixed_size: 0
    .kernarg_segment_align: 8
    .kernarg_segment_size: 88
    .language:       OpenCL C
    .language_version:
      - 2
      - 0
    .max_flat_workgroup_size: 1024
    .name:           _ZN7rocprim17ROCPRIM_400000_NS6detail17trampoline_kernelINS0_14default_configENS1_35radix_sort_onesweep_config_selectorIdlEEZZNS1_29radix_sort_onesweep_iterationIS3_Lb0EPdS7_N6thrust23THRUST_200600_302600_NS10device_ptrIlEESB_jNS0_19identity_decomposerENS1_16block_id_wrapperIjLb0EEEEE10hipError_tT1_PNSt15iterator_traitsISG_E10value_typeET2_T3_PNSH_ISM_E10value_typeET4_T5_PSR_SS_PNS1_23onesweep_lookback_stateEbbT6_jjT7_P12ihipStream_tbENKUlT_T0_SG_SL_E_clIS7_S7_SB_PlEEDaSZ_S10_SG_SL_EUlSZ_E_NS1_11comp_targetILNS1_3genE9ELNS1_11target_archE1100ELNS1_3gpuE3ELNS1_3repE0EEENS1_47radix_sort_onesweep_sort_config_static_selectorELNS0_4arch9wavefront6targetE1EEEvSG_
    .private_segment_fixed_size: 0
    .sgpr_count:     4
    .sgpr_spill_count: 0
    .symbol:         _ZN7rocprim17ROCPRIM_400000_NS6detail17trampoline_kernelINS0_14default_configENS1_35radix_sort_onesweep_config_selectorIdlEEZZNS1_29radix_sort_onesweep_iterationIS3_Lb0EPdS7_N6thrust23THRUST_200600_302600_NS10device_ptrIlEESB_jNS0_19identity_decomposerENS1_16block_id_wrapperIjLb0EEEEE10hipError_tT1_PNSt15iterator_traitsISG_E10value_typeET2_T3_PNSH_ISM_E10value_typeET4_T5_PSR_SS_PNS1_23onesweep_lookback_stateEbbT6_jjT7_P12ihipStream_tbENKUlT_T0_SG_SL_E_clIS7_S7_SB_PlEEDaSZ_S10_SG_SL_EUlSZ_E_NS1_11comp_targetILNS1_3genE9ELNS1_11target_archE1100ELNS1_3gpuE3ELNS1_3repE0EEENS1_47radix_sort_onesweep_sort_config_static_selectorELNS0_4arch9wavefront6targetE1EEEvSG_.kd
    .uniform_work_group_size: 1
    .uses_dynamic_stack: false
    .vgpr_count:     0
    .vgpr_spill_count: 0
    .wavefront_size: 64
  - .agpr_count:     0
    .args:
      - .offset:         0
        .size:           88
        .value_kind:     by_value
    .group_segment_fixed_size: 0
    .kernarg_segment_align: 8
    .kernarg_segment_size: 88
    .language:       OpenCL C
    .language_version:
      - 2
      - 0
    .max_flat_workgroup_size: 1024
    .name:           _ZN7rocprim17ROCPRIM_400000_NS6detail17trampoline_kernelINS0_14default_configENS1_35radix_sort_onesweep_config_selectorIdlEEZZNS1_29radix_sort_onesweep_iterationIS3_Lb0EPdS7_N6thrust23THRUST_200600_302600_NS10device_ptrIlEESB_jNS0_19identity_decomposerENS1_16block_id_wrapperIjLb0EEEEE10hipError_tT1_PNSt15iterator_traitsISG_E10value_typeET2_T3_PNSH_ISM_E10value_typeET4_T5_PSR_SS_PNS1_23onesweep_lookback_stateEbbT6_jjT7_P12ihipStream_tbENKUlT_T0_SG_SL_E_clIS7_S7_SB_PlEEDaSZ_S10_SG_SL_EUlSZ_E_NS1_11comp_targetILNS1_3genE8ELNS1_11target_archE1030ELNS1_3gpuE2ELNS1_3repE0EEENS1_47radix_sort_onesweep_sort_config_static_selectorELNS0_4arch9wavefront6targetE1EEEvSG_
    .private_segment_fixed_size: 0
    .sgpr_count:     4
    .sgpr_spill_count: 0
    .symbol:         _ZN7rocprim17ROCPRIM_400000_NS6detail17trampoline_kernelINS0_14default_configENS1_35radix_sort_onesweep_config_selectorIdlEEZZNS1_29radix_sort_onesweep_iterationIS3_Lb0EPdS7_N6thrust23THRUST_200600_302600_NS10device_ptrIlEESB_jNS0_19identity_decomposerENS1_16block_id_wrapperIjLb0EEEEE10hipError_tT1_PNSt15iterator_traitsISG_E10value_typeET2_T3_PNSH_ISM_E10value_typeET4_T5_PSR_SS_PNS1_23onesweep_lookback_stateEbbT6_jjT7_P12ihipStream_tbENKUlT_T0_SG_SL_E_clIS7_S7_SB_PlEEDaSZ_S10_SG_SL_EUlSZ_E_NS1_11comp_targetILNS1_3genE8ELNS1_11target_archE1030ELNS1_3gpuE2ELNS1_3repE0EEENS1_47radix_sort_onesweep_sort_config_static_selectorELNS0_4arch9wavefront6targetE1EEEvSG_.kd
    .uniform_work_group_size: 1
    .uses_dynamic_stack: false
    .vgpr_count:     0
    .vgpr_spill_count: 0
    .wavefront_size: 64
  - .agpr_count:     0
    .args:
      - .offset:         0
        .size:           88
        .value_kind:     by_value
    .group_segment_fixed_size: 0
    .kernarg_segment_align: 8
    .kernarg_segment_size: 88
    .language:       OpenCL C
    .language_version:
      - 2
      - 0
    .max_flat_workgroup_size: 512
    .name:           _ZN7rocprim17ROCPRIM_400000_NS6detail17trampoline_kernelINS0_14default_configENS1_35radix_sort_onesweep_config_selectorIdlEEZZNS1_29radix_sort_onesweep_iterationIS3_Lb0EPdS7_N6thrust23THRUST_200600_302600_NS10device_ptrIlEESB_jNS0_19identity_decomposerENS1_16block_id_wrapperIjLb0EEEEE10hipError_tT1_PNSt15iterator_traitsISG_E10value_typeET2_T3_PNSH_ISM_E10value_typeET4_T5_PSR_SS_PNS1_23onesweep_lookback_stateEbbT6_jjT7_P12ihipStream_tbENKUlT_T0_SG_SL_E_clIS7_S7_PlSB_EEDaSZ_S10_SG_SL_EUlSZ_E_NS1_11comp_targetILNS1_3genE0ELNS1_11target_archE4294967295ELNS1_3gpuE0ELNS1_3repE0EEENS1_47radix_sort_onesweep_sort_config_static_selectorELNS0_4arch9wavefront6targetE1EEEvSG_
    .private_segment_fixed_size: 0
    .sgpr_count:     4
    .sgpr_spill_count: 0
    .symbol:         _ZN7rocprim17ROCPRIM_400000_NS6detail17trampoline_kernelINS0_14default_configENS1_35radix_sort_onesweep_config_selectorIdlEEZZNS1_29radix_sort_onesweep_iterationIS3_Lb0EPdS7_N6thrust23THRUST_200600_302600_NS10device_ptrIlEESB_jNS0_19identity_decomposerENS1_16block_id_wrapperIjLb0EEEEE10hipError_tT1_PNSt15iterator_traitsISG_E10value_typeET2_T3_PNSH_ISM_E10value_typeET4_T5_PSR_SS_PNS1_23onesweep_lookback_stateEbbT6_jjT7_P12ihipStream_tbENKUlT_T0_SG_SL_E_clIS7_S7_PlSB_EEDaSZ_S10_SG_SL_EUlSZ_E_NS1_11comp_targetILNS1_3genE0ELNS1_11target_archE4294967295ELNS1_3gpuE0ELNS1_3repE0EEENS1_47radix_sort_onesweep_sort_config_static_selectorELNS0_4arch9wavefront6targetE1EEEvSG_.kd
    .uniform_work_group_size: 1
    .uses_dynamic_stack: false
    .vgpr_count:     0
    .vgpr_spill_count: 0
    .wavefront_size: 64
  - .agpr_count:     0
    .args:
      - .offset:         0
        .size:           88
        .value_kind:     by_value
    .group_segment_fixed_size: 0
    .kernarg_segment_align: 8
    .kernarg_segment_size: 88
    .language:       OpenCL C
    .language_version:
      - 2
      - 0
    .max_flat_workgroup_size: 1024
    .name:           _ZN7rocprim17ROCPRIM_400000_NS6detail17trampoline_kernelINS0_14default_configENS1_35radix_sort_onesweep_config_selectorIdlEEZZNS1_29radix_sort_onesweep_iterationIS3_Lb0EPdS7_N6thrust23THRUST_200600_302600_NS10device_ptrIlEESB_jNS0_19identity_decomposerENS1_16block_id_wrapperIjLb0EEEEE10hipError_tT1_PNSt15iterator_traitsISG_E10value_typeET2_T3_PNSH_ISM_E10value_typeET4_T5_PSR_SS_PNS1_23onesweep_lookback_stateEbbT6_jjT7_P12ihipStream_tbENKUlT_T0_SG_SL_E_clIS7_S7_PlSB_EEDaSZ_S10_SG_SL_EUlSZ_E_NS1_11comp_targetILNS1_3genE6ELNS1_11target_archE950ELNS1_3gpuE13ELNS1_3repE0EEENS1_47radix_sort_onesweep_sort_config_static_selectorELNS0_4arch9wavefront6targetE1EEEvSG_
    .private_segment_fixed_size: 0
    .sgpr_count:     4
    .sgpr_spill_count: 0
    .symbol:         _ZN7rocprim17ROCPRIM_400000_NS6detail17trampoline_kernelINS0_14default_configENS1_35radix_sort_onesweep_config_selectorIdlEEZZNS1_29radix_sort_onesweep_iterationIS3_Lb0EPdS7_N6thrust23THRUST_200600_302600_NS10device_ptrIlEESB_jNS0_19identity_decomposerENS1_16block_id_wrapperIjLb0EEEEE10hipError_tT1_PNSt15iterator_traitsISG_E10value_typeET2_T3_PNSH_ISM_E10value_typeET4_T5_PSR_SS_PNS1_23onesweep_lookback_stateEbbT6_jjT7_P12ihipStream_tbENKUlT_T0_SG_SL_E_clIS7_S7_PlSB_EEDaSZ_S10_SG_SL_EUlSZ_E_NS1_11comp_targetILNS1_3genE6ELNS1_11target_archE950ELNS1_3gpuE13ELNS1_3repE0EEENS1_47radix_sort_onesweep_sort_config_static_selectorELNS0_4arch9wavefront6targetE1EEEvSG_.kd
    .uniform_work_group_size: 1
    .uses_dynamic_stack: false
    .vgpr_count:     0
    .vgpr_spill_count: 0
    .wavefront_size: 64
  - .agpr_count:     0
    .args:
      - .offset:         0
        .size:           88
        .value_kind:     by_value
    .group_segment_fixed_size: 0
    .kernarg_segment_align: 8
    .kernarg_segment_size: 88
    .language:       OpenCL C
    .language_version:
      - 2
      - 0
    .max_flat_workgroup_size: 1024
    .name:           _ZN7rocprim17ROCPRIM_400000_NS6detail17trampoline_kernelINS0_14default_configENS1_35radix_sort_onesweep_config_selectorIdlEEZZNS1_29radix_sort_onesweep_iterationIS3_Lb0EPdS7_N6thrust23THRUST_200600_302600_NS10device_ptrIlEESB_jNS0_19identity_decomposerENS1_16block_id_wrapperIjLb0EEEEE10hipError_tT1_PNSt15iterator_traitsISG_E10value_typeET2_T3_PNSH_ISM_E10value_typeET4_T5_PSR_SS_PNS1_23onesweep_lookback_stateEbbT6_jjT7_P12ihipStream_tbENKUlT_T0_SG_SL_E_clIS7_S7_PlSB_EEDaSZ_S10_SG_SL_EUlSZ_E_NS1_11comp_targetILNS1_3genE5ELNS1_11target_archE942ELNS1_3gpuE9ELNS1_3repE0EEENS1_47radix_sort_onesweep_sort_config_static_selectorELNS0_4arch9wavefront6targetE1EEEvSG_
    .private_segment_fixed_size: 0
    .sgpr_count:     4
    .sgpr_spill_count: 0
    .symbol:         _ZN7rocprim17ROCPRIM_400000_NS6detail17trampoline_kernelINS0_14default_configENS1_35radix_sort_onesweep_config_selectorIdlEEZZNS1_29radix_sort_onesweep_iterationIS3_Lb0EPdS7_N6thrust23THRUST_200600_302600_NS10device_ptrIlEESB_jNS0_19identity_decomposerENS1_16block_id_wrapperIjLb0EEEEE10hipError_tT1_PNSt15iterator_traitsISG_E10value_typeET2_T3_PNSH_ISM_E10value_typeET4_T5_PSR_SS_PNS1_23onesweep_lookback_stateEbbT6_jjT7_P12ihipStream_tbENKUlT_T0_SG_SL_E_clIS7_S7_PlSB_EEDaSZ_S10_SG_SL_EUlSZ_E_NS1_11comp_targetILNS1_3genE5ELNS1_11target_archE942ELNS1_3gpuE9ELNS1_3repE0EEENS1_47radix_sort_onesweep_sort_config_static_selectorELNS0_4arch9wavefront6targetE1EEEvSG_.kd
    .uniform_work_group_size: 1
    .uses_dynamic_stack: false
    .vgpr_count:     0
    .vgpr_spill_count: 0
    .wavefront_size: 64
  - .agpr_count:     0
    .args:
      - .offset:         0
        .size:           88
        .value_kind:     by_value
    .group_segment_fixed_size: 0
    .kernarg_segment_align: 8
    .kernarg_segment_size: 88
    .language:       OpenCL C
    .language_version:
      - 2
      - 0
    .max_flat_workgroup_size: 512
    .name:           _ZN7rocprim17ROCPRIM_400000_NS6detail17trampoline_kernelINS0_14default_configENS1_35radix_sort_onesweep_config_selectorIdlEEZZNS1_29radix_sort_onesweep_iterationIS3_Lb0EPdS7_N6thrust23THRUST_200600_302600_NS10device_ptrIlEESB_jNS0_19identity_decomposerENS1_16block_id_wrapperIjLb0EEEEE10hipError_tT1_PNSt15iterator_traitsISG_E10value_typeET2_T3_PNSH_ISM_E10value_typeET4_T5_PSR_SS_PNS1_23onesweep_lookback_stateEbbT6_jjT7_P12ihipStream_tbENKUlT_T0_SG_SL_E_clIS7_S7_PlSB_EEDaSZ_S10_SG_SL_EUlSZ_E_NS1_11comp_targetILNS1_3genE2ELNS1_11target_archE906ELNS1_3gpuE6ELNS1_3repE0EEENS1_47radix_sort_onesweep_sort_config_static_selectorELNS0_4arch9wavefront6targetE1EEEvSG_
    .private_segment_fixed_size: 0
    .sgpr_count:     4
    .sgpr_spill_count: 0
    .symbol:         _ZN7rocprim17ROCPRIM_400000_NS6detail17trampoline_kernelINS0_14default_configENS1_35radix_sort_onesweep_config_selectorIdlEEZZNS1_29radix_sort_onesweep_iterationIS3_Lb0EPdS7_N6thrust23THRUST_200600_302600_NS10device_ptrIlEESB_jNS0_19identity_decomposerENS1_16block_id_wrapperIjLb0EEEEE10hipError_tT1_PNSt15iterator_traitsISG_E10value_typeET2_T3_PNSH_ISM_E10value_typeET4_T5_PSR_SS_PNS1_23onesweep_lookback_stateEbbT6_jjT7_P12ihipStream_tbENKUlT_T0_SG_SL_E_clIS7_S7_PlSB_EEDaSZ_S10_SG_SL_EUlSZ_E_NS1_11comp_targetILNS1_3genE2ELNS1_11target_archE906ELNS1_3gpuE6ELNS1_3repE0EEENS1_47radix_sort_onesweep_sort_config_static_selectorELNS0_4arch9wavefront6targetE1EEEvSG_.kd
    .uniform_work_group_size: 1
    .uses_dynamic_stack: false
    .vgpr_count:     0
    .vgpr_spill_count: 0
    .wavefront_size: 64
  - .agpr_count:     0
    .args:
      - .offset:         0
        .size:           88
        .value_kind:     by_value
      - .offset:         88
        .size:           4
        .value_kind:     hidden_block_count_x
      - .offset:         92
        .size:           4
        .value_kind:     hidden_block_count_y
      - .offset:         96
        .size:           4
        .value_kind:     hidden_block_count_z
      - .offset:         100
        .size:           2
        .value_kind:     hidden_group_size_x
      - .offset:         102
        .size:           2
        .value_kind:     hidden_group_size_y
      - .offset:         104
        .size:           2
        .value_kind:     hidden_group_size_z
      - .offset:         106
        .size:           2
        .value_kind:     hidden_remainder_x
      - .offset:         108
        .size:           2
        .value_kind:     hidden_remainder_y
      - .offset:         110
        .size:           2
        .value_kind:     hidden_remainder_z
      - .offset:         128
        .size:           8
        .value_kind:     hidden_global_offset_x
      - .offset:         136
        .size:           8
        .value_kind:     hidden_global_offset_y
      - .offset:         144
        .size:           8
        .value_kind:     hidden_global_offset_z
      - .offset:         152
        .size:           2
        .value_kind:     hidden_grid_dims
    .group_segment_fixed_size: 20552
    .kernarg_segment_align: 8
    .kernarg_segment_size: 344
    .language:       OpenCL C
    .language_version:
      - 2
      - 0
    .max_flat_workgroup_size: 1024
    .name:           _ZN7rocprim17ROCPRIM_400000_NS6detail17trampoline_kernelINS0_14default_configENS1_35radix_sort_onesweep_config_selectorIdlEEZZNS1_29radix_sort_onesweep_iterationIS3_Lb0EPdS7_N6thrust23THRUST_200600_302600_NS10device_ptrIlEESB_jNS0_19identity_decomposerENS1_16block_id_wrapperIjLb0EEEEE10hipError_tT1_PNSt15iterator_traitsISG_E10value_typeET2_T3_PNSH_ISM_E10value_typeET4_T5_PSR_SS_PNS1_23onesweep_lookback_stateEbbT6_jjT7_P12ihipStream_tbENKUlT_T0_SG_SL_E_clIS7_S7_PlSB_EEDaSZ_S10_SG_SL_EUlSZ_E_NS1_11comp_targetILNS1_3genE4ELNS1_11target_archE910ELNS1_3gpuE8ELNS1_3repE0EEENS1_47radix_sort_onesweep_sort_config_static_selectorELNS0_4arch9wavefront6targetE1EEEvSG_
    .private_segment_fixed_size: 0
    .sgpr_count:     57
    .sgpr_spill_count: 0
    .symbol:         _ZN7rocprim17ROCPRIM_400000_NS6detail17trampoline_kernelINS0_14default_configENS1_35radix_sort_onesweep_config_selectorIdlEEZZNS1_29radix_sort_onesweep_iterationIS3_Lb0EPdS7_N6thrust23THRUST_200600_302600_NS10device_ptrIlEESB_jNS0_19identity_decomposerENS1_16block_id_wrapperIjLb0EEEEE10hipError_tT1_PNSt15iterator_traitsISG_E10value_typeET2_T3_PNSH_ISM_E10value_typeET4_T5_PSR_SS_PNS1_23onesweep_lookback_stateEbbT6_jjT7_P12ihipStream_tbENKUlT_T0_SG_SL_E_clIS7_S7_PlSB_EEDaSZ_S10_SG_SL_EUlSZ_E_NS1_11comp_targetILNS1_3genE4ELNS1_11target_archE910ELNS1_3gpuE8ELNS1_3repE0EEENS1_47radix_sort_onesweep_sort_config_static_selectorELNS0_4arch9wavefront6targetE1EEEvSG_.kd
    .uniform_work_group_size: 1
    .uses_dynamic_stack: false
    .vgpr_count:     57
    .vgpr_spill_count: 0
    .wavefront_size: 64
  - .agpr_count:     0
    .args:
      - .offset:         0
        .size:           88
        .value_kind:     by_value
    .group_segment_fixed_size: 0
    .kernarg_segment_align: 8
    .kernarg_segment_size: 88
    .language:       OpenCL C
    .language_version:
      - 2
      - 0
    .max_flat_workgroup_size: 512
    .name:           _ZN7rocprim17ROCPRIM_400000_NS6detail17trampoline_kernelINS0_14default_configENS1_35radix_sort_onesweep_config_selectorIdlEEZZNS1_29radix_sort_onesweep_iterationIS3_Lb0EPdS7_N6thrust23THRUST_200600_302600_NS10device_ptrIlEESB_jNS0_19identity_decomposerENS1_16block_id_wrapperIjLb0EEEEE10hipError_tT1_PNSt15iterator_traitsISG_E10value_typeET2_T3_PNSH_ISM_E10value_typeET4_T5_PSR_SS_PNS1_23onesweep_lookback_stateEbbT6_jjT7_P12ihipStream_tbENKUlT_T0_SG_SL_E_clIS7_S7_PlSB_EEDaSZ_S10_SG_SL_EUlSZ_E_NS1_11comp_targetILNS1_3genE3ELNS1_11target_archE908ELNS1_3gpuE7ELNS1_3repE0EEENS1_47radix_sort_onesweep_sort_config_static_selectorELNS0_4arch9wavefront6targetE1EEEvSG_
    .private_segment_fixed_size: 0
    .sgpr_count:     4
    .sgpr_spill_count: 0
    .symbol:         _ZN7rocprim17ROCPRIM_400000_NS6detail17trampoline_kernelINS0_14default_configENS1_35radix_sort_onesweep_config_selectorIdlEEZZNS1_29radix_sort_onesweep_iterationIS3_Lb0EPdS7_N6thrust23THRUST_200600_302600_NS10device_ptrIlEESB_jNS0_19identity_decomposerENS1_16block_id_wrapperIjLb0EEEEE10hipError_tT1_PNSt15iterator_traitsISG_E10value_typeET2_T3_PNSH_ISM_E10value_typeET4_T5_PSR_SS_PNS1_23onesweep_lookback_stateEbbT6_jjT7_P12ihipStream_tbENKUlT_T0_SG_SL_E_clIS7_S7_PlSB_EEDaSZ_S10_SG_SL_EUlSZ_E_NS1_11comp_targetILNS1_3genE3ELNS1_11target_archE908ELNS1_3gpuE7ELNS1_3repE0EEENS1_47radix_sort_onesweep_sort_config_static_selectorELNS0_4arch9wavefront6targetE1EEEvSG_.kd
    .uniform_work_group_size: 1
    .uses_dynamic_stack: false
    .vgpr_count:     0
    .vgpr_spill_count: 0
    .wavefront_size: 64
  - .agpr_count:     0
    .args:
      - .offset:         0
        .size:           88
        .value_kind:     by_value
    .group_segment_fixed_size: 0
    .kernarg_segment_align: 8
    .kernarg_segment_size: 88
    .language:       OpenCL C
    .language_version:
      - 2
      - 0
    .max_flat_workgroup_size: 1024
    .name:           _ZN7rocprim17ROCPRIM_400000_NS6detail17trampoline_kernelINS0_14default_configENS1_35radix_sort_onesweep_config_selectorIdlEEZZNS1_29radix_sort_onesweep_iterationIS3_Lb0EPdS7_N6thrust23THRUST_200600_302600_NS10device_ptrIlEESB_jNS0_19identity_decomposerENS1_16block_id_wrapperIjLb0EEEEE10hipError_tT1_PNSt15iterator_traitsISG_E10value_typeET2_T3_PNSH_ISM_E10value_typeET4_T5_PSR_SS_PNS1_23onesweep_lookback_stateEbbT6_jjT7_P12ihipStream_tbENKUlT_T0_SG_SL_E_clIS7_S7_PlSB_EEDaSZ_S10_SG_SL_EUlSZ_E_NS1_11comp_targetILNS1_3genE10ELNS1_11target_archE1201ELNS1_3gpuE5ELNS1_3repE0EEENS1_47radix_sort_onesweep_sort_config_static_selectorELNS0_4arch9wavefront6targetE1EEEvSG_
    .private_segment_fixed_size: 0
    .sgpr_count:     4
    .sgpr_spill_count: 0
    .symbol:         _ZN7rocprim17ROCPRIM_400000_NS6detail17trampoline_kernelINS0_14default_configENS1_35radix_sort_onesweep_config_selectorIdlEEZZNS1_29radix_sort_onesweep_iterationIS3_Lb0EPdS7_N6thrust23THRUST_200600_302600_NS10device_ptrIlEESB_jNS0_19identity_decomposerENS1_16block_id_wrapperIjLb0EEEEE10hipError_tT1_PNSt15iterator_traitsISG_E10value_typeET2_T3_PNSH_ISM_E10value_typeET4_T5_PSR_SS_PNS1_23onesweep_lookback_stateEbbT6_jjT7_P12ihipStream_tbENKUlT_T0_SG_SL_E_clIS7_S7_PlSB_EEDaSZ_S10_SG_SL_EUlSZ_E_NS1_11comp_targetILNS1_3genE10ELNS1_11target_archE1201ELNS1_3gpuE5ELNS1_3repE0EEENS1_47radix_sort_onesweep_sort_config_static_selectorELNS0_4arch9wavefront6targetE1EEEvSG_.kd
    .uniform_work_group_size: 1
    .uses_dynamic_stack: false
    .vgpr_count:     0
    .vgpr_spill_count: 0
    .wavefront_size: 64
  - .agpr_count:     0
    .args:
      - .offset:         0
        .size:           88
        .value_kind:     by_value
    .group_segment_fixed_size: 0
    .kernarg_segment_align: 8
    .kernarg_segment_size: 88
    .language:       OpenCL C
    .language_version:
      - 2
      - 0
    .max_flat_workgroup_size: 1024
    .name:           _ZN7rocprim17ROCPRIM_400000_NS6detail17trampoline_kernelINS0_14default_configENS1_35radix_sort_onesweep_config_selectorIdlEEZZNS1_29radix_sort_onesweep_iterationIS3_Lb0EPdS7_N6thrust23THRUST_200600_302600_NS10device_ptrIlEESB_jNS0_19identity_decomposerENS1_16block_id_wrapperIjLb0EEEEE10hipError_tT1_PNSt15iterator_traitsISG_E10value_typeET2_T3_PNSH_ISM_E10value_typeET4_T5_PSR_SS_PNS1_23onesweep_lookback_stateEbbT6_jjT7_P12ihipStream_tbENKUlT_T0_SG_SL_E_clIS7_S7_PlSB_EEDaSZ_S10_SG_SL_EUlSZ_E_NS1_11comp_targetILNS1_3genE9ELNS1_11target_archE1100ELNS1_3gpuE3ELNS1_3repE0EEENS1_47radix_sort_onesweep_sort_config_static_selectorELNS0_4arch9wavefront6targetE1EEEvSG_
    .private_segment_fixed_size: 0
    .sgpr_count:     4
    .sgpr_spill_count: 0
    .symbol:         _ZN7rocprim17ROCPRIM_400000_NS6detail17trampoline_kernelINS0_14default_configENS1_35radix_sort_onesweep_config_selectorIdlEEZZNS1_29radix_sort_onesweep_iterationIS3_Lb0EPdS7_N6thrust23THRUST_200600_302600_NS10device_ptrIlEESB_jNS0_19identity_decomposerENS1_16block_id_wrapperIjLb0EEEEE10hipError_tT1_PNSt15iterator_traitsISG_E10value_typeET2_T3_PNSH_ISM_E10value_typeET4_T5_PSR_SS_PNS1_23onesweep_lookback_stateEbbT6_jjT7_P12ihipStream_tbENKUlT_T0_SG_SL_E_clIS7_S7_PlSB_EEDaSZ_S10_SG_SL_EUlSZ_E_NS1_11comp_targetILNS1_3genE9ELNS1_11target_archE1100ELNS1_3gpuE3ELNS1_3repE0EEENS1_47radix_sort_onesweep_sort_config_static_selectorELNS0_4arch9wavefront6targetE1EEEvSG_.kd
    .uniform_work_group_size: 1
    .uses_dynamic_stack: false
    .vgpr_count:     0
    .vgpr_spill_count: 0
    .wavefront_size: 64
  - .agpr_count:     0
    .args:
      - .offset:         0
        .size:           88
        .value_kind:     by_value
    .group_segment_fixed_size: 0
    .kernarg_segment_align: 8
    .kernarg_segment_size: 88
    .language:       OpenCL C
    .language_version:
      - 2
      - 0
    .max_flat_workgroup_size: 1024
    .name:           _ZN7rocprim17ROCPRIM_400000_NS6detail17trampoline_kernelINS0_14default_configENS1_35radix_sort_onesweep_config_selectorIdlEEZZNS1_29radix_sort_onesweep_iterationIS3_Lb0EPdS7_N6thrust23THRUST_200600_302600_NS10device_ptrIlEESB_jNS0_19identity_decomposerENS1_16block_id_wrapperIjLb0EEEEE10hipError_tT1_PNSt15iterator_traitsISG_E10value_typeET2_T3_PNSH_ISM_E10value_typeET4_T5_PSR_SS_PNS1_23onesweep_lookback_stateEbbT6_jjT7_P12ihipStream_tbENKUlT_T0_SG_SL_E_clIS7_S7_PlSB_EEDaSZ_S10_SG_SL_EUlSZ_E_NS1_11comp_targetILNS1_3genE8ELNS1_11target_archE1030ELNS1_3gpuE2ELNS1_3repE0EEENS1_47radix_sort_onesweep_sort_config_static_selectorELNS0_4arch9wavefront6targetE1EEEvSG_
    .private_segment_fixed_size: 0
    .sgpr_count:     4
    .sgpr_spill_count: 0
    .symbol:         _ZN7rocprim17ROCPRIM_400000_NS6detail17trampoline_kernelINS0_14default_configENS1_35radix_sort_onesweep_config_selectorIdlEEZZNS1_29radix_sort_onesweep_iterationIS3_Lb0EPdS7_N6thrust23THRUST_200600_302600_NS10device_ptrIlEESB_jNS0_19identity_decomposerENS1_16block_id_wrapperIjLb0EEEEE10hipError_tT1_PNSt15iterator_traitsISG_E10value_typeET2_T3_PNSH_ISM_E10value_typeET4_T5_PSR_SS_PNS1_23onesweep_lookback_stateEbbT6_jjT7_P12ihipStream_tbENKUlT_T0_SG_SL_E_clIS7_S7_PlSB_EEDaSZ_S10_SG_SL_EUlSZ_E_NS1_11comp_targetILNS1_3genE8ELNS1_11target_archE1030ELNS1_3gpuE2ELNS1_3repE0EEENS1_47radix_sort_onesweep_sort_config_static_selectorELNS0_4arch9wavefront6targetE1EEEvSG_.kd
    .uniform_work_group_size: 1
    .uses_dynamic_stack: false
    .vgpr_count:     0
    .vgpr_spill_count: 0
    .wavefront_size: 64
  - .agpr_count:     0
    .args:
      - .offset:         0
        .size:           72
        .value_kind:     by_value
    .group_segment_fixed_size: 0
    .kernarg_segment_align: 8
    .kernarg_segment_size: 72
    .language:       OpenCL C
    .language_version:
      - 2
      - 0
    .max_flat_workgroup_size: 256
    .name:           _ZN7rocprim17ROCPRIM_400000_NS6detail17trampoline_kernelINS0_14default_configENS1_22reduce_config_selectorIiEEZNS1_11reduce_implILb1ES3_N6thrust23THRUST_200600_302600_NS11hip_rocprim35transform_pair_of_input_iterators_tIiPdSB_NS8_12not_equal_toIdEEEEPiiNS8_4plusIiEEEE10hipError_tPvRmT1_T2_T3_mT4_P12ihipStream_tbEUlT_E0_NS1_11comp_targetILNS1_3genE0ELNS1_11target_archE4294967295ELNS1_3gpuE0ELNS1_3repE0EEENS1_30default_config_static_selectorELNS0_4arch9wavefront6targetE1EEEvSL_
    .private_segment_fixed_size: 0
    .sgpr_count:     4
    .sgpr_spill_count: 0
    .symbol:         _ZN7rocprim17ROCPRIM_400000_NS6detail17trampoline_kernelINS0_14default_configENS1_22reduce_config_selectorIiEEZNS1_11reduce_implILb1ES3_N6thrust23THRUST_200600_302600_NS11hip_rocprim35transform_pair_of_input_iterators_tIiPdSB_NS8_12not_equal_toIdEEEEPiiNS8_4plusIiEEEE10hipError_tPvRmT1_T2_T3_mT4_P12ihipStream_tbEUlT_E0_NS1_11comp_targetILNS1_3genE0ELNS1_11target_archE4294967295ELNS1_3gpuE0ELNS1_3repE0EEENS1_30default_config_static_selectorELNS0_4arch9wavefront6targetE1EEEvSL_.kd
    .uniform_work_group_size: 1
    .uses_dynamic_stack: false
    .vgpr_count:     0
    .vgpr_spill_count: 0
    .wavefront_size: 64
  - .agpr_count:     0
    .args:
      - .offset:         0
        .size:           72
        .value_kind:     by_value
    .group_segment_fixed_size: 0
    .kernarg_segment_align: 8
    .kernarg_segment_size: 72
    .language:       OpenCL C
    .language_version:
      - 2
      - 0
    .max_flat_workgroup_size: 256
    .name:           _ZN7rocprim17ROCPRIM_400000_NS6detail17trampoline_kernelINS0_14default_configENS1_22reduce_config_selectorIiEEZNS1_11reduce_implILb1ES3_N6thrust23THRUST_200600_302600_NS11hip_rocprim35transform_pair_of_input_iterators_tIiPdSB_NS8_12not_equal_toIdEEEEPiiNS8_4plusIiEEEE10hipError_tPvRmT1_T2_T3_mT4_P12ihipStream_tbEUlT_E0_NS1_11comp_targetILNS1_3genE5ELNS1_11target_archE942ELNS1_3gpuE9ELNS1_3repE0EEENS1_30default_config_static_selectorELNS0_4arch9wavefront6targetE1EEEvSL_
    .private_segment_fixed_size: 0
    .sgpr_count:     4
    .sgpr_spill_count: 0
    .symbol:         _ZN7rocprim17ROCPRIM_400000_NS6detail17trampoline_kernelINS0_14default_configENS1_22reduce_config_selectorIiEEZNS1_11reduce_implILb1ES3_N6thrust23THRUST_200600_302600_NS11hip_rocprim35transform_pair_of_input_iterators_tIiPdSB_NS8_12not_equal_toIdEEEEPiiNS8_4plusIiEEEE10hipError_tPvRmT1_T2_T3_mT4_P12ihipStream_tbEUlT_E0_NS1_11comp_targetILNS1_3genE5ELNS1_11target_archE942ELNS1_3gpuE9ELNS1_3repE0EEENS1_30default_config_static_selectorELNS0_4arch9wavefront6targetE1EEEvSL_.kd
    .uniform_work_group_size: 1
    .uses_dynamic_stack: false
    .vgpr_count:     0
    .vgpr_spill_count: 0
    .wavefront_size: 64
  - .agpr_count:     0
    .args:
      - .offset:         0
        .size:           72
        .value_kind:     by_value
    .group_segment_fixed_size: 16
    .kernarg_segment_align: 8
    .kernarg_segment_size: 72
    .language:       OpenCL C
    .language_version:
      - 2
      - 0
    .max_flat_workgroup_size: 128
    .name:           _ZN7rocprim17ROCPRIM_400000_NS6detail17trampoline_kernelINS0_14default_configENS1_22reduce_config_selectorIiEEZNS1_11reduce_implILb1ES3_N6thrust23THRUST_200600_302600_NS11hip_rocprim35transform_pair_of_input_iterators_tIiPdSB_NS8_12not_equal_toIdEEEEPiiNS8_4plusIiEEEE10hipError_tPvRmT1_T2_T3_mT4_P12ihipStream_tbEUlT_E0_NS1_11comp_targetILNS1_3genE4ELNS1_11target_archE910ELNS1_3gpuE8ELNS1_3repE0EEENS1_30default_config_static_selectorELNS0_4arch9wavefront6targetE1EEEvSL_
    .private_segment_fixed_size: 0
    .sgpr_count:     34
    .sgpr_spill_count: 0
    .symbol:         _ZN7rocprim17ROCPRIM_400000_NS6detail17trampoline_kernelINS0_14default_configENS1_22reduce_config_selectorIiEEZNS1_11reduce_implILb1ES3_N6thrust23THRUST_200600_302600_NS11hip_rocprim35transform_pair_of_input_iterators_tIiPdSB_NS8_12not_equal_toIdEEEEPiiNS8_4plusIiEEEE10hipError_tPvRmT1_T2_T3_mT4_P12ihipStream_tbEUlT_E0_NS1_11comp_targetILNS1_3genE4ELNS1_11target_archE910ELNS1_3gpuE8ELNS1_3repE0EEENS1_30default_config_static_selectorELNS0_4arch9wavefront6targetE1EEEvSL_.kd
    .uniform_work_group_size: 1
    .uses_dynamic_stack: false
    .vgpr_count:     40
    .vgpr_spill_count: 0
    .wavefront_size: 64
  - .agpr_count:     0
    .args:
      - .offset:         0
        .size:           72
        .value_kind:     by_value
    .group_segment_fixed_size: 0
    .kernarg_segment_align: 8
    .kernarg_segment_size: 72
    .language:       OpenCL C
    .language_version:
      - 2
      - 0
    .max_flat_workgroup_size: 256
    .name:           _ZN7rocprim17ROCPRIM_400000_NS6detail17trampoline_kernelINS0_14default_configENS1_22reduce_config_selectorIiEEZNS1_11reduce_implILb1ES3_N6thrust23THRUST_200600_302600_NS11hip_rocprim35transform_pair_of_input_iterators_tIiPdSB_NS8_12not_equal_toIdEEEEPiiNS8_4plusIiEEEE10hipError_tPvRmT1_T2_T3_mT4_P12ihipStream_tbEUlT_E0_NS1_11comp_targetILNS1_3genE3ELNS1_11target_archE908ELNS1_3gpuE7ELNS1_3repE0EEENS1_30default_config_static_selectorELNS0_4arch9wavefront6targetE1EEEvSL_
    .private_segment_fixed_size: 0
    .sgpr_count:     4
    .sgpr_spill_count: 0
    .symbol:         _ZN7rocprim17ROCPRIM_400000_NS6detail17trampoline_kernelINS0_14default_configENS1_22reduce_config_selectorIiEEZNS1_11reduce_implILb1ES3_N6thrust23THRUST_200600_302600_NS11hip_rocprim35transform_pair_of_input_iterators_tIiPdSB_NS8_12not_equal_toIdEEEEPiiNS8_4plusIiEEEE10hipError_tPvRmT1_T2_T3_mT4_P12ihipStream_tbEUlT_E0_NS1_11comp_targetILNS1_3genE3ELNS1_11target_archE908ELNS1_3gpuE7ELNS1_3repE0EEENS1_30default_config_static_selectorELNS0_4arch9wavefront6targetE1EEEvSL_.kd
    .uniform_work_group_size: 1
    .uses_dynamic_stack: false
    .vgpr_count:     0
    .vgpr_spill_count: 0
    .wavefront_size: 64
  - .agpr_count:     0
    .args:
      - .offset:         0
        .size:           72
        .value_kind:     by_value
    .group_segment_fixed_size: 0
    .kernarg_segment_align: 8
    .kernarg_segment_size: 72
    .language:       OpenCL C
    .language_version:
      - 2
      - 0
    .max_flat_workgroup_size: 256
    .name:           _ZN7rocprim17ROCPRIM_400000_NS6detail17trampoline_kernelINS0_14default_configENS1_22reduce_config_selectorIiEEZNS1_11reduce_implILb1ES3_N6thrust23THRUST_200600_302600_NS11hip_rocprim35transform_pair_of_input_iterators_tIiPdSB_NS8_12not_equal_toIdEEEEPiiNS8_4plusIiEEEE10hipError_tPvRmT1_T2_T3_mT4_P12ihipStream_tbEUlT_E0_NS1_11comp_targetILNS1_3genE2ELNS1_11target_archE906ELNS1_3gpuE6ELNS1_3repE0EEENS1_30default_config_static_selectorELNS0_4arch9wavefront6targetE1EEEvSL_
    .private_segment_fixed_size: 0
    .sgpr_count:     4
    .sgpr_spill_count: 0
    .symbol:         _ZN7rocprim17ROCPRIM_400000_NS6detail17trampoline_kernelINS0_14default_configENS1_22reduce_config_selectorIiEEZNS1_11reduce_implILb1ES3_N6thrust23THRUST_200600_302600_NS11hip_rocprim35transform_pair_of_input_iterators_tIiPdSB_NS8_12not_equal_toIdEEEEPiiNS8_4plusIiEEEE10hipError_tPvRmT1_T2_T3_mT4_P12ihipStream_tbEUlT_E0_NS1_11comp_targetILNS1_3genE2ELNS1_11target_archE906ELNS1_3gpuE6ELNS1_3repE0EEENS1_30default_config_static_selectorELNS0_4arch9wavefront6targetE1EEEvSL_.kd
    .uniform_work_group_size: 1
    .uses_dynamic_stack: false
    .vgpr_count:     0
    .vgpr_spill_count: 0
    .wavefront_size: 64
  - .agpr_count:     0
    .args:
      - .offset:         0
        .size:           72
        .value_kind:     by_value
    .group_segment_fixed_size: 0
    .kernarg_segment_align: 8
    .kernarg_segment_size: 72
    .language:       OpenCL C
    .language_version:
      - 2
      - 0
    .max_flat_workgroup_size: 256
    .name:           _ZN7rocprim17ROCPRIM_400000_NS6detail17trampoline_kernelINS0_14default_configENS1_22reduce_config_selectorIiEEZNS1_11reduce_implILb1ES3_N6thrust23THRUST_200600_302600_NS11hip_rocprim35transform_pair_of_input_iterators_tIiPdSB_NS8_12not_equal_toIdEEEEPiiNS8_4plusIiEEEE10hipError_tPvRmT1_T2_T3_mT4_P12ihipStream_tbEUlT_E0_NS1_11comp_targetILNS1_3genE10ELNS1_11target_archE1201ELNS1_3gpuE5ELNS1_3repE0EEENS1_30default_config_static_selectorELNS0_4arch9wavefront6targetE1EEEvSL_
    .private_segment_fixed_size: 0
    .sgpr_count:     4
    .sgpr_spill_count: 0
    .symbol:         _ZN7rocprim17ROCPRIM_400000_NS6detail17trampoline_kernelINS0_14default_configENS1_22reduce_config_selectorIiEEZNS1_11reduce_implILb1ES3_N6thrust23THRUST_200600_302600_NS11hip_rocprim35transform_pair_of_input_iterators_tIiPdSB_NS8_12not_equal_toIdEEEEPiiNS8_4plusIiEEEE10hipError_tPvRmT1_T2_T3_mT4_P12ihipStream_tbEUlT_E0_NS1_11comp_targetILNS1_3genE10ELNS1_11target_archE1201ELNS1_3gpuE5ELNS1_3repE0EEENS1_30default_config_static_selectorELNS0_4arch9wavefront6targetE1EEEvSL_.kd
    .uniform_work_group_size: 1
    .uses_dynamic_stack: false
    .vgpr_count:     0
    .vgpr_spill_count: 0
    .wavefront_size: 64
  - .agpr_count:     0
    .args:
      - .offset:         0
        .size:           72
        .value_kind:     by_value
    .group_segment_fixed_size: 0
    .kernarg_segment_align: 8
    .kernarg_segment_size: 72
    .language:       OpenCL C
    .language_version:
      - 2
      - 0
    .max_flat_workgroup_size: 256
    .name:           _ZN7rocprim17ROCPRIM_400000_NS6detail17trampoline_kernelINS0_14default_configENS1_22reduce_config_selectorIiEEZNS1_11reduce_implILb1ES3_N6thrust23THRUST_200600_302600_NS11hip_rocprim35transform_pair_of_input_iterators_tIiPdSB_NS8_12not_equal_toIdEEEEPiiNS8_4plusIiEEEE10hipError_tPvRmT1_T2_T3_mT4_P12ihipStream_tbEUlT_E0_NS1_11comp_targetILNS1_3genE10ELNS1_11target_archE1200ELNS1_3gpuE4ELNS1_3repE0EEENS1_30default_config_static_selectorELNS0_4arch9wavefront6targetE1EEEvSL_
    .private_segment_fixed_size: 0
    .sgpr_count:     4
    .sgpr_spill_count: 0
    .symbol:         _ZN7rocprim17ROCPRIM_400000_NS6detail17trampoline_kernelINS0_14default_configENS1_22reduce_config_selectorIiEEZNS1_11reduce_implILb1ES3_N6thrust23THRUST_200600_302600_NS11hip_rocprim35transform_pair_of_input_iterators_tIiPdSB_NS8_12not_equal_toIdEEEEPiiNS8_4plusIiEEEE10hipError_tPvRmT1_T2_T3_mT4_P12ihipStream_tbEUlT_E0_NS1_11comp_targetILNS1_3genE10ELNS1_11target_archE1200ELNS1_3gpuE4ELNS1_3repE0EEENS1_30default_config_static_selectorELNS0_4arch9wavefront6targetE1EEEvSL_.kd
    .uniform_work_group_size: 1
    .uses_dynamic_stack: false
    .vgpr_count:     0
    .vgpr_spill_count: 0
    .wavefront_size: 64
  - .agpr_count:     0
    .args:
      - .offset:         0
        .size:           72
        .value_kind:     by_value
    .group_segment_fixed_size: 0
    .kernarg_segment_align: 8
    .kernarg_segment_size: 72
    .language:       OpenCL C
    .language_version:
      - 2
      - 0
    .max_flat_workgroup_size: 256
    .name:           _ZN7rocprim17ROCPRIM_400000_NS6detail17trampoline_kernelINS0_14default_configENS1_22reduce_config_selectorIiEEZNS1_11reduce_implILb1ES3_N6thrust23THRUST_200600_302600_NS11hip_rocprim35transform_pair_of_input_iterators_tIiPdSB_NS8_12not_equal_toIdEEEEPiiNS8_4plusIiEEEE10hipError_tPvRmT1_T2_T3_mT4_P12ihipStream_tbEUlT_E0_NS1_11comp_targetILNS1_3genE9ELNS1_11target_archE1100ELNS1_3gpuE3ELNS1_3repE0EEENS1_30default_config_static_selectorELNS0_4arch9wavefront6targetE1EEEvSL_
    .private_segment_fixed_size: 0
    .sgpr_count:     4
    .sgpr_spill_count: 0
    .symbol:         _ZN7rocprim17ROCPRIM_400000_NS6detail17trampoline_kernelINS0_14default_configENS1_22reduce_config_selectorIiEEZNS1_11reduce_implILb1ES3_N6thrust23THRUST_200600_302600_NS11hip_rocprim35transform_pair_of_input_iterators_tIiPdSB_NS8_12not_equal_toIdEEEEPiiNS8_4plusIiEEEE10hipError_tPvRmT1_T2_T3_mT4_P12ihipStream_tbEUlT_E0_NS1_11comp_targetILNS1_3genE9ELNS1_11target_archE1100ELNS1_3gpuE3ELNS1_3repE0EEENS1_30default_config_static_selectorELNS0_4arch9wavefront6targetE1EEEvSL_.kd
    .uniform_work_group_size: 1
    .uses_dynamic_stack: false
    .vgpr_count:     0
    .vgpr_spill_count: 0
    .wavefront_size: 64
  - .agpr_count:     0
    .args:
      - .offset:         0
        .size:           72
        .value_kind:     by_value
    .group_segment_fixed_size: 0
    .kernarg_segment_align: 8
    .kernarg_segment_size: 72
    .language:       OpenCL C
    .language_version:
      - 2
      - 0
    .max_flat_workgroup_size: 256
    .name:           _ZN7rocprim17ROCPRIM_400000_NS6detail17trampoline_kernelINS0_14default_configENS1_22reduce_config_selectorIiEEZNS1_11reduce_implILb1ES3_N6thrust23THRUST_200600_302600_NS11hip_rocprim35transform_pair_of_input_iterators_tIiPdSB_NS8_12not_equal_toIdEEEEPiiNS8_4plusIiEEEE10hipError_tPvRmT1_T2_T3_mT4_P12ihipStream_tbEUlT_E0_NS1_11comp_targetILNS1_3genE8ELNS1_11target_archE1030ELNS1_3gpuE2ELNS1_3repE0EEENS1_30default_config_static_selectorELNS0_4arch9wavefront6targetE1EEEvSL_
    .private_segment_fixed_size: 0
    .sgpr_count:     4
    .sgpr_spill_count: 0
    .symbol:         _ZN7rocprim17ROCPRIM_400000_NS6detail17trampoline_kernelINS0_14default_configENS1_22reduce_config_selectorIiEEZNS1_11reduce_implILb1ES3_N6thrust23THRUST_200600_302600_NS11hip_rocprim35transform_pair_of_input_iterators_tIiPdSB_NS8_12not_equal_toIdEEEEPiiNS8_4plusIiEEEE10hipError_tPvRmT1_T2_T3_mT4_P12ihipStream_tbEUlT_E0_NS1_11comp_targetILNS1_3genE8ELNS1_11target_archE1030ELNS1_3gpuE2ELNS1_3repE0EEENS1_30default_config_static_selectorELNS0_4arch9wavefront6targetE1EEEvSL_.kd
    .uniform_work_group_size: 1
    .uses_dynamic_stack: false
    .vgpr_count:     0
    .vgpr_spill_count: 0
    .wavefront_size: 64
  - .agpr_count:     0
    .args:
      - .offset:         0
        .size:           56
        .value_kind:     by_value
    .group_segment_fixed_size: 0
    .kernarg_segment_align: 8
    .kernarg_segment_size: 56
    .language:       OpenCL C
    .language_version:
      - 2
      - 0
    .max_flat_workgroup_size: 256
    .name:           _ZN7rocprim17ROCPRIM_400000_NS6detail17trampoline_kernelINS0_14default_configENS1_22reduce_config_selectorIiEEZNS1_11reduce_implILb1ES3_N6thrust23THRUST_200600_302600_NS11hip_rocprim35transform_pair_of_input_iterators_tIiPdSB_NS8_12not_equal_toIdEEEEPiiNS8_4plusIiEEEE10hipError_tPvRmT1_T2_T3_mT4_P12ihipStream_tbEUlT_E1_NS1_11comp_targetILNS1_3genE0ELNS1_11target_archE4294967295ELNS1_3gpuE0ELNS1_3repE0EEENS1_30default_config_static_selectorELNS0_4arch9wavefront6targetE1EEEvSL_
    .private_segment_fixed_size: 0
    .sgpr_count:     4
    .sgpr_spill_count: 0
    .symbol:         _ZN7rocprim17ROCPRIM_400000_NS6detail17trampoline_kernelINS0_14default_configENS1_22reduce_config_selectorIiEEZNS1_11reduce_implILb1ES3_N6thrust23THRUST_200600_302600_NS11hip_rocprim35transform_pair_of_input_iterators_tIiPdSB_NS8_12not_equal_toIdEEEEPiiNS8_4plusIiEEEE10hipError_tPvRmT1_T2_T3_mT4_P12ihipStream_tbEUlT_E1_NS1_11comp_targetILNS1_3genE0ELNS1_11target_archE4294967295ELNS1_3gpuE0ELNS1_3repE0EEENS1_30default_config_static_selectorELNS0_4arch9wavefront6targetE1EEEvSL_.kd
    .uniform_work_group_size: 1
    .uses_dynamic_stack: false
    .vgpr_count:     0
    .vgpr_spill_count: 0
    .wavefront_size: 64
  - .agpr_count:     0
    .args:
      - .offset:         0
        .size:           56
        .value_kind:     by_value
    .group_segment_fixed_size: 0
    .kernarg_segment_align: 8
    .kernarg_segment_size: 56
    .language:       OpenCL C
    .language_version:
      - 2
      - 0
    .max_flat_workgroup_size: 256
    .name:           _ZN7rocprim17ROCPRIM_400000_NS6detail17trampoline_kernelINS0_14default_configENS1_22reduce_config_selectorIiEEZNS1_11reduce_implILb1ES3_N6thrust23THRUST_200600_302600_NS11hip_rocprim35transform_pair_of_input_iterators_tIiPdSB_NS8_12not_equal_toIdEEEEPiiNS8_4plusIiEEEE10hipError_tPvRmT1_T2_T3_mT4_P12ihipStream_tbEUlT_E1_NS1_11comp_targetILNS1_3genE5ELNS1_11target_archE942ELNS1_3gpuE9ELNS1_3repE0EEENS1_30default_config_static_selectorELNS0_4arch9wavefront6targetE1EEEvSL_
    .private_segment_fixed_size: 0
    .sgpr_count:     4
    .sgpr_spill_count: 0
    .symbol:         _ZN7rocprim17ROCPRIM_400000_NS6detail17trampoline_kernelINS0_14default_configENS1_22reduce_config_selectorIiEEZNS1_11reduce_implILb1ES3_N6thrust23THRUST_200600_302600_NS11hip_rocprim35transform_pair_of_input_iterators_tIiPdSB_NS8_12not_equal_toIdEEEEPiiNS8_4plusIiEEEE10hipError_tPvRmT1_T2_T3_mT4_P12ihipStream_tbEUlT_E1_NS1_11comp_targetILNS1_3genE5ELNS1_11target_archE942ELNS1_3gpuE9ELNS1_3repE0EEENS1_30default_config_static_selectorELNS0_4arch9wavefront6targetE1EEEvSL_.kd
    .uniform_work_group_size: 1
    .uses_dynamic_stack: false
    .vgpr_count:     0
    .vgpr_spill_count: 0
    .wavefront_size: 64
  - .agpr_count:     0
    .args:
      - .offset:         0
        .size:           56
        .value_kind:     by_value
    .group_segment_fixed_size: 56
    .kernarg_segment_align: 8
    .kernarg_segment_size: 56
    .language:       OpenCL C
    .language_version:
      - 2
      - 0
    .max_flat_workgroup_size: 128
    .name:           _ZN7rocprim17ROCPRIM_400000_NS6detail17trampoline_kernelINS0_14default_configENS1_22reduce_config_selectorIiEEZNS1_11reduce_implILb1ES3_N6thrust23THRUST_200600_302600_NS11hip_rocprim35transform_pair_of_input_iterators_tIiPdSB_NS8_12not_equal_toIdEEEEPiiNS8_4plusIiEEEE10hipError_tPvRmT1_T2_T3_mT4_P12ihipStream_tbEUlT_E1_NS1_11comp_targetILNS1_3genE4ELNS1_11target_archE910ELNS1_3gpuE8ELNS1_3repE0EEENS1_30default_config_static_selectorELNS0_4arch9wavefront6targetE1EEEvSL_
    .private_segment_fixed_size: 0
    .sgpr_count:     53
    .sgpr_spill_count: 0
    .symbol:         _ZN7rocprim17ROCPRIM_400000_NS6detail17trampoline_kernelINS0_14default_configENS1_22reduce_config_selectorIiEEZNS1_11reduce_implILb1ES3_N6thrust23THRUST_200600_302600_NS11hip_rocprim35transform_pair_of_input_iterators_tIiPdSB_NS8_12not_equal_toIdEEEEPiiNS8_4plusIiEEEE10hipError_tPvRmT1_T2_T3_mT4_P12ihipStream_tbEUlT_E1_NS1_11comp_targetILNS1_3genE4ELNS1_11target_archE910ELNS1_3gpuE8ELNS1_3repE0EEENS1_30default_config_static_selectorELNS0_4arch9wavefront6targetE1EEEvSL_.kd
    .uniform_work_group_size: 1
    .uses_dynamic_stack: false
    .vgpr_count:     83
    .vgpr_spill_count: 0
    .wavefront_size: 64
  - .agpr_count:     0
    .args:
      - .offset:         0
        .size:           56
        .value_kind:     by_value
    .group_segment_fixed_size: 0
    .kernarg_segment_align: 8
    .kernarg_segment_size: 56
    .language:       OpenCL C
    .language_version:
      - 2
      - 0
    .max_flat_workgroup_size: 256
    .name:           _ZN7rocprim17ROCPRIM_400000_NS6detail17trampoline_kernelINS0_14default_configENS1_22reduce_config_selectorIiEEZNS1_11reduce_implILb1ES3_N6thrust23THRUST_200600_302600_NS11hip_rocprim35transform_pair_of_input_iterators_tIiPdSB_NS8_12not_equal_toIdEEEEPiiNS8_4plusIiEEEE10hipError_tPvRmT1_T2_T3_mT4_P12ihipStream_tbEUlT_E1_NS1_11comp_targetILNS1_3genE3ELNS1_11target_archE908ELNS1_3gpuE7ELNS1_3repE0EEENS1_30default_config_static_selectorELNS0_4arch9wavefront6targetE1EEEvSL_
    .private_segment_fixed_size: 0
    .sgpr_count:     4
    .sgpr_spill_count: 0
    .symbol:         _ZN7rocprim17ROCPRIM_400000_NS6detail17trampoline_kernelINS0_14default_configENS1_22reduce_config_selectorIiEEZNS1_11reduce_implILb1ES3_N6thrust23THRUST_200600_302600_NS11hip_rocprim35transform_pair_of_input_iterators_tIiPdSB_NS8_12not_equal_toIdEEEEPiiNS8_4plusIiEEEE10hipError_tPvRmT1_T2_T3_mT4_P12ihipStream_tbEUlT_E1_NS1_11comp_targetILNS1_3genE3ELNS1_11target_archE908ELNS1_3gpuE7ELNS1_3repE0EEENS1_30default_config_static_selectorELNS0_4arch9wavefront6targetE1EEEvSL_.kd
    .uniform_work_group_size: 1
    .uses_dynamic_stack: false
    .vgpr_count:     0
    .vgpr_spill_count: 0
    .wavefront_size: 64
  - .agpr_count:     0
    .args:
      - .offset:         0
        .size:           56
        .value_kind:     by_value
    .group_segment_fixed_size: 0
    .kernarg_segment_align: 8
    .kernarg_segment_size: 56
    .language:       OpenCL C
    .language_version:
      - 2
      - 0
    .max_flat_workgroup_size: 256
    .name:           _ZN7rocprim17ROCPRIM_400000_NS6detail17trampoline_kernelINS0_14default_configENS1_22reduce_config_selectorIiEEZNS1_11reduce_implILb1ES3_N6thrust23THRUST_200600_302600_NS11hip_rocprim35transform_pair_of_input_iterators_tIiPdSB_NS8_12not_equal_toIdEEEEPiiNS8_4plusIiEEEE10hipError_tPvRmT1_T2_T3_mT4_P12ihipStream_tbEUlT_E1_NS1_11comp_targetILNS1_3genE2ELNS1_11target_archE906ELNS1_3gpuE6ELNS1_3repE0EEENS1_30default_config_static_selectorELNS0_4arch9wavefront6targetE1EEEvSL_
    .private_segment_fixed_size: 0
    .sgpr_count:     4
    .sgpr_spill_count: 0
    .symbol:         _ZN7rocprim17ROCPRIM_400000_NS6detail17trampoline_kernelINS0_14default_configENS1_22reduce_config_selectorIiEEZNS1_11reduce_implILb1ES3_N6thrust23THRUST_200600_302600_NS11hip_rocprim35transform_pair_of_input_iterators_tIiPdSB_NS8_12not_equal_toIdEEEEPiiNS8_4plusIiEEEE10hipError_tPvRmT1_T2_T3_mT4_P12ihipStream_tbEUlT_E1_NS1_11comp_targetILNS1_3genE2ELNS1_11target_archE906ELNS1_3gpuE6ELNS1_3repE0EEENS1_30default_config_static_selectorELNS0_4arch9wavefront6targetE1EEEvSL_.kd
    .uniform_work_group_size: 1
    .uses_dynamic_stack: false
    .vgpr_count:     0
    .vgpr_spill_count: 0
    .wavefront_size: 64
  - .agpr_count:     0
    .args:
      - .offset:         0
        .size:           56
        .value_kind:     by_value
    .group_segment_fixed_size: 0
    .kernarg_segment_align: 8
    .kernarg_segment_size: 56
    .language:       OpenCL C
    .language_version:
      - 2
      - 0
    .max_flat_workgroup_size: 256
    .name:           _ZN7rocprim17ROCPRIM_400000_NS6detail17trampoline_kernelINS0_14default_configENS1_22reduce_config_selectorIiEEZNS1_11reduce_implILb1ES3_N6thrust23THRUST_200600_302600_NS11hip_rocprim35transform_pair_of_input_iterators_tIiPdSB_NS8_12not_equal_toIdEEEEPiiNS8_4plusIiEEEE10hipError_tPvRmT1_T2_T3_mT4_P12ihipStream_tbEUlT_E1_NS1_11comp_targetILNS1_3genE10ELNS1_11target_archE1201ELNS1_3gpuE5ELNS1_3repE0EEENS1_30default_config_static_selectorELNS0_4arch9wavefront6targetE1EEEvSL_
    .private_segment_fixed_size: 0
    .sgpr_count:     4
    .sgpr_spill_count: 0
    .symbol:         _ZN7rocprim17ROCPRIM_400000_NS6detail17trampoline_kernelINS0_14default_configENS1_22reduce_config_selectorIiEEZNS1_11reduce_implILb1ES3_N6thrust23THRUST_200600_302600_NS11hip_rocprim35transform_pair_of_input_iterators_tIiPdSB_NS8_12not_equal_toIdEEEEPiiNS8_4plusIiEEEE10hipError_tPvRmT1_T2_T3_mT4_P12ihipStream_tbEUlT_E1_NS1_11comp_targetILNS1_3genE10ELNS1_11target_archE1201ELNS1_3gpuE5ELNS1_3repE0EEENS1_30default_config_static_selectorELNS0_4arch9wavefront6targetE1EEEvSL_.kd
    .uniform_work_group_size: 1
    .uses_dynamic_stack: false
    .vgpr_count:     0
    .vgpr_spill_count: 0
    .wavefront_size: 64
  - .agpr_count:     0
    .args:
      - .offset:         0
        .size:           56
        .value_kind:     by_value
    .group_segment_fixed_size: 0
    .kernarg_segment_align: 8
    .kernarg_segment_size: 56
    .language:       OpenCL C
    .language_version:
      - 2
      - 0
    .max_flat_workgroup_size: 256
    .name:           _ZN7rocprim17ROCPRIM_400000_NS6detail17trampoline_kernelINS0_14default_configENS1_22reduce_config_selectorIiEEZNS1_11reduce_implILb1ES3_N6thrust23THRUST_200600_302600_NS11hip_rocprim35transform_pair_of_input_iterators_tIiPdSB_NS8_12not_equal_toIdEEEEPiiNS8_4plusIiEEEE10hipError_tPvRmT1_T2_T3_mT4_P12ihipStream_tbEUlT_E1_NS1_11comp_targetILNS1_3genE10ELNS1_11target_archE1200ELNS1_3gpuE4ELNS1_3repE0EEENS1_30default_config_static_selectorELNS0_4arch9wavefront6targetE1EEEvSL_
    .private_segment_fixed_size: 0
    .sgpr_count:     4
    .sgpr_spill_count: 0
    .symbol:         _ZN7rocprim17ROCPRIM_400000_NS6detail17trampoline_kernelINS0_14default_configENS1_22reduce_config_selectorIiEEZNS1_11reduce_implILb1ES3_N6thrust23THRUST_200600_302600_NS11hip_rocprim35transform_pair_of_input_iterators_tIiPdSB_NS8_12not_equal_toIdEEEEPiiNS8_4plusIiEEEE10hipError_tPvRmT1_T2_T3_mT4_P12ihipStream_tbEUlT_E1_NS1_11comp_targetILNS1_3genE10ELNS1_11target_archE1200ELNS1_3gpuE4ELNS1_3repE0EEENS1_30default_config_static_selectorELNS0_4arch9wavefront6targetE1EEEvSL_.kd
    .uniform_work_group_size: 1
    .uses_dynamic_stack: false
    .vgpr_count:     0
    .vgpr_spill_count: 0
    .wavefront_size: 64
  - .agpr_count:     0
    .args:
      - .offset:         0
        .size:           56
        .value_kind:     by_value
    .group_segment_fixed_size: 0
    .kernarg_segment_align: 8
    .kernarg_segment_size: 56
    .language:       OpenCL C
    .language_version:
      - 2
      - 0
    .max_flat_workgroup_size: 256
    .name:           _ZN7rocprim17ROCPRIM_400000_NS6detail17trampoline_kernelINS0_14default_configENS1_22reduce_config_selectorIiEEZNS1_11reduce_implILb1ES3_N6thrust23THRUST_200600_302600_NS11hip_rocprim35transform_pair_of_input_iterators_tIiPdSB_NS8_12not_equal_toIdEEEEPiiNS8_4plusIiEEEE10hipError_tPvRmT1_T2_T3_mT4_P12ihipStream_tbEUlT_E1_NS1_11comp_targetILNS1_3genE9ELNS1_11target_archE1100ELNS1_3gpuE3ELNS1_3repE0EEENS1_30default_config_static_selectorELNS0_4arch9wavefront6targetE1EEEvSL_
    .private_segment_fixed_size: 0
    .sgpr_count:     4
    .sgpr_spill_count: 0
    .symbol:         _ZN7rocprim17ROCPRIM_400000_NS6detail17trampoline_kernelINS0_14default_configENS1_22reduce_config_selectorIiEEZNS1_11reduce_implILb1ES3_N6thrust23THRUST_200600_302600_NS11hip_rocprim35transform_pair_of_input_iterators_tIiPdSB_NS8_12not_equal_toIdEEEEPiiNS8_4plusIiEEEE10hipError_tPvRmT1_T2_T3_mT4_P12ihipStream_tbEUlT_E1_NS1_11comp_targetILNS1_3genE9ELNS1_11target_archE1100ELNS1_3gpuE3ELNS1_3repE0EEENS1_30default_config_static_selectorELNS0_4arch9wavefront6targetE1EEEvSL_.kd
    .uniform_work_group_size: 1
    .uses_dynamic_stack: false
    .vgpr_count:     0
    .vgpr_spill_count: 0
    .wavefront_size: 64
  - .agpr_count:     0
    .args:
      - .offset:         0
        .size:           56
        .value_kind:     by_value
    .group_segment_fixed_size: 0
    .kernarg_segment_align: 8
    .kernarg_segment_size: 56
    .language:       OpenCL C
    .language_version:
      - 2
      - 0
    .max_flat_workgroup_size: 256
    .name:           _ZN7rocprim17ROCPRIM_400000_NS6detail17trampoline_kernelINS0_14default_configENS1_22reduce_config_selectorIiEEZNS1_11reduce_implILb1ES3_N6thrust23THRUST_200600_302600_NS11hip_rocprim35transform_pair_of_input_iterators_tIiPdSB_NS8_12not_equal_toIdEEEEPiiNS8_4plusIiEEEE10hipError_tPvRmT1_T2_T3_mT4_P12ihipStream_tbEUlT_E1_NS1_11comp_targetILNS1_3genE8ELNS1_11target_archE1030ELNS1_3gpuE2ELNS1_3repE0EEENS1_30default_config_static_selectorELNS0_4arch9wavefront6targetE1EEEvSL_
    .private_segment_fixed_size: 0
    .sgpr_count:     4
    .sgpr_spill_count: 0
    .symbol:         _ZN7rocprim17ROCPRIM_400000_NS6detail17trampoline_kernelINS0_14default_configENS1_22reduce_config_selectorIiEEZNS1_11reduce_implILb1ES3_N6thrust23THRUST_200600_302600_NS11hip_rocprim35transform_pair_of_input_iterators_tIiPdSB_NS8_12not_equal_toIdEEEEPiiNS8_4plusIiEEEE10hipError_tPvRmT1_T2_T3_mT4_P12ihipStream_tbEUlT_E1_NS1_11comp_targetILNS1_3genE8ELNS1_11target_archE1030ELNS1_3gpuE2ELNS1_3repE0EEENS1_30default_config_static_selectorELNS0_4arch9wavefront6targetE1EEEvSL_.kd
    .uniform_work_group_size: 1
    .uses_dynamic_stack: false
    .vgpr_count:     0
    .vgpr_spill_count: 0
    .wavefront_size: 64
  - .agpr_count:     0
    .args:
      - .offset:         0
        .size:           144
        .value_kind:     by_value
    .group_segment_fixed_size: 0
    .kernarg_segment_align: 8
    .kernarg_segment_size: 144
    .language:       OpenCL C
    .language_version:
      - 2
      - 0
    .max_flat_workgroup_size: 256
    .name:           _ZN7rocprim17ROCPRIM_400000_NS6detail17trampoline_kernelINS0_14default_configENS1_29reduce_by_key_config_selectorIdlN6thrust23THRUST_200600_302600_NS4plusIlEEEEZZNS1_33reduce_by_key_impl_wrapped_configILNS1_25lookback_scan_determinismE0ES3_S9_PdNS6_17constant_iteratorIiNS6_11use_defaultESE_EENS6_10device_ptrIdEENSG_IlEEPmS8_NS6_8equal_toIdEEEE10hipError_tPvRmT2_T3_mT4_T5_T6_T7_T8_P12ihipStream_tbENKUlT_T0_E_clISt17integral_constantIbLb0EES13_EEDaSY_SZ_EUlSY_E_NS1_11comp_targetILNS1_3genE0ELNS1_11target_archE4294967295ELNS1_3gpuE0ELNS1_3repE0EEENS1_30default_config_static_selectorELNS0_4arch9wavefront6targetE1EEEvT1_
    .private_segment_fixed_size: 0
    .sgpr_count:     4
    .sgpr_spill_count: 0
    .symbol:         _ZN7rocprim17ROCPRIM_400000_NS6detail17trampoline_kernelINS0_14default_configENS1_29reduce_by_key_config_selectorIdlN6thrust23THRUST_200600_302600_NS4plusIlEEEEZZNS1_33reduce_by_key_impl_wrapped_configILNS1_25lookback_scan_determinismE0ES3_S9_PdNS6_17constant_iteratorIiNS6_11use_defaultESE_EENS6_10device_ptrIdEENSG_IlEEPmS8_NS6_8equal_toIdEEEE10hipError_tPvRmT2_T3_mT4_T5_T6_T7_T8_P12ihipStream_tbENKUlT_T0_E_clISt17integral_constantIbLb0EES13_EEDaSY_SZ_EUlSY_E_NS1_11comp_targetILNS1_3genE0ELNS1_11target_archE4294967295ELNS1_3gpuE0ELNS1_3repE0EEENS1_30default_config_static_selectorELNS0_4arch9wavefront6targetE1EEEvT1_.kd
    .uniform_work_group_size: 1
    .uses_dynamic_stack: false
    .vgpr_count:     0
    .vgpr_spill_count: 0
    .wavefront_size: 64
  - .agpr_count:     0
    .args:
      - .offset:         0
        .size:           144
        .value_kind:     by_value
    .group_segment_fixed_size: 0
    .kernarg_segment_align: 8
    .kernarg_segment_size: 144
    .language:       OpenCL C
    .language_version:
      - 2
      - 0
    .max_flat_workgroup_size: 256
    .name:           _ZN7rocprim17ROCPRIM_400000_NS6detail17trampoline_kernelINS0_14default_configENS1_29reduce_by_key_config_selectorIdlN6thrust23THRUST_200600_302600_NS4plusIlEEEEZZNS1_33reduce_by_key_impl_wrapped_configILNS1_25lookback_scan_determinismE0ES3_S9_PdNS6_17constant_iteratorIiNS6_11use_defaultESE_EENS6_10device_ptrIdEENSG_IlEEPmS8_NS6_8equal_toIdEEEE10hipError_tPvRmT2_T3_mT4_T5_T6_T7_T8_P12ihipStream_tbENKUlT_T0_E_clISt17integral_constantIbLb0EES13_EEDaSY_SZ_EUlSY_E_NS1_11comp_targetILNS1_3genE5ELNS1_11target_archE942ELNS1_3gpuE9ELNS1_3repE0EEENS1_30default_config_static_selectorELNS0_4arch9wavefront6targetE1EEEvT1_
    .private_segment_fixed_size: 0
    .sgpr_count:     4
    .sgpr_spill_count: 0
    .symbol:         _ZN7rocprim17ROCPRIM_400000_NS6detail17trampoline_kernelINS0_14default_configENS1_29reduce_by_key_config_selectorIdlN6thrust23THRUST_200600_302600_NS4plusIlEEEEZZNS1_33reduce_by_key_impl_wrapped_configILNS1_25lookback_scan_determinismE0ES3_S9_PdNS6_17constant_iteratorIiNS6_11use_defaultESE_EENS6_10device_ptrIdEENSG_IlEEPmS8_NS6_8equal_toIdEEEE10hipError_tPvRmT2_T3_mT4_T5_T6_T7_T8_P12ihipStream_tbENKUlT_T0_E_clISt17integral_constantIbLb0EES13_EEDaSY_SZ_EUlSY_E_NS1_11comp_targetILNS1_3genE5ELNS1_11target_archE942ELNS1_3gpuE9ELNS1_3repE0EEENS1_30default_config_static_selectorELNS0_4arch9wavefront6targetE1EEEvT1_.kd
    .uniform_work_group_size: 1
    .uses_dynamic_stack: false
    .vgpr_count:     0
    .vgpr_spill_count: 0
    .wavefront_size: 64
  - .agpr_count:     0
    .args:
      - .offset:         0
        .size:           144
        .value_kind:     by_value
    .group_segment_fixed_size: 30720
    .kernarg_segment_align: 8
    .kernarg_segment_size: 144
    .language:       OpenCL C
    .language_version:
      - 2
      - 0
    .max_flat_workgroup_size: 256
    .name:           _ZN7rocprim17ROCPRIM_400000_NS6detail17trampoline_kernelINS0_14default_configENS1_29reduce_by_key_config_selectorIdlN6thrust23THRUST_200600_302600_NS4plusIlEEEEZZNS1_33reduce_by_key_impl_wrapped_configILNS1_25lookback_scan_determinismE0ES3_S9_PdNS6_17constant_iteratorIiNS6_11use_defaultESE_EENS6_10device_ptrIdEENSG_IlEEPmS8_NS6_8equal_toIdEEEE10hipError_tPvRmT2_T3_mT4_T5_T6_T7_T8_P12ihipStream_tbENKUlT_T0_E_clISt17integral_constantIbLb0EES13_EEDaSY_SZ_EUlSY_E_NS1_11comp_targetILNS1_3genE4ELNS1_11target_archE910ELNS1_3gpuE8ELNS1_3repE0EEENS1_30default_config_static_selectorELNS0_4arch9wavefront6targetE1EEEvT1_
    .private_segment_fixed_size: 0
    .sgpr_count:     68
    .sgpr_spill_count: 0
    .symbol:         _ZN7rocprim17ROCPRIM_400000_NS6detail17trampoline_kernelINS0_14default_configENS1_29reduce_by_key_config_selectorIdlN6thrust23THRUST_200600_302600_NS4plusIlEEEEZZNS1_33reduce_by_key_impl_wrapped_configILNS1_25lookback_scan_determinismE0ES3_S9_PdNS6_17constant_iteratorIiNS6_11use_defaultESE_EENS6_10device_ptrIdEENSG_IlEEPmS8_NS6_8equal_toIdEEEE10hipError_tPvRmT2_T3_mT4_T5_T6_T7_T8_P12ihipStream_tbENKUlT_T0_E_clISt17integral_constantIbLb0EES13_EEDaSY_SZ_EUlSY_E_NS1_11comp_targetILNS1_3genE4ELNS1_11target_archE910ELNS1_3gpuE8ELNS1_3repE0EEENS1_30default_config_static_selectorELNS0_4arch9wavefront6targetE1EEEvT1_.kd
    .uniform_work_group_size: 1
    .uses_dynamic_stack: false
    .vgpr_count:     118
    .vgpr_spill_count: 0
    .wavefront_size: 64
  - .agpr_count:     0
    .args:
      - .offset:         0
        .size:           144
        .value_kind:     by_value
    .group_segment_fixed_size: 0
    .kernarg_segment_align: 8
    .kernarg_segment_size: 144
    .language:       OpenCL C
    .language_version:
      - 2
      - 0
    .max_flat_workgroup_size: 256
    .name:           _ZN7rocprim17ROCPRIM_400000_NS6detail17trampoline_kernelINS0_14default_configENS1_29reduce_by_key_config_selectorIdlN6thrust23THRUST_200600_302600_NS4plusIlEEEEZZNS1_33reduce_by_key_impl_wrapped_configILNS1_25lookback_scan_determinismE0ES3_S9_PdNS6_17constant_iteratorIiNS6_11use_defaultESE_EENS6_10device_ptrIdEENSG_IlEEPmS8_NS6_8equal_toIdEEEE10hipError_tPvRmT2_T3_mT4_T5_T6_T7_T8_P12ihipStream_tbENKUlT_T0_E_clISt17integral_constantIbLb0EES13_EEDaSY_SZ_EUlSY_E_NS1_11comp_targetILNS1_3genE3ELNS1_11target_archE908ELNS1_3gpuE7ELNS1_3repE0EEENS1_30default_config_static_selectorELNS0_4arch9wavefront6targetE1EEEvT1_
    .private_segment_fixed_size: 0
    .sgpr_count:     4
    .sgpr_spill_count: 0
    .symbol:         _ZN7rocprim17ROCPRIM_400000_NS6detail17trampoline_kernelINS0_14default_configENS1_29reduce_by_key_config_selectorIdlN6thrust23THRUST_200600_302600_NS4plusIlEEEEZZNS1_33reduce_by_key_impl_wrapped_configILNS1_25lookback_scan_determinismE0ES3_S9_PdNS6_17constant_iteratorIiNS6_11use_defaultESE_EENS6_10device_ptrIdEENSG_IlEEPmS8_NS6_8equal_toIdEEEE10hipError_tPvRmT2_T3_mT4_T5_T6_T7_T8_P12ihipStream_tbENKUlT_T0_E_clISt17integral_constantIbLb0EES13_EEDaSY_SZ_EUlSY_E_NS1_11comp_targetILNS1_3genE3ELNS1_11target_archE908ELNS1_3gpuE7ELNS1_3repE0EEENS1_30default_config_static_selectorELNS0_4arch9wavefront6targetE1EEEvT1_.kd
    .uniform_work_group_size: 1
    .uses_dynamic_stack: false
    .vgpr_count:     0
    .vgpr_spill_count: 0
    .wavefront_size: 64
  - .agpr_count:     0
    .args:
      - .offset:         0
        .size:           144
        .value_kind:     by_value
    .group_segment_fixed_size: 0
    .kernarg_segment_align: 8
    .kernarg_segment_size: 144
    .language:       OpenCL C
    .language_version:
      - 2
      - 0
    .max_flat_workgroup_size: 256
    .name:           _ZN7rocprim17ROCPRIM_400000_NS6detail17trampoline_kernelINS0_14default_configENS1_29reduce_by_key_config_selectorIdlN6thrust23THRUST_200600_302600_NS4plusIlEEEEZZNS1_33reduce_by_key_impl_wrapped_configILNS1_25lookback_scan_determinismE0ES3_S9_PdNS6_17constant_iteratorIiNS6_11use_defaultESE_EENS6_10device_ptrIdEENSG_IlEEPmS8_NS6_8equal_toIdEEEE10hipError_tPvRmT2_T3_mT4_T5_T6_T7_T8_P12ihipStream_tbENKUlT_T0_E_clISt17integral_constantIbLb0EES13_EEDaSY_SZ_EUlSY_E_NS1_11comp_targetILNS1_3genE2ELNS1_11target_archE906ELNS1_3gpuE6ELNS1_3repE0EEENS1_30default_config_static_selectorELNS0_4arch9wavefront6targetE1EEEvT1_
    .private_segment_fixed_size: 0
    .sgpr_count:     4
    .sgpr_spill_count: 0
    .symbol:         _ZN7rocprim17ROCPRIM_400000_NS6detail17trampoline_kernelINS0_14default_configENS1_29reduce_by_key_config_selectorIdlN6thrust23THRUST_200600_302600_NS4plusIlEEEEZZNS1_33reduce_by_key_impl_wrapped_configILNS1_25lookback_scan_determinismE0ES3_S9_PdNS6_17constant_iteratorIiNS6_11use_defaultESE_EENS6_10device_ptrIdEENSG_IlEEPmS8_NS6_8equal_toIdEEEE10hipError_tPvRmT2_T3_mT4_T5_T6_T7_T8_P12ihipStream_tbENKUlT_T0_E_clISt17integral_constantIbLb0EES13_EEDaSY_SZ_EUlSY_E_NS1_11comp_targetILNS1_3genE2ELNS1_11target_archE906ELNS1_3gpuE6ELNS1_3repE0EEENS1_30default_config_static_selectorELNS0_4arch9wavefront6targetE1EEEvT1_.kd
    .uniform_work_group_size: 1
    .uses_dynamic_stack: false
    .vgpr_count:     0
    .vgpr_spill_count: 0
    .wavefront_size: 64
  - .agpr_count:     0
    .args:
      - .offset:         0
        .size:           144
        .value_kind:     by_value
    .group_segment_fixed_size: 0
    .kernarg_segment_align: 8
    .kernarg_segment_size: 144
    .language:       OpenCL C
    .language_version:
      - 2
      - 0
    .max_flat_workgroup_size: 256
    .name:           _ZN7rocprim17ROCPRIM_400000_NS6detail17trampoline_kernelINS0_14default_configENS1_29reduce_by_key_config_selectorIdlN6thrust23THRUST_200600_302600_NS4plusIlEEEEZZNS1_33reduce_by_key_impl_wrapped_configILNS1_25lookback_scan_determinismE0ES3_S9_PdNS6_17constant_iteratorIiNS6_11use_defaultESE_EENS6_10device_ptrIdEENSG_IlEEPmS8_NS6_8equal_toIdEEEE10hipError_tPvRmT2_T3_mT4_T5_T6_T7_T8_P12ihipStream_tbENKUlT_T0_E_clISt17integral_constantIbLb0EES13_EEDaSY_SZ_EUlSY_E_NS1_11comp_targetILNS1_3genE10ELNS1_11target_archE1201ELNS1_3gpuE5ELNS1_3repE0EEENS1_30default_config_static_selectorELNS0_4arch9wavefront6targetE1EEEvT1_
    .private_segment_fixed_size: 0
    .sgpr_count:     4
    .sgpr_spill_count: 0
    .symbol:         _ZN7rocprim17ROCPRIM_400000_NS6detail17trampoline_kernelINS0_14default_configENS1_29reduce_by_key_config_selectorIdlN6thrust23THRUST_200600_302600_NS4plusIlEEEEZZNS1_33reduce_by_key_impl_wrapped_configILNS1_25lookback_scan_determinismE0ES3_S9_PdNS6_17constant_iteratorIiNS6_11use_defaultESE_EENS6_10device_ptrIdEENSG_IlEEPmS8_NS6_8equal_toIdEEEE10hipError_tPvRmT2_T3_mT4_T5_T6_T7_T8_P12ihipStream_tbENKUlT_T0_E_clISt17integral_constantIbLb0EES13_EEDaSY_SZ_EUlSY_E_NS1_11comp_targetILNS1_3genE10ELNS1_11target_archE1201ELNS1_3gpuE5ELNS1_3repE0EEENS1_30default_config_static_selectorELNS0_4arch9wavefront6targetE1EEEvT1_.kd
    .uniform_work_group_size: 1
    .uses_dynamic_stack: false
    .vgpr_count:     0
    .vgpr_spill_count: 0
    .wavefront_size: 64
  - .agpr_count:     0
    .args:
      - .offset:         0
        .size:           144
        .value_kind:     by_value
    .group_segment_fixed_size: 0
    .kernarg_segment_align: 8
    .kernarg_segment_size: 144
    .language:       OpenCL C
    .language_version:
      - 2
      - 0
    .max_flat_workgroup_size: 256
    .name:           _ZN7rocprim17ROCPRIM_400000_NS6detail17trampoline_kernelINS0_14default_configENS1_29reduce_by_key_config_selectorIdlN6thrust23THRUST_200600_302600_NS4plusIlEEEEZZNS1_33reduce_by_key_impl_wrapped_configILNS1_25lookback_scan_determinismE0ES3_S9_PdNS6_17constant_iteratorIiNS6_11use_defaultESE_EENS6_10device_ptrIdEENSG_IlEEPmS8_NS6_8equal_toIdEEEE10hipError_tPvRmT2_T3_mT4_T5_T6_T7_T8_P12ihipStream_tbENKUlT_T0_E_clISt17integral_constantIbLb0EES13_EEDaSY_SZ_EUlSY_E_NS1_11comp_targetILNS1_3genE10ELNS1_11target_archE1200ELNS1_3gpuE4ELNS1_3repE0EEENS1_30default_config_static_selectorELNS0_4arch9wavefront6targetE1EEEvT1_
    .private_segment_fixed_size: 0
    .sgpr_count:     4
    .sgpr_spill_count: 0
    .symbol:         _ZN7rocprim17ROCPRIM_400000_NS6detail17trampoline_kernelINS0_14default_configENS1_29reduce_by_key_config_selectorIdlN6thrust23THRUST_200600_302600_NS4plusIlEEEEZZNS1_33reduce_by_key_impl_wrapped_configILNS1_25lookback_scan_determinismE0ES3_S9_PdNS6_17constant_iteratorIiNS6_11use_defaultESE_EENS6_10device_ptrIdEENSG_IlEEPmS8_NS6_8equal_toIdEEEE10hipError_tPvRmT2_T3_mT4_T5_T6_T7_T8_P12ihipStream_tbENKUlT_T0_E_clISt17integral_constantIbLb0EES13_EEDaSY_SZ_EUlSY_E_NS1_11comp_targetILNS1_3genE10ELNS1_11target_archE1200ELNS1_3gpuE4ELNS1_3repE0EEENS1_30default_config_static_selectorELNS0_4arch9wavefront6targetE1EEEvT1_.kd
    .uniform_work_group_size: 1
    .uses_dynamic_stack: false
    .vgpr_count:     0
    .vgpr_spill_count: 0
    .wavefront_size: 64
  - .agpr_count:     0
    .args:
      - .offset:         0
        .size:           144
        .value_kind:     by_value
    .group_segment_fixed_size: 0
    .kernarg_segment_align: 8
    .kernarg_segment_size: 144
    .language:       OpenCL C
    .language_version:
      - 2
      - 0
    .max_flat_workgroup_size: 256
    .name:           _ZN7rocprim17ROCPRIM_400000_NS6detail17trampoline_kernelINS0_14default_configENS1_29reduce_by_key_config_selectorIdlN6thrust23THRUST_200600_302600_NS4plusIlEEEEZZNS1_33reduce_by_key_impl_wrapped_configILNS1_25lookback_scan_determinismE0ES3_S9_PdNS6_17constant_iteratorIiNS6_11use_defaultESE_EENS6_10device_ptrIdEENSG_IlEEPmS8_NS6_8equal_toIdEEEE10hipError_tPvRmT2_T3_mT4_T5_T6_T7_T8_P12ihipStream_tbENKUlT_T0_E_clISt17integral_constantIbLb0EES13_EEDaSY_SZ_EUlSY_E_NS1_11comp_targetILNS1_3genE9ELNS1_11target_archE1100ELNS1_3gpuE3ELNS1_3repE0EEENS1_30default_config_static_selectorELNS0_4arch9wavefront6targetE1EEEvT1_
    .private_segment_fixed_size: 0
    .sgpr_count:     4
    .sgpr_spill_count: 0
    .symbol:         _ZN7rocprim17ROCPRIM_400000_NS6detail17trampoline_kernelINS0_14default_configENS1_29reduce_by_key_config_selectorIdlN6thrust23THRUST_200600_302600_NS4plusIlEEEEZZNS1_33reduce_by_key_impl_wrapped_configILNS1_25lookback_scan_determinismE0ES3_S9_PdNS6_17constant_iteratorIiNS6_11use_defaultESE_EENS6_10device_ptrIdEENSG_IlEEPmS8_NS6_8equal_toIdEEEE10hipError_tPvRmT2_T3_mT4_T5_T6_T7_T8_P12ihipStream_tbENKUlT_T0_E_clISt17integral_constantIbLb0EES13_EEDaSY_SZ_EUlSY_E_NS1_11comp_targetILNS1_3genE9ELNS1_11target_archE1100ELNS1_3gpuE3ELNS1_3repE0EEENS1_30default_config_static_selectorELNS0_4arch9wavefront6targetE1EEEvT1_.kd
    .uniform_work_group_size: 1
    .uses_dynamic_stack: false
    .vgpr_count:     0
    .vgpr_spill_count: 0
    .wavefront_size: 64
  - .agpr_count:     0
    .args:
      - .offset:         0
        .size:           144
        .value_kind:     by_value
    .group_segment_fixed_size: 0
    .kernarg_segment_align: 8
    .kernarg_segment_size: 144
    .language:       OpenCL C
    .language_version:
      - 2
      - 0
    .max_flat_workgroup_size: 256
    .name:           _ZN7rocprim17ROCPRIM_400000_NS6detail17trampoline_kernelINS0_14default_configENS1_29reduce_by_key_config_selectorIdlN6thrust23THRUST_200600_302600_NS4plusIlEEEEZZNS1_33reduce_by_key_impl_wrapped_configILNS1_25lookback_scan_determinismE0ES3_S9_PdNS6_17constant_iteratorIiNS6_11use_defaultESE_EENS6_10device_ptrIdEENSG_IlEEPmS8_NS6_8equal_toIdEEEE10hipError_tPvRmT2_T3_mT4_T5_T6_T7_T8_P12ihipStream_tbENKUlT_T0_E_clISt17integral_constantIbLb0EES13_EEDaSY_SZ_EUlSY_E_NS1_11comp_targetILNS1_3genE8ELNS1_11target_archE1030ELNS1_3gpuE2ELNS1_3repE0EEENS1_30default_config_static_selectorELNS0_4arch9wavefront6targetE1EEEvT1_
    .private_segment_fixed_size: 0
    .sgpr_count:     4
    .sgpr_spill_count: 0
    .symbol:         _ZN7rocprim17ROCPRIM_400000_NS6detail17trampoline_kernelINS0_14default_configENS1_29reduce_by_key_config_selectorIdlN6thrust23THRUST_200600_302600_NS4plusIlEEEEZZNS1_33reduce_by_key_impl_wrapped_configILNS1_25lookback_scan_determinismE0ES3_S9_PdNS6_17constant_iteratorIiNS6_11use_defaultESE_EENS6_10device_ptrIdEENSG_IlEEPmS8_NS6_8equal_toIdEEEE10hipError_tPvRmT2_T3_mT4_T5_T6_T7_T8_P12ihipStream_tbENKUlT_T0_E_clISt17integral_constantIbLb0EES13_EEDaSY_SZ_EUlSY_E_NS1_11comp_targetILNS1_3genE8ELNS1_11target_archE1030ELNS1_3gpuE2ELNS1_3repE0EEENS1_30default_config_static_selectorELNS0_4arch9wavefront6targetE1EEEvT1_.kd
    .uniform_work_group_size: 1
    .uses_dynamic_stack: false
    .vgpr_count:     0
    .vgpr_spill_count: 0
    .wavefront_size: 64
  - .agpr_count:     0
    .args:
      - .offset:         0
        .size:           144
        .value_kind:     by_value
    .group_segment_fixed_size: 0
    .kernarg_segment_align: 8
    .kernarg_segment_size: 144
    .language:       OpenCL C
    .language_version:
      - 2
      - 0
    .max_flat_workgroup_size: 256
    .name:           _ZN7rocprim17ROCPRIM_400000_NS6detail17trampoline_kernelINS0_14default_configENS1_29reduce_by_key_config_selectorIdlN6thrust23THRUST_200600_302600_NS4plusIlEEEEZZNS1_33reduce_by_key_impl_wrapped_configILNS1_25lookback_scan_determinismE0ES3_S9_PdNS6_17constant_iteratorIiNS6_11use_defaultESE_EENS6_10device_ptrIdEENSG_IlEEPmS8_NS6_8equal_toIdEEEE10hipError_tPvRmT2_T3_mT4_T5_T6_T7_T8_P12ihipStream_tbENKUlT_T0_E_clISt17integral_constantIbLb1EES13_EEDaSY_SZ_EUlSY_E_NS1_11comp_targetILNS1_3genE0ELNS1_11target_archE4294967295ELNS1_3gpuE0ELNS1_3repE0EEENS1_30default_config_static_selectorELNS0_4arch9wavefront6targetE1EEEvT1_
    .private_segment_fixed_size: 0
    .sgpr_count:     4
    .sgpr_spill_count: 0
    .symbol:         _ZN7rocprim17ROCPRIM_400000_NS6detail17trampoline_kernelINS0_14default_configENS1_29reduce_by_key_config_selectorIdlN6thrust23THRUST_200600_302600_NS4plusIlEEEEZZNS1_33reduce_by_key_impl_wrapped_configILNS1_25lookback_scan_determinismE0ES3_S9_PdNS6_17constant_iteratorIiNS6_11use_defaultESE_EENS6_10device_ptrIdEENSG_IlEEPmS8_NS6_8equal_toIdEEEE10hipError_tPvRmT2_T3_mT4_T5_T6_T7_T8_P12ihipStream_tbENKUlT_T0_E_clISt17integral_constantIbLb1EES13_EEDaSY_SZ_EUlSY_E_NS1_11comp_targetILNS1_3genE0ELNS1_11target_archE4294967295ELNS1_3gpuE0ELNS1_3repE0EEENS1_30default_config_static_selectorELNS0_4arch9wavefront6targetE1EEEvT1_.kd
    .uniform_work_group_size: 1
    .uses_dynamic_stack: false
    .vgpr_count:     0
    .vgpr_spill_count: 0
    .wavefront_size: 64
  - .agpr_count:     0
    .args:
      - .offset:         0
        .size:           144
        .value_kind:     by_value
    .group_segment_fixed_size: 0
    .kernarg_segment_align: 8
    .kernarg_segment_size: 144
    .language:       OpenCL C
    .language_version:
      - 2
      - 0
    .max_flat_workgroup_size: 256
    .name:           _ZN7rocprim17ROCPRIM_400000_NS6detail17trampoline_kernelINS0_14default_configENS1_29reduce_by_key_config_selectorIdlN6thrust23THRUST_200600_302600_NS4plusIlEEEEZZNS1_33reduce_by_key_impl_wrapped_configILNS1_25lookback_scan_determinismE0ES3_S9_PdNS6_17constant_iteratorIiNS6_11use_defaultESE_EENS6_10device_ptrIdEENSG_IlEEPmS8_NS6_8equal_toIdEEEE10hipError_tPvRmT2_T3_mT4_T5_T6_T7_T8_P12ihipStream_tbENKUlT_T0_E_clISt17integral_constantIbLb1EES13_EEDaSY_SZ_EUlSY_E_NS1_11comp_targetILNS1_3genE5ELNS1_11target_archE942ELNS1_3gpuE9ELNS1_3repE0EEENS1_30default_config_static_selectorELNS0_4arch9wavefront6targetE1EEEvT1_
    .private_segment_fixed_size: 0
    .sgpr_count:     4
    .sgpr_spill_count: 0
    .symbol:         _ZN7rocprim17ROCPRIM_400000_NS6detail17trampoline_kernelINS0_14default_configENS1_29reduce_by_key_config_selectorIdlN6thrust23THRUST_200600_302600_NS4plusIlEEEEZZNS1_33reduce_by_key_impl_wrapped_configILNS1_25lookback_scan_determinismE0ES3_S9_PdNS6_17constant_iteratorIiNS6_11use_defaultESE_EENS6_10device_ptrIdEENSG_IlEEPmS8_NS6_8equal_toIdEEEE10hipError_tPvRmT2_T3_mT4_T5_T6_T7_T8_P12ihipStream_tbENKUlT_T0_E_clISt17integral_constantIbLb1EES13_EEDaSY_SZ_EUlSY_E_NS1_11comp_targetILNS1_3genE5ELNS1_11target_archE942ELNS1_3gpuE9ELNS1_3repE0EEENS1_30default_config_static_selectorELNS0_4arch9wavefront6targetE1EEEvT1_.kd
    .uniform_work_group_size: 1
    .uses_dynamic_stack: false
    .vgpr_count:     0
    .vgpr_spill_count: 0
    .wavefront_size: 64
  - .agpr_count:     0
    .args:
      - .offset:         0
        .size:           144
        .value_kind:     by_value
    .group_segment_fixed_size: 30720
    .kernarg_segment_align: 8
    .kernarg_segment_size: 144
    .language:       OpenCL C
    .language_version:
      - 2
      - 0
    .max_flat_workgroup_size: 256
    .name:           _ZN7rocprim17ROCPRIM_400000_NS6detail17trampoline_kernelINS0_14default_configENS1_29reduce_by_key_config_selectorIdlN6thrust23THRUST_200600_302600_NS4plusIlEEEEZZNS1_33reduce_by_key_impl_wrapped_configILNS1_25lookback_scan_determinismE0ES3_S9_PdNS6_17constant_iteratorIiNS6_11use_defaultESE_EENS6_10device_ptrIdEENSG_IlEEPmS8_NS6_8equal_toIdEEEE10hipError_tPvRmT2_T3_mT4_T5_T6_T7_T8_P12ihipStream_tbENKUlT_T0_E_clISt17integral_constantIbLb1EES13_EEDaSY_SZ_EUlSY_E_NS1_11comp_targetILNS1_3genE4ELNS1_11target_archE910ELNS1_3gpuE8ELNS1_3repE0EEENS1_30default_config_static_selectorELNS0_4arch9wavefront6targetE1EEEvT1_
    .private_segment_fixed_size: 0
    .sgpr_count:     70
    .sgpr_spill_count: 0
    .symbol:         _ZN7rocprim17ROCPRIM_400000_NS6detail17trampoline_kernelINS0_14default_configENS1_29reduce_by_key_config_selectorIdlN6thrust23THRUST_200600_302600_NS4plusIlEEEEZZNS1_33reduce_by_key_impl_wrapped_configILNS1_25lookback_scan_determinismE0ES3_S9_PdNS6_17constant_iteratorIiNS6_11use_defaultESE_EENS6_10device_ptrIdEENSG_IlEEPmS8_NS6_8equal_toIdEEEE10hipError_tPvRmT2_T3_mT4_T5_T6_T7_T8_P12ihipStream_tbENKUlT_T0_E_clISt17integral_constantIbLb1EES13_EEDaSY_SZ_EUlSY_E_NS1_11comp_targetILNS1_3genE4ELNS1_11target_archE910ELNS1_3gpuE8ELNS1_3repE0EEENS1_30default_config_static_selectorELNS0_4arch9wavefront6targetE1EEEvT1_.kd
    .uniform_work_group_size: 1
    .uses_dynamic_stack: false
    .vgpr_count:     118
    .vgpr_spill_count: 0
    .wavefront_size: 64
  - .agpr_count:     0
    .args:
      - .offset:         0
        .size:           144
        .value_kind:     by_value
    .group_segment_fixed_size: 0
    .kernarg_segment_align: 8
    .kernarg_segment_size: 144
    .language:       OpenCL C
    .language_version:
      - 2
      - 0
    .max_flat_workgroup_size: 256
    .name:           _ZN7rocprim17ROCPRIM_400000_NS6detail17trampoline_kernelINS0_14default_configENS1_29reduce_by_key_config_selectorIdlN6thrust23THRUST_200600_302600_NS4plusIlEEEEZZNS1_33reduce_by_key_impl_wrapped_configILNS1_25lookback_scan_determinismE0ES3_S9_PdNS6_17constant_iteratorIiNS6_11use_defaultESE_EENS6_10device_ptrIdEENSG_IlEEPmS8_NS6_8equal_toIdEEEE10hipError_tPvRmT2_T3_mT4_T5_T6_T7_T8_P12ihipStream_tbENKUlT_T0_E_clISt17integral_constantIbLb1EES13_EEDaSY_SZ_EUlSY_E_NS1_11comp_targetILNS1_3genE3ELNS1_11target_archE908ELNS1_3gpuE7ELNS1_3repE0EEENS1_30default_config_static_selectorELNS0_4arch9wavefront6targetE1EEEvT1_
    .private_segment_fixed_size: 0
    .sgpr_count:     4
    .sgpr_spill_count: 0
    .symbol:         _ZN7rocprim17ROCPRIM_400000_NS6detail17trampoline_kernelINS0_14default_configENS1_29reduce_by_key_config_selectorIdlN6thrust23THRUST_200600_302600_NS4plusIlEEEEZZNS1_33reduce_by_key_impl_wrapped_configILNS1_25lookback_scan_determinismE0ES3_S9_PdNS6_17constant_iteratorIiNS6_11use_defaultESE_EENS6_10device_ptrIdEENSG_IlEEPmS8_NS6_8equal_toIdEEEE10hipError_tPvRmT2_T3_mT4_T5_T6_T7_T8_P12ihipStream_tbENKUlT_T0_E_clISt17integral_constantIbLb1EES13_EEDaSY_SZ_EUlSY_E_NS1_11comp_targetILNS1_3genE3ELNS1_11target_archE908ELNS1_3gpuE7ELNS1_3repE0EEENS1_30default_config_static_selectorELNS0_4arch9wavefront6targetE1EEEvT1_.kd
    .uniform_work_group_size: 1
    .uses_dynamic_stack: false
    .vgpr_count:     0
    .vgpr_spill_count: 0
    .wavefront_size: 64
  - .agpr_count:     0
    .args:
      - .offset:         0
        .size:           144
        .value_kind:     by_value
    .group_segment_fixed_size: 0
    .kernarg_segment_align: 8
    .kernarg_segment_size: 144
    .language:       OpenCL C
    .language_version:
      - 2
      - 0
    .max_flat_workgroup_size: 256
    .name:           _ZN7rocprim17ROCPRIM_400000_NS6detail17trampoline_kernelINS0_14default_configENS1_29reduce_by_key_config_selectorIdlN6thrust23THRUST_200600_302600_NS4plusIlEEEEZZNS1_33reduce_by_key_impl_wrapped_configILNS1_25lookback_scan_determinismE0ES3_S9_PdNS6_17constant_iteratorIiNS6_11use_defaultESE_EENS6_10device_ptrIdEENSG_IlEEPmS8_NS6_8equal_toIdEEEE10hipError_tPvRmT2_T3_mT4_T5_T6_T7_T8_P12ihipStream_tbENKUlT_T0_E_clISt17integral_constantIbLb1EES13_EEDaSY_SZ_EUlSY_E_NS1_11comp_targetILNS1_3genE2ELNS1_11target_archE906ELNS1_3gpuE6ELNS1_3repE0EEENS1_30default_config_static_selectorELNS0_4arch9wavefront6targetE1EEEvT1_
    .private_segment_fixed_size: 0
    .sgpr_count:     4
    .sgpr_spill_count: 0
    .symbol:         _ZN7rocprim17ROCPRIM_400000_NS6detail17trampoline_kernelINS0_14default_configENS1_29reduce_by_key_config_selectorIdlN6thrust23THRUST_200600_302600_NS4plusIlEEEEZZNS1_33reduce_by_key_impl_wrapped_configILNS1_25lookback_scan_determinismE0ES3_S9_PdNS6_17constant_iteratorIiNS6_11use_defaultESE_EENS6_10device_ptrIdEENSG_IlEEPmS8_NS6_8equal_toIdEEEE10hipError_tPvRmT2_T3_mT4_T5_T6_T7_T8_P12ihipStream_tbENKUlT_T0_E_clISt17integral_constantIbLb1EES13_EEDaSY_SZ_EUlSY_E_NS1_11comp_targetILNS1_3genE2ELNS1_11target_archE906ELNS1_3gpuE6ELNS1_3repE0EEENS1_30default_config_static_selectorELNS0_4arch9wavefront6targetE1EEEvT1_.kd
    .uniform_work_group_size: 1
    .uses_dynamic_stack: false
    .vgpr_count:     0
    .vgpr_spill_count: 0
    .wavefront_size: 64
  - .agpr_count:     0
    .args:
      - .offset:         0
        .size:           144
        .value_kind:     by_value
    .group_segment_fixed_size: 0
    .kernarg_segment_align: 8
    .kernarg_segment_size: 144
    .language:       OpenCL C
    .language_version:
      - 2
      - 0
    .max_flat_workgroup_size: 256
    .name:           _ZN7rocprim17ROCPRIM_400000_NS6detail17trampoline_kernelINS0_14default_configENS1_29reduce_by_key_config_selectorIdlN6thrust23THRUST_200600_302600_NS4plusIlEEEEZZNS1_33reduce_by_key_impl_wrapped_configILNS1_25lookback_scan_determinismE0ES3_S9_PdNS6_17constant_iteratorIiNS6_11use_defaultESE_EENS6_10device_ptrIdEENSG_IlEEPmS8_NS6_8equal_toIdEEEE10hipError_tPvRmT2_T3_mT4_T5_T6_T7_T8_P12ihipStream_tbENKUlT_T0_E_clISt17integral_constantIbLb1EES13_EEDaSY_SZ_EUlSY_E_NS1_11comp_targetILNS1_3genE10ELNS1_11target_archE1201ELNS1_3gpuE5ELNS1_3repE0EEENS1_30default_config_static_selectorELNS0_4arch9wavefront6targetE1EEEvT1_
    .private_segment_fixed_size: 0
    .sgpr_count:     4
    .sgpr_spill_count: 0
    .symbol:         _ZN7rocprim17ROCPRIM_400000_NS6detail17trampoline_kernelINS0_14default_configENS1_29reduce_by_key_config_selectorIdlN6thrust23THRUST_200600_302600_NS4plusIlEEEEZZNS1_33reduce_by_key_impl_wrapped_configILNS1_25lookback_scan_determinismE0ES3_S9_PdNS6_17constant_iteratorIiNS6_11use_defaultESE_EENS6_10device_ptrIdEENSG_IlEEPmS8_NS6_8equal_toIdEEEE10hipError_tPvRmT2_T3_mT4_T5_T6_T7_T8_P12ihipStream_tbENKUlT_T0_E_clISt17integral_constantIbLb1EES13_EEDaSY_SZ_EUlSY_E_NS1_11comp_targetILNS1_3genE10ELNS1_11target_archE1201ELNS1_3gpuE5ELNS1_3repE0EEENS1_30default_config_static_selectorELNS0_4arch9wavefront6targetE1EEEvT1_.kd
    .uniform_work_group_size: 1
    .uses_dynamic_stack: false
    .vgpr_count:     0
    .vgpr_spill_count: 0
    .wavefront_size: 64
  - .agpr_count:     0
    .args:
      - .offset:         0
        .size:           144
        .value_kind:     by_value
    .group_segment_fixed_size: 0
    .kernarg_segment_align: 8
    .kernarg_segment_size: 144
    .language:       OpenCL C
    .language_version:
      - 2
      - 0
    .max_flat_workgroup_size: 256
    .name:           _ZN7rocprim17ROCPRIM_400000_NS6detail17trampoline_kernelINS0_14default_configENS1_29reduce_by_key_config_selectorIdlN6thrust23THRUST_200600_302600_NS4plusIlEEEEZZNS1_33reduce_by_key_impl_wrapped_configILNS1_25lookback_scan_determinismE0ES3_S9_PdNS6_17constant_iteratorIiNS6_11use_defaultESE_EENS6_10device_ptrIdEENSG_IlEEPmS8_NS6_8equal_toIdEEEE10hipError_tPvRmT2_T3_mT4_T5_T6_T7_T8_P12ihipStream_tbENKUlT_T0_E_clISt17integral_constantIbLb1EES13_EEDaSY_SZ_EUlSY_E_NS1_11comp_targetILNS1_3genE10ELNS1_11target_archE1200ELNS1_3gpuE4ELNS1_3repE0EEENS1_30default_config_static_selectorELNS0_4arch9wavefront6targetE1EEEvT1_
    .private_segment_fixed_size: 0
    .sgpr_count:     4
    .sgpr_spill_count: 0
    .symbol:         _ZN7rocprim17ROCPRIM_400000_NS6detail17trampoline_kernelINS0_14default_configENS1_29reduce_by_key_config_selectorIdlN6thrust23THRUST_200600_302600_NS4plusIlEEEEZZNS1_33reduce_by_key_impl_wrapped_configILNS1_25lookback_scan_determinismE0ES3_S9_PdNS6_17constant_iteratorIiNS6_11use_defaultESE_EENS6_10device_ptrIdEENSG_IlEEPmS8_NS6_8equal_toIdEEEE10hipError_tPvRmT2_T3_mT4_T5_T6_T7_T8_P12ihipStream_tbENKUlT_T0_E_clISt17integral_constantIbLb1EES13_EEDaSY_SZ_EUlSY_E_NS1_11comp_targetILNS1_3genE10ELNS1_11target_archE1200ELNS1_3gpuE4ELNS1_3repE0EEENS1_30default_config_static_selectorELNS0_4arch9wavefront6targetE1EEEvT1_.kd
    .uniform_work_group_size: 1
    .uses_dynamic_stack: false
    .vgpr_count:     0
    .vgpr_spill_count: 0
    .wavefront_size: 64
  - .agpr_count:     0
    .args:
      - .offset:         0
        .size:           144
        .value_kind:     by_value
    .group_segment_fixed_size: 0
    .kernarg_segment_align: 8
    .kernarg_segment_size: 144
    .language:       OpenCL C
    .language_version:
      - 2
      - 0
    .max_flat_workgroup_size: 256
    .name:           _ZN7rocprim17ROCPRIM_400000_NS6detail17trampoline_kernelINS0_14default_configENS1_29reduce_by_key_config_selectorIdlN6thrust23THRUST_200600_302600_NS4plusIlEEEEZZNS1_33reduce_by_key_impl_wrapped_configILNS1_25lookback_scan_determinismE0ES3_S9_PdNS6_17constant_iteratorIiNS6_11use_defaultESE_EENS6_10device_ptrIdEENSG_IlEEPmS8_NS6_8equal_toIdEEEE10hipError_tPvRmT2_T3_mT4_T5_T6_T7_T8_P12ihipStream_tbENKUlT_T0_E_clISt17integral_constantIbLb1EES13_EEDaSY_SZ_EUlSY_E_NS1_11comp_targetILNS1_3genE9ELNS1_11target_archE1100ELNS1_3gpuE3ELNS1_3repE0EEENS1_30default_config_static_selectorELNS0_4arch9wavefront6targetE1EEEvT1_
    .private_segment_fixed_size: 0
    .sgpr_count:     4
    .sgpr_spill_count: 0
    .symbol:         _ZN7rocprim17ROCPRIM_400000_NS6detail17trampoline_kernelINS0_14default_configENS1_29reduce_by_key_config_selectorIdlN6thrust23THRUST_200600_302600_NS4plusIlEEEEZZNS1_33reduce_by_key_impl_wrapped_configILNS1_25lookback_scan_determinismE0ES3_S9_PdNS6_17constant_iteratorIiNS6_11use_defaultESE_EENS6_10device_ptrIdEENSG_IlEEPmS8_NS6_8equal_toIdEEEE10hipError_tPvRmT2_T3_mT4_T5_T6_T7_T8_P12ihipStream_tbENKUlT_T0_E_clISt17integral_constantIbLb1EES13_EEDaSY_SZ_EUlSY_E_NS1_11comp_targetILNS1_3genE9ELNS1_11target_archE1100ELNS1_3gpuE3ELNS1_3repE0EEENS1_30default_config_static_selectorELNS0_4arch9wavefront6targetE1EEEvT1_.kd
    .uniform_work_group_size: 1
    .uses_dynamic_stack: false
    .vgpr_count:     0
    .vgpr_spill_count: 0
    .wavefront_size: 64
  - .agpr_count:     0
    .args:
      - .offset:         0
        .size:           144
        .value_kind:     by_value
    .group_segment_fixed_size: 0
    .kernarg_segment_align: 8
    .kernarg_segment_size: 144
    .language:       OpenCL C
    .language_version:
      - 2
      - 0
    .max_flat_workgroup_size: 256
    .name:           _ZN7rocprim17ROCPRIM_400000_NS6detail17trampoline_kernelINS0_14default_configENS1_29reduce_by_key_config_selectorIdlN6thrust23THRUST_200600_302600_NS4plusIlEEEEZZNS1_33reduce_by_key_impl_wrapped_configILNS1_25lookback_scan_determinismE0ES3_S9_PdNS6_17constant_iteratorIiNS6_11use_defaultESE_EENS6_10device_ptrIdEENSG_IlEEPmS8_NS6_8equal_toIdEEEE10hipError_tPvRmT2_T3_mT4_T5_T6_T7_T8_P12ihipStream_tbENKUlT_T0_E_clISt17integral_constantIbLb1EES13_EEDaSY_SZ_EUlSY_E_NS1_11comp_targetILNS1_3genE8ELNS1_11target_archE1030ELNS1_3gpuE2ELNS1_3repE0EEENS1_30default_config_static_selectorELNS0_4arch9wavefront6targetE1EEEvT1_
    .private_segment_fixed_size: 0
    .sgpr_count:     4
    .sgpr_spill_count: 0
    .symbol:         _ZN7rocprim17ROCPRIM_400000_NS6detail17trampoline_kernelINS0_14default_configENS1_29reduce_by_key_config_selectorIdlN6thrust23THRUST_200600_302600_NS4plusIlEEEEZZNS1_33reduce_by_key_impl_wrapped_configILNS1_25lookback_scan_determinismE0ES3_S9_PdNS6_17constant_iteratorIiNS6_11use_defaultESE_EENS6_10device_ptrIdEENSG_IlEEPmS8_NS6_8equal_toIdEEEE10hipError_tPvRmT2_T3_mT4_T5_T6_T7_T8_P12ihipStream_tbENKUlT_T0_E_clISt17integral_constantIbLb1EES13_EEDaSY_SZ_EUlSY_E_NS1_11comp_targetILNS1_3genE8ELNS1_11target_archE1030ELNS1_3gpuE2ELNS1_3repE0EEENS1_30default_config_static_selectorELNS0_4arch9wavefront6targetE1EEEvT1_.kd
    .uniform_work_group_size: 1
    .uses_dynamic_stack: false
    .vgpr_count:     0
    .vgpr_spill_count: 0
    .wavefront_size: 64
  - .agpr_count:     0
    .args:
      - .offset:         0
        .size:           144
        .value_kind:     by_value
    .group_segment_fixed_size: 0
    .kernarg_segment_align: 8
    .kernarg_segment_size: 144
    .language:       OpenCL C
    .language_version:
      - 2
      - 0
    .max_flat_workgroup_size: 256
    .name:           _ZN7rocprim17ROCPRIM_400000_NS6detail17trampoline_kernelINS0_14default_configENS1_29reduce_by_key_config_selectorIdlN6thrust23THRUST_200600_302600_NS4plusIlEEEEZZNS1_33reduce_by_key_impl_wrapped_configILNS1_25lookback_scan_determinismE0ES3_S9_PdNS6_17constant_iteratorIiNS6_11use_defaultESE_EENS6_10device_ptrIdEENSG_IlEEPmS8_NS6_8equal_toIdEEEE10hipError_tPvRmT2_T3_mT4_T5_T6_T7_T8_P12ihipStream_tbENKUlT_T0_E_clISt17integral_constantIbLb1EES12_IbLb0EEEEDaSY_SZ_EUlSY_E_NS1_11comp_targetILNS1_3genE0ELNS1_11target_archE4294967295ELNS1_3gpuE0ELNS1_3repE0EEENS1_30default_config_static_selectorELNS0_4arch9wavefront6targetE1EEEvT1_
    .private_segment_fixed_size: 0
    .sgpr_count:     4
    .sgpr_spill_count: 0
    .symbol:         _ZN7rocprim17ROCPRIM_400000_NS6detail17trampoline_kernelINS0_14default_configENS1_29reduce_by_key_config_selectorIdlN6thrust23THRUST_200600_302600_NS4plusIlEEEEZZNS1_33reduce_by_key_impl_wrapped_configILNS1_25lookback_scan_determinismE0ES3_S9_PdNS6_17constant_iteratorIiNS6_11use_defaultESE_EENS6_10device_ptrIdEENSG_IlEEPmS8_NS6_8equal_toIdEEEE10hipError_tPvRmT2_T3_mT4_T5_T6_T7_T8_P12ihipStream_tbENKUlT_T0_E_clISt17integral_constantIbLb1EES12_IbLb0EEEEDaSY_SZ_EUlSY_E_NS1_11comp_targetILNS1_3genE0ELNS1_11target_archE4294967295ELNS1_3gpuE0ELNS1_3repE0EEENS1_30default_config_static_selectorELNS0_4arch9wavefront6targetE1EEEvT1_.kd
    .uniform_work_group_size: 1
    .uses_dynamic_stack: false
    .vgpr_count:     0
    .vgpr_spill_count: 0
    .wavefront_size: 64
  - .agpr_count:     0
    .args:
      - .offset:         0
        .size:           144
        .value_kind:     by_value
    .group_segment_fixed_size: 0
    .kernarg_segment_align: 8
    .kernarg_segment_size: 144
    .language:       OpenCL C
    .language_version:
      - 2
      - 0
    .max_flat_workgroup_size: 256
    .name:           _ZN7rocprim17ROCPRIM_400000_NS6detail17trampoline_kernelINS0_14default_configENS1_29reduce_by_key_config_selectorIdlN6thrust23THRUST_200600_302600_NS4plusIlEEEEZZNS1_33reduce_by_key_impl_wrapped_configILNS1_25lookback_scan_determinismE0ES3_S9_PdNS6_17constant_iteratorIiNS6_11use_defaultESE_EENS6_10device_ptrIdEENSG_IlEEPmS8_NS6_8equal_toIdEEEE10hipError_tPvRmT2_T3_mT4_T5_T6_T7_T8_P12ihipStream_tbENKUlT_T0_E_clISt17integral_constantIbLb1EES12_IbLb0EEEEDaSY_SZ_EUlSY_E_NS1_11comp_targetILNS1_3genE5ELNS1_11target_archE942ELNS1_3gpuE9ELNS1_3repE0EEENS1_30default_config_static_selectorELNS0_4arch9wavefront6targetE1EEEvT1_
    .private_segment_fixed_size: 0
    .sgpr_count:     4
    .sgpr_spill_count: 0
    .symbol:         _ZN7rocprim17ROCPRIM_400000_NS6detail17trampoline_kernelINS0_14default_configENS1_29reduce_by_key_config_selectorIdlN6thrust23THRUST_200600_302600_NS4plusIlEEEEZZNS1_33reduce_by_key_impl_wrapped_configILNS1_25lookback_scan_determinismE0ES3_S9_PdNS6_17constant_iteratorIiNS6_11use_defaultESE_EENS6_10device_ptrIdEENSG_IlEEPmS8_NS6_8equal_toIdEEEE10hipError_tPvRmT2_T3_mT4_T5_T6_T7_T8_P12ihipStream_tbENKUlT_T0_E_clISt17integral_constantIbLb1EES12_IbLb0EEEEDaSY_SZ_EUlSY_E_NS1_11comp_targetILNS1_3genE5ELNS1_11target_archE942ELNS1_3gpuE9ELNS1_3repE0EEENS1_30default_config_static_selectorELNS0_4arch9wavefront6targetE1EEEvT1_.kd
    .uniform_work_group_size: 1
    .uses_dynamic_stack: false
    .vgpr_count:     0
    .vgpr_spill_count: 0
    .wavefront_size: 64
  - .agpr_count:     0
    .args:
      - .offset:         0
        .size:           144
        .value_kind:     by_value
    .group_segment_fixed_size: 30720
    .kernarg_segment_align: 8
    .kernarg_segment_size: 144
    .language:       OpenCL C
    .language_version:
      - 2
      - 0
    .max_flat_workgroup_size: 256
    .name:           _ZN7rocprim17ROCPRIM_400000_NS6detail17trampoline_kernelINS0_14default_configENS1_29reduce_by_key_config_selectorIdlN6thrust23THRUST_200600_302600_NS4plusIlEEEEZZNS1_33reduce_by_key_impl_wrapped_configILNS1_25lookback_scan_determinismE0ES3_S9_PdNS6_17constant_iteratorIiNS6_11use_defaultESE_EENS6_10device_ptrIdEENSG_IlEEPmS8_NS6_8equal_toIdEEEE10hipError_tPvRmT2_T3_mT4_T5_T6_T7_T8_P12ihipStream_tbENKUlT_T0_E_clISt17integral_constantIbLb1EES12_IbLb0EEEEDaSY_SZ_EUlSY_E_NS1_11comp_targetILNS1_3genE4ELNS1_11target_archE910ELNS1_3gpuE8ELNS1_3repE0EEENS1_30default_config_static_selectorELNS0_4arch9wavefront6targetE1EEEvT1_
    .private_segment_fixed_size: 0
    .sgpr_count:     68
    .sgpr_spill_count: 0
    .symbol:         _ZN7rocprim17ROCPRIM_400000_NS6detail17trampoline_kernelINS0_14default_configENS1_29reduce_by_key_config_selectorIdlN6thrust23THRUST_200600_302600_NS4plusIlEEEEZZNS1_33reduce_by_key_impl_wrapped_configILNS1_25lookback_scan_determinismE0ES3_S9_PdNS6_17constant_iteratorIiNS6_11use_defaultESE_EENS6_10device_ptrIdEENSG_IlEEPmS8_NS6_8equal_toIdEEEE10hipError_tPvRmT2_T3_mT4_T5_T6_T7_T8_P12ihipStream_tbENKUlT_T0_E_clISt17integral_constantIbLb1EES12_IbLb0EEEEDaSY_SZ_EUlSY_E_NS1_11comp_targetILNS1_3genE4ELNS1_11target_archE910ELNS1_3gpuE8ELNS1_3repE0EEENS1_30default_config_static_selectorELNS0_4arch9wavefront6targetE1EEEvT1_.kd
    .uniform_work_group_size: 1
    .uses_dynamic_stack: false
    .vgpr_count:     118
    .vgpr_spill_count: 0
    .wavefront_size: 64
  - .agpr_count:     0
    .args:
      - .offset:         0
        .size:           144
        .value_kind:     by_value
    .group_segment_fixed_size: 0
    .kernarg_segment_align: 8
    .kernarg_segment_size: 144
    .language:       OpenCL C
    .language_version:
      - 2
      - 0
    .max_flat_workgroup_size: 256
    .name:           _ZN7rocprim17ROCPRIM_400000_NS6detail17trampoline_kernelINS0_14default_configENS1_29reduce_by_key_config_selectorIdlN6thrust23THRUST_200600_302600_NS4plusIlEEEEZZNS1_33reduce_by_key_impl_wrapped_configILNS1_25lookback_scan_determinismE0ES3_S9_PdNS6_17constant_iteratorIiNS6_11use_defaultESE_EENS6_10device_ptrIdEENSG_IlEEPmS8_NS6_8equal_toIdEEEE10hipError_tPvRmT2_T3_mT4_T5_T6_T7_T8_P12ihipStream_tbENKUlT_T0_E_clISt17integral_constantIbLb1EES12_IbLb0EEEEDaSY_SZ_EUlSY_E_NS1_11comp_targetILNS1_3genE3ELNS1_11target_archE908ELNS1_3gpuE7ELNS1_3repE0EEENS1_30default_config_static_selectorELNS0_4arch9wavefront6targetE1EEEvT1_
    .private_segment_fixed_size: 0
    .sgpr_count:     4
    .sgpr_spill_count: 0
    .symbol:         _ZN7rocprim17ROCPRIM_400000_NS6detail17trampoline_kernelINS0_14default_configENS1_29reduce_by_key_config_selectorIdlN6thrust23THRUST_200600_302600_NS4plusIlEEEEZZNS1_33reduce_by_key_impl_wrapped_configILNS1_25lookback_scan_determinismE0ES3_S9_PdNS6_17constant_iteratorIiNS6_11use_defaultESE_EENS6_10device_ptrIdEENSG_IlEEPmS8_NS6_8equal_toIdEEEE10hipError_tPvRmT2_T3_mT4_T5_T6_T7_T8_P12ihipStream_tbENKUlT_T0_E_clISt17integral_constantIbLb1EES12_IbLb0EEEEDaSY_SZ_EUlSY_E_NS1_11comp_targetILNS1_3genE3ELNS1_11target_archE908ELNS1_3gpuE7ELNS1_3repE0EEENS1_30default_config_static_selectorELNS0_4arch9wavefront6targetE1EEEvT1_.kd
    .uniform_work_group_size: 1
    .uses_dynamic_stack: false
    .vgpr_count:     0
    .vgpr_spill_count: 0
    .wavefront_size: 64
  - .agpr_count:     0
    .args:
      - .offset:         0
        .size:           144
        .value_kind:     by_value
    .group_segment_fixed_size: 0
    .kernarg_segment_align: 8
    .kernarg_segment_size: 144
    .language:       OpenCL C
    .language_version:
      - 2
      - 0
    .max_flat_workgroup_size: 256
    .name:           _ZN7rocprim17ROCPRIM_400000_NS6detail17trampoline_kernelINS0_14default_configENS1_29reduce_by_key_config_selectorIdlN6thrust23THRUST_200600_302600_NS4plusIlEEEEZZNS1_33reduce_by_key_impl_wrapped_configILNS1_25lookback_scan_determinismE0ES3_S9_PdNS6_17constant_iteratorIiNS6_11use_defaultESE_EENS6_10device_ptrIdEENSG_IlEEPmS8_NS6_8equal_toIdEEEE10hipError_tPvRmT2_T3_mT4_T5_T6_T7_T8_P12ihipStream_tbENKUlT_T0_E_clISt17integral_constantIbLb1EES12_IbLb0EEEEDaSY_SZ_EUlSY_E_NS1_11comp_targetILNS1_3genE2ELNS1_11target_archE906ELNS1_3gpuE6ELNS1_3repE0EEENS1_30default_config_static_selectorELNS0_4arch9wavefront6targetE1EEEvT1_
    .private_segment_fixed_size: 0
    .sgpr_count:     4
    .sgpr_spill_count: 0
    .symbol:         _ZN7rocprim17ROCPRIM_400000_NS6detail17trampoline_kernelINS0_14default_configENS1_29reduce_by_key_config_selectorIdlN6thrust23THRUST_200600_302600_NS4plusIlEEEEZZNS1_33reduce_by_key_impl_wrapped_configILNS1_25lookback_scan_determinismE0ES3_S9_PdNS6_17constant_iteratorIiNS6_11use_defaultESE_EENS6_10device_ptrIdEENSG_IlEEPmS8_NS6_8equal_toIdEEEE10hipError_tPvRmT2_T3_mT4_T5_T6_T7_T8_P12ihipStream_tbENKUlT_T0_E_clISt17integral_constantIbLb1EES12_IbLb0EEEEDaSY_SZ_EUlSY_E_NS1_11comp_targetILNS1_3genE2ELNS1_11target_archE906ELNS1_3gpuE6ELNS1_3repE0EEENS1_30default_config_static_selectorELNS0_4arch9wavefront6targetE1EEEvT1_.kd
    .uniform_work_group_size: 1
    .uses_dynamic_stack: false
    .vgpr_count:     0
    .vgpr_spill_count: 0
    .wavefront_size: 64
  - .agpr_count:     0
    .args:
      - .offset:         0
        .size:           144
        .value_kind:     by_value
    .group_segment_fixed_size: 0
    .kernarg_segment_align: 8
    .kernarg_segment_size: 144
    .language:       OpenCL C
    .language_version:
      - 2
      - 0
    .max_flat_workgroup_size: 256
    .name:           _ZN7rocprim17ROCPRIM_400000_NS6detail17trampoline_kernelINS0_14default_configENS1_29reduce_by_key_config_selectorIdlN6thrust23THRUST_200600_302600_NS4plusIlEEEEZZNS1_33reduce_by_key_impl_wrapped_configILNS1_25lookback_scan_determinismE0ES3_S9_PdNS6_17constant_iteratorIiNS6_11use_defaultESE_EENS6_10device_ptrIdEENSG_IlEEPmS8_NS6_8equal_toIdEEEE10hipError_tPvRmT2_T3_mT4_T5_T6_T7_T8_P12ihipStream_tbENKUlT_T0_E_clISt17integral_constantIbLb1EES12_IbLb0EEEEDaSY_SZ_EUlSY_E_NS1_11comp_targetILNS1_3genE10ELNS1_11target_archE1201ELNS1_3gpuE5ELNS1_3repE0EEENS1_30default_config_static_selectorELNS0_4arch9wavefront6targetE1EEEvT1_
    .private_segment_fixed_size: 0
    .sgpr_count:     4
    .sgpr_spill_count: 0
    .symbol:         _ZN7rocprim17ROCPRIM_400000_NS6detail17trampoline_kernelINS0_14default_configENS1_29reduce_by_key_config_selectorIdlN6thrust23THRUST_200600_302600_NS4plusIlEEEEZZNS1_33reduce_by_key_impl_wrapped_configILNS1_25lookback_scan_determinismE0ES3_S9_PdNS6_17constant_iteratorIiNS6_11use_defaultESE_EENS6_10device_ptrIdEENSG_IlEEPmS8_NS6_8equal_toIdEEEE10hipError_tPvRmT2_T3_mT4_T5_T6_T7_T8_P12ihipStream_tbENKUlT_T0_E_clISt17integral_constantIbLb1EES12_IbLb0EEEEDaSY_SZ_EUlSY_E_NS1_11comp_targetILNS1_3genE10ELNS1_11target_archE1201ELNS1_3gpuE5ELNS1_3repE0EEENS1_30default_config_static_selectorELNS0_4arch9wavefront6targetE1EEEvT1_.kd
    .uniform_work_group_size: 1
    .uses_dynamic_stack: false
    .vgpr_count:     0
    .vgpr_spill_count: 0
    .wavefront_size: 64
  - .agpr_count:     0
    .args:
      - .offset:         0
        .size:           144
        .value_kind:     by_value
    .group_segment_fixed_size: 0
    .kernarg_segment_align: 8
    .kernarg_segment_size: 144
    .language:       OpenCL C
    .language_version:
      - 2
      - 0
    .max_flat_workgroup_size: 256
    .name:           _ZN7rocprim17ROCPRIM_400000_NS6detail17trampoline_kernelINS0_14default_configENS1_29reduce_by_key_config_selectorIdlN6thrust23THRUST_200600_302600_NS4plusIlEEEEZZNS1_33reduce_by_key_impl_wrapped_configILNS1_25lookback_scan_determinismE0ES3_S9_PdNS6_17constant_iteratorIiNS6_11use_defaultESE_EENS6_10device_ptrIdEENSG_IlEEPmS8_NS6_8equal_toIdEEEE10hipError_tPvRmT2_T3_mT4_T5_T6_T7_T8_P12ihipStream_tbENKUlT_T0_E_clISt17integral_constantIbLb1EES12_IbLb0EEEEDaSY_SZ_EUlSY_E_NS1_11comp_targetILNS1_3genE10ELNS1_11target_archE1200ELNS1_3gpuE4ELNS1_3repE0EEENS1_30default_config_static_selectorELNS0_4arch9wavefront6targetE1EEEvT1_
    .private_segment_fixed_size: 0
    .sgpr_count:     4
    .sgpr_spill_count: 0
    .symbol:         _ZN7rocprim17ROCPRIM_400000_NS6detail17trampoline_kernelINS0_14default_configENS1_29reduce_by_key_config_selectorIdlN6thrust23THRUST_200600_302600_NS4plusIlEEEEZZNS1_33reduce_by_key_impl_wrapped_configILNS1_25lookback_scan_determinismE0ES3_S9_PdNS6_17constant_iteratorIiNS6_11use_defaultESE_EENS6_10device_ptrIdEENSG_IlEEPmS8_NS6_8equal_toIdEEEE10hipError_tPvRmT2_T3_mT4_T5_T6_T7_T8_P12ihipStream_tbENKUlT_T0_E_clISt17integral_constantIbLb1EES12_IbLb0EEEEDaSY_SZ_EUlSY_E_NS1_11comp_targetILNS1_3genE10ELNS1_11target_archE1200ELNS1_3gpuE4ELNS1_3repE0EEENS1_30default_config_static_selectorELNS0_4arch9wavefront6targetE1EEEvT1_.kd
    .uniform_work_group_size: 1
    .uses_dynamic_stack: false
    .vgpr_count:     0
    .vgpr_spill_count: 0
    .wavefront_size: 64
  - .agpr_count:     0
    .args:
      - .offset:         0
        .size:           144
        .value_kind:     by_value
    .group_segment_fixed_size: 0
    .kernarg_segment_align: 8
    .kernarg_segment_size: 144
    .language:       OpenCL C
    .language_version:
      - 2
      - 0
    .max_flat_workgroup_size: 256
    .name:           _ZN7rocprim17ROCPRIM_400000_NS6detail17trampoline_kernelINS0_14default_configENS1_29reduce_by_key_config_selectorIdlN6thrust23THRUST_200600_302600_NS4plusIlEEEEZZNS1_33reduce_by_key_impl_wrapped_configILNS1_25lookback_scan_determinismE0ES3_S9_PdNS6_17constant_iteratorIiNS6_11use_defaultESE_EENS6_10device_ptrIdEENSG_IlEEPmS8_NS6_8equal_toIdEEEE10hipError_tPvRmT2_T3_mT4_T5_T6_T7_T8_P12ihipStream_tbENKUlT_T0_E_clISt17integral_constantIbLb1EES12_IbLb0EEEEDaSY_SZ_EUlSY_E_NS1_11comp_targetILNS1_3genE9ELNS1_11target_archE1100ELNS1_3gpuE3ELNS1_3repE0EEENS1_30default_config_static_selectorELNS0_4arch9wavefront6targetE1EEEvT1_
    .private_segment_fixed_size: 0
    .sgpr_count:     4
    .sgpr_spill_count: 0
    .symbol:         _ZN7rocprim17ROCPRIM_400000_NS6detail17trampoline_kernelINS0_14default_configENS1_29reduce_by_key_config_selectorIdlN6thrust23THRUST_200600_302600_NS4plusIlEEEEZZNS1_33reduce_by_key_impl_wrapped_configILNS1_25lookback_scan_determinismE0ES3_S9_PdNS6_17constant_iteratorIiNS6_11use_defaultESE_EENS6_10device_ptrIdEENSG_IlEEPmS8_NS6_8equal_toIdEEEE10hipError_tPvRmT2_T3_mT4_T5_T6_T7_T8_P12ihipStream_tbENKUlT_T0_E_clISt17integral_constantIbLb1EES12_IbLb0EEEEDaSY_SZ_EUlSY_E_NS1_11comp_targetILNS1_3genE9ELNS1_11target_archE1100ELNS1_3gpuE3ELNS1_3repE0EEENS1_30default_config_static_selectorELNS0_4arch9wavefront6targetE1EEEvT1_.kd
    .uniform_work_group_size: 1
    .uses_dynamic_stack: false
    .vgpr_count:     0
    .vgpr_spill_count: 0
    .wavefront_size: 64
  - .agpr_count:     0
    .args:
      - .offset:         0
        .size:           144
        .value_kind:     by_value
    .group_segment_fixed_size: 0
    .kernarg_segment_align: 8
    .kernarg_segment_size: 144
    .language:       OpenCL C
    .language_version:
      - 2
      - 0
    .max_flat_workgroup_size: 256
    .name:           _ZN7rocprim17ROCPRIM_400000_NS6detail17trampoline_kernelINS0_14default_configENS1_29reduce_by_key_config_selectorIdlN6thrust23THRUST_200600_302600_NS4plusIlEEEEZZNS1_33reduce_by_key_impl_wrapped_configILNS1_25lookback_scan_determinismE0ES3_S9_PdNS6_17constant_iteratorIiNS6_11use_defaultESE_EENS6_10device_ptrIdEENSG_IlEEPmS8_NS6_8equal_toIdEEEE10hipError_tPvRmT2_T3_mT4_T5_T6_T7_T8_P12ihipStream_tbENKUlT_T0_E_clISt17integral_constantIbLb1EES12_IbLb0EEEEDaSY_SZ_EUlSY_E_NS1_11comp_targetILNS1_3genE8ELNS1_11target_archE1030ELNS1_3gpuE2ELNS1_3repE0EEENS1_30default_config_static_selectorELNS0_4arch9wavefront6targetE1EEEvT1_
    .private_segment_fixed_size: 0
    .sgpr_count:     4
    .sgpr_spill_count: 0
    .symbol:         _ZN7rocprim17ROCPRIM_400000_NS6detail17trampoline_kernelINS0_14default_configENS1_29reduce_by_key_config_selectorIdlN6thrust23THRUST_200600_302600_NS4plusIlEEEEZZNS1_33reduce_by_key_impl_wrapped_configILNS1_25lookback_scan_determinismE0ES3_S9_PdNS6_17constant_iteratorIiNS6_11use_defaultESE_EENS6_10device_ptrIdEENSG_IlEEPmS8_NS6_8equal_toIdEEEE10hipError_tPvRmT2_T3_mT4_T5_T6_T7_T8_P12ihipStream_tbENKUlT_T0_E_clISt17integral_constantIbLb1EES12_IbLb0EEEEDaSY_SZ_EUlSY_E_NS1_11comp_targetILNS1_3genE8ELNS1_11target_archE1030ELNS1_3gpuE2ELNS1_3repE0EEENS1_30default_config_static_selectorELNS0_4arch9wavefront6targetE1EEEvT1_.kd
    .uniform_work_group_size: 1
    .uses_dynamic_stack: false
    .vgpr_count:     0
    .vgpr_spill_count: 0
    .wavefront_size: 64
  - .agpr_count:     0
    .args:
      - .offset:         0
        .size:           144
        .value_kind:     by_value
    .group_segment_fixed_size: 0
    .kernarg_segment_align: 8
    .kernarg_segment_size: 144
    .language:       OpenCL C
    .language_version:
      - 2
      - 0
    .max_flat_workgroup_size: 256
    .name:           _ZN7rocprim17ROCPRIM_400000_NS6detail17trampoline_kernelINS0_14default_configENS1_29reduce_by_key_config_selectorIdlN6thrust23THRUST_200600_302600_NS4plusIlEEEEZZNS1_33reduce_by_key_impl_wrapped_configILNS1_25lookback_scan_determinismE0ES3_S9_PdNS6_17constant_iteratorIiNS6_11use_defaultESE_EENS6_10device_ptrIdEENSG_IlEEPmS8_NS6_8equal_toIdEEEE10hipError_tPvRmT2_T3_mT4_T5_T6_T7_T8_P12ihipStream_tbENKUlT_T0_E_clISt17integral_constantIbLb0EES12_IbLb1EEEEDaSY_SZ_EUlSY_E_NS1_11comp_targetILNS1_3genE0ELNS1_11target_archE4294967295ELNS1_3gpuE0ELNS1_3repE0EEENS1_30default_config_static_selectorELNS0_4arch9wavefront6targetE1EEEvT1_
    .private_segment_fixed_size: 0
    .sgpr_count:     4
    .sgpr_spill_count: 0
    .symbol:         _ZN7rocprim17ROCPRIM_400000_NS6detail17trampoline_kernelINS0_14default_configENS1_29reduce_by_key_config_selectorIdlN6thrust23THRUST_200600_302600_NS4plusIlEEEEZZNS1_33reduce_by_key_impl_wrapped_configILNS1_25lookback_scan_determinismE0ES3_S9_PdNS6_17constant_iteratorIiNS6_11use_defaultESE_EENS6_10device_ptrIdEENSG_IlEEPmS8_NS6_8equal_toIdEEEE10hipError_tPvRmT2_T3_mT4_T5_T6_T7_T8_P12ihipStream_tbENKUlT_T0_E_clISt17integral_constantIbLb0EES12_IbLb1EEEEDaSY_SZ_EUlSY_E_NS1_11comp_targetILNS1_3genE0ELNS1_11target_archE4294967295ELNS1_3gpuE0ELNS1_3repE0EEENS1_30default_config_static_selectorELNS0_4arch9wavefront6targetE1EEEvT1_.kd
    .uniform_work_group_size: 1
    .uses_dynamic_stack: false
    .vgpr_count:     0
    .vgpr_spill_count: 0
    .wavefront_size: 64
  - .agpr_count:     0
    .args:
      - .offset:         0
        .size:           144
        .value_kind:     by_value
    .group_segment_fixed_size: 0
    .kernarg_segment_align: 8
    .kernarg_segment_size: 144
    .language:       OpenCL C
    .language_version:
      - 2
      - 0
    .max_flat_workgroup_size: 256
    .name:           _ZN7rocprim17ROCPRIM_400000_NS6detail17trampoline_kernelINS0_14default_configENS1_29reduce_by_key_config_selectorIdlN6thrust23THRUST_200600_302600_NS4plusIlEEEEZZNS1_33reduce_by_key_impl_wrapped_configILNS1_25lookback_scan_determinismE0ES3_S9_PdNS6_17constant_iteratorIiNS6_11use_defaultESE_EENS6_10device_ptrIdEENSG_IlEEPmS8_NS6_8equal_toIdEEEE10hipError_tPvRmT2_T3_mT4_T5_T6_T7_T8_P12ihipStream_tbENKUlT_T0_E_clISt17integral_constantIbLb0EES12_IbLb1EEEEDaSY_SZ_EUlSY_E_NS1_11comp_targetILNS1_3genE5ELNS1_11target_archE942ELNS1_3gpuE9ELNS1_3repE0EEENS1_30default_config_static_selectorELNS0_4arch9wavefront6targetE1EEEvT1_
    .private_segment_fixed_size: 0
    .sgpr_count:     4
    .sgpr_spill_count: 0
    .symbol:         _ZN7rocprim17ROCPRIM_400000_NS6detail17trampoline_kernelINS0_14default_configENS1_29reduce_by_key_config_selectorIdlN6thrust23THRUST_200600_302600_NS4plusIlEEEEZZNS1_33reduce_by_key_impl_wrapped_configILNS1_25lookback_scan_determinismE0ES3_S9_PdNS6_17constant_iteratorIiNS6_11use_defaultESE_EENS6_10device_ptrIdEENSG_IlEEPmS8_NS6_8equal_toIdEEEE10hipError_tPvRmT2_T3_mT4_T5_T6_T7_T8_P12ihipStream_tbENKUlT_T0_E_clISt17integral_constantIbLb0EES12_IbLb1EEEEDaSY_SZ_EUlSY_E_NS1_11comp_targetILNS1_3genE5ELNS1_11target_archE942ELNS1_3gpuE9ELNS1_3repE0EEENS1_30default_config_static_selectorELNS0_4arch9wavefront6targetE1EEEvT1_.kd
    .uniform_work_group_size: 1
    .uses_dynamic_stack: false
    .vgpr_count:     0
    .vgpr_spill_count: 0
    .wavefront_size: 64
  - .agpr_count:     0
    .args:
      - .offset:         0
        .size:           144
        .value_kind:     by_value
    .group_segment_fixed_size: 30720
    .kernarg_segment_align: 8
    .kernarg_segment_size: 144
    .language:       OpenCL C
    .language_version:
      - 2
      - 0
    .max_flat_workgroup_size: 256
    .name:           _ZN7rocprim17ROCPRIM_400000_NS6detail17trampoline_kernelINS0_14default_configENS1_29reduce_by_key_config_selectorIdlN6thrust23THRUST_200600_302600_NS4plusIlEEEEZZNS1_33reduce_by_key_impl_wrapped_configILNS1_25lookback_scan_determinismE0ES3_S9_PdNS6_17constant_iteratorIiNS6_11use_defaultESE_EENS6_10device_ptrIdEENSG_IlEEPmS8_NS6_8equal_toIdEEEE10hipError_tPvRmT2_T3_mT4_T5_T6_T7_T8_P12ihipStream_tbENKUlT_T0_E_clISt17integral_constantIbLb0EES12_IbLb1EEEEDaSY_SZ_EUlSY_E_NS1_11comp_targetILNS1_3genE4ELNS1_11target_archE910ELNS1_3gpuE8ELNS1_3repE0EEENS1_30default_config_static_selectorELNS0_4arch9wavefront6targetE1EEEvT1_
    .private_segment_fixed_size: 0
    .sgpr_count:     67
    .sgpr_spill_count: 0
    .symbol:         _ZN7rocprim17ROCPRIM_400000_NS6detail17trampoline_kernelINS0_14default_configENS1_29reduce_by_key_config_selectorIdlN6thrust23THRUST_200600_302600_NS4plusIlEEEEZZNS1_33reduce_by_key_impl_wrapped_configILNS1_25lookback_scan_determinismE0ES3_S9_PdNS6_17constant_iteratorIiNS6_11use_defaultESE_EENS6_10device_ptrIdEENSG_IlEEPmS8_NS6_8equal_toIdEEEE10hipError_tPvRmT2_T3_mT4_T5_T6_T7_T8_P12ihipStream_tbENKUlT_T0_E_clISt17integral_constantIbLb0EES12_IbLb1EEEEDaSY_SZ_EUlSY_E_NS1_11comp_targetILNS1_3genE4ELNS1_11target_archE910ELNS1_3gpuE8ELNS1_3repE0EEENS1_30default_config_static_selectorELNS0_4arch9wavefront6targetE1EEEvT1_.kd
    .uniform_work_group_size: 1
    .uses_dynamic_stack: false
    .vgpr_count:     118
    .vgpr_spill_count: 0
    .wavefront_size: 64
  - .agpr_count:     0
    .args:
      - .offset:         0
        .size:           144
        .value_kind:     by_value
    .group_segment_fixed_size: 0
    .kernarg_segment_align: 8
    .kernarg_segment_size: 144
    .language:       OpenCL C
    .language_version:
      - 2
      - 0
    .max_flat_workgroup_size: 256
    .name:           _ZN7rocprim17ROCPRIM_400000_NS6detail17trampoline_kernelINS0_14default_configENS1_29reduce_by_key_config_selectorIdlN6thrust23THRUST_200600_302600_NS4plusIlEEEEZZNS1_33reduce_by_key_impl_wrapped_configILNS1_25lookback_scan_determinismE0ES3_S9_PdNS6_17constant_iteratorIiNS6_11use_defaultESE_EENS6_10device_ptrIdEENSG_IlEEPmS8_NS6_8equal_toIdEEEE10hipError_tPvRmT2_T3_mT4_T5_T6_T7_T8_P12ihipStream_tbENKUlT_T0_E_clISt17integral_constantIbLb0EES12_IbLb1EEEEDaSY_SZ_EUlSY_E_NS1_11comp_targetILNS1_3genE3ELNS1_11target_archE908ELNS1_3gpuE7ELNS1_3repE0EEENS1_30default_config_static_selectorELNS0_4arch9wavefront6targetE1EEEvT1_
    .private_segment_fixed_size: 0
    .sgpr_count:     4
    .sgpr_spill_count: 0
    .symbol:         _ZN7rocprim17ROCPRIM_400000_NS6detail17trampoline_kernelINS0_14default_configENS1_29reduce_by_key_config_selectorIdlN6thrust23THRUST_200600_302600_NS4plusIlEEEEZZNS1_33reduce_by_key_impl_wrapped_configILNS1_25lookback_scan_determinismE0ES3_S9_PdNS6_17constant_iteratorIiNS6_11use_defaultESE_EENS6_10device_ptrIdEENSG_IlEEPmS8_NS6_8equal_toIdEEEE10hipError_tPvRmT2_T3_mT4_T5_T6_T7_T8_P12ihipStream_tbENKUlT_T0_E_clISt17integral_constantIbLb0EES12_IbLb1EEEEDaSY_SZ_EUlSY_E_NS1_11comp_targetILNS1_3genE3ELNS1_11target_archE908ELNS1_3gpuE7ELNS1_3repE0EEENS1_30default_config_static_selectorELNS0_4arch9wavefront6targetE1EEEvT1_.kd
    .uniform_work_group_size: 1
    .uses_dynamic_stack: false
    .vgpr_count:     0
    .vgpr_spill_count: 0
    .wavefront_size: 64
  - .agpr_count:     0
    .args:
      - .offset:         0
        .size:           144
        .value_kind:     by_value
    .group_segment_fixed_size: 0
    .kernarg_segment_align: 8
    .kernarg_segment_size: 144
    .language:       OpenCL C
    .language_version:
      - 2
      - 0
    .max_flat_workgroup_size: 256
    .name:           _ZN7rocprim17ROCPRIM_400000_NS6detail17trampoline_kernelINS0_14default_configENS1_29reduce_by_key_config_selectorIdlN6thrust23THRUST_200600_302600_NS4plusIlEEEEZZNS1_33reduce_by_key_impl_wrapped_configILNS1_25lookback_scan_determinismE0ES3_S9_PdNS6_17constant_iteratorIiNS6_11use_defaultESE_EENS6_10device_ptrIdEENSG_IlEEPmS8_NS6_8equal_toIdEEEE10hipError_tPvRmT2_T3_mT4_T5_T6_T7_T8_P12ihipStream_tbENKUlT_T0_E_clISt17integral_constantIbLb0EES12_IbLb1EEEEDaSY_SZ_EUlSY_E_NS1_11comp_targetILNS1_3genE2ELNS1_11target_archE906ELNS1_3gpuE6ELNS1_3repE0EEENS1_30default_config_static_selectorELNS0_4arch9wavefront6targetE1EEEvT1_
    .private_segment_fixed_size: 0
    .sgpr_count:     4
    .sgpr_spill_count: 0
    .symbol:         _ZN7rocprim17ROCPRIM_400000_NS6detail17trampoline_kernelINS0_14default_configENS1_29reduce_by_key_config_selectorIdlN6thrust23THRUST_200600_302600_NS4plusIlEEEEZZNS1_33reduce_by_key_impl_wrapped_configILNS1_25lookback_scan_determinismE0ES3_S9_PdNS6_17constant_iteratorIiNS6_11use_defaultESE_EENS6_10device_ptrIdEENSG_IlEEPmS8_NS6_8equal_toIdEEEE10hipError_tPvRmT2_T3_mT4_T5_T6_T7_T8_P12ihipStream_tbENKUlT_T0_E_clISt17integral_constantIbLb0EES12_IbLb1EEEEDaSY_SZ_EUlSY_E_NS1_11comp_targetILNS1_3genE2ELNS1_11target_archE906ELNS1_3gpuE6ELNS1_3repE0EEENS1_30default_config_static_selectorELNS0_4arch9wavefront6targetE1EEEvT1_.kd
    .uniform_work_group_size: 1
    .uses_dynamic_stack: false
    .vgpr_count:     0
    .vgpr_spill_count: 0
    .wavefront_size: 64
  - .agpr_count:     0
    .args:
      - .offset:         0
        .size:           144
        .value_kind:     by_value
    .group_segment_fixed_size: 0
    .kernarg_segment_align: 8
    .kernarg_segment_size: 144
    .language:       OpenCL C
    .language_version:
      - 2
      - 0
    .max_flat_workgroup_size: 256
    .name:           _ZN7rocprim17ROCPRIM_400000_NS6detail17trampoline_kernelINS0_14default_configENS1_29reduce_by_key_config_selectorIdlN6thrust23THRUST_200600_302600_NS4plusIlEEEEZZNS1_33reduce_by_key_impl_wrapped_configILNS1_25lookback_scan_determinismE0ES3_S9_PdNS6_17constant_iteratorIiNS6_11use_defaultESE_EENS6_10device_ptrIdEENSG_IlEEPmS8_NS6_8equal_toIdEEEE10hipError_tPvRmT2_T3_mT4_T5_T6_T7_T8_P12ihipStream_tbENKUlT_T0_E_clISt17integral_constantIbLb0EES12_IbLb1EEEEDaSY_SZ_EUlSY_E_NS1_11comp_targetILNS1_3genE10ELNS1_11target_archE1201ELNS1_3gpuE5ELNS1_3repE0EEENS1_30default_config_static_selectorELNS0_4arch9wavefront6targetE1EEEvT1_
    .private_segment_fixed_size: 0
    .sgpr_count:     4
    .sgpr_spill_count: 0
    .symbol:         _ZN7rocprim17ROCPRIM_400000_NS6detail17trampoline_kernelINS0_14default_configENS1_29reduce_by_key_config_selectorIdlN6thrust23THRUST_200600_302600_NS4plusIlEEEEZZNS1_33reduce_by_key_impl_wrapped_configILNS1_25lookback_scan_determinismE0ES3_S9_PdNS6_17constant_iteratorIiNS6_11use_defaultESE_EENS6_10device_ptrIdEENSG_IlEEPmS8_NS6_8equal_toIdEEEE10hipError_tPvRmT2_T3_mT4_T5_T6_T7_T8_P12ihipStream_tbENKUlT_T0_E_clISt17integral_constantIbLb0EES12_IbLb1EEEEDaSY_SZ_EUlSY_E_NS1_11comp_targetILNS1_3genE10ELNS1_11target_archE1201ELNS1_3gpuE5ELNS1_3repE0EEENS1_30default_config_static_selectorELNS0_4arch9wavefront6targetE1EEEvT1_.kd
    .uniform_work_group_size: 1
    .uses_dynamic_stack: false
    .vgpr_count:     0
    .vgpr_spill_count: 0
    .wavefront_size: 64
  - .agpr_count:     0
    .args:
      - .offset:         0
        .size:           144
        .value_kind:     by_value
    .group_segment_fixed_size: 0
    .kernarg_segment_align: 8
    .kernarg_segment_size: 144
    .language:       OpenCL C
    .language_version:
      - 2
      - 0
    .max_flat_workgroup_size: 256
    .name:           _ZN7rocprim17ROCPRIM_400000_NS6detail17trampoline_kernelINS0_14default_configENS1_29reduce_by_key_config_selectorIdlN6thrust23THRUST_200600_302600_NS4plusIlEEEEZZNS1_33reduce_by_key_impl_wrapped_configILNS1_25lookback_scan_determinismE0ES3_S9_PdNS6_17constant_iteratorIiNS6_11use_defaultESE_EENS6_10device_ptrIdEENSG_IlEEPmS8_NS6_8equal_toIdEEEE10hipError_tPvRmT2_T3_mT4_T5_T6_T7_T8_P12ihipStream_tbENKUlT_T0_E_clISt17integral_constantIbLb0EES12_IbLb1EEEEDaSY_SZ_EUlSY_E_NS1_11comp_targetILNS1_3genE10ELNS1_11target_archE1200ELNS1_3gpuE4ELNS1_3repE0EEENS1_30default_config_static_selectorELNS0_4arch9wavefront6targetE1EEEvT1_
    .private_segment_fixed_size: 0
    .sgpr_count:     4
    .sgpr_spill_count: 0
    .symbol:         _ZN7rocprim17ROCPRIM_400000_NS6detail17trampoline_kernelINS0_14default_configENS1_29reduce_by_key_config_selectorIdlN6thrust23THRUST_200600_302600_NS4plusIlEEEEZZNS1_33reduce_by_key_impl_wrapped_configILNS1_25lookback_scan_determinismE0ES3_S9_PdNS6_17constant_iteratorIiNS6_11use_defaultESE_EENS6_10device_ptrIdEENSG_IlEEPmS8_NS6_8equal_toIdEEEE10hipError_tPvRmT2_T3_mT4_T5_T6_T7_T8_P12ihipStream_tbENKUlT_T0_E_clISt17integral_constantIbLb0EES12_IbLb1EEEEDaSY_SZ_EUlSY_E_NS1_11comp_targetILNS1_3genE10ELNS1_11target_archE1200ELNS1_3gpuE4ELNS1_3repE0EEENS1_30default_config_static_selectorELNS0_4arch9wavefront6targetE1EEEvT1_.kd
    .uniform_work_group_size: 1
    .uses_dynamic_stack: false
    .vgpr_count:     0
    .vgpr_spill_count: 0
    .wavefront_size: 64
  - .agpr_count:     0
    .args:
      - .offset:         0
        .size:           144
        .value_kind:     by_value
    .group_segment_fixed_size: 0
    .kernarg_segment_align: 8
    .kernarg_segment_size: 144
    .language:       OpenCL C
    .language_version:
      - 2
      - 0
    .max_flat_workgroup_size: 256
    .name:           _ZN7rocprim17ROCPRIM_400000_NS6detail17trampoline_kernelINS0_14default_configENS1_29reduce_by_key_config_selectorIdlN6thrust23THRUST_200600_302600_NS4plusIlEEEEZZNS1_33reduce_by_key_impl_wrapped_configILNS1_25lookback_scan_determinismE0ES3_S9_PdNS6_17constant_iteratorIiNS6_11use_defaultESE_EENS6_10device_ptrIdEENSG_IlEEPmS8_NS6_8equal_toIdEEEE10hipError_tPvRmT2_T3_mT4_T5_T6_T7_T8_P12ihipStream_tbENKUlT_T0_E_clISt17integral_constantIbLb0EES12_IbLb1EEEEDaSY_SZ_EUlSY_E_NS1_11comp_targetILNS1_3genE9ELNS1_11target_archE1100ELNS1_3gpuE3ELNS1_3repE0EEENS1_30default_config_static_selectorELNS0_4arch9wavefront6targetE1EEEvT1_
    .private_segment_fixed_size: 0
    .sgpr_count:     4
    .sgpr_spill_count: 0
    .symbol:         _ZN7rocprim17ROCPRIM_400000_NS6detail17trampoline_kernelINS0_14default_configENS1_29reduce_by_key_config_selectorIdlN6thrust23THRUST_200600_302600_NS4plusIlEEEEZZNS1_33reduce_by_key_impl_wrapped_configILNS1_25lookback_scan_determinismE0ES3_S9_PdNS6_17constant_iteratorIiNS6_11use_defaultESE_EENS6_10device_ptrIdEENSG_IlEEPmS8_NS6_8equal_toIdEEEE10hipError_tPvRmT2_T3_mT4_T5_T6_T7_T8_P12ihipStream_tbENKUlT_T0_E_clISt17integral_constantIbLb0EES12_IbLb1EEEEDaSY_SZ_EUlSY_E_NS1_11comp_targetILNS1_3genE9ELNS1_11target_archE1100ELNS1_3gpuE3ELNS1_3repE0EEENS1_30default_config_static_selectorELNS0_4arch9wavefront6targetE1EEEvT1_.kd
    .uniform_work_group_size: 1
    .uses_dynamic_stack: false
    .vgpr_count:     0
    .vgpr_spill_count: 0
    .wavefront_size: 64
  - .agpr_count:     0
    .args:
      - .offset:         0
        .size:           144
        .value_kind:     by_value
    .group_segment_fixed_size: 0
    .kernarg_segment_align: 8
    .kernarg_segment_size: 144
    .language:       OpenCL C
    .language_version:
      - 2
      - 0
    .max_flat_workgroup_size: 256
    .name:           _ZN7rocprim17ROCPRIM_400000_NS6detail17trampoline_kernelINS0_14default_configENS1_29reduce_by_key_config_selectorIdlN6thrust23THRUST_200600_302600_NS4plusIlEEEEZZNS1_33reduce_by_key_impl_wrapped_configILNS1_25lookback_scan_determinismE0ES3_S9_PdNS6_17constant_iteratorIiNS6_11use_defaultESE_EENS6_10device_ptrIdEENSG_IlEEPmS8_NS6_8equal_toIdEEEE10hipError_tPvRmT2_T3_mT4_T5_T6_T7_T8_P12ihipStream_tbENKUlT_T0_E_clISt17integral_constantIbLb0EES12_IbLb1EEEEDaSY_SZ_EUlSY_E_NS1_11comp_targetILNS1_3genE8ELNS1_11target_archE1030ELNS1_3gpuE2ELNS1_3repE0EEENS1_30default_config_static_selectorELNS0_4arch9wavefront6targetE1EEEvT1_
    .private_segment_fixed_size: 0
    .sgpr_count:     4
    .sgpr_spill_count: 0
    .symbol:         _ZN7rocprim17ROCPRIM_400000_NS6detail17trampoline_kernelINS0_14default_configENS1_29reduce_by_key_config_selectorIdlN6thrust23THRUST_200600_302600_NS4plusIlEEEEZZNS1_33reduce_by_key_impl_wrapped_configILNS1_25lookback_scan_determinismE0ES3_S9_PdNS6_17constant_iteratorIiNS6_11use_defaultESE_EENS6_10device_ptrIdEENSG_IlEEPmS8_NS6_8equal_toIdEEEE10hipError_tPvRmT2_T3_mT4_T5_T6_T7_T8_P12ihipStream_tbENKUlT_T0_E_clISt17integral_constantIbLb0EES12_IbLb1EEEEDaSY_SZ_EUlSY_E_NS1_11comp_targetILNS1_3genE8ELNS1_11target_archE1030ELNS1_3gpuE2ELNS1_3repE0EEENS1_30default_config_static_selectorELNS0_4arch9wavefront6targetE1EEEvT1_.kd
    .uniform_work_group_size: 1
    .uses_dynamic_stack: false
    .vgpr_count:     0
    .vgpr_spill_count: 0
    .wavefront_size: 64
  - .agpr_count:     0
    .args:
      - .offset:         0
        .size:           96
        .value_kind:     by_value
    .group_segment_fixed_size: 0
    .kernarg_segment_align: 8
    .kernarg_segment_size: 96
    .language:       OpenCL C
    .language_version:
      - 2
      - 0
    .max_flat_workgroup_size: 128
    .name:           _ZN7rocprim17ROCPRIM_400000_NS6detail17trampoline_kernelINS0_14default_configENS1_22reduce_config_selectorIN6thrust23THRUST_200600_302600_NS5tupleIblNS6_9null_typeES8_S8_S8_S8_S8_S8_S8_EEEEZNS1_11reduce_implILb1ES3_NS6_12zip_iteratorINS7_INS6_11hip_rocprim26transform_input_iterator_tIbPdNS6_6detail10functional5actorINSH_9compositeIJNSH_27transparent_binary_operatorINS6_8equal_toIvEEEENSI_INSH_8argumentILj0EEEEENSH_5valueIdEEEEEEEEENSD_19counting_iterator_tIlEES8_S8_S8_S8_S8_S8_S8_S8_EEEEPS9_S9_NSD_9__find_if7functorIS9_EEEE10hipError_tPvRmT1_T2_T3_mT4_P12ihipStream_tbEUlT_E0_NS1_11comp_targetILNS1_3genE0ELNS1_11target_archE4294967295ELNS1_3gpuE0ELNS1_3repE0EEENS1_30default_config_static_selectorELNS0_4arch9wavefront6targetE1EEEvS17_
    .private_segment_fixed_size: 0
    .sgpr_count:     4
    .sgpr_spill_count: 0
    .symbol:         _ZN7rocprim17ROCPRIM_400000_NS6detail17trampoline_kernelINS0_14default_configENS1_22reduce_config_selectorIN6thrust23THRUST_200600_302600_NS5tupleIblNS6_9null_typeES8_S8_S8_S8_S8_S8_S8_EEEEZNS1_11reduce_implILb1ES3_NS6_12zip_iteratorINS7_INS6_11hip_rocprim26transform_input_iterator_tIbPdNS6_6detail10functional5actorINSH_9compositeIJNSH_27transparent_binary_operatorINS6_8equal_toIvEEEENSI_INSH_8argumentILj0EEEEENSH_5valueIdEEEEEEEEENSD_19counting_iterator_tIlEES8_S8_S8_S8_S8_S8_S8_S8_EEEEPS9_S9_NSD_9__find_if7functorIS9_EEEE10hipError_tPvRmT1_T2_T3_mT4_P12ihipStream_tbEUlT_E0_NS1_11comp_targetILNS1_3genE0ELNS1_11target_archE4294967295ELNS1_3gpuE0ELNS1_3repE0EEENS1_30default_config_static_selectorELNS0_4arch9wavefront6targetE1EEEvS17_.kd
    .uniform_work_group_size: 1
    .uses_dynamic_stack: false
    .vgpr_count:     0
    .vgpr_spill_count: 0
    .wavefront_size: 64
  - .agpr_count:     0
    .args:
      - .offset:         0
        .size:           96
        .value_kind:     by_value
    .group_segment_fixed_size: 0
    .kernarg_segment_align: 8
    .kernarg_segment_size: 96
    .language:       OpenCL C
    .language_version:
      - 2
      - 0
    .max_flat_workgroup_size: 256
    .name:           _ZN7rocprim17ROCPRIM_400000_NS6detail17trampoline_kernelINS0_14default_configENS1_22reduce_config_selectorIN6thrust23THRUST_200600_302600_NS5tupleIblNS6_9null_typeES8_S8_S8_S8_S8_S8_S8_EEEEZNS1_11reduce_implILb1ES3_NS6_12zip_iteratorINS7_INS6_11hip_rocprim26transform_input_iterator_tIbPdNS6_6detail10functional5actorINSH_9compositeIJNSH_27transparent_binary_operatorINS6_8equal_toIvEEEENSI_INSH_8argumentILj0EEEEENSH_5valueIdEEEEEEEEENSD_19counting_iterator_tIlEES8_S8_S8_S8_S8_S8_S8_S8_EEEEPS9_S9_NSD_9__find_if7functorIS9_EEEE10hipError_tPvRmT1_T2_T3_mT4_P12ihipStream_tbEUlT_E0_NS1_11comp_targetILNS1_3genE5ELNS1_11target_archE942ELNS1_3gpuE9ELNS1_3repE0EEENS1_30default_config_static_selectorELNS0_4arch9wavefront6targetE1EEEvS17_
    .private_segment_fixed_size: 0
    .sgpr_count:     4
    .sgpr_spill_count: 0
    .symbol:         _ZN7rocprim17ROCPRIM_400000_NS6detail17trampoline_kernelINS0_14default_configENS1_22reduce_config_selectorIN6thrust23THRUST_200600_302600_NS5tupleIblNS6_9null_typeES8_S8_S8_S8_S8_S8_S8_EEEEZNS1_11reduce_implILb1ES3_NS6_12zip_iteratorINS7_INS6_11hip_rocprim26transform_input_iterator_tIbPdNS6_6detail10functional5actorINSH_9compositeIJNSH_27transparent_binary_operatorINS6_8equal_toIvEEEENSI_INSH_8argumentILj0EEEEENSH_5valueIdEEEEEEEEENSD_19counting_iterator_tIlEES8_S8_S8_S8_S8_S8_S8_S8_EEEEPS9_S9_NSD_9__find_if7functorIS9_EEEE10hipError_tPvRmT1_T2_T3_mT4_P12ihipStream_tbEUlT_E0_NS1_11comp_targetILNS1_3genE5ELNS1_11target_archE942ELNS1_3gpuE9ELNS1_3repE0EEENS1_30default_config_static_selectorELNS0_4arch9wavefront6targetE1EEEvS17_.kd
    .uniform_work_group_size: 1
    .uses_dynamic_stack: false
    .vgpr_count:     0
    .vgpr_spill_count: 0
    .wavefront_size: 64
  - .agpr_count:     0
    .args:
      - .offset:         0
        .size:           96
        .value_kind:     by_value
    .group_segment_fixed_size: 128
    .kernarg_segment_align: 8
    .kernarg_segment_size: 96
    .language:       OpenCL C
    .language_version:
      - 2
      - 0
    .max_flat_workgroup_size: 256
    .name:           _ZN7rocprim17ROCPRIM_400000_NS6detail17trampoline_kernelINS0_14default_configENS1_22reduce_config_selectorIN6thrust23THRUST_200600_302600_NS5tupleIblNS6_9null_typeES8_S8_S8_S8_S8_S8_S8_EEEEZNS1_11reduce_implILb1ES3_NS6_12zip_iteratorINS7_INS6_11hip_rocprim26transform_input_iterator_tIbPdNS6_6detail10functional5actorINSH_9compositeIJNSH_27transparent_binary_operatorINS6_8equal_toIvEEEENSI_INSH_8argumentILj0EEEEENSH_5valueIdEEEEEEEEENSD_19counting_iterator_tIlEES8_S8_S8_S8_S8_S8_S8_S8_EEEEPS9_S9_NSD_9__find_if7functorIS9_EEEE10hipError_tPvRmT1_T2_T3_mT4_P12ihipStream_tbEUlT_E0_NS1_11comp_targetILNS1_3genE4ELNS1_11target_archE910ELNS1_3gpuE8ELNS1_3repE0EEENS1_30default_config_static_selectorELNS0_4arch9wavefront6targetE1EEEvS17_
    .private_segment_fixed_size: 0
    .sgpr_count:     30
    .sgpr_spill_count: 0
    .symbol:         _ZN7rocprim17ROCPRIM_400000_NS6detail17trampoline_kernelINS0_14default_configENS1_22reduce_config_selectorIN6thrust23THRUST_200600_302600_NS5tupleIblNS6_9null_typeES8_S8_S8_S8_S8_S8_S8_EEEEZNS1_11reduce_implILb1ES3_NS6_12zip_iteratorINS7_INS6_11hip_rocprim26transform_input_iterator_tIbPdNS6_6detail10functional5actorINSH_9compositeIJNSH_27transparent_binary_operatorINS6_8equal_toIvEEEENSI_INSH_8argumentILj0EEEEENSH_5valueIdEEEEEEEEENSD_19counting_iterator_tIlEES8_S8_S8_S8_S8_S8_S8_S8_EEEEPS9_S9_NSD_9__find_if7functorIS9_EEEE10hipError_tPvRmT1_T2_T3_mT4_P12ihipStream_tbEUlT_E0_NS1_11comp_targetILNS1_3genE4ELNS1_11target_archE910ELNS1_3gpuE8ELNS1_3repE0EEENS1_30default_config_static_selectorELNS0_4arch9wavefront6targetE1EEEvS17_.kd
    .uniform_work_group_size: 1
    .uses_dynamic_stack: false
    .vgpr_count:     12
    .vgpr_spill_count: 0
    .wavefront_size: 64
  - .agpr_count:     0
    .args:
      - .offset:         0
        .size:           96
        .value_kind:     by_value
    .group_segment_fixed_size: 0
    .kernarg_segment_align: 8
    .kernarg_segment_size: 96
    .language:       OpenCL C
    .language_version:
      - 2
      - 0
    .max_flat_workgroup_size: 128
    .name:           _ZN7rocprim17ROCPRIM_400000_NS6detail17trampoline_kernelINS0_14default_configENS1_22reduce_config_selectorIN6thrust23THRUST_200600_302600_NS5tupleIblNS6_9null_typeES8_S8_S8_S8_S8_S8_S8_EEEEZNS1_11reduce_implILb1ES3_NS6_12zip_iteratorINS7_INS6_11hip_rocprim26transform_input_iterator_tIbPdNS6_6detail10functional5actorINSH_9compositeIJNSH_27transparent_binary_operatorINS6_8equal_toIvEEEENSI_INSH_8argumentILj0EEEEENSH_5valueIdEEEEEEEEENSD_19counting_iterator_tIlEES8_S8_S8_S8_S8_S8_S8_S8_EEEEPS9_S9_NSD_9__find_if7functorIS9_EEEE10hipError_tPvRmT1_T2_T3_mT4_P12ihipStream_tbEUlT_E0_NS1_11comp_targetILNS1_3genE3ELNS1_11target_archE908ELNS1_3gpuE7ELNS1_3repE0EEENS1_30default_config_static_selectorELNS0_4arch9wavefront6targetE1EEEvS17_
    .private_segment_fixed_size: 0
    .sgpr_count:     4
    .sgpr_spill_count: 0
    .symbol:         _ZN7rocprim17ROCPRIM_400000_NS6detail17trampoline_kernelINS0_14default_configENS1_22reduce_config_selectorIN6thrust23THRUST_200600_302600_NS5tupleIblNS6_9null_typeES8_S8_S8_S8_S8_S8_S8_EEEEZNS1_11reduce_implILb1ES3_NS6_12zip_iteratorINS7_INS6_11hip_rocprim26transform_input_iterator_tIbPdNS6_6detail10functional5actorINSH_9compositeIJNSH_27transparent_binary_operatorINS6_8equal_toIvEEEENSI_INSH_8argumentILj0EEEEENSH_5valueIdEEEEEEEEENSD_19counting_iterator_tIlEES8_S8_S8_S8_S8_S8_S8_S8_EEEEPS9_S9_NSD_9__find_if7functorIS9_EEEE10hipError_tPvRmT1_T2_T3_mT4_P12ihipStream_tbEUlT_E0_NS1_11comp_targetILNS1_3genE3ELNS1_11target_archE908ELNS1_3gpuE7ELNS1_3repE0EEENS1_30default_config_static_selectorELNS0_4arch9wavefront6targetE1EEEvS17_.kd
    .uniform_work_group_size: 1
    .uses_dynamic_stack: false
    .vgpr_count:     0
    .vgpr_spill_count: 0
    .wavefront_size: 64
  - .agpr_count:     0
    .args:
      - .offset:         0
        .size:           96
        .value_kind:     by_value
    .group_segment_fixed_size: 0
    .kernarg_segment_align: 8
    .kernarg_segment_size: 96
    .language:       OpenCL C
    .language_version:
      - 2
      - 0
    .max_flat_workgroup_size: 128
    .name:           _ZN7rocprim17ROCPRIM_400000_NS6detail17trampoline_kernelINS0_14default_configENS1_22reduce_config_selectorIN6thrust23THRUST_200600_302600_NS5tupleIblNS6_9null_typeES8_S8_S8_S8_S8_S8_S8_EEEEZNS1_11reduce_implILb1ES3_NS6_12zip_iteratorINS7_INS6_11hip_rocprim26transform_input_iterator_tIbPdNS6_6detail10functional5actorINSH_9compositeIJNSH_27transparent_binary_operatorINS6_8equal_toIvEEEENSI_INSH_8argumentILj0EEEEENSH_5valueIdEEEEEEEEENSD_19counting_iterator_tIlEES8_S8_S8_S8_S8_S8_S8_S8_EEEEPS9_S9_NSD_9__find_if7functorIS9_EEEE10hipError_tPvRmT1_T2_T3_mT4_P12ihipStream_tbEUlT_E0_NS1_11comp_targetILNS1_3genE2ELNS1_11target_archE906ELNS1_3gpuE6ELNS1_3repE0EEENS1_30default_config_static_selectorELNS0_4arch9wavefront6targetE1EEEvS17_
    .private_segment_fixed_size: 0
    .sgpr_count:     4
    .sgpr_spill_count: 0
    .symbol:         _ZN7rocprim17ROCPRIM_400000_NS6detail17trampoline_kernelINS0_14default_configENS1_22reduce_config_selectorIN6thrust23THRUST_200600_302600_NS5tupleIblNS6_9null_typeES8_S8_S8_S8_S8_S8_S8_EEEEZNS1_11reduce_implILb1ES3_NS6_12zip_iteratorINS7_INS6_11hip_rocprim26transform_input_iterator_tIbPdNS6_6detail10functional5actorINSH_9compositeIJNSH_27transparent_binary_operatorINS6_8equal_toIvEEEENSI_INSH_8argumentILj0EEEEENSH_5valueIdEEEEEEEEENSD_19counting_iterator_tIlEES8_S8_S8_S8_S8_S8_S8_S8_EEEEPS9_S9_NSD_9__find_if7functorIS9_EEEE10hipError_tPvRmT1_T2_T3_mT4_P12ihipStream_tbEUlT_E0_NS1_11comp_targetILNS1_3genE2ELNS1_11target_archE906ELNS1_3gpuE6ELNS1_3repE0EEENS1_30default_config_static_selectorELNS0_4arch9wavefront6targetE1EEEvS17_.kd
    .uniform_work_group_size: 1
    .uses_dynamic_stack: false
    .vgpr_count:     0
    .vgpr_spill_count: 0
    .wavefront_size: 64
  - .agpr_count:     0
    .args:
      - .offset:         0
        .size:           96
        .value_kind:     by_value
    .group_segment_fixed_size: 0
    .kernarg_segment_align: 8
    .kernarg_segment_size: 96
    .language:       OpenCL C
    .language_version:
      - 2
      - 0
    .max_flat_workgroup_size: 256
    .name:           _ZN7rocprim17ROCPRIM_400000_NS6detail17trampoline_kernelINS0_14default_configENS1_22reduce_config_selectorIN6thrust23THRUST_200600_302600_NS5tupleIblNS6_9null_typeES8_S8_S8_S8_S8_S8_S8_EEEEZNS1_11reduce_implILb1ES3_NS6_12zip_iteratorINS7_INS6_11hip_rocprim26transform_input_iterator_tIbPdNS6_6detail10functional5actorINSH_9compositeIJNSH_27transparent_binary_operatorINS6_8equal_toIvEEEENSI_INSH_8argumentILj0EEEEENSH_5valueIdEEEEEEEEENSD_19counting_iterator_tIlEES8_S8_S8_S8_S8_S8_S8_S8_EEEEPS9_S9_NSD_9__find_if7functorIS9_EEEE10hipError_tPvRmT1_T2_T3_mT4_P12ihipStream_tbEUlT_E0_NS1_11comp_targetILNS1_3genE10ELNS1_11target_archE1201ELNS1_3gpuE5ELNS1_3repE0EEENS1_30default_config_static_selectorELNS0_4arch9wavefront6targetE1EEEvS17_
    .private_segment_fixed_size: 0
    .sgpr_count:     4
    .sgpr_spill_count: 0
    .symbol:         _ZN7rocprim17ROCPRIM_400000_NS6detail17trampoline_kernelINS0_14default_configENS1_22reduce_config_selectorIN6thrust23THRUST_200600_302600_NS5tupleIblNS6_9null_typeES8_S8_S8_S8_S8_S8_S8_EEEEZNS1_11reduce_implILb1ES3_NS6_12zip_iteratorINS7_INS6_11hip_rocprim26transform_input_iterator_tIbPdNS6_6detail10functional5actorINSH_9compositeIJNSH_27transparent_binary_operatorINS6_8equal_toIvEEEENSI_INSH_8argumentILj0EEEEENSH_5valueIdEEEEEEEEENSD_19counting_iterator_tIlEES8_S8_S8_S8_S8_S8_S8_S8_EEEEPS9_S9_NSD_9__find_if7functorIS9_EEEE10hipError_tPvRmT1_T2_T3_mT4_P12ihipStream_tbEUlT_E0_NS1_11comp_targetILNS1_3genE10ELNS1_11target_archE1201ELNS1_3gpuE5ELNS1_3repE0EEENS1_30default_config_static_selectorELNS0_4arch9wavefront6targetE1EEEvS17_.kd
    .uniform_work_group_size: 1
    .uses_dynamic_stack: false
    .vgpr_count:     0
    .vgpr_spill_count: 0
    .wavefront_size: 64
  - .agpr_count:     0
    .args:
      - .offset:         0
        .size:           96
        .value_kind:     by_value
    .group_segment_fixed_size: 0
    .kernarg_segment_align: 8
    .kernarg_segment_size: 96
    .language:       OpenCL C
    .language_version:
      - 2
      - 0
    .max_flat_workgroup_size: 256
    .name:           _ZN7rocprim17ROCPRIM_400000_NS6detail17trampoline_kernelINS0_14default_configENS1_22reduce_config_selectorIN6thrust23THRUST_200600_302600_NS5tupleIblNS6_9null_typeES8_S8_S8_S8_S8_S8_S8_EEEEZNS1_11reduce_implILb1ES3_NS6_12zip_iteratorINS7_INS6_11hip_rocprim26transform_input_iterator_tIbPdNS6_6detail10functional5actorINSH_9compositeIJNSH_27transparent_binary_operatorINS6_8equal_toIvEEEENSI_INSH_8argumentILj0EEEEENSH_5valueIdEEEEEEEEENSD_19counting_iterator_tIlEES8_S8_S8_S8_S8_S8_S8_S8_EEEEPS9_S9_NSD_9__find_if7functorIS9_EEEE10hipError_tPvRmT1_T2_T3_mT4_P12ihipStream_tbEUlT_E0_NS1_11comp_targetILNS1_3genE10ELNS1_11target_archE1200ELNS1_3gpuE4ELNS1_3repE0EEENS1_30default_config_static_selectorELNS0_4arch9wavefront6targetE1EEEvS17_
    .private_segment_fixed_size: 0
    .sgpr_count:     4
    .sgpr_spill_count: 0
    .symbol:         _ZN7rocprim17ROCPRIM_400000_NS6detail17trampoline_kernelINS0_14default_configENS1_22reduce_config_selectorIN6thrust23THRUST_200600_302600_NS5tupleIblNS6_9null_typeES8_S8_S8_S8_S8_S8_S8_EEEEZNS1_11reduce_implILb1ES3_NS6_12zip_iteratorINS7_INS6_11hip_rocprim26transform_input_iterator_tIbPdNS6_6detail10functional5actorINSH_9compositeIJNSH_27transparent_binary_operatorINS6_8equal_toIvEEEENSI_INSH_8argumentILj0EEEEENSH_5valueIdEEEEEEEEENSD_19counting_iterator_tIlEES8_S8_S8_S8_S8_S8_S8_S8_EEEEPS9_S9_NSD_9__find_if7functorIS9_EEEE10hipError_tPvRmT1_T2_T3_mT4_P12ihipStream_tbEUlT_E0_NS1_11comp_targetILNS1_3genE10ELNS1_11target_archE1200ELNS1_3gpuE4ELNS1_3repE0EEENS1_30default_config_static_selectorELNS0_4arch9wavefront6targetE1EEEvS17_.kd
    .uniform_work_group_size: 1
    .uses_dynamic_stack: false
    .vgpr_count:     0
    .vgpr_spill_count: 0
    .wavefront_size: 64
  - .agpr_count:     0
    .args:
      - .offset:         0
        .size:           96
        .value_kind:     by_value
    .group_segment_fixed_size: 0
    .kernarg_segment_align: 8
    .kernarg_segment_size: 96
    .language:       OpenCL C
    .language_version:
      - 2
      - 0
    .max_flat_workgroup_size: 256
    .name:           _ZN7rocprim17ROCPRIM_400000_NS6detail17trampoline_kernelINS0_14default_configENS1_22reduce_config_selectorIN6thrust23THRUST_200600_302600_NS5tupleIblNS6_9null_typeES8_S8_S8_S8_S8_S8_S8_EEEEZNS1_11reduce_implILb1ES3_NS6_12zip_iteratorINS7_INS6_11hip_rocprim26transform_input_iterator_tIbPdNS6_6detail10functional5actorINSH_9compositeIJNSH_27transparent_binary_operatorINS6_8equal_toIvEEEENSI_INSH_8argumentILj0EEEEENSH_5valueIdEEEEEEEEENSD_19counting_iterator_tIlEES8_S8_S8_S8_S8_S8_S8_S8_EEEEPS9_S9_NSD_9__find_if7functorIS9_EEEE10hipError_tPvRmT1_T2_T3_mT4_P12ihipStream_tbEUlT_E0_NS1_11comp_targetILNS1_3genE9ELNS1_11target_archE1100ELNS1_3gpuE3ELNS1_3repE0EEENS1_30default_config_static_selectorELNS0_4arch9wavefront6targetE1EEEvS17_
    .private_segment_fixed_size: 0
    .sgpr_count:     4
    .sgpr_spill_count: 0
    .symbol:         _ZN7rocprim17ROCPRIM_400000_NS6detail17trampoline_kernelINS0_14default_configENS1_22reduce_config_selectorIN6thrust23THRUST_200600_302600_NS5tupleIblNS6_9null_typeES8_S8_S8_S8_S8_S8_S8_EEEEZNS1_11reduce_implILb1ES3_NS6_12zip_iteratorINS7_INS6_11hip_rocprim26transform_input_iterator_tIbPdNS6_6detail10functional5actorINSH_9compositeIJNSH_27transparent_binary_operatorINS6_8equal_toIvEEEENSI_INSH_8argumentILj0EEEEENSH_5valueIdEEEEEEEEENSD_19counting_iterator_tIlEES8_S8_S8_S8_S8_S8_S8_S8_EEEEPS9_S9_NSD_9__find_if7functorIS9_EEEE10hipError_tPvRmT1_T2_T3_mT4_P12ihipStream_tbEUlT_E0_NS1_11comp_targetILNS1_3genE9ELNS1_11target_archE1100ELNS1_3gpuE3ELNS1_3repE0EEENS1_30default_config_static_selectorELNS0_4arch9wavefront6targetE1EEEvS17_.kd
    .uniform_work_group_size: 1
    .uses_dynamic_stack: false
    .vgpr_count:     0
    .vgpr_spill_count: 0
    .wavefront_size: 64
  - .agpr_count:     0
    .args:
      - .offset:         0
        .size:           96
        .value_kind:     by_value
    .group_segment_fixed_size: 0
    .kernarg_segment_align: 8
    .kernarg_segment_size: 96
    .language:       OpenCL C
    .language_version:
      - 2
      - 0
    .max_flat_workgroup_size: 256
    .name:           _ZN7rocprim17ROCPRIM_400000_NS6detail17trampoline_kernelINS0_14default_configENS1_22reduce_config_selectorIN6thrust23THRUST_200600_302600_NS5tupleIblNS6_9null_typeES8_S8_S8_S8_S8_S8_S8_EEEEZNS1_11reduce_implILb1ES3_NS6_12zip_iteratorINS7_INS6_11hip_rocprim26transform_input_iterator_tIbPdNS6_6detail10functional5actorINSH_9compositeIJNSH_27transparent_binary_operatorINS6_8equal_toIvEEEENSI_INSH_8argumentILj0EEEEENSH_5valueIdEEEEEEEEENSD_19counting_iterator_tIlEES8_S8_S8_S8_S8_S8_S8_S8_EEEEPS9_S9_NSD_9__find_if7functorIS9_EEEE10hipError_tPvRmT1_T2_T3_mT4_P12ihipStream_tbEUlT_E0_NS1_11comp_targetILNS1_3genE8ELNS1_11target_archE1030ELNS1_3gpuE2ELNS1_3repE0EEENS1_30default_config_static_selectorELNS0_4arch9wavefront6targetE1EEEvS17_
    .private_segment_fixed_size: 0
    .sgpr_count:     4
    .sgpr_spill_count: 0
    .symbol:         _ZN7rocprim17ROCPRIM_400000_NS6detail17trampoline_kernelINS0_14default_configENS1_22reduce_config_selectorIN6thrust23THRUST_200600_302600_NS5tupleIblNS6_9null_typeES8_S8_S8_S8_S8_S8_S8_EEEEZNS1_11reduce_implILb1ES3_NS6_12zip_iteratorINS7_INS6_11hip_rocprim26transform_input_iterator_tIbPdNS6_6detail10functional5actorINSH_9compositeIJNSH_27transparent_binary_operatorINS6_8equal_toIvEEEENSI_INSH_8argumentILj0EEEEENSH_5valueIdEEEEEEEEENSD_19counting_iterator_tIlEES8_S8_S8_S8_S8_S8_S8_S8_EEEEPS9_S9_NSD_9__find_if7functorIS9_EEEE10hipError_tPvRmT1_T2_T3_mT4_P12ihipStream_tbEUlT_E0_NS1_11comp_targetILNS1_3genE8ELNS1_11target_archE1030ELNS1_3gpuE2ELNS1_3repE0EEENS1_30default_config_static_selectorELNS0_4arch9wavefront6targetE1EEEvS17_.kd
    .uniform_work_group_size: 1
    .uses_dynamic_stack: false
    .vgpr_count:     0
    .vgpr_spill_count: 0
    .wavefront_size: 64
  - .agpr_count:     0
    .args:
      - .offset:         0
        .size:           80
        .value_kind:     by_value
    .group_segment_fixed_size: 0
    .kernarg_segment_align: 8
    .kernarg_segment_size: 80
    .language:       OpenCL C
    .language_version:
      - 2
      - 0
    .max_flat_workgroup_size: 128
    .name:           _ZN7rocprim17ROCPRIM_400000_NS6detail17trampoline_kernelINS0_14default_configENS1_22reduce_config_selectorIN6thrust23THRUST_200600_302600_NS5tupleIblNS6_9null_typeES8_S8_S8_S8_S8_S8_S8_EEEEZNS1_11reduce_implILb1ES3_NS6_12zip_iteratorINS7_INS6_11hip_rocprim26transform_input_iterator_tIbPdNS6_6detail10functional5actorINSH_9compositeIJNSH_27transparent_binary_operatorINS6_8equal_toIvEEEENSI_INSH_8argumentILj0EEEEENSH_5valueIdEEEEEEEEENSD_19counting_iterator_tIlEES8_S8_S8_S8_S8_S8_S8_S8_EEEEPS9_S9_NSD_9__find_if7functorIS9_EEEE10hipError_tPvRmT1_T2_T3_mT4_P12ihipStream_tbEUlT_E1_NS1_11comp_targetILNS1_3genE0ELNS1_11target_archE4294967295ELNS1_3gpuE0ELNS1_3repE0EEENS1_30default_config_static_selectorELNS0_4arch9wavefront6targetE1EEEvS17_
    .private_segment_fixed_size: 0
    .sgpr_count:     4
    .sgpr_spill_count: 0
    .symbol:         _ZN7rocprim17ROCPRIM_400000_NS6detail17trampoline_kernelINS0_14default_configENS1_22reduce_config_selectorIN6thrust23THRUST_200600_302600_NS5tupleIblNS6_9null_typeES8_S8_S8_S8_S8_S8_S8_EEEEZNS1_11reduce_implILb1ES3_NS6_12zip_iteratorINS7_INS6_11hip_rocprim26transform_input_iterator_tIbPdNS6_6detail10functional5actorINSH_9compositeIJNSH_27transparent_binary_operatorINS6_8equal_toIvEEEENSI_INSH_8argumentILj0EEEEENSH_5valueIdEEEEEEEEENSD_19counting_iterator_tIlEES8_S8_S8_S8_S8_S8_S8_S8_EEEEPS9_S9_NSD_9__find_if7functorIS9_EEEE10hipError_tPvRmT1_T2_T3_mT4_P12ihipStream_tbEUlT_E1_NS1_11comp_targetILNS1_3genE0ELNS1_11target_archE4294967295ELNS1_3gpuE0ELNS1_3repE0EEENS1_30default_config_static_selectorELNS0_4arch9wavefront6targetE1EEEvS17_.kd
    .uniform_work_group_size: 1
    .uses_dynamic_stack: false
    .vgpr_count:     0
    .vgpr_spill_count: 0
    .wavefront_size: 64
  - .agpr_count:     0
    .args:
      - .offset:         0
        .size:           80
        .value_kind:     by_value
    .group_segment_fixed_size: 0
    .kernarg_segment_align: 8
    .kernarg_segment_size: 80
    .language:       OpenCL C
    .language_version:
      - 2
      - 0
    .max_flat_workgroup_size: 256
    .name:           _ZN7rocprim17ROCPRIM_400000_NS6detail17trampoline_kernelINS0_14default_configENS1_22reduce_config_selectorIN6thrust23THRUST_200600_302600_NS5tupleIblNS6_9null_typeES8_S8_S8_S8_S8_S8_S8_EEEEZNS1_11reduce_implILb1ES3_NS6_12zip_iteratorINS7_INS6_11hip_rocprim26transform_input_iterator_tIbPdNS6_6detail10functional5actorINSH_9compositeIJNSH_27transparent_binary_operatorINS6_8equal_toIvEEEENSI_INSH_8argumentILj0EEEEENSH_5valueIdEEEEEEEEENSD_19counting_iterator_tIlEES8_S8_S8_S8_S8_S8_S8_S8_EEEEPS9_S9_NSD_9__find_if7functorIS9_EEEE10hipError_tPvRmT1_T2_T3_mT4_P12ihipStream_tbEUlT_E1_NS1_11comp_targetILNS1_3genE5ELNS1_11target_archE942ELNS1_3gpuE9ELNS1_3repE0EEENS1_30default_config_static_selectorELNS0_4arch9wavefront6targetE1EEEvS17_
    .private_segment_fixed_size: 0
    .sgpr_count:     4
    .sgpr_spill_count: 0
    .symbol:         _ZN7rocprim17ROCPRIM_400000_NS6detail17trampoline_kernelINS0_14default_configENS1_22reduce_config_selectorIN6thrust23THRUST_200600_302600_NS5tupleIblNS6_9null_typeES8_S8_S8_S8_S8_S8_S8_EEEEZNS1_11reduce_implILb1ES3_NS6_12zip_iteratorINS7_INS6_11hip_rocprim26transform_input_iterator_tIbPdNS6_6detail10functional5actorINSH_9compositeIJNSH_27transparent_binary_operatorINS6_8equal_toIvEEEENSI_INSH_8argumentILj0EEEEENSH_5valueIdEEEEEEEEENSD_19counting_iterator_tIlEES8_S8_S8_S8_S8_S8_S8_S8_EEEEPS9_S9_NSD_9__find_if7functorIS9_EEEE10hipError_tPvRmT1_T2_T3_mT4_P12ihipStream_tbEUlT_E1_NS1_11comp_targetILNS1_3genE5ELNS1_11target_archE942ELNS1_3gpuE9ELNS1_3repE0EEENS1_30default_config_static_selectorELNS0_4arch9wavefront6targetE1EEEvS17_.kd
    .uniform_work_group_size: 1
    .uses_dynamic_stack: false
    .vgpr_count:     0
    .vgpr_spill_count: 0
    .wavefront_size: 64
  - .agpr_count:     0
    .args:
      - .offset:         0
        .size:           80
        .value_kind:     by_value
    .group_segment_fixed_size: 320
    .kernarg_segment_align: 8
    .kernarg_segment_size: 80
    .language:       OpenCL C
    .language_version:
      - 2
      - 0
    .max_flat_workgroup_size: 256
    .name:           _ZN7rocprim17ROCPRIM_400000_NS6detail17trampoline_kernelINS0_14default_configENS1_22reduce_config_selectorIN6thrust23THRUST_200600_302600_NS5tupleIblNS6_9null_typeES8_S8_S8_S8_S8_S8_S8_EEEEZNS1_11reduce_implILb1ES3_NS6_12zip_iteratorINS7_INS6_11hip_rocprim26transform_input_iterator_tIbPdNS6_6detail10functional5actorINSH_9compositeIJNSH_27transparent_binary_operatorINS6_8equal_toIvEEEENSI_INSH_8argumentILj0EEEEENSH_5valueIdEEEEEEEEENSD_19counting_iterator_tIlEES8_S8_S8_S8_S8_S8_S8_S8_EEEEPS9_S9_NSD_9__find_if7functorIS9_EEEE10hipError_tPvRmT1_T2_T3_mT4_P12ihipStream_tbEUlT_E1_NS1_11comp_targetILNS1_3genE4ELNS1_11target_archE910ELNS1_3gpuE8ELNS1_3repE0EEENS1_30default_config_static_selectorELNS0_4arch9wavefront6targetE1EEEvS17_
    .private_segment_fixed_size: 0
    .sgpr_count:     42
    .sgpr_spill_count: 0
    .symbol:         _ZN7rocprim17ROCPRIM_400000_NS6detail17trampoline_kernelINS0_14default_configENS1_22reduce_config_selectorIN6thrust23THRUST_200600_302600_NS5tupleIblNS6_9null_typeES8_S8_S8_S8_S8_S8_S8_EEEEZNS1_11reduce_implILb1ES3_NS6_12zip_iteratorINS7_INS6_11hip_rocprim26transform_input_iterator_tIbPdNS6_6detail10functional5actorINSH_9compositeIJNSH_27transparent_binary_operatorINS6_8equal_toIvEEEENSI_INSH_8argumentILj0EEEEENSH_5valueIdEEEEEEEEENSD_19counting_iterator_tIlEES8_S8_S8_S8_S8_S8_S8_S8_EEEEPS9_S9_NSD_9__find_if7functorIS9_EEEE10hipError_tPvRmT1_T2_T3_mT4_P12ihipStream_tbEUlT_E1_NS1_11comp_targetILNS1_3genE4ELNS1_11target_archE910ELNS1_3gpuE8ELNS1_3repE0EEENS1_30default_config_static_selectorELNS0_4arch9wavefront6targetE1EEEvS17_.kd
    .uniform_work_group_size: 1
    .uses_dynamic_stack: false
    .vgpr_count:     28
    .vgpr_spill_count: 0
    .wavefront_size: 64
  - .agpr_count:     0
    .args:
      - .offset:         0
        .size:           80
        .value_kind:     by_value
    .group_segment_fixed_size: 0
    .kernarg_segment_align: 8
    .kernarg_segment_size: 80
    .language:       OpenCL C
    .language_version:
      - 2
      - 0
    .max_flat_workgroup_size: 128
    .name:           _ZN7rocprim17ROCPRIM_400000_NS6detail17trampoline_kernelINS0_14default_configENS1_22reduce_config_selectorIN6thrust23THRUST_200600_302600_NS5tupleIblNS6_9null_typeES8_S8_S8_S8_S8_S8_S8_EEEEZNS1_11reduce_implILb1ES3_NS6_12zip_iteratorINS7_INS6_11hip_rocprim26transform_input_iterator_tIbPdNS6_6detail10functional5actorINSH_9compositeIJNSH_27transparent_binary_operatorINS6_8equal_toIvEEEENSI_INSH_8argumentILj0EEEEENSH_5valueIdEEEEEEEEENSD_19counting_iterator_tIlEES8_S8_S8_S8_S8_S8_S8_S8_EEEEPS9_S9_NSD_9__find_if7functorIS9_EEEE10hipError_tPvRmT1_T2_T3_mT4_P12ihipStream_tbEUlT_E1_NS1_11comp_targetILNS1_3genE3ELNS1_11target_archE908ELNS1_3gpuE7ELNS1_3repE0EEENS1_30default_config_static_selectorELNS0_4arch9wavefront6targetE1EEEvS17_
    .private_segment_fixed_size: 0
    .sgpr_count:     4
    .sgpr_spill_count: 0
    .symbol:         _ZN7rocprim17ROCPRIM_400000_NS6detail17trampoline_kernelINS0_14default_configENS1_22reduce_config_selectorIN6thrust23THRUST_200600_302600_NS5tupleIblNS6_9null_typeES8_S8_S8_S8_S8_S8_S8_EEEEZNS1_11reduce_implILb1ES3_NS6_12zip_iteratorINS7_INS6_11hip_rocprim26transform_input_iterator_tIbPdNS6_6detail10functional5actorINSH_9compositeIJNSH_27transparent_binary_operatorINS6_8equal_toIvEEEENSI_INSH_8argumentILj0EEEEENSH_5valueIdEEEEEEEEENSD_19counting_iterator_tIlEES8_S8_S8_S8_S8_S8_S8_S8_EEEEPS9_S9_NSD_9__find_if7functorIS9_EEEE10hipError_tPvRmT1_T2_T3_mT4_P12ihipStream_tbEUlT_E1_NS1_11comp_targetILNS1_3genE3ELNS1_11target_archE908ELNS1_3gpuE7ELNS1_3repE0EEENS1_30default_config_static_selectorELNS0_4arch9wavefront6targetE1EEEvS17_.kd
    .uniform_work_group_size: 1
    .uses_dynamic_stack: false
    .vgpr_count:     0
    .vgpr_spill_count: 0
    .wavefront_size: 64
  - .agpr_count:     0
    .args:
      - .offset:         0
        .size:           80
        .value_kind:     by_value
    .group_segment_fixed_size: 0
    .kernarg_segment_align: 8
    .kernarg_segment_size: 80
    .language:       OpenCL C
    .language_version:
      - 2
      - 0
    .max_flat_workgroup_size: 128
    .name:           _ZN7rocprim17ROCPRIM_400000_NS6detail17trampoline_kernelINS0_14default_configENS1_22reduce_config_selectorIN6thrust23THRUST_200600_302600_NS5tupleIblNS6_9null_typeES8_S8_S8_S8_S8_S8_S8_EEEEZNS1_11reduce_implILb1ES3_NS6_12zip_iteratorINS7_INS6_11hip_rocprim26transform_input_iterator_tIbPdNS6_6detail10functional5actorINSH_9compositeIJNSH_27transparent_binary_operatorINS6_8equal_toIvEEEENSI_INSH_8argumentILj0EEEEENSH_5valueIdEEEEEEEEENSD_19counting_iterator_tIlEES8_S8_S8_S8_S8_S8_S8_S8_EEEEPS9_S9_NSD_9__find_if7functorIS9_EEEE10hipError_tPvRmT1_T2_T3_mT4_P12ihipStream_tbEUlT_E1_NS1_11comp_targetILNS1_3genE2ELNS1_11target_archE906ELNS1_3gpuE6ELNS1_3repE0EEENS1_30default_config_static_selectorELNS0_4arch9wavefront6targetE1EEEvS17_
    .private_segment_fixed_size: 0
    .sgpr_count:     4
    .sgpr_spill_count: 0
    .symbol:         _ZN7rocprim17ROCPRIM_400000_NS6detail17trampoline_kernelINS0_14default_configENS1_22reduce_config_selectorIN6thrust23THRUST_200600_302600_NS5tupleIblNS6_9null_typeES8_S8_S8_S8_S8_S8_S8_EEEEZNS1_11reduce_implILb1ES3_NS6_12zip_iteratorINS7_INS6_11hip_rocprim26transform_input_iterator_tIbPdNS6_6detail10functional5actorINSH_9compositeIJNSH_27transparent_binary_operatorINS6_8equal_toIvEEEENSI_INSH_8argumentILj0EEEEENSH_5valueIdEEEEEEEEENSD_19counting_iterator_tIlEES8_S8_S8_S8_S8_S8_S8_S8_EEEEPS9_S9_NSD_9__find_if7functorIS9_EEEE10hipError_tPvRmT1_T2_T3_mT4_P12ihipStream_tbEUlT_E1_NS1_11comp_targetILNS1_3genE2ELNS1_11target_archE906ELNS1_3gpuE6ELNS1_3repE0EEENS1_30default_config_static_selectorELNS0_4arch9wavefront6targetE1EEEvS17_.kd
    .uniform_work_group_size: 1
    .uses_dynamic_stack: false
    .vgpr_count:     0
    .vgpr_spill_count: 0
    .wavefront_size: 64
  - .agpr_count:     0
    .args:
      - .offset:         0
        .size:           80
        .value_kind:     by_value
    .group_segment_fixed_size: 0
    .kernarg_segment_align: 8
    .kernarg_segment_size: 80
    .language:       OpenCL C
    .language_version:
      - 2
      - 0
    .max_flat_workgroup_size: 256
    .name:           _ZN7rocprim17ROCPRIM_400000_NS6detail17trampoline_kernelINS0_14default_configENS1_22reduce_config_selectorIN6thrust23THRUST_200600_302600_NS5tupleIblNS6_9null_typeES8_S8_S8_S8_S8_S8_S8_EEEEZNS1_11reduce_implILb1ES3_NS6_12zip_iteratorINS7_INS6_11hip_rocprim26transform_input_iterator_tIbPdNS6_6detail10functional5actorINSH_9compositeIJNSH_27transparent_binary_operatorINS6_8equal_toIvEEEENSI_INSH_8argumentILj0EEEEENSH_5valueIdEEEEEEEEENSD_19counting_iterator_tIlEES8_S8_S8_S8_S8_S8_S8_S8_EEEEPS9_S9_NSD_9__find_if7functorIS9_EEEE10hipError_tPvRmT1_T2_T3_mT4_P12ihipStream_tbEUlT_E1_NS1_11comp_targetILNS1_3genE10ELNS1_11target_archE1201ELNS1_3gpuE5ELNS1_3repE0EEENS1_30default_config_static_selectorELNS0_4arch9wavefront6targetE1EEEvS17_
    .private_segment_fixed_size: 0
    .sgpr_count:     4
    .sgpr_spill_count: 0
    .symbol:         _ZN7rocprim17ROCPRIM_400000_NS6detail17trampoline_kernelINS0_14default_configENS1_22reduce_config_selectorIN6thrust23THRUST_200600_302600_NS5tupleIblNS6_9null_typeES8_S8_S8_S8_S8_S8_S8_EEEEZNS1_11reduce_implILb1ES3_NS6_12zip_iteratorINS7_INS6_11hip_rocprim26transform_input_iterator_tIbPdNS6_6detail10functional5actorINSH_9compositeIJNSH_27transparent_binary_operatorINS6_8equal_toIvEEEENSI_INSH_8argumentILj0EEEEENSH_5valueIdEEEEEEEEENSD_19counting_iterator_tIlEES8_S8_S8_S8_S8_S8_S8_S8_EEEEPS9_S9_NSD_9__find_if7functorIS9_EEEE10hipError_tPvRmT1_T2_T3_mT4_P12ihipStream_tbEUlT_E1_NS1_11comp_targetILNS1_3genE10ELNS1_11target_archE1201ELNS1_3gpuE5ELNS1_3repE0EEENS1_30default_config_static_selectorELNS0_4arch9wavefront6targetE1EEEvS17_.kd
    .uniform_work_group_size: 1
    .uses_dynamic_stack: false
    .vgpr_count:     0
    .vgpr_spill_count: 0
    .wavefront_size: 64
  - .agpr_count:     0
    .args:
      - .offset:         0
        .size:           80
        .value_kind:     by_value
    .group_segment_fixed_size: 0
    .kernarg_segment_align: 8
    .kernarg_segment_size: 80
    .language:       OpenCL C
    .language_version:
      - 2
      - 0
    .max_flat_workgroup_size: 256
    .name:           _ZN7rocprim17ROCPRIM_400000_NS6detail17trampoline_kernelINS0_14default_configENS1_22reduce_config_selectorIN6thrust23THRUST_200600_302600_NS5tupleIblNS6_9null_typeES8_S8_S8_S8_S8_S8_S8_EEEEZNS1_11reduce_implILb1ES3_NS6_12zip_iteratorINS7_INS6_11hip_rocprim26transform_input_iterator_tIbPdNS6_6detail10functional5actorINSH_9compositeIJNSH_27transparent_binary_operatorINS6_8equal_toIvEEEENSI_INSH_8argumentILj0EEEEENSH_5valueIdEEEEEEEEENSD_19counting_iterator_tIlEES8_S8_S8_S8_S8_S8_S8_S8_EEEEPS9_S9_NSD_9__find_if7functorIS9_EEEE10hipError_tPvRmT1_T2_T3_mT4_P12ihipStream_tbEUlT_E1_NS1_11comp_targetILNS1_3genE10ELNS1_11target_archE1200ELNS1_3gpuE4ELNS1_3repE0EEENS1_30default_config_static_selectorELNS0_4arch9wavefront6targetE1EEEvS17_
    .private_segment_fixed_size: 0
    .sgpr_count:     4
    .sgpr_spill_count: 0
    .symbol:         _ZN7rocprim17ROCPRIM_400000_NS6detail17trampoline_kernelINS0_14default_configENS1_22reduce_config_selectorIN6thrust23THRUST_200600_302600_NS5tupleIblNS6_9null_typeES8_S8_S8_S8_S8_S8_S8_EEEEZNS1_11reduce_implILb1ES3_NS6_12zip_iteratorINS7_INS6_11hip_rocprim26transform_input_iterator_tIbPdNS6_6detail10functional5actorINSH_9compositeIJNSH_27transparent_binary_operatorINS6_8equal_toIvEEEENSI_INSH_8argumentILj0EEEEENSH_5valueIdEEEEEEEEENSD_19counting_iterator_tIlEES8_S8_S8_S8_S8_S8_S8_S8_EEEEPS9_S9_NSD_9__find_if7functorIS9_EEEE10hipError_tPvRmT1_T2_T3_mT4_P12ihipStream_tbEUlT_E1_NS1_11comp_targetILNS1_3genE10ELNS1_11target_archE1200ELNS1_3gpuE4ELNS1_3repE0EEENS1_30default_config_static_selectorELNS0_4arch9wavefront6targetE1EEEvS17_.kd
    .uniform_work_group_size: 1
    .uses_dynamic_stack: false
    .vgpr_count:     0
    .vgpr_spill_count: 0
    .wavefront_size: 64
  - .agpr_count:     0
    .args:
      - .offset:         0
        .size:           80
        .value_kind:     by_value
    .group_segment_fixed_size: 0
    .kernarg_segment_align: 8
    .kernarg_segment_size: 80
    .language:       OpenCL C
    .language_version:
      - 2
      - 0
    .max_flat_workgroup_size: 256
    .name:           _ZN7rocprim17ROCPRIM_400000_NS6detail17trampoline_kernelINS0_14default_configENS1_22reduce_config_selectorIN6thrust23THRUST_200600_302600_NS5tupleIblNS6_9null_typeES8_S8_S8_S8_S8_S8_S8_EEEEZNS1_11reduce_implILb1ES3_NS6_12zip_iteratorINS7_INS6_11hip_rocprim26transform_input_iterator_tIbPdNS6_6detail10functional5actorINSH_9compositeIJNSH_27transparent_binary_operatorINS6_8equal_toIvEEEENSI_INSH_8argumentILj0EEEEENSH_5valueIdEEEEEEEEENSD_19counting_iterator_tIlEES8_S8_S8_S8_S8_S8_S8_S8_EEEEPS9_S9_NSD_9__find_if7functorIS9_EEEE10hipError_tPvRmT1_T2_T3_mT4_P12ihipStream_tbEUlT_E1_NS1_11comp_targetILNS1_3genE9ELNS1_11target_archE1100ELNS1_3gpuE3ELNS1_3repE0EEENS1_30default_config_static_selectorELNS0_4arch9wavefront6targetE1EEEvS17_
    .private_segment_fixed_size: 0
    .sgpr_count:     4
    .sgpr_spill_count: 0
    .symbol:         _ZN7rocprim17ROCPRIM_400000_NS6detail17trampoline_kernelINS0_14default_configENS1_22reduce_config_selectorIN6thrust23THRUST_200600_302600_NS5tupleIblNS6_9null_typeES8_S8_S8_S8_S8_S8_S8_EEEEZNS1_11reduce_implILb1ES3_NS6_12zip_iteratorINS7_INS6_11hip_rocprim26transform_input_iterator_tIbPdNS6_6detail10functional5actorINSH_9compositeIJNSH_27transparent_binary_operatorINS6_8equal_toIvEEEENSI_INSH_8argumentILj0EEEEENSH_5valueIdEEEEEEEEENSD_19counting_iterator_tIlEES8_S8_S8_S8_S8_S8_S8_S8_EEEEPS9_S9_NSD_9__find_if7functorIS9_EEEE10hipError_tPvRmT1_T2_T3_mT4_P12ihipStream_tbEUlT_E1_NS1_11comp_targetILNS1_3genE9ELNS1_11target_archE1100ELNS1_3gpuE3ELNS1_3repE0EEENS1_30default_config_static_selectorELNS0_4arch9wavefront6targetE1EEEvS17_.kd
    .uniform_work_group_size: 1
    .uses_dynamic_stack: false
    .vgpr_count:     0
    .vgpr_spill_count: 0
    .wavefront_size: 64
  - .agpr_count:     0
    .args:
      - .offset:         0
        .size:           80
        .value_kind:     by_value
    .group_segment_fixed_size: 0
    .kernarg_segment_align: 8
    .kernarg_segment_size: 80
    .language:       OpenCL C
    .language_version:
      - 2
      - 0
    .max_flat_workgroup_size: 256
    .name:           _ZN7rocprim17ROCPRIM_400000_NS6detail17trampoline_kernelINS0_14default_configENS1_22reduce_config_selectorIN6thrust23THRUST_200600_302600_NS5tupleIblNS6_9null_typeES8_S8_S8_S8_S8_S8_S8_EEEEZNS1_11reduce_implILb1ES3_NS6_12zip_iteratorINS7_INS6_11hip_rocprim26transform_input_iterator_tIbPdNS6_6detail10functional5actorINSH_9compositeIJNSH_27transparent_binary_operatorINS6_8equal_toIvEEEENSI_INSH_8argumentILj0EEEEENSH_5valueIdEEEEEEEEENSD_19counting_iterator_tIlEES8_S8_S8_S8_S8_S8_S8_S8_EEEEPS9_S9_NSD_9__find_if7functorIS9_EEEE10hipError_tPvRmT1_T2_T3_mT4_P12ihipStream_tbEUlT_E1_NS1_11comp_targetILNS1_3genE8ELNS1_11target_archE1030ELNS1_3gpuE2ELNS1_3repE0EEENS1_30default_config_static_selectorELNS0_4arch9wavefront6targetE1EEEvS17_
    .private_segment_fixed_size: 0
    .sgpr_count:     4
    .sgpr_spill_count: 0
    .symbol:         _ZN7rocprim17ROCPRIM_400000_NS6detail17trampoline_kernelINS0_14default_configENS1_22reduce_config_selectorIN6thrust23THRUST_200600_302600_NS5tupleIblNS6_9null_typeES8_S8_S8_S8_S8_S8_S8_EEEEZNS1_11reduce_implILb1ES3_NS6_12zip_iteratorINS7_INS6_11hip_rocprim26transform_input_iterator_tIbPdNS6_6detail10functional5actorINSH_9compositeIJNSH_27transparent_binary_operatorINS6_8equal_toIvEEEENSI_INSH_8argumentILj0EEEEENSH_5valueIdEEEEEEEEENSD_19counting_iterator_tIlEES8_S8_S8_S8_S8_S8_S8_S8_EEEEPS9_S9_NSD_9__find_if7functorIS9_EEEE10hipError_tPvRmT1_T2_T3_mT4_P12ihipStream_tbEUlT_E1_NS1_11comp_targetILNS1_3genE8ELNS1_11target_archE1030ELNS1_3gpuE2ELNS1_3repE0EEENS1_30default_config_static_selectorELNS0_4arch9wavefront6targetE1EEEvS17_.kd
    .uniform_work_group_size: 1
    .uses_dynamic_stack: false
    .vgpr_count:     0
    .vgpr_spill_count: 0
    .wavefront_size: 64
  - .agpr_count:     0
    .args:
      - .offset:         0
        .size:           48
        .value_kind:     by_value
    .group_segment_fixed_size: 0
    .kernarg_segment_align: 8
    .kernarg_segment_size: 48
    .language:       OpenCL C
    .language_version:
      - 2
      - 0
    .max_flat_workgroup_size: 256
    .name:           _ZN7rocprim17ROCPRIM_400000_NS6detail17trampoline_kernelINS0_13kernel_configILj256ELj4ELj4294967295EEENS1_37radix_sort_block_sort_config_selectorIflEEZNS1_21radix_sort_block_sortIS4_Lb0EPfS8_N6thrust23THRUST_200600_302600_NS10device_ptrIlEESC_NS0_19identity_decomposerEEE10hipError_tT1_T2_T3_T4_jRjT5_jjP12ihipStream_tbEUlT_E_NS1_11comp_targetILNS1_3genE0ELNS1_11target_archE4294967295ELNS1_3gpuE0ELNS1_3repE0EEENS1_44radix_sort_block_sort_config_static_selectorELNS0_4arch9wavefront6targetE1EEEvSF_
    .private_segment_fixed_size: 0
    .sgpr_count:     4
    .sgpr_spill_count: 0
    .symbol:         _ZN7rocprim17ROCPRIM_400000_NS6detail17trampoline_kernelINS0_13kernel_configILj256ELj4ELj4294967295EEENS1_37radix_sort_block_sort_config_selectorIflEEZNS1_21radix_sort_block_sortIS4_Lb0EPfS8_N6thrust23THRUST_200600_302600_NS10device_ptrIlEESC_NS0_19identity_decomposerEEE10hipError_tT1_T2_T3_T4_jRjT5_jjP12ihipStream_tbEUlT_E_NS1_11comp_targetILNS1_3genE0ELNS1_11target_archE4294967295ELNS1_3gpuE0ELNS1_3repE0EEENS1_44radix_sort_block_sort_config_static_selectorELNS0_4arch9wavefront6targetE1EEEvSF_.kd
    .uniform_work_group_size: 1
    .uses_dynamic_stack: false
    .vgpr_count:     0
    .vgpr_spill_count: 0
    .wavefront_size: 64
  - .agpr_count:     0
    .args:
      - .offset:         0
        .size:           48
        .value_kind:     by_value
    .group_segment_fixed_size: 0
    .kernarg_segment_align: 8
    .kernarg_segment_size: 48
    .language:       OpenCL C
    .language_version:
      - 2
      - 0
    .max_flat_workgroup_size: 256
    .name:           _ZN7rocprim17ROCPRIM_400000_NS6detail17trampoline_kernelINS0_13kernel_configILj256ELj4ELj4294967295EEENS1_37radix_sort_block_sort_config_selectorIflEEZNS1_21radix_sort_block_sortIS4_Lb0EPfS8_N6thrust23THRUST_200600_302600_NS10device_ptrIlEESC_NS0_19identity_decomposerEEE10hipError_tT1_T2_T3_T4_jRjT5_jjP12ihipStream_tbEUlT_E_NS1_11comp_targetILNS1_3genE5ELNS1_11target_archE942ELNS1_3gpuE9ELNS1_3repE0EEENS1_44radix_sort_block_sort_config_static_selectorELNS0_4arch9wavefront6targetE1EEEvSF_
    .private_segment_fixed_size: 0
    .sgpr_count:     4
    .sgpr_spill_count: 0
    .symbol:         _ZN7rocprim17ROCPRIM_400000_NS6detail17trampoline_kernelINS0_13kernel_configILj256ELj4ELj4294967295EEENS1_37radix_sort_block_sort_config_selectorIflEEZNS1_21radix_sort_block_sortIS4_Lb0EPfS8_N6thrust23THRUST_200600_302600_NS10device_ptrIlEESC_NS0_19identity_decomposerEEE10hipError_tT1_T2_T3_T4_jRjT5_jjP12ihipStream_tbEUlT_E_NS1_11comp_targetILNS1_3genE5ELNS1_11target_archE942ELNS1_3gpuE9ELNS1_3repE0EEENS1_44radix_sort_block_sort_config_static_selectorELNS0_4arch9wavefront6targetE1EEEvSF_.kd
    .uniform_work_group_size: 1
    .uses_dynamic_stack: false
    .vgpr_count:     0
    .vgpr_spill_count: 0
    .wavefront_size: 64
  - .agpr_count:     0
    .args:
      - .offset:         0
        .size:           48
        .value_kind:     by_value
      - .offset:         48
        .size:           4
        .value_kind:     hidden_block_count_x
      - .offset:         52
        .size:           4
        .value_kind:     hidden_block_count_y
      - .offset:         56
        .size:           4
        .value_kind:     hidden_block_count_z
      - .offset:         60
        .size:           2
        .value_kind:     hidden_group_size_x
      - .offset:         62
        .size:           2
        .value_kind:     hidden_group_size_y
      - .offset:         64
        .size:           2
        .value_kind:     hidden_group_size_z
      - .offset:         66
        .size:           2
        .value_kind:     hidden_remainder_x
      - .offset:         68
        .size:           2
        .value_kind:     hidden_remainder_y
      - .offset:         70
        .size:           2
        .value_kind:     hidden_remainder_z
      - .offset:         88
        .size:           8
        .value_kind:     hidden_global_offset_x
      - .offset:         96
        .size:           8
        .value_kind:     hidden_global_offset_y
      - .offset:         104
        .size:           8
        .value_kind:     hidden_global_offset_z
      - .offset:         112
        .size:           2
        .value_kind:     hidden_grid_dims
    .group_segment_fixed_size: 8192
    .kernarg_segment_align: 8
    .kernarg_segment_size: 304
    .language:       OpenCL C
    .language_version:
      - 2
      - 0
    .max_flat_workgroup_size: 256
    .name:           _ZN7rocprim17ROCPRIM_400000_NS6detail17trampoline_kernelINS0_13kernel_configILj256ELj4ELj4294967295EEENS1_37radix_sort_block_sort_config_selectorIflEEZNS1_21radix_sort_block_sortIS4_Lb0EPfS8_N6thrust23THRUST_200600_302600_NS10device_ptrIlEESC_NS0_19identity_decomposerEEE10hipError_tT1_T2_T3_T4_jRjT5_jjP12ihipStream_tbEUlT_E_NS1_11comp_targetILNS1_3genE4ELNS1_11target_archE910ELNS1_3gpuE8ELNS1_3repE0EEENS1_44radix_sort_block_sort_config_static_selectorELNS0_4arch9wavefront6targetE1EEEvSF_
    .private_segment_fixed_size: 0
    .sgpr_count:     52
    .sgpr_spill_count: 0
    .symbol:         _ZN7rocprim17ROCPRIM_400000_NS6detail17trampoline_kernelINS0_13kernel_configILj256ELj4ELj4294967295EEENS1_37radix_sort_block_sort_config_selectorIflEEZNS1_21radix_sort_block_sortIS4_Lb0EPfS8_N6thrust23THRUST_200600_302600_NS10device_ptrIlEESC_NS0_19identity_decomposerEEE10hipError_tT1_T2_T3_T4_jRjT5_jjP12ihipStream_tbEUlT_E_NS1_11comp_targetILNS1_3genE4ELNS1_11target_archE910ELNS1_3gpuE8ELNS1_3repE0EEENS1_44radix_sort_block_sort_config_static_selectorELNS0_4arch9wavefront6targetE1EEEvSF_.kd
    .uniform_work_group_size: 1
    .uses_dynamic_stack: false
    .vgpr_count:     54
    .vgpr_spill_count: 0
    .wavefront_size: 64
  - .agpr_count:     0
    .args:
      - .offset:         0
        .size:           48
        .value_kind:     by_value
    .group_segment_fixed_size: 0
    .kernarg_segment_align: 8
    .kernarg_segment_size: 48
    .language:       OpenCL C
    .language_version:
      - 2
      - 0
    .max_flat_workgroup_size: 256
    .name:           _ZN7rocprim17ROCPRIM_400000_NS6detail17trampoline_kernelINS0_13kernel_configILj256ELj4ELj4294967295EEENS1_37radix_sort_block_sort_config_selectorIflEEZNS1_21radix_sort_block_sortIS4_Lb0EPfS8_N6thrust23THRUST_200600_302600_NS10device_ptrIlEESC_NS0_19identity_decomposerEEE10hipError_tT1_T2_T3_T4_jRjT5_jjP12ihipStream_tbEUlT_E_NS1_11comp_targetILNS1_3genE3ELNS1_11target_archE908ELNS1_3gpuE7ELNS1_3repE0EEENS1_44radix_sort_block_sort_config_static_selectorELNS0_4arch9wavefront6targetE1EEEvSF_
    .private_segment_fixed_size: 0
    .sgpr_count:     4
    .sgpr_spill_count: 0
    .symbol:         _ZN7rocprim17ROCPRIM_400000_NS6detail17trampoline_kernelINS0_13kernel_configILj256ELj4ELj4294967295EEENS1_37radix_sort_block_sort_config_selectorIflEEZNS1_21radix_sort_block_sortIS4_Lb0EPfS8_N6thrust23THRUST_200600_302600_NS10device_ptrIlEESC_NS0_19identity_decomposerEEE10hipError_tT1_T2_T3_T4_jRjT5_jjP12ihipStream_tbEUlT_E_NS1_11comp_targetILNS1_3genE3ELNS1_11target_archE908ELNS1_3gpuE7ELNS1_3repE0EEENS1_44radix_sort_block_sort_config_static_selectorELNS0_4arch9wavefront6targetE1EEEvSF_.kd
    .uniform_work_group_size: 1
    .uses_dynamic_stack: false
    .vgpr_count:     0
    .vgpr_spill_count: 0
    .wavefront_size: 64
  - .agpr_count:     0
    .args:
      - .offset:         0
        .size:           48
        .value_kind:     by_value
    .group_segment_fixed_size: 0
    .kernarg_segment_align: 8
    .kernarg_segment_size: 48
    .language:       OpenCL C
    .language_version:
      - 2
      - 0
    .max_flat_workgroup_size: 256
    .name:           _ZN7rocprim17ROCPRIM_400000_NS6detail17trampoline_kernelINS0_13kernel_configILj256ELj4ELj4294967295EEENS1_37radix_sort_block_sort_config_selectorIflEEZNS1_21radix_sort_block_sortIS4_Lb0EPfS8_N6thrust23THRUST_200600_302600_NS10device_ptrIlEESC_NS0_19identity_decomposerEEE10hipError_tT1_T2_T3_T4_jRjT5_jjP12ihipStream_tbEUlT_E_NS1_11comp_targetILNS1_3genE2ELNS1_11target_archE906ELNS1_3gpuE6ELNS1_3repE0EEENS1_44radix_sort_block_sort_config_static_selectorELNS0_4arch9wavefront6targetE1EEEvSF_
    .private_segment_fixed_size: 0
    .sgpr_count:     4
    .sgpr_spill_count: 0
    .symbol:         _ZN7rocprim17ROCPRIM_400000_NS6detail17trampoline_kernelINS0_13kernel_configILj256ELj4ELj4294967295EEENS1_37radix_sort_block_sort_config_selectorIflEEZNS1_21radix_sort_block_sortIS4_Lb0EPfS8_N6thrust23THRUST_200600_302600_NS10device_ptrIlEESC_NS0_19identity_decomposerEEE10hipError_tT1_T2_T3_T4_jRjT5_jjP12ihipStream_tbEUlT_E_NS1_11comp_targetILNS1_3genE2ELNS1_11target_archE906ELNS1_3gpuE6ELNS1_3repE0EEENS1_44radix_sort_block_sort_config_static_selectorELNS0_4arch9wavefront6targetE1EEEvSF_.kd
    .uniform_work_group_size: 1
    .uses_dynamic_stack: false
    .vgpr_count:     0
    .vgpr_spill_count: 0
    .wavefront_size: 64
  - .agpr_count:     0
    .args:
      - .offset:         0
        .size:           48
        .value_kind:     by_value
    .group_segment_fixed_size: 0
    .kernarg_segment_align: 8
    .kernarg_segment_size: 48
    .language:       OpenCL C
    .language_version:
      - 2
      - 0
    .max_flat_workgroup_size: 256
    .name:           _ZN7rocprim17ROCPRIM_400000_NS6detail17trampoline_kernelINS0_13kernel_configILj256ELj4ELj4294967295EEENS1_37radix_sort_block_sort_config_selectorIflEEZNS1_21radix_sort_block_sortIS4_Lb0EPfS8_N6thrust23THRUST_200600_302600_NS10device_ptrIlEESC_NS0_19identity_decomposerEEE10hipError_tT1_T2_T3_T4_jRjT5_jjP12ihipStream_tbEUlT_E_NS1_11comp_targetILNS1_3genE10ELNS1_11target_archE1201ELNS1_3gpuE5ELNS1_3repE0EEENS1_44radix_sort_block_sort_config_static_selectorELNS0_4arch9wavefront6targetE1EEEvSF_
    .private_segment_fixed_size: 0
    .sgpr_count:     4
    .sgpr_spill_count: 0
    .symbol:         _ZN7rocprim17ROCPRIM_400000_NS6detail17trampoline_kernelINS0_13kernel_configILj256ELj4ELj4294967295EEENS1_37radix_sort_block_sort_config_selectorIflEEZNS1_21radix_sort_block_sortIS4_Lb0EPfS8_N6thrust23THRUST_200600_302600_NS10device_ptrIlEESC_NS0_19identity_decomposerEEE10hipError_tT1_T2_T3_T4_jRjT5_jjP12ihipStream_tbEUlT_E_NS1_11comp_targetILNS1_3genE10ELNS1_11target_archE1201ELNS1_3gpuE5ELNS1_3repE0EEENS1_44radix_sort_block_sort_config_static_selectorELNS0_4arch9wavefront6targetE1EEEvSF_.kd
    .uniform_work_group_size: 1
    .uses_dynamic_stack: false
    .vgpr_count:     0
    .vgpr_spill_count: 0
    .wavefront_size: 64
  - .agpr_count:     0
    .args:
      - .offset:         0
        .size:           48
        .value_kind:     by_value
    .group_segment_fixed_size: 0
    .kernarg_segment_align: 8
    .kernarg_segment_size: 48
    .language:       OpenCL C
    .language_version:
      - 2
      - 0
    .max_flat_workgroup_size: 256
    .name:           _ZN7rocprim17ROCPRIM_400000_NS6detail17trampoline_kernelINS0_13kernel_configILj256ELj4ELj4294967295EEENS1_37radix_sort_block_sort_config_selectorIflEEZNS1_21radix_sort_block_sortIS4_Lb0EPfS8_N6thrust23THRUST_200600_302600_NS10device_ptrIlEESC_NS0_19identity_decomposerEEE10hipError_tT1_T2_T3_T4_jRjT5_jjP12ihipStream_tbEUlT_E_NS1_11comp_targetILNS1_3genE10ELNS1_11target_archE1200ELNS1_3gpuE4ELNS1_3repE0EEENS1_44radix_sort_block_sort_config_static_selectorELNS0_4arch9wavefront6targetE1EEEvSF_
    .private_segment_fixed_size: 0
    .sgpr_count:     4
    .sgpr_spill_count: 0
    .symbol:         _ZN7rocprim17ROCPRIM_400000_NS6detail17trampoline_kernelINS0_13kernel_configILj256ELj4ELj4294967295EEENS1_37radix_sort_block_sort_config_selectorIflEEZNS1_21radix_sort_block_sortIS4_Lb0EPfS8_N6thrust23THRUST_200600_302600_NS10device_ptrIlEESC_NS0_19identity_decomposerEEE10hipError_tT1_T2_T3_T4_jRjT5_jjP12ihipStream_tbEUlT_E_NS1_11comp_targetILNS1_3genE10ELNS1_11target_archE1200ELNS1_3gpuE4ELNS1_3repE0EEENS1_44radix_sort_block_sort_config_static_selectorELNS0_4arch9wavefront6targetE1EEEvSF_.kd
    .uniform_work_group_size: 1
    .uses_dynamic_stack: false
    .vgpr_count:     0
    .vgpr_spill_count: 0
    .wavefront_size: 64
  - .agpr_count:     0
    .args:
      - .offset:         0
        .size:           48
        .value_kind:     by_value
    .group_segment_fixed_size: 0
    .kernarg_segment_align: 8
    .kernarg_segment_size: 48
    .language:       OpenCL C
    .language_version:
      - 2
      - 0
    .max_flat_workgroup_size: 256
    .name:           _ZN7rocprim17ROCPRIM_400000_NS6detail17trampoline_kernelINS0_13kernel_configILj256ELj4ELj4294967295EEENS1_37radix_sort_block_sort_config_selectorIflEEZNS1_21radix_sort_block_sortIS4_Lb0EPfS8_N6thrust23THRUST_200600_302600_NS10device_ptrIlEESC_NS0_19identity_decomposerEEE10hipError_tT1_T2_T3_T4_jRjT5_jjP12ihipStream_tbEUlT_E_NS1_11comp_targetILNS1_3genE9ELNS1_11target_archE1100ELNS1_3gpuE3ELNS1_3repE0EEENS1_44radix_sort_block_sort_config_static_selectorELNS0_4arch9wavefront6targetE1EEEvSF_
    .private_segment_fixed_size: 0
    .sgpr_count:     4
    .sgpr_spill_count: 0
    .symbol:         _ZN7rocprim17ROCPRIM_400000_NS6detail17trampoline_kernelINS0_13kernel_configILj256ELj4ELj4294967295EEENS1_37radix_sort_block_sort_config_selectorIflEEZNS1_21radix_sort_block_sortIS4_Lb0EPfS8_N6thrust23THRUST_200600_302600_NS10device_ptrIlEESC_NS0_19identity_decomposerEEE10hipError_tT1_T2_T3_T4_jRjT5_jjP12ihipStream_tbEUlT_E_NS1_11comp_targetILNS1_3genE9ELNS1_11target_archE1100ELNS1_3gpuE3ELNS1_3repE0EEENS1_44radix_sort_block_sort_config_static_selectorELNS0_4arch9wavefront6targetE1EEEvSF_.kd
    .uniform_work_group_size: 1
    .uses_dynamic_stack: false
    .vgpr_count:     0
    .vgpr_spill_count: 0
    .wavefront_size: 64
  - .agpr_count:     0
    .args:
      - .offset:         0
        .size:           48
        .value_kind:     by_value
    .group_segment_fixed_size: 0
    .kernarg_segment_align: 8
    .kernarg_segment_size: 48
    .language:       OpenCL C
    .language_version:
      - 2
      - 0
    .max_flat_workgroup_size: 256
    .name:           _ZN7rocprim17ROCPRIM_400000_NS6detail17trampoline_kernelINS0_13kernel_configILj256ELj4ELj4294967295EEENS1_37radix_sort_block_sort_config_selectorIflEEZNS1_21radix_sort_block_sortIS4_Lb0EPfS8_N6thrust23THRUST_200600_302600_NS10device_ptrIlEESC_NS0_19identity_decomposerEEE10hipError_tT1_T2_T3_T4_jRjT5_jjP12ihipStream_tbEUlT_E_NS1_11comp_targetILNS1_3genE8ELNS1_11target_archE1030ELNS1_3gpuE2ELNS1_3repE0EEENS1_44radix_sort_block_sort_config_static_selectorELNS0_4arch9wavefront6targetE1EEEvSF_
    .private_segment_fixed_size: 0
    .sgpr_count:     4
    .sgpr_spill_count: 0
    .symbol:         _ZN7rocprim17ROCPRIM_400000_NS6detail17trampoline_kernelINS0_13kernel_configILj256ELj4ELj4294967295EEENS1_37radix_sort_block_sort_config_selectorIflEEZNS1_21radix_sort_block_sortIS4_Lb0EPfS8_N6thrust23THRUST_200600_302600_NS10device_ptrIlEESC_NS0_19identity_decomposerEEE10hipError_tT1_T2_T3_T4_jRjT5_jjP12ihipStream_tbEUlT_E_NS1_11comp_targetILNS1_3genE8ELNS1_11target_archE1030ELNS1_3gpuE2ELNS1_3repE0EEENS1_44radix_sort_block_sort_config_static_selectorELNS0_4arch9wavefront6targetE1EEEvSF_.kd
    .uniform_work_group_size: 1
    .uses_dynamic_stack: false
    .vgpr_count:     0
    .vgpr_spill_count: 0
    .wavefront_size: 64
  - .agpr_count:     0
    .args:           []
    .group_segment_fixed_size: 0
    .kernarg_segment_align: 4
    .kernarg_segment_size: 0
    .language:       OpenCL C
    .language_version:
      - 2
      - 0
    .max_flat_workgroup_size: 1024
    .name:           _ZN7rocprim17ROCPRIM_400000_NS6detail44device_merge_sort_compile_time_verifier_archINS1_11comp_targetILNS1_3genE0ELNS1_11target_archE4294967295ELNS1_3gpuE0ELNS1_3repE0EEES8_NS1_28merge_sort_block_sort_configILj256ELj4ELNS0_20block_sort_algorithmE0EEENS0_14default_configENS1_37merge_sort_block_sort_config_selectorIflEENS1_38merge_sort_block_merge_config_selectorIflEEEEvv
    .private_segment_fixed_size: 0
    .sgpr_count:     4
    .sgpr_spill_count: 0
    .symbol:         _ZN7rocprim17ROCPRIM_400000_NS6detail44device_merge_sort_compile_time_verifier_archINS1_11comp_targetILNS1_3genE0ELNS1_11target_archE4294967295ELNS1_3gpuE0ELNS1_3repE0EEES8_NS1_28merge_sort_block_sort_configILj256ELj4ELNS0_20block_sort_algorithmE0EEENS0_14default_configENS1_37merge_sort_block_sort_config_selectorIflEENS1_38merge_sort_block_merge_config_selectorIflEEEEvv.kd
    .uniform_work_group_size: 1
    .uses_dynamic_stack: false
    .vgpr_count:     0
    .vgpr_spill_count: 0
    .wavefront_size: 64
  - .agpr_count:     0
    .args:           []
    .group_segment_fixed_size: 0
    .kernarg_segment_align: 4
    .kernarg_segment_size: 0
    .language:       OpenCL C
    .language_version:
      - 2
      - 0
    .max_flat_workgroup_size: 1024
    .name:           _ZN7rocprim17ROCPRIM_400000_NS6detail44device_merge_sort_compile_time_verifier_archINS1_11comp_targetILNS1_3genE5ELNS1_11target_archE942ELNS1_3gpuE9ELNS1_3repE0EEES8_NS1_28merge_sort_block_sort_configILj256ELj4ELNS0_20block_sort_algorithmE0EEENS0_14default_configENS1_37merge_sort_block_sort_config_selectorIflEENS1_38merge_sort_block_merge_config_selectorIflEEEEvv
    .private_segment_fixed_size: 0
    .sgpr_count:     4
    .sgpr_spill_count: 0
    .symbol:         _ZN7rocprim17ROCPRIM_400000_NS6detail44device_merge_sort_compile_time_verifier_archINS1_11comp_targetILNS1_3genE5ELNS1_11target_archE942ELNS1_3gpuE9ELNS1_3repE0EEES8_NS1_28merge_sort_block_sort_configILj256ELj4ELNS0_20block_sort_algorithmE0EEENS0_14default_configENS1_37merge_sort_block_sort_config_selectorIflEENS1_38merge_sort_block_merge_config_selectorIflEEEEvv.kd
    .uniform_work_group_size: 1
    .uses_dynamic_stack: false
    .vgpr_count:     0
    .vgpr_spill_count: 0
    .wavefront_size: 64
  - .agpr_count:     0
    .args:           []
    .group_segment_fixed_size: 0
    .kernarg_segment_align: 4
    .kernarg_segment_size: 0
    .language:       OpenCL C
    .language_version:
      - 2
      - 0
    .max_flat_workgroup_size: 1024
    .name:           _ZN7rocprim17ROCPRIM_400000_NS6detail44device_merge_sort_compile_time_verifier_archINS1_11comp_targetILNS1_3genE4ELNS1_11target_archE910ELNS1_3gpuE8ELNS1_3repE0EEES8_NS1_28merge_sort_block_sort_configILj256ELj4ELNS0_20block_sort_algorithmE0EEENS0_14default_configENS1_37merge_sort_block_sort_config_selectorIflEENS1_38merge_sort_block_merge_config_selectorIflEEEEvv
    .private_segment_fixed_size: 0
    .sgpr_count:     4
    .sgpr_spill_count: 0
    .symbol:         _ZN7rocprim17ROCPRIM_400000_NS6detail44device_merge_sort_compile_time_verifier_archINS1_11comp_targetILNS1_3genE4ELNS1_11target_archE910ELNS1_3gpuE8ELNS1_3repE0EEES8_NS1_28merge_sort_block_sort_configILj256ELj4ELNS0_20block_sort_algorithmE0EEENS0_14default_configENS1_37merge_sort_block_sort_config_selectorIflEENS1_38merge_sort_block_merge_config_selectorIflEEEEvv.kd
    .uniform_work_group_size: 1
    .uses_dynamic_stack: false
    .vgpr_count:     0
    .vgpr_spill_count: 0
    .wavefront_size: 64
  - .agpr_count:     0
    .args:           []
    .group_segment_fixed_size: 0
    .kernarg_segment_align: 4
    .kernarg_segment_size: 0
    .language:       OpenCL C
    .language_version:
      - 2
      - 0
    .max_flat_workgroup_size: 1024
    .name:           _ZN7rocprim17ROCPRIM_400000_NS6detail44device_merge_sort_compile_time_verifier_archINS1_11comp_targetILNS1_3genE3ELNS1_11target_archE908ELNS1_3gpuE7ELNS1_3repE0EEES8_NS1_28merge_sort_block_sort_configILj256ELj4ELNS0_20block_sort_algorithmE0EEENS0_14default_configENS1_37merge_sort_block_sort_config_selectorIflEENS1_38merge_sort_block_merge_config_selectorIflEEEEvv
    .private_segment_fixed_size: 0
    .sgpr_count:     4
    .sgpr_spill_count: 0
    .symbol:         _ZN7rocprim17ROCPRIM_400000_NS6detail44device_merge_sort_compile_time_verifier_archINS1_11comp_targetILNS1_3genE3ELNS1_11target_archE908ELNS1_3gpuE7ELNS1_3repE0EEES8_NS1_28merge_sort_block_sort_configILj256ELj4ELNS0_20block_sort_algorithmE0EEENS0_14default_configENS1_37merge_sort_block_sort_config_selectorIflEENS1_38merge_sort_block_merge_config_selectorIflEEEEvv.kd
    .uniform_work_group_size: 1
    .uses_dynamic_stack: false
    .vgpr_count:     0
    .vgpr_spill_count: 0
    .wavefront_size: 64
  - .agpr_count:     0
    .args:           []
    .group_segment_fixed_size: 0
    .kernarg_segment_align: 4
    .kernarg_segment_size: 0
    .language:       OpenCL C
    .language_version:
      - 2
      - 0
    .max_flat_workgroup_size: 1024
    .name:           _ZN7rocprim17ROCPRIM_400000_NS6detail44device_merge_sort_compile_time_verifier_archINS1_11comp_targetILNS1_3genE2ELNS1_11target_archE906ELNS1_3gpuE6ELNS1_3repE0EEES8_NS1_28merge_sort_block_sort_configILj256ELj4ELNS0_20block_sort_algorithmE0EEENS0_14default_configENS1_37merge_sort_block_sort_config_selectorIflEENS1_38merge_sort_block_merge_config_selectorIflEEEEvv
    .private_segment_fixed_size: 0
    .sgpr_count:     4
    .sgpr_spill_count: 0
    .symbol:         _ZN7rocprim17ROCPRIM_400000_NS6detail44device_merge_sort_compile_time_verifier_archINS1_11comp_targetILNS1_3genE2ELNS1_11target_archE906ELNS1_3gpuE6ELNS1_3repE0EEES8_NS1_28merge_sort_block_sort_configILj256ELj4ELNS0_20block_sort_algorithmE0EEENS0_14default_configENS1_37merge_sort_block_sort_config_selectorIflEENS1_38merge_sort_block_merge_config_selectorIflEEEEvv.kd
    .uniform_work_group_size: 1
    .uses_dynamic_stack: false
    .vgpr_count:     0
    .vgpr_spill_count: 0
    .wavefront_size: 64
  - .agpr_count:     0
    .args:           []
    .group_segment_fixed_size: 0
    .kernarg_segment_align: 4
    .kernarg_segment_size: 0
    .language:       OpenCL C
    .language_version:
      - 2
      - 0
    .max_flat_workgroup_size: 1024
    .name:           _ZN7rocprim17ROCPRIM_400000_NS6detail44device_merge_sort_compile_time_verifier_archINS1_11comp_targetILNS1_3genE10ELNS1_11target_archE1201ELNS1_3gpuE5ELNS1_3repE0EEES8_NS1_28merge_sort_block_sort_configILj256ELj4ELNS0_20block_sort_algorithmE0EEENS0_14default_configENS1_37merge_sort_block_sort_config_selectorIflEENS1_38merge_sort_block_merge_config_selectorIflEEEEvv
    .private_segment_fixed_size: 0
    .sgpr_count:     4
    .sgpr_spill_count: 0
    .symbol:         _ZN7rocprim17ROCPRIM_400000_NS6detail44device_merge_sort_compile_time_verifier_archINS1_11comp_targetILNS1_3genE10ELNS1_11target_archE1201ELNS1_3gpuE5ELNS1_3repE0EEES8_NS1_28merge_sort_block_sort_configILj256ELj4ELNS0_20block_sort_algorithmE0EEENS0_14default_configENS1_37merge_sort_block_sort_config_selectorIflEENS1_38merge_sort_block_merge_config_selectorIflEEEEvv.kd
    .uniform_work_group_size: 1
    .uses_dynamic_stack: false
    .vgpr_count:     0
    .vgpr_spill_count: 0
    .wavefront_size: 64
  - .agpr_count:     0
    .args:           []
    .group_segment_fixed_size: 0
    .kernarg_segment_align: 4
    .kernarg_segment_size: 0
    .language:       OpenCL C
    .language_version:
      - 2
      - 0
    .max_flat_workgroup_size: 1024
    .name:           _ZN7rocprim17ROCPRIM_400000_NS6detail44device_merge_sort_compile_time_verifier_archINS1_11comp_targetILNS1_3genE10ELNS1_11target_archE1200ELNS1_3gpuE4ELNS1_3repE0EEENS3_ILS4_10ELS5_1201ELS6_5ELS7_0EEENS1_28merge_sort_block_sort_configILj256ELj4ELNS0_20block_sort_algorithmE0EEENS0_14default_configENS1_37merge_sort_block_sort_config_selectorIflEENS1_38merge_sort_block_merge_config_selectorIflEEEEvv
    .private_segment_fixed_size: 0
    .sgpr_count:     4
    .sgpr_spill_count: 0
    .symbol:         _ZN7rocprim17ROCPRIM_400000_NS6detail44device_merge_sort_compile_time_verifier_archINS1_11comp_targetILNS1_3genE10ELNS1_11target_archE1200ELNS1_3gpuE4ELNS1_3repE0EEENS3_ILS4_10ELS5_1201ELS6_5ELS7_0EEENS1_28merge_sort_block_sort_configILj256ELj4ELNS0_20block_sort_algorithmE0EEENS0_14default_configENS1_37merge_sort_block_sort_config_selectorIflEENS1_38merge_sort_block_merge_config_selectorIflEEEEvv.kd
    .uniform_work_group_size: 1
    .uses_dynamic_stack: false
    .vgpr_count:     0
    .vgpr_spill_count: 0
    .wavefront_size: 64
  - .agpr_count:     0
    .args:           []
    .group_segment_fixed_size: 0
    .kernarg_segment_align: 4
    .kernarg_segment_size: 0
    .language:       OpenCL C
    .language_version:
      - 2
      - 0
    .max_flat_workgroup_size: 1024
    .name:           _ZN7rocprim17ROCPRIM_400000_NS6detail44device_merge_sort_compile_time_verifier_archINS1_11comp_targetILNS1_3genE9ELNS1_11target_archE1100ELNS1_3gpuE3ELNS1_3repE0EEES8_NS1_28merge_sort_block_sort_configILj256ELj4ELNS0_20block_sort_algorithmE0EEENS0_14default_configENS1_37merge_sort_block_sort_config_selectorIflEENS1_38merge_sort_block_merge_config_selectorIflEEEEvv
    .private_segment_fixed_size: 0
    .sgpr_count:     4
    .sgpr_spill_count: 0
    .symbol:         _ZN7rocprim17ROCPRIM_400000_NS6detail44device_merge_sort_compile_time_verifier_archINS1_11comp_targetILNS1_3genE9ELNS1_11target_archE1100ELNS1_3gpuE3ELNS1_3repE0EEES8_NS1_28merge_sort_block_sort_configILj256ELj4ELNS0_20block_sort_algorithmE0EEENS0_14default_configENS1_37merge_sort_block_sort_config_selectorIflEENS1_38merge_sort_block_merge_config_selectorIflEEEEvv.kd
    .uniform_work_group_size: 1
    .uses_dynamic_stack: false
    .vgpr_count:     0
    .vgpr_spill_count: 0
    .wavefront_size: 64
  - .agpr_count:     0
    .args:           []
    .group_segment_fixed_size: 0
    .kernarg_segment_align: 4
    .kernarg_segment_size: 0
    .language:       OpenCL C
    .language_version:
      - 2
      - 0
    .max_flat_workgroup_size: 1024
    .name:           _ZN7rocprim17ROCPRIM_400000_NS6detail44device_merge_sort_compile_time_verifier_archINS1_11comp_targetILNS1_3genE8ELNS1_11target_archE1030ELNS1_3gpuE2ELNS1_3repE0EEES8_NS1_28merge_sort_block_sort_configILj256ELj4ELNS0_20block_sort_algorithmE0EEENS0_14default_configENS1_37merge_sort_block_sort_config_selectorIflEENS1_38merge_sort_block_merge_config_selectorIflEEEEvv
    .private_segment_fixed_size: 0
    .sgpr_count:     4
    .sgpr_spill_count: 0
    .symbol:         _ZN7rocprim17ROCPRIM_400000_NS6detail44device_merge_sort_compile_time_verifier_archINS1_11comp_targetILNS1_3genE8ELNS1_11target_archE1030ELNS1_3gpuE2ELNS1_3repE0EEES8_NS1_28merge_sort_block_sort_configILj256ELj4ELNS0_20block_sort_algorithmE0EEENS0_14default_configENS1_37merge_sort_block_sort_config_selectorIflEENS1_38merge_sort_block_merge_config_selectorIflEEEEvv.kd
    .uniform_work_group_size: 1
    .uses_dynamic_stack: false
    .vgpr_count:     0
    .vgpr_spill_count: 0
    .wavefront_size: 64
  - .agpr_count:     0
    .args:
      - .offset:         0
        .size:           40
        .value_kind:     by_value
    .group_segment_fixed_size: 0
    .kernarg_segment_align: 8
    .kernarg_segment_size: 40
    .language:       OpenCL C
    .language_version:
      - 2
      - 0
    .max_flat_workgroup_size: 128
    .name:           _ZN7rocprim17ROCPRIM_400000_NS6detail17trampoline_kernelINS0_14default_configENS1_38merge_sort_block_merge_config_selectorIflEEZZNS1_27merge_sort_block_merge_implIS3_PfN6thrust23THRUST_200600_302600_NS10device_ptrIlEEjNS1_19radix_merge_compareILb0ELb0EfNS0_19identity_decomposerEEEEE10hipError_tT0_T1_T2_jT3_P12ihipStream_tbPNSt15iterator_traitsISG_E10value_typeEPNSM_ISH_E10value_typeEPSI_NS1_7vsmem_tEENKUlT_SG_SH_SI_E_clIS7_S7_PlSB_EESF_SV_SG_SH_SI_EUlSV_E_NS1_11comp_targetILNS1_3genE0ELNS1_11target_archE4294967295ELNS1_3gpuE0ELNS1_3repE0EEENS1_48merge_mergepath_partition_config_static_selectorELNS0_4arch9wavefront6targetE1EEEvSH_
    .private_segment_fixed_size: 0
    .sgpr_count:     4
    .sgpr_spill_count: 0
    .symbol:         _ZN7rocprim17ROCPRIM_400000_NS6detail17trampoline_kernelINS0_14default_configENS1_38merge_sort_block_merge_config_selectorIflEEZZNS1_27merge_sort_block_merge_implIS3_PfN6thrust23THRUST_200600_302600_NS10device_ptrIlEEjNS1_19radix_merge_compareILb0ELb0EfNS0_19identity_decomposerEEEEE10hipError_tT0_T1_T2_jT3_P12ihipStream_tbPNSt15iterator_traitsISG_E10value_typeEPNSM_ISH_E10value_typeEPSI_NS1_7vsmem_tEENKUlT_SG_SH_SI_E_clIS7_S7_PlSB_EESF_SV_SG_SH_SI_EUlSV_E_NS1_11comp_targetILNS1_3genE0ELNS1_11target_archE4294967295ELNS1_3gpuE0ELNS1_3repE0EEENS1_48merge_mergepath_partition_config_static_selectorELNS0_4arch9wavefront6targetE1EEEvSH_.kd
    .uniform_work_group_size: 1
    .uses_dynamic_stack: false
    .vgpr_count:     0
    .vgpr_spill_count: 0
    .wavefront_size: 64
  - .agpr_count:     0
    .args:
      - .offset:         0
        .size:           40
        .value_kind:     by_value
    .group_segment_fixed_size: 0
    .kernarg_segment_align: 8
    .kernarg_segment_size: 40
    .language:       OpenCL C
    .language_version:
      - 2
      - 0
    .max_flat_workgroup_size: 128
    .name:           _ZN7rocprim17ROCPRIM_400000_NS6detail17trampoline_kernelINS0_14default_configENS1_38merge_sort_block_merge_config_selectorIflEEZZNS1_27merge_sort_block_merge_implIS3_PfN6thrust23THRUST_200600_302600_NS10device_ptrIlEEjNS1_19radix_merge_compareILb0ELb0EfNS0_19identity_decomposerEEEEE10hipError_tT0_T1_T2_jT3_P12ihipStream_tbPNSt15iterator_traitsISG_E10value_typeEPNSM_ISH_E10value_typeEPSI_NS1_7vsmem_tEENKUlT_SG_SH_SI_E_clIS7_S7_PlSB_EESF_SV_SG_SH_SI_EUlSV_E_NS1_11comp_targetILNS1_3genE10ELNS1_11target_archE1201ELNS1_3gpuE5ELNS1_3repE0EEENS1_48merge_mergepath_partition_config_static_selectorELNS0_4arch9wavefront6targetE1EEEvSH_
    .private_segment_fixed_size: 0
    .sgpr_count:     4
    .sgpr_spill_count: 0
    .symbol:         _ZN7rocprim17ROCPRIM_400000_NS6detail17trampoline_kernelINS0_14default_configENS1_38merge_sort_block_merge_config_selectorIflEEZZNS1_27merge_sort_block_merge_implIS3_PfN6thrust23THRUST_200600_302600_NS10device_ptrIlEEjNS1_19radix_merge_compareILb0ELb0EfNS0_19identity_decomposerEEEEE10hipError_tT0_T1_T2_jT3_P12ihipStream_tbPNSt15iterator_traitsISG_E10value_typeEPNSM_ISH_E10value_typeEPSI_NS1_7vsmem_tEENKUlT_SG_SH_SI_E_clIS7_S7_PlSB_EESF_SV_SG_SH_SI_EUlSV_E_NS1_11comp_targetILNS1_3genE10ELNS1_11target_archE1201ELNS1_3gpuE5ELNS1_3repE0EEENS1_48merge_mergepath_partition_config_static_selectorELNS0_4arch9wavefront6targetE1EEEvSH_.kd
    .uniform_work_group_size: 1
    .uses_dynamic_stack: false
    .vgpr_count:     0
    .vgpr_spill_count: 0
    .wavefront_size: 64
  - .agpr_count:     0
    .args:
      - .offset:         0
        .size:           40
        .value_kind:     by_value
    .group_segment_fixed_size: 0
    .kernarg_segment_align: 8
    .kernarg_segment_size: 40
    .language:       OpenCL C
    .language_version:
      - 2
      - 0
    .max_flat_workgroup_size: 128
    .name:           _ZN7rocprim17ROCPRIM_400000_NS6detail17trampoline_kernelINS0_14default_configENS1_38merge_sort_block_merge_config_selectorIflEEZZNS1_27merge_sort_block_merge_implIS3_PfN6thrust23THRUST_200600_302600_NS10device_ptrIlEEjNS1_19radix_merge_compareILb0ELb0EfNS0_19identity_decomposerEEEEE10hipError_tT0_T1_T2_jT3_P12ihipStream_tbPNSt15iterator_traitsISG_E10value_typeEPNSM_ISH_E10value_typeEPSI_NS1_7vsmem_tEENKUlT_SG_SH_SI_E_clIS7_S7_PlSB_EESF_SV_SG_SH_SI_EUlSV_E_NS1_11comp_targetILNS1_3genE5ELNS1_11target_archE942ELNS1_3gpuE9ELNS1_3repE0EEENS1_48merge_mergepath_partition_config_static_selectorELNS0_4arch9wavefront6targetE1EEEvSH_
    .private_segment_fixed_size: 0
    .sgpr_count:     4
    .sgpr_spill_count: 0
    .symbol:         _ZN7rocprim17ROCPRIM_400000_NS6detail17trampoline_kernelINS0_14default_configENS1_38merge_sort_block_merge_config_selectorIflEEZZNS1_27merge_sort_block_merge_implIS3_PfN6thrust23THRUST_200600_302600_NS10device_ptrIlEEjNS1_19radix_merge_compareILb0ELb0EfNS0_19identity_decomposerEEEEE10hipError_tT0_T1_T2_jT3_P12ihipStream_tbPNSt15iterator_traitsISG_E10value_typeEPNSM_ISH_E10value_typeEPSI_NS1_7vsmem_tEENKUlT_SG_SH_SI_E_clIS7_S7_PlSB_EESF_SV_SG_SH_SI_EUlSV_E_NS1_11comp_targetILNS1_3genE5ELNS1_11target_archE942ELNS1_3gpuE9ELNS1_3repE0EEENS1_48merge_mergepath_partition_config_static_selectorELNS0_4arch9wavefront6targetE1EEEvSH_.kd
    .uniform_work_group_size: 1
    .uses_dynamic_stack: false
    .vgpr_count:     0
    .vgpr_spill_count: 0
    .wavefront_size: 64
  - .agpr_count:     0
    .args:
      - .offset:         0
        .size:           40
        .value_kind:     by_value
    .group_segment_fixed_size: 0
    .kernarg_segment_align: 8
    .kernarg_segment_size: 40
    .language:       OpenCL C
    .language_version:
      - 2
      - 0
    .max_flat_workgroup_size: 128
    .name:           _ZN7rocprim17ROCPRIM_400000_NS6detail17trampoline_kernelINS0_14default_configENS1_38merge_sort_block_merge_config_selectorIflEEZZNS1_27merge_sort_block_merge_implIS3_PfN6thrust23THRUST_200600_302600_NS10device_ptrIlEEjNS1_19radix_merge_compareILb0ELb0EfNS0_19identity_decomposerEEEEE10hipError_tT0_T1_T2_jT3_P12ihipStream_tbPNSt15iterator_traitsISG_E10value_typeEPNSM_ISH_E10value_typeEPSI_NS1_7vsmem_tEENKUlT_SG_SH_SI_E_clIS7_S7_PlSB_EESF_SV_SG_SH_SI_EUlSV_E_NS1_11comp_targetILNS1_3genE4ELNS1_11target_archE910ELNS1_3gpuE8ELNS1_3repE0EEENS1_48merge_mergepath_partition_config_static_selectorELNS0_4arch9wavefront6targetE1EEEvSH_
    .private_segment_fixed_size: 0
    .sgpr_count:     12
    .sgpr_spill_count: 0
    .symbol:         _ZN7rocprim17ROCPRIM_400000_NS6detail17trampoline_kernelINS0_14default_configENS1_38merge_sort_block_merge_config_selectorIflEEZZNS1_27merge_sort_block_merge_implIS3_PfN6thrust23THRUST_200600_302600_NS10device_ptrIlEEjNS1_19radix_merge_compareILb0ELb0EfNS0_19identity_decomposerEEEEE10hipError_tT0_T1_T2_jT3_P12ihipStream_tbPNSt15iterator_traitsISG_E10value_typeEPNSM_ISH_E10value_typeEPSI_NS1_7vsmem_tEENKUlT_SG_SH_SI_E_clIS7_S7_PlSB_EESF_SV_SG_SH_SI_EUlSV_E_NS1_11comp_targetILNS1_3genE4ELNS1_11target_archE910ELNS1_3gpuE8ELNS1_3repE0EEENS1_48merge_mergepath_partition_config_static_selectorELNS0_4arch9wavefront6targetE1EEEvSH_.kd
    .uniform_work_group_size: 1
    .uses_dynamic_stack: false
    .vgpr_count:     18
    .vgpr_spill_count: 0
    .wavefront_size: 64
  - .agpr_count:     0
    .args:
      - .offset:         0
        .size:           40
        .value_kind:     by_value
    .group_segment_fixed_size: 0
    .kernarg_segment_align: 8
    .kernarg_segment_size: 40
    .language:       OpenCL C
    .language_version:
      - 2
      - 0
    .max_flat_workgroup_size: 128
    .name:           _ZN7rocprim17ROCPRIM_400000_NS6detail17trampoline_kernelINS0_14default_configENS1_38merge_sort_block_merge_config_selectorIflEEZZNS1_27merge_sort_block_merge_implIS3_PfN6thrust23THRUST_200600_302600_NS10device_ptrIlEEjNS1_19radix_merge_compareILb0ELb0EfNS0_19identity_decomposerEEEEE10hipError_tT0_T1_T2_jT3_P12ihipStream_tbPNSt15iterator_traitsISG_E10value_typeEPNSM_ISH_E10value_typeEPSI_NS1_7vsmem_tEENKUlT_SG_SH_SI_E_clIS7_S7_PlSB_EESF_SV_SG_SH_SI_EUlSV_E_NS1_11comp_targetILNS1_3genE3ELNS1_11target_archE908ELNS1_3gpuE7ELNS1_3repE0EEENS1_48merge_mergepath_partition_config_static_selectorELNS0_4arch9wavefront6targetE1EEEvSH_
    .private_segment_fixed_size: 0
    .sgpr_count:     4
    .sgpr_spill_count: 0
    .symbol:         _ZN7rocprim17ROCPRIM_400000_NS6detail17trampoline_kernelINS0_14default_configENS1_38merge_sort_block_merge_config_selectorIflEEZZNS1_27merge_sort_block_merge_implIS3_PfN6thrust23THRUST_200600_302600_NS10device_ptrIlEEjNS1_19radix_merge_compareILb0ELb0EfNS0_19identity_decomposerEEEEE10hipError_tT0_T1_T2_jT3_P12ihipStream_tbPNSt15iterator_traitsISG_E10value_typeEPNSM_ISH_E10value_typeEPSI_NS1_7vsmem_tEENKUlT_SG_SH_SI_E_clIS7_S7_PlSB_EESF_SV_SG_SH_SI_EUlSV_E_NS1_11comp_targetILNS1_3genE3ELNS1_11target_archE908ELNS1_3gpuE7ELNS1_3repE0EEENS1_48merge_mergepath_partition_config_static_selectorELNS0_4arch9wavefront6targetE1EEEvSH_.kd
    .uniform_work_group_size: 1
    .uses_dynamic_stack: false
    .vgpr_count:     0
    .vgpr_spill_count: 0
    .wavefront_size: 64
  - .agpr_count:     0
    .args:
      - .offset:         0
        .size:           40
        .value_kind:     by_value
    .group_segment_fixed_size: 0
    .kernarg_segment_align: 8
    .kernarg_segment_size: 40
    .language:       OpenCL C
    .language_version:
      - 2
      - 0
    .max_flat_workgroup_size: 128
    .name:           _ZN7rocprim17ROCPRIM_400000_NS6detail17trampoline_kernelINS0_14default_configENS1_38merge_sort_block_merge_config_selectorIflEEZZNS1_27merge_sort_block_merge_implIS3_PfN6thrust23THRUST_200600_302600_NS10device_ptrIlEEjNS1_19radix_merge_compareILb0ELb0EfNS0_19identity_decomposerEEEEE10hipError_tT0_T1_T2_jT3_P12ihipStream_tbPNSt15iterator_traitsISG_E10value_typeEPNSM_ISH_E10value_typeEPSI_NS1_7vsmem_tEENKUlT_SG_SH_SI_E_clIS7_S7_PlSB_EESF_SV_SG_SH_SI_EUlSV_E_NS1_11comp_targetILNS1_3genE2ELNS1_11target_archE906ELNS1_3gpuE6ELNS1_3repE0EEENS1_48merge_mergepath_partition_config_static_selectorELNS0_4arch9wavefront6targetE1EEEvSH_
    .private_segment_fixed_size: 0
    .sgpr_count:     4
    .sgpr_spill_count: 0
    .symbol:         _ZN7rocprim17ROCPRIM_400000_NS6detail17trampoline_kernelINS0_14default_configENS1_38merge_sort_block_merge_config_selectorIflEEZZNS1_27merge_sort_block_merge_implIS3_PfN6thrust23THRUST_200600_302600_NS10device_ptrIlEEjNS1_19radix_merge_compareILb0ELb0EfNS0_19identity_decomposerEEEEE10hipError_tT0_T1_T2_jT3_P12ihipStream_tbPNSt15iterator_traitsISG_E10value_typeEPNSM_ISH_E10value_typeEPSI_NS1_7vsmem_tEENKUlT_SG_SH_SI_E_clIS7_S7_PlSB_EESF_SV_SG_SH_SI_EUlSV_E_NS1_11comp_targetILNS1_3genE2ELNS1_11target_archE906ELNS1_3gpuE6ELNS1_3repE0EEENS1_48merge_mergepath_partition_config_static_selectorELNS0_4arch9wavefront6targetE1EEEvSH_.kd
    .uniform_work_group_size: 1
    .uses_dynamic_stack: false
    .vgpr_count:     0
    .vgpr_spill_count: 0
    .wavefront_size: 64
  - .agpr_count:     0
    .args:
      - .offset:         0
        .size:           40
        .value_kind:     by_value
    .group_segment_fixed_size: 0
    .kernarg_segment_align: 8
    .kernarg_segment_size: 40
    .language:       OpenCL C
    .language_version:
      - 2
      - 0
    .max_flat_workgroup_size: 128
    .name:           _ZN7rocprim17ROCPRIM_400000_NS6detail17trampoline_kernelINS0_14default_configENS1_38merge_sort_block_merge_config_selectorIflEEZZNS1_27merge_sort_block_merge_implIS3_PfN6thrust23THRUST_200600_302600_NS10device_ptrIlEEjNS1_19radix_merge_compareILb0ELb0EfNS0_19identity_decomposerEEEEE10hipError_tT0_T1_T2_jT3_P12ihipStream_tbPNSt15iterator_traitsISG_E10value_typeEPNSM_ISH_E10value_typeEPSI_NS1_7vsmem_tEENKUlT_SG_SH_SI_E_clIS7_S7_PlSB_EESF_SV_SG_SH_SI_EUlSV_E_NS1_11comp_targetILNS1_3genE9ELNS1_11target_archE1100ELNS1_3gpuE3ELNS1_3repE0EEENS1_48merge_mergepath_partition_config_static_selectorELNS0_4arch9wavefront6targetE1EEEvSH_
    .private_segment_fixed_size: 0
    .sgpr_count:     4
    .sgpr_spill_count: 0
    .symbol:         _ZN7rocprim17ROCPRIM_400000_NS6detail17trampoline_kernelINS0_14default_configENS1_38merge_sort_block_merge_config_selectorIflEEZZNS1_27merge_sort_block_merge_implIS3_PfN6thrust23THRUST_200600_302600_NS10device_ptrIlEEjNS1_19radix_merge_compareILb0ELb0EfNS0_19identity_decomposerEEEEE10hipError_tT0_T1_T2_jT3_P12ihipStream_tbPNSt15iterator_traitsISG_E10value_typeEPNSM_ISH_E10value_typeEPSI_NS1_7vsmem_tEENKUlT_SG_SH_SI_E_clIS7_S7_PlSB_EESF_SV_SG_SH_SI_EUlSV_E_NS1_11comp_targetILNS1_3genE9ELNS1_11target_archE1100ELNS1_3gpuE3ELNS1_3repE0EEENS1_48merge_mergepath_partition_config_static_selectorELNS0_4arch9wavefront6targetE1EEEvSH_.kd
    .uniform_work_group_size: 1
    .uses_dynamic_stack: false
    .vgpr_count:     0
    .vgpr_spill_count: 0
    .wavefront_size: 64
  - .agpr_count:     0
    .args:
      - .offset:         0
        .size:           40
        .value_kind:     by_value
    .group_segment_fixed_size: 0
    .kernarg_segment_align: 8
    .kernarg_segment_size: 40
    .language:       OpenCL C
    .language_version:
      - 2
      - 0
    .max_flat_workgroup_size: 128
    .name:           _ZN7rocprim17ROCPRIM_400000_NS6detail17trampoline_kernelINS0_14default_configENS1_38merge_sort_block_merge_config_selectorIflEEZZNS1_27merge_sort_block_merge_implIS3_PfN6thrust23THRUST_200600_302600_NS10device_ptrIlEEjNS1_19radix_merge_compareILb0ELb0EfNS0_19identity_decomposerEEEEE10hipError_tT0_T1_T2_jT3_P12ihipStream_tbPNSt15iterator_traitsISG_E10value_typeEPNSM_ISH_E10value_typeEPSI_NS1_7vsmem_tEENKUlT_SG_SH_SI_E_clIS7_S7_PlSB_EESF_SV_SG_SH_SI_EUlSV_E_NS1_11comp_targetILNS1_3genE8ELNS1_11target_archE1030ELNS1_3gpuE2ELNS1_3repE0EEENS1_48merge_mergepath_partition_config_static_selectorELNS0_4arch9wavefront6targetE1EEEvSH_
    .private_segment_fixed_size: 0
    .sgpr_count:     4
    .sgpr_spill_count: 0
    .symbol:         _ZN7rocprim17ROCPRIM_400000_NS6detail17trampoline_kernelINS0_14default_configENS1_38merge_sort_block_merge_config_selectorIflEEZZNS1_27merge_sort_block_merge_implIS3_PfN6thrust23THRUST_200600_302600_NS10device_ptrIlEEjNS1_19radix_merge_compareILb0ELb0EfNS0_19identity_decomposerEEEEE10hipError_tT0_T1_T2_jT3_P12ihipStream_tbPNSt15iterator_traitsISG_E10value_typeEPNSM_ISH_E10value_typeEPSI_NS1_7vsmem_tEENKUlT_SG_SH_SI_E_clIS7_S7_PlSB_EESF_SV_SG_SH_SI_EUlSV_E_NS1_11comp_targetILNS1_3genE8ELNS1_11target_archE1030ELNS1_3gpuE2ELNS1_3repE0EEENS1_48merge_mergepath_partition_config_static_selectorELNS0_4arch9wavefront6targetE1EEEvSH_.kd
    .uniform_work_group_size: 1
    .uses_dynamic_stack: false
    .vgpr_count:     0
    .vgpr_spill_count: 0
    .wavefront_size: 64
  - .agpr_count:     0
    .args:
      - .offset:         0
        .size:           64
        .value_kind:     by_value
    .group_segment_fixed_size: 0
    .kernarg_segment_align: 8
    .kernarg_segment_size: 64
    .language:       OpenCL C
    .language_version:
      - 2
      - 0
    .max_flat_workgroup_size: 512
    .name:           _ZN7rocprim17ROCPRIM_400000_NS6detail17trampoline_kernelINS0_14default_configENS1_38merge_sort_block_merge_config_selectorIflEEZZNS1_27merge_sort_block_merge_implIS3_PfN6thrust23THRUST_200600_302600_NS10device_ptrIlEEjNS1_19radix_merge_compareILb0ELb0EfNS0_19identity_decomposerEEEEE10hipError_tT0_T1_T2_jT3_P12ihipStream_tbPNSt15iterator_traitsISG_E10value_typeEPNSM_ISH_E10value_typeEPSI_NS1_7vsmem_tEENKUlT_SG_SH_SI_E_clIS7_S7_PlSB_EESF_SV_SG_SH_SI_EUlSV_E0_NS1_11comp_targetILNS1_3genE0ELNS1_11target_archE4294967295ELNS1_3gpuE0ELNS1_3repE0EEENS1_38merge_mergepath_config_static_selectorELNS0_4arch9wavefront6targetE1EEEvSH_
    .private_segment_fixed_size: 0
    .sgpr_count:     4
    .sgpr_spill_count: 0
    .symbol:         _ZN7rocprim17ROCPRIM_400000_NS6detail17trampoline_kernelINS0_14default_configENS1_38merge_sort_block_merge_config_selectorIflEEZZNS1_27merge_sort_block_merge_implIS3_PfN6thrust23THRUST_200600_302600_NS10device_ptrIlEEjNS1_19radix_merge_compareILb0ELb0EfNS0_19identity_decomposerEEEEE10hipError_tT0_T1_T2_jT3_P12ihipStream_tbPNSt15iterator_traitsISG_E10value_typeEPNSM_ISH_E10value_typeEPSI_NS1_7vsmem_tEENKUlT_SG_SH_SI_E_clIS7_S7_PlSB_EESF_SV_SG_SH_SI_EUlSV_E0_NS1_11comp_targetILNS1_3genE0ELNS1_11target_archE4294967295ELNS1_3gpuE0ELNS1_3repE0EEENS1_38merge_mergepath_config_static_selectorELNS0_4arch9wavefront6targetE1EEEvSH_.kd
    .uniform_work_group_size: 1
    .uses_dynamic_stack: false
    .vgpr_count:     0
    .vgpr_spill_count: 0
    .wavefront_size: 64
  - .agpr_count:     0
    .args:
      - .offset:         0
        .size:           64
        .value_kind:     by_value
    .group_segment_fixed_size: 0
    .kernarg_segment_align: 8
    .kernarg_segment_size: 64
    .language:       OpenCL C
    .language_version:
      - 2
      - 0
    .max_flat_workgroup_size: 512
    .name:           _ZN7rocprim17ROCPRIM_400000_NS6detail17trampoline_kernelINS0_14default_configENS1_38merge_sort_block_merge_config_selectorIflEEZZNS1_27merge_sort_block_merge_implIS3_PfN6thrust23THRUST_200600_302600_NS10device_ptrIlEEjNS1_19radix_merge_compareILb0ELb0EfNS0_19identity_decomposerEEEEE10hipError_tT0_T1_T2_jT3_P12ihipStream_tbPNSt15iterator_traitsISG_E10value_typeEPNSM_ISH_E10value_typeEPSI_NS1_7vsmem_tEENKUlT_SG_SH_SI_E_clIS7_S7_PlSB_EESF_SV_SG_SH_SI_EUlSV_E0_NS1_11comp_targetILNS1_3genE10ELNS1_11target_archE1201ELNS1_3gpuE5ELNS1_3repE0EEENS1_38merge_mergepath_config_static_selectorELNS0_4arch9wavefront6targetE1EEEvSH_
    .private_segment_fixed_size: 0
    .sgpr_count:     4
    .sgpr_spill_count: 0
    .symbol:         _ZN7rocprim17ROCPRIM_400000_NS6detail17trampoline_kernelINS0_14default_configENS1_38merge_sort_block_merge_config_selectorIflEEZZNS1_27merge_sort_block_merge_implIS3_PfN6thrust23THRUST_200600_302600_NS10device_ptrIlEEjNS1_19radix_merge_compareILb0ELb0EfNS0_19identity_decomposerEEEEE10hipError_tT0_T1_T2_jT3_P12ihipStream_tbPNSt15iterator_traitsISG_E10value_typeEPNSM_ISH_E10value_typeEPSI_NS1_7vsmem_tEENKUlT_SG_SH_SI_E_clIS7_S7_PlSB_EESF_SV_SG_SH_SI_EUlSV_E0_NS1_11comp_targetILNS1_3genE10ELNS1_11target_archE1201ELNS1_3gpuE5ELNS1_3repE0EEENS1_38merge_mergepath_config_static_selectorELNS0_4arch9wavefront6targetE1EEEvSH_.kd
    .uniform_work_group_size: 1
    .uses_dynamic_stack: false
    .vgpr_count:     0
    .vgpr_spill_count: 0
    .wavefront_size: 64
  - .agpr_count:     0
    .args:
      - .offset:         0
        .size:           64
        .value_kind:     by_value
    .group_segment_fixed_size: 0
    .kernarg_segment_align: 8
    .kernarg_segment_size: 64
    .language:       OpenCL C
    .language_version:
      - 2
      - 0
    .max_flat_workgroup_size: 128
    .name:           _ZN7rocprim17ROCPRIM_400000_NS6detail17trampoline_kernelINS0_14default_configENS1_38merge_sort_block_merge_config_selectorIflEEZZNS1_27merge_sort_block_merge_implIS3_PfN6thrust23THRUST_200600_302600_NS10device_ptrIlEEjNS1_19radix_merge_compareILb0ELb0EfNS0_19identity_decomposerEEEEE10hipError_tT0_T1_T2_jT3_P12ihipStream_tbPNSt15iterator_traitsISG_E10value_typeEPNSM_ISH_E10value_typeEPSI_NS1_7vsmem_tEENKUlT_SG_SH_SI_E_clIS7_S7_PlSB_EESF_SV_SG_SH_SI_EUlSV_E0_NS1_11comp_targetILNS1_3genE5ELNS1_11target_archE942ELNS1_3gpuE9ELNS1_3repE0EEENS1_38merge_mergepath_config_static_selectorELNS0_4arch9wavefront6targetE1EEEvSH_
    .private_segment_fixed_size: 0
    .sgpr_count:     4
    .sgpr_spill_count: 0
    .symbol:         _ZN7rocprim17ROCPRIM_400000_NS6detail17trampoline_kernelINS0_14default_configENS1_38merge_sort_block_merge_config_selectorIflEEZZNS1_27merge_sort_block_merge_implIS3_PfN6thrust23THRUST_200600_302600_NS10device_ptrIlEEjNS1_19radix_merge_compareILb0ELb0EfNS0_19identity_decomposerEEEEE10hipError_tT0_T1_T2_jT3_P12ihipStream_tbPNSt15iterator_traitsISG_E10value_typeEPNSM_ISH_E10value_typeEPSI_NS1_7vsmem_tEENKUlT_SG_SH_SI_E_clIS7_S7_PlSB_EESF_SV_SG_SH_SI_EUlSV_E0_NS1_11comp_targetILNS1_3genE5ELNS1_11target_archE942ELNS1_3gpuE9ELNS1_3repE0EEENS1_38merge_mergepath_config_static_selectorELNS0_4arch9wavefront6targetE1EEEvSH_.kd
    .uniform_work_group_size: 1
    .uses_dynamic_stack: false
    .vgpr_count:     0
    .vgpr_spill_count: 0
    .wavefront_size: 64
  - .agpr_count:     0
    .args:
      - .offset:         0
        .size:           64
        .value_kind:     by_value
      - .offset:         64
        .size:           4
        .value_kind:     hidden_block_count_x
      - .offset:         68
        .size:           4
        .value_kind:     hidden_block_count_y
      - .offset:         72
        .size:           4
        .value_kind:     hidden_block_count_z
      - .offset:         76
        .size:           2
        .value_kind:     hidden_group_size_x
      - .offset:         78
        .size:           2
        .value_kind:     hidden_group_size_y
      - .offset:         80
        .size:           2
        .value_kind:     hidden_group_size_z
      - .offset:         82
        .size:           2
        .value_kind:     hidden_remainder_x
      - .offset:         84
        .size:           2
        .value_kind:     hidden_remainder_y
      - .offset:         86
        .size:           2
        .value_kind:     hidden_remainder_z
      - .offset:         104
        .size:           8
        .value_kind:     hidden_global_offset_x
      - .offset:         112
        .size:           8
        .value_kind:     hidden_global_offset_y
      - .offset:         120
        .size:           8
        .value_kind:     hidden_global_offset_z
      - .offset:         128
        .size:           2
        .value_kind:     hidden_grid_dims
    .group_segment_fixed_size: 8448
    .kernarg_segment_align: 8
    .kernarg_segment_size: 320
    .language:       OpenCL C
    .language_version:
      - 2
      - 0
    .max_flat_workgroup_size: 256
    .name:           _ZN7rocprim17ROCPRIM_400000_NS6detail17trampoline_kernelINS0_14default_configENS1_38merge_sort_block_merge_config_selectorIflEEZZNS1_27merge_sort_block_merge_implIS3_PfN6thrust23THRUST_200600_302600_NS10device_ptrIlEEjNS1_19radix_merge_compareILb0ELb0EfNS0_19identity_decomposerEEEEE10hipError_tT0_T1_T2_jT3_P12ihipStream_tbPNSt15iterator_traitsISG_E10value_typeEPNSM_ISH_E10value_typeEPSI_NS1_7vsmem_tEENKUlT_SG_SH_SI_E_clIS7_S7_PlSB_EESF_SV_SG_SH_SI_EUlSV_E0_NS1_11comp_targetILNS1_3genE4ELNS1_11target_archE910ELNS1_3gpuE8ELNS1_3repE0EEENS1_38merge_mergepath_config_static_selectorELNS0_4arch9wavefront6targetE1EEEvSH_
    .private_segment_fixed_size: 0
    .sgpr_count:     34
    .sgpr_spill_count: 0
    .symbol:         _ZN7rocprim17ROCPRIM_400000_NS6detail17trampoline_kernelINS0_14default_configENS1_38merge_sort_block_merge_config_selectorIflEEZZNS1_27merge_sort_block_merge_implIS3_PfN6thrust23THRUST_200600_302600_NS10device_ptrIlEEjNS1_19radix_merge_compareILb0ELb0EfNS0_19identity_decomposerEEEEE10hipError_tT0_T1_T2_jT3_P12ihipStream_tbPNSt15iterator_traitsISG_E10value_typeEPNSM_ISH_E10value_typeEPSI_NS1_7vsmem_tEENKUlT_SG_SH_SI_E_clIS7_S7_PlSB_EESF_SV_SG_SH_SI_EUlSV_E0_NS1_11comp_targetILNS1_3genE4ELNS1_11target_archE910ELNS1_3gpuE8ELNS1_3repE0EEENS1_38merge_mergepath_config_static_selectorELNS0_4arch9wavefront6targetE1EEEvSH_.kd
    .uniform_work_group_size: 1
    .uses_dynamic_stack: false
    .vgpr_count:     35
    .vgpr_spill_count: 0
    .wavefront_size: 64
  - .agpr_count:     0
    .args:
      - .offset:         0
        .size:           64
        .value_kind:     by_value
    .group_segment_fixed_size: 0
    .kernarg_segment_align: 8
    .kernarg_segment_size: 64
    .language:       OpenCL C
    .language_version:
      - 2
      - 0
    .max_flat_workgroup_size: 512
    .name:           _ZN7rocprim17ROCPRIM_400000_NS6detail17trampoline_kernelINS0_14default_configENS1_38merge_sort_block_merge_config_selectorIflEEZZNS1_27merge_sort_block_merge_implIS3_PfN6thrust23THRUST_200600_302600_NS10device_ptrIlEEjNS1_19radix_merge_compareILb0ELb0EfNS0_19identity_decomposerEEEEE10hipError_tT0_T1_T2_jT3_P12ihipStream_tbPNSt15iterator_traitsISG_E10value_typeEPNSM_ISH_E10value_typeEPSI_NS1_7vsmem_tEENKUlT_SG_SH_SI_E_clIS7_S7_PlSB_EESF_SV_SG_SH_SI_EUlSV_E0_NS1_11comp_targetILNS1_3genE3ELNS1_11target_archE908ELNS1_3gpuE7ELNS1_3repE0EEENS1_38merge_mergepath_config_static_selectorELNS0_4arch9wavefront6targetE1EEEvSH_
    .private_segment_fixed_size: 0
    .sgpr_count:     4
    .sgpr_spill_count: 0
    .symbol:         _ZN7rocprim17ROCPRIM_400000_NS6detail17trampoline_kernelINS0_14default_configENS1_38merge_sort_block_merge_config_selectorIflEEZZNS1_27merge_sort_block_merge_implIS3_PfN6thrust23THRUST_200600_302600_NS10device_ptrIlEEjNS1_19radix_merge_compareILb0ELb0EfNS0_19identity_decomposerEEEEE10hipError_tT0_T1_T2_jT3_P12ihipStream_tbPNSt15iterator_traitsISG_E10value_typeEPNSM_ISH_E10value_typeEPSI_NS1_7vsmem_tEENKUlT_SG_SH_SI_E_clIS7_S7_PlSB_EESF_SV_SG_SH_SI_EUlSV_E0_NS1_11comp_targetILNS1_3genE3ELNS1_11target_archE908ELNS1_3gpuE7ELNS1_3repE0EEENS1_38merge_mergepath_config_static_selectorELNS0_4arch9wavefront6targetE1EEEvSH_.kd
    .uniform_work_group_size: 1
    .uses_dynamic_stack: false
    .vgpr_count:     0
    .vgpr_spill_count: 0
    .wavefront_size: 64
  - .agpr_count:     0
    .args:
      - .offset:         0
        .size:           64
        .value_kind:     by_value
    .group_segment_fixed_size: 0
    .kernarg_segment_align: 8
    .kernarg_segment_size: 64
    .language:       OpenCL C
    .language_version:
      - 2
      - 0
    .max_flat_workgroup_size: 256
    .name:           _ZN7rocprim17ROCPRIM_400000_NS6detail17trampoline_kernelINS0_14default_configENS1_38merge_sort_block_merge_config_selectorIflEEZZNS1_27merge_sort_block_merge_implIS3_PfN6thrust23THRUST_200600_302600_NS10device_ptrIlEEjNS1_19radix_merge_compareILb0ELb0EfNS0_19identity_decomposerEEEEE10hipError_tT0_T1_T2_jT3_P12ihipStream_tbPNSt15iterator_traitsISG_E10value_typeEPNSM_ISH_E10value_typeEPSI_NS1_7vsmem_tEENKUlT_SG_SH_SI_E_clIS7_S7_PlSB_EESF_SV_SG_SH_SI_EUlSV_E0_NS1_11comp_targetILNS1_3genE2ELNS1_11target_archE906ELNS1_3gpuE6ELNS1_3repE0EEENS1_38merge_mergepath_config_static_selectorELNS0_4arch9wavefront6targetE1EEEvSH_
    .private_segment_fixed_size: 0
    .sgpr_count:     4
    .sgpr_spill_count: 0
    .symbol:         _ZN7rocprim17ROCPRIM_400000_NS6detail17trampoline_kernelINS0_14default_configENS1_38merge_sort_block_merge_config_selectorIflEEZZNS1_27merge_sort_block_merge_implIS3_PfN6thrust23THRUST_200600_302600_NS10device_ptrIlEEjNS1_19radix_merge_compareILb0ELb0EfNS0_19identity_decomposerEEEEE10hipError_tT0_T1_T2_jT3_P12ihipStream_tbPNSt15iterator_traitsISG_E10value_typeEPNSM_ISH_E10value_typeEPSI_NS1_7vsmem_tEENKUlT_SG_SH_SI_E_clIS7_S7_PlSB_EESF_SV_SG_SH_SI_EUlSV_E0_NS1_11comp_targetILNS1_3genE2ELNS1_11target_archE906ELNS1_3gpuE6ELNS1_3repE0EEENS1_38merge_mergepath_config_static_selectorELNS0_4arch9wavefront6targetE1EEEvSH_.kd
    .uniform_work_group_size: 1
    .uses_dynamic_stack: false
    .vgpr_count:     0
    .vgpr_spill_count: 0
    .wavefront_size: 64
  - .agpr_count:     0
    .args:
      - .offset:         0
        .size:           64
        .value_kind:     by_value
    .group_segment_fixed_size: 0
    .kernarg_segment_align: 8
    .kernarg_segment_size: 64
    .language:       OpenCL C
    .language_version:
      - 2
      - 0
    .max_flat_workgroup_size: 512
    .name:           _ZN7rocprim17ROCPRIM_400000_NS6detail17trampoline_kernelINS0_14default_configENS1_38merge_sort_block_merge_config_selectorIflEEZZNS1_27merge_sort_block_merge_implIS3_PfN6thrust23THRUST_200600_302600_NS10device_ptrIlEEjNS1_19radix_merge_compareILb0ELb0EfNS0_19identity_decomposerEEEEE10hipError_tT0_T1_T2_jT3_P12ihipStream_tbPNSt15iterator_traitsISG_E10value_typeEPNSM_ISH_E10value_typeEPSI_NS1_7vsmem_tEENKUlT_SG_SH_SI_E_clIS7_S7_PlSB_EESF_SV_SG_SH_SI_EUlSV_E0_NS1_11comp_targetILNS1_3genE9ELNS1_11target_archE1100ELNS1_3gpuE3ELNS1_3repE0EEENS1_38merge_mergepath_config_static_selectorELNS0_4arch9wavefront6targetE1EEEvSH_
    .private_segment_fixed_size: 0
    .sgpr_count:     4
    .sgpr_spill_count: 0
    .symbol:         _ZN7rocprim17ROCPRIM_400000_NS6detail17trampoline_kernelINS0_14default_configENS1_38merge_sort_block_merge_config_selectorIflEEZZNS1_27merge_sort_block_merge_implIS3_PfN6thrust23THRUST_200600_302600_NS10device_ptrIlEEjNS1_19radix_merge_compareILb0ELb0EfNS0_19identity_decomposerEEEEE10hipError_tT0_T1_T2_jT3_P12ihipStream_tbPNSt15iterator_traitsISG_E10value_typeEPNSM_ISH_E10value_typeEPSI_NS1_7vsmem_tEENKUlT_SG_SH_SI_E_clIS7_S7_PlSB_EESF_SV_SG_SH_SI_EUlSV_E0_NS1_11comp_targetILNS1_3genE9ELNS1_11target_archE1100ELNS1_3gpuE3ELNS1_3repE0EEENS1_38merge_mergepath_config_static_selectorELNS0_4arch9wavefront6targetE1EEEvSH_.kd
    .uniform_work_group_size: 1
    .uses_dynamic_stack: false
    .vgpr_count:     0
    .vgpr_spill_count: 0
    .wavefront_size: 64
  - .agpr_count:     0
    .args:
      - .offset:         0
        .size:           64
        .value_kind:     by_value
    .group_segment_fixed_size: 0
    .kernarg_segment_align: 8
    .kernarg_segment_size: 64
    .language:       OpenCL C
    .language_version:
      - 2
      - 0
    .max_flat_workgroup_size: 1024
    .name:           _ZN7rocprim17ROCPRIM_400000_NS6detail17trampoline_kernelINS0_14default_configENS1_38merge_sort_block_merge_config_selectorIflEEZZNS1_27merge_sort_block_merge_implIS3_PfN6thrust23THRUST_200600_302600_NS10device_ptrIlEEjNS1_19radix_merge_compareILb0ELb0EfNS0_19identity_decomposerEEEEE10hipError_tT0_T1_T2_jT3_P12ihipStream_tbPNSt15iterator_traitsISG_E10value_typeEPNSM_ISH_E10value_typeEPSI_NS1_7vsmem_tEENKUlT_SG_SH_SI_E_clIS7_S7_PlSB_EESF_SV_SG_SH_SI_EUlSV_E0_NS1_11comp_targetILNS1_3genE8ELNS1_11target_archE1030ELNS1_3gpuE2ELNS1_3repE0EEENS1_38merge_mergepath_config_static_selectorELNS0_4arch9wavefront6targetE1EEEvSH_
    .private_segment_fixed_size: 0
    .sgpr_count:     4
    .sgpr_spill_count: 0
    .symbol:         _ZN7rocprim17ROCPRIM_400000_NS6detail17trampoline_kernelINS0_14default_configENS1_38merge_sort_block_merge_config_selectorIflEEZZNS1_27merge_sort_block_merge_implIS3_PfN6thrust23THRUST_200600_302600_NS10device_ptrIlEEjNS1_19radix_merge_compareILb0ELb0EfNS0_19identity_decomposerEEEEE10hipError_tT0_T1_T2_jT3_P12ihipStream_tbPNSt15iterator_traitsISG_E10value_typeEPNSM_ISH_E10value_typeEPSI_NS1_7vsmem_tEENKUlT_SG_SH_SI_E_clIS7_S7_PlSB_EESF_SV_SG_SH_SI_EUlSV_E0_NS1_11comp_targetILNS1_3genE8ELNS1_11target_archE1030ELNS1_3gpuE2ELNS1_3repE0EEENS1_38merge_mergepath_config_static_selectorELNS0_4arch9wavefront6targetE1EEEvSH_.kd
    .uniform_work_group_size: 1
    .uses_dynamic_stack: false
    .vgpr_count:     0
    .vgpr_spill_count: 0
    .wavefront_size: 64
  - .agpr_count:     0
    .args:
      - .offset:         0
        .size:           48
        .value_kind:     by_value
    .group_segment_fixed_size: 0
    .kernarg_segment_align: 8
    .kernarg_segment_size: 48
    .language:       OpenCL C
    .language_version:
      - 2
      - 0
    .max_flat_workgroup_size: 256
    .name:           _ZN7rocprim17ROCPRIM_400000_NS6detail17trampoline_kernelINS0_14default_configENS1_38merge_sort_block_merge_config_selectorIflEEZZNS1_27merge_sort_block_merge_implIS3_PfN6thrust23THRUST_200600_302600_NS10device_ptrIlEEjNS1_19radix_merge_compareILb0ELb0EfNS0_19identity_decomposerEEEEE10hipError_tT0_T1_T2_jT3_P12ihipStream_tbPNSt15iterator_traitsISG_E10value_typeEPNSM_ISH_E10value_typeEPSI_NS1_7vsmem_tEENKUlT_SG_SH_SI_E_clIS7_S7_PlSB_EESF_SV_SG_SH_SI_EUlSV_E1_NS1_11comp_targetILNS1_3genE0ELNS1_11target_archE4294967295ELNS1_3gpuE0ELNS1_3repE0EEENS1_36merge_oddeven_config_static_selectorELNS0_4arch9wavefront6targetE1EEEvSH_
    .private_segment_fixed_size: 0
    .sgpr_count:     4
    .sgpr_spill_count: 0
    .symbol:         _ZN7rocprim17ROCPRIM_400000_NS6detail17trampoline_kernelINS0_14default_configENS1_38merge_sort_block_merge_config_selectorIflEEZZNS1_27merge_sort_block_merge_implIS3_PfN6thrust23THRUST_200600_302600_NS10device_ptrIlEEjNS1_19radix_merge_compareILb0ELb0EfNS0_19identity_decomposerEEEEE10hipError_tT0_T1_T2_jT3_P12ihipStream_tbPNSt15iterator_traitsISG_E10value_typeEPNSM_ISH_E10value_typeEPSI_NS1_7vsmem_tEENKUlT_SG_SH_SI_E_clIS7_S7_PlSB_EESF_SV_SG_SH_SI_EUlSV_E1_NS1_11comp_targetILNS1_3genE0ELNS1_11target_archE4294967295ELNS1_3gpuE0ELNS1_3repE0EEENS1_36merge_oddeven_config_static_selectorELNS0_4arch9wavefront6targetE1EEEvSH_.kd
    .uniform_work_group_size: 1
    .uses_dynamic_stack: false
    .vgpr_count:     0
    .vgpr_spill_count: 0
    .wavefront_size: 64
  - .agpr_count:     0
    .args:
      - .offset:         0
        .size:           48
        .value_kind:     by_value
    .group_segment_fixed_size: 0
    .kernarg_segment_align: 8
    .kernarg_segment_size: 48
    .language:       OpenCL C
    .language_version:
      - 2
      - 0
    .max_flat_workgroup_size: 256
    .name:           _ZN7rocprim17ROCPRIM_400000_NS6detail17trampoline_kernelINS0_14default_configENS1_38merge_sort_block_merge_config_selectorIflEEZZNS1_27merge_sort_block_merge_implIS3_PfN6thrust23THRUST_200600_302600_NS10device_ptrIlEEjNS1_19radix_merge_compareILb0ELb0EfNS0_19identity_decomposerEEEEE10hipError_tT0_T1_T2_jT3_P12ihipStream_tbPNSt15iterator_traitsISG_E10value_typeEPNSM_ISH_E10value_typeEPSI_NS1_7vsmem_tEENKUlT_SG_SH_SI_E_clIS7_S7_PlSB_EESF_SV_SG_SH_SI_EUlSV_E1_NS1_11comp_targetILNS1_3genE10ELNS1_11target_archE1201ELNS1_3gpuE5ELNS1_3repE0EEENS1_36merge_oddeven_config_static_selectorELNS0_4arch9wavefront6targetE1EEEvSH_
    .private_segment_fixed_size: 0
    .sgpr_count:     4
    .sgpr_spill_count: 0
    .symbol:         _ZN7rocprim17ROCPRIM_400000_NS6detail17trampoline_kernelINS0_14default_configENS1_38merge_sort_block_merge_config_selectorIflEEZZNS1_27merge_sort_block_merge_implIS3_PfN6thrust23THRUST_200600_302600_NS10device_ptrIlEEjNS1_19radix_merge_compareILb0ELb0EfNS0_19identity_decomposerEEEEE10hipError_tT0_T1_T2_jT3_P12ihipStream_tbPNSt15iterator_traitsISG_E10value_typeEPNSM_ISH_E10value_typeEPSI_NS1_7vsmem_tEENKUlT_SG_SH_SI_E_clIS7_S7_PlSB_EESF_SV_SG_SH_SI_EUlSV_E1_NS1_11comp_targetILNS1_3genE10ELNS1_11target_archE1201ELNS1_3gpuE5ELNS1_3repE0EEENS1_36merge_oddeven_config_static_selectorELNS0_4arch9wavefront6targetE1EEEvSH_.kd
    .uniform_work_group_size: 1
    .uses_dynamic_stack: false
    .vgpr_count:     0
    .vgpr_spill_count: 0
    .wavefront_size: 64
  - .agpr_count:     0
    .args:
      - .offset:         0
        .size:           48
        .value_kind:     by_value
    .group_segment_fixed_size: 0
    .kernarg_segment_align: 8
    .kernarg_segment_size: 48
    .language:       OpenCL C
    .language_version:
      - 2
      - 0
    .max_flat_workgroup_size: 256
    .name:           _ZN7rocprim17ROCPRIM_400000_NS6detail17trampoline_kernelINS0_14default_configENS1_38merge_sort_block_merge_config_selectorIflEEZZNS1_27merge_sort_block_merge_implIS3_PfN6thrust23THRUST_200600_302600_NS10device_ptrIlEEjNS1_19radix_merge_compareILb0ELb0EfNS0_19identity_decomposerEEEEE10hipError_tT0_T1_T2_jT3_P12ihipStream_tbPNSt15iterator_traitsISG_E10value_typeEPNSM_ISH_E10value_typeEPSI_NS1_7vsmem_tEENKUlT_SG_SH_SI_E_clIS7_S7_PlSB_EESF_SV_SG_SH_SI_EUlSV_E1_NS1_11comp_targetILNS1_3genE5ELNS1_11target_archE942ELNS1_3gpuE9ELNS1_3repE0EEENS1_36merge_oddeven_config_static_selectorELNS0_4arch9wavefront6targetE1EEEvSH_
    .private_segment_fixed_size: 0
    .sgpr_count:     4
    .sgpr_spill_count: 0
    .symbol:         _ZN7rocprim17ROCPRIM_400000_NS6detail17trampoline_kernelINS0_14default_configENS1_38merge_sort_block_merge_config_selectorIflEEZZNS1_27merge_sort_block_merge_implIS3_PfN6thrust23THRUST_200600_302600_NS10device_ptrIlEEjNS1_19radix_merge_compareILb0ELb0EfNS0_19identity_decomposerEEEEE10hipError_tT0_T1_T2_jT3_P12ihipStream_tbPNSt15iterator_traitsISG_E10value_typeEPNSM_ISH_E10value_typeEPSI_NS1_7vsmem_tEENKUlT_SG_SH_SI_E_clIS7_S7_PlSB_EESF_SV_SG_SH_SI_EUlSV_E1_NS1_11comp_targetILNS1_3genE5ELNS1_11target_archE942ELNS1_3gpuE9ELNS1_3repE0EEENS1_36merge_oddeven_config_static_selectorELNS0_4arch9wavefront6targetE1EEEvSH_.kd
    .uniform_work_group_size: 1
    .uses_dynamic_stack: false
    .vgpr_count:     0
    .vgpr_spill_count: 0
    .wavefront_size: 64
  - .agpr_count:     0
    .args:
      - .offset:         0
        .size:           48
        .value_kind:     by_value
    .group_segment_fixed_size: 0
    .kernarg_segment_align: 8
    .kernarg_segment_size: 48
    .language:       OpenCL C
    .language_version:
      - 2
      - 0
    .max_flat_workgroup_size: 256
    .name:           _ZN7rocprim17ROCPRIM_400000_NS6detail17trampoline_kernelINS0_14default_configENS1_38merge_sort_block_merge_config_selectorIflEEZZNS1_27merge_sort_block_merge_implIS3_PfN6thrust23THRUST_200600_302600_NS10device_ptrIlEEjNS1_19radix_merge_compareILb0ELb0EfNS0_19identity_decomposerEEEEE10hipError_tT0_T1_T2_jT3_P12ihipStream_tbPNSt15iterator_traitsISG_E10value_typeEPNSM_ISH_E10value_typeEPSI_NS1_7vsmem_tEENKUlT_SG_SH_SI_E_clIS7_S7_PlSB_EESF_SV_SG_SH_SI_EUlSV_E1_NS1_11comp_targetILNS1_3genE4ELNS1_11target_archE910ELNS1_3gpuE8ELNS1_3repE0EEENS1_36merge_oddeven_config_static_selectorELNS0_4arch9wavefront6targetE1EEEvSH_
    .private_segment_fixed_size: 0
    .sgpr_count:     28
    .sgpr_spill_count: 0
    .symbol:         _ZN7rocprim17ROCPRIM_400000_NS6detail17trampoline_kernelINS0_14default_configENS1_38merge_sort_block_merge_config_selectorIflEEZZNS1_27merge_sort_block_merge_implIS3_PfN6thrust23THRUST_200600_302600_NS10device_ptrIlEEjNS1_19radix_merge_compareILb0ELb0EfNS0_19identity_decomposerEEEEE10hipError_tT0_T1_T2_jT3_P12ihipStream_tbPNSt15iterator_traitsISG_E10value_typeEPNSM_ISH_E10value_typeEPSI_NS1_7vsmem_tEENKUlT_SG_SH_SI_E_clIS7_S7_PlSB_EESF_SV_SG_SH_SI_EUlSV_E1_NS1_11comp_targetILNS1_3genE4ELNS1_11target_archE910ELNS1_3gpuE8ELNS1_3repE0EEENS1_36merge_oddeven_config_static_selectorELNS0_4arch9wavefront6targetE1EEEvSH_.kd
    .uniform_work_group_size: 1
    .uses_dynamic_stack: false
    .vgpr_count:     13
    .vgpr_spill_count: 0
    .wavefront_size: 64
  - .agpr_count:     0
    .args:
      - .offset:         0
        .size:           48
        .value_kind:     by_value
    .group_segment_fixed_size: 0
    .kernarg_segment_align: 8
    .kernarg_segment_size: 48
    .language:       OpenCL C
    .language_version:
      - 2
      - 0
    .max_flat_workgroup_size: 256
    .name:           _ZN7rocprim17ROCPRIM_400000_NS6detail17trampoline_kernelINS0_14default_configENS1_38merge_sort_block_merge_config_selectorIflEEZZNS1_27merge_sort_block_merge_implIS3_PfN6thrust23THRUST_200600_302600_NS10device_ptrIlEEjNS1_19radix_merge_compareILb0ELb0EfNS0_19identity_decomposerEEEEE10hipError_tT0_T1_T2_jT3_P12ihipStream_tbPNSt15iterator_traitsISG_E10value_typeEPNSM_ISH_E10value_typeEPSI_NS1_7vsmem_tEENKUlT_SG_SH_SI_E_clIS7_S7_PlSB_EESF_SV_SG_SH_SI_EUlSV_E1_NS1_11comp_targetILNS1_3genE3ELNS1_11target_archE908ELNS1_3gpuE7ELNS1_3repE0EEENS1_36merge_oddeven_config_static_selectorELNS0_4arch9wavefront6targetE1EEEvSH_
    .private_segment_fixed_size: 0
    .sgpr_count:     4
    .sgpr_spill_count: 0
    .symbol:         _ZN7rocprim17ROCPRIM_400000_NS6detail17trampoline_kernelINS0_14default_configENS1_38merge_sort_block_merge_config_selectorIflEEZZNS1_27merge_sort_block_merge_implIS3_PfN6thrust23THRUST_200600_302600_NS10device_ptrIlEEjNS1_19radix_merge_compareILb0ELb0EfNS0_19identity_decomposerEEEEE10hipError_tT0_T1_T2_jT3_P12ihipStream_tbPNSt15iterator_traitsISG_E10value_typeEPNSM_ISH_E10value_typeEPSI_NS1_7vsmem_tEENKUlT_SG_SH_SI_E_clIS7_S7_PlSB_EESF_SV_SG_SH_SI_EUlSV_E1_NS1_11comp_targetILNS1_3genE3ELNS1_11target_archE908ELNS1_3gpuE7ELNS1_3repE0EEENS1_36merge_oddeven_config_static_selectorELNS0_4arch9wavefront6targetE1EEEvSH_.kd
    .uniform_work_group_size: 1
    .uses_dynamic_stack: false
    .vgpr_count:     0
    .vgpr_spill_count: 0
    .wavefront_size: 64
  - .agpr_count:     0
    .args:
      - .offset:         0
        .size:           48
        .value_kind:     by_value
    .group_segment_fixed_size: 0
    .kernarg_segment_align: 8
    .kernarg_segment_size: 48
    .language:       OpenCL C
    .language_version:
      - 2
      - 0
    .max_flat_workgroup_size: 256
    .name:           _ZN7rocprim17ROCPRIM_400000_NS6detail17trampoline_kernelINS0_14default_configENS1_38merge_sort_block_merge_config_selectorIflEEZZNS1_27merge_sort_block_merge_implIS3_PfN6thrust23THRUST_200600_302600_NS10device_ptrIlEEjNS1_19radix_merge_compareILb0ELb0EfNS0_19identity_decomposerEEEEE10hipError_tT0_T1_T2_jT3_P12ihipStream_tbPNSt15iterator_traitsISG_E10value_typeEPNSM_ISH_E10value_typeEPSI_NS1_7vsmem_tEENKUlT_SG_SH_SI_E_clIS7_S7_PlSB_EESF_SV_SG_SH_SI_EUlSV_E1_NS1_11comp_targetILNS1_3genE2ELNS1_11target_archE906ELNS1_3gpuE6ELNS1_3repE0EEENS1_36merge_oddeven_config_static_selectorELNS0_4arch9wavefront6targetE1EEEvSH_
    .private_segment_fixed_size: 0
    .sgpr_count:     4
    .sgpr_spill_count: 0
    .symbol:         _ZN7rocprim17ROCPRIM_400000_NS6detail17trampoline_kernelINS0_14default_configENS1_38merge_sort_block_merge_config_selectorIflEEZZNS1_27merge_sort_block_merge_implIS3_PfN6thrust23THRUST_200600_302600_NS10device_ptrIlEEjNS1_19radix_merge_compareILb0ELb0EfNS0_19identity_decomposerEEEEE10hipError_tT0_T1_T2_jT3_P12ihipStream_tbPNSt15iterator_traitsISG_E10value_typeEPNSM_ISH_E10value_typeEPSI_NS1_7vsmem_tEENKUlT_SG_SH_SI_E_clIS7_S7_PlSB_EESF_SV_SG_SH_SI_EUlSV_E1_NS1_11comp_targetILNS1_3genE2ELNS1_11target_archE906ELNS1_3gpuE6ELNS1_3repE0EEENS1_36merge_oddeven_config_static_selectorELNS0_4arch9wavefront6targetE1EEEvSH_.kd
    .uniform_work_group_size: 1
    .uses_dynamic_stack: false
    .vgpr_count:     0
    .vgpr_spill_count: 0
    .wavefront_size: 64
  - .agpr_count:     0
    .args:
      - .offset:         0
        .size:           48
        .value_kind:     by_value
    .group_segment_fixed_size: 0
    .kernarg_segment_align: 8
    .kernarg_segment_size: 48
    .language:       OpenCL C
    .language_version:
      - 2
      - 0
    .max_flat_workgroup_size: 256
    .name:           _ZN7rocprim17ROCPRIM_400000_NS6detail17trampoline_kernelINS0_14default_configENS1_38merge_sort_block_merge_config_selectorIflEEZZNS1_27merge_sort_block_merge_implIS3_PfN6thrust23THRUST_200600_302600_NS10device_ptrIlEEjNS1_19radix_merge_compareILb0ELb0EfNS0_19identity_decomposerEEEEE10hipError_tT0_T1_T2_jT3_P12ihipStream_tbPNSt15iterator_traitsISG_E10value_typeEPNSM_ISH_E10value_typeEPSI_NS1_7vsmem_tEENKUlT_SG_SH_SI_E_clIS7_S7_PlSB_EESF_SV_SG_SH_SI_EUlSV_E1_NS1_11comp_targetILNS1_3genE9ELNS1_11target_archE1100ELNS1_3gpuE3ELNS1_3repE0EEENS1_36merge_oddeven_config_static_selectorELNS0_4arch9wavefront6targetE1EEEvSH_
    .private_segment_fixed_size: 0
    .sgpr_count:     4
    .sgpr_spill_count: 0
    .symbol:         _ZN7rocprim17ROCPRIM_400000_NS6detail17trampoline_kernelINS0_14default_configENS1_38merge_sort_block_merge_config_selectorIflEEZZNS1_27merge_sort_block_merge_implIS3_PfN6thrust23THRUST_200600_302600_NS10device_ptrIlEEjNS1_19radix_merge_compareILb0ELb0EfNS0_19identity_decomposerEEEEE10hipError_tT0_T1_T2_jT3_P12ihipStream_tbPNSt15iterator_traitsISG_E10value_typeEPNSM_ISH_E10value_typeEPSI_NS1_7vsmem_tEENKUlT_SG_SH_SI_E_clIS7_S7_PlSB_EESF_SV_SG_SH_SI_EUlSV_E1_NS1_11comp_targetILNS1_3genE9ELNS1_11target_archE1100ELNS1_3gpuE3ELNS1_3repE0EEENS1_36merge_oddeven_config_static_selectorELNS0_4arch9wavefront6targetE1EEEvSH_.kd
    .uniform_work_group_size: 1
    .uses_dynamic_stack: false
    .vgpr_count:     0
    .vgpr_spill_count: 0
    .wavefront_size: 64
  - .agpr_count:     0
    .args:
      - .offset:         0
        .size:           48
        .value_kind:     by_value
    .group_segment_fixed_size: 0
    .kernarg_segment_align: 8
    .kernarg_segment_size: 48
    .language:       OpenCL C
    .language_version:
      - 2
      - 0
    .max_flat_workgroup_size: 256
    .name:           _ZN7rocprim17ROCPRIM_400000_NS6detail17trampoline_kernelINS0_14default_configENS1_38merge_sort_block_merge_config_selectorIflEEZZNS1_27merge_sort_block_merge_implIS3_PfN6thrust23THRUST_200600_302600_NS10device_ptrIlEEjNS1_19radix_merge_compareILb0ELb0EfNS0_19identity_decomposerEEEEE10hipError_tT0_T1_T2_jT3_P12ihipStream_tbPNSt15iterator_traitsISG_E10value_typeEPNSM_ISH_E10value_typeEPSI_NS1_7vsmem_tEENKUlT_SG_SH_SI_E_clIS7_S7_PlSB_EESF_SV_SG_SH_SI_EUlSV_E1_NS1_11comp_targetILNS1_3genE8ELNS1_11target_archE1030ELNS1_3gpuE2ELNS1_3repE0EEENS1_36merge_oddeven_config_static_selectorELNS0_4arch9wavefront6targetE1EEEvSH_
    .private_segment_fixed_size: 0
    .sgpr_count:     4
    .sgpr_spill_count: 0
    .symbol:         _ZN7rocprim17ROCPRIM_400000_NS6detail17trampoline_kernelINS0_14default_configENS1_38merge_sort_block_merge_config_selectorIflEEZZNS1_27merge_sort_block_merge_implIS3_PfN6thrust23THRUST_200600_302600_NS10device_ptrIlEEjNS1_19radix_merge_compareILb0ELb0EfNS0_19identity_decomposerEEEEE10hipError_tT0_T1_T2_jT3_P12ihipStream_tbPNSt15iterator_traitsISG_E10value_typeEPNSM_ISH_E10value_typeEPSI_NS1_7vsmem_tEENKUlT_SG_SH_SI_E_clIS7_S7_PlSB_EESF_SV_SG_SH_SI_EUlSV_E1_NS1_11comp_targetILNS1_3genE8ELNS1_11target_archE1030ELNS1_3gpuE2ELNS1_3repE0EEENS1_36merge_oddeven_config_static_selectorELNS0_4arch9wavefront6targetE1EEEvSH_.kd
    .uniform_work_group_size: 1
    .uses_dynamic_stack: false
    .vgpr_count:     0
    .vgpr_spill_count: 0
    .wavefront_size: 64
  - .agpr_count:     0
    .args:
      - .offset:         0
        .size:           40
        .value_kind:     by_value
    .group_segment_fixed_size: 0
    .kernarg_segment_align: 8
    .kernarg_segment_size: 40
    .language:       OpenCL C
    .language_version:
      - 2
      - 0
    .max_flat_workgroup_size: 128
    .name:           _ZN7rocprim17ROCPRIM_400000_NS6detail17trampoline_kernelINS0_14default_configENS1_38merge_sort_block_merge_config_selectorIflEEZZNS1_27merge_sort_block_merge_implIS3_PfN6thrust23THRUST_200600_302600_NS10device_ptrIlEEjNS1_19radix_merge_compareILb0ELb0EfNS0_19identity_decomposerEEEEE10hipError_tT0_T1_T2_jT3_P12ihipStream_tbPNSt15iterator_traitsISG_E10value_typeEPNSM_ISH_E10value_typeEPSI_NS1_7vsmem_tEENKUlT_SG_SH_SI_E_clIS7_S7_SB_PlEESF_SV_SG_SH_SI_EUlSV_E_NS1_11comp_targetILNS1_3genE0ELNS1_11target_archE4294967295ELNS1_3gpuE0ELNS1_3repE0EEENS1_48merge_mergepath_partition_config_static_selectorELNS0_4arch9wavefront6targetE1EEEvSH_
    .private_segment_fixed_size: 0
    .sgpr_count:     4
    .sgpr_spill_count: 0
    .symbol:         _ZN7rocprim17ROCPRIM_400000_NS6detail17trampoline_kernelINS0_14default_configENS1_38merge_sort_block_merge_config_selectorIflEEZZNS1_27merge_sort_block_merge_implIS3_PfN6thrust23THRUST_200600_302600_NS10device_ptrIlEEjNS1_19radix_merge_compareILb0ELb0EfNS0_19identity_decomposerEEEEE10hipError_tT0_T1_T2_jT3_P12ihipStream_tbPNSt15iterator_traitsISG_E10value_typeEPNSM_ISH_E10value_typeEPSI_NS1_7vsmem_tEENKUlT_SG_SH_SI_E_clIS7_S7_SB_PlEESF_SV_SG_SH_SI_EUlSV_E_NS1_11comp_targetILNS1_3genE0ELNS1_11target_archE4294967295ELNS1_3gpuE0ELNS1_3repE0EEENS1_48merge_mergepath_partition_config_static_selectorELNS0_4arch9wavefront6targetE1EEEvSH_.kd
    .uniform_work_group_size: 1
    .uses_dynamic_stack: false
    .vgpr_count:     0
    .vgpr_spill_count: 0
    .wavefront_size: 64
  - .agpr_count:     0
    .args:
      - .offset:         0
        .size:           40
        .value_kind:     by_value
    .group_segment_fixed_size: 0
    .kernarg_segment_align: 8
    .kernarg_segment_size: 40
    .language:       OpenCL C
    .language_version:
      - 2
      - 0
    .max_flat_workgroup_size: 128
    .name:           _ZN7rocprim17ROCPRIM_400000_NS6detail17trampoline_kernelINS0_14default_configENS1_38merge_sort_block_merge_config_selectorIflEEZZNS1_27merge_sort_block_merge_implIS3_PfN6thrust23THRUST_200600_302600_NS10device_ptrIlEEjNS1_19radix_merge_compareILb0ELb0EfNS0_19identity_decomposerEEEEE10hipError_tT0_T1_T2_jT3_P12ihipStream_tbPNSt15iterator_traitsISG_E10value_typeEPNSM_ISH_E10value_typeEPSI_NS1_7vsmem_tEENKUlT_SG_SH_SI_E_clIS7_S7_SB_PlEESF_SV_SG_SH_SI_EUlSV_E_NS1_11comp_targetILNS1_3genE10ELNS1_11target_archE1201ELNS1_3gpuE5ELNS1_3repE0EEENS1_48merge_mergepath_partition_config_static_selectorELNS0_4arch9wavefront6targetE1EEEvSH_
    .private_segment_fixed_size: 0
    .sgpr_count:     4
    .sgpr_spill_count: 0
    .symbol:         _ZN7rocprim17ROCPRIM_400000_NS6detail17trampoline_kernelINS0_14default_configENS1_38merge_sort_block_merge_config_selectorIflEEZZNS1_27merge_sort_block_merge_implIS3_PfN6thrust23THRUST_200600_302600_NS10device_ptrIlEEjNS1_19radix_merge_compareILb0ELb0EfNS0_19identity_decomposerEEEEE10hipError_tT0_T1_T2_jT3_P12ihipStream_tbPNSt15iterator_traitsISG_E10value_typeEPNSM_ISH_E10value_typeEPSI_NS1_7vsmem_tEENKUlT_SG_SH_SI_E_clIS7_S7_SB_PlEESF_SV_SG_SH_SI_EUlSV_E_NS1_11comp_targetILNS1_3genE10ELNS1_11target_archE1201ELNS1_3gpuE5ELNS1_3repE0EEENS1_48merge_mergepath_partition_config_static_selectorELNS0_4arch9wavefront6targetE1EEEvSH_.kd
    .uniform_work_group_size: 1
    .uses_dynamic_stack: false
    .vgpr_count:     0
    .vgpr_spill_count: 0
    .wavefront_size: 64
  - .agpr_count:     0
    .args:
      - .offset:         0
        .size:           40
        .value_kind:     by_value
    .group_segment_fixed_size: 0
    .kernarg_segment_align: 8
    .kernarg_segment_size: 40
    .language:       OpenCL C
    .language_version:
      - 2
      - 0
    .max_flat_workgroup_size: 128
    .name:           _ZN7rocprim17ROCPRIM_400000_NS6detail17trampoline_kernelINS0_14default_configENS1_38merge_sort_block_merge_config_selectorIflEEZZNS1_27merge_sort_block_merge_implIS3_PfN6thrust23THRUST_200600_302600_NS10device_ptrIlEEjNS1_19radix_merge_compareILb0ELb0EfNS0_19identity_decomposerEEEEE10hipError_tT0_T1_T2_jT3_P12ihipStream_tbPNSt15iterator_traitsISG_E10value_typeEPNSM_ISH_E10value_typeEPSI_NS1_7vsmem_tEENKUlT_SG_SH_SI_E_clIS7_S7_SB_PlEESF_SV_SG_SH_SI_EUlSV_E_NS1_11comp_targetILNS1_3genE5ELNS1_11target_archE942ELNS1_3gpuE9ELNS1_3repE0EEENS1_48merge_mergepath_partition_config_static_selectorELNS0_4arch9wavefront6targetE1EEEvSH_
    .private_segment_fixed_size: 0
    .sgpr_count:     4
    .sgpr_spill_count: 0
    .symbol:         _ZN7rocprim17ROCPRIM_400000_NS6detail17trampoline_kernelINS0_14default_configENS1_38merge_sort_block_merge_config_selectorIflEEZZNS1_27merge_sort_block_merge_implIS3_PfN6thrust23THRUST_200600_302600_NS10device_ptrIlEEjNS1_19radix_merge_compareILb0ELb0EfNS0_19identity_decomposerEEEEE10hipError_tT0_T1_T2_jT3_P12ihipStream_tbPNSt15iterator_traitsISG_E10value_typeEPNSM_ISH_E10value_typeEPSI_NS1_7vsmem_tEENKUlT_SG_SH_SI_E_clIS7_S7_SB_PlEESF_SV_SG_SH_SI_EUlSV_E_NS1_11comp_targetILNS1_3genE5ELNS1_11target_archE942ELNS1_3gpuE9ELNS1_3repE0EEENS1_48merge_mergepath_partition_config_static_selectorELNS0_4arch9wavefront6targetE1EEEvSH_.kd
    .uniform_work_group_size: 1
    .uses_dynamic_stack: false
    .vgpr_count:     0
    .vgpr_spill_count: 0
    .wavefront_size: 64
  - .agpr_count:     0
    .args:
      - .offset:         0
        .size:           40
        .value_kind:     by_value
    .group_segment_fixed_size: 0
    .kernarg_segment_align: 8
    .kernarg_segment_size: 40
    .language:       OpenCL C
    .language_version:
      - 2
      - 0
    .max_flat_workgroup_size: 128
    .name:           _ZN7rocprim17ROCPRIM_400000_NS6detail17trampoline_kernelINS0_14default_configENS1_38merge_sort_block_merge_config_selectorIflEEZZNS1_27merge_sort_block_merge_implIS3_PfN6thrust23THRUST_200600_302600_NS10device_ptrIlEEjNS1_19radix_merge_compareILb0ELb0EfNS0_19identity_decomposerEEEEE10hipError_tT0_T1_T2_jT3_P12ihipStream_tbPNSt15iterator_traitsISG_E10value_typeEPNSM_ISH_E10value_typeEPSI_NS1_7vsmem_tEENKUlT_SG_SH_SI_E_clIS7_S7_SB_PlEESF_SV_SG_SH_SI_EUlSV_E_NS1_11comp_targetILNS1_3genE4ELNS1_11target_archE910ELNS1_3gpuE8ELNS1_3repE0EEENS1_48merge_mergepath_partition_config_static_selectorELNS0_4arch9wavefront6targetE1EEEvSH_
    .private_segment_fixed_size: 0
    .sgpr_count:     12
    .sgpr_spill_count: 0
    .symbol:         _ZN7rocprim17ROCPRIM_400000_NS6detail17trampoline_kernelINS0_14default_configENS1_38merge_sort_block_merge_config_selectorIflEEZZNS1_27merge_sort_block_merge_implIS3_PfN6thrust23THRUST_200600_302600_NS10device_ptrIlEEjNS1_19radix_merge_compareILb0ELb0EfNS0_19identity_decomposerEEEEE10hipError_tT0_T1_T2_jT3_P12ihipStream_tbPNSt15iterator_traitsISG_E10value_typeEPNSM_ISH_E10value_typeEPSI_NS1_7vsmem_tEENKUlT_SG_SH_SI_E_clIS7_S7_SB_PlEESF_SV_SG_SH_SI_EUlSV_E_NS1_11comp_targetILNS1_3genE4ELNS1_11target_archE910ELNS1_3gpuE8ELNS1_3repE0EEENS1_48merge_mergepath_partition_config_static_selectorELNS0_4arch9wavefront6targetE1EEEvSH_.kd
    .uniform_work_group_size: 1
    .uses_dynamic_stack: false
    .vgpr_count:     18
    .vgpr_spill_count: 0
    .wavefront_size: 64
  - .agpr_count:     0
    .args:
      - .offset:         0
        .size:           40
        .value_kind:     by_value
    .group_segment_fixed_size: 0
    .kernarg_segment_align: 8
    .kernarg_segment_size: 40
    .language:       OpenCL C
    .language_version:
      - 2
      - 0
    .max_flat_workgroup_size: 128
    .name:           _ZN7rocprim17ROCPRIM_400000_NS6detail17trampoline_kernelINS0_14default_configENS1_38merge_sort_block_merge_config_selectorIflEEZZNS1_27merge_sort_block_merge_implIS3_PfN6thrust23THRUST_200600_302600_NS10device_ptrIlEEjNS1_19radix_merge_compareILb0ELb0EfNS0_19identity_decomposerEEEEE10hipError_tT0_T1_T2_jT3_P12ihipStream_tbPNSt15iterator_traitsISG_E10value_typeEPNSM_ISH_E10value_typeEPSI_NS1_7vsmem_tEENKUlT_SG_SH_SI_E_clIS7_S7_SB_PlEESF_SV_SG_SH_SI_EUlSV_E_NS1_11comp_targetILNS1_3genE3ELNS1_11target_archE908ELNS1_3gpuE7ELNS1_3repE0EEENS1_48merge_mergepath_partition_config_static_selectorELNS0_4arch9wavefront6targetE1EEEvSH_
    .private_segment_fixed_size: 0
    .sgpr_count:     4
    .sgpr_spill_count: 0
    .symbol:         _ZN7rocprim17ROCPRIM_400000_NS6detail17trampoline_kernelINS0_14default_configENS1_38merge_sort_block_merge_config_selectorIflEEZZNS1_27merge_sort_block_merge_implIS3_PfN6thrust23THRUST_200600_302600_NS10device_ptrIlEEjNS1_19radix_merge_compareILb0ELb0EfNS0_19identity_decomposerEEEEE10hipError_tT0_T1_T2_jT3_P12ihipStream_tbPNSt15iterator_traitsISG_E10value_typeEPNSM_ISH_E10value_typeEPSI_NS1_7vsmem_tEENKUlT_SG_SH_SI_E_clIS7_S7_SB_PlEESF_SV_SG_SH_SI_EUlSV_E_NS1_11comp_targetILNS1_3genE3ELNS1_11target_archE908ELNS1_3gpuE7ELNS1_3repE0EEENS1_48merge_mergepath_partition_config_static_selectorELNS0_4arch9wavefront6targetE1EEEvSH_.kd
    .uniform_work_group_size: 1
    .uses_dynamic_stack: false
    .vgpr_count:     0
    .vgpr_spill_count: 0
    .wavefront_size: 64
  - .agpr_count:     0
    .args:
      - .offset:         0
        .size:           40
        .value_kind:     by_value
    .group_segment_fixed_size: 0
    .kernarg_segment_align: 8
    .kernarg_segment_size: 40
    .language:       OpenCL C
    .language_version:
      - 2
      - 0
    .max_flat_workgroup_size: 128
    .name:           _ZN7rocprim17ROCPRIM_400000_NS6detail17trampoline_kernelINS0_14default_configENS1_38merge_sort_block_merge_config_selectorIflEEZZNS1_27merge_sort_block_merge_implIS3_PfN6thrust23THRUST_200600_302600_NS10device_ptrIlEEjNS1_19radix_merge_compareILb0ELb0EfNS0_19identity_decomposerEEEEE10hipError_tT0_T1_T2_jT3_P12ihipStream_tbPNSt15iterator_traitsISG_E10value_typeEPNSM_ISH_E10value_typeEPSI_NS1_7vsmem_tEENKUlT_SG_SH_SI_E_clIS7_S7_SB_PlEESF_SV_SG_SH_SI_EUlSV_E_NS1_11comp_targetILNS1_3genE2ELNS1_11target_archE906ELNS1_3gpuE6ELNS1_3repE0EEENS1_48merge_mergepath_partition_config_static_selectorELNS0_4arch9wavefront6targetE1EEEvSH_
    .private_segment_fixed_size: 0
    .sgpr_count:     4
    .sgpr_spill_count: 0
    .symbol:         _ZN7rocprim17ROCPRIM_400000_NS6detail17trampoline_kernelINS0_14default_configENS1_38merge_sort_block_merge_config_selectorIflEEZZNS1_27merge_sort_block_merge_implIS3_PfN6thrust23THRUST_200600_302600_NS10device_ptrIlEEjNS1_19radix_merge_compareILb0ELb0EfNS0_19identity_decomposerEEEEE10hipError_tT0_T1_T2_jT3_P12ihipStream_tbPNSt15iterator_traitsISG_E10value_typeEPNSM_ISH_E10value_typeEPSI_NS1_7vsmem_tEENKUlT_SG_SH_SI_E_clIS7_S7_SB_PlEESF_SV_SG_SH_SI_EUlSV_E_NS1_11comp_targetILNS1_3genE2ELNS1_11target_archE906ELNS1_3gpuE6ELNS1_3repE0EEENS1_48merge_mergepath_partition_config_static_selectorELNS0_4arch9wavefront6targetE1EEEvSH_.kd
    .uniform_work_group_size: 1
    .uses_dynamic_stack: false
    .vgpr_count:     0
    .vgpr_spill_count: 0
    .wavefront_size: 64
  - .agpr_count:     0
    .args:
      - .offset:         0
        .size:           40
        .value_kind:     by_value
    .group_segment_fixed_size: 0
    .kernarg_segment_align: 8
    .kernarg_segment_size: 40
    .language:       OpenCL C
    .language_version:
      - 2
      - 0
    .max_flat_workgroup_size: 128
    .name:           _ZN7rocprim17ROCPRIM_400000_NS6detail17trampoline_kernelINS0_14default_configENS1_38merge_sort_block_merge_config_selectorIflEEZZNS1_27merge_sort_block_merge_implIS3_PfN6thrust23THRUST_200600_302600_NS10device_ptrIlEEjNS1_19radix_merge_compareILb0ELb0EfNS0_19identity_decomposerEEEEE10hipError_tT0_T1_T2_jT3_P12ihipStream_tbPNSt15iterator_traitsISG_E10value_typeEPNSM_ISH_E10value_typeEPSI_NS1_7vsmem_tEENKUlT_SG_SH_SI_E_clIS7_S7_SB_PlEESF_SV_SG_SH_SI_EUlSV_E_NS1_11comp_targetILNS1_3genE9ELNS1_11target_archE1100ELNS1_3gpuE3ELNS1_3repE0EEENS1_48merge_mergepath_partition_config_static_selectorELNS0_4arch9wavefront6targetE1EEEvSH_
    .private_segment_fixed_size: 0
    .sgpr_count:     4
    .sgpr_spill_count: 0
    .symbol:         _ZN7rocprim17ROCPRIM_400000_NS6detail17trampoline_kernelINS0_14default_configENS1_38merge_sort_block_merge_config_selectorIflEEZZNS1_27merge_sort_block_merge_implIS3_PfN6thrust23THRUST_200600_302600_NS10device_ptrIlEEjNS1_19radix_merge_compareILb0ELb0EfNS0_19identity_decomposerEEEEE10hipError_tT0_T1_T2_jT3_P12ihipStream_tbPNSt15iterator_traitsISG_E10value_typeEPNSM_ISH_E10value_typeEPSI_NS1_7vsmem_tEENKUlT_SG_SH_SI_E_clIS7_S7_SB_PlEESF_SV_SG_SH_SI_EUlSV_E_NS1_11comp_targetILNS1_3genE9ELNS1_11target_archE1100ELNS1_3gpuE3ELNS1_3repE0EEENS1_48merge_mergepath_partition_config_static_selectorELNS0_4arch9wavefront6targetE1EEEvSH_.kd
    .uniform_work_group_size: 1
    .uses_dynamic_stack: false
    .vgpr_count:     0
    .vgpr_spill_count: 0
    .wavefront_size: 64
  - .agpr_count:     0
    .args:
      - .offset:         0
        .size:           40
        .value_kind:     by_value
    .group_segment_fixed_size: 0
    .kernarg_segment_align: 8
    .kernarg_segment_size: 40
    .language:       OpenCL C
    .language_version:
      - 2
      - 0
    .max_flat_workgroup_size: 128
    .name:           _ZN7rocprim17ROCPRIM_400000_NS6detail17trampoline_kernelINS0_14default_configENS1_38merge_sort_block_merge_config_selectorIflEEZZNS1_27merge_sort_block_merge_implIS3_PfN6thrust23THRUST_200600_302600_NS10device_ptrIlEEjNS1_19radix_merge_compareILb0ELb0EfNS0_19identity_decomposerEEEEE10hipError_tT0_T1_T2_jT3_P12ihipStream_tbPNSt15iterator_traitsISG_E10value_typeEPNSM_ISH_E10value_typeEPSI_NS1_7vsmem_tEENKUlT_SG_SH_SI_E_clIS7_S7_SB_PlEESF_SV_SG_SH_SI_EUlSV_E_NS1_11comp_targetILNS1_3genE8ELNS1_11target_archE1030ELNS1_3gpuE2ELNS1_3repE0EEENS1_48merge_mergepath_partition_config_static_selectorELNS0_4arch9wavefront6targetE1EEEvSH_
    .private_segment_fixed_size: 0
    .sgpr_count:     4
    .sgpr_spill_count: 0
    .symbol:         _ZN7rocprim17ROCPRIM_400000_NS6detail17trampoline_kernelINS0_14default_configENS1_38merge_sort_block_merge_config_selectorIflEEZZNS1_27merge_sort_block_merge_implIS3_PfN6thrust23THRUST_200600_302600_NS10device_ptrIlEEjNS1_19radix_merge_compareILb0ELb0EfNS0_19identity_decomposerEEEEE10hipError_tT0_T1_T2_jT3_P12ihipStream_tbPNSt15iterator_traitsISG_E10value_typeEPNSM_ISH_E10value_typeEPSI_NS1_7vsmem_tEENKUlT_SG_SH_SI_E_clIS7_S7_SB_PlEESF_SV_SG_SH_SI_EUlSV_E_NS1_11comp_targetILNS1_3genE8ELNS1_11target_archE1030ELNS1_3gpuE2ELNS1_3repE0EEENS1_48merge_mergepath_partition_config_static_selectorELNS0_4arch9wavefront6targetE1EEEvSH_.kd
    .uniform_work_group_size: 1
    .uses_dynamic_stack: false
    .vgpr_count:     0
    .vgpr_spill_count: 0
    .wavefront_size: 64
  - .agpr_count:     0
    .args:
      - .offset:         0
        .size:           64
        .value_kind:     by_value
    .group_segment_fixed_size: 0
    .kernarg_segment_align: 8
    .kernarg_segment_size: 64
    .language:       OpenCL C
    .language_version:
      - 2
      - 0
    .max_flat_workgroup_size: 512
    .name:           _ZN7rocprim17ROCPRIM_400000_NS6detail17trampoline_kernelINS0_14default_configENS1_38merge_sort_block_merge_config_selectorIflEEZZNS1_27merge_sort_block_merge_implIS3_PfN6thrust23THRUST_200600_302600_NS10device_ptrIlEEjNS1_19radix_merge_compareILb0ELb0EfNS0_19identity_decomposerEEEEE10hipError_tT0_T1_T2_jT3_P12ihipStream_tbPNSt15iterator_traitsISG_E10value_typeEPNSM_ISH_E10value_typeEPSI_NS1_7vsmem_tEENKUlT_SG_SH_SI_E_clIS7_S7_SB_PlEESF_SV_SG_SH_SI_EUlSV_E0_NS1_11comp_targetILNS1_3genE0ELNS1_11target_archE4294967295ELNS1_3gpuE0ELNS1_3repE0EEENS1_38merge_mergepath_config_static_selectorELNS0_4arch9wavefront6targetE1EEEvSH_
    .private_segment_fixed_size: 0
    .sgpr_count:     4
    .sgpr_spill_count: 0
    .symbol:         _ZN7rocprim17ROCPRIM_400000_NS6detail17trampoline_kernelINS0_14default_configENS1_38merge_sort_block_merge_config_selectorIflEEZZNS1_27merge_sort_block_merge_implIS3_PfN6thrust23THRUST_200600_302600_NS10device_ptrIlEEjNS1_19radix_merge_compareILb0ELb0EfNS0_19identity_decomposerEEEEE10hipError_tT0_T1_T2_jT3_P12ihipStream_tbPNSt15iterator_traitsISG_E10value_typeEPNSM_ISH_E10value_typeEPSI_NS1_7vsmem_tEENKUlT_SG_SH_SI_E_clIS7_S7_SB_PlEESF_SV_SG_SH_SI_EUlSV_E0_NS1_11comp_targetILNS1_3genE0ELNS1_11target_archE4294967295ELNS1_3gpuE0ELNS1_3repE0EEENS1_38merge_mergepath_config_static_selectorELNS0_4arch9wavefront6targetE1EEEvSH_.kd
    .uniform_work_group_size: 1
    .uses_dynamic_stack: false
    .vgpr_count:     0
    .vgpr_spill_count: 0
    .wavefront_size: 64
  - .agpr_count:     0
    .args:
      - .offset:         0
        .size:           64
        .value_kind:     by_value
    .group_segment_fixed_size: 0
    .kernarg_segment_align: 8
    .kernarg_segment_size: 64
    .language:       OpenCL C
    .language_version:
      - 2
      - 0
    .max_flat_workgroup_size: 512
    .name:           _ZN7rocprim17ROCPRIM_400000_NS6detail17trampoline_kernelINS0_14default_configENS1_38merge_sort_block_merge_config_selectorIflEEZZNS1_27merge_sort_block_merge_implIS3_PfN6thrust23THRUST_200600_302600_NS10device_ptrIlEEjNS1_19radix_merge_compareILb0ELb0EfNS0_19identity_decomposerEEEEE10hipError_tT0_T1_T2_jT3_P12ihipStream_tbPNSt15iterator_traitsISG_E10value_typeEPNSM_ISH_E10value_typeEPSI_NS1_7vsmem_tEENKUlT_SG_SH_SI_E_clIS7_S7_SB_PlEESF_SV_SG_SH_SI_EUlSV_E0_NS1_11comp_targetILNS1_3genE10ELNS1_11target_archE1201ELNS1_3gpuE5ELNS1_3repE0EEENS1_38merge_mergepath_config_static_selectorELNS0_4arch9wavefront6targetE1EEEvSH_
    .private_segment_fixed_size: 0
    .sgpr_count:     4
    .sgpr_spill_count: 0
    .symbol:         _ZN7rocprim17ROCPRIM_400000_NS6detail17trampoline_kernelINS0_14default_configENS1_38merge_sort_block_merge_config_selectorIflEEZZNS1_27merge_sort_block_merge_implIS3_PfN6thrust23THRUST_200600_302600_NS10device_ptrIlEEjNS1_19radix_merge_compareILb0ELb0EfNS0_19identity_decomposerEEEEE10hipError_tT0_T1_T2_jT3_P12ihipStream_tbPNSt15iterator_traitsISG_E10value_typeEPNSM_ISH_E10value_typeEPSI_NS1_7vsmem_tEENKUlT_SG_SH_SI_E_clIS7_S7_SB_PlEESF_SV_SG_SH_SI_EUlSV_E0_NS1_11comp_targetILNS1_3genE10ELNS1_11target_archE1201ELNS1_3gpuE5ELNS1_3repE0EEENS1_38merge_mergepath_config_static_selectorELNS0_4arch9wavefront6targetE1EEEvSH_.kd
    .uniform_work_group_size: 1
    .uses_dynamic_stack: false
    .vgpr_count:     0
    .vgpr_spill_count: 0
    .wavefront_size: 64
  - .agpr_count:     0
    .args:
      - .offset:         0
        .size:           64
        .value_kind:     by_value
    .group_segment_fixed_size: 0
    .kernarg_segment_align: 8
    .kernarg_segment_size: 64
    .language:       OpenCL C
    .language_version:
      - 2
      - 0
    .max_flat_workgroup_size: 128
    .name:           _ZN7rocprim17ROCPRIM_400000_NS6detail17trampoline_kernelINS0_14default_configENS1_38merge_sort_block_merge_config_selectorIflEEZZNS1_27merge_sort_block_merge_implIS3_PfN6thrust23THRUST_200600_302600_NS10device_ptrIlEEjNS1_19radix_merge_compareILb0ELb0EfNS0_19identity_decomposerEEEEE10hipError_tT0_T1_T2_jT3_P12ihipStream_tbPNSt15iterator_traitsISG_E10value_typeEPNSM_ISH_E10value_typeEPSI_NS1_7vsmem_tEENKUlT_SG_SH_SI_E_clIS7_S7_SB_PlEESF_SV_SG_SH_SI_EUlSV_E0_NS1_11comp_targetILNS1_3genE5ELNS1_11target_archE942ELNS1_3gpuE9ELNS1_3repE0EEENS1_38merge_mergepath_config_static_selectorELNS0_4arch9wavefront6targetE1EEEvSH_
    .private_segment_fixed_size: 0
    .sgpr_count:     4
    .sgpr_spill_count: 0
    .symbol:         _ZN7rocprim17ROCPRIM_400000_NS6detail17trampoline_kernelINS0_14default_configENS1_38merge_sort_block_merge_config_selectorIflEEZZNS1_27merge_sort_block_merge_implIS3_PfN6thrust23THRUST_200600_302600_NS10device_ptrIlEEjNS1_19radix_merge_compareILb0ELb0EfNS0_19identity_decomposerEEEEE10hipError_tT0_T1_T2_jT3_P12ihipStream_tbPNSt15iterator_traitsISG_E10value_typeEPNSM_ISH_E10value_typeEPSI_NS1_7vsmem_tEENKUlT_SG_SH_SI_E_clIS7_S7_SB_PlEESF_SV_SG_SH_SI_EUlSV_E0_NS1_11comp_targetILNS1_3genE5ELNS1_11target_archE942ELNS1_3gpuE9ELNS1_3repE0EEENS1_38merge_mergepath_config_static_selectorELNS0_4arch9wavefront6targetE1EEEvSH_.kd
    .uniform_work_group_size: 1
    .uses_dynamic_stack: false
    .vgpr_count:     0
    .vgpr_spill_count: 0
    .wavefront_size: 64
  - .agpr_count:     0
    .args:
      - .offset:         0
        .size:           64
        .value_kind:     by_value
      - .offset:         64
        .size:           4
        .value_kind:     hidden_block_count_x
      - .offset:         68
        .size:           4
        .value_kind:     hidden_block_count_y
      - .offset:         72
        .size:           4
        .value_kind:     hidden_block_count_z
      - .offset:         76
        .size:           2
        .value_kind:     hidden_group_size_x
      - .offset:         78
        .size:           2
        .value_kind:     hidden_group_size_y
      - .offset:         80
        .size:           2
        .value_kind:     hidden_group_size_z
      - .offset:         82
        .size:           2
        .value_kind:     hidden_remainder_x
      - .offset:         84
        .size:           2
        .value_kind:     hidden_remainder_y
      - .offset:         86
        .size:           2
        .value_kind:     hidden_remainder_z
      - .offset:         104
        .size:           8
        .value_kind:     hidden_global_offset_x
      - .offset:         112
        .size:           8
        .value_kind:     hidden_global_offset_y
      - .offset:         120
        .size:           8
        .value_kind:     hidden_global_offset_z
      - .offset:         128
        .size:           2
        .value_kind:     hidden_grid_dims
    .group_segment_fixed_size: 8448
    .kernarg_segment_align: 8
    .kernarg_segment_size: 320
    .language:       OpenCL C
    .language_version:
      - 2
      - 0
    .max_flat_workgroup_size: 256
    .name:           _ZN7rocprim17ROCPRIM_400000_NS6detail17trampoline_kernelINS0_14default_configENS1_38merge_sort_block_merge_config_selectorIflEEZZNS1_27merge_sort_block_merge_implIS3_PfN6thrust23THRUST_200600_302600_NS10device_ptrIlEEjNS1_19radix_merge_compareILb0ELb0EfNS0_19identity_decomposerEEEEE10hipError_tT0_T1_T2_jT3_P12ihipStream_tbPNSt15iterator_traitsISG_E10value_typeEPNSM_ISH_E10value_typeEPSI_NS1_7vsmem_tEENKUlT_SG_SH_SI_E_clIS7_S7_SB_PlEESF_SV_SG_SH_SI_EUlSV_E0_NS1_11comp_targetILNS1_3genE4ELNS1_11target_archE910ELNS1_3gpuE8ELNS1_3repE0EEENS1_38merge_mergepath_config_static_selectorELNS0_4arch9wavefront6targetE1EEEvSH_
    .private_segment_fixed_size: 0
    .sgpr_count:     34
    .sgpr_spill_count: 0
    .symbol:         _ZN7rocprim17ROCPRIM_400000_NS6detail17trampoline_kernelINS0_14default_configENS1_38merge_sort_block_merge_config_selectorIflEEZZNS1_27merge_sort_block_merge_implIS3_PfN6thrust23THRUST_200600_302600_NS10device_ptrIlEEjNS1_19radix_merge_compareILb0ELb0EfNS0_19identity_decomposerEEEEE10hipError_tT0_T1_T2_jT3_P12ihipStream_tbPNSt15iterator_traitsISG_E10value_typeEPNSM_ISH_E10value_typeEPSI_NS1_7vsmem_tEENKUlT_SG_SH_SI_E_clIS7_S7_SB_PlEESF_SV_SG_SH_SI_EUlSV_E0_NS1_11comp_targetILNS1_3genE4ELNS1_11target_archE910ELNS1_3gpuE8ELNS1_3repE0EEENS1_38merge_mergepath_config_static_selectorELNS0_4arch9wavefront6targetE1EEEvSH_.kd
    .uniform_work_group_size: 1
    .uses_dynamic_stack: false
    .vgpr_count:     35
    .vgpr_spill_count: 0
    .wavefront_size: 64
  - .agpr_count:     0
    .args:
      - .offset:         0
        .size:           64
        .value_kind:     by_value
    .group_segment_fixed_size: 0
    .kernarg_segment_align: 8
    .kernarg_segment_size: 64
    .language:       OpenCL C
    .language_version:
      - 2
      - 0
    .max_flat_workgroup_size: 512
    .name:           _ZN7rocprim17ROCPRIM_400000_NS6detail17trampoline_kernelINS0_14default_configENS1_38merge_sort_block_merge_config_selectorIflEEZZNS1_27merge_sort_block_merge_implIS3_PfN6thrust23THRUST_200600_302600_NS10device_ptrIlEEjNS1_19radix_merge_compareILb0ELb0EfNS0_19identity_decomposerEEEEE10hipError_tT0_T1_T2_jT3_P12ihipStream_tbPNSt15iterator_traitsISG_E10value_typeEPNSM_ISH_E10value_typeEPSI_NS1_7vsmem_tEENKUlT_SG_SH_SI_E_clIS7_S7_SB_PlEESF_SV_SG_SH_SI_EUlSV_E0_NS1_11comp_targetILNS1_3genE3ELNS1_11target_archE908ELNS1_3gpuE7ELNS1_3repE0EEENS1_38merge_mergepath_config_static_selectorELNS0_4arch9wavefront6targetE1EEEvSH_
    .private_segment_fixed_size: 0
    .sgpr_count:     4
    .sgpr_spill_count: 0
    .symbol:         _ZN7rocprim17ROCPRIM_400000_NS6detail17trampoline_kernelINS0_14default_configENS1_38merge_sort_block_merge_config_selectorIflEEZZNS1_27merge_sort_block_merge_implIS3_PfN6thrust23THRUST_200600_302600_NS10device_ptrIlEEjNS1_19radix_merge_compareILb0ELb0EfNS0_19identity_decomposerEEEEE10hipError_tT0_T1_T2_jT3_P12ihipStream_tbPNSt15iterator_traitsISG_E10value_typeEPNSM_ISH_E10value_typeEPSI_NS1_7vsmem_tEENKUlT_SG_SH_SI_E_clIS7_S7_SB_PlEESF_SV_SG_SH_SI_EUlSV_E0_NS1_11comp_targetILNS1_3genE3ELNS1_11target_archE908ELNS1_3gpuE7ELNS1_3repE0EEENS1_38merge_mergepath_config_static_selectorELNS0_4arch9wavefront6targetE1EEEvSH_.kd
    .uniform_work_group_size: 1
    .uses_dynamic_stack: false
    .vgpr_count:     0
    .vgpr_spill_count: 0
    .wavefront_size: 64
  - .agpr_count:     0
    .args:
      - .offset:         0
        .size:           64
        .value_kind:     by_value
    .group_segment_fixed_size: 0
    .kernarg_segment_align: 8
    .kernarg_segment_size: 64
    .language:       OpenCL C
    .language_version:
      - 2
      - 0
    .max_flat_workgroup_size: 256
    .name:           _ZN7rocprim17ROCPRIM_400000_NS6detail17trampoline_kernelINS0_14default_configENS1_38merge_sort_block_merge_config_selectorIflEEZZNS1_27merge_sort_block_merge_implIS3_PfN6thrust23THRUST_200600_302600_NS10device_ptrIlEEjNS1_19radix_merge_compareILb0ELb0EfNS0_19identity_decomposerEEEEE10hipError_tT0_T1_T2_jT3_P12ihipStream_tbPNSt15iterator_traitsISG_E10value_typeEPNSM_ISH_E10value_typeEPSI_NS1_7vsmem_tEENKUlT_SG_SH_SI_E_clIS7_S7_SB_PlEESF_SV_SG_SH_SI_EUlSV_E0_NS1_11comp_targetILNS1_3genE2ELNS1_11target_archE906ELNS1_3gpuE6ELNS1_3repE0EEENS1_38merge_mergepath_config_static_selectorELNS0_4arch9wavefront6targetE1EEEvSH_
    .private_segment_fixed_size: 0
    .sgpr_count:     4
    .sgpr_spill_count: 0
    .symbol:         _ZN7rocprim17ROCPRIM_400000_NS6detail17trampoline_kernelINS0_14default_configENS1_38merge_sort_block_merge_config_selectorIflEEZZNS1_27merge_sort_block_merge_implIS3_PfN6thrust23THRUST_200600_302600_NS10device_ptrIlEEjNS1_19radix_merge_compareILb0ELb0EfNS0_19identity_decomposerEEEEE10hipError_tT0_T1_T2_jT3_P12ihipStream_tbPNSt15iterator_traitsISG_E10value_typeEPNSM_ISH_E10value_typeEPSI_NS1_7vsmem_tEENKUlT_SG_SH_SI_E_clIS7_S7_SB_PlEESF_SV_SG_SH_SI_EUlSV_E0_NS1_11comp_targetILNS1_3genE2ELNS1_11target_archE906ELNS1_3gpuE6ELNS1_3repE0EEENS1_38merge_mergepath_config_static_selectorELNS0_4arch9wavefront6targetE1EEEvSH_.kd
    .uniform_work_group_size: 1
    .uses_dynamic_stack: false
    .vgpr_count:     0
    .vgpr_spill_count: 0
    .wavefront_size: 64
  - .agpr_count:     0
    .args:
      - .offset:         0
        .size:           64
        .value_kind:     by_value
    .group_segment_fixed_size: 0
    .kernarg_segment_align: 8
    .kernarg_segment_size: 64
    .language:       OpenCL C
    .language_version:
      - 2
      - 0
    .max_flat_workgroup_size: 512
    .name:           _ZN7rocprim17ROCPRIM_400000_NS6detail17trampoline_kernelINS0_14default_configENS1_38merge_sort_block_merge_config_selectorIflEEZZNS1_27merge_sort_block_merge_implIS3_PfN6thrust23THRUST_200600_302600_NS10device_ptrIlEEjNS1_19radix_merge_compareILb0ELb0EfNS0_19identity_decomposerEEEEE10hipError_tT0_T1_T2_jT3_P12ihipStream_tbPNSt15iterator_traitsISG_E10value_typeEPNSM_ISH_E10value_typeEPSI_NS1_7vsmem_tEENKUlT_SG_SH_SI_E_clIS7_S7_SB_PlEESF_SV_SG_SH_SI_EUlSV_E0_NS1_11comp_targetILNS1_3genE9ELNS1_11target_archE1100ELNS1_3gpuE3ELNS1_3repE0EEENS1_38merge_mergepath_config_static_selectorELNS0_4arch9wavefront6targetE1EEEvSH_
    .private_segment_fixed_size: 0
    .sgpr_count:     4
    .sgpr_spill_count: 0
    .symbol:         _ZN7rocprim17ROCPRIM_400000_NS6detail17trampoline_kernelINS0_14default_configENS1_38merge_sort_block_merge_config_selectorIflEEZZNS1_27merge_sort_block_merge_implIS3_PfN6thrust23THRUST_200600_302600_NS10device_ptrIlEEjNS1_19radix_merge_compareILb0ELb0EfNS0_19identity_decomposerEEEEE10hipError_tT0_T1_T2_jT3_P12ihipStream_tbPNSt15iterator_traitsISG_E10value_typeEPNSM_ISH_E10value_typeEPSI_NS1_7vsmem_tEENKUlT_SG_SH_SI_E_clIS7_S7_SB_PlEESF_SV_SG_SH_SI_EUlSV_E0_NS1_11comp_targetILNS1_3genE9ELNS1_11target_archE1100ELNS1_3gpuE3ELNS1_3repE0EEENS1_38merge_mergepath_config_static_selectorELNS0_4arch9wavefront6targetE1EEEvSH_.kd
    .uniform_work_group_size: 1
    .uses_dynamic_stack: false
    .vgpr_count:     0
    .vgpr_spill_count: 0
    .wavefront_size: 64
  - .agpr_count:     0
    .args:
      - .offset:         0
        .size:           64
        .value_kind:     by_value
    .group_segment_fixed_size: 0
    .kernarg_segment_align: 8
    .kernarg_segment_size: 64
    .language:       OpenCL C
    .language_version:
      - 2
      - 0
    .max_flat_workgroup_size: 1024
    .name:           _ZN7rocprim17ROCPRIM_400000_NS6detail17trampoline_kernelINS0_14default_configENS1_38merge_sort_block_merge_config_selectorIflEEZZNS1_27merge_sort_block_merge_implIS3_PfN6thrust23THRUST_200600_302600_NS10device_ptrIlEEjNS1_19radix_merge_compareILb0ELb0EfNS0_19identity_decomposerEEEEE10hipError_tT0_T1_T2_jT3_P12ihipStream_tbPNSt15iterator_traitsISG_E10value_typeEPNSM_ISH_E10value_typeEPSI_NS1_7vsmem_tEENKUlT_SG_SH_SI_E_clIS7_S7_SB_PlEESF_SV_SG_SH_SI_EUlSV_E0_NS1_11comp_targetILNS1_3genE8ELNS1_11target_archE1030ELNS1_3gpuE2ELNS1_3repE0EEENS1_38merge_mergepath_config_static_selectorELNS0_4arch9wavefront6targetE1EEEvSH_
    .private_segment_fixed_size: 0
    .sgpr_count:     4
    .sgpr_spill_count: 0
    .symbol:         _ZN7rocprim17ROCPRIM_400000_NS6detail17trampoline_kernelINS0_14default_configENS1_38merge_sort_block_merge_config_selectorIflEEZZNS1_27merge_sort_block_merge_implIS3_PfN6thrust23THRUST_200600_302600_NS10device_ptrIlEEjNS1_19radix_merge_compareILb0ELb0EfNS0_19identity_decomposerEEEEE10hipError_tT0_T1_T2_jT3_P12ihipStream_tbPNSt15iterator_traitsISG_E10value_typeEPNSM_ISH_E10value_typeEPSI_NS1_7vsmem_tEENKUlT_SG_SH_SI_E_clIS7_S7_SB_PlEESF_SV_SG_SH_SI_EUlSV_E0_NS1_11comp_targetILNS1_3genE8ELNS1_11target_archE1030ELNS1_3gpuE2ELNS1_3repE0EEENS1_38merge_mergepath_config_static_selectorELNS0_4arch9wavefront6targetE1EEEvSH_.kd
    .uniform_work_group_size: 1
    .uses_dynamic_stack: false
    .vgpr_count:     0
    .vgpr_spill_count: 0
    .wavefront_size: 64
  - .agpr_count:     0
    .args:
      - .offset:         0
        .size:           48
        .value_kind:     by_value
    .group_segment_fixed_size: 0
    .kernarg_segment_align: 8
    .kernarg_segment_size: 48
    .language:       OpenCL C
    .language_version:
      - 2
      - 0
    .max_flat_workgroup_size: 256
    .name:           _ZN7rocprim17ROCPRIM_400000_NS6detail17trampoline_kernelINS0_14default_configENS1_38merge_sort_block_merge_config_selectorIflEEZZNS1_27merge_sort_block_merge_implIS3_PfN6thrust23THRUST_200600_302600_NS10device_ptrIlEEjNS1_19radix_merge_compareILb0ELb0EfNS0_19identity_decomposerEEEEE10hipError_tT0_T1_T2_jT3_P12ihipStream_tbPNSt15iterator_traitsISG_E10value_typeEPNSM_ISH_E10value_typeEPSI_NS1_7vsmem_tEENKUlT_SG_SH_SI_E_clIS7_S7_SB_PlEESF_SV_SG_SH_SI_EUlSV_E1_NS1_11comp_targetILNS1_3genE0ELNS1_11target_archE4294967295ELNS1_3gpuE0ELNS1_3repE0EEENS1_36merge_oddeven_config_static_selectorELNS0_4arch9wavefront6targetE1EEEvSH_
    .private_segment_fixed_size: 0
    .sgpr_count:     4
    .sgpr_spill_count: 0
    .symbol:         _ZN7rocprim17ROCPRIM_400000_NS6detail17trampoline_kernelINS0_14default_configENS1_38merge_sort_block_merge_config_selectorIflEEZZNS1_27merge_sort_block_merge_implIS3_PfN6thrust23THRUST_200600_302600_NS10device_ptrIlEEjNS1_19radix_merge_compareILb0ELb0EfNS0_19identity_decomposerEEEEE10hipError_tT0_T1_T2_jT3_P12ihipStream_tbPNSt15iterator_traitsISG_E10value_typeEPNSM_ISH_E10value_typeEPSI_NS1_7vsmem_tEENKUlT_SG_SH_SI_E_clIS7_S7_SB_PlEESF_SV_SG_SH_SI_EUlSV_E1_NS1_11comp_targetILNS1_3genE0ELNS1_11target_archE4294967295ELNS1_3gpuE0ELNS1_3repE0EEENS1_36merge_oddeven_config_static_selectorELNS0_4arch9wavefront6targetE1EEEvSH_.kd
    .uniform_work_group_size: 1
    .uses_dynamic_stack: false
    .vgpr_count:     0
    .vgpr_spill_count: 0
    .wavefront_size: 64
  - .agpr_count:     0
    .args:
      - .offset:         0
        .size:           48
        .value_kind:     by_value
    .group_segment_fixed_size: 0
    .kernarg_segment_align: 8
    .kernarg_segment_size: 48
    .language:       OpenCL C
    .language_version:
      - 2
      - 0
    .max_flat_workgroup_size: 256
    .name:           _ZN7rocprim17ROCPRIM_400000_NS6detail17trampoline_kernelINS0_14default_configENS1_38merge_sort_block_merge_config_selectorIflEEZZNS1_27merge_sort_block_merge_implIS3_PfN6thrust23THRUST_200600_302600_NS10device_ptrIlEEjNS1_19radix_merge_compareILb0ELb0EfNS0_19identity_decomposerEEEEE10hipError_tT0_T1_T2_jT3_P12ihipStream_tbPNSt15iterator_traitsISG_E10value_typeEPNSM_ISH_E10value_typeEPSI_NS1_7vsmem_tEENKUlT_SG_SH_SI_E_clIS7_S7_SB_PlEESF_SV_SG_SH_SI_EUlSV_E1_NS1_11comp_targetILNS1_3genE10ELNS1_11target_archE1201ELNS1_3gpuE5ELNS1_3repE0EEENS1_36merge_oddeven_config_static_selectorELNS0_4arch9wavefront6targetE1EEEvSH_
    .private_segment_fixed_size: 0
    .sgpr_count:     4
    .sgpr_spill_count: 0
    .symbol:         _ZN7rocprim17ROCPRIM_400000_NS6detail17trampoline_kernelINS0_14default_configENS1_38merge_sort_block_merge_config_selectorIflEEZZNS1_27merge_sort_block_merge_implIS3_PfN6thrust23THRUST_200600_302600_NS10device_ptrIlEEjNS1_19radix_merge_compareILb0ELb0EfNS0_19identity_decomposerEEEEE10hipError_tT0_T1_T2_jT3_P12ihipStream_tbPNSt15iterator_traitsISG_E10value_typeEPNSM_ISH_E10value_typeEPSI_NS1_7vsmem_tEENKUlT_SG_SH_SI_E_clIS7_S7_SB_PlEESF_SV_SG_SH_SI_EUlSV_E1_NS1_11comp_targetILNS1_3genE10ELNS1_11target_archE1201ELNS1_3gpuE5ELNS1_3repE0EEENS1_36merge_oddeven_config_static_selectorELNS0_4arch9wavefront6targetE1EEEvSH_.kd
    .uniform_work_group_size: 1
    .uses_dynamic_stack: false
    .vgpr_count:     0
    .vgpr_spill_count: 0
    .wavefront_size: 64
  - .agpr_count:     0
    .args:
      - .offset:         0
        .size:           48
        .value_kind:     by_value
    .group_segment_fixed_size: 0
    .kernarg_segment_align: 8
    .kernarg_segment_size: 48
    .language:       OpenCL C
    .language_version:
      - 2
      - 0
    .max_flat_workgroup_size: 256
    .name:           _ZN7rocprim17ROCPRIM_400000_NS6detail17trampoline_kernelINS0_14default_configENS1_38merge_sort_block_merge_config_selectorIflEEZZNS1_27merge_sort_block_merge_implIS3_PfN6thrust23THRUST_200600_302600_NS10device_ptrIlEEjNS1_19radix_merge_compareILb0ELb0EfNS0_19identity_decomposerEEEEE10hipError_tT0_T1_T2_jT3_P12ihipStream_tbPNSt15iterator_traitsISG_E10value_typeEPNSM_ISH_E10value_typeEPSI_NS1_7vsmem_tEENKUlT_SG_SH_SI_E_clIS7_S7_SB_PlEESF_SV_SG_SH_SI_EUlSV_E1_NS1_11comp_targetILNS1_3genE5ELNS1_11target_archE942ELNS1_3gpuE9ELNS1_3repE0EEENS1_36merge_oddeven_config_static_selectorELNS0_4arch9wavefront6targetE1EEEvSH_
    .private_segment_fixed_size: 0
    .sgpr_count:     4
    .sgpr_spill_count: 0
    .symbol:         _ZN7rocprim17ROCPRIM_400000_NS6detail17trampoline_kernelINS0_14default_configENS1_38merge_sort_block_merge_config_selectorIflEEZZNS1_27merge_sort_block_merge_implIS3_PfN6thrust23THRUST_200600_302600_NS10device_ptrIlEEjNS1_19radix_merge_compareILb0ELb0EfNS0_19identity_decomposerEEEEE10hipError_tT0_T1_T2_jT3_P12ihipStream_tbPNSt15iterator_traitsISG_E10value_typeEPNSM_ISH_E10value_typeEPSI_NS1_7vsmem_tEENKUlT_SG_SH_SI_E_clIS7_S7_SB_PlEESF_SV_SG_SH_SI_EUlSV_E1_NS1_11comp_targetILNS1_3genE5ELNS1_11target_archE942ELNS1_3gpuE9ELNS1_3repE0EEENS1_36merge_oddeven_config_static_selectorELNS0_4arch9wavefront6targetE1EEEvSH_.kd
    .uniform_work_group_size: 1
    .uses_dynamic_stack: false
    .vgpr_count:     0
    .vgpr_spill_count: 0
    .wavefront_size: 64
  - .agpr_count:     0
    .args:
      - .offset:         0
        .size:           48
        .value_kind:     by_value
    .group_segment_fixed_size: 0
    .kernarg_segment_align: 8
    .kernarg_segment_size: 48
    .language:       OpenCL C
    .language_version:
      - 2
      - 0
    .max_flat_workgroup_size: 256
    .name:           _ZN7rocprim17ROCPRIM_400000_NS6detail17trampoline_kernelINS0_14default_configENS1_38merge_sort_block_merge_config_selectorIflEEZZNS1_27merge_sort_block_merge_implIS3_PfN6thrust23THRUST_200600_302600_NS10device_ptrIlEEjNS1_19radix_merge_compareILb0ELb0EfNS0_19identity_decomposerEEEEE10hipError_tT0_T1_T2_jT3_P12ihipStream_tbPNSt15iterator_traitsISG_E10value_typeEPNSM_ISH_E10value_typeEPSI_NS1_7vsmem_tEENKUlT_SG_SH_SI_E_clIS7_S7_SB_PlEESF_SV_SG_SH_SI_EUlSV_E1_NS1_11comp_targetILNS1_3genE4ELNS1_11target_archE910ELNS1_3gpuE8ELNS1_3repE0EEENS1_36merge_oddeven_config_static_selectorELNS0_4arch9wavefront6targetE1EEEvSH_
    .private_segment_fixed_size: 0
    .sgpr_count:     28
    .sgpr_spill_count: 0
    .symbol:         _ZN7rocprim17ROCPRIM_400000_NS6detail17trampoline_kernelINS0_14default_configENS1_38merge_sort_block_merge_config_selectorIflEEZZNS1_27merge_sort_block_merge_implIS3_PfN6thrust23THRUST_200600_302600_NS10device_ptrIlEEjNS1_19radix_merge_compareILb0ELb0EfNS0_19identity_decomposerEEEEE10hipError_tT0_T1_T2_jT3_P12ihipStream_tbPNSt15iterator_traitsISG_E10value_typeEPNSM_ISH_E10value_typeEPSI_NS1_7vsmem_tEENKUlT_SG_SH_SI_E_clIS7_S7_SB_PlEESF_SV_SG_SH_SI_EUlSV_E1_NS1_11comp_targetILNS1_3genE4ELNS1_11target_archE910ELNS1_3gpuE8ELNS1_3repE0EEENS1_36merge_oddeven_config_static_selectorELNS0_4arch9wavefront6targetE1EEEvSH_.kd
    .uniform_work_group_size: 1
    .uses_dynamic_stack: false
    .vgpr_count:     13
    .vgpr_spill_count: 0
    .wavefront_size: 64
  - .agpr_count:     0
    .args:
      - .offset:         0
        .size:           48
        .value_kind:     by_value
    .group_segment_fixed_size: 0
    .kernarg_segment_align: 8
    .kernarg_segment_size: 48
    .language:       OpenCL C
    .language_version:
      - 2
      - 0
    .max_flat_workgroup_size: 256
    .name:           _ZN7rocprim17ROCPRIM_400000_NS6detail17trampoline_kernelINS0_14default_configENS1_38merge_sort_block_merge_config_selectorIflEEZZNS1_27merge_sort_block_merge_implIS3_PfN6thrust23THRUST_200600_302600_NS10device_ptrIlEEjNS1_19radix_merge_compareILb0ELb0EfNS0_19identity_decomposerEEEEE10hipError_tT0_T1_T2_jT3_P12ihipStream_tbPNSt15iterator_traitsISG_E10value_typeEPNSM_ISH_E10value_typeEPSI_NS1_7vsmem_tEENKUlT_SG_SH_SI_E_clIS7_S7_SB_PlEESF_SV_SG_SH_SI_EUlSV_E1_NS1_11comp_targetILNS1_3genE3ELNS1_11target_archE908ELNS1_3gpuE7ELNS1_3repE0EEENS1_36merge_oddeven_config_static_selectorELNS0_4arch9wavefront6targetE1EEEvSH_
    .private_segment_fixed_size: 0
    .sgpr_count:     4
    .sgpr_spill_count: 0
    .symbol:         _ZN7rocprim17ROCPRIM_400000_NS6detail17trampoline_kernelINS0_14default_configENS1_38merge_sort_block_merge_config_selectorIflEEZZNS1_27merge_sort_block_merge_implIS3_PfN6thrust23THRUST_200600_302600_NS10device_ptrIlEEjNS1_19radix_merge_compareILb0ELb0EfNS0_19identity_decomposerEEEEE10hipError_tT0_T1_T2_jT3_P12ihipStream_tbPNSt15iterator_traitsISG_E10value_typeEPNSM_ISH_E10value_typeEPSI_NS1_7vsmem_tEENKUlT_SG_SH_SI_E_clIS7_S7_SB_PlEESF_SV_SG_SH_SI_EUlSV_E1_NS1_11comp_targetILNS1_3genE3ELNS1_11target_archE908ELNS1_3gpuE7ELNS1_3repE0EEENS1_36merge_oddeven_config_static_selectorELNS0_4arch9wavefront6targetE1EEEvSH_.kd
    .uniform_work_group_size: 1
    .uses_dynamic_stack: false
    .vgpr_count:     0
    .vgpr_spill_count: 0
    .wavefront_size: 64
  - .agpr_count:     0
    .args:
      - .offset:         0
        .size:           48
        .value_kind:     by_value
    .group_segment_fixed_size: 0
    .kernarg_segment_align: 8
    .kernarg_segment_size: 48
    .language:       OpenCL C
    .language_version:
      - 2
      - 0
    .max_flat_workgroup_size: 256
    .name:           _ZN7rocprim17ROCPRIM_400000_NS6detail17trampoline_kernelINS0_14default_configENS1_38merge_sort_block_merge_config_selectorIflEEZZNS1_27merge_sort_block_merge_implIS3_PfN6thrust23THRUST_200600_302600_NS10device_ptrIlEEjNS1_19radix_merge_compareILb0ELb0EfNS0_19identity_decomposerEEEEE10hipError_tT0_T1_T2_jT3_P12ihipStream_tbPNSt15iterator_traitsISG_E10value_typeEPNSM_ISH_E10value_typeEPSI_NS1_7vsmem_tEENKUlT_SG_SH_SI_E_clIS7_S7_SB_PlEESF_SV_SG_SH_SI_EUlSV_E1_NS1_11comp_targetILNS1_3genE2ELNS1_11target_archE906ELNS1_3gpuE6ELNS1_3repE0EEENS1_36merge_oddeven_config_static_selectorELNS0_4arch9wavefront6targetE1EEEvSH_
    .private_segment_fixed_size: 0
    .sgpr_count:     4
    .sgpr_spill_count: 0
    .symbol:         _ZN7rocprim17ROCPRIM_400000_NS6detail17trampoline_kernelINS0_14default_configENS1_38merge_sort_block_merge_config_selectorIflEEZZNS1_27merge_sort_block_merge_implIS3_PfN6thrust23THRUST_200600_302600_NS10device_ptrIlEEjNS1_19radix_merge_compareILb0ELb0EfNS0_19identity_decomposerEEEEE10hipError_tT0_T1_T2_jT3_P12ihipStream_tbPNSt15iterator_traitsISG_E10value_typeEPNSM_ISH_E10value_typeEPSI_NS1_7vsmem_tEENKUlT_SG_SH_SI_E_clIS7_S7_SB_PlEESF_SV_SG_SH_SI_EUlSV_E1_NS1_11comp_targetILNS1_3genE2ELNS1_11target_archE906ELNS1_3gpuE6ELNS1_3repE0EEENS1_36merge_oddeven_config_static_selectorELNS0_4arch9wavefront6targetE1EEEvSH_.kd
    .uniform_work_group_size: 1
    .uses_dynamic_stack: false
    .vgpr_count:     0
    .vgpr_spill_count: 0
    .wavefront_size: 64
  - .agpr_count:     0
    .args:
      - .offset:         0
        .size:           48
        .value_kind:     by_value
    .group_segment_fixed_size: 0
    .kernarg_segment_align: 8
    .kernarg_segment_size: 48
    .language:       OpenCL C
    .language_version:
      - 2
      - 0
    .max_flat_workgroup_size: 256
    .name:           _ZN7rocprim17ROCPRIM_400000_NS6detail17trampoline_kernelINS0_14default_configENS1_38merge_sort_block_merge_config_selectorIflEEZZNS1_27merge_sort_block_merge_implIS3_PfN6thrust23THRUST_200600_302600_NS10device_ptrIlEEjNS1_19radix_merge_compareILb0ELb0EfNS0_19identity_decomposerEEEEE10hipError_tT0_T1_T2_jT3_P12ihipStream_tbPNSt15iterator_traitsISG_E10value_typeEPNSM_ISH_E10value_typeEPSI_NS1_7vsmem_tEENKUlT_SG_SH_SI_E_clIS7_S7_SB_PlEESF_SV_SG_SH_SI_EUlSV_E1_NS1_11comp_targetILNS1_3genE9ELNS1_11target_archE1100ELNS1_3gpuE3ELNS1_3repE0EEENS1_36merge_oddeven_config_static_selectorELNS0_4arch9wavefront6targetE1EEEvSH_
    .private_segment_fixed_size: 0
    .sgpr_count:     4
    .sgpr_spill_count: 0
    .symbol:         _ZN7rocprim17ROCPRIM_400000_NS6detail17trampoline_kernelINS0_14default_configENS1_38merge_sort_block_merge_config_selectorIflEEZZNS1_27merge_sort_block_merge_implIS3_PfN6thrust23THRUST_200600_302600_NS10device_ptrIlEEjNS1_19radix_merge_compareILb0ELb0EfNS0_19identity_decomposerEEEEE10hipError_tT0_T1_T2_jT3_P12ihipStream_tbPNSt15iterator_traitsISG_E10value_typeEPNSM_ISH_E10value_typeEPSI_NS1_7vsmem_tEENKUlT_SG_SH_SI_E_clIS7_S7_SB_PlEESF_SV_SG_SH_SI_EUlSV_E1_NS1_11comp_targetILNS1_3genE9ELNS1_11target_archE1100ELNS1_3gpuE3ELNS1_3repE0EEENS1_36merge_oddeven_config_static_selectorELNS0_4arch9wavefront6targetE1EEEvSH_.kd
    .uniform_work_group_size: 1
    .uses_dynamic_stack: false
    .vgpr_count:     0
    .vgpr_spill_count: 0
    .wavefront_size: 64
  - .agpr_count:     0
    .args:
      - .offset:         0
        .size:           48
        .value_kind:     by_value
    .group_segment_fixed_size: 0
    .kernarg_segment_align: 8
    .kernarg_segment_size: 48
    .language:       OpenCL C
    .language_version:
      - 2
      - 0
    .max_flat_workgroup_size: 256
    .name:           _ZN7rocprim17ROCPRIM_400000_NS6detail17trampoline_kernelINS0_14default_configENS1_38merge_sort_block_merge_config_selectorIflEEZZNS1_27merge_sort_block_merge_implIS3_PfN6thrust23THRUST_200600_302600_NS10device_ptrIlEEjNS1_19radix_merge_compareILb0ELb0EfNS0_19identity_decomposerEEEEE10hipError_tT0_T1_T2_jT3_P12ihipStream_tbPNSt15iterator_traitsISG_E10value_typeEPNSM_ISH_E10value_typeEPSI_NS1_7vsmem_tEENKUlT_SG_SH_SI_E_clIS7_S7_SB_PlEESF_SV_SG_SH_SI_EUlSV_E1_NS1_11comp_targetILNS1_3genE8ELNS1_11target_archE1030ELNS1_3gpuE2ELNS1_3repE0EEENS1_36merge_oddeven_config_static_selectorELNS0_4arch9wavefront6targetE1EEEvSH_
    .private_segment_fixed_size: 0
    .sgpr_count:     4
    .sgpr_spill_count: 0
    .symbol:         _ZN7rocprim17ROCPRIM_400000_NS6detail17trampoline_kernelINS0_14default_configENS1_38merge_sort_block_merge_config_selectorIflEEZZNS1_27merge_sort_block_merge_implIS3_PfN6thrust23THRUST_200600_302600_NS10device_ptrIlEEjNS1_19radix_merge_compareILb0ELb0EfNS0_19identity_decomposerEEEEE10hipError_tT0_T1_T2_jT3_P12ihipStream_tbPNSt15iterator_traitsISG_E10value_typeEPNSM_ISH_E10value_typeEPSI_NS1_7vsmem_tEENKUlT_SG_SH_SI_E_clIS7_S7_SB_PlEESF_SV_SG_SH_SI_EUlSV_E1_NS1_11comp_targetILNS1_3genE8ELNS1_11target_archE1030ELNS1_3gpuE2ELNS1_3repE0EEENS1_36merge_oddeven_config_static_selectorELNS0_4arch9wavefront6targetE1EEEvSH_.kd
    .uniform_work_group_size: 1
    .uses_dynamic_stack: false
    .vgpr_count:     0
    .vgpr_spill_count: 0
    .wavefront_size: 64
  - .agpr_count:     0
    .args:
      - .offset:         0
        .size:           40
        .value_kind:     by_value
    .group_segment_fixed_size: 0
    .kernarg_segment_align: 8
    .kernarg_segment_size: 40
    .language:       OpenCL C
    .language_version:
      - 2
      - 0
    .max_flat_workgroup_size: 128
    .name:           _ZN7rocprim17ROCPRIM_400000_NS6detail17trampoline_kernelINS0_14default_configENS1_25transform_config_selectorIfLb1EEEZNS1_14transform_implILb1ES3_S5_PfS7_NS0_8identityIfEEEE10hipError_tT2_T3_mT4_P12ihipStream_tbEUlT_E_NS1_11comp_targetILNS1_3genE0ELNS1_11target_archE4294967295ELNS1_3gpuE0ELNS1_3repE0EEENS1_30default_config_static_selectorELNS0_4arch9wavefront6targetE1EEEvT1_
    .private_segment_fixed_size: 0
    .sgpr_count:     4
    .sgpr_spill_count: 0
    .symbol:         _ZN7rocprim17ROCPRIM_400000_NS6detail17trampoline_kernelINS0_14default_configENS1_25transform_config_selectorIfLb1EEEZNS1_14transform_implILb1ES3_S5_PfS7_NS0_8identityIfEEEE10hipError_tT2_T3_mT4_P12ihipStream_tbEUlT_E_NS1_11comp_targetILNS1_3genE0ELNS1_11target_archE4294967295ELNS1_3gpuE0ELNS1_3repE0EEENS1_30default_config_static_selectorELNS0_4arch9wavefront6targetE1EEEvT1_.kd
    .uniform_work_group_size: 1
    .uses_dynamic_stack: false
    .vgpr_count:     0
    .vgpr_spill_count: 0
    .wavefront_size: 64
  - .agpr_count:     0
    .args:
      - .offset:         0
        .size:           40
        .value_kind:     by_value
    .group_segment_fixed_size: 0
    .kernarg_segment_align: 8
    .kernarg_segment_size: 40
    .language:       OpenCL C
    .language_version:
      - 2
      - 0
    .max_flat_workgroup_size: 1024
    .name:           _ZN7rocprim17ROCPRIM_400000_NS6detail17trampoline_kernelINS0_14default_configENS1_25transform_config_selectorIfLb1EEEZNS1_14transform_implILb1ES3_S5_PfS7_NS0_8identityIfEEEE10hipError_tT2_T3_mT4_P12ihipStream_tbEUlT_E_NS1_11comp_targetILNS1_3genE10ELNS1_11target_archE1201ELNS1_3gpuE5ELNS1_3repE0EEENS1_30default_config_static_selectorELNS0_4arch9wavefront6targetE1EEEvT1_
    .private_segment_fixed_size: 0
    .sgpr_count:     4
    .sgpr_spill_count: 0
    .symbol:         _ZN7rocprim17ROCPRIM_400000_NS6detail17trampoline_kernelINS0_14default_configENS1_25transform_config_selectorIfLb1EEEZNS1_14transform_implILb1ES3_S5_PfS7_NS0_8identityIfEEEE10hipError_tT2_T3_mT4_P12ihipStream_tbEUlT_E_NS1_11comp_targetILNS1_3genE10ELNS1_11target_archE1201ELNS1_3gpuE5ELNS1_3repE0EEENS1_30default_config_static_selectorELNS0_4arch9wavefront6targetE1EEEvT1_.kd
    .uniform_work_group_size: 1
    .uses_dynamic_stack: false
    .vgpr_count:     0
    .vgpr_spill_count: 0
    .wavefront_size: 64
  - .agpr_count:     0
    .args:
      - .offset:         0
        .size:           40
        .value_kind:     by_value
    .group_segment_fixed_size: 0
    .kernarg_segment_align: 8
    .kernarg_segment_size: 40
    .language:       OpenCL C
    .language_version:
      - 2
      - 0
    .max_flat_workgroup_size: 256
    .name:           _ZN7rocprim17ROCPRIM_400000_NS6detail17trampoline_kernelINS0_14default_configENS1_25transform_config_selectorIfLb1EEEZNS1_14transform_implILb1ES3_S5_PfS7_NS0_8identityIfEEEE10hipError_tT2_T3_mT4_P12ihipStream_tbEUlT_E_NS1_11comp_targetILNS1_3genE5ELNS1_11target_archE942ELNS1_3gpuE9ELNS1_3repE0EEENS1_30default_config_static_selectorELNS0_4arch9wavefront6targetE1EEEvT1_
    .private_segment_fixed_size: 0
    .sgpr_count:     4
    .sgpr_spill_count: 0
    .symbol:         _ZN7rocprim17ROCPRIM_400000_NS6detail17trampoline_kernelINS0_14default_configENS1_25transform_config_selectorIfLb1EEEZNS1_14transform_implILb1ES3_S5_PfS7_NS0_8identityIfEEEE10hipError_tT2_T3_mT4_P12ihipStream_tbEUlT_E_NS1_11comp_targetILNS1_3genE5ELNS1_11target_archE942ELNS1_3gpuE9ELNS1_3repE0EEENS1_30default_config_static_selectorELNS0_4arch9wavefront6targetE1EEEvT1_.kd
    .uniform_work_group_size: 1
    .uses_dynamic_stack: false
    .vgpr_count:     0
    .vgpr_spill_count: 0
    .wavefront_size: 64
  - .agpr_count:     0
    .args:
      - .offset:         0
        .size:           40
        .value_kind:     by_value
      - .offset:         40
        .size:           4
        .value_kind:     hidden_block_count_x
      - .offset:         44
        .size:           4
        .value_kind:     hidden_block_count_y
      - .offset:         48
        .size:           4
        .value_kind:     hidden_block_count_z
      - .offset:         52
        .size:           2
        .value_kind:     hidden_group_size_x
      - .offset:         54
        .size:           2
        .value_kind:     hidden_group_size_y
      - .offset:         56
        .size:           2
        .value_kind:     hidden_group_size_z
      - .offset:         58
        .size:           2
        .value_kind:     hidden_remainder_x
      - .offset:         60
        .size:           2
        .value_kind:     hidden_remainder_y
      - .offset:         62
        .size:           2
        .value_kind:     hidden_remainder_z
      - .offset:         80
        .size:           8
        .value_kind:     hidden_global_offset_x
      - .offset:         88
        .size:           8
        .value_kind:     hidden_global_offset_y
      - .offset:         96
        .size:           8
        .value_kind:     hidden_global_offset_z
      - .offset:         104
        .size:           2
        .value_kind:     hidden_grid_dims
    .group_segment_fixed_size: 0
    .kernarg_segment_align: 8
    .kernarg_segment_size: 296
    .language:       OpenCL C
    .language_version:
      - 2
      - 0
    .max_flat_workgroup_size: 1024
    .name:           _ZN7rocprim17ROCPRIM_400000_NS6detail17trampoline_kernelINS0_14default_configENS1_25transform_config_selectorIfLb1EEEZNS1_14transform_implILb1ES3_S5_PfS7_NS0_8identityIfEEEE10hipError_tT2_T3_mT4_P12ihipStream_tbEUlT_E_NS1_11comp_targetILNS1_3genE4ELNS1_11target_archE910ELNS1_3gpuE8ELNS1_3repE0EEENS1_30default_config_static_selectorELNS0_4arch9wavefront6targetE1EEEvT1_
    .private_segment_fixed_size: 0
    .sgpr_count:     20
    .sgpr_spill_count: 0
    .symbol:         _ZN7rocprim17ROCPRIM_400000_NS6detail17trampoline_kernelINS0_14default_configENS1_25transform_config_selectorIfLb1EEEZNS1_14transform_implILb1ES3_S5_PfS7_NS0_8identityIfEEEE10hipError_tT2_T3_mT4_P12ihipStream_tbEUlT_E_NS1_11comp_targetILNS1_3genE4ELNS1_11target_archE910ELNS1_3gpuE8ELNS1_3repE0EEENS1_30default_config_static_selectorELNS0_4arch9wavefront6targetE1EEEvT1_.kd
    .uniform_work_group_size: 1
    .uses_dynamic_stack: false
    .vgpr_count:     8
    .vgpr_spill_count: 0
    .wavefront_size: 64
  - .agpr_count:     0
    .args:
      - .offset:         0
        .size:           40
        .value_kind:     by_value
    .group_segment_fixed_size: 0
    .kernarg_segment_align: 8
    .kernarg_segment_size: 40
    .language:       OpenCL C
    .language_version:
      - 2
      - 0
    .max_flat_workgroup_size: 128
    .name:           _ZN7rocprim17ROCPRIM_400000_NS6detail17trampoline_kernelINS0_14default_configENS1_25transform_config_selectorIfLb1EEEZNS1_14transform_implILb1ES3_S5_PfS7_NS0_8identityIfEEEE10hipError_tT2_T3_mT4_P12ihipStream_tbEUlT_E_NS1_11comp_targetILNS1_3genE3ELNS1_11target_archE908ELNS1_3gpuE7ELNS1_3repE0EEENS1_30default_config_static_selectorELNS0_4arch9wavefront6targetE1EEEvT1_
    .private_segment_fixed_size: 0
    .sgpr_count:     4
    .sgpr_spill_count: 0
    .symbol:         _ZN7rocprim17ROCPRIM_400000_NS6detail17trampoline_kernelINS0_14default_configENS1_25transform_config_selectorIfLb1EEEZNS1_14transform_implILb1ES3_S5_PfS7_NS0_8identityIfEEEE10hipError_tT2_T3_mT4_P12ihipStream_tbEUlT_E_NS1_11comp_targetILNS1_3genE3ELNS1_11target_archE908ELNS1_3gpuE7ELNS1_3repE0EEENS1_30default_config_static_selectorELNS0_4arch9wavefront6targetE1EEEvT1_.kd
    .uniform_work_group_size: 1
    .uses_dynamic_stack: false
    .vgpr_count:     0
    .vgpr_spill_count: 0
    .wavefront_size: 64
  - .agpr_count:     0
    .args:
      - .offset:         0
        .size:           40
        .value_kind:     by_value
    .group_segment_fixed_size: 0
    .kernarg_segment_align: 8
    .kernarg_segment_size: 40
    .language:       OpenCL C
    .language_version:
      - 2
      - 0
    .max_flat_workgroup_size: 1024
    .name:           _ZN7rocprim17ROCPRIM_400000_NS6detail17trampoline_kernelINS0_14default_configENS1_25transform_config_selectorIfLb1EEEZNS1_14transform_implILb1ES3_S5_PfS7_NS0_8identityIfEEEE10hipError_tT2_T3_mT4_P12ihipStream_tbEUlT_E_NS1_11comp_targetILNS1_3genE2ELNS1_11target_archE906ELNS1_3gpuE6ELNS1_3repE0EEENS1_30default_config_static_selectorELNS0_4arch9wavefront6targetE1EEEvT1_
    .private_segment_fixed_size: 0
    .sgpr_count:     4
    .sgpr_spill_count: 0
    .symbol:         _ZN7rocprim17ROCPRIM_400000_NS6detail17trampoline_kernelINS0_14default_configENS1_25transform_config_selectorIfLb1EEEZNS1_14transform_implILb1ES3_S5_PfS7_NS0_8identityIfEEEE10hipError_tT2_T3_mT4_P12ihipStream_tbEUlT_E_NS1_11comp_targetILNS1_3genE2ELNS1_11target_archE906ELNS1_3gpuE6ELNS1_3repE0EEENS1_30default_config_static_selectorELNS0_4arch9wavefront6targetE1EEEvT1_.kd
    .uniform_work_group_size: 1
    .uses_dynamic_stack: false
    .vgpr_count:     0
    .vgpr_spill_count: 0
    .wavefront_size: 64
  - .agpr_count:     0
    .args:
      - .offset:         0
        .size:           40
        .value_kind:     by_value
    .group_segment_fixed_size: 0
    .kernarg_segment_align: 8
    .kernarg_segment_size: 40
    .language:       OpenCL C
    .language_version:
      - 2
      - 0
    .max_flat_workgroup_size: 1024
    .name:           _ZN7rocprim17ROCPRIM_400000_NS6detail17trampoline_kernelINS0_14default_configENS1_25transform_config_selectorIfLb1EEEZNS1_14transform_implILb1ES3_S5_PfS7_NS0_8identityIfEEEE10hipError_tT2_T3_mT4_P12ihipStream_tbEUlT_E_NS1_11comp_targetILNS1_3genE9ELNS1_11target_archE1100ELNS1_3gpuE3ELNS1_3repE0EEENS1_30default_config_static_selectorELNS0_4arch9wavefront6targetE1EEEvT1_
    .private_segment_fixed_size: 0
    .sgpr_count:     4
    .sgpr_spill_count: 0
    .symbol:         _ZN7rocprim17ROCPRIM_400000_NS6detail17trampoline_kernelINS0_14default_configENS1_25transform_config_selectorIfLb1EEEZNS1_14transform_implILb1ES3_S5_PfS7_NS0_8identityIfEEEE10hipError_tT2_T3_mT4_P12ihipStream_tbEUlT_E_NS1_11comp_targetILNS1_3genE9ELNS1_11target_archE1100ELNS1_3gpuE3ELNS1_3repE0EEENS1_30default_config_static_selectorELNS0_4arch9wavefront6targetE1EEEvT1_.kd
    .uniform_work_group_size: 1
    .uses_dynamic_stack: false
    .vgpr_count:     0
    .vgpr_spill_count: 0
    .wavefront_size: 64
  - .agpr_count:     0
    .args:
      - .offset:         0
        .size:           40
        .value_kind:     by_value
    .group_segment_fixed_size: 0
    .kernarg_segment_align: 8
    .kernarg_segment_size: 40
    .language:       OpenCL C
    .language_version:
      - 2
      - 0
    .max_flat_workgroup_size: 1024
    .name:           _ZN7rocprim17ROCPRIM_400000_NS6detail17trampoline_kernelINS0_14default_configENS1_25transform_config_selectorIfLb1EEEZNS1_14transform_implILb1ES3_S5_PfS7_NS0_8identityIfEEEE10hipError_tT2_T3_mT4_P12ihipStream_tbEUlT_E_NS1_11comp_targetILNS1_3genE8ELNS1_11target_archE1030ELNS1_3gpuE2ELNS1_3repE0EEENS1_30default_config_static_selectorELNS0_4arch9wavefront6targetE1EEEvT1_
    .private_segment_fixed_size: 0
    .sgpr_count:     4
    .sgpr_spill_count: 0
    .symbol:         _ZN7rocprim17ROCPRIM_400000_NS6detail17trampoline_kernelINS0_14default_configENS1_25transform_config_selectorIfLb1EEEZNS1_14transform_implILb1ES3_S5_PfS7_NS0_8identityIfEEEE10hipError_tT2_T3_mT4_P12ihipStream_tbEUlT_E_NS1_11comp_targetILNS1_3genE8ELNS1_11target_archE1030ELNS1_3gpuE2ELNS1_3repE0EEENS1_30default_config_static_selectorELNS0_4arch9wavefront6targetE1EEEvT1_.kd
    .uniform_work_group_size: 1
    .uses_dynamic_stack: false
    .vgpr_count:     0
    .vgpr_spill_count: 0
    .wavefront_size: 64
  - .agpr_count:     0
    .args:
      - .offset:         0
        .size:           40
        .value_kind:     by_value
    .group_segment_fixed_size: 0
    .kernarg_segment_align: 8
    .kernarg_segment_size: 40
    .language:       OpenCL C
    .language_version:
      - 2
      - 0
    .max_flat_workgroup_size: 512
    .name:           _ZN7rocprim17ROCPRIM_400000_NS6detail17trampoline_kernelINS0_14default_configENS1_35radix_sort_onesweep_config_selectorIflEEZNS1_34radix_sort_onesweep_global_offsetsIS3_Lb0EPfN6thrust23THRUST_200600_302600_NS10device_ptrIlEEjNS0_19identity_decomposerEEE10hipError_tT1_T2_PT3_SG_jT4_jjP12ihipStream_tbEUlT_E_NS1_11comp_targetILNS1_3genE0ELNS1_11target_archE4294967295ELNS1_3gpuE0ELNS1_3repE0EEENS1_52radix_sort_onesweep_histogram_config_static_selectorELNS0_4arch9wavefront6targetE1EEEvSE_
    .private_segment_fixed_size: 0
    .sgpr_count:     4
    .sgpr_spill_count: 0
    .symbol:         _ZN7rocprim17ROCPRIM_400000_NS6detail17trampoline_kernelINS0_14default_configENS1_35radix_sort_onesweep_config_selectorIflEEZNS1_34radix_sort_onesweep_global_offsetsIS3_Lb0EPfN6thrust23THRUST_200600_302600_NS10device_ptrIlEEjNS0_19identity_decomposerEEE10hipError_tT1_T2_PT3_SG_jT4_jjP12ihipStream_tbEUlT_E_NS1_11comp_targetILNS1_3genE0ELNS1_11target_archE4294967295ELNS1_3gpuE0ELNS1_3repE0EEENS1_52radix_sort_onesweep_histogram_config_static_selectorELNS0_4arch9wavefront6targetE1EEEvSE_.kd
    .uniform_work_group_size: 1
    .uses_dynamic_stack: false
    .vgpr_count:     0
    .vgpr_spill_count: 0
    .wavefront_size: 64
  - .agpr_count:     0
    .args:
      - .offset:         0
        .size:           40
        .value_kind:     by_value
    .group_segment_fixed_size: 0
    .kernarg_segment_align: 8
    .kernarg_segment_size: 40
    .language:       OpenCL C
    .language_version:
      - 2
      - 0
    .max_flat_workgroup_size: 512
    .name:           _ZN7rocprim17ROCPRIM_400000_NS6detail17trampoline_kernelINS0_14default_configENS1_35radix_sort_onesweep_config_selectorIflEEZNS1_34radix_sort_onesweep_global_offsetsIS3_Lb0EPfN6thrust23THRUST_200600_302600_NS10device_ptrIlEEjNS0_19identity_decomposerEEE10hipError_tT1_T2_PT3_SG_jT4_jjP12ihipStream_tbEUlT_E_NS1_11comp_targetILNS1_3genE6ELNS1_11target_archE950ELNS1_3gpuE13ELNS1_3repE0EEENS1_52radix_sort_onesweep_histogram_config_static_selectorELNS0_4arch9wavefront6targetE1EEEvSE_
    .private_segment_fixed_size: 0
    .sgpr_count:     4
    .sgpr_spill_count: 0
    .symbol:         _ZN7rocprim17ROCPRIM_400000_NS6detail17trampoline_kernelINS0_14default_configENS1_35radix_sort_onesweep_config_selectorIflEEZNS1_34radix_sort_onesweep_global_offsetsIS3_Lb0EPfN6thrust23THRUST_200600_302600_NS10device_ptrIlEEjNS0_19identity_decomposerEEE10hipError_tT1_T2_PT3_SG_jT4_jjP12ihipStream_tbEUlT_E_NS1_11comp_targetILNS1_3genE6ELNS1_11target_archE950ELNS1_3gpuE13ELNS1_3repE0EEENS1_52radix_sort_onesweep_histogram_config_static_selectorELNS0_4arch9wavefront6targetE1EEEvSE_.kd
    .uniform_work_group_size: 1
    .uses_dynamic_stack: false
    .vgpr_count:     0
    .vgpr_spill_count: 0
    .wavefront_size: 64
  - .agpr_count:     0
    .args:
      - .offset:         0
        .size:           40
        .value_kind:     by_value
    .group_segment_fixed_size: 0
    .kernarg_segment_align: 8
    .kernarg_segment_size: 40
    .language:       OpenCL C
    .language_version:
      - 2
      - 0
    .max_flat_workgroup_size: 512
    .name:           _ZN7rocprim17ROCPRIM_400000_NS6detail17trampoline_kernelINS0_14default_configENS1_35radix_sort_onesweep_config_selectorIflEEZNS1_34radix_sort_onesweep_global_offsetsIS3_Lb0EPfN6thrust23THRUST_200600_302600_NS10device_ptrIlEEjNS0_19identity_decomposerEEE10hipError_tT1_T2_PT3_SG_jT4_jjP12ihipStream_tbEUlT_E_NS1_11comp_targetILNS1_3genE5ELNS1_11target_archE942ELNS1_3gpuE9ELNS1_3repE0EEENS1_52radix_sort_onesweep_histogram_config_static_selectorELNS0_4arch9wavefront6targetE1EEEvSE_
    .private_segment_fixed_size: 0
    .sgpr_count:     4
    .sgpr_spill_count: 0
    .symbol:         _ZN7rocprim17ROCPRIM_400000_NS6detail17trampoline_kernelINS0_14default_configENS1_35radix_sort_onesweep_config_selectorIflEEZNS1_34radix_sort_onesweep_global_offsetsIS3_Lb0EPfN6thrust23THRUST_200600_302600_NS10device_ptrIlEEjNS0_19identity_decomposerEEE10hipError_tT1_T2_PT3_SG_jT4_jjP12ihipStream_tbEUlT_E_NS1_11comp_targetILNS1_3genE5ELNS1_11target_archE942ELNS1_3gpuE9ELNS1_3repE0EEENS1_52radix_sort_onesweep_histogram_config_static_selectorELNS0_4arch9wavefront6targetE1EEEvSE_.kd
    .uniform_work_group_size: 1
    .uses_dynamic_stack: false
    .vgpr_count:     0
    .vgpr_spill_count: 0
    .wavefront_size: 64
  - .agpr_count:     0
    .args:
      - .offset:         0
        .size:           40
        .value_kind:     by_value
    .group_segment_fixed_size: 0
    .kernarg_segment_align: 8
    .kernarg_segment_size: 40
    .language:       OpenCL C
    .language_version:
      - 2
      - 0
    .max_flat_workgroup_size: 512
    .name:           _ZN7rocprim17ROCPRIM_400000_NS6detail17trampoline_kernelINS0_14default_configENS1_35radix_sort_onesweep_config_selectorIflEEZNS1_34radix_sort_onesweep_global_offsetsIS3_Lb0EPfN6thrust23THRUST_200600_302600_NS10device_ptrIlEEjNS0_19identity_decomposerEEE10hipError_tT1_T2_PT3_SG_jT4_jjP12ihipStream_tbEUlT_E_NS1_11comp_targetILNS1_3genE2ELNS1_11target_archE906ELNS1_3gpuE6ELNS1_3repE0EEENS1_52radix_sort_onesweep_histogram_config_static_selectorELNS0_4arch9wavefront6targetE1EEEvSE_
    .private_segment_fixed_size: 0
    .sgpr_count:     4
    .sgpr_spill_count: 0
    .symbol:         _ZN7rocprim17ROCPRIM_400000_NS6detail17trampoline_kernelINS0_14default_configENS1_35radix_sort_onesweep_config_selectorIflEEZNS1_34radix_sort_onesweep_global_offsetsIS3_Lb0EPfN6thrust23THRUST_200600_302600_NS10device_ptrIlEEjNS0_19identity_decomposerEEE10hipError_tT1_T2_PT3_SG_jT4_jjP12ihipStream_tbEUlT_E_NS1_11comp_targetILNS1_3genE2ELNS1_11target_archE906ELNS1_3gpuE6ELNS1_3repE0EEENS1_52radix_sort_onesweep_histogram_config_static_selectorELNS0_4arch9wavefront6targetE1EEEvSE_.kd
    .uniform_work_group_size: 1
    .uses_dynamic_stack: false
    .vgpr_count:     0
    .vgpr_spill_count: 0
    .wavefront_size: 64
  - .agpr_count:     0
    .args:
      - .offset:         0
        .size:           40
        .value_kind:     by_value
    .group_segment_fixed_size: 16384
    .kernarg_segment_align: 8
    .kernarg_segment_size: 40
    .language:       OpenCL C
    .language_version:
      - 2
      - 0
    .max_flat_workgroup_size: 1024
    .name:           _ZN7rocprim17ROCPRIM_400000_NS6detail17trampoline_kernelINS0_14default_configENS1_35radix_sort_onesweep_config_selectorIflEEZNS1_34radix_sort_onesweep_global_offsetsIS3_Lb0EPfN6thrust23THRUST_200600_302600_NS10device_ptrIlEEjNS0_19identity_decomposerEEE10hipError_tT1_T2_PT3_SG_jT4_jjP12ihipStream_tbEUlT_E_NS1_11comp_targetILNS1_3genE4ELNS1_11target_archE910ELNS1_3gpuE8ELNS1_3repE0EEENS1_52radix_sort_onesweep_histogram_config_static_selectorELNS0_4arch9wavefront6targetE1EEEvSE_
    .private_segment_fixed_size: 0
    .sgpr_count:     23
    .sgpr_spill_count: 0
    .symbol:         _ZN7rocprim17ROCPRIM_400000_NS6detail17trampoline_kernelINS0_14default_configENS1_35radix_sort_onesweep_config_selectorIflEEZNS1_34radix_sort_onesweep_global_offsetsIS3_Lb0EPfN6thrust23THRUST_200600_302600_NS10device_ptrIlEEjNS0_19identity_decomposerEEE10hipError_tT1_T2_PT3_SG_jT4_jjP12ihipStream_tbEUlT_E_NS1_11comp_targetILNS1_3genE4ELNS1_11target_archE910ELNS1_3gpuE8ELNS1_3repE0EEENS1_52radix_sort_onesweep_histogram_config_static_selectorELNS0_4arch9wavefront6targetE1EEEvSE_.kd
    .uniform_work_group_size: 1
    .uses_dynamic_stack: false
    .vgpr_count:     21
    .vgpr_spill_count: 0
    .wavefront_size: 64
  - .agpr_count:     0
    .args:
      - .offset:         0
        .size:           40
        .value_kind:     by_value
    .group_segment_fixed_size: 0
    .kernarg_segment_align: 8
    .kernarg_segment_size: 40
    .language:       OpenCL C
    .language_version:
      - 2
      - 0
    .max_flat_workgroup_size: 512
    .name:           _ZN7rocprim17ROCPRIM_400000_NS6detail17trampoline_kernelINS0_14default_configENS1_35radix_sort_onesweep_config_selectorIflEEZNS1_34radix_sort_onesweep_global_offsetsIS3_Lb0EPfN6thrust23THRUST_200600_302600_NS10device_ptrIlEEjNS0_19identity_decomposerEEE10hipError_tT1_T2_PT3_SG_jT4_jjP12ihipStream_tbEUlT_E_NS1_11comp_targetILNS1_3genE3ELNS1_11target_archE908ELNS1_3gpuE7ELNS1_3repE0EEENS1_52radix_sort_onesweep_histogram_config_static_selectorELNS0_4arch9wavefront6targetE1EEEvSE_
    .private_segment_fixed_size: 0
    .sgpr_count:     4
    .sgpr_spill_count: 0
    .symbol:         _ZN7rocprim17ROCPRIM_400000_NS6detail17trampoline_kernelINS0_14default_configENS1_35radix_sort_onesweep_config_selectorIflEEZNS1_34radix_sort_onesweep_global_offsetsIS3_Lb0EPfN6thrust23THRUST_200600_302600_NS10device_ptrIlEEjNS0_19identity_decomposerEEE10hipError_tT1_T2_PT3_SG_jT4_jjP12ihipStream_tbEUlT_E_NS1_11comp_targetILNS1_3genE3ELNS1_11target_archE908ELNS1_3gpuE7ELNS1_3repE0EEENS1_52radix_sort_onesweep_histogram_config_static_selectorELNS0_4arch9wavefront6targetE1EEEvSE_.kd
    .uniform_work_group_size: 1
    .uses_dynamic_stack: false
    .vgpr_count:     0
    .vgpr_spill_count: 0
    .wavefront_size: 64
  - .agpr_count:     0
    .args:
      - .offset:         0
        .size:           40
        .value_kind:     by_value
    .group_segment_fixed_size: 0
    .kernarg_segment_align: 8
    .kernarg_segment_size: 40
    .language:       OpenCL C
    .language_version:
      - 2
      - 0
    .max_flat_workgroup_size: 1024
    .name:           _ZN7rocprim17ROCPRIM_400000_NS6detail17trampoline_kernelINS0_14default_configENS1_35radix_sort_onesweep_config_selectorIflEEZNS1_34radix_sort_onesweep_global_offsetsIS3_Lb0EPfN6thrust23THRUST_200600_302600_NS10device_ptrIlEEjNS0_19identity_decomposerEEE10hipError_tT1_T2_PT3_SG_jT4_jjP12ihipStream_tbEUlT_E_NS1_11comp_targetILNS1_3genE10ELNS1_11target_archE1201ELNS1_3gpuE5ELNS1_3repE0EEENS1_52radix_sort_onesweep_histogram_config_static_selectorELNS0_4arch9wavefront6targetE1EEEvSE_
    .private_segment_fixed_size: 0
    .sgpr_count:     4
    .sgpr_spill_count: 0
    .symbol:         _ZN7rocprim17ROCPRIM_400000_NS6detail17trampoline_kernelINS0_14default_configENS1_35radix_sort_onesweep_config_selectorIflEEZNS1_34radix_sort_onesweep_global_offsetsIS3_Lb0EPfN6thrust23THRUST_200600_302600_NS10device_ptrIlEEjNS0_19identity_decomposerEEE10hipError_tT1_T2_PT3_SG_jT4_jjP12ihipStream_tbEUlT_E_NS1_11comp_targetILNS1_3genE10ELNS1_11target_archE1201ELNS1_3gpuE5ELNS1_3repE0EEENS1_52radix_sort_onesweep_histogram_config_static_selectorELNS0_4arch9wavefront6targetE1EEEvSE_.kd
    .uniform_work_group_size: 1
    .uses_dynamic_stack: false
    .vgpr_count:     0
    .vgpr_spill_count: 0
    .wavefront_size: 64
  - .agpr_count:     0
    .args:
      - .offset:         0
        .size:           40
        .value_kind:     by_value
    .group_segment_fixed_size: 0
    .kernarg_segment_align: 8
    .kernarg_segment_size: 40
    .language:       OpenCL C
    .language_version:
      - 2
      - 0
    .max_flat_workgroup_size: 1024
    .name:           _ZN7rocprim17ROCPRIM_400000_NS6detail17trampoline_kernelINS0_14default_configENS1_35radix_sort_onesweep_config_selectorIflEEZNS1_34radix_sort_onesweep_global_offsetsIS3_Lb0EPfN6thrust23THRUST_200600_302600_NS10device_ptrIlEEjNS0_19identity_decomposerEEE10hipError_tT1_T2_PT3_SG_jT4_jjP12ihipStream_tbEUlT_E_NS1_11comp_targetILNS1_3genE9ELNS1_11target_archE1100ELNS1_3gpuE3ELNS1_3repE0EEENS1_52radix_sort_onesweep_histogram_config_static_selectorELNS0_4arch9wavefront6targetE1EEEvSE_
    .private_segment_fixed_size: 0
    .sgpr_count:     4
    .sgpr_spill_count: 0
    .symbol:         _ZN7rocprim17ROCPRIM_400000_NS6detail17trampoline_kernelINS0_14default_configENS1_35radix_sort_onesweep_config_selectorIflEEZNS1_34radix_sort_onesweep_global_offsetsIS3_Lb0EPfN6thrust23THRUST_200600_302600_NS10device_ptrIlEEjNS0_19identity_decomposerEEE10hipError_tT1_T2_PT3_SG_jT4_jjP12ihipStream_tbEUlT_E_NS1_11comp_targetILNS1_3genE9ELNS1_11target_archE1100ELNS1_3gpuE3ELNS1_3repE0EEENS1_52radix_sort_onesweep_histogram_config_static_selectorELNS0_4arch9wavefront6targetE1EEEvSE_.kd
    .uniform_work_group_size: 1
    .uses_dynamic_stack: false
    .vgpr_count:     0
    .vgpr_spill_count: 0
    .wavefront_size: 64
  - .agpr_count:     0
    .args:
      - .offset:         0
        .size:           40
        .value_kind:     by_value
    .group_segment_fixed_size: 0
    .kernarg_segment_align: 8
    .kernarg_segment_size: 40
    .language:       OpenCL C
    .language_version:
      - 2
      - 0
    .max_flat_workgroup_size: 1024
    .name:           _ZN7rocprim17ROCPRIM_400000_NS6detail17trampoline_kernelINS0_14default_configENS1_35radix_sort_onesweep_config_selectorIflEEZNS1_34radix_sort_onesweep_global_offsetsIS3_Lb0EPfN6thrust23THRUST_200600_302600_NS10device_ptrIlEEjNS0_19identity_decomposerEEE10hipError_tT1_T2_PT3_SG_jT4_jjP12ihipStream_tbEUlT_E_NS1_11comp_targetILNS1_3genE8ELNS1_11target_archE1030ELNS1_3gpuE2ELNS1_3repE0EEENS1_52radix_sort_onesweep_histogram_config_static_selectorELNS0_4arch9wavefront6targetE1EEEvSE_
    .private_segment_fixed_size: 0
    .sgpr_count:     4
    .sgpr_spill_count: 0
    .symbol:         _ZN7rocprim17ROCPRIM_400000_NS6detail17trampoline_kernelINS0_14default_configENS1_35radix_sort_onesweep_config_selectorIflEEZNS1_34radix_sort_onesweep_global_offsetsIS3_Lb0EPfN6thrust23THRUST_200600_302600_NS10device_ptrIlEEjNS0_19identity_decomposerEEE10hipError_tT1_T2_PT3_SG_jT4_jjP12ihipStream_tbEUlT_E_NS1_11comp_targetILNS1_3genE8ELNS1_11target_archE1030ELNS1_3gpuE2ELNS1_3repE0EEENS1_52radix_sort_onesweep_histogram_config_static_selectorELNS0_4arch9wavefront6targetE1EEEvSE_.kd
    .uniform_work_group_size: 1
    .uses_dynamic_stack: false
    .vgpr_count:     0
    .vgpr_spill_count: 0
    .wavefront_size: 64
  - .agpr_count:     0
    .args:
      - .address_space:  global
        .offset:         0
        .size:           8
        .value_kind:     global_buffer
    .group_segment_fixed_size: 0
    .kernarg_segment_align: 8
    .kernarg_segment_size: 8
    .language:       OpenCL C
    .language_version:
      - 2
      - 0
    .max_flat_workgroup_size: 512
    .name:           _ZN7rocprim17ROCPRIM_400000_NS6detail17trampoline_kernelINS0_14default_configENS1_35radix_sort_onesweep_config_selectorIflEEZNS1_34radix_sort_onesweep_global_offsetsIS3_Lb0EPfN6thrust23THRUST_200600_302600_NS10device_ptrIlEEjNS0_19identity_decomposerEEE10hipError_tT1_T2_PT3_SG_jT4_jjP12ihipStream_tbEUlT_E0_NS1_11comp_targetILNS1_3genE0ELNS1_11target_archE4294967295ELNS1_3gpuE0ELNS1_3repE0EEENS1_52radix_sort_onesweep_histogram_config_static_selectorELNS0_4arch9wavefront6targetE1EEEvSE_
    .private_segment_fixed_size: 0
    .sgpr_count:     4
    .sgpr_spill_count: 0
    .symbol:         _ZN7rocprim17ROCPRIM_400000_NS6detail17trampoline_kernelINS0_14default_configENS1_35radix_sort_onesweep_config_selectorIflEEZNS1_34radix_sort_onesweep_global_offsetsIS3_Lb0EPfN6thrust23THRUST_200600_302600_NS10device_ptrIlEEjNS0_19identity_decomposerEEE10hipError_tT1_T2_PT3_SG_jT4_jjP12ihipStream_tbEUlT_E0_NS1_11comp_targetILNS1_3genE0ELNS1_11target_archE4294967295ELNS1_3gpuE0ELNS1_3repE0EEENS1_52radix_sort_onesweep_histogram_config_static_selectorELNS0_4arch9wavefront6targetE1EEEvSE_.kd
    .uniform_work_group_size: 1
    .uses_dynamic_stack: false
    .vgpr_count:     0
    .vgpr_spill_count: 0
    .wavefront_size: 64
  - .agpr_count:     0
    .args:
      - .address_space:  global
        .offset:         0
        .size:           8
        .value_kind:     global_buffer
    .group_segment_fixed_size: 0
    .kernarg_segment_align: 8
    .kernarg_segment_size: 8
    .language:       OpenCL C
    .language_version:
      - 2
      - 0
    .max_flat_workgroup_size: 512
    .name:           _ZN7rocprim17ROCPRIM_400000_NS6detail17trampoline_kernelINS0_14default_configENS1_35radix_sort_onesweep_config_selectorIflEEZNS1_34radix_sort_onesweep_global_offsetsIS3_Lb0EPfN6thrust23THRUST_200600_302600_NS10device_ptrIlEEjNS0_19identity_decomposerEEE10hipError_tT1_T2_PT3_SG_jT4_jjP12ihipStream_tbEUlT_E0_NS1_11comp_targetILNS1_3genE6ELNS1_11target_archE950ELNS1_3gpuE13ELNS1_3repE0EEENS1_52radix_sort_onesweep_histogram_config_static_selectorELNS0_4arch9wavefront6targetE1EEEvSE_
    .private_segment_fixed_size: 0
    .sgpr_count:     4
    .sgpr_spill_count: 0
    .symbol:         _ZN7rocprim17ROCPRIM_400000_NS6detail17trampoline_kernelINS0_14default_configENS1_35radix_sort_onesweep_config_selectorIflEEZNS1_34radix_sort_onesweep_global_offsetsIS3_Lb0EPfN6thrust23THRUST_200600_302600_NS10device_ptrIlEEjNS0_19identity_decomposerEEE10hipError_tT1_T2_PT3_SG_jT4_jjP12ihipStream_tbEUlT_E0_NS1_11comp_targetILNS1_3genE6ELNS1_11target_archE950ELNS1_3gpuE13ELNS1_3repE0EEENS1_52radix_sort_onesweep_histogram_config_static_selectorELNS0_4arch9wavefront6targetE1EEEvSE_.kd
    .uniform_work_group_size: 1
    .uses_dynamic_stack: false
    .vgpr_count:     0
    .vgpr_spill_count: 0
    .wavefront_size: 64
  - .agpr_count:     0
    .args:
      - .address_space:  global
        .offset:         0
        .size:           8
        .value_kind:     global_buffer
    .group_segment_fixed_size: 0
    .kernarg_segment_align: 8
    .kernarg_segment_size: 8
    .language:       OpenCL C
    .language_version:
      - 2
      - 0
    .max_flat_workgroup_size: 512
    .name:           _ZN7rocprim17ROCPRIM_400000_NS6detail17trampoline_kernelINS0_14default_configENS1_35radix_sort_onesweep_config_selectorIflEEZNS1_34radix_sort_onesweep_global_offsetsIS3_Lb0EPfN6thrust23THRUST_200600_302600_NS10device_ptrIlEEjNS0_19identity_decomposerEEE10hipError_tT1_T2_PT3_SG_jT4_jjP12ihipStream_tbEUlT_E0_NS1_11comp_targetILNS1_3genE5ELNS1_11target_archE942ELNS1_3gpuE9ELNS1_3repE0EEENS1_52radix_sort_onesweep_histogram_config_static_selectorELNS0_4arch9wavefront6targetE1EEEvSE_
    .private_segment_fixed_size: 0
    .sgpr_count:     4
    .sgpr_spill_count: 0
    .symbol:         _ZN7rocprim17ROCPRIM_400000_NS6detail17trampoline_kernelINS0_14default_configENS1_35radix_sort_onesweep_config_selectorIflEEZNS1_34radix_sort_onesweep_global_offsetsIS3_Lb0EPfN6thrust23THRUST_200600_302600_NS10device_ptrIlEEjNS0_19identity_decomposerEEE10hipError_tT1_T2_PT3_SG_jT4_jjP12ihipStream_tbEUlT_E0_NS1_11comp_targetILNS1_3genE5ELNS1_11target_archE942ELNS1_3gpuE9ELNS1_3repE0EEENS1_52radix_sort_onesweep_histogram_config_static_selectorELNS0_4arch9wavefront6targetE1EEEvSE_.kd
    .uniform_work_group_size: 1
    .uses_dynamic_stack: false
    .vgpr_count:     0
    .vgpr_spill_count: 0
    .wavefront_size: 64
  - .agpr_count:     0
    .args:
      - .address_space:  global
        .offset:         0
        .size:           8
        .value_kind:     global_buffer
    .group_segment_fixed_size: 0
    .kernarg_segment_align: 8
    .kernarg_segment_size: 8
    .language:       OpenCL C
    .language_version:
      - 2
      - 0
    .max_flat_workgroup_size: 512
    .name:           _ZN7rocprim17ROCPRIM_400000_NS6detail17trampoline_kernelINS0_14default_configENS1_35radix_sort_onesweep_config_selectorIflEEZNS1_34radix_sort_onesweep_global_offsetsIS3_Lb0EPfN6thrust23THRUST_200600_302600_NS10device_ptrIlEEjNS0_19identity_decomposerEEE10hipError_tT1_T2_PT3_SG_jT4_jjP12ihipStream_tbEUlT_E0_NS1_11comp_targetILNS1_3genE2ELNS1_11target_archE906ELNS1_3gpuE6ELNS1_3repE0EEENS1_52radix_sort_onesweep_histogram_config_static_selectorELNS0_4arch9wavefront6targetE1EEEvSE_
    .private_segment_fixed_size: 0
    .sgpr_count:     4
    .sgpr_spill_count: 0
    .symbol:         _ZN7rocprim17ROCPRIM_400000_NS6detail17trampoline_kernelINS0_14default_configENS1_35radix_sort_onesweep_config_selectorIflEEZNS1_34radix_sort_onesweep_global_offsetsIS3_Lb0EPfN6thrust23THRUST_200600_302600_NS10device_ptrIlEEjNS0_19identity_decomposerEEE10hipError_tT1_T2_PT3_SG_jT4_jjP12ihipStream_tbEUlT_E0_NS1_11comp_targetILNS1_3genE2ELNS1_11target_archE906ELNS1_3gpuE6ELNS1_3repE0EEENS1_52radix_sort_onesweep_histogram_config_static_selectorELNS0_4arch9wavefront6targetE1EEEvSE_.kd
    .uniform_work_group_size: 1
    .uses_dynamic_stack: false
    .vgpr_count:     0
    .vgpr_spill_count: 0
    .wavefront_size: 64
  - .agpr_count:     0
    .args:
      - .address_space:  global
        .offset:         0
        .size:           8
        .value_kind:     global_buffer
    .group_segment_fixed_size: 64
    .kernarg_segment_align: 8
    .kernarg_segment_size: 8
    .language:       OpenCL C
    .language_version:
      - 2
      - 0
    .max_flat_workgroup_size: 1024
    .name:           _ZN7rocprim17ROCPRIM_400000_NS6detail17trampoline_kernelINS0_14default_configENS1_35radix_sort_onesweep_config_selectorIflEEZNS1_34radix_sort_onesweep_global_offsetsIS3_Lb0EPfN6thrust23THRUST_200600_302600_NS10device_ptrIlEEjNS0_19identity_decomposerEEE10hipError_tT1_T2_PT3_SG_jT4_jjP12ihipStream_tbEUlT_E0_NS1_11comp_targetILNS1_3genE4ELNS1_11target_archE910ELNS1_3gpuE8ELNS1_3repE0EEENS1_52radix_sort_onesweep_histogram_config_static_selectorELNS0_4arch9wavefront6targetE1EEEvSE_
    .private_segment_fixed_size: 0
    .sgpr_count:     18
    .sgpr_spill_count: 0
    .symbol:         _ZN7rocprim17ROCPRIM_400000_NS6detail17trampoline_kernelINS0_14default_configENS1_35radix_sort_onesweep_config_selectorIflEEZNS1_34radix_sort_onesweep_global_offsetsIS3_Lb0EPfN6thrust23THRUST_200600_302600_NS10device_ptrIlEEjNS0_19identity_decomposerEEE10hipError_tT1_T2_PT3_SG_jT4_jjP12ihipStream_tbEUlT_E0_NS1_11comp_targetILNS1_3genE4ELNS1_11target_archE910ELNS1_3gpuE8ELNS1_3repE0EEENS1_52radix_sort_onesweep_histogram_config_static_selectorELNS0_4arch9wavefront6targetE1EEEvSE_.kd
    .uniform_work_group_size: 1
    .uses_dynamic_stack: false
    .vgpr_count:     7
    .vgpr_spill_count: 0
    .wavefront_size: 64
  - .agpr_count:     0
    .args:
      - .address_space:  global
        .offset:         0
        .size:           8
        .value_kind:     global_buffer
    .group_segment_fixed_size: 0
    .kernarg_segment_align: 8
    .kernarg_segment_size: 8
    .language:       OpenCL C
    .language_version:
      - 2
      - 0
    .max_flat_workgroup_size: 512
    .name:           _ZN7rocprim17ROCPRIM_400000_NS6detail17trampoline_kernelINS0_14default_configENS1_35radix_sort_onesweep_config_selectorIflEEZNS1_34radix_sort_onesweep_global_offsetsIS3_Lb0EPfN6thrust23THRUST_200600_302600_NS10device_ptrIlEEjNS0_19identity_decomposerEEE10hipError_tT1_T2_PT3_SG_jT4_jjP12ihipStream_tbEUlT_E0_NS1_11comp_targetILNS1_3genE3ELNS1_11target_archE908ELNS1_3gpuE7ELNS1_3repE0EEENS1_52radix_sort_onesweep_histogram_config_static_selectorELNS0_4arch9wavefront6targetE1EEEvSE_
    .private_segment_fixed_size: 0
    .sgpr_count:     4
    .sgpr_spill_count: 0
    .symbol:         _ZN7rocprim17ROCPRIM_400000_NS6detail17trampoline_kernelINS0_14default_configENS1_35radix_sort_onesweep_config_selectorIflEEZNS1_34radix_sort_onesweep_global_offsetsIS3_Lb0EPfN6thrust23THRUST_200600_302600_NS10device_ptrIlEEjNS0_19identity_decomposerEEE10hipError_tT1_T2_PT3_SG_jT4_jjP12ihipStream_tbEUlT_E0_NS1_11comp_targetILNS1_3genE3ELNS1_11target_archE908ELNS1_3gpuE7ELNS1_3repE0EEENS1_52radix_sort_onesweep_histogram_config_static_selectorELNS0_4arch9wavefront6targetE1EEEvSE_.kd
    .uniform_work_group_size: 1
    .uses_dynamic_stack: false
    .vgpr_count:     0
    .vgpr_spill_count: 0
    .wavefront_size: 64
  - .agpr_count:     0
    .args:
      - .address_space:  global
        .offset:         0
        .size:           8
        .value_kind:     global_buffer
    .group_segment_fixed_size: 0
    .kernarg_segment_align: 8
    .kernarg_segment_size: 8
    .language:       OpenCL C
    .language_version:
      - 2
      - 0
    .max_flat_workgroup_size: 1024
    .name:           _ZN7rocprim17ROCPRIM_400000_NS6detail17trampoline_kernelINS0_14default_configENS1_35radix_sort_onesweep_config_selectorIflEEZNS1_34radix_sort_onesweep_global_offsetsIS3_Lb0EPfN6thrust23THRUST_200600_302600_NS10device_ptrIlEEjNS0_19identity_decomposerEEE10hipError_tT1_T2_PT3_SG_jT4_jjP12ihipStream_tbEUlT_E0_NS1_11comp_targetILNS1_3genE10ELNS1_11target_archE1201ELNS1_3gpuE5ELNS1_3repE0EEENS1_52radix_sort_onesweep_histogram_config_static_selectorELNS0_4arch9wavefront6targetE1EEEvSE_
    .private_segment_fixed_size: 0
    .sgpr_count:     4
    .sgpr_spill_count: 0
    .symbol:         _ZN7rocprim17ROCPRIM_400000_NS6detail17trampoline_kernelINS0_14default_configENS1_35radix_sort_onesweep_config_selectorIflEEZNS1_34radix_sort_onesweep_global_offsetsIS3_Lb0EPfN6thrust23THRUST_200600_302600_NS10device_ptrIlEEjNS0_19identity_decomposerEEE10hipError_tT1_T2_PT3_SG_jT4_jjP12ihipStream_tbEUlT_E0_NS1_11comp_targetILNS1_3genE10ELNS1_11target_archE1201ELNS1_3gpuE5ELNS1_3repE0EEENS1_52radix_sort_onesweep_histogram_config_static_selectorELNS0_4arch9wavefront6targetE1EEEvSE_.kd
    .uniform_work_group_size: 1
    .uses_dynamic_stack: false
    .vgpr_count:     0
    .vgpr_spill_count: 0
    .wavefront_size: 64
  - .agpr_count:     0
    .args:
      - .address_space:  global
        .offset:         0
        .size:           8
        .value_kind:     global_buffer
    .group_segment_fixed_size: 0
    .kernarg_segment_align: 8
    .kernarg_segment_size: 8
    .language:       OpenCL C
    .language_version:
      - 2
      - 0
    .max_flat_workgroup_size: 1024
    .name:           _ZN7rocprim17ROCPRIM_400000_NS6detail17trampoline_kernelINS0_14default_configENS1_35radix_sort_onesweep_config_selectorIflEEZNS1_34radix_sort_onesweep_global_offsetsIS3_Lb0EPfN6thrust23THRUST_200600_302600_NS10device_ptrIlEEjNS0_19identity_decomposerEEE10hipError_tT1_T2_PT3_SG_jT4_jjP12ihipStream_tbEUlT_E0_NS1_11comp_targetILNS1_3genE9ELNS1_11target_archE1100ELNS1_3gpuE3ELNS1_3repE0EEENS1_52radix_sort_onesweep_histogram_config_static_selectorELNS0_4arch9wavefront6targetE1EEEvSE_
    .private_segment_fixed_size: 0
    .sgpr_count:     4
    .sgpr_spill_count: 0
    .symbol:         _ZN7rocprim17ROCPRIM_400000_NS6detail17trampoline_kernelINS0_14default_configENS1_35radix_sort_onesweep_config_selectorIflEEZNS1_34radix_sort_onesweep_global_offsetsIS3_Lb0EPfN6thrust23THRUST_200600_302600_NS10device_ptrIlEEjNS0_19identity_decomposerEEE10hipError_tT1_T2_PT3_SG_jT4_jjP12ihipStream_tbEUlT_E0_NS1_11comp_targetILNS1_3genE9ELNS1_11target_archE1100ELNS1_3gpuE3ELNS1_3repE0EEENS1_52radix_sort_onesweep_histogram_config_static_selectorELNS0_4arch9wavefront6targetE1EEEvSE_.kd
    .uniform_work_group_size: 1
    .uses_dynamic_stack: false
    .vgpr_count:     0
    .vgpr_spill_count: 0
    .wavefront_size: 64
  - .agpr_count:     0
    .args:
      - .address_space:  global
        .offset:         0
        .size:           8
        .value_kind:     global_buffer
    .group_segment_fixed_size: 0
    .kernarg_segment_align: 8
    .kernarg_segment_size: 8
    .language:       OpenCL C
    .language_version:
      - 2
      - 0
    .max_flat_workgroup_size: 1024
    .name:           _ZN7rocprim17ROCPRIM_400000_NS6detail17trampoline_kernelINS0_14default_configENS1_35radix_sort_onesweep_config_selectorIflEEZNS1_34radix_sort_onesweep_global_offsetsIS3_Lb0EPfN6thrust23THRUST_200600_302600_NS10device_ptrIlEEjNS0_19identity_decomposerEEE10hipError_tT1_T2_PT3_SG_jT4_jjP12ihipStream_tbEUlT_E0_NS1_11comp_targetILNS1_3genE8ELNS1_11target_archE1030ELNS1_3gpuE2ELNS1_3repE0EEENS1_52radix_sort_onesweep_histogram_config_static_selectorELNS0_4arch9wavefront6targetE1EEEvSE_
    .private_segment_fixed_size: 0
    .sgpr_count:     4
    .sgpr_spill_count: 0
    .symbol:         _ZN7rocprim17ROCPRIM_400000_NS6detail17trampoline_kernelINS0_14default_configENS1_35radix_sort_onesweep_config_selectorIflEEZNS1_34radix_sort_onesweep_global_offsetsIS3_Lb0EPfN6thrust23THRUST_200600_302600_NS10device_ptrIlEEjNS0_19identity_decomposerEEE10hipError_tT1_T2_PT3_SG_jT4_jjP12ihipStream_tbEUlT_E0_NS1_11comp_targetILNS1_3genE8ELNS1_11target_archE1030ELNS1_3gpuE2ELNS1_3repE0EEENS1_52radix_sort_onesweep_histogram_config_static_selectorELNS0_4arch9wavefront6targetE1EEEvSE_.kd
    .uniform_work_group_size: 1
    .uses_dynamic_stack: false
    .vgpr_count:     0
    .vgpr_spill_count: 0
    .wavefront_size: 64
  - .agpr_count:     0
    .args:
      - .offset:         0
        .size:           88
        .value_kind:     by_value
    .group_segment_fixed_size: 0
    .kernarg_segment_align: 8
    .kernarg_segment_size: 88
    .language:       OpenCL C
    .language_version:
      - 2
      - 0
    .max_flat_workgroup_size: 512
    .name:           _ZN7rocprim17ROCPRIM_400000_NS6detail17trampoline_kernelINS0_14default_configENS1_35radix_sort_onesweep_config_selectorIflEEZZNS1_29radix_sort_onesweep_iterationIS3_Lb0EPfS7_N6thrust23THRUST_200600_302600_NS10device_ptrIlEESB_jNS0_19identity_decomposerENS1_16block_id_wrapperIjLb1EEEEE10hipError_tT1_PNSt15iterator_traitsISG_E10value_typeET2_T3_PNSH_ISM_E10value_typeET4_T5_PSR_SS_PNS1_23onesweep_lookback_stateEbbT6_jjT7_P12ihipStream_tbENKUlT_T0_SG_SL_E_clIS7_S7_SB_SB_EEDaSZ_S10_SG_SL_EUlSZ_E_NS1_11comp_targetILNS1_3genE0ELNS1_11target_archE4294967295ELNS1_3gpuE0ELNS1_3repE0EEENS1_47radix_sort_onesweep_sort_config_static_selectorELNS0_4arch9wavefront6targetE1EEEvSG_
    .private_segment_fixed_size: 0
    .sgpr_count:     4
    .sgpr_spill_count: 0
    .symbol:         _ZN7rocprim17ROCPRIM_400000_NS6detail17trampoline_kernelINS0_14default_configENS1_35radix_sort_onesweep_config_selectorIflEEZZNS1_29radix_sort_onesweep_iterationIS3_Lb0EPfS7_N6thrust23THRUST_200600_302600_NS10device_ptrIlEESB_jNS0_19identity_decomposerENS1_16block_id_wrapperIjLb1EEEEE10hipError_tT1_PNSt15iterator_traitsISG_E10value_typeET2_T3_PNSH_ISM_E10value_typeET4_T5_PSR_SS_PNS1_23onesweep_lookback_stateEbbT6_jjT7_P12ihipStream_tbENKUlT_T0_SG_SL_E_clIS7_S7_SB_SB_EEDaSZ_S10_SG_SL_EUlSZ_E_NS1_11comp_targetILNS1_3genE0ELNS1_11target_archE4294967295ELNS1_3gpuE0ELNS1_3repE0EEENS1_47radix_sort_onesweep_sort_config_static_selectorELNS0_4arch9wavefront6targetE1EEEvSG_.kd
    .uniform_work_group_size: 1
    .uses_dynamic_stack: false
    .vgpr_count:     0
    .vgpr_spill_count: 0
    .wavefront_size: 64
  - .agpr_count:     0
    .args:
      - .offset:         0
        .size:           88
        .value_kind:     by_value
    .group_segment_fixed_size: 0
    .kernarg_segment_align: 8
    .kernarg_segment_size: 88
    .language:       OpenCL C
    .language_version:
      - 2
      - 0
    .max_flat_workgroup_size: 512
    .name:           _ZN7rocprim17ROCPRIM_400000_NS6detail17trampoline_kernelINS0_14default_configENS1_35radix_sort_onesweep_config_selectorIflEEZZNS1_29radix_sort_onesweep_iterationIS3_Lb0EPfS7_N6thrust23THRUST_200600_302600_NS10device_ptrIlEESB_jNS0_19identity_decomposerENS1_16block_id_wrapperIjLb1EEEEE10hipError_tT1_PNSt15iterator_traitsISG_E10value_typeET2_T3_PNSH_ISM_E10value_typeET4_T5_PSR_SS_PNS1_23onesweep_lookback_stateEbbT6_jjT7_P12ihipStream_tbENKUlT_T0_SG_SL_E_clIS7_S7_SB_SB_EEDaSZ_S10_SG_SL_EUlSZ_E_NS1_11comp_targetILNS1_3genE6ELNS1_11target_archE950ELNS1_3gpuE13ELNS1_3repE0EEENS1_47radix_sort_onesweep_sort_config_static_selectorELNS0_4arch9wavefront6targetE1EEEvSG_
    .private_segment_fixed_size: 0
    .sgpr_count:     4
    .sgpr_spill_count: 0
    .symbol:         _ZN7rocprim17ROCPRIM_400000_NS6detail17trampoline_kernelINS0_14default_configENS1_35radix_sort_onesweep_config_selectorIflEEZZNS1_29radix_sort_onesweep_iterationIS3_Lb0EPfS7_N6thrust23THRUST_200600_302600_NS10device_ptrIlEESB_jNS0_19identity_decomposerENS1_16block_id_wrapperIjLb1EEEEE10hipError_tT1_PNSt15iterator_traitsISG_E10value_typeET2_T3_PNSH_ISM_E10value_typeET4_T5_PSR_SS_PNS1_23onesweep_lookback_stateEbbT6_jjT7_P12ihipStream_tbENKUlT_T0_SG_SL_E_clIS7_S7_SB_SB_EEDaSZ_S10_SG_SL_EUlSZ_E_NS1_11comp_targetILNS1_3genE6ELNS1_11target_archE950ELNS1_3gpuE13ELNS1_3repE0EEENS1_47radix_sort_onesweep_sort_config_static_selectorELNS0_4arch9wavefront6targetE1EEEvSG_.kd
    .uniform_work_group_size: 1
    .uses_dynamic_stack: false
    .vgpr_count:     0
    .vgpr_spill_count: 0
    .wavefront_size: 64
  - .agpr_count:     0
    .args:
      - .offset:         0
        .size:           88
        .value_kind:     by_value
    .group_segment_fixed_size: 0
    .kernarg_segment_align: 8
    .kernarg_segment_size: 88
    .language:       OpenCL C
    .language_version:
      - 2
      - 0
    .max_flat_workgroup_size: 512
    .name:           _ZN7rocprim17ROCPRIM_400000_NS6detail17trampoline_kernelINS0_14default_configENS1_35radix_sort_onesweep_config_selectorIflEEZZNS1_29radix_sort_onesweep_iterationIS3_Lb0EPfS7_N6thrust23THRUST_200600_302600_NS10device_ptrIlEESB_jNS0_19identity_decomposerENS1_16block_id_wrapperIjLb1EEEEE10hipError_tT1_PNSt15iterator_traitsISG_E10value_typeET2_T3_PNSH_ISM_E10value_typeET4_T5_PSR_SS_PNS1_23onesweep_lookback_stateEbbT6_jjT7_P12ihipStream_tbENKUlT_T0_SG_SL_E_clIS7_S7_SB_SB_EEDaSZ_S10_SG_SL_EUlSZ_E_NS1_11comp_targetILNS1_3genE5ELNS1_11target_archE942ELNS1_3gpuE9ELNS1_3repE0EEENS1_47radix_sort_onesweep_sort_config_static_selectorELNS0_4arch9wavefront6targetE1EEEvSG_
    .private_segment_fixed_size: 0
    .sgpr_count:     4
    .sgpr_spill_count: 0
    .symbol:         _ZN7rocprim17ROCPRIM_400000_NS6detail17trampoline_kernelINS0_14default_configENS1_35radix_sort_onesweep_config_selectorIflEEZZNS1_29radix_sort_onesweep_iterationIS3_Lb0EPfS7_N6thrust23THRUST_200600_302600_NS10device_ptrIlEESB_jNS0_19identity_decomposerENS1_16block_id_wrapperIjLb1EEEEE10hipError_tT1_PNSt15iterator_traitsISG_E10value_typeET2_T3_PNSH_ISM_E10value_typeET4_T5_PSR_SS_PNS1_23onesweep_lookback_stateEbbT6_jjT7_P12ihipStream_tbENKUlT_T0_SG_SL_E_clIS7_S7_SB_SB_EEDaSZ_S10_SG_SL_EUlSZ_E_NS1_11comp_targetILNS1_3genE5ELNS1_11target_archE942ELNS1_3gpuE9ELNS1_3repE0EEENS1_47radix_sort_onesweep_sort_config_static_selectorELNS0_4arch9wavefront6targetE1EEEvSG_.kd
    .uniform_work_group_size: 1
    .uses_dynamic_stack: false
    .vgpr_count:     0
    .vgpr_spill_count: 0
    .wavefront_size: 64
  - .agpr_count:     0
    .args:
      - .offset:         0
        .size:           88
        .value_kind:     by_value
    .group_segment_fixed_size: 0
    .kernarg_segment_align: 8
    .kernarg_segment_size: 88
    .language:       OpenCL C
    .language_version:
      - 2
      - 0
    .max_flat_workgroup_size: 512
    .name:           _ZN7rocprim17ROCPRIM_400000_NS6detail17trampoline_kernelINS0_14default_configENS1_35radix_sort_onesweep_config_selectorIflEEZZNS1_29radix_sort_onesweep_iterationIS3_Lb0EPfS7_N6thrust23THRUST_200600_302600_NS10device_ptrIlEESB_jNS0_19identity_decomposerENS1_16block_id_wrapperIjLb1EEEEE10hipError_tT1_PNSt15iterator_traitsISG_E10value_typeET2_T3_PNSH_ISM_E10value_typeET4_T5_PSR_SS_PNS1_23onesweep_lookback_stateEbbT6_jjT7_P12ihipStream_tbENKUlT_T0_SG_SL_E_clIS7_S7_SB_SB_EEDaSZ_S10_SG_SL_EUlSZ_E_NS1_11comp_targetILNS1_3genE2ELNS1_11target_archE906ELNS1_3gpuE6ELNS1_3repE0EEENS1_47radix_sort_onesweep_sort_config_static_selectorELNS0_4arch9wavefront6targetE1EEEvSG_
    .private_segment_fixed_size: 0
    .sgpr_count:     4
    .sgpr_spill_count: 0
    .symbol:         _ZN7rocprim17ROCPRIM_400000_NS6detail17trampoline_kernelINS0_14default_configENS1_35radix_sort_onesweep_config_selectorIflEEZZNS1_29radix_sort_onesweep_iterationIS3_Lb0EPfS7_N6thrust23THRUST_200600_302600_NS10device_ptrIlEESB_jNS0_19identity_decomposerENS1_16block_id_wrapperIjLb1EEEEE10hipError_tT1_PNSt15iterator_traitsISG_E10value_typeET2_T3_PNSH_ISM_E10value_typeET4_T5_PSR_SS_PNS1_23onesweep_lookback_stateEbbT6_jjT7_P12ihipStream_tbENKUlT_T0_SG_SL_E_clIS7_S7_SB_SB_EEDaSZ_S10_SG_SL_EUlSZ_E_NS1_11comp_targetILNS1_3genE2ELNS1_11target_archE906ELNS1_3gpuE6ELNS1_3repE0EEENS1_47radix_sort_onesweep_sort_config_static_selectorELNS0_4arch9wavefront6targetE1EEEvSG_.kd
    .uniform_work_group_size: 1
    .uses_dynamic_stack: false
    .vgpr_count:     0
    .vgpr_spill_count: 0
    .wavefront_size: 64
  - .agpr_count:     0
    .args:
      - .offset:         0
        .size:           88
        .value_kind:     by_value
      - .offset:         88
        .size:           4
        .value_kind:     hidden_block_count_x
      - .offset:         92
        .size:           4
        .value_kind:     hidden_block_count_y
      - .offset:         96
        .size:           4
        .value_kind:     hidden_block_count_z
      - .offset:         100
        .size:           2
        .value_kind:     hidden_group_size_x
      - .offset:         102
        .size:           2
        .value_kind:     hidden_group_size_y
      - .offset:         104
        .size:           2
        .value_kind:     hidden_group_size_z
      - .offset:         106
        .size:           2
        .value_kind:     hidden_remainder_x
      - .offset:         108
        .size:           2
        .value_kind:     hidden_remainder_y
      - .offset:         110
        .size:           2
        .value_kind:     hidden_remainder_z
      - .offset:         128
        .size:           8
        .value_kind:     hidden_global_offset_x
      - .offset:         136
        .size:           8
        .value_kind:     hidden_global_offset_y
      - .offset:         144
        .size:           8
        .value_kind:     hidden_global_offset_z
      - .offset:         152
        .size:           2
        .value_kind:     hidden_grid_dims
    .group_segment_fixed_size: 20552
    .kernarg_segment_align: 8
    .kernarg_segment_size: 344
    .language:       OpenCL C
    .language_version:
      - 2
      - 0
    .max_flat_workgroup_size: 1024
    .name:           _ZN7rocprim17ROCPRIM_400000_NS6detail17trampoline_kernelINS0_14default_configENS1_35radix_sort_onesweep_config_selectorIflEEZZNS1_29radix_sort_onesweep_iterationIS3_Lb0EPfS7_N6thrust23THRUST_200600_302600_NS10device_ptrIlEESB_jNS0_19identity_decomposerENS1_16block_id_wrapperIjLb1EEEEE10hipError_tT1_PNSt15iterator_traitsISG_E10value_typeET2_T3_PNSH_ISM_E10value_typeET4_T5_PSR_SS_PNS1_23onesweep_lookback_stateEbbT6_jjT7_P12ihipStream_tbENKUlT_T0_SG_SL_E_clIS7_S7_SB_SB_EEDaSZ_S10_SG_SL_EUlSZ_E_NS1_11comp_targetILNS1_3genE4ELNS1_11target_archE910ELNS1_3gpuE8ELNS1_3repE0EEENS1_47radix_sort_onesweep_sort_config_static_selectorELNS0_4arch9wavefront6targetE1EEEvSG_
    .private_segment_fixed_size: 0
    .sgpr_count:     60
    .sgpr_spill_count: 0
    .symbol:         _ZN7rocprim17ROCPRIM_400000_NS6detail17trampoline_kernelINS0_14default_configENS1_35radix_sort_onesweep_config_selectorIflEEZZNS1_29radix_sort_onesweep_iterationIS3_Lb0EPfS7_N6thrust23THRUST_200600_302600_NS10device_ptrIlEESB_jNS0_19identity_decomposerENS1_16block_id_wrapperIjLb1EEEEE10hipError_tT1_PNSt15iterator_traitsISG_E10value_typeET2_T3_PNSH_ISM_E10value_typeET4_T5_PSR_SS_PNS1_23onesweep_lookback_stateEbbT6_jjT7_P12ihipStream_tbENKUlT_T0_SG_SL_E_clIS7_S7_SB_SB_EEDaSZ_S10_SG_SL_EUlSZ_E_NS1_11comp_targetILNS1_3genE4ELNS1_11target_archE910ELNS1_3gpuE8ELNS1_3repE0EEENS1_47radix_sort_onesweep_sort_config_static_selectorELNS0_4arch9wavefront6targetE1EEEvSG_.kd
    .uniform_work_group_size: 1
    .uses_dynamic_stack: false
    .vgpr_count:     65
    .vgpr_spill_count: 0
    .wavefront_size: 64
  - .agpr_count:     0
    .args:
      - .offset:         0
        .size:           88
        .value_kind:     by_value
    .group_segment_fixed_size: 0
    .kernarg_segment_align: 8
    .kernarg_segment_size: 88
    .language:       OpenCL C
    .language_version:
      - 2
      - 0
    .max_flat_workgroup_size: 512
    .name:           _ZN7rocprim17ROCPRIM_400000_NS6detail17trampoline_kernelINS0_14default_configENS1_35radix_sort_onesweep_config_selectorIflEEZZNS1_29radix_sort_onesweep_iterationIS3_Lb0EPfS7_N6thrust23THRUST_200600_302600_NS10device_ptrIlEESB_jNS0_19identity_decomposerENS1_16block_id_wrapperIjLb1EEEEE10hipError_tT1_PNSt15iterator_traitsISG_E10value_typeET2_T3_PNSH_ISM_E10value_typeET4_T5_PSR_SS_PNS1_23onesweep_lookback_stateEbbT6_jjT7_P12ihipStream_tbENKUlT_T0_SG_SL_E_clIS7_S7_SB_SB_EEDaSZ_S10_SG_SL_EUlSZ_E_NS1_11comp_targetILNS1_3genE3ELNS1_11target_archE908ELNS1_3gpuE7ELNS1_3repE0EEENS1_47radix_sort_onesweep_sort_config_static_selectorELNS0_4arch9wavefront6targetE1EEEvSG_
    .private_segment_fixed_size: 0
    .sgpr_count:     4
    .sgpr_spill_count: 0
    .symbol:         _ZN7rocprim17ROCPRIM_400000_NS6detail17trampoline_kernelINS0_14default_configENS1_35radix_sort_onesweep_config_selectorIflEEZZNS1_29radix_sort_onesweep_iterationIS3_Lb0EPfS7_N6thrust23THRUST_200600_302600_NS10device_ptrIlEESB_jNS0_19identity_decomposerENS1_16block_id_wrapperIjLb1EEEEE10hipError_tT1_PNSt15iterator_traitsISG_E10value_typeET2_T3_PNSH_ISM_E10value_typeET4_T5_PSR_SS_PNS1_23onesweep_lookback_stateEbbT6_jjT7_P12ihipStream_tbENKUlT_T0_SG_SL_E_clIS7_S7_SB_SB_EEDaSZ_S10_SG_SL_EUlSZ_E_NS1_11comp_targetILNS1_3genE3ELNS1_11target_archE908ELNS1_3gpuE7ELNS1_3repE0EEENS1_47radix_sort_onesweep_sort_config_static_selectorELNS0_4arch9wavefront6targetE1EEEvSG_.kd
    .uniform_work_group_size: 1
    .uses_dynamic_stack: false
    .vgpr_count:     0
    .vgpr_spill_count: 0
    .wavefront_size: 64
  - .agpr_count:     0
    .args:
      - .offset:         0
        .size:           88
        .value_kind:     by_value
    .group_segment_fixed_size: 0
    .kernarg_segment_align: 8
    .kernarg_segment_size: 88
    .language:       OpenCL C
    .language_version:
      - 2
      - 0
    .max_flat_workgroup_size: 1024
    .name:           _ZN7rocprim17ROCPRIM_400000_NS6detail17trampoline_kernelINS0_14default_configENS1_35radix_sort_onesweep_config_selectorIflEEZZNS1_29radix_sort_onesweep_iterationIS3_Lb0EPfS7_N6thrust23THRUST_200600_302600_NS10device_ptrIlEESB_jNS0_19identity_decomposerENS1_16block_id_wrapperIjLb1EEEEE10hipError_tT1_PNSt15iterator_traitsISG_E10value_typeET2_T3_PNSH_ISM_E10value_typeET4_T5_PSR_SS_PNS1_23onesweep_lookback_stateEbbT6_jjT7_P12ihipStream_tbENKUlT_T0_SG_SL_E_clIS7_S7_SB_SB_EEDaSZ_S10_SG_SL_EUlSZ_E_NS1_11comp_targetILNS1_3genE10ELNS1_11target_archE1201ELNS1_3gpuE5ELNS1_3repE0EEENS1_47radix_sort_onesweep_sort_config_static_selectorELNS0_4arch9wavefront6targetE1EEEvSG_
    .private_segment_fixed_size: 0
    .sgpr_count:     4
    .sgpr_spill_count: 0
    .symbol:         _ZN7rocprim17ROCPRIM_400000_NS6detail17trampoline_kernelINS0_14default_configENS1_35radix_sort_onesweep_config_selectorIflEEZZNS1_29radix_sort_onesweep_iterationIS3_Lb0EPfS7_N6thrust23THRUST_200600_302600_NS10device_ptrIlEESB_jNS0_19identity_decomposerENS1_16block_id_wrapperIjLb1EEEEE10hipError_tT1_PNSt15iterator_traitsISG_E10value_typeET2_T3_PNSH_ISM_E10value_typeET4_T5_PSR_SS_PNS1_23onesweep_lookback_stateEbbT6_jjT7_P12ihipStream_tbENKUlT_T0_SG_SL_E_clIS7_S7_SB_SB_EEDaSZ_S10_SG_SL_EUlSZ_E_NS1_11comp_targetILNS1_3genE10ELNS1_11target_archE1201ELNS1_3gpuE5ELNS1_3repE0EEENS1_47radix_sort_onesweep_sort_config_static_selectorELNS0_4arch9wavefront6targetE1EEEvSG_.kd
    .uniform_work_group_size: 1
    .uses_dynamic_stack: false
    .vgpr_count:     0
    .vgpr_spill_count: 0
    .wavefront_size: 64
  - .agpr_count:     0
    .args:
      - .offset:         0
        .size:           88
        .value_kind:     by_value
    .group_segment_fixed_size: 0
    .kernarg_segment_align: 8
    .kernarg_segment_size: 88
    .language:       OpenCL C
    .language_version:
      - 2
      - 0
    .max_flat_workgroup_size: 1024
    .name:           _ZN7rocprim17ROCPRIM_400000_NS6detail17trampoline_kernelINS0_14default_configENS1_35radix_sort_onesweep_config_selectorIflEEZZNS1_29radix_sort_onesweep_iterationIS3_Lb0EPfS7_N6thrust23THRUST_200600_302600_NS10device_ptrIlEESB_jNS0_19identity_decomposerENS1_16block_id_wrapperIjLb1EEEEE10hipError_tT1_PNSt15iterator_traitsISG_E10value_typeET2_T3_PNSH_ISM_E10value_typeET4_T5_PSR_SS_PNS1_23onesweep_lookback_stateEbbT6_jjT7_P12ihipStream_tbENKUlT_T0_SG_SL_E_clIS7_S7_SB_SB_EEDaSZ_S10_SG_SL_EUlSZ_E_NS1_11comp_targetILNS1_3genE9ELNS1_11target_archE1100ELNS1_3gpuE3ELNS1_3repE0EEENS1_47radix_sort_onesweep_sort_config_static_selectorELNS0_4arch9wavefront6targetE1EEEvSG_
    .private_segment_fixed_size: 0
    .sgpr_count:     4
    .sgpr_spill_count: 0
    .symbol:         _ZN7rocprim17ROCPRIM_400000_NS6detail17trampoline_kernelINS0_14default_configENS1_35radix_sort_onesweep_config_selectorIflEEZZNS1_29radix_sort_onesweep_iterationIS3_Lb0EPfS7_N6thrust23THRUST_200600_302600_NS10device_ptrIlEESB_jNS0_19identity_decomposerENS1_16block_id_wrapperIjLb1EEEEE10hipError_tT1_PNSt15iterator_traitsISG_E10value_typeET2_T3_PNSH_ISM_E10value_typeET4_T5_PSR_SS_PNS1_23onesweep_lookback_stateEbbT6_jjT7_P12ihipStream_tbENKUlT_T0_SG_SL_E_clIS7_S7_SB_SB_EEDaSZ_S10_SG_SL_EUlSZ_E_NS1_11comp_targetILNS1_3genE9ELNS1_11target_archE1100ELNS1_3gpuE3ELNS1_3repE0EEENS1_47radix_sort_onesweep_sort_config_static_selectorELNS0_4arch9wavefront6targetE1EEEvSG_.kd
    .uniform_work_group_size: 1
    .uses_dynamic_stack: false
    .vgpr_count:     0
    .vgpr_spill_count: 0
    .wavefront_size: 64
  - .agpr_count:     0
    .args:
      - .offset:         0
        .size:           88
        .value_kind:     by_value
    .group_segment_fixed_size: 0
    .kernarg_segment_align: 8
    .kernarg_segment_size: 88
    .language:       OpenCL C
    .language_version:
      - 2
      - 0
    .max_flat_workgroup_size: 1024
    .name:           _ZN7rocprim17ROCPRIM_400000_NS6detail17trampoline_kernelINS0_14default_configENS1_35radix_sort_onesweep_config_selectorIflEEZZNS1_29radix_sort_onesweep_iterationIS3_Lb0EPfS7_N6thrust23THRUST_200600_302600_NS10device_ptrIlEESB_jNS0_19identity_decomposerENS1_16block_id_wrapperIjLb1EEEEE10hipError_tT1_PNSt15iterator_traitsISG_E10value_typeET2_T3_PNSH_ISM_E10value_typeET4_T5_PSR_SS_PNS1_23onesweep_lookback_stateEbbT6_jjT7_P12ihipStream_tbENKUlT_T0_SG_SL_E_clIS7_S7_SB_SB_EEDaSZ_S10_SG_SL_EUlSZ_E_NS1_11comp_targetILNS1_3genE8ELNS1_11target_archE1030ELNS1_3gpuE2ELNS1_3repE0EEENS1_47radix_sort_onesweep_sort_config_static_selectorELNS0_4arch9wavefront6targetE1EEEvSG_
    .private_segment_fixed_size: 0
    .sgpr_count:     4
    .sgpr_spill_count: 0
    .symbol:         _ZN7rocprim17ROCPRIM_400000_NS6detail17trampoline_kernelINS0_14default_configENS1_35radix_sort_onesweep_config_selectorIflEEZZNS1_29radix_sort_onesweep_iterationIS3_Lb0EPfS7_N6thrust23THRUST_200600_302600_NS10device_ptrIlEESB_jNS0_19identity_decomposerENS1_16block_id_wrapperIjLb1EEEEE10hipError_tT1_PNSt15iterator_traitsISG_E10value_typeET2_T3_PNSH_ISM_E10value_typeET4_T5_PSR_SS_PNS1_23onesweep_lookback_stateEbbT6_jjT7_P12ihipStream_tbENKUlT_T0_SG_SL_E_clIS7_S7_SB_SB_EEDaSZ_S10_SG_SL_EUlSZ_E_NS1_11comp_targetILNS1_3genE8ELNS1_11target_archE1030ELNS1_3gpuE2ELNS1_3repE0EEENS1_47radix_sort_onesweep_sort_config_static_selectorELNS0_4arch9wavefront6targetE1EEEvSG_.kd
    .uniform_work_group_size: 1
    .uses_dynamic_stack: false
    .vgpr_count:     0
    .vgpr_spill_count: 0
    .wavefront_size: 64
  - .agpr_count:     0
    .args:
      - .offset:         0
        .size:           88
        .value_kind:     by_value
    .group_segment_fixed_size: 0
    .kernarg_segment_align: 8
    .kernarg_segment_size: 88
    .language:       OpenCL C
    .language_version:
      - 2
      - 0
    .max_flat_workgroup_size: 512
    .name:           _ZN7rocprim17ROCPRIM_400000_NS6detail17trampoline_kernelINS0_14default_configENS1_35radix_sort_onesweep_config_selectorIflEEZZNS1_29radix_sort_onesweep_iterationIS3_Lb0EPfS7_N6thrust23THRUST_200600_302600_NS10device_ptrIlEESB_jNS0_19identity_decomposerENS1_16block_id_wrapperIjLb1EEEEE10hipError_tT1_PNSt15iterator_traitsISG_E10value_typeET2_T3_PNSH_ISM_E10value_typeET4_T5_PSR_SS_PNS1_23onesweep_lookback_stateEbbT6_jjT7_P12ihipStream_tbENKUlT_T0_SG_SL_E_clIS7_S7_SB_PlEEDaSZ_S10_SG_SL_EUlSZ_E_NS1_11comp_targetILNS1_3genE0ELNS1_11target_archE4294967295ELNS1_3gpuE0ELNS1_3repE0EEENS1_47radix_sort_onesweep_sort_config_static_selectorELNS0_4arch9wavefront6targetE1EEEvSG_
    .private_segment_fixed_size: 0
    .sgpr_count:     4
    .sgpr_spill_count: 0
    .symbol:         _ZN7rocprim17ROCPRIM_400000_NS6detail17trampoline_kernelINS0_14default_configENS1_35radix_sort_onesweep_config_selectorIflEEZZNS1_29radix_sort_onesweep_iterationIS3_Lb0EPfS7_N6thrust23THRUST_200600_302600_NS10device_ptrIlEESB_jNS0_19identity_decomposerENS1_16block_id_wrapperIjLb1EEEEE10hipError_tT1_PNSt15iterator_traitsISG_E10value_typeET2_T3_PNSH_ISM_E10value_typeET4_T5_PSR_SS_PNS1_23onesweep_lookback_stateEbbT6_jjT7_P12ihipStream_tbENKUlT_T0_SG_SL_E_clIS7_S7_SB_PlEEDaSZ_S10_SG_SL_EUlSZ_E_NS1_11comp_targetILNS1_3genE0ELNS1_11target_archE4294967295ELNS1_3gpuE0ELNS1_3repE0EEENS1_47radix_sort_onesweep_sort_config_static_selectorELNS0_4arch9wavefront6targetE1EEEvSG_.kd
    .uniform_work_group_size: 1
    .uses_dynamic_stack: false
    .vgpr_count:     0
    .vgpr_spill_count: 0
    .wavefront_size: 64
  - .agpr_count:     0
    .args:
      - .offset:         0
        .size:           88
        .value_kind:     by_value
    .group_segment_fixed_size: 0
    .kernarg_segment_align: 8
    .kernarg_segment_size: 88
    .language:       OpenCL C
    .language_version:
      - 2
      - 0
    .max_flat_workgroup_size: 512
    .name:           _ZN7rocprim17ROCPRIM_400000_NS6detail17trampoline_kernelINS0_14default_configENS1_35radix_sort_onesweep_config_selectorIflEEZZNS1_29radix_sort_onesweep_iterationIS3_Lb0EPfS7_N6thrust23THRUST_200600_302600_NS10device_ptrIlEESB_jNS0_19identity_decomposerENS1_16block_id_wrapperIjLb1EEEEE10hipError_tT1_PNSt15iterator_traitsISG_E10value_typeET2_T3_PNSH_ISM_E10value_typeET4_T5_PSR_SS_PNS1_23onesweep_lookback_stateEbbT6_jjT7_P12ihipStream_tbENKUlT_T0_SG_SL_E_clIS7_S7_SB_PlEEDaSZ_S10_SG_SL_EUlSZ_E_NS1_11comp_targetILNS1_3genE6ELNS1_11target_archE950ELNS1_3gpuE13ELNS1_3repE0EEENS1_47radix_sort_onesweep_sort_config_static_selectorELNS0_4arch9wavefront6targetE1EEEvSG_
    .private_segment_fixed_size: 0
    .sgpr_count:     4
    .sgpr_spill_count: 0
    .symbol:         _ZN7rocprim17ROCPRIM_400000_NS6detail17trampoline_kernelINS0_14default_configENS1_35radix_sort_onesweep_config_selectorIflEEZZNS1_29radix_sort_onesweep_iterationIS3_Lb0EPfS7_N6thrust23THRUST_200600_302600_NS10device_ptrIlEESB_jNS0_19identity_decomposerENS1_16block_id_wrapperIjLb1EEEEE10hipError_tT1_PNSt15iterator_traitsISG_E10value_typeET2_T3_PNSH_ISM_E10value_typeET4_T5_PSR_SS_PNS1_23onesweep_lookback_stateEbbT6_jjT7_P12ihipStream_tbENKUlT_T0_SG_SL_E_clIS7_S7_SB_PlEEDaSZ_S10_SG_SL_EUlSZ_E_NS1_11comp_targetILNS1_3genE6ELNS1_11target_archE950ELNS1_3gpuE13ELNS1_3repE0EEENS1_47radix_sort_onesweep_sort_config_static_selectorELNS0_4arch9wavefront6targetE1EEEvSG_.kd
    .uniform_work_group_size: 1
    .uses_dynamic_stack: false
    .vgpr_count:     0
    .vgpr_spill_count: 0
    .wavefront_size: 64
  - .agpr_count:     0
    .args:
      - .offset:         0
        .size:           88
        .value_kind:     by_value
    .group_segment_fixed_size: 0
    .kernarg_segment_align: 8
    .kernarg_segment_size: 88
    .language:       OpenCL C
    .language_version:
      - 2
      - 0
    .max_flat_workgroup_size: 512
    .name:           _ZN7rocprim17ROCPRIM_400000_NS6detail17trampoline_kernelINS0_14default_configENS1_35radix_sort_onesweep_config_selectorIflEEZZNS1_29radix_sort_onesweep_iterationIS3_Lb0EPfS7_N6thrust23THRUST_200600_302600_NS10device_ptrIlEESB_jNS0_19identity_decomposerENS1_16block_id_wrapperIjLb1EEEEE10hipError_tT1_PNSt15iterator_traitsISG_E10value_typeET2_T3_PNSH_ISM_E10value_typeET4_T5_PSR_SS_PNS1_23onesweep_lookback_stateEbbT6_jjT7_P12ihipStream_tbENKUlT_T0_SG_SL_E_clIS7_S7_SB_PlEEDaSZ_S10_SG_SL_EUlSZ_E_NS1_11comp_targetILNS1_3genE5ELNS1_11target_archE942ELNS1_3gpuE9ELNS1_3repE0EEENS1_47radix_sort_onesweep_sort_config_static_selectorELNS0_4arch9wavefront6targetE1EEEvSG_
    .private_segment_fixed_size: 0
    .sgpr_count:     4
    .sgpr_spill_count: 0
    .symbol:         _ZN7rocprim17ROCPRIM_400000_NS6detail17trampoline_kernelINS0_14default_configENS1_35radix_sort_onesweep_config_selectorIflEEZZNS1_29radix_sort_onesweep_iterationIS3_Lb0EPfS7_N6thrust23THRUST_200600_302600_NS10device_ptrIlEESB_jNS0_19identity_decomposerENS1_16block_id_wrapperIjLb1EEEEE10hipError_tT1_PNSt15iterator_traitsISG_E10value_typeET2_T3_PNSH_ISM_E10value_typeET4_T5_PSR_SS_PNS1_23onesweep_lookback_stateEbbT6_jjT7_P12ihipStream_tbENKUlT_T0_SG_SL_E_clIS7_S7_SB_PlEEDaSZ_S10_SG_SL_EUlSZ_E_NS1_11comp_targetILNS1_3genE5ELNS1_11target_archE942ELNS1_3gpuE9ELNS1_3repE0EEENS1_47radix_sort_onesweep_sort_config_static_selectorELNS0_4arch9wavefront6targetE1EEEvSG_.kd
    .uniform_work_group_size: 1
    .uses_dynamic_stack: false
    .vgpr_count:     0
    .vgpr_spill_count: 0
    .wavefront_size: 64
  - .agpr_count:     0
    .args:
      - .offset:         0
        .size:           88
        .value_kind:     by_value
    .group_segment_fixed_size: 0
    .kernarg_segment_align: 8
    .kernarg_segment_size: 88
    .language:       OpenCL C
    .language_version:
      - 2
      - 0
    .max_flat_workgroup_size: 512
    .name:           _ZN7rocprim17ROCPRIM_400000_NS6detail17trampoline_kernelINS0_14default_configENS1_35radix_sort_onesweep_config_selectorIflEEZZNS1_29radix_sort_onesweep_iterationIS3_Lb0EPfS7_N6thrust23THRUST_200600_302600_NS10device_ptrIlEESB_jNS0_19identity_decomposerENS1_16block_id_wrapperIjLb1EEEEE10hipError_tT1_PNSt15iterator_traitsISG_E10value_typeET2_T3_PNSH_ISM_E10value_typeET4_T5_PSR_SS_PNS1_23onesweep_lookback_stateEbbT6_jjT7_P12ihipStream_tbENKUlT_T0_SG_SL_E_clIS7_S7_SB_PlEEDaSZ_S10_SG_SL_EUlSZ_E_NS1_11comp_targetILNS1_3genE2ELNS1_11target_archE906ELNS1_3gpuE6ELNS1_3repE0EEENS1_47radix_sort_onesweep_sort_config_static_selectorELNS0_4arch9wavefront6targetE1EEEvSG_
    .private_segment_fixed_size: 0
    .sgpr_count:     4
    .sgpr_spill_count: 0
    .symbol:         _ZN7rocprim17ROCPRIM_400000_NS6detail17trampoline_kernelINS0_14default_configENS1_35radix_sort_onesweep_config_selectorIflEEZZNS1_29radix_sort_onesweep_iterationIS3_Lb0EPfS7_N6thrust23THRUST_200600_302600_NS10device_ptrIlEESB_jNS0_19identity_decomposerENS1_16block_id_wrapperIjLb1EEEEE10hipError_tT1_PNSt15iterator_traitsISG_E10value_typeET2_T3_PNSH_ISM_E10value_typeET4_T5_PSR_SS_PNS1_23onesweep_lookback_stateEbbT6_jjT7_P12ihipStream_tbENKUlT_T0_SG_SL_E_clIS7_S7_SB_PlEEDaSZ_S10_SG_SL_EUlSZ_E_NS1_11comp_targetILNS1_3genE2ELNS1_11target_archE906ELNS1_3gpuE6ELNS1_3repE0EEENS1_47radix_sort_onesweep_sort_config_static_selectorELNS0_4arch9wavefront6targetE1EEEvSG_.kd
    .uniform_work_group_size: 1
    .uses_dynamic_stack: false
    .vgpr_count:     0
    .vgpr_spill_count: 0
    .wavefront_size: 64
  - .agpr_count:     0
    .args:
      - .offset:         0
        .size:           88
        .value_kind:     by_value
      - .offset:         88
        .size:           4
        .value_kind:     hidden_block_count_x
      - .offset:         92
        .size:           4
        .value_kind:     hidden_block_count_y
      - .offset:         96
        .size:           4
        .value_kind:     hidden_block_count_z
      - .offset:         100
        .size:           2
        .value_kind:     hidden_group_size_x
      - .offset:         102
        .size:           2
        .value_kind:     hidden_group_size_y
      - .offset:         104
        .size:           2
        .value_kind:     hidden_group_size_z
      - .offset:         106
        .size:           2
        .value_kind:     hidden_remainder_x
      - .offset:         108
        .size:           2
        .value_kind:     hidden_remainder_y
      - .offset:         110
        .size:           2
        .value_kind:     hidden_remainder_z
      - .offset:         128
        .size:           8
        .value_kind:     hidden_global_offset_x
      - .offset:         136
        .size:           8
        .value_kind:     hidden_global_offset_y
      - .offset:         144
        .size:           8
        .value_kind:     hidden_global_offset_z
      - .offset:         152
        .size:           2
        .value_kind:     hidden_grid_dims
    .group_segment_fixed_size: 20552
    .kernarg_segment_align: 8
    .kernarg_segment_size: 344
    .language:       OpenCL C
    .language_version:
      - 2
      - 0
    .max_flat_workgroup_size: 1024
    .name:           _ZN7rocprim17ROCPRIM_400000_NS6detail17trampoline_kernelINS0_14default_configENS1_35radix_sort_onesweep_config_selectorIflEEZZNS1_29radix_sort_onesweep_iterationIS3_Lb0EPfS7_N6thrust23THRUST_200600_302600_NS10device_ptrIlEESB_jNS0_19identity_decomposerENS1_16block_id_wrapperIjLb1EEEEE10hipError_tT1_PNSt15iterator_traitsISG_E10value_typeET2_T3_PNSH_ISM_E10value_typeET4_T5_PSR_SS_PNS1_23onesweep_lookback_stateEbbT6_jjT7_P12ihipStream_tbENKUlT_T0_SG_SL_E_clIS7_S7_SB_PlEEDaSZ_S10_SG_SL_EUlSZ_E_NS1_11comp_targetILNS1_3genE4ELNS1_11target_archE910ELNS1_3gpuE8ELNS1_3repE0EEENS1_47radix_sort_onesweep_sort_config_static_selectorELNS0_4arch9wavefront6targetE1EEEvSG_
    .private_segment_fixed_size: 0
    .sgpr_count:     60
    .sgpr_spill_count: 0
    .symbol:         _ZN7rocprim17ROCPRIM_400000_NS6detail17trampoline_kernelINS0_14default_configENS1_35radix_sort_onesweep_config_selectorIflEEZZNS1_29radix_sort_onesweep_iterationIS3_Lb0EPfS7_N6thrust23THRUST_200600_302600_NS10device_ptrIlEESB_jNS0_19identity_decomposerENS1_16block_id_wrapperIjLb1EEEEE10hipError_tT1_PNSt15iterator_traitsISG_E10value_typeET2_T3_PNSH_ISM_E10value_typeET4_T5_PSR_SS_PNS1_23onesweep_lookback_stateEbbT6_jjT7_P12ihipStream_tbENKUlT_T0_SG_SL_E_clIS7_S7_SB_PlEEDaSZ_S10_SG_SL_EUlSZ_E_NS1_11comp_targetILNS1_3genE4ELNS1_11target_archE910ELNS1_3gpuE8ELNS1_3repE0EEENS1_47radix_sort_onesweep_sort_config_static_selectorELNS0_4arch9wavefront6targetE1EEEvSG_.kd
    .uniform_work_group_size: 1
    .uses_dynamic_stack: false
    .vgpr_count:     65
    .vgpr_spill_count: 0
    .wavefront_size: 64
  - .agpr_count:     0
    .args:
      - .offset:         0
        .size:           88
        .value_kind:     by_value
    .group_segment_fixed_size: 0
    .kernarg_segment_align: 8
    .kernarg_segment_size: 88
    .language:       OpenCL C
    .language_version:
      - 2
      - 0
    .max_flat_workgroup_size: 512
    .name:           _ZN7rocprim17ROCPRIM_400000_NS6detail17trampoline_kernelINS0_14default_configENS1_35radix_sort_onesweep_config_selectorIflEEZZNS1_29radix_sort_onesweep_iterationIS3_Lb0EPfS7_N6thrust23THRUST_200600_302600_NS10device_ptrIlEESB_jNS0_19identity_decomposerENS1_16block_id_wrapperIjLb1EEEEE10hipError_tT1_PNSt15iterator_traitsISG_E10value_typeET2_T3_PNSH_ISM_E10value_typeET4_T5_PSR_SS_PNS1_23onesweep_lookback_stateEbbT6_jjT7_P12ihipStream_tbENKUlT_T0_SG_SL_E_clIS7_S7_SB_PlEEDaSZ_S10_SG_SL_EUlSZ_E_NS1_11comp_targetILNS1_3genE3ELNS1_11target_archE908ELNS1_3gpuE7ELNS1_3repE0EEENS1_47radix_sort_onesweep_sort_config_static_selectorELNS0_4arch9wavefront6targetE1EEEvSG_
    .private_segment_fixed_size: 0
    .sgpr_count:     4
    .sgpr_spill_count: 0
    .symbol:         _ZN7rocprim17ROCPRIM_400000_NS6detail17trampoline_kernelINS0_14default_configENS1_35radix_sort_onesweep_config_selectorIflEEZZNS1_29radix_sort_onesweep_iterationIS3_Lb0EPfS7_N6thrust23THRUST_200600_302600_NS10device_ptrIlEESB_jNS0_19identity_decomposerENS1_16block_id_wrapperIjLb1EEEEE10hipError_tT1_PNSt15iterator_traitsISG_E10value_typeET2_T3_PNSH_ISM_E10value_typeET4_T5_PSR_SS_PNS1_23onesweep_lookback_stateEbbT6_jjT7_P12ihipStream_tbENKUlT_T0_SG_SL_E_clIS7_S7_SB_PlEEDaSZ_S10_SG_SL_EUlSZ_E_NS1_11comp_targetILNS1_3genE3ELNS1_11target_archE908ELNS1_3gpuE7ELNS1_3repE0EEENS1_47radix_sort_onesweep_sort_config_static_selectorELNS0_4arch9wavefront6targetE1EEEvSG_.kd
    .uniform_work_group_size: 1
    .uses_dynamic_stack: false
    .vgpr_count:     0
    .vgpr_spill_count: 0
    .wavefront_size: 64
  - .agpr_count:     0
    .args:
      - .offset:         0
        .size:           88
        .value_kind:     by_value
    .group_segment_fixed_size: 0
    .kernarg_segment_align: 8
    .kernarg_segment_size: 88
    .language:       OpenCL C
    .language_version:
      - 2
      - 0
    .max_flat_workgroup_size: 1024
    .name:           _ZN7rocprim17ROCPRIM_400000_NS6detail17trampoline_kernelINS0_14default_configENS1_35radix_sort_onesweep_config_selectorIflEEZZNS1_29radix_sort_onesweep_iterationIS3_Lb0EPfS7_N6thrust23THRUST_200600_302600_NS10device_ptrIlEESB_jNS0_19identity_decomposerENS1_16block_id_wrapperIjLb1EEEEE10hipError_tT1_PNSt15iterator_traitsISG_E10value_typeET2_T3_PNSH_ISM_E10value_typeET4_T5_PSR_SS_PNS1_23onesweep_lookback_stateEbbT6_jjT7_P12ihipStream_tbENKUlT_T0_SG_SL_E_clIS7_S7_SB_PlEEDaSZ_S10_SG_SL_EUlSZ_E_NS1_11comp_targetILNS1_3genE10ELNS1_11target_archE1201ELNS1_3gpuE5ELNS1_3repE0EEENS1_47radix_sort_onesweep_sort_config_static_selectorELNS0_4arch9wavefront6targetE1EEEvSG_
    .private_segment_fixed_size: 0
    .sgpr_count:     4
    .sgpr_spill_count: 0
    .symbol:         _ZN7rocprim17ROCPRIM_400000_NS6detail17trampoline_kernelINS0_14default_configENS1_35radix_sort_onesweep_config_selectorIflEEZZNS1_29radix_sort_onesweep_iterationIS3_Lb0EPfS7_N6thrust23THRUST_200600_302600_NS10device_ptrIlEESB_jNS0_19identity_decomposerENS1_16block_id_wrapperIjLb1EEEEE10hipError_tT1_PNSt15iterator_traitsISG_E10value_typeET2_T3_PNSH_ISM_E10value_typeET4_T5_PSR_SS_PNS1_23onesweep_lookback_stateEbbT6_jjT7_P12ihipStream_tbENKUlT_T0_SG_SL_E_clIS7_S7_SB_PlEEDaSZ_S10_SG_SL_EUlSZ_E_NS1_11comp_targetILNS1_3genE10ELNS1_11target_archE1201ELNS1_3gpuE5ELNS1_3repE0EEENS1_47radix_sort_onesweep_sort_config_static_selectorELNS0_4arch9wavefront6targetE1EEEvSG_.kd
    .uniform_work_group_size: 1
    .uses_dynamic_stack: false
    .vgpr_count:     0
    .vgpr_spill_count: 0
    .wavefront_size: 64
  - .agpr_count:     0
    .args:
      - .offset:         0
        .size:           88
        .value_kind:     by_value
    .group_segment_fixed_size: 0
    .kernarg_segment_align: 8
    .kernarg_segment_size: 88
    .language:       OpenCL C
    .language_version:
      - 2
      - 0
    .max_flat_workgroup_size: 1024
    .name:           _ZN7rocprim17ROCPRIM_400000_NS6detail17trampoline_kernelINS0_14default_configENS1_35radix_sort_onesweep_config_selectorIflEEZZNS1_29radix_sort_onesweep_iterationIS3_Lb0EPfS7_N6thrust23THRUST_200600_302600_NS10device_ptrIlEESB_jNS0_19identity_decomposerENS1_16block_id_wrapperIjLb1EEEEE10hipError_tT1_PNSt15iterator_traitsISG_E10value_typeET2_T3_PNSH_ISM_E10value_typeET4_T5_PSR_SS_PNS1_23onesweep_lookback_stateEbbT6_jjT7_P12ihipStream_tbENKUlT_T0_SG_SL_E_clIS7_S7_SB_PlEEDaSZ_S10_SG_SL_EUlSZ_E_NS1_11comp_targetILNS1_3genE9ELNS1_11target_archE1100ELNS1_3gpuE3ELNS1_3repE0EEENS1_47radix_sort_onesweep_sort_config_static_selectorELNS0_4arch9wavefront6targetE1EEEvSG_
    .private_segment_fixed_size: 0
    .sgpr_count:     4
    .sgpr_spill_count: 0
    .symbol:         _ZN7rocprim17ROCPRIM_400000_NS6detail17trampoline_kernelINS0_14default_configENS1_35radix_sort_onesweep_config_selectorIflEEZZNS1_29radix_sort_onesweep_iterationIS3_Lb0EPfS7_N6thrust23THRUST_200600_302600_NS10device_ptrIlEESB_jNS0_19identity_decomposerENS1_16block_id_wrapperIjLb1EEEEE10hipError_tT1_PNSt15iterator_traitsISG_E10value_typeET2_T3_PNSH_ISM_E10value_typeET4_T5_PSR_SS_PNS1_23onesweep_lookback_stateEbbT6_jjT7_P12ihipStream_tbENKUlT_T0_SG_SL_E_clIS7_S7_SB_PlEEDaSZ_S10_SG_SL_EUlSZ_E_NS1_11comp_targetILNS1_3genE9ELNS1_11target_archE1100ELNS1_3gpuE3ELNS1_3repE0EEENS1_47radix_sort_onesweep_sort_config_static_selectorELNS0_4arch9wavefront6targetE1EEEvSG_.kd
    .uniform_work_group_size: 1
    .uses_dynamic_stack: false
    .vgpr_count:     0
    .vgpr_spill_count: 0
    .wavefront_size: 64
  - .agpr_count:     0
    .args:
      - .offset:         0
        .size:           88
        .value_kind:     by_value
    .group_segment_fixed_size: 0
    .kernarg_segment_align: 8
    .kernarg_segment_size: 88
    .language:       OpenCL C
    .language_version:
      - 2
      - 0
    .max_flat_workgroup_size: 1024
    .name:           _ZN7rocprim17ROCPRIM_400000_NS6detail17trampoline_kernelINS0_14default_configENS1_35radix_sort_onesweep_config_selectorIflEEZZNS1_29radix_sort_onesweep_iterationIS3_Lb0EPfS7_N6thrust23THRUST_200600_302600_NS10device_ptrIlEESB_jNS0_19identity_decomposerENS1_16block_id_wrapperIjLb1EEEEE10hipError_tT1_PNSt15iterator_traitsISG_E10value_typeET2_T3_PNSH_ISM_E10value_typeET4_T5_PSR_SS_PNS1_23onesweep_lookback_stateEbbT6_jjT7_P12ihipStream_tbENKUlT_T0_SG_SL_E_clIS7_S7_SB_PlEEDaSZ_S10_SG_SL_EUlSZ_E_NS1_11comp_targetILNS1_3genE8ELNS1_11target_archE1030ELNS1_3gpuE2ELNS1_3repE0EEENS1_47radix_sort_onesweep_sort_config_static_selectorELNS0_4arch9wavefront6targetE1EEEvSG_
    .private_segment_fixed_size: 0
    .sgpr_count:     4
    .sgpr_spill_count: 0
    .symbol:         _ZN7rocprim17ROCPRIM_400000_NS6detail17trampoline_kernelINS0_14default_configENS1_35radix_sort_onesweep_config_selectorIflEEZZNS1_29radix_sort_onesweep_iterationIS3_Lb0EPfS7_N6thrust23THRUST_200600_302600_NS10device_ptrIlEESB_jNS0_19identity_decomposerENS1_16block_id_wrapperIjLb1EEEEE10hipError_tT1_PNSt15iterator_traitsISG_E10value_typeET2_T3_PNSH_ISM_E10value_typeET4_T5_PSR_SS_PNS1_23onesweep_lookback_stateEbbT6_jjT7_P12ihipStream_tbENKUlT_T0_SG_SL_E_clIS7_S7_SB_PlEEDaSZ_S10_SG_SL_EUlSZ_E_NS1_11comp_targetILNS1_3genE8ELNS1_11target_archE1030ELNS1_3gpuE2ELNS1_3repE0EEENS1_47radix_sort_onesweep_sort_config_static_selectorELNS0_4arch9wavefront6targetE1EEEvSG_.kd
    .uniform_work_group_size: 1
    .uses_dynamic_stack: false
    .vgpr_count:     0
    .vgpr_spill_count: 0
    .wavefront_size: 64
  - .agpr_count:     0
    .args:
      - .offset:         0
        .size:           88
        .value_kind:     by_value
    .group_segment_fixed_size: 0
    .kernarg_segment_align: 8
    .kernarg_segment_size: 88
    .language:       OpenCL C
    .language_version:
      - 2
      - 0
    .max_flat_workgroup_size: 512
    .name:           _ZN7rocprim17ROCPRIM_400000_NS6detail17trampoline_kernelINS0_14default_configENS1_35radix_sort_onesweep_config_selectorIflEEZZNS1_29radix_sort_onesweep_iterationIS3_Lb0EPfS7_N6thrust23THRUST_200600_302600_NS10device_ptrIlEESB_jNS0_19identity_decomposerENS1_16block_id_wrapperIjLb1EEEEE10hipError_tT1_PNSt15iterator_traitsISG_E10value_typeET2_T3_PNSH_ISM_E10value_typeET4_T5_PSR_SS_PNS1_23onesweep_lookback_stateEbbT6_jjT7_P12ihipStream_tbENKUlT_T0_SG_SL_E_clIS7_S7_PlSB_EEDaSZ_S10_SG_SL_EUlSZ_E_NS1_11comp_targetILNS1_3genE0ELNS1_11target_archE4294967295ELNS1_3gpuE0ELNS1_3repE0EEENS1_47radix_sort_onesweep_sort_config_static_selectorELNS0_4arch9wavefront6targetE1EEEvSG_
    .private_segment_fixed_size: 0
    .sgpr_count:     4
    .sgpr_spill_count: 0
    .symbol:         _ZN7rocprim17ROCPRIM_400000_NS6detail17trampoline_kernelINS0_14default_configENS1_35radix_sort_onesweep_config_selectorIflEEZZNS1_29radix_sort_onesweep_iterationIS3_Lb0EPfS7_N6thrust23THRUST_200600_302600_NS10device_ptrIlEESB_jNS0_19identity_decomposerENS1_16block_id_wrapperIjLb1EEEEE10hipError_tT1_PNSt15iterator_traitsISG_E10value_typeET2_T3_PNSH_ISM_E10value_typeET4_T5_PSR_SS_PNS1_23onesweep_lookback_stateEbbT6_jjT7_P12ihipStream_tbENKUlT_T0_SG_SL_E_clIS7_S7_PlSB_EEDaSZ_S10_SG_SL_EUlSZ_E_NS1_11comp_targetILNS1_3genE0ELNS1_11target_archE4294967295ELNS1_3gpuE0ELNS1_3repE0EEENS1_47radix_sort_onesweep_sort_config_static_selectorELNS0_4arch9wavefront6targetE1EEEvSG_.kd
    .uniform_work_group_size: 1
    .uses_dynamic_stack: false
    .vgpr_count:     0
    .vgpr_spill_count: 0
    .wavefront_size: 64
  - .agpr_count:     0
    .args:
      - .offset:         0
        .size:           88
        .value_kind:     by_value
    .group_segment_fixed_size: 0
    .kernarg_segment_align: 8
    .kernarg_segment_size: 88
    .language:       OpenCL C
    .language_version:
      - 2
      - 0
    .max_flat_workgroup_size: 512
    .name:           _ZN7rocprim17ROCPRIM_400000_NS6detail17trampoline_kernelINS0_14default_configENS1_35radix_sort_onesweep_config_selectorIflEEZZNS1_29radix_sort_onesweep_iterationIS3_Lb0EPfS7_N6thrust23THRUST_200600_302600_NS10device_ptrIlEESB_jNS0_19identity_decomposerENS1_16block_id_wrapperIjLb1EEEEE10hipError_tT1_PNSt15iterator_traitsISG_E10value_typeET2_T3_PNSH_ISM_E10value_typeET4_T5_PSR_SS_PNS1_23onesweep_lookback_stateEbbT6_jjT7_P12ihipStream_tbENKUlT_T0_SG_SL_E_clIS7_S7_PlSB_EEDaSZ_S10_SG_SL_EUlSZ_E_NS1_11comp_targetILNS1_3genE6ELNS1_11target_archE950ELNS1_3gpuE13ELNS1_3repE0EEENS1_47radix_sort_onesweep_sort_config_static_selectorELNS0_4arch9wavefront6targetE1EEEvSG_
    .private_segment_fixed_size: 0
    .sgpr_count:     4
    .sgpr_spill_count: 0
    .symbol:         _ZN7rocprim17ROCPRIM_400000_NS6detail17trampoline_kernelINS0_14default_configENS1_35radix_sort_onesweep_config_selectorIflEEZZNS1_29radix_sort_onesweep_iterationIS3_Lb0EPfS7_N6thrust23THRUST_200600_302600_NS10device_ptrIlEESB_jNS0_19identity_decomposerENS1_16block_id_wrapperIjLb1EEEEE10hipError_tT1_PNSt15iterator_traitsISG_E10value_typeET2_T3_PNSH_ISM_E10value_typeET4_T5_PSR_SS_PNS1_23onesweep_lookback_stateEbbT6_jjT7_P12ihipStream_tbENKUlT_T0_SG_SL_E_clIS7_S7_PlSB_EEDaSZ_S10_SG_SL_EUlSZ_E_NS1_11comp_targetILNS1_3genE6ELNS1_11target_archE950ELNS1_3gpuE13ELNS1_3repE0EEENS1_47radix_sort_onesweep_sort_config_static_selectorELNS0_4arch9wavefront6targetE1EEEvSG_.kd
    .uniform_work_group_size: 1
    .uses_dynamic_stack: false
    .vgpr_count:     0
    .vgpr_spill_count: 0
    .wavefront_size: 64
  - .agpr_count:     0
    .args:
      - .offset:         0
        .size:           88
        .value_kind:     by_value
    .group_segment_fixed_size: 0
    .kernarg_segment_align: 8
    .kernarg_segment_size: 88
    .language:       OpenCL C
    .language_version:
      - 2
      - 0
    .max_flat_workgroup_size: 512
    .name:           _ZN7rocprim17ROCPRIM_400000_NS6detail17trampoline_kernelINS0_14default_configENS1_35radix_sort_onesweep_config_selectorIflEEZZNS1_29radix_sort_onesweep_iterationIS3_Lb0EPfS7_N6thrust23THRUST_200600_302600_NS10device_ptrIlEESB_jNS0_19identity_decomposerENS1_16block_id_wrapperIjLb1EEEEE10hipError_tT1_PNSt15iterator_traitsISG_E10value_typeET2_T3_PNSH_ISM_E10value_typeET4_T5_PSR_SS_PNS1_23onesweep_lookback_stateEbbT6_jjT7_P12ihipStream_tbENKUlT_T0_SG_SL_E_clIS7_S7_PlSB_EEDaSZ_S10_SG_SL_EUlSZ_E_NS1_11comp_targetILNS1_3genE5ELNS1_11target_archE942ELNS1_3gpuE9ELNS1_3repE0EEENS1_47radix_sort_onesweep_sort_config_static_selectorELNS0_4arch9wavefront6targetE1EEEvSG_
    .private_segment_fixed_size: 0
    .sgpr_count:     4
    .sgpr_spill_count: 0
    .symbol:         _ZN7rocprim17ROCPRIM_400000_NS6detail17trampoline_kernelINS0_14default_configENS1_35radix_sort_onesweep_config_selectorIflEEZZNS1_29radix_sort_onesweep_iterationIS3_Lb0EPfS7_N6thrust23THRUST_200600_302600_NS10device_ptrIlEESB_jNS0_19identity_decomposerENS1_16block_id_wrapperIjLb1EEEEE10hipError_tT1_PNSt15iterator_traitsISG_E10value_typeET2_T3_PNSH_ISM_E10value_typeET4_T5_PSR_SS_PNS1_23onesweep_lookback_stateEbbT6_jjT7_P12ihipStream_tbENKUlT_T0_SG_SL_E_clIS7_S7_PlSB_EEDaSZ_S10_SG_SL_EUlSZ_E_NS1_11comp_targetILNS1_3genE5ELNS1_11target_archE942ELNS1_3gpuE9ELNS1_3repE0EEENS1_47radix_sort_onesweep_sort_config_static_selectorELNS0_4arch9wavefront6targetE1EEEvSG_.kd
    .uniform_work_group_size: 1
    .uses_dynamic_stack: false
    .vgpr_count:     0
    .vgpr_spill_count: 0
    .wavefront_size: 64
  - .agpr_count:     0
    .args:
      - .offset:         0
        .size:           88
        .value_kind:     by_value
    .group_segment_fixed_size: 0
    .kernarg_segment_align: 8
    .kernarg_segment_size: 88
    .language:       OpenCL C
    .language_version:
      - 2
      - 0
    .max_flat_workgroup_size: 512
    .name:           _ZN7rocprim17ROCPRIM_400000_NS6detail17trampoline_kernelINS0_14default_configENS1_35radix_sort_onesweep_config_selectorIflEEZZNS1_29radix_sort_onesweep_iterationIS3_Lb0EPfS7_N6thrust23THRUST_200600_302600_NS10device_ptrIlEESB_jNS0_19identity_decomposerENS1_16block_id_wrapperIjLb1EEEEE10hipError_tT1_PNSt15iterator_traitsISG_E10value_typeET2_T3_PNSH_ISM_E10value_typeET4_T5_PSR_SS_PNS1_23onesweep_lookback_stateEbbT6_jjT7_P12ihipStream_tbENKUlT_T0_SG_SL_E_clIS7_S7_PlSB_EEDaSZ_S10_SG_SL_EUlSZ_E_NS1_11comp_targetILNS1_3genE2ELNS1_11target_archE906ELNS1_3gpuE6ELNS1_3repE0EEENS1_47radix_sort_onesweep_sort_config_static_selectorELNS0_4arch9wavefront6targetE1EEEvSG_
    .private_segment_fixed_size: 0
    .sgpr_count:     4
    .sgpr_spill_count: 0
    .symbol:         _ZN7rocprim17ROCPRIM_400000_NS6detail17trampoline_kernelINS0_14default_configENS1_35radix_sort_onesweep_config_selectorIflEEZZNS1_29radix_sort_onesweep_iterationIS3_Lb0EPfS7_N6thrust23THRUST_200600_302600_NS10device_ptrIlEESB_jNS0_19identity_decomposerENS1_16block_id_wrapperIjLb1EEEEE10hipError_tT1_PNSt15iterator_traitsISG_E10value_typeET2_T3_PNSH_ISM_E10value_typeET4_T5_PSR_SS_PNS1_23onesweep_lookback_stateEbbT6_jjT7_P12ihipStream_tbENKUlT_T0_SG_SL_E_clIS7_S7_PlSB_EEDaSZ_S10_SG_SL_EUlSZ_E_NS1_11comp_targetILNS1_3genE2ELNS1_11target_archE906ELNS1_3gpuE6ELNS1_3repE0EEENS1_47radix_sort_onesweep_sort_config_static_selectorELNS0_4arch9wavefront6targetE1EEEvSG_.kd
    .uniform_work_group_size: 1
    .uses_dynamic_stack: false
    .vgpr_count:     0
    .vgpr_spill_count: 0
    .wavefront_size: 64
  - .agpr_count:     0
    .args:
      - .offset:         0
        .size:           88
        .value_kind:     by_value
      - .offset:         88
        .size:           4
        .value_kind:     hidden_block_count_x
      - .offset:         92
        .size:           4
        .value_kind:     hidden_block_count_y
      - .offset:         96
        .size:           4
        .value_kind:     hidden_block_count_z
      - .offset:         100
        .size:           2
        .value_kind:     hidden_group_size_x
      - .offset:         102
        .size:           2
        .value_kind:     hidden_group_size_y
      - .offset:         104
        .size:           2
        .value_kind:     hidden_group_size_z
      - .offset:         106
        .size:           2
        .value_kind:     hidden_remainder_x
      - .offset:         108
        .size:           2
        .value_kind:     hidden_remainder_y
      - .offset:         110
        .size:           2
        .value_kind:     hidden_remainder_z
      - .offset:         128
        .size:           8
        .value_kind:     hidden_global_offset_x
      - .offset:         136
        .size:           8
        .value_kind:     hidden_global_offset_y
      - .offset:         144
        .size:           8
        .value_kind:     hidden_global_offset_z
      - .offset:         152
        .size:           2
        .value_kind:     hidden_grid_dims
    .group_segment_fixed_size: 20552
    .kernarg_segment_align: 8
    .kernarg_segment_size: 344
    .language:       OpenCL C
    .language_version:
      - 2
      - 0
    .max_flat_workgroup_size: 1024
    .name:           _ZN7rocprim17ROCPRIM_400000_NS6detail17trampoline_kernelINS0_14default_configENS1_35radix_sort_onesweep_config_selectorIflEEZZNS1_29radix_sort_onesweep_iterationIS3_Lb0EPfS7_N6thrust23THRUST_200600_302600_NS10device_ptrIlEESB_jNS0_19identity_decomposerENS1_16block_id_wrapperIjLb1EEEEE10hipError_tT1_PNSt15iterator_traitsISG_E10value_typeET2_T3_PNSH_ISM_E10value_typeET4_T5_PSR_SS_PNS1_23onesweep_lookback_stateEbbT6_jjT7_P12ihipStream_tbENKUlT_T0_SG_SL_E_clIS7_S7_PlSB_EEDaSZ_S10_SG_SL_EUlSZ_E_NS1_11comp_targetILNS1_3genE4ELNS1_11target_archE910ELNS1_3gpuE8ELNS1_3repE0EEENS1_47radix_sort_onesweep_sort_config_static_selectorELNS0_4arch9wavefront6targetE1EEEvSG_
    .private_segment_fixed_size: 0
    .sgpr_count:     60
    .sgpr_spill_count: 0
    .symbol:         _ZN7rocprim17ROCPRIM_400000_NS6detail17trampoline_kernelINS0_14default_configENS1_35radix_sort_onesweep_config_selectorIflEEZZNS1_29radix_sort_onesweep_iterationIS3_Lb0EPfS7_N6thrust23THRUST_200600_302600_NS10device_ptrIlEESB_jNS0_19identity_decomposerENS1_16block_id_wrapperIjLb1EEEEE10hipError_tT1_PNSt15iterator_traitsISG_E10value_typeET2_T3_PNSH_ISM_E10value_typeET4_T5_PSR_SS_PNS1_23onesweep_lookback_stateEbbT6_jjT7_P12ihipStream_tbENKUlT_T0_SG_SL_E_clIS7_S7_PlSB_EEDaSZ_S10_SG_SL_EUlSZ_E_NS1_11comp_targetILNS1_3genE4ELNS1_11target_archE910ELNS1_3gpuE8ELNS1_3repE0EEENS1_47radix_sort_onesweep_sort_config_static_selectorELNS0_4arch9wavefront6targetE1EEEvSG_.kd
    .uniform_work_group_size: 1
    .uses_dynamic_stack: false
    .vgpr_count:     65
    .vgpr_spill_count: 0
    .wavefront_size: 64
  - .agpr_count:     0
    .args:
      - .offset:         0
        .size:           88
        .value_kind:     by_value
    .group_segment_fixed_size: 0
    .kernarg_segment_align: 8
    .kernarg_segment_size: 88
    .language:       OpenCL C
    .language_version:
      - 2
      - 0
    .max_flat_workgroup_size: 512
    .name:           _ZN7rocprim17ROCPRIM_400000_NS6detail17trampoline_kernelINS0_14default_configENS1_35radix_sort_onesweep_config_selectorIflEEZZNS1_29radix_sort_onesweep_iterationIS3_Lb0EPfS7_N6thrust23THRUST_200600_302600_NS10device_ptrIlEESB_jNS0_19identity_decomposerENS1_16block_id_wrapperIjLb1EEEEE10hipError_tT1_PNSt15iterator_traitsISG_E10value_typeET2_T3_PNSH_ISM_E10value_typeET4_T5_PSR_SS_PNS1_23onesweep_lookback_stateEbbT6_jjT7_P12ihipStream_tbENKUlT_T0_SG_SL_E_clIS7_S7_PlSB_EEDaSZ_S10_SG_SL_EUlSZ_E_NS1_11comp_targetILNS1_3genE3ELNS1_11target_archE908ELNS1_3gpuE7ELNS1_3repE0EEENS1_47radix_sort_onesweep_sort_config_static_selectorELNS0_4arch9wavefront6targetE1EEEvSG_
    .private_segment_fixed_size: 0
    .sgpr_count:     4
    .sgpr_spill_count: 0
    .symbol:         _ZN7rocprim17ROCPRIM_400000_NS6detail17trampoline_kernelINS0_14default_configENS1_35radix_sort_onesweep_config_selectorIflEEZZNS1_29radix_sort_onesweep_iterationIS3_Lb0EPfS7_N6thrust23THRUST_200600_302600_NS10device_ptrIlEESB_jNS0_19identity_decomposerENS1_16block_id_wrapperIjLb1EEEEE10hipError_tT1_PNSt15iterator_traitsISG_E10value_typeET2_T3_PNSH_ISM_E10value_typeET4_T5_PSR_SS_PNS1_23onesweep_lookback_stateEbbT6_jjT7_P12ihipStream_tbENKUlT_T0_SG_SL_E_clIS7_S7_PlSB_EEDaSZ_S10_SG_SL_EUlSZ_E_NS1_11comp_targetILNS1_3genE3ELNS1_11target_archE908ELNS1_3gpuE7ELNS1_3repE0EEENS1_47radix_sort_onesweep_sort_config_static_selectorELNS0_4arch9wavefront6targetE1EEEvSG_.kd
    .uniform_work_group_size: 1
    .uses_dynamic_stack: false
    .vgpr_count:     0
    .vgpr_spill_count: 0
    .wavefront_size: 64
  - .agpr_count:     0
    .args:
      - .offset:         0
        .size:           88
        .value_kind:     by_value
    .group_segment_fixed_size: 0
    .kernarg_segment_align: 8
    .kernarg_segment_size: 88
    .language:       OpenCL C
    .language_version:
      - 2
      - 0
    .max_flat_workgroup_size: 1024
    .name:           _ZN7rocprim17ROCPRIM_400000_NS6detail17trampoline_kernelINS0_14default_configENS1_35radix_sort_onesweep_config_selectorIflEEZZNS1_29radix_sort_onesweep_iterationIS3_Lb0EPfS7_N6thrust23THRUST_200600_302600_NS10device_ptrIlEESB_jNS0_19identity_decomposerENS1_16block_id_wrapperIjLb1EEEEE10hipError_tT1_PNSt15iterator_traitsISG_E10value_typeET2_T3_PNSH_ISM_E10value_typeET4_T5_PSR_SS_PNS1_23onesweep_lookback_stateEbbT6_jjT7_P12ihipStream_tbENKUlT_T0_SG_SL_E_clIS7_S7_PlSB_EEDaSZ_S10_SG_SL_EUlSZ_E_NS1_11comp_targetILNS1_3genE10ELNS1_11target_archE1201ELNS1_3gpuE5ELNS1_3repE0EEENS1_47radix_sort_onesweep_sort_config_static_selectorELNS0_4arch9wavefront6targetE1EEEvSG_
    .private_segment_fixed_size: 0
    .sgpr_count:     4
    .sgpr_spill_count: 0
    .symbol:         _ZN7rocprim17ROCPRIM_400000_NS6detail17trampoline_kernelINS0_14default_configENS1_35radix_sort_onesweep_config_selectorIflEEZZNS1_29radix_sort_onesweep_iterationIS3_Lb0EPfS7_N6thrust23THRUST_200600_302600_NS10device_ptrIlEESB_jNS0_19identity_decomposerENS1_16block_id_wrapperIjLb1EEEEE10hipError_tT1_PNSt15iterator_traitsISG_E10value_typeET2_T3_PNSH_ISM_E10value_typeET4_T5_PSR_SS_PNS1_23onesweep_lookback_stateEbbT6_jjT7_P12ihipStream_tbENKUlT_T0_SG_SL_E_clIS7_S7_PlSB_EEDaSZ_S10_SG_SL_EUlSZ_E_NS1_11comp_targetILNS1_3genE10ELNS1_11target_archE1201ELNS1_3gpuE5ELNS1_3repE0EEENS1_47radix_sort_onesweep_sort_config_static_selectorELNS0_4arch9wavefront6targetE1EEEvSG_.kd
    .uniform_work_group_size: 1
    .uses_dynamic_stack: false
    .vgpr_count:     0
    .vgpr_spill_count: 0
    .wavefront_size: 64
  - .agpr_count:     0
    .args:
      - .offset:         0
        .size:           88
        .value_kind:     by_value
    .group_segment_fixed_size: 0
    .kernarg_segment_align: 8
    .kernarg_segment_size: 88
    .language:       OpenCL C
    .language_version:
      - 2
      - 0
    .max_flat_workgroup_size: 1024
    .name:           _ZN7rocprim17ROCPRIM_400000_NS6detail17trampoline_kernelINS0_14default_configENS1_35radix_sort_onesweep_config_selectorIflEEZZNS1_29radix_sort_onesweep_iterationIS3_Lb0EPfS7_N6thrust23THRUST_200600_302600_NS10device_ptrIlEESB_jNS0_19identity_decomposerENS1_16block_id_wrapperIjLb1EEEEE10hipError_tT1_PNSt15iterator_traitsISG_E10value_typeET2_T3_PNSH_ISM_E10value_typeET4_T5_PSR_SS_PNS1_23onesweep_lookback_stateEbbT6_jjT7_P12ihipStream_tbENKUlT_T0_SG_SL_E_clIS7_S7_PlSB_EEDaSZ_S10_SG_SL_EUlSZ_E_NS1_11comp_targetILNS1_3genE9ELNS1_11target_archE1100ELNS1_3gpuE3ELNS1_3repE0EEENS1_47radix_sort_onesweep_sort_config_static_selectorELNS0_4arch9wavefront6targetE1EEEvSG_
    .private_segment_fixed_size: 0
    .sgpr_count:     4
    .sgpr_spill_count: 0
    .symbol:         _ZN7rocprim17ROCPRIM_400000_NS6detail17trampoline_kernelINS0_14default_configENS1_35radix_sort_onesweep_config_selectorIflEEZZNS1_29radix_sort_onesweep_iterationIS3_Lb0EPfS7_N6thrust23THRUST_200600_302600_NS10device_ptrIlEESB_jNS0_19identity_decomposerENS1_16block_id_wrapperIjLb1EEEEE10hipError_tT1_PNSt15iterator_traitsISG_E10value_typeET2_T3_PNSH_ISM_E10value_typeET4_T5_PSR_SS_PNS1_23onesweep_lookback_stateEbbT6_jjT7_P12ihipStream_tbENKUlT_T0_SG_SL_E_clIS7_S7_PlSB_EEDaSZ_S10_SG_SL_EUlSZ_E_NS1_11comp_targetILNS1_3genE9ELNS1_11target_archE1100ELNS1_3gpuE3ELNS1_3repE0EEENS1_47radix_sort_onesweep_sort_config_static_selectorELNS0_4arch9wavefront6targetE1EEEvSG_.kd
    .uniform_work_group_size: 1
    .uses_dynamic_stack: false
    .vgpr_count:     0
    .vgpr_spill_count: 0
    .wavefront_size: 64
  - .agpr_count:     0
    .args:
      - .offset:         0
        .size:           88
        .value_kind:     by_value
    .group_segment_fixed_size: 0
    .kernarg_segment_align: 8
    .kernarg_segment_size: 88
    .language:       OpenCL C
    .language_version:
      - 2
      - 0
    .max_flat_workgroup_size: 1024
    .name:           _ZN7rocprim17ROCPRIM_400000_NS6detail17trampoline_kernelINS0_14default_configENS1_35radix_sort_onesweep_config_selectorIflEEZZNS1_29radix_sort_onesweep_iterationIS3_Lb0EPfS7_N6thrust23THRUST_200600_302600_NS10device_ptrIlEESB_jNS0_19identity_decomposerENS1_16block_id_wrapperIjLb1EEEEE10hipError_tT1_PNSt15iterator_traitsISG_E10value_typeET2_T3_PNSH_ISM_E10value_typeET4_T5_PSR_SS_PNS1_23onesweep_lookback_stateEbbT6_jjT7_P12ihipStream_tbENKUlT_T0_SG_SL_E_clIS7_S7_PlSB_EEDaSZ_S10_SG_SL_EUlSZ_E_NS1_11comp_targetILNS1_3genE8ELNS1_11target_archE1030ELNS1_3gpuE2ELNS1_3repE0EEENS1_47radix_sort_onesweep_sort_config_static_selectorELNS0_4arch9wavefront6targetE1EEEvSG_
    .private_segment_fixed_size: 0
    .sgpr_count:     4
    .sgpr_spill_count: 0
    .symbol:         _ZN7rocprim17ROCPRIM_400000_NS6detail17trampoline_kernelINS0_14default_configENS1_35radix_sort_onesweep_config_selectorIflEEZZNS1_29radix_sort_onesweep_iterationIS3_Lb0EPfS7_N6thrust23THRUST_200600_302600_NS10device_ptrIlEESB_jNS0_19identity_decomposerENS1_16block_id_wrapperIjLb1EEEEE10hipError_tT1_PNSt15iterator_traitsISG_E10value_typeET2_T3_PNSH_ISM_E10value_typeET4_T5_PSR_SS_PNS1_23onesweep_lookback_stateEbbT6_jjT7_P12ihipStream_tbENKUlT_T0_SG_SL_E_clIS7_S7_PlSB_EEDaSZ_S10_SG_SL_EUlSZ_E_NS1_11comp_targetILNS1_3genE8ELNS1_11target_archE1030ELNS1_3gpuE2ELNS1_3repE0EEENS1_47radix_sort_onesweep_sort_config_static_selectorELNS0_4arch9wavefront6targetE1EEEvSG_.kd
    .uniform_work_group_size: 1
    .uses_dynamic_stack: false
    .vgpr_count:     0
    .vgpr_spill_count: 0
    .wavefront_size: 64
  - .agpr_count:     0
    .args:
      - .offset:         0
        .size:           88
        .value_kind:     by_value
    .group_segment_fixed_size: 0
    .kernarg_segment_align: 8
    .kernarg_segment_size: 88
    .language:       OpenCL C
    .language_version:
      - 2
      - 0
    .max_flat_workgroup_size: 512
    .name:           _ZN7rocprim17ROCPRIM_400000_NS6detail17trampoline_kernelINS0_14default_configENS1_35radix_sort_onesweep_config_selectorIflEEZZNS1_29radix_sort_onesweep_iterationIS3_Lb0EPfS7_N6thrust23THRUST_200600_302600_NS10device_ptrIlEESB_jNS0_19identity_decomposerENS1_16block_id_wrapperIjLb0EEEEE10hipError_tT1_PNSt15iterator_traitsISG_E10value_typeET2_T3_PNSH_ISM_E10value_typeET4_T5_PSR_SS_PNS1_23onesweep_lookback_stateEbbT6_jjT7_P12ihipStream_tbENKUlT_T0_SG_SL_E_clIS7_S7_SB_SB_EEDaSZ_S10_SG_SL_EUlSZ_E_NS1_11comp_targetILNS1_3genE0ELNS1_11target_archE4294967295ELNS1_3gpuE0ELNS1_3repE0EEENS1_47radix_sort_onesweep_sort_config_static_selectorELNS0_4arch9wavefront6targetE1EEEvSG_
    .private_segment_fixed_size: 0
    .sgpr_count:     4
    .sgpr_spill_count: 0
    .symbol:         _ZN7rocprim17ROCPRIM_400000_NS6detail17trampoline_kernelINS0_14default_configENS1_35radix_sort_onesweep_config_selectorIflEEZZNS1_29radix_sort_onesweep_iterationIS3_Lb0EPfS7_N6thrust23THRUST_200600_302600_NS10device_ptrIlEESB_jNS0_19identity_decomposerENS1_16block_id_wrapperIjLb0EEEEE10hipError_tT1_PNSt15iterator_traitsISG_E10value_typeET2_T3_PNSH_ISM_E10value_typeET4_T5_PSR_SS_PNS1_23onesweep_lookback_stateEbbT6_jjT7_P12ihipStream_tbENKUlT_T0_SG_SL_E_clIS7_S7_SB_SB_EEDaSZ_S10_SG_SL_EUlSZ_E_NS1_11comp_targetILNS1_3genE0ELNS1_11target_archE4294967295ELNS1_3gpuE0ELNS1_3repE0EEENS1_47radix_sort_onesweep_sort_config_static_selectorELNS0_4arch9wavefront6targetE1EEEvSG_.kd
    .uniform_work_group_size: 1
    .uses_dynamic_stack: false
    .vgpr_count:     0
    .vgpr_spill_count: 0
    .wavefront_size: 64
  - .agpr_count:     0
    .args:
      - .offset:         0
        .size:           88
        .value_kind:     by_value
    .group_segment_fixed_size: 0
    .kernarg_segment_align: 8
    .kernarg_segment_size: 88
    .language:       OpenCL C
    .language_version:
      - 2
      - 0
    .max_flat_workgroup_size: 512
    .name:           _ZN7rocprim17ROCPRIM_400000_NS6detail17trampoline_kernelINS0_14default_configENS1_35radix_sort_onesweep_config_selectorIflEEZZNS1_29radix_sort_onesweep_iterationIS3_Lb0EPfS7_N6thrust23THRUST_200600_302600_NS10device_ptrIlEESB_jNS0_19identity_decomposerENS1_16block_id_wrapperIjLb0EEEEE10hipError_tT1_PNSt15iterator_traitsISG_E10value_typeET2_T3_PNSH_ISM_E10value_typeET4_T5_PSR_SS_PNS1_23onesweep_lookback_stateEbbT6_jjT7_P12ihipStream_tbENKUlT_T0_SG_SL_E_clIS7_S7_SB_SB_EEDaSZ_S10_SG_SL_EUlSZ_E_NS1_11comp_targetILNS1_3genE6ELNS1_11target_archE950ELNS1_3gpuE13ELNS1_3repE0EEENS1_47radix_sort_onesweep_sort_config_static_selectorELNS0_4arch9wavefront6targetE1EEEvSG_
    .private_segment_fixed_size: 0
    .sgpr_count:     4
    .sgpr_spill_count: 0
    .symbol:         _ZN7rocprim17ROCPRIM_400000_NS6detail17trampoline_kernelINS0_14default_configENS1_35radix_sort_onesweep_config_selectorIflEEZZNS1_29radix_sort_onesweep_iterationIS3_Lb0EPfS7_N6thrust23THRUST_200600_302600_NS10device_ptrIlEESB_jNS0_19identity_decomposerENS1_16block_id_wrapperIjLb0EEEEE10hipError_tT1_PNSt15iterator_traitsISG_E10value_typeET2_T3_PNSH_ISM_E10value_typeET4_T5_PSR_SS_PNS1_23onesweep_lookback_stateEbbT6_jjT7_P12ihipStream_tbENKUlT_T0_SG_SL_E_clIS7_S7_SB_SB_EEDaSZ_S10_SG_SL_EUlSZ_E_NS1_11comp_targetILNS1_3genE6ELNS1_11target_archE950ELNS1_3gpuE13ELNS1_3repE0EEENS1_47radix_sort_onesweep_sort_config_static_selectorELNS0_4arch9wavefront6targetE1EEEvSG_.kd
    .uniform_work_group_size: 1
    .uses_dynamic_stack: false
    .vgpr_count:     0
    .vgpr_spill_count: 0
    .wavefront_size: 64
  - .agpr_count:     0
    .args:
      - .offset:         0
        .size:           88
        .value_kind:     by_value
    .group_segment_fixed_size: 0
    .kernarg_segment_align: 8
    .kernarg_segment_size: 88
    .language:       OpenCL C
    .language_version:
      - 2
      - 0
    .max_flat_workgroup_size: 512
    .name:           _ZN7rocprim17ROCPRIM_400000_NS6detail17trampoline_kernelINS0_14default_configENS1_35radix_sort_onesweep_config_selectorIflEEZZNS1_29radix_sort_onesweep_iterationIS3_Lb0EPfS7_N6thrust23THRUST_200600_302600_NS10device_ptrIlEESB_jNS0_19identity_decomposerENS1_16block_id_wrapperIjLb0EEEEE10hipError_tT1_PNSt15iterator_traitsISG_E10value_typeET2_T3_PNSH_ISM_E10value_typeET4_T5_PSR_SS_PNS1_23onesweep_lookback_stateEbbT6_jjT7_P12ihipStream_tbENKUlT_T0_SG_SL_E_clIS7_S7_SB_SB_EEDaSZ_S10_SG_SL_EUlSZ_E_NS1_11comp_targetILNS1_3genE5ELNS1_11target_archE942ELNS1_3gpuE9ELNS1_3repE0EEENS1_47radix_sort_onesweep_sort_config_static_selectorELNS0_4arch9wavefront6targetE1EEEvSG_
    .private_segment_fixed_size: 0
    .sgpr_count:     4
    .sgpr_spill_count: 0
    .symbol:         _ZN7rocprim17ROCPRIM_400000_NS6detail17trampoline_kernelINS0_14default_configENS1_35radix_sort_onesweep_config_selectorIflEEZZNS1_29radix_sort_onesweep_iterationIS3_Lb0EPfS7_N6thrust23THRUST_200600_302600_NS10device_ptrIlEESB_jNS0_19identity_decomposerENS1_16block_id_wrapperIjLb0EEEEE10hipError_tT1_PNSt15iterator_traitsISG_E10value_typeET2_T3_PNSH_ISM_E10value_typeET4_T5_PSR_SS_PNS1_23onesweep_lookback_stateEbbT6_jjT7_P12ihipStream_tbENKUlT_T0_SG_SL_E_clIS7_S7_SB_SB_EEDaSZ_S10_SG_SL_EUlSZ_E_NS1_11comp_targetILNS1_3genE5ELNS1_11target_archE942ELNS1_3gpuE9ELNS1_3repE0EEENS1_47radix_sort_onesweep_sort_config_static_selectorELNS0_4arch9wavefront6targetE1EEEvSG_.kd
    .uniform_work_group_size: 1
    .uses_dynamic_stack: false
    .vgpr_count:     0
    .vgpr_spill_count: 0
    .wavefront_size: 64
  - .agpr_count:     0
    .args:
      - .offset:         0
        .size:           88
        .value_kind:     by_value
    .group_segment_fixed_size: 0
    .kernarg_segment_align: 8
    .kernarg_segment_size: 88
    .language:       OpenCL C
    .language_version:
      - 2
      - 0
    .max_flat_workgroup_size: 512
    .name:           _ZN7rocprim17ROCPRIM_400000_NS6detail17trampoline_kernelINS0_14default_configENS1_35radix_sort_onesweep_config_selectorIflEEZZNS1_29radix_sort_onesweep_iterationIS3_Lb0EPfS7_N6thrust23THRUST_200600_302600_NS10device_ptrIlEESB_jNS0_19identity_decomposerENS1_16block_id_wrapperIjLb0EEEEE10hipError_tT1_PNSt15iterator_traitsISG_E10value_typeET2_T3_PNSH_ISM_E10value_typeET4_T5_PSR_SS_PNS1_23onesweep_lookback_stateEbbT6_jjT7_P12ihipStream_tbENKUlT_T0_SG_SL_E_clIS7_S7_SB_SB_EEDaSZ_S10_SG_SL_EUlSZ_E_NS1_11comp_targetILNS1_3genE2ELNS1_11target_archE906ELNS1_3gpuE6ELNS1_3repE0EEENS1_47radix_sort_onesweep_sort_config_static_selectorELNS0_4arch9wavefront6targetE1EEEvSG_
    .private_segment_fixed_size: 0
    .sgpr_count:     4
    .sgpr_spill_count: 0
    .symbol:         _ZN7rocprim17ROCPRIM_400000_NS6detail17trampoline_kernelINS0_14default_configENS1_35radix_sort_onesweep_config_selectorIflEEZZNS1_29radix_sort_onesweep_iterationIS3_Lb0EPfS7_N6thrust23THRUST_200600_302600_NS10device_ptrIlEESB_jNS0_19identity_decomposerENS1_16block_id_wrapperIjLb0EEEEE10hipError_tT1_PNSt15iterator_traitsISG_E10value_typeET2_T3_PNSH_ISM_E10value_typeET4_T5_PSR_SS_PNS1_23onesweep_lookback_stateEbbT6_jjT7_P12ihipStream_tbENKUlT_T0_SG_SL_E_clIS7_S7_SB_SB_EEDaSZ_S10_SG_SL_EUlSZ_E_NS1_11comp_targetILNS1_3genE2ELNS1_11target_archE906ELNS1_3gpuE6ELNS1_3repE0EEENS1_47radix_sort_onesweep_sort_config_static_selectorELNS0_4arch9wavefront6targetE1EEEvSG_.kd
    .uniform_work_group_size: 1
    .uses_dynamic_stack: false
    .vgpr_count:     0
    .vgpr_spill_count: 0
    .wavefront_size: 64
  - .agpr_count:     0
    .args:
      - .offset:         0
        .size:           88
        .value_kind:     by_value
      - .offset:         88
        .size:           4
        .value_kind:     hidden_block_count_x
      - .offset:         92
        .size:           4
        .value_kind:     hidden_block_count_y
      - .offset:         96
        .size:           4
        .value_kind:     hidden_block_count_z
      - .offset:         100
        .size:           2
        .value_kind:     hidden_group_size_x
      - .offset:         102
        .size:           2
        .value_kind:     hidden_group_size_y
      - .offset:         104
        .size:           2
        .value_kind:     hidden_group_size_z
      - .offset:         106
        .size:           2
        .value_kind:     hidden_remainder_x
      - .offset:         108
        .size:           2
        .value_kind:     hidden_remainder_y
      - .offset:         110
        .size:           2
        .value_kind:     hidden_remainder_z
      - .offset:         128
        .size:           8
        .value_kind:     hidden_global_offset_x
      - .offset:         136
        .size:           8
        .value_kind:     hidden_global_offset_y
      - .offset:         144
        .size:           8
        .value_kind:     hidden_global_offset_z
      - .offset:         152
        .size:           2
        .value_kind:     hidden_grid_dims
    .group_segment_fixed_size: 20552
    .kernarg_segment_align: 8
    .kernarg_segment_size: 344
    .language:       OpenCL C
    .language_version:
      - 2
      - 0
    .max_flat_workgroup_size: 1024
    .name:           _ZN7rocprim17ROCPRIM_400000_NS6detail17trampoline_kernelINS0_14default_configENS1_35radix_sort_onesweep_config_selectorIflEEZZNS1_29radix_sort_onesweep_iterationIS3_Lb0EPfS7_N6thrust23THRUST_200600_302600_NS10device_ptrIlEESB_jNS0_19identity_decomposerENS1_16block_id_wrapperIjLb0EEEEE10hipError_tT1_PNSt15iterator_traitsISG_E10value_typeET2_T3_PNSH_ISM_E10value_typeET4_T5_PSR_SS_PNS1_23onesweep_lookback_stateEbbT6_jjT7_P12ihipStream_tbENKUlT_T0_SG_SL_E_clIS7_S7_SB_SB_EEDaSZ_S10_SG_SL_EUlSZ_E_NS1_11comp_targetILNS1_3genE4ELNS1_11target_archE910ELNS1_3gpuE8ELNS1_3repE0EEENS1_47radix_sort_onesweep_sort_config_static_selectorELNS0_4arch9wavefront6targetE1EEEvSG_
    .private_segment_fixed_size: 0
    .sgpr_count:     58
    .sgpr_spill_count: 0
    .symbol:         _ZN7rocprim17ROCPRIM_400000_NS6detail17trampoline_kernelINS0_14default_configENS1_35radix_sort_onesweep_config_selectorIflEEZZNS1_29radix_sort_onesweep_iterationIS3_Lb0EPfS7_N6thrust23THRUST_200600_302600_NS10device_ptrIlEESB_jNS0_19identity_decomposerENS1_16block_id_wrapperIjLb0EEEEE10hipError_tT1_PNSt15iterator_traitsISG_E10value_typeET2_T3_PNSH_ISM_E10value_typeET4_T5_PSR_SS_PNS1_23onesweep_lookback_stateEbbT6_jjT7_P12ihipStream_tbENKUlT_T0_SG_SL_E_clIS7_S7_SB_SB_EEDaSZ_S10_SG_SL_EUlSZ_E_NS1_11comp_targetILNS1_3genE4ELNS1_11target_archE910ELNS1_3gpuE8ELNS1_3repE0EEENS1_47radix_sort_onesweep_sort_config_static_selectorELNS0_4arch9wavefront6targetE1EEEvSG_.kd
    .uniform_work_group_size: 1
    .uses_dynamic_stack: false
    .vgpr_count:     65
    .vgpr_spill_count: 0
    .wavefront_size: 64
  - .agpr_count:     0
    .args:
      - .offset:         0
        .size:           88
        .value_kind:     by_value
    .group_segment_fixed_size: 0
    .kernarg_segment_align: 8
    .kernarg_segment_size: 88
    .language:       OpenCL C
    .language_version:
      - 2
      - 0
    .max_flat_workgroup_size: 512
    .name:           _ZN7rocprim17ROCPRIM_400000_NS6detail17trampoline_kernelINS0_14default_configENS1_35radix_sort_onesweep_config_selectorIflEEZZNS1_29radix_sort_onesweep_iterationIS3_Lb0EPfS7_N6thrust23THRUST_200600_302600_NS10device_ptrIlEESB_jNS0_19identity_decomposerENS1_16block_id_wrapperIjLb0EEEEE10hipError_tT1_PNSt15iterator_traitsISG_E10value_typeET2_T3_PNSH_ISM_E10value_typeET4_T5_PSR_SS_PNS1_23onesweep_lookback_stateEbbT6_jjT7_P12ihipStream_tbENKUlT_T0_SG_SL_E_clIS7_S7_SB_SB_EEDaSZ_S10_SG_SL_EUlSZ_E_NS1_11comp_targetILNS1_3genE3ELNS1_11target_archE908ELNS1_3gpuE7ELNS1_3repE0EEENS1_47radix_sort_onesweep_sort_config_static_selectorELNS0_4arch9wavefront6targetE1EEEvSG_
    .private_segment_fixed_size: 0
    .sgpr_count:     4
    .sgpr_spill_count: 0
    .symbol:         _ZN7rocprim17ROCPRIM_400000_NS6detail17trampoline_kernelINS0_14default_configENS1_35radix_sort_onesweep_config_selectorIflEEZZNS1_29radix_sort_onesweep_iterationIS3_Lb0EPfS7_N6thrust23THRUST_200600_302600_NS10device_ptrIlEESB_jNS0_19identity_decomposerENS1_16block_id_wrapperIjLb0EEEEE10hipError_tT1_PNSt15iterator_traitsISG_E10value_typeET2_T3_PNSH_ISM_E10value_typeET4_T5_PSR_SS_PNS1_23onesweep_lookback_stateEbbT6_jjT7_P12ihipStream_tbENKUlT_T0_SG_SL_E_clIS7_S7_SB_SB_EEDaSZ_S10_SG_SL_EUlSZ_E_NS1_11comp_targetILNS1_3genE3ELNS1_11target_archE908ELNS1_3gpuE7ELNS1_3repE0EEENS1_47radix_sort_onesweep_sort_config_static_selectorELNS0_4arch9wavefront6targetE1EEEvSG_.kd
    .uniform_work_group_size: 1
    .uses_dynamic_stack: false
    .vgpr_count:     0
    .vgpr_spill_count: 0
    .wavefront_size: 64
  - .agpr_count:     0
    .args:
      - .offset:         0
        .size:           88
        .value_kind:     by_value
    .group_segment_fixed_size: 0
    .kernarg_segment_align: 8
    .kernarg_segment_size: 88
    .language:       OpenCL C
    .language_version:
      - 2
      - 0
    .max_flat_workgroup_size: 1024
    .name:           _ZN7rocprim17ROCPRIM_400000_NS6detail17trampoline_kernelINS0_14default_configENS1_35radix_sort_onesweep_config_selectorIflEEZZNS1_29radix_sort_onesweep_iterationIS3_Lb0EPfS7_N6thrust23THRUST_200600_302600_NS10device_ptrIlEESB_jNS0_19identity_decomposerENS1_16block_id_wrapperIjLb0EEEEE10hipError_tT1_PNSt15iterator_traitsISG_E10value_typeET2_T3_PNSH_ISM_E10value_typeET4_T5_PSR_SS_PNS1_23onesweep_lookback_stateEbbT6_jjT7_P12ihipStream_tbENKUlT_T0_SG_SL_E_clIS7_S7_SB_SB_EEDaSZ_S10_SG_SL_EUlSZ_E_NS1_11comp_targetILNS1_3genE10ELNS1_11target_archE1201ELNS1_3gpuE5ELNS1_3repE0EEENS1_47radix_sort_onesweep_sort_config_static_selectorELNS0_4arch9wavefront6targetE1EEEvSG_
    .private_segment_fixed_size: 0
    .sgpr_count:     4
    .sgpr_spill_count: 0
    .symbol:         _ZN7rocprim17ROCPRIM_400000_NS6detail17trampoline_kernelINS0_14default_configENS1_35radix_sort_onesweep_config_selectorIflEEZZNS1_29radix_sort_onesweep_iterationIS3_Lb0EPfS7_N6thrust23THRUST_200600_302600_NS10device_ptrIlEESB_jNS0_19identity_decomposerENS1_16block_id_wrapperIjLb0EEEEE10hipError_tT1_PNSt15iterator_traitsISG_E10value_typeET2_T3_PNSH_ISM_E10value_typeET4_T5_PSR_SS_PNS1_23onesweep_lookback_stateEbbT6_jjT7_P12ihipStream_tbENKUlT_T0_SG_SL_E_clIS7_S7_SB_SB_EEDaSZ_S10_SG_SL_EUlSZ_E_NS1_11comp_targetILNS1_3genE10ELNS1_11target_archE1201ELNS1_3gpuE5ELNS1_3repE0EEENS1_47radix_sort_onesweep_sort_config_static_selectorELNS0_4arch9wavefront6targetE1EEEvSG_.kd
    .uniform_work_group_size: 1
    .uses_dynamic_stack: false
    .vgpr_count:     0
    .vgpr_spill_count: 0
    .wavefront_size: 64
  - .agpr_count:     0
    .args:
      - .offset:         0
        .size:           88
        .value_kind:     by_value
    .group_segment_fixed_size: 0
    .kernarg_segment_align: 8
    .kernarg_segment_size: 88
    .language:       OpenCL C
    .language_version:
      - 2
      - 0
    .max_flat_workgroup_size: 1024
    .name:           _ZN7rocprim17ROCPRIM_400000_NS6detail17trampoline_kernelINS0_14default_configENS1_35radix_sort_onesweep_config_selectorIflEEZZNS1_29radix_sort_onesweep_iterationIS3_Lb0EPfS7_N6thrust23THRUST_200600_302600_NS10device_ptrIlEESB_jNS0_19identity_decomposerENS1_16block_id_wrapperIjLb0EEEEE10hipError_tT1_PNSt15iterator_traitsISG_E10value_typeET2_T3_PNSH_ISM_E10value_typeET4_T5_PSR_SS_PNS1_23onesweep_lookback_stateEbbT6_jjT7_P12ihipStream_tbENKUlT_T0_SG_SL_E_clIS7_S7_SB_SB_EEDaSZ_S10_SG_SL_EUlSZ_E_NS1_11comp_targetILNS1_3genE9ELNS1_11target_archE1100ELNS1_3gpuE3ELNS1_3repE0EEENS1_47radix_sort_onesweep_sort_config_static_selectorELNS0_4arch9wavefront6targetE1EEEvSG_
    .private_segment_fixed_size: 0
    .sgpr_count:     4
    .sgpr_spill_count: 0
    .symbol:         _ZN7rocprim17ROCPRIM_400000_NS6detail17trampoline_kernelINS0_14default_configENS1_35radix_sort_onesweep_config_selectorIflEEZZNS1_29radix_sort_onesweep_iterationIS3_Lb0EPfS7_N6thrust23THRUST_200600_302600_NS10device_ptrIlEESB_jNS0_19identity_decomposerENS1_16block_id_wrapperIjLb0EEEEE10hipError_tT1_PNSt15iterator_traitsISG_E10value_typeET2_T3_PNSH_ISM_E10value_typeET4_T5_PSR_SS_PNS1_23onesweep_lookback_stateEbbT6_jjT7_P12ihipStream_tbENKUlT_T0_SG_SL_E_clIS7_S7_SB_SB_EEDaSZ_S10_SG_SL_EUlSZ_E_NS1_11comp_targetILNS1_3genE9ELNS1_11target_archE1100ELNS1_3gpuE3ELNS1_3repE0EEENS1_47radix_sort_onesweep_sort_config_static_selectorELNS0_4arch9wavefront6targetE1EEEvSG_.kd
    .uniform_work_group_size: 1
    .uses_dynamic_stack: false
    .vgpr_count:     0
    .vgpr_spill_count: 0
    .wavefront_size: 64
  - .agpr_count:     0
    .args:
      - .offset:         0
        .size:           88
        .value_kind:     by_value
    .group_segment_fixed_size: 0
    .kernarg_segment_align: 8
    .kernarg_segment_size: 88
    .language:       OpenCL C
    .language_version:
      - 2
      - 0
    .max_flat_workgroup_size: 1024
    .name:           _ZN7rocprim17ROCPRIM_400000_NS6detail17trampoline_kernelINS0_14default_configENS1_35radix_sort_onesweep_config_selectorIflEEZZNS1_29radix_sort_onesweep_iterationIS3_Lb0EPfS7_N6thrust23THRUST_200600_302600_NS10device_ptrIlEESB_jNS0_19identity_decomposerENS1_16block_id_wrapperIjLb0EEEEE10hipError_tT1_PNSt15iterator_traitsISG_E10value_typeET2_T3_PNSH_ISM_E10value_typeET4_T5_PSR_SS_PNS1_23onesweep_lookback_stateEbbT6_jjT7_P12ihipStream_tbENKUlT_T0_SG_SL_E_clIS7_S7_SB_SB_EEDaSZ_S10_SG_SL_EUlSZ_E_NS1_11comp_targetILNS1_3genE8ELNS1_11target_archE1030ELNS1_3gpuE2ELNS1_3repE0EEENS1_47radix_sort_onesweep_sort_config_static_selectorELNS0_4arch9wavefront6targetE1EEEvSG_
    .private_segment_fixed_size: 0
    .sgpr_count:     4
    .sgpr_spill_count: 0
    .symbol:         _ZN7rocprim17ROCPRIM_400000_NS6detail17trampoline_kernelINS0_14default_configENS1_35radix_sort_onesweep_config_selectorIflEEZZNS1_29radix_sort_onesweep_iterationIS3_Lb0EPfS7_N6thrust23THRUST_200600_302600_NS10device_ptrIlEESB_jNS0_19identity_decomposerENS1_16block_id_wrapperIjLb0EEEEE10hipError_tT1_PNSt15iterator_traitsISG_E10value_typeET2_T3_PNSH_ISM_E10value_typeET4_T5_PSR_SS_PNS1_23onesweep_lookback_stateEbbT6_jjT7_P12ihipStream_tbENKUlT_T0_SG_SL_E_clIS7_S7_SB_SB_EEDaSZ_S10_SG_SL_EUlSZ_E_NS1_11comp_targetILNS1_3genE8ELNS1_11target_archE1030ELNS1_3gpuE2ELNS1_3repE0EEENS1_47radix_sort_onesweep_sort_config_static_selectorELNS0_4arch9wavefront6targetE1EEEvSG_.kd
    .uniform_work_group_size: 1
    .uses_dynamic_stack: false
    .vgpr_count:     0
    .vgpr_spill_count: 0
    .wavefront_size: 64
  - .agpr_count:     0
    .args:
      - .offset:         0
        .size:           88
        .value_kind:     by_value
    .group_segment_fixed_size: 0
    .kernarg_segment_align: 8
    .kernarg_segment_size: 88
    .language:       OpenCL C
    .language_version:
      - 2
      - 0
    .max_flat_workgroup_size: 512
    .name:           _ZN7rocprim17ROCPRIM_400000_NS6detail17trampoline_kernelINS0_14default_configENS1_35radix_sort_onesweep_config_selectorIflEEZZNS1_29radix_sort_onesweep_iterationIS3_Lb0EPfS7_N6thrust23THRUST_200600_302600_NS10device_ptrIlEESB_jNS0_19identity_decomposerENS1_16block_id_wrapperIjLb0EEEEE10hipError_tT1_PNSt15iterator_traitsISG_E10value_typeET2_T3_PNSH_ISM_E10value_typeET4_T5_PSR_SS_PNS1_23onesweep_lookback_stateEbbT6_jjT7_P12ihipStream_tbENKUlT_T0_SG_SL_E_clIS7_S7_SB_PlEEDaSZ_S10_SG_SL_EUlSZ_E_NS1_11comp_targetILNS1_3genE0ELNS1_11target_archE4294967295ELNS1_3gpuE0ELNS1_3repE0EEENS1_47radix_sort_onesweep_sort_config_static_selectorELNS0_4arch9wavefront6targetE1EEEvSG_
    .private_segment_fixed_size: 0
    .sgpr_count:     4
    .sgpr_spill_count: 0
    .symbol:         _ZN7rocprim17ROCPRIM_400000_NS6detail17trampoline_kernelINS0_14default_configENS1_35radix_sort_onesweep_config_selectorIflEEZZNS1_29radix_sort_onesweep_iterationIS3_Lb0EPfS7_N6thrust23THRUST_200600_302600_NS10device_ptrIlEESB_jNS0_19identity_decomposerENS1_16block_id_wrapperIjLb0EEEEE10hipError_tT1_PNSt15iterator_traitsISG_E10value_typeET2_T3_PNSH_ISM_E10value_typeET4_T5_PSR_SS_PNS1_23onesweep_lookback_stateEbbT6_jjT7_P12ihipStream_tbENKUlT_T0_SG_SL_E_clIS7_S7_SB_PlEEDaSZ_S10_SG_SL_EUlSZ_E_NS1_11comp_targetILNS1_3genE0ELNS1_11target_archE4294967295ELNS1_3gpuE0ELNS1_3repE0EEENS1_47radix_sort_onesweep_sort_config_static_selectorELNS0_4arch9wavefront6targetE1EEEvSG_.kd
    .uniform_work_group_size: 1
    .uses_dynamic_stack: false
    .vgpr_count:     0
    .vgpr_spill_count: 0
    .wavefront_size: 64
  - .agpr_count:     0
    .args:
      - .offset:         0
        .size:           88
        .value_kind:     by_value
    .group_segment_fixed_size: 0
    .kernarg_segment_align: 8
    .kernarg_segment_size: 88
    .language:       OpenCL C
    .language_version:
      - 2
      - 0
    .max_flat_workgroup_size: 512
    .name:           _ZN7rocprim17ROCPRIM_400000_NS6detail17trampoline_kernelINS0_14default_configENS1_35radix_sort_onesweep_config_selectorIflEEZZNS1_29radix_sort_onesweep_iterationIS3_Lb0EPfS7_N6thrust23THRUST_200600_302600_NS10device_ptrIlEESB_jNS0_19identity_decomposerENS1_16block_id_wrapperIjLb0EEEEE10hipError_tT1_PNSt15iterator_traitsISG_E10value_typeET2_T3_PNSH_ISM_E10value_typeET4_T5_PSR_SS_PNS1_23onesweep_lookback_stateEbbT6_jjT7_P12ihipStream_tbENKUlT_T0_SG_SL_E_clIS7_S7_SB_PlEEDaSZ_S10_SG_SL_EUlSZ_E_NS1_11comp_targetILNS1_3genE6ELNS1_11target_archE950ELNS1_3gpuE13ELNS1_3repE0EEENS1_47radix_sort_onesweep_sort_config_static_selectorELNS0_4arch9wavefront6targetE1EEEvSG_
    .private_segment_fixed_size: 0
    .sgpr_count:     4
    .sgpr_spill_count: 0
    .symbol:         _ZN7rocprim17ROCPRIM_400000_NS6detail17trampoline_kernelINS0_14default_configENS1_35radix_sort_onesweep_config_selectorIflEEZZNS1_29radix_sort_onesweep_iterationIS3_Lb0EPfS7_N6thrust23THRUST_200600_302600_NS10device_ptrIlEESB_jNS0_19identity_decomposerENS1_16block_id_wrapperIjLb0EEEEE10hipError_tT1_PNSt15iterator_traitsISG_E10value_typeET2_T3_PNSH_ISM_E10value_typeET4_T5_PSR_SS_PNS1_23onesweep_lookback_stateEbbT6_jjT7_P12ihipStream_tbENKUlT_T0_SG_SL_E_clIS7_S7_SB_PlEEDaSZ_S10_SG_SL_EUlSZ_E_NS1_11comp_targetILNS1_3genE6ELNS1_11target_archE950ELNS1_3gpuE13ELNS1_3repE0EEENS1_47radix_sort_onesweep_sort_config_static_selectorELNS0_4arch9wavefront6targetE1EEEvSG_.kd
    .uniform_work_group_size: 1
    .uses_dynamic_stack: false
    .vgpr_count:     0
    .vgpr_spill_count: 0
    .wavefront_size: 64
  - .agpr_count:     0
    .args:
      - .offset:         0
        .size:           88
        .value_kind:     by_value
    .group_segment_fixed_size: 0
    .kernarg_segment_align: 8
    .kernarg_segment_size: 88
    .language:       OpenCL C
    .language_version:
      - 2
      - 0
    .max_flat_workgroup_size: 512
    .name:           _ZN7rocprim17ROCPRIM_400000_NS6detail17trampoline_kernelINS0_14default_configENS1_35radix_sort_onesweep_config_selectorIflEEZZNS1_29radix_sort_onesweep_iterationIS3_Lb0EPfS7_N6thrust23THRUST_200600_302600_NS10device_ptrIlEESB_jNS0_19identity_decomposerENS1_16block_id_wrapperIjLb0EEEEE10hipError_tT1_PNSt15iterator_traitsISG_E10value_typeET2_T3_PNSH_ISM_E10value_typeET4_T5_PSR_SS_PNS1_23onesweep_lookback_stateEbbT6_jjT7_P12ihipStream_tbENKUlT_T0_SG_SL_E_clIS7_S7_SB_PlEEDaSZ_S10_SG_SL_EUlSZ_E_NS1_11comp_targetILNS1_3genE5ELNS1_11target_archE942ELNS1_3gpuE9ELNS1_3repE0EEENS1_47radix_sort_onesweep_sort_config_static_selectorELNS0_4arch9wavefront6targetE1EEEvSG_
    .private_segment_fixed_size: 0
    .sgpr_count:     4
    .sgpr_spill_count: 0
    .symbol:         _ZN7rocprim17ROCPRIM_400000_NS6detail17trampoline_kernelINS0_14default_configENS1_35radix_sort_onesweep_config_selectorIflEEZZNS1_29radix_sort_onesweep_iterationIS3_Lb0EPfS7_N6thrust23THRUST_200600_302600_NS10device_ptrIlEESB_jNS0_19identity_decomposerENS1_16block_id_wrapperIjLb0EEEEE10hipError_tT1_PNSt15iterator_traitsISG_E10value_typeET2_T3_PNSH_ISM_E10value_typeET4_T5_PSR_SS_PNS1_23onesweep_lookback_stateEbbT6_jjT7_P12ihipStream_tbENKUlT_T0_SG_SL_E_clIS7_S7_SB_PlEEDaSZ_S10_SG_SL_EUlSZ_E_NS1_11comp_targetILNS1_3genE5ELNS1_11target_archE942ELNS1_3gpuE9ELNS1_3repE0EEENS1_47radix_sort_onesweep_sort_config_static_selectorELNS0_4arch9wavefront6targetE1EEEvSG_.kd
    .uniform_work_group_size: 1
    .uses_dynamic_stack: false
    .vgpr_count:     0
    .vgpr_spill_count: 0
    .wavefront_size: 64
  - .agpr_count:     0
    .args:
      - .offset:         0
        .size:           88
        .value_kind:     by_value
    .group_segment_fixed_size: 0
    .kernarg_segment_align: 8
    .kernarg_segment_size: 88
    .language:       OpenCL C
    .language_version:
      - 2
      - 0
    .max_flat_workgroup_size: 512
    .name:           _ZN7rocprim17ROCPRIM_400000_NS6detail17trampoline_kernelINS0_14default_configENS1_35radix_sort_onesweep_config_selectorIflEEZZNS1_29radix_sort_onesweep_iterationIS3_Lb0EPfS7_N6thrust23THRUST_200600_302600_NS10device_ptrIlEESB_jNS0_19identity_decomposerENS1_16block_id_wrapperIjLb0EEEEE10hipError_tT1_PNSt15iterator_traitsISG_E10value_typeET2_T3_PNSH_ISM_E10value_typeET4_T5_PSR_SS_PNS1_23onesweep_lookback_stateEbbT6_jjT7_P12ihipStream_tbENKUlT_T0_SG_SL_E_clIS7_S7_SB_PlEEDaSZ_S10_SG_SL_EUlSZ_E_NS1_11comp_targetILNS1_3genE2ELNS1_11target_archE906ELNS1_3gpuE6ELNS1_3repE0EEENS1_47radix_sort_onesweep_sort_config_static_selectorELNS0_4arch9wavefront6targetE1EEEvSG_
    .private_segment_fixed_size: 0
    .sgpr_count:     4
    .sgpr_spill_count: 0
    .symbol:         _ZN7rocprim17ROCPRIM_400000_NS6detail17trampoline_kernelINS0_14default_configENS1_35radix_sort_onesweep_config_selectorIflEEZZNS1_29radix_sort_onesweep_iterationIS3_Lb0EPfS7_N6thrust23THRUST_200600_302600_NS10device_ptrIlEESB_jNS0_19identity_decomposerENS1_16block_id_wrapperIjLb0EEEEE10hipError_tT1_PNSt15iterator_traitsISG_E10value_typeET2_T3_PNSH_ISM_E10value_typeET4_T5_PSR_SS_PNS1_23onesweep_lookback_stateEbbT6_jjT7_P12ihipStream_tbENKUlT_T0_SG_SL_E_clIS7_S7_SB_PlEEDaSZ_S10_SG_SL_EUlSZ_E_NS1_11comp_targetILNS1_3genE2ELNS1_11target_archE906ELNS1_3gpuE6ELNS1_3repE0EEENS1_47radix_sort_onesweep_sort_config_static_selectorELNS0_4arch9wavefront6targetE1EEEvSG_.kd
    .uniform_work_group_size: 1
    .uses_dynamic_stack: false
    .vgpr_count:     0
    .vgpr_spill_count: 0
    .wavefront_size: 64
  - .agpr_count:     0
    .args:
      - .offset:         0
        .size:           88
        .value_kind:     by_value
      - .offset:         88
        .size:           4
        .value_kind:     hidden_block_count_x
      - .offset:         92
        .size:           4
        .value_kind:     hidden_block_count_y
      - .offset:         96
        .size:           4
        .value_kind:     hidden_block_count_z
      - .offset:         100
        .size:           2
        .value_kind:     hidden_group_size_x
      - .offset:         102
        .size:           2
        .value_kind:     hidden_group_size_y
      - .offset:         104
        .size:           2
        .value_kind:     hidden_group_size_z
      - .offset:         106
        .size:           2
        .value_kind:     hidden_remainder_x
      - .offset:         108
        .size:           2
        .value_kind:     hidden_remainder_y
      - .offset:         110
        .size:           2
        .value_kind:     hidden_remainder_z
      - .offset:         128
        .size:           8
        .value_kind:     hidden_global_offset_x
      - .offset:         136
        .size:           8
        .value_kind:     hidden_global_offset_y
      - .offset:         144
        .size:           8
        .value_kind:     hidden_global_offset_z
      - .offset:         152
        .size:           2
        .value_kind:     hidden_grid_dims
    .group_segment_fixed_size: 20552
    .kernarg_segment_align: 8
    .kernarg_segment_size: 344
    .language:       OpenCL C
    .language_version:
      - 2
      - 0
    .max_flat_workgroup_size: 1024
    .name:           _ZN7rocprim17ROCPRIM_400000_NS6detail17trampoline_kernelINS0_14default_configENS1_35radix_sort_onesweep_config_selectorIflEEZZNS1_29radix_sort_onesweep_iterationIS3_Lb0EPfS7_N6thrust23THRUST_200600_302600_NS10device_ptrIlEESB_jNS0_19identity_decomposerENS1_16block_id_wrapperIjLb0EEEEE10hipError_tT1_PNSt15iterator_traitsISG_E10value_typeET2_T3_PNSH_ISM_E10value_typeET4_T5_PSR_SS_PNS1_23onesweep_lookback_stateEbbT6_jjT7_P12ihipStream_tbENKUlT_T0_SG_SL_E_clIS7_S7_SB_PlEEDaSZ_S10_SG_SL_EUlSZ_E_NS1_11comp_targetILNS1_3genE4ELNS1_11target_archE910ELNS1_3gpuE8ELNS1_3repE0EEENS1_47radix_sort_onesweep_sort_config_static_selectorELNS0_4arch9wavefront6targetE1EEEvSG_
    .private_segment_fixed_size: 0
    .sgpr_count:     58
    .sgpr_spill_count: 0
    .symbol:         _ZN7rocprim17ROCPRIM_400000_NS6detail17trampoline_kernelINS0_14default_configENS1_35radix_sort_onesweep_config_selectorIflEEZZNS1_29radix_sort_onesweep_iterationIS3_Lb0EPfS7_N6thrust23THRUST_200600_302600_NS10device_ptrIlEESB_jNS0_19identity_decomposerENS1_16block_id_wrapperIjLb0EEEEE10hipError_tT1_PNSt15iterator_traitsISG_E10value_typeET2_T3_PNSH_ISM_E10value_typeET4_T5_PSR_SS_PNS1_23onesweep_lookback_stateEbbT6_jjT7_P12ihipStream_tbENKUlT_T0_SG_SL_E_clIS7_S7_SB_PlEEDaSZ_S10_SG_SL_EUlSZ_E_NS1_11comp_targetILNS1_3genE4ELNS1_11target_archE910ELNS1_3gpuE8ELNS1_3repE0EEENS1_47radix_sort_onesweep_sort_config_static_selectorELNS0_4arch9wavefront6targetE1EEEvSG_.kd
    .uniform_work_group_size: 1
    .uses_dynamic_stack: false
    .vgpr_count:     65
    .vgpr_spill_count: 0
    .wavefront_size: 64
  - .agpr_count:     0
    .args:
      - .offset:         0
        .size:           88
        .value_kind:     by_value
    .group_segment_fixed_size: 0
    .kernarg_segment_align: 8
    .kernarg_segment_size: 88
    .language:       OpenCL C
    .language_version:
      - 2
      - 0
    .max_flat_workgroup_size: 512
    .name:           _ZN7rocprim17ROCPRIM_400000_NS6detail17trampoline_kernelINS0_14default_configENS1_35radix_sort_onesweep_config_selectorIflEEZZNS1_29radix_sort_onesweep_iterationIS3_Lb0EPfS7_N6thrust23THRUST_200600_302600_NS10device_ptrIlEESB_jNS0_19identity_decomposerENS1_16block_id_wrapperIjLb0EEEEE10hipError_tT1_PNSt15iterator_traitsISG_E10value_typeET2_T3_PNSH_ISM_E10value_typeET4_T5_PSR_SS_PNS1_23onesweep_lookback_stateEbbT6_jjT7_P12ihipStream_tbENKUlT_T0_SG_SL_E_clIS7_S7_SB_PlEEDaSZ_S10_SG_SL_EUlSZ_E_NS1_11comp_targetILNS1_3genE3ELNS1_11target_archE908ELNS1_3gpuE7ELNS1_3repE0EEENS1_47radix_sort_onesweep_sort_config_static_selectorELNS0_4arch9wavefront6targetE1EEEvSG_
    .private_segment_fixed_size: 0
    .sgpr_count:     4
    .sgpr_spill_count: 0
    .symbol:         _ZN7rocprim17ROCPRIM_400000_NS6detail17trampoline_kernelINS0_14default_configENS1_35radix_sort_onesweep_config_selectorIflEEZZNS1_29radix_sort_onesweep_iterationIS3_Lb0EPfS7_N6thrust23THRUST_200600_302600_NS10device_ptrIlEESB_jNS0_19identity_decomposerENS1_16block_id_wrapperIjLb0EEEEE10hipError_tT1_PNSt15iterator_traitsISG_E10value_typeET2_T3_PNSH_ISM_E10value_typeET4_T5_PSR_SS_PNS1_23onesweep_lookback_stateEbbT6_jjT7_P12ihipStream_tbENKUlT_T0_SG_SL_E_clIS7_S7_SB_PlEEDaSZ_S10_SG_SL_EUlSZ_E_NS1_11comp_targetILNS1_3genE3ELNS1_11target_archE908ELNS1_3gpuE7ELNS1_3repE0EEENS1_47radix_sort_onesweep_sort_config_static_selectorELNS0_4arch9wavefront6targetE1EEEvSG_.kd
    .uniform_work_group_size: 1
    .uses_dynamic_stack: false
    .vgpr_count:     0
    .vgpr_spill_count: 0
    .wavefront_size: 64
  - .agpr_count:     0
    .args:
      - .offset:         0
        .size:           88
        .value_kind:     by_value
    .group_segment_fixed_size: 0
    .kernarg_segment_align: 8
    .kernarg_segment_size: 88
    .language:       OpenCL C
    .language_version:
      - 2
      - 0
    .max_flat_workgroup_size: 1024
    .name:           _ZN7rocprim17ROCPRIM_400000_NS6detail17trampoline_kernelINS0_14default_configENS1_35radix_sort_onesweep_config_selectorIflEEZZNS1_29radix_sort_onesweep_iterationIS3_Lb0EPfS7_N6thrust23THRUST_200600_302600_NS10device_ptrIlEESB_jNS0_19identity_decomposerENS1_16block_id_wrapperIjLb0EEEEE10hipError_tT1_PNSt15iterator_traitsISG_E10value_typeET2_T3_PNSH_ISM_E10value_typeET4_T5_PSR_SS_PNS1_23onesweep_lookback_stateEbbT6_jjT7_P12ihipStream_tbENKUlT_T0_SG_SL_E_clIS7_S7_SB_PlEEDaSZ_S10_SG_SL_EUlSZ_E_NS1_11comp_targetILNS1_3genE10ELNS1_11target_archE1201ELNS1_3gpuE5ELNS1_3repE0EEENS1_47radix_sort_onesweep_sort_config_static_selectorELNS0_4arch9wavefront6targetE1EEEvSG_
    .private_segment_fixed_size: 0
    .sgpr_count:     4
    .sgpr_spill_count: 0
    .symbol:         _ZN7rocprim17ROCPRIM_400000_NS6detail17trampoline_kernelINS0_14default_configENS1_35radix_sort_onesweep_config_selectorIflEEZZNS1_29radix_sort_onesweep_iterationIS3_Lb0EPfS7_N6thrust23THRUST_200600_302600_NS10device_ptrIlEESB_jNS0_19identity_decomposerENS1_16block_id_wrapperIjLb0EEEEE10hipError_tT1_PNSt15iterator_traitsISG_E10value_typeET2_T3_PNSH_ISM_E10value_typeET4_T5_PSR_SS_PNS1_23onesweep_lookback_stateEbbT6_jjT7_P12ihipStream_tbENKUlT_T0_SG_SL_E_clIS7_S7_SB_PlEEDaSZ_S10_SG_SL_EUlSZ_E_NS1_11comp_targetILNS1_3genE10ELNS1_11target_archE1201ELNS1_3gpuE5ELNS1_3repE0EEENS1_47radix_sort_onesweep_sort_config_static_selectorELNS0_4arch9wavefront6targetE1EEEvSG_.kd
    .uniform_work_group_size: 1
    .uses_dynamic_stack: false
    .vgpr_count:     0
    .vgpr_spill_count: 0
    .wavefront_size: 64
  - .agpr_count:     0
    .args:
      - .offset:         0
        .size:           88
        .value_kind:     by_value
    .group_segment_fixed_size: 0
    .kernarg_segment_align: 8
    .kernarg_segment_size: 88
    .language:       OpenCL C
    .language_version:
      - 2
      - 0
    .max_flat_workgroup_size: 1024
    .name:           _ZN7rocprim17ROCPRIM_400000_NS6detail17trampoline_kernelINS0_14default_configENS1_35radix_sort_onesweep_config_selectorIflEEZZNS1_29radix_sort_onesweep_iterationIS3_Lb0EPfS7_N6thrust23THRUST_200600_302600_NS10device_ptrIlEESB_jNS0_19identity_decomposerENS1_16block_id_wrapperIjLb0EEEEE10hipError_tT1_PNSt15iterator_traitsISG_E10value_typeET2_T3_PNSH_ISM_E10value_typeET4_T5_PSR_SS_PNS1_23onesweep_lookback_stateEbbT6_jjT7_P12ihipStream_tbENKUlT_T0_SG_SL_E_clIS7_S7_SB_PlEEDaSZ_S10_SG_SL_EUlSZ_E_NS1_11comp_targetILNS1_3genE9ELNS1_11target_archE1100ELNS1_3gpuE3ELNS1_3repE0EEENS1_47radix_sort_onesweep_sort_config_static_selectorELNS0_4arch9wavefront6targetE1EEEvSG_
    .private_segment_fixed_size: 0
    .sgpr_count:     4
    .sgpr_spill_count: 0
    .symbol:         _ZN7rocprim17ROCPRIM_400000_NS6detail17trampoline_kernelINS0_14default_configENS1_35radix_sort_onesweep_config_selectorIflEEZZNS1_29radix_sort_onesweep_iterationIS3_Lb0EPfS7_N6thrust23THRUST_200600_302600_NS10device_ptrIlEESB_jNS0_19identity_decomposerENS1_16block_id_wrapperIjLb0EEEEE10hipError_tT1_PNSt15iterator_traitsISG_E10value_typeET2_T3_PNSH_ISM_E10value_typeET4_T5_PSR_SS_PNS1_23onesweep_lookback_stateEbbT6_jjT7_P12ihipStream_tbENKUlT_T0_SG_SL_E_clIS7_S7_SB_PlEEDaSZ_S10_SG_SL_EUlSZ_E_NS1_11comp_targetILNS1_3genE9ELNS1_11target_archE1100ELNS1_3gpuE3ELNS1_3repE0EEENS1_47radix_sort_onesweep_sort_config_static_selectorELNS0_4arch9wavefront6targetE1EEEvSG_.kd
    .uniform_work_group_size: 1
    .uses_dynamic_stack: false
    .vgpr_count:     0
    .vgpr_spill_count: 0
    .wavefront_size: 64
  - .agpr_count:     0
    .args:
      - .offset:         0
        .size:           88
        .value_kind:     by_value
    .group_segment_fixed_size: 0
    .kernarg_segment_align: 8
    .kernarg_segment_size: 88
    .language:       OpenCL C
    .language_version:
      - 2
      - 0
    .max_flat_workgroup_size: 1024
    .name:           _ZN7rocprim17ROCPRIM_400000_NS6detail17trampoline_kernelINS0_14default_configENS1_35radix_sort_onesweep_config_selectorIflEEZZNS1_29radix_sort_onesweep_iterationIS3_Lb0EPfS7_N6thrust23THRUST_200600_302600_NS10device_ptrIlEESB_jNS0_19identity_decomposerENS1_16block_id_wrapperIjLb0EEEEE10hipError_tT1_PNSt15iterator_traitsISG_E10value_typeET2_T3_PNSH_ISM_E10value_typeET4_T5_PSR_SS_PNS1_23onesweep_lookback_stateEbbT6_jjT7_P12ihipStream_tbENKUlT_T0_SG_SL_E_clIS7_S7_SB_PlEEDaSZ_S10_SG_SL_EUlSZ_E_NS1_11comp_targetILNS1_3genE8ELNS1_11target_archE1030ELNS1_3gpuE2ELNS1_3repE0EEENS1_47radix_sort_onesweep_sort_config_static_selectorELNS0_4arch9wavefront6targetE1EEEvSG_
    .private_segment_fixed_size: 0
    .sgpr_count:     4
    .sgpr_spill_count: 0
    .symbol:         _ZN7rocprim17ROCPRIM_400000_NS6detail17trampoline_kernelINS0_14default_configENS1_35radix_sort_onesweep_config_selectorIflEEZZNS1_29radix_sort_onesweep_iterationIS3_Lb0EPfS7_N6thrust23THRUST_200600_302600_NS10device_ptrIlEESB_jNS0_19identity_decomposerENS1_16block_id_wrapperIjLb0EEEEE10hipError_tT1_PNSt15iterator_traitsISG_E10value_typeET2_T3_PNSH_ISM_E10value_typeET4_T5_PSR_SS_PNS1_23onesweep_lookback_stateEbbT6_jjT7_P12ihipStream_tbENKUlT_T0_SG_SL_E_clIS7_S7_SB_PlEEDaSZ_S10_SG_SL_EUlSZ_E_NS1_11comp_targetILNS1_3genE8ELNS1_11target_archE1030ELNS1_3gpuE2ELNS1_3repE0EEENS1_47radix_sort_onesweep_sort_config_static_selectorELNS0_4arch9wavefront6targetE1EEEvSG_.kd
    .uniform_work_group_size: 1
    .uses_dynamic_stack: false
    .vgpr_count:     0
    .vgpr_spill_count: 0
    .wavefront_size: 64
  - .agpr_count:     0
    .args:
      - .offset:         0
        .size:           88
        .value_kind:     by_value
    .group_segment_fixed_size: 0
    .kernarg_segment_align: 8
    .kernarg_segment_size: 88
    .language:       OpenCL C
    .language_version:
      - 2
      - 0
    .max_flat_workgroup_size: 512
    .name:           _ZN7rocprim17ROCPRIM_400000_NS6detail17trampoline_kernelINS0_14default_configENS1_35radix_sort_onesweep_config_selectorIflEEZZNS1_29radix_sort_onesweep_iterationIS3_Lb0EPfS7_N6thrust23THRUST_200600_302600_NS10device_ptrIlEESB_jNS0_19identity_decomposerENS1_16block_id_wrapperIjLb0EEEEE10hipError_tT1_PNSt15iterator_traitsISG_E10value_typeET2_T3_PNSH_ISM_E10value_typeET4_T5_PSR_SS_PNS1_23onesweep_lookback_stateEbbT6_jjT7_P12ihipStream_tbENKUlT_T0_SG_SL_E_clIS7_S7_PlSB_EEDaSZ_S10_SG_SL_EUlSZ_E_NS1_11comp_targetILNS1_3genE0ELNS1_11target_archE4294967295ELNS1_3gpuE0ELNS1_3repE0EEENS1_47radix_sort_onesweep_sort_config_static_selectorELNS0_4arch9wavefront6targetE1EEEvSG_
    .private_segment_fixed_size: 0
    .sgpr_count:     4
    .sgpr_spill_count: 0
    .symbol:         _ZN7rocprim17ROCPRIM_400000_NS6detail17trampoline_kernelINS0_14default_configENS1_35radix_sort_onesweep_config_selectorIflEEZZNS1_29radix_sort_onesweep_iterationIS3_Lb0EPfS7_N6thrust23THRUST_200600_302600_NS10device_ptrIlEESB_jNS0_19identity_decomposerENS1_16block_id_wrapperIjLb0EEEEE10hipError_tT1_PNSt15iterator_traitsISG_E10value_typeET2_T3_PNSH_ISM_E10value_typeET4_T5_PSR_SS_PNS1_23onesweep_lookback_stateEbbT6_jjT7_P12ihipStream_tbENKUlT_T0_SG_SL_E_clIS7_S7_PlSB_EEDaSZ_S10_SG_SL_EUlSZ_E_NS1_11comp_targetILNS1_3genE0ELNS1_11target_archE4294967295ELNS1_3gpuE0ELNS1_3repE0EEENS1_47radix_sort_onesweep_sort_config_static_selectorELNS0_4arch9wavefront6targetE1EEEvSG_.kd
    .uniform_work_group_size: 1
    .uses_dynamic_stack: false
    .vgpr_count:     0
    .vgpr_spill_count: 0
    .wavefront_size: 64
  - .agpr_count:     0
    .args:
      - .offset:         0
        .size:           88
        .value_kind:     by_value
    .group_segment_fixed_size: 0
    .kernarg_segment_align: 8
    .kernarg_segment_size: 88
    .language:       OpenCL C
    .language_version:
      - 2
      - 0
    .max_flat_workgroup_size: 512
    .name:           _ZN7rocprim17ROCPRIM_400000_NS6detail17trampoline_kernelINS0_14default_configENS1_35radix_sort_onesweep_config_selectorIflEEZZNS1_29radix_sort_onesweep_iterationIS3_Lb0EPfS7_N6thrust23THRUST_200600_302600_NS10device_ptrIlEESB_jNS0_19identity_decomposerENS1_16block_id_wrapperIjLb0EEEEE10hipError_tT1_PNSt15iterator_traitsISG_E10value_typeET2_T3_PNSH_ISM_E10value_typeET4_T5_PSR_SS_PNS1_23onesweep_lookback_stateEbbT6_jjT7_P12ihipStream_tbENKUlT_T0_SG_SL_E_clIS7_S7_PlSB_EEDaSZ_S10_SG_SL_EUlSZ_E_NS1_11comp_targetILNS1_3genE6ELNS1_11target_archE950ELNS1_3gpuE13ELNS1_3repE0EEENS1_47radix_sort_onesweep_sort_config_static_selectorELNS0_4arch9wavefront6targetE1EEEvSG_
    .private_segment_fixed_size: 0
    .sgpr_count:     4
    .sgpr_spill_count: 0
    .symbol:         _ZN7rocprim17ROCPRIM_400000_NS6detail17trampoline_kernelINS0_14default_configENS1_35radix_sort_onesweep_config_selectorIflEEZZNS1_29radix_sort_onesweep_iterationIS3_Lb0EPfS7_N6thrust23THRUST_200600_302600_NS10device_ptrIlEESB_jNS0_19identity_decomposerENS1_16block_id_wrapperIjLb0EEEEE10hipError_tT1_PNSt15iterator_traitsISG_E10value_typeET2_T3_PNSH_ISM_E10value_typeET4_T5_PSR_SS_PNS1_23onesweep_lookback_stateEbbT6_jjT7_P12ihipStream_tbENKUlT_T0_SG_SL_E_clIS7_S7_PlSB_EEDaSZ_S10_SG_SL_EUlSZ_E_NS1_11comp_targetILNS1_3genE6ELNS1_11target_archE950ELNS1_3gpuE13ELNS1_3repE0EEENS1_47radix_sort_onesweep_sort_config_static_selectorELNS0_4arch9wavefront6targetE1EEEvSG_.kd
    .uniform_work_group_size: 1
    .uses_dynamic_stack: false
    .vgpr_count:     0
    .vgpr_spill_count: 0
    .wavefront_size: 64
  - .agpr_count:     0
    .args:
      - .offset:         0
        .size:           88
        .value_kind:     by_value
    .group_segment_fixed_size: 0
    .kernarg_segment_align: 8
    .kernarg_segment_size: 88
    .language:       OpenCL C
    .language_version:
      - 2
      - 0
    .max_flat_workgroup_size: 512
    .name:           _ZN7rocprim17ROCPRIM_400000_NS6detail17trampoline_kernelINS0_14default_configENS1_35radix_sort_onesweep_config_selectorIflEEZZNS1_29radix_sort_onesweep_iterationIS3_Lb0EPfS7_N6thrust23THRUST_200600_302600_NS10device_ptrIlEESB_jNS0_19identity_decomposerENS1_16block_id_wrapperIjLb0EEEEE10hipError_tT1_PNSt15iterator_traitsISG_E10value_typeET2_T3_PNSH_ISM_E10value_typeET4_T5_PSR_SS_PNS1_23onesweep_lookback_stateEbbT6_jjT7_P12ihipStream_tbENKUlT_T0_SG_SL_E_clIS7_S7_PlSB_EEDaSZ_S10_SG_SL_EUlSZ_E_NS1_11comp_targetILNS1_3genE5ELNS1_11target_archE942ELNS1_3gpuE9ELNS1_3repE0EEENS1_47radix_sort_onesweep_sort_config_static_selectorELNS0_4arch9wavefront6targetE1EEEvSG_
    .private_segment_fixed_size: 0
    .sgpr_count:     4
    .sgpr_spill_count: 0
    .symbol:         _ZN7rocprim17ROCPRIM_400000_NS6detail17trampoline_kernelINS0_14default_configENS1_35radix_sort_onesweep_config_selectorIflEEZZNS1_29radix_sort_onesweep_iterationIS3_Lb0EPfS7_N6thrust23THRUST_200600_302600_NS10device_ptrIlEESB_jNS0_19identity_decomposerENS1_16block_id_wrapperIjLb0EEEEE10hipError_tT1_PNSt15iterator_traitsISG_E10value_typeET2_T3_PNSH_ISM_E10value_typeET4_T5_PSR_SS_PNS1_23onesweep_lookback_stateEbbT6_jjT7_P12ihipStream_tbENKUlT_T0_SG_SL_E_clIS7_S7_PlSB_EEDaSZ_S10_SG_SL_EUlSZ_E_NS1_11comp_targetILNS1_3genE5ELNS1_11target_archE942ELNS1_3gpuE9ELNS1_3repE0EEENS1_47radix_sort_onesweep_sort_config_static_selectorELNS0_4arch9wavefront6targetE1EEEvSG_.kd
    .uniform_work_group_size: 1
    .uses_dynamic_stack: false
    .vgpr_count:     0
    .vgpr_spill_count: 0
    .wavefront_size: 64
  - .agpr_count:     0
    .args:
      - .offset:         0
        .size:           88
        .value_kind:     by_value
    .group_segment_fixed_size: 0
    .kernarg_segment_align: 8
    .kernarg_segment_size: 88
    .language:       OpenCL C
    .language_version:
      - 2
      - 0
    .max_flat_workgroup_size: 512
    .name:           _ZN7rocprim17ROCPRIM_400000_NS6detail17trampoline_kernelINS0_14default_configENS1_35radix_sort_onesweep_config_selectorIflEEZZNS1_29radix_sort_onesweep_iterationIS3_Lb0EPfS7_N6thrust23THRUST_200600_302600_NS10device_ptrIlEESB_jNS0_19identity_decomposerENS1_16block_id_wrapperIjLb0EEEEE10hipError_tT1_PNSt15iterator_traitsISG_E10value_typeET2_T3_PNSH_ISM_E10value_typeET4_T5_PSR_SS_PNS1_23onesweep_lookback_stateEbbT6_jjT7_P12ihipStream_tbENKUlT_T0_SG_SL_E_clIS7_S7_PlSB_EEDaSZ_S10_SG_SL_EUlSZ_E_NS1_11comp_targetILNS1_3genE2ELNS1_11target_archE906ELNS1_3gpuE6ELNS1_3repE0EEENS1_47radix_sort_onesweep_sort_config_static_selectorELNS0_4arch9wavefront6targetE1EEEvSG_
    .private_segment_fixed_size: 0
    .sgpr_count:     4
    .sgpr_spill_count: 0
    .symbol:         _ZN7rocprim17ROCPRIM_400000_NS6detail17trampoline_kernelINS0_14default_configENS1_35radix_sort_onesweep_config_selectorIflEEZZNS1_29radix_sort_onesweep_iterationIS3_Lb0EPfS7_N6thrust23THRUST_200600_302600_NS10device_ptrIlEESB_jNS0_19identity_decomposerENS1_16block_id_wrapperIjLb0EEEEE10hipError_tT1_PNSt15iterator_traitsISG_E10value_typeET2_T3_PNSH_ISM_E10value_typeET4_T5_PSR_SS_PNS1_23onesweep_lookback_stateEbbT6_jjT7_P12ihipStream_tbENKUlT_T0_SG_SL_E_clIS7_S7_PlSB_EEDaSZ_S10_SG_SL_EUlSZ_E_NS1_11comp_targetILNS1_3genE2ELNS1_11target_archE906ELNS1_3gpuE6ELNS1_3repE0EEENS1_47radix_sort_onesweep_sort_config_static_selectorELNS0_4arch9wavefront6targetE1EEEvSG_.kd
    .uniform_work_group_size: 1
    .uses_dynamic_stack: false
    .vgpr_count:     0
    .vgpr_spill_count: 0
    .wavefront_size: 64
  - .agpr_count:     0
    .args:
      - .offset:         0
        .size:           88
        .value_kind:     by_value
      - .offset:         88
        .size:           4
        .value_kind:     hidden_block_count_x
      - .offset:         92
        .size:           4
        .value_kind:     hidden_block_count_y
      - .offset:         96
        .size:           4
        .value_kind:     hidden_block_count_z
      - .offset:         100
        .size:           2
        .value_kind:     hidden_group_size_x
      - .offset:         102
        .size:           2
        .value_kind:     hidden_group_size_y
      - .offset:         104
        .size:           2
        .value_kind:     hidden_group_size_z
      - .offset:         106
        .size:           2
        .value_kind:     hidden_remainder_x
      - .offset:         108
        .size:           2
        .value_kind:     hidden_remainder_y
      - .offset:         110
        .size:           2
        .value_kind:     hidden_remainder_z
      - .offset:         128
        .size:           8
        .value_kind:     hidden_global_offset_x
      - .offset:         136
        .size:           8
        .value_kind:     hidden_global_offset_y
      - .offset:         144
        .size:           8
        .value_kind:     hidden_global_offset_z
      - .offset:         152
        .size:           2
        .value_kind:     hidden_grid_dims
    .group_segment_fixed_size: 20552
    .kernarg_segment_align: 8
    .kernarg_segment_size: 344
    .language:       OpenCL C
    .language_version:
      - 2
      - 0
    .max_flat_workgroup_size: 1024
    .name:           _ZN7rocprim17ROCPRIM_400000_NS6detail17trampoline_kernelINS0_14default_configENS1_35radix_sort_onesweep_config_selectorIflEEZZNS1_29radix_sort_onesweep_iterationIS3_Lb0EPfS7_N6thrust23THRUST_200600_302600_NS10device_ptrIlEESB_jNS0_19identity_decomposerENS1_16block_id_wrapperIjLb0EEEEE10hipError_tT1_PNSt15iterator_traitsISG_E10value_typeET2_T3_PNSH_ISM_E10value_typeET4_T5_PSR_SS_PNS1_23onesweep_lookback_stateEbbT6_jjT7_P12ihipStream_tbENKUlT_T0_SG_SL_E_clIS7_S7_PlSB_EEDaSZ_S10_SG_SL_EUlSZ_E_NS1_11comp_targetILNS1_3genE4ELNS1_11target_archE910ELNS1_3gpuE8ELNS1_3repE0EEENS1_47radix_sort_onesweep_sort_config_static_selectorELNS0_4arch9wavefront6targetE1EEEvSG_
    .private_segment_fixed_size: 0
    .sgpr_count:     58
    .sgpr_spill_count: 0
    .symbol:         _ZN7rocprim17ROCPRIM_400000_NS6detail17trampoline_kernelINS0_14default_configENS1_35radix_sort_onesweep_config_selectorIflEEZZNS1_29radix_sort_onesweep_iterationIS3_Lb0EPfS7_N6thrust23THRUST_200600_302600_NS10device_ptrIlEESB_jNS0_19identity_decomposerENS1_16block_id_wrapperIjLb0EEEEE10hipError_tT1_PNSt15iterator_traitsISG_E10value_typeET2_T3_PNSH_ISM_E10value_typeET4_T5_PSR_SS_PNS1_23onesweep_lookback_stateEbbT6_jjT7_P12ihipStream_tbENKUlT_T0_SG_SL_E_clIS7_S7_PlSB_EEDaSZ_S10_SG_SL_EUlSZ_E_NS1_11comp_targetILNS1_3genE4ELNS1_11target_archE910ELNS1_3gpuE8ELNS1_3repE0EEENS1_47radix_sort_onesweep_sort_config_static_selectorELNS0_4arch9wavefront6targetE1EEEvSG_.kd
    .uniform_work_group_size: 1
    .uses_dynamic_stack: false
    .vgpr_count:     65
    .vgpr_spill_count: 0
    .wavefront_size: 64
  - .agpr_count:     0
    .args:
      - .offset:         0
        .size:           88
        .value_kind:     by_value
    .group_segment_fixed_size: 0
    .kernarg_segment_align: 8
    .kernarg_segment_size: 88
    .language:       OpenCL C
    .language_version:
      - 2
      - 0
    .max_flat_workgroup_size: 512
    .name:           _ZN7rocprim17ROCPRIM_400000_NS6detail17trampoline_kernelINS0_14default_configENS1_35radix_sort_onesweep_config_selectorIflEEZZNS1_29radix_sort_onesweep_iterationIS3_Lb0EPfS7_N6thrust23THRUST_200600_302600_NS10device_ptrIlEESB_jNS0_19identity_decomposerENS1_16block_id_wrapperIjLb0EEEEE10hipError_tT1_PNSt15iterator_traitsISG_E10value_typeET2_T3_PNSH_ISM_E10value_typeET4_T5_PSR_SS_PNS1_23onesweep_lookback_stateEbbT6_jjT7_P12ihipStream_tbENKUlT_T0_SG_SL_E_clIS7_S7_PlSB_EEDaSZ_S10_SG_SL_EUlSZ_E_NS1_11comp_targetILNS1_3genE3ELNS1_11target_archE908ELNS1_3gpuE7ELNS1_3repE0EEENS1_47radix_sort_onesweep_sort_config_static_selectorELNS0_4arch9wavefront6targetE1EEEvSG_
    .private_segment_fixed_size: 0
    .sgpr_count:     4
    .sgpr_spill_count: 0
    .symbol:         _ZN7rocprim17ROCPRIM_400000_NS6detail17trampoline_kernelINS0_14default_configENS1_35radix_sort_onesweep_config_selectorIflEEZZNS1_29radix_sort_onesweep_iterationIS3_Lb0EPfS7_N6thrust23THRUST_200600_302600_NS10device_ptrIlEESB_jNS0_19identity_decomposerENS1_16block_id_wrapperIjLb0EEEEE10hipError_tT1_PNSt15iterator_traitsISG_E10value_typeET2_T3_PNSH_ISM_E10value_typeET4_T5_PSR_SS_PNS1_23onesweep_lookback_stateEbbT6_jjT7_P12ihipStream_tbENKUlT_T0_SG_SL_E_clIS7_S7_PlSB_EEDaSZ_S10_SG_SL_EUlSZ_E_NS1_11comp_targetILNS1_3genE3ELNS1_11target_archE908ELNS1_3gpuE7ELNS1_3repE0EEENS1_47radix_sort_onesweep_sort_config_static_selectorELNS0_4arch9wavefront6targetE1EEEvSG_.kd
    .uniform_work_group_size: 1
    .uses_dynamic_stack: false
    .vgpr_count:     0
    .vgpr_spill_count: 0
    .wavefront_size: 64
  - .agpr_count:     0
    .args:
      - .offset:         0
        .size:           88
        .value_kind:     by_value
    .group_segment_fixed_size: 0
    .kernarg_segment_align: 8
    .kernarg_segment_size: 88
    .language:       OpenCL C
    .language_version:
      - 2
      - 0
    .max_flat_workgroup_size: 1024
    .name:           _ZN7rocprim17ROCPRIM_400000_NS6detail17trampoline_kernelINS0_14default_configENS1_35radix_sort_onesweep_config_selectorIflEEZZNS1_29radix_sort_onesweep_iterationIS3_Lb0EPfS7_N6thrust23THRUST_200600_302600_NS10device_ptrIlEESB_jNS0_19identity_decomposerENS1_16block_id_wrapperIjLb0EEEEE10hipError_tT1_PNSt15iterator_traitsISG_E10value_typeET2_T3_PNSH_ISM_E10value_typeET4_T5_PSR_SS_PNS1_23onesweep_lookback_stateEbbT6_jjT7_P12ihipStream_tbENKUlT_T0_SG_SL_E_clIS7_S7_PlSB_EEDaSZ_S10_SG_SL_EUlSZ_E_NS1_11comp_targetILNS1_3genE10ELNS1_11target_archE1201ELNS1_3gpuE5ELNS1_3repE0EEENS1_47radix_sort_onesweep_sort_config_static_selectorELNS0_4arch9wavefront6targetE1EEEvSG_
    .private_segment_fixed_size: 0
    .sgpr_count:     4
    .sgpr_spill_count: 0
    .symbol:         _ZN7rocprim17ROCPRIM_400000_NS6detail17trampoline_kernelINS0_14default_configENS1_35radix_sort_onesweep_config_selectorIflEEZZNS1_29radix_sort_onesweep_iterationIS3_Lb0EPfS7_N6thrust23THRUST_200600_302600_NS10device_ptrIlEESB_jNS0_19identity_decomposerENS1_16block_id_wrapperIjLb0EEEEE10hipError_tT1_PNSt15iterator_traitsISG_E10value_typeET2_T3_PNSH_ISM_E10value_typeET4_T5_PSR_SS_PNS1_23onesweep_lookback_stateEbbT6_jjT7_P12ihipStream_tbENKUlT_T0_SG_SL_E_clIS7_S7_PlSB_EEDaSZ_S10_SG_SL_EUlSZ_E_NS1_11comp_targetILNS1_3genE10ELNS1_11target_archE1201ELNS1_3gpuE5ELNS1_3repE0EEENS1_47radix_sort_onesweep_sort_config_static_selectorELNS0_4arch9wavefront6targetE1EEEvSG_.kd
    .uniform_work_group_size: 1
    .uses_dynamic_stack: false
    .vgpr_count:     0
    .vgpr_spill_count: 0
    .wavefront_size: 64
  - .agpr_count:     0
    .args:
      - .offset:         0
        .size:           88
        .value_kind:     by_value
    .group_segment_fixed_size: 0
    .kernarg_segment_align: 8
    .kernarg_segment_size: 88
    .language:       OpenCL C
    .language_version:
      - 2
      - 0
    .max_flat_workgroup_size: 1024
    .name:           _ZN7rocprim17ROCPRIM_400000_NS6detail17trampoline_kernelINS0_14default_configENS1_35radix_sort_onesweep_config_selectorIflEEZZNS1_29radix_sort_onesweep_iterationIS3_Lb0EPfS7_N6thrust23THRUST_200600_302600_NS10device_ptrIlEESB_jNS0_19identity_decomposerENS1_16block_id_wrapperIjLb0EEEEE10hipError_tT1_PNSt15iterator_traitsISG_E10value_typeET2_T3_PNSH_ISM_E10value_typeET4_T5_PSR_SS_PNS1_23onesweep_lookback_stateEbbT6_jjT7_P12ihipStream_tbENKUlT_T0_SG_SL_E_clIS7_S7_PlSB_EEDaSZ_S10_SG_SL_EUlSZ_E_NS1_11comp_targetILNS1_3genE9ELNS1_11target_archE1100ELNS1_3gpuE3ELNS1_3repE0EEENS1_47radix_sort_onesweep_sort_config_static_selectorELNS0_4arch9wavefront6targetE1EEEvSG_
    .private_segment_fixed_size: 0
    .sgpr_count:     4
    .sgpr_spill_count: 0
    .symbol:         _ZN7rocprim17ROCPRIM_400000_NS6detail17trampoline_kernelINS0_14default_configENS1_35radix_sort_onesweep_config_selectorIflEEZZNS1_29radix_sort_onesweep_iterationIS3_Lb0EPfS7_N6thrust23THRUST_200600_302600_NS10device_ptrIlEESB_jNS0_19identity_decomposerENS1_16block_id_wrapperIjLb0EEEEE10hipError_tT1_PNSt15iterator_traitsISG_E10value_typeET2_T3_PNSH_ISM_E10value_typeET4_T5_PSR_SS_PNS1_23onesweep_lookback_stateEbbT6_jjT7_P12ihipStream_tbENKUlT_T0_SG_SL_E_clIS7_S7_PlSB_EEDaSZ_S10_SG_SL_EUlSZ_E_NS1_11comp_targetILNS1_3genE9ELNS1_11target_archE1100ELNS1_3gpuE3ELNS1_3repE0EEENS1_47radix_sort_onesweep_sort_config_static_selectorELNS0_4arch9wavefront6targetE1EEEvSG_.kd
    .uniform_work_group_size: 1
    .uses_dynamic_stack: false
    .vgpr_count:     0
    .vgpr_spill_count: 0
    .wavefront_size: 64
  - .agpr_count:     0
    .args:
      - .offset:         0
        .size:           88
        .value_kind:     by_value
    .group_segment_fixed_size: 0
    .kernarg_segment_align: 8
    .kernarg_segment_size: 88
    .language:       OpenCL C
    .language_version:
      - 2
      - 0
    .max_flat_workgroup_size: 1024
    .name:           _ZN7rocprim17ROCPRIM_400000_NS6detail17trampoline_kernelINS0_14default_configENS1_35radix_sort_onesweep_config_selectorIflEEZZNS1_29radix_sort_onesweep_iterationIS3_Lb0EPfS7_N6thrust23THRUST_200600_302600_NS10device_ptrIlEESB_jNS0_19identity_decomposerENS1_16block_id_wrapperIjLb0EEEEE10hipError_tT1_PNSt15iterator_traitsISG_E10value_typeET2_T3_PNSH_ISM_E10value_typeET4_T5_PSR_SS_PNS1_23onesweep_lookback_stateEbbT6_jjT7_P12ihipStream_tbENKUlT_T0_SG_SL_E_clIS7_S7_PlSB_EEDaSZ_S10_SG_SL_EUlSZ_E_NS1_11comp_targetILNS1_3genE8ELNS1_11target_archE1030ELNS1_3gpuE2ELNS1_3repE0EEENS1_47radix_sort_onesweep_sort_config_static_selectorELNS0_4arch9wavefront6targetE1EEEvSG_
    .private_segment_fixed_size: 0
    .sgpr_count:     4
    .sgpr_spill_count: 0
    .symbol:         _ZN7rocprim17ROCPRIM_400000_NS6detail17trampoline_kernelINS0_14default_configENS1_35radix_sort_onesweep_config_selectorIflEEZZNS1_29radix_sort_onesweep_iterationIS3_Lb0EPfS7_N6thrust23THRUST_200600_302600_NS10device_ptrIlEESB_jNS0_19identity_decomposerENS1_16block_id_wrapperIjLb0EEEEE10hipError_tT1_PNSt15iterator_traitsISG_E10value_typeET2_T3_PNSH_ISM_E10value_typeET4_T5_PSR_SS_PNS1_23onesweep_lookback_stateEbbT6_jjT7_P12ihipStream_tbENKUlT_T0_SG_SL_E_clIS7_S7_PlSB_EEDaSZ_S10_SG_SL_EUlSZ_E_NS1_11comp_targetILNS1_3genE8ELNS1_11target_archE1030ELNS1_3gpuE2ELNS1_3repE0EEENS1_47radix_sort_onesweep_sort_config_static_selectorELNS0_4arch9wavefront6targetE1EEEvSG_.kd
    .uniform_work_group_size: 1
    .uses_dynamic_stack: false
    .vgpr_count:     0
    .vgpr_spill_count: 0
    .wavefront_size: 64
  - .agpr_count:     0
    .args:
      - .offset:         0
        .size:           72
        .value_kind:     by_value
    .group_segment_fixed_size: 0
    .kernarg_segment_align: 8
    .kernarg_segment_size: 72
    .language:       OpenCL C
    .language_version:
      - 2
      - 0
    .max_flat_workgroup_size: 256
    .name:           _ZN7rocprim17ROCPRIM_400000_NS6detail17trampoline_kernelINS0_14default_configENS1_22reduce_config_selectorIiEEZNS1_11reduce_implILb1ES3_N6thrust23THRUST_200600_302600_NS11hip_rocprim35transform_pair_of_input_iterators_tIiPfSB_NS8_12not_equal_toIfEEEEPiiNS8_4plusIiEEEE10hipError_tPvRmT1_T2_T3_mT4_P12ihipStream_tbEUlT_E0_NS1_11comp_targetILNS1_3genE0ELNS1_11target_archE4294967295ELNS1_3gpuE0ELNS1_3repE0EEENS1_30default_config_static_selectorELNS0_4arch9wavefront6targetE1EEEvSL_
    .private_segment_fixed_size: 0
    .sgpr_count:     4
    .sgpr_spill_count: 0
    .symbol:         _ZN7rocprim17ROCPRIM_400000_NS6detail17trampoline_kernelINS0_14default_configENS1_22reduce_config_selectorIiEEZNS1_11reduce_implILb1ES3_N6thrust23THRUST_200600_302600_NS11hip_rocprim35transform_pair_of_input_iterators_tIiPfSB_NS8_12not_equal_toIfEEEEPiiNS8_4plusIiEEEE10hipError_tPvRmT1_T2_T3_mT4_P12ihipStream_tbEUlT_E0_NS1_11comp_targetILNS1_3genE0ELNS1_11target_archE4294967295ELNS1_3gpuE0ELNS1_3repE0EEENS1_30default_config_static_selectorELNS0_4arch9wavefront6targetE1EEEvSL_.kd
    .uniform_work_group_size: 1
    .uses_dynamic_stack: false
    .vgpr_count:     0
    .vgpr_spill_count: 0
    .wavefront_size: 64
  - .agpr_count:     0
    .args:
      - .offset:         0
        .size:           72
        .value_kind:     by_value
    .group_segment_fixed_size: 0
    .kernarg_segment_align: 8
    .kernarg_segment_size: 72
    .language:       OpenCL C
    .language_version:
      - 2
      - 0
    .max_flat_workgroup_size: 256
    .name:           _ZN7rocprim17ROCPRIM_400000_NS6detail17trampoline_kernelINS0_14default_configENS1_22reduce_config_selectorIiEEZNS1_11reduce_implILb1ES3_N6thrust23THRUST_200600_302600_NS11hip_rocprim35transform_pair_of_input_iterators_tIiPfSB_NS8_12not_equal_toIfEEEEPiiNS8_4plusIiEEEE10hipError_tPvRmT1_T2_T3_mT4_P12ihipStream_tbEUlT_E0_NS1_11comp_targetILNS1_3genE5ELNS1_11target_archE942ELNS1_3gpuE9ELNS1_3repE0EEENS1_30default_config_static_selectorELNS0_4arch9wavefront6targetE1EEEvSL_
    .private_segment_fixed_size: 0
    .sgpr_count:     4
    .sgpr_spill_count: 0
    .symbol:         _ZN7rocprim17ROCPRIM_400000_NS6detail17trampoline_kernelINS0_14default_configENS1_22reduce_config_selectorIiEEZNS1_11reduce_implILb1ES3_N6thrust23THRUST_200600_302600_NS11hip_rocprim35transform_pair_of_input_iterators_tIiPfSB_NS8_12not_equal_toIfEEEEPiiNS8_4plusIiEEEE10hipError_tPvRmT1_T2_T3_mT4_P12ihipStream_tbEUlT_E0_NS1_11comp_targetILNS1_3genE5ELNS1_11target_archE942ELNS1_3gpuE9ELNS1_3repE0EEENS1_30default_config_static_selectorELNS0_4arch9wavefront6targetE1EEEvSL_.kd
    .uniform_work_group_size: 1
    .uses_dynamic_stack: false
    .vgpr_count:     0
    .vgpr_spill_count: 0
    .wavefront_size: 64
  - .agpr_count:     0
    .args:
      - .offset:         0
        .size:           72
        .value_kind:     by_value
    .group_segment_fixed_size: 16
    .kernarg_segment_align: 8
    .kernarg_segment_size: 72
    .language:       OpenCL C
    .language_version:
      - 2
      - 0
    .max_flat_workgroup_size: 128
    .name:           _ZN7rocprim17ROCPRIM_400000_NS6detail17trampoline_kernelINS0_14default_configENS1_22reduce_config_selectorIiEEZNS1_11reduce_implILb1ES3_N6thrust23THRUST_200600_302600_NS11hip_rocprim35transform_pair_of_input_iterators_tIiPfSB_NS8_12not_equal_toIfEEEEPiiNS8_4plusIiEEEE10hipError_tPvRmT1_T2_T3_mT4_P12ihipStream_tbEUlT_E0_NS1_11comp_targetILNS1_3genE4ELNS1_11target_archE910ELNS1_3gpuE8ELNS1_3repE0EEENS1_30default_config_static_selectorELNS0_4arch9wavefront6targetE1EEEvSL_
    .private_segment_fixed_size: 0
    .sgpr_count:     34
    .sgpr_spill_count: 0
    .symbol:         _ZN7rocprim17ROCPRIM_400000_NS6detail17trampoline_kernelINS0_14default_configENS1_22reduce_config_selectorIiEEZNS1_11reduce_implILb1ES3_N6thrust23THRUST_200600_302600_NS11hip_rocprim35transform_pair_of_input_iterators_tIiPfSB_NS8_12not_equal_toIfEEEEPiiNS8_4plusIiEEEE10hipError_tPvRmT1_T2_T3_mT4_P12ihipStream_tbEUlT_E0_NS1_11comp_targetILNS1_3genE4ELNS1_11target_archE910ELNS1_3gpuE8ELNS1_3repE0EEENS1_30default_config_static_selectorELNS0_4arch9wavefront6targetE1EEEvSL_.kd
    .uniform_work_group_size: 1
    .uses_dynamic_stack: false
    .vgpr_count:     21
    .vgpr_spill_count: 0
    .wavefront_size: 64
  - .agpr_count:     0
    .args:
      - .offset:         0
        .size:           72
        .value_kind:     by_value
    .group_segment_fixed_size: 0
    .kernarg_segment_align: 8
    .kernarg_segment_size: 72
    .language:       OpenCL C
    .language_version:
      - 2
      - 0
    .max_flat_workgroup_size: 256
    .name:           _ZN7rocprim17ROCPRIM_400000_NS6detail17trampoline_kernelINS0_14default_configENS1_22reduce_config_selectorIiEEZNS1_11reduce_implILb1ES3_N6thrust23THRUST_200600_302600_NS11hip_rocprim35transform_pair_of_input_iterators_tIiPfSB_NS8_12not_equal_toIfEEEEPiiNS8_4plusIiEEEE10hipError_tPvRmT1_T2_T3_mT4_P12ihipStream_tbEUlT_E0_NS1_11comp_targetILNS1_3genE3ELNS1_11target_archE908ELNS1_3gpuE7ELNS1_3repE0EEENS1_30default_config_static_selectorELNS0_4arch9wavefront6targetE1EEEvSL_
    .private_segment_fixed_size: 0
    .sgpr_count:     4
    .sgpr_spill_count: 0
    .symbol:         _ZN7rocprim17ROCPRIM_400000_NS6detail17trampoline_kernelINS0_14default_configENS1_22reduce_config_selectorIiEEZNS1_11reduce_implILb1ES3_N6thrust23THRUST_200600_302600_NS11hip_rocprim35transform_pair_of_input_iterators_tIiPfSB_NS8_12not_equal_toIfEEEEPiiNS8_4plusIiEEEE10hipError_tPvRmT1_T2_T3_mT4_P12ihipStream_tbEUlT_E0_NS1_11comp_targetILNS1_3genE3ELNS1_11target_archE908ELNS1_3gpuE7ELNS1_3repE0EEENS1_30default_config_static_selectorELNS0_4arch9wavefront6targetE1EEEvSL_.kd
    .uniform_work_group_size: 1
    .uses_dynamic_stack: false
    .vgpr_count:     0
    .vgpr_spill_count: 0
    .wavefront_size: 64
  - .agpr_count:     0
    .args:
      - .offset:         0
        .size:           72
        .value_kind:     by_value
    .group_segment_fixed_size: 0
    .kernarg_segment_align: 8
    .kernarg_segment_size: 72
    .language:       OpenCL C
    .language_version:
      - 2
      - 0
    .max_flat_workgroup_size: 256
    .name:           _ZN7rocprim17ROCPRIM_400000_NS6detail17trampoline_kernelINS0_14default_configENS1_22reduce_config_selectorIiEEZNS1_11reduce_implILb1ES3_N6thrust23THRUST_200600_302600_NS11hip_rocprim35transform_pair_of_input_iterators_tIiPfSB_NS8_12not_equal_toIfEEEEPiiNS8_4plusIiEEEE10hipError_tPvRmT1_T2_T3_mT4_P12ihipStream_tbEUlT_E0_NS1_11comp_targetILNS1_3genE2ELNS1_11target_archE906ELNS1_3gpuE6ELNS1_3repE0EEENS1_30default_config_static_selectorELNS0_4arch9wavefront6targetE1EEEvSL_
    .private_segment_fixed_size: 0
    .sgpr_count:     4
    .sgpr_spill_count: 0
    .symbol:         _ZN7rocprim17ROCPRIM_400000_NS6detail17trampoline_kernelINS0_14default_configENS1_22reduce_config_selectorIiEEZNS1_11reduce_implILb1ES3_N6thrust23THRUST_200600_302600_NS11hip_rocprim35transform_pair_of_input_iterators_tIiPfSB_NS8_12not_equal_toIfEEEEPiiNS8_4plusIiEEEE10hipError_tPvRmT1_T2_T3_mT4_P12ihipStream_tbEUlT_E0_NS1_11comp_targetILNS1_3genE2ELNS1_11target_archE906ELNS1_3gpuE6ELNS1_3repE0EEENS1_30default_config_static_selectorELNS0_4arch9wavefront6targetE1EEEvSL_.kd
    .uniform_work_group_size: 1
    .uses_dynamic_stack: false
    .vgpr_count:     0
    .vgpr_spill_count: 0
    .wavefront_size: 64
  - .agpr_count:     0
    .args:
      - .offset:         0
        .size:           72
        .value_kind:     by_value
    .group_segment_fixed_size: 0
    .kernarg_segment_align: 8
    .kernarg_segment_size: 72
    .language:       OpenCL C
    .language_version:
      - 2
      - 0
    .max_flat_workgroup_size: 256
    .name:           _ZN7rocprim17ROCPRIM_400000_NS6detail17trampoline_kernelINS0_14default_configENS1_22reduce_config_selectorIiEEZNS1_11reduce_implILb1ES3_N6thrust23THRUST_200600_302600_NS11hip_rocprim35transform_pair_of_input_iterators_tIiPfSB_NS8_12not_equal_toIfEEEEPiiNS8_4plusIiEEEE10hipError_tPvRmT1_T2_T3_mT4_P12ihipStream_tbEUlT_E0_NS1_11comp_targetILNS1_3genE10ELNS1_11target_archE1201ELNS1_3gpuE5ELNS1_3repE0EEENS1_30default_config_static_selectorELNS0_4arch9wavefront6targetE1EEEvSL_
    .private_segment_fixed_size: 0
    .sgpr_count:     4
    .sgpr_spill_count: 0
    .symbol:         _ZN7rocprim17ROCPRIM_400000_NS6detail17trampoline_kernelINS0_14default_configENS1_22reduce_config_selectorIiEEZNS1_11reduce_implILb1ES3_N6thrust23THRUST_200600_302600_NS11hip_rocprim35transform_pair_of_input_iterators_tIiPfSB_NS8_12not_equal_toIfEEEEPiiNS8_4plusIiEEEE10hipError_tPvRmT1_T2_T3_mT4_P12ihipStream_tbEUlT_E0_NS1_11comp_targetILNS1_3genE10ELNS1_11target_archE1201ELNS1_3gpuE5ELNS1_3repE0EEENS1_30default_config_static_selectorELNS0_4arch9wavefront6targetE1EEEvSL_.kd
    .uniform_work_group_size: 1
    .uses_dynamic_stack: false
    .vgpr_count:     0
    .vgpr_spill_count: 0
    .wavefront_size: 64
  - .agpr_count:     0
    .args:
      - .offset:         0
        .size:           72
        .value_kind:     by_value
    .group_segment_fixed_size: 0
    .kernarg_segment_align: 8
    .kernarg_segment_size: 72
    .language:       OpenCL C
    .language_version:
      - 2
      - 0
    .max_flat_workgroup_size: 256
    .name:           _ZN7rocprim17ROCPRIM_400000_NS6detail17trampoline_kernelINS0_14default_configENS1_22reduce_config_selectorIiEEZNS1_11reduce_implILb1ES3_N6thrust23THRUST_200600_302600_NS11hip_rocprim35transform_pair_of_input_iterators_tIiPfSB_NS8_12not_equal_toIfEEEEPiiNS8_4plusIiEEEE10hipError_tPvRmT1_T2_T3_mT4_P12ihipStream_tbEUlT_E0_NS1_11comp_targetILNS1_3genE10ELNS1_11target_archE1200ELNS1_3gpuE4ELNS1_3repE0EEENS1_30default_config_static_selectorELNS0_4arch9wavefront6targetE1EEEvSL_
    .private_segment_fixed_size: 0
    .sgpr_count:     4
    .sgpr_spill_count: 0
    .symbol:         _ZN7rocprim17ROCPRIM_400000_NS6detail17trampoline_kernelINS0_14default_configENS1_22reduce_config_selectorIiEEZNS1_11reduce_implILb1ES3_N6thrust23THRUST_200600_302600_NS11hip_rocprim35transform_pair_of_input_iterators_tIiPfSB_NS8_12not_equal_toIfEEEEPiiNS8_4plusIiEEEE10hipError_tPvRmT1_T2_T3_mT4_P12ihipStream_tbEUlT_E0_NS1_11comp_targetILNS1_3genE10ELNS1_11target_archE1200ELNS1_3gpuE4ELNS1_3repE0EEENS1_30default_config_static_selectorELNS0_4arch9wavefront6targetE1EEEvSL_.kd
    .uniform_work_group_size: 1
    .uses_dynamic_stack: false
    .vgpr_count:     0
    .vgpr_spill_count: 0
    .wavefront_size: 64
  - .agpr_count:     0
    .args:
      - .offset:         0
        .size:           72
        .value_kind:     by_value
    .group_segment_fixed_size: 0
    .kernarg_segment_align: 8
    .kernarg_segment_size: 72
    .language:       OpenCL C
    .language_version:
      - 2
      - 0
    .max_flat_workgroup_size: 256
    .name:           _ZN7rocprim17ROCPRIM_400000_NS6detail17trampoline_kernelINS0_14default_configENS1_22reduce_config_selectorIiEEZNS1_11reduce_implILb1ES3_N6thrust23THRUST_200600_302600_NS11hip_rocprim35transform_pair_of_input_iterators_tIiPfSB_NS8_12not_equal_toIfEEEEPiiNS8_4plusIiEEEE10hipError_tPvRmT1_T2_T3_mT4_P12ihipStream_tbEUlT_E0_NS1_11comp_targetILNS1_3genE9ELNS1_11target_archE1100ELNS1_3gpuE3ELNS1_3repE0EEENS1_30default_config_static_selectorELNS0_4arch9wavefront6targetE1EEEvSL_
    .private_segment_fixed_size: 0
    .sgpr_count:     4
    .sgpr_spill_count: 0
    .symbol:         _ZN7rocprim17ROCPRIM_400000_NS6detail17trampoline_kernelINS0_14default_configENS1_22reduce_config_selectorIiEEZNS1_11reduce_implILb1ES3_N6thrust23THRUST_200600_302600_NS11hip_rocprim35transform_pair_of_input_iterators_tIiPfSB_NS8_12not_equal_toIfEEEEPiiNS8_4plusIiEEEE10hipError_tPvRmT1_T2_T3_mT4_P12ihipStream_tbEUlT_E0_NS1_11comp_targetILNS1_3genE9ELNS1_11target_archE1100ELNS1_3gpuE3ELNS1_3repE0EEENS1_30default_config_static_selectorELNS0_4arch9wavefront6targetE1EEEvSL_.kd
    .uniform_work_group_size: 1
    .uses_dynamic_stack: false
    .vgpr_count:     0
    .vgpr_spill_count: 0
    .wavefront_size: 64
  - .agpr_count:     0
    .args:
      - .offset:         0
        .size:           72
        .value_kind:     by_value
    .group_segment_fixed_size: 0
    .kernarg_segment_align: 8
    .kernarg_segment_size: 72
    .language:       OpenCL C
    .language_version:
      - 2
      - 0
    .max_flat_workgroup_size: 256
    .name:           _ZN7rocprim17ROCPRIM_400000_NS6detail17trampoline_kernelINS0_14default_configENS1_22reduce_config_selectorIiEEZNS1_11reduce_implILb1ES3_N6thrust23THRUST_200600_302600_NS11hip_rocprim35transform_pair_of_input_iterators_tIiPfSB_NS8_12not_equal_toIfEEEEPiiNS8_4plusIiEEEE10hipError_tPvRmT1_T2_T3_mT4_P12ihipStream_tbEUlT_E0_NS1_11comp_targetILNS1_3genE8ELNS1_11target_archE1030ELNS1_3gpuE2ELNS1_3repE0EEENS1_30default_config_static_selectorELNS0_4arch9wavefront6targetE1EEEvSL_
    .private_segment_fixed_size: 0
    .sgpr_count:     4
    .sgpr_spill_count: 0
    .symbol:         _ZN7rocprim17ROCPRIM_400000_NS6detail17trampoline_kernelINS0_14default_configENS1_22reduce_config_selectorIiEEZNS1_11reduce_implILb1ES3_N6thrust23THRUST_200600_302600_NS11hip_rocprim35transform_pair_of_input_iterators_tIiPfSB_NS8_12not_equal_toIfEEEEPiiNS8_4plusIiEEEE10hipError_tPvRmT1_T2_T3_mT4_P12ihipStream_tbEUlT_E0_NS1_11comp_targetILNS1_3genE8ELNS1_11target_archE1030ELNS1_3gpuE2ELNS1_3repE0EEENS1_30default_config_static_selectorELNS0_4arch9wavefront6targetE1EEEvSL_.kd
    .uniform_work_group_size: 1
    .uses_dynamic_stack: false
    .vgpr_count:     0
    .vgpr_spill_count: 0
    .wavefront_size: 64
  - .agpr_count:     0
    .args:
      - .offset:         0
        .size:           56
        .value_kind:     by_value
    .group_segment_fixed_size: 0
    .kernarg_segment_align: 8
    .kernarg_segment_size: 56
    .language:       OpenCL C
    .language_version:
      - 2
      - 0
    .max_flat_workgroup_size: 256
    .name:           _ZN7rocprim17ROCPRIM_400000_NS6detail17trampoline_kernelINS0_14default_configENS1_22reduce_config_selectorIiEEZNS1_11reduce_implILb1ES3_N6thrust23THRUST_200600_302600_NS11hip_rocprim35transform_pair_of_input_iterators_tIiPfSB_NS8_12not_equal_toIfEEEEPiiNS8_4plusIiEEEE10hipError_tPvRmT1_T2_T3_mT4_P12ihipStream_tbEUlT_E1_NS1_11comp_targetILNS1_3genE0ELNS1_11target_archE4294967295ELNS1_3gpuE0ELNS1_3repE0EEENS1_30default_config_static_selectorELNS0_4arch9wavefront6targetE1EEEvSL_
    .private_segment_fixed_size: 0
    .sgpr_count:     4
    .sgpr_spill_count: 0
    .symbol:         _ZN7rocprim17ROCPRIM_400000_NS6detail17trampoline_kernelINS0_14default_configENS1_22reduce_config_selectorIiEEZNS1_11reduce_implILb1ES3_N6thrust23THRUST_200600_302600_NS11hip_rocprim35transform_pair_of_input_iterators_tIiPfSB_NS8_12not_equal_toIfEEEEPiiNS8_4plusIiEEEE10hipError_tPvRmT1_T2_T3_mT4_P12ihipStream_tbEUlT_E1_NS1_11comp_targetILNS1_3genE0ELNS1_11target_archE4294967295ELNS1_3gpuE0ELNS1_3repE0EEENS1_30default_config_static_selectorELNS0_4arch9wavefront6targetE1EEEvSL_.kd
    .uniform_work_group_size: 1
    .uses_dynamic_stack: false
    .vgpr_count:     0
    .vgpr_spill_count: 0
    .wavefront_size: 64
  - .agpr_count:     0
    .args:
      - .offset:         0
        .size:           56
        .value_kind:     by_value
    .group_segment_fixed_size: 0
    .kernarg_segment_align: 8
    .kernarg_segment_size: 56
    .language:       OpenCL C
    .language_version:
      - 2
      - 0
    .max_flat_workgroup_size: 256
    .name:           _ZN7rocprim17ROCPRIM_400000_NS6detail17trampoline_kernelINS0_14default_configENS1_22reduce_config_selectorIiEEZNS1_11reduce_implILb1ES3_N6thrust23THRUST_200600_302600_NS11hip_rocprim35transform_pair_of_input_iterators_tIiPfSB_NS8_12not_equal_toIfEEEEPiiNS8_4plusIiEEEE10hipError_tPvRmT1_T2_T3_mT4_P12ihipStream_tbEUlT_E1_NS1_11comp_targetILNS1_3genE5ELNS1_11target_archE942ELNS1_3gpuE9ELNS1_3repE0EEENS1_30default_config_static_selectorELNS0_4arch9wavefront6targetE1EEEvSL_
    .private_segment_fixed_size: 0
    .sgpr_count:     4
    .sgpr_spill_count: 0
    .symbol:         _ZN7rocprim17ROCPRIM_400000_NS6detail17trampoline_kernelINS0_14default_configENS1_22reduce_config_selectorIiEEZNS1_11reduce_implILb1ES3_N6thrust23THRUST_200600_302600_NS11hip_rocprim35transform_pair_of_input_iterators_tIiPfSB_NS8_12not_equal_toIfEEEEPiiNS8_4plusIiEEEE10hipError_tPvRmT1_T2_T3_mT4_P12ihipStream_tbEUlT_E1_NS1_11comp_targetILNS1_3genE5ELNS1_11target_archE942ELNS1_3gpuE9ELNS1_3repE0EEENS1_30default_config_static_selectorELNS0_4arch9wavefront6targetE1EEEvSL_.kd
    .uniform_work_group_size: 1
    .uses_dynamic_stack: false
    .vgpr_count:     0
    .vgpr_spill_count: 0
    .wavefront_size: 64
  - .agpr_count:     0
    .args:
      - .offset:         0
        .size:           56
        .value_kind:     by_value
    .group_segment_fixed_size: 56
    .kernarg_segment_align: 8
    .kernarg_segment_size: 56
    .language:       OpenCL C
    .language_version:
      - 2
      - 0
    .max_flat_workgroup_size: 128
    .name:           _ZN7rocprim17ROCPRIM_400000_NS6detail17trampoline_kernelINS0_14default_configENS1_22reduce_config_selectorIiEEZNS1_11reduce_implILb1ES3_N6thrust23THRUST_200600_302600_NS11hip_rocprim35transform_pair_of_input_iterators_tIiPfSB_NS8_12not_equal_toIfEEEEPiiNS8_4plusIiEEEE10hipError_tPvRmT1_T2_T3_mT4_P12ihipStream_tbEUlT_E1_NS1_11comp_targetILNS1_3genE4ELNS1_11target_archE910ELNS1_3gpuE8ELNS1_3repE0EEENS1_30default_config_static_selectorELNS0_4arch9wavefront6targetE1EEEvSL_
    .private_segment_fixed_size: 0
    .sgpr_count:     53
    .sgpr_spill_count: 0
    .symbol:         _ZN7rocprim17ROCPRIM_400000_NS6detail17trampoline_kernelINS0_14default_configENS1_22reduce_config_selectorIiEEZNS1_11reduce_implILb1ES3_N6thrust23THRUST_200600_302600_NS11hip_rocprim35transform_pair_of_input_iterators_tIiPfSB_NS8_12not_equal_toIfEEEEPiiNS8_4plusIiEEEE10hipError_tPvRmT1_T2_T3_mT4_P12ihipStream_tbEUlT_E1_NS1_11comp_targetILNS1_3genE4ELNS1_11target_archE910ELNS1_3gpuE8ELNS1_3repE0EEENS1_30default_config_static_selectorELNS0_4arch9wavefront6targetE1EEEvSL_.kd
    .uniform_work_group_size: 1
    .uses_dynamic_stack: false
    .vgpr_count:     64
    .vgpr_spill_count: 0
    .wavefront_size: 64
  - .agpr_count:     0
    .args:
      - .offset:         0
        .size:           56
        .value_kind:     by_value
    .group_segment_fixed_size: 0
    .kernarg_segment_align: 8
    .kernarg_segment_size: 56
    .language:       OpenCL C
    .language_version:
      - 2
      - 0
    .max_flat_workgroup_size: 256
    .name:           _ZN7rocprim17ROCPRIM_400000_NS6detail17trampoline_kernelINS0_14default_configENS1_22reduce_config_selectorIiEEZNS1_11reduce_implILb1ES3_N6thrust23THRUST_200600_302600_NS11hip_rocprim35transform_pair_of_input_iterators_tIiPfSB_NS8_12not_equal_toIfEEEEPiiNS8_4plusIiEEEE10hipError_tPvRmT1_T2_T3_mT4_P12ihipStream_tbEUlT_E1_NS1_11comp_targetILNS1_3genE3ELNS1_11target_archE908ELNS1_3gpuE7ELNS1_3repE0EEENS1_30default_config_static_selectorELNS0_4arch9wavefront6targetE1EEEvSL_
    .private_segment_fixed_size: 0
    .sgpr_count:     4
    .sgpr_spill_count: 0
    .symbol:         _ZN7rocprim17ROCPRIM_400000_NS6detail17trampoline_kernelINS0_14default_configENS1_22reduce_config_selectorIiEEZNS1_11reduce_implILb1ES3_N6thrust23THRUST_200600_302600_NS11hip_rocprim35transform_pair_of_input_iterators_tIiPfSB_NS8_12not_equal_toIfEEEEPiiNS8_4plusIiEEEE10hipError_tPvRmT1_T2_T3_mT4_P12ihipStream_tbEUlT_E1_NS1_11comp_targetILNS1_3genE3ELNS1_11target_archE908ELNS1_3gpuE7ELNS1_3repE0EEENS1_30default_config_static_selectorELNS0_4arch9wavefront6targetE1EEEvSL_.kd
    .uniform_work_group_size: 1
    .uses_dynamic_stack: false
    .vgpr_count:     0
    .vgpr_spill_count: 0
    .wavefront_size: 64
  - .agpr_count:     0
    .args:
      - .offset:         0
        .size:           56
        .value_kind:     by_value
    .group_segment_fixed_size: 0
    .kernarg_segment_align: 8
    .kernarg_segment_size: 56
    .language:       OpenCL C
    .language_version:
      - 2
      - 0
    .max_flat_workgroup_size: 256
    .name:           _ZN7rocprim17ROCPRIM_400000_NS6detail17trampoline_kernelINS0_14default_configENS1_22reduce_config_selectorIiEEZNS1_11reduce_implILb1ES3_N6thrust23THRUST_200600_302600_NS11hip_rocprim35transform_pair_of_input_iterators_tIiPfSB_NS8_12not_equal_toIfEEEEPiiNS8_4plusIiEEEE10hipError_tPvRmT1_T2_T3_mT4_P12ihipStream_tbEUlT_E1_NS1_11comp_targetILNS1_3genE2ELNS1_11target_archE906ELNS1_3gpuE6ELNS1_3repE0EEENS1_30default_config_static_selectorELNS0_4arch9wavefront6targetE1EEEvSL_
    .private_segment_fixed_size: 0
    .sgpr_count:     4
    .sgpr_spill_count: 0
    .symbol:         _ZN7rocprim17ROCPRIM_400000_NS6detail17trampoline_kernelINS0_14default_configENS1_22reduce_config_selectorIiEEZNS1_11reduce_implILb1ES3_N6thrust23THRUST_200600_302600_NS11hip_rocprim35transform_pair_of_input_iterators_tIiPfSB_NS8_12not_equal_toIfEEEEPiiNS8_4plusIiEEEE10hipError_tPvRmT1_T2_T3_mT4_P12ihipStream_tbEUlT_E1_NS1_11comp_targetILNS1_3genE2ELNS1_11target_archE906ELNS1_3gpuE6ELNS1_3repE0EEENS1_30default_config_static_selectorELNS0_4arch9wavefront6targetE1EEEvSL_.kd
    .uniform_work_group_size: 1
    .uses_dynamic_stack: false
    .vgpr_count:     0
    .vgpr_spill_count: 0
    .wavefront_size: 64
  - .agpr_count:     0
    .args:
      - .offset:         0
        .size:           56
        .value_kind:     by_value
    .group_segment_fixed_size: 0
    .kernarg_segment_align: 8
    .kernarg_segment_size: 56
    .language:       OpenCL C
    .language_version:
      - 2
      - 0
    .max_flat_workgroup_size: 256
    .name:           _ZN7rocprim17ROCPRIM_400000_NS6detail17trampoline_kernelINS0_14default_configENS1_22reduce_config_selectorIiEEZNS1_11reduce_implILb1ES3_N6thrust23THRUST_200600_302600_NS11hip_rocprim35transform_pair_of_input_iterators_tIiPfSB_NS8_12not_equal_toIfEEEEPiiNS8_4plusIiEEEE10hipError_tPvRmT1_T2_T3_mT4_P12ihipStream_tbEUlT_E1_NS1_11comp_targetILNS1_3genE10ELNS1_11target_archE1201ELNS1_3gpuE5ELNS1_3repE0EEENS1_30default_config_static_selectorELNS0_4arch9wavefront6targetE1EEEvSL_
    .private_segment_fixed_size: 0
    .sgpr_count:     4
    .sgpr_spill_count: 0
    .symbol:         _ZN7rocprim17ROCPRIM_400000_NS6detail17trampoline_kernelINS0_14default_configENS1_22reduce_config_selectorIiEEZNS1_11reduce_implILb1ES3_N6thrust23THRUST_200600_302600_NS11hip_rocprim35transform_pair_of_input_iterators_tIiPfSB_NS8_12not_equal_toIfEEEEPiiNS8_4plusIiEEEE10hipError_tPvRmT1_T2_T3_mT4_P12ihipStream_tbEUlT_E1_NS1_11comp_targetILNS1_3genE10ELNS1_11target_archE1201ELNS1_3gpuE5ELNS1_3repE0EEENS1_30default_config_static_selectorELNS0_4arch9wavefront6targetE1EEEvSL_.kd
    .uniform_work_group_size: 1
    .uses_dynamic_stack: false
    .vgpr_count:     0
    .vgpr_spill_count: 0
    .wavefront_size: 64
  - .agpr_count:     0
    .args:
      - .offset:         0
        .size:           56
        .value_kind:     by_value
    .group_segment_fixed_size: 0
    .kernarg_segment_align: 8
    .kernarg_segment_size: 56
    .language:       OpenCL C
    .language_version:
      - 2
      - 0
    .max_flat_workgroup_size: 256
    .name:           _ZN7rocprim17ROCPRIM_400000_NS6detail17trampoline_kernelINS0_14default_configENS1_22reduce_config_selectorIiEEZNS1_11reduce_implILb1ES3_N6thrust23THRUST_200600_302600_NS11hip_rocprim35transform_pair_of_input_iterators_tIiPfSB_NS8_12not_equal_toIfEEEEPiiNS8_4plusIiEEEE10hipError_tPvRmT1_T2_T3_mT4_P12ihipStream_tbEUlT_E1_NS1_11comp_targetILNS1_3genE10ELNS1_11target_archE1200ELNS1_3gpuE4ELNS1_3repE0EEENS1_30default_config_static_selectorELNS0_4arch9wavefront6targetE1EEEvSL_
    .private_segment_fixed_size: 0
    .sgpr_count:     4
    .sgpr_spill_count: 0
    .symbol:         _ZN7rocprim17ROCPRIM_400000_NS6detail17trampoline_kernelINS0_14default_configENS1_22reduce_config_selectorIiEEZNS1_11reduce_implILb1ES3_N6thrust23THRUST_200600_302600_NS11hip_rocprim35transform_pair_of_input_iterators_tIiPfSB_NS8_12not_equal_toIfEEEEPiiNS8_4plusIiEEEE10hipError_tPvRmT1_T2_T3_mT4_P12ihipStream_tbEUlT_E1_NS1_11comp_targetILNS1_3genE10ELNS1_11target_archE1200ELNS1_3gpuE4ELNS1_3repE0EEENS1_30default_config_static_selectorELNS0_4arch9wavefront6targetE1EEEvSL_.kd
    .uniform_work_group_size: 1
    .uses_dynamic_stack: false
    .vgpr_count:     0
    .vgpr_spill_count: 0
    .wavefront_size: 64
  - .agpr_count:     0
    .args:
      - .offset:         0
        .size:           56
        .value_kind:     by_value
    .group_segment_fixed_size: 0
    .kernarg_segment_align: 8
    .kernarg_segment_size: 56
    .language:       OpenCL C
    .language_version:
      - 2
      - 0
    .max_flat_workgroup_size: 256
    .name:           _ZN7rocprim17ROCPRIM_400000_NS6detail17trampoline_kernelINS0_14default_configENS1_22reduce_config_selectorIiEEZNS1_11reduce_implILb1ES3_N6thrust23THRUST_200600_302600_NS11hip_rocprim35transform_pair_of_input_iterators_tIiPfSB_NS8_12not_equal_toIfEEEEPiiNS8_4plusIiEEEE10hipError_tPvRmT1_T2_T3_mT4_P12ihipStream_tbEUlT_E1_NS1_11comp_targetILNS1_3genE9ELNS1_11target_archE1100ELNS1_3gpuE3ELNS1_3repE0EEENS1_30default_config_static_selectorELNS0_4arch9wavefront6targetE1EEEvSL_
    .private_segment_fixed_size: 0
    .sgpr_count:     4
    .sgpr_spill_count: 0
    .symbol:         _ZN7rocprim17ROCPRIM_400000_NS6detail17trampoline_kernelINS0_14default_configENS1_22reduce_config_selectorIiEEZNS1_11reduce_implILb1ES3_N6thrust23THRUST_200600_302600_NS11hip_rocprim35transform_pair_of_input_iterators_tIiPfSB_NS8_12not_equal_toIfEEEEPiiNS8_4plusIiEEEE10hipError_tPvRmT1_T2_T3_mT4_P12ihipStream_tbEUlT_E1_NS1_11comp_targetILNS1_3genE9ELNS1_11target_archE1100ELNS1_3gpuE3ELNS1_3repE0EEENS1_30default_config_static_selectorELNS0_4arch9wavefront6targetE1EEEvSL_.kd
    .uniform_work_group_size: 1
    .uses_dynamic_stack: false
    .vgpr_count:     0
    .vgpr_spill_count: 0
    .wavefront_size: 64
  - .agpr_count:     0
    .args:
      - .offset:         0
        .size:           56
        .value_kind:     by_value
    .group_segment_fixed_size: 0
    .kernarg_segment_align: 8
    .kernarg_segment_size: 56
    .language:       OpenCL C
    .language_version:
      - 2
      - 0
    .max_flat_workgroup_size: 256
    .name:           _ZN7rocprim17ROCPRIM_400000_NS6detail17trampoline_kernelINS0_14default_configENS1_22reduce_config_selectorIiEEZNS1_11reduce_implILb1ES3_N6thrust23THRUST_200600_302600_NS11hip_rocprim35transform_pair_of_input_iterators_tIiPfSB_NS8_12not_equal_toIfEEEEPiiNS8_4plusIiEEEE10hipError_tPvRmT1_T2_T3_mT4_P12ihipStream_tbEUlT_E1_NS1_11comp_targetILNS1_3genE8ELNS1_11target_archE1030ELNS1_3gpuE2ELNS1_3repE0EEENS1_30default_config_static_selectorELNS0_4arch9wavefront6targetE1EEEvSL_
    .private_segment_fixed_size: 0
    .sgpr_count:     4
    .sgpr_spill_count: 0
    .symbol:         _ZN7rocprim17ROCPRIM_400000_NS6detail17trampoline_kernelINS0_14default_configENS1_22reduce_config_selectorIiEEZNS1_11reduce_implILb1ES3_N6thrust23THRUST_200600_302600_NS11hip_rocprim35transform_pair_of_input_iterators_tIiPfSB_NS8_12not_equal_toIfEEEEPiiNS8_4plusIiEEEE10hipError_tPvRmT1_T2_T3_mT4_P12ihipStream_tbEUlT_E1_NS1_11comp_targetILNS1_3genE8ELNS1_11target_archE1030ELNS1_3gpuE2ELNS1_3repE0EEENS1_30default_config_static_selectorELNS0_4arch9wavefront6targetE1EEEvSL_.kd
    .uniform_work_group_size: 1
    .uses_dynamic_stack: false
    .vgpr_count:     0
    .vgpr_spill_count: 0
    .wavefront_size: 64
  - .agpr_count:     0
    .args:
      - .offset:         0
        .size:           144
        .value_kind:     by_value
    .group_segment_fixed_size: 0
    .kernarg_segment_align: 8
    .kernarg_segment_size: 144
    .language:       OpenCL C
    .language_version:
      - 2
      - 0
    .max_flat_workgroup_size: 256
    .name:           _ZN7rocprim17ROCPRIM_400000_NS6detail17trampoline_kernelINS0_14default_configENS1_29reduce_by_key_config_selectorIflN6thrust23THRUST_200600_302600_NS4plusIlEEEEZZNS1_33reduce_by_key_impl_wrapped_configILNS1_25lookback_scan_determinismE0ES3_S9_PfNS6_17constant_iteratorIiNS6_11use_defaultESE_EENS6_10device_ptrIfEENSG_IlEEPmS8_NS6_8equal_toIfEEEE10hipError_tPvRmT2_T3_mT4_T5_T6_T7_T8_P12ihipStream_tbENKUlT_T0_E_clISt17integral_constantIbLb0EES13_EEDaSY_SZ_EUlSY_E_NS1_11comp_targetILNS1_3genE0ELNS1_11target_archE4294967295ELNS1_3gpuE0ELNS1_3repE0EEENS1_30default_config_static_selectorELNS0_4arch9wavefront6targetE1EEEvT1_
    .private_segment_fixed_size: 0
    .sgpr_count:     4
    .sgpr_spill_count: 0
    .symbol:         _ZN7rocprim17ROCPRIM_400000_NS6detail17trampoline_kernelINS0_14default_configENS1_29reduce_by_key_config_selectorIflN6thrust23THRUST_200600_302600_NS4plusIlEEEEZZNS1_33reduce_by_key_impl_wrapped_configILNS1_25lookback_scan_determinismE0ES3_S9_PfNS6_17constant_iteratorIiNS6_11use_defaultESE_EENS6_10device_ptrIfEENSG_IlEEPmS8_NS6_8equal_toIfEEEE10hipError_tPvRmT2_T3_mT4_T5_T6_T7_T8_P12ihipStream_tbENKUlT_T0_E_clISt17integral_constantIbLb0EES13_EEDaSY_SZ_EUlSY_E_NS1_11comp_targetILNS1_3genE0ELNS1_11target_archE4294967295ELNS1_3gpuE0ELNS1_3repE0EEENS1_30default_config_static_selectorELNS0_4arch9wavefront6targetE1EEEvT1_.kd
    .uniform_work_group_size: 1
    .uses_dynamic_stack: false
    .vgpr_count:     0
    .vgpr_spill_count: 0
    .wavefront_size: 64
  - .agpr_count:     0
    .args:
      - .offset:         0
        .size:           144
        .value_kind:     by_value
    .group_segment_fixed_size: 0
    .kernarg_segment_align: 8
    .kernarg_segment_size: 144
    .language:       OpenCL C
    .language_version:
      - 2
      - 0
    .max_flat_workgroup_size: 256
    .name:           _ZN7rocprim17ROCPRIM_400000_NS6detail17trampoline_kernelINS0_14default_configENS1_29reduce_by_key_config_selectorIflN6thrust23THRUST_200600_302600_NS4plusIlEEEEZZNS1_33reduce_by_key_impl_wrapped_configILNS1_25lookback_scan_determinismE0ES3_S9_PfNS6_17constant_iteratorIiNS6_11use_defaultESE_EENS6_10device_ptrIfEENSG_IlEEPmS8_NS6_8equal_toIfEEEE10hipError_tPvRmT2_T3_mT4_T5_T6_T7_T8_P12ihipStream_tbENKUlT_T0_E_clISt17integral_constantIbLb0EES13_EEDaSY_SZ_EUlSY_E_NS1_11comp_targetILNS1_3genE5ELNS1_11target_archE942ELNS1_3gpuE9ELNS1_3repE0EEENS1_30default_config_static_selectorELNS0_4arch9wavefront6targetE1EEEvT1_
    .private_segment_fixed_size: 0
    .sgpr_count:     4
    .sgpr_spill_count: 0
    .symbol:         _ZN7rocprim17ROCPRIM_400000_NS6detail17trampoline_kernelINS0_14default_configENS1_29reduce_by_key_config_selectorIflN6thrust23THRUST_200600_302600_NS4plusIlEEEEZZNS1_33reduce_by_key_impl_wrapped_configILNS1_25lookback_scan_determinismE0ES3_S9_PfNS6_17constant_iteratorIiNS6_11use_defaultESE_EENS6_10device_ptrIfEENSG_IlEEPmS8_NS6_8equal_toIfEEEE10hipError_tPvRmT2_T3_mT4_T5_T6_T7_T8_P12ihipStream_tbENKUlT_T0_E_clISt17integral_constantIbLb0EES13_EEDaSY_SZ_EUlSY_E_NS1_11comp_targetILNS1_3genE5ELNS1_11target_archE942ELNS1_3gpuE9ELNS1_3repE0EEENS1_30default_config_static_selectorELNS0_4arch9wavefront6targetE1EEEvT1_.kd
    .uniform_work_group_size: 1
    .uses_dynamic_stack: false
    .vgpr_count:     0
    .vgpr_spill_count: 0
    .wavefront_size: 64
  - .agpr_count:     0
    .args:
      - .offset:         0
        .size:           144
        .value_kind:     by_value
    .group_segment_fixed_size: 30720
    .kernarg_segment_align: 8
    .kernarg_segment_size: 144
    .language:       OpenCL C
    .language_version:
      - 2
      - 0
    .max_flat_workgroup_size: 256
    .name:           _ZN7rocprim17ROCPRIM_400000_NS6detail17trampoline_kernelINS0_14default_configENS1_29reduce_by_key_config_selectorIflN6thrust23THRUST_200600_302600_NS4plusIlEEEEZZNS1_33reduce_by_key_impl_wrapped_configILNS1_25lookback_scan_determinismE0ES3_S9_PfNS6_17constant_iteratorIiNS6_11use_defaultESE_EENS6_10device_ptrIfEENSG_IlEEPmS8_NS6_8equal_toIfEEEE10hipError_tPvRmT2_T3_mT4_T5_T6_T7_T8_P12ihipStream_tbENKUlT_T0_E_clISt17integral_constantIbLb0EES13_EEDaSY_SZ_EUlSY_E_NS1_11comp_targetILNS1_3genE4ELNS1_11target_archE910ELNS1_3gpuE8ELNS1_3repE0EEENS1_30default_config_static_selectorELNS0_4arch9wavefront6targetE1EEEvT1_
    .private_segment_fixed_size: 0
    .sgpr_count:     66
    .sgpr_spill_count: 0
    .symbol:         _ZN7rocprim17ROCPRIM_400000_NS6detail17trampoline_kernelINS0_14default_configENS1_29reduce_by_key_config_selectorIflN6thrust23THRUST_200600_302600_NS4plusIlEEEEZZNS1_33reduce_by_key_impl_wrapped_configILNS1_25lookback_scan_determinismE0ES3_S9_PfNS6_17constant_iteratorIiNS6_11use_defaultESE_EENS6_10device_ptrIfEENSG_IlEEPmS8_NS6_8equal_toIfEEEE10hipError_tPvRmT2_T3_mT4_T5_T6_T7_T8_P12ihipStream_tbENKUlT_T0_E_clISt17integral_constantIbLb0EES13_EEDaSY_SZ_EUlSY_E_NS1_11comp_targetILNS1_3genE4ELNS1_11target_archE910ELNS1_3gpuE8ELNS1_3repE0EEENS1_30default_config_static_selectorELNS0_4arch9wavefront6targetE1EEEvT1_.kd
    .uniform_work_group_size: 1
    .uses_dynamic_stack: false
    .vgpr_count:     122
    .vgpr_spill_count: 0
    .wavefront_size: 64
  - .agpr_count:     0
    .args:
      - .offset:         0
        .size:           144
        .value_kind:     by_value
    .group_segment_fixed_size: 0
    .kernarg_segment_align: 8
    .kernarg_segment_size: 144
    .language:       OpenCL C
    .language_version:
      - 2
      - 0
    .max_flat_workgroup_size: 256
    .name:           _ZN7rocprim17ROCPRIM_400000_NS6detail17trampoline_kernelINS0_14default_configENS1_29reduce_by_key_config_selectorIflN6thrust23THRUST_200600_302600_NS4plusIlEEEEZZNS1_33reduce_by_key_impl_wrapped_configILNS1_25lookback_scan_determinismE0ES3_S9_PfNS6_17constant_iteratorIiNS6_11use_defaultESE_EENS6_10device_ptrIfEENSG_IlEEPmS8_NS6_8equal_toIfEEEE10hipError_tPvRmT2_T3_mT4_T5_T6_T7_T8_P12ihipStream_tbENKUlT_T0_E_clISt17integral_constantIbLb0EES13_EEDaSY_SZ_EUlSY_E_NS1_11comp_targetILNS1_3genE3ELNS1_11target_archE908ELNS1_3gpuE7ELNS1_3repE0EEENS1_30default_config_static_selectorELNS0_4arch9wavefront6targetE1EEEvT1_
    .private_segment_fixed_size: 0
    .sgpr_count:     4
    .sgpr_spill_count: 0
    .symbol:         _ZN7rocprim17ROCPRIM_400000_NS6detail17trampoline_kernelINS0_14default_configENS1_29reduce_by_key_config_selectorIflN6thrust23THRUST_200600_302600_NS4plusIlEEEEZZNS1_33reduce_by_key_impl_wrapped_configILNS1_25lookback_scan_determinismE0ES3_S9_PfNS6_17constant_iteratorIiNS6_11use_defaultESE_EENS6_10device_ptrIfEENSG_IlEEPmS8_NS6_8equal_toIfEEEE10hipError_tPvRmT2_T3_mT4_T5_T6_T7_T8_P12ihipStream_tbENKUlT_T0_E_clISt17integral_constantIbLb0EES13_EEDaSY_SZ_EUlSY_E_NS1_11comp_targetILNS1_3genE3ELNS1_11target_archE908ELNS1_3gpuE7ELNS1_3repE0EEENS1_30default_config_static_selectorELNS0_4arch9wavefront6targetE1EEEvT1_.kd
    .uniform_work_group_size: 1
    .uses_dynamic_stack: false
    .vgpr_count:     0
    .vgpr_spill_count: 0
    .wavefront_size: 64
  - .agpr_count:     0
    .args:
      - .offset:         0
        .size:           144
        .value_kind:     by_value
    .group_segment_fixed_size: 0
    .kernarg_segment_align: 8
    .kernarg_segment_size: 144
    .language:       OpenCL C
    .language_version:
      - 2
      - 0
    .max_flat_workgroup_size: 256
    .name:           _ZN7rocprim17ROCPRIM_400000_NS6detail17trampoline_kernelINS0_14default_configENS1_29reduce_by_key_config_selectorIflN6thrust23THRUST_200600_302600_NS4plusIlEEEEZZNS1_33reduce_by_key_impl_wrapped_configILNS1_25lookback_scan_determinismE0ES3_S9_PfNS6_17constant_iteratorIiNS6_11use_defaultESE_EENS6_10device_ptrIfEENSG_IlEEPmS8_NS6_8equal_toIfEEEE10hipError_tPvRmT2_T3_mT4_T5_T6_T7_T8_P12ihipStream_tbENKUlT_T0_E_clISt17integral_constantIbLb0EES13_EEDaSY_SZ_EUlSY_E_NS1_11comp_targetILNS1_3genE2ELNS1_11target_archE906ELNS1_3gpuE6ELNS1_3repE0EEENS1_30default_config_static_selectorELNS0_4arch9wavefront6targetE1EEEvT1_
    .private_segment_fixed_size: 0
    .sgpr_count:     4
    .sgpr_spill_count: 0
    .symbol:         _ZN7rocprim17ROCPRIM_400000_NS6detail17trampoline_kernelINS0_14default_configENS1_29reduce_by_key_config_selectorIflN6thrust23THRUST_200600_302600_NS4plusIlEEEEZZNS1_33reduce_by_key_impl_wrapped_configILNS1_25lookback_scan_determinismE0ES3_S9_PfNS6_17constant_iteratorIiNS6_11use_defaultESE_EENS6_10device_ptrIfEENSG_IlEEPmS8_NS6_8equal_toIfEEEE10hipError_tPvRmT2_T3_mT4_T5_T6_T7_T8_P12ihipStream_tbENKUlT_T0_E_clISt17integral_constantIbLb0EES13_EEDaSY_SZ_EUlSY_E_NS1_11comp_targetILNS1_3genE2ELNS1_11target_archE906ELNS1_3gpuE6ELNS1_3repE0EEENS1_30default_config_static_selectorELNS0_4arch9wavefront6targetE1EEEvT1_.kd
    .uniform_work_group_size: 1
    .uses_dynamic_stack: false
    .vgpr_count:     0
    .vgpr_spill_count: 0
    .wavefront_size: 64
  - .agpr_count:     0
    .args:
      - .offset:         0
        .size:           144
        .value_kind:     by_value
    .group_segment_fixed_size: 0
    .kernarg_segment_align: 8
    .kernarg_segment_size: 144
    .language:       OpenCL C
    .language_version:
      - 2
      - 0
    .max_flat_workgroup_size: 256
    .name:           _ZN7rocprim17ROCPRIM_400000_NS6detail17trampoline_kernelINS0_14default_configENS1_29reduce_by_key_config_selectorIflN6thrust23THRUST_200600_302600_NS4plusIlEEEEZZNS1_33reduce_by_key_impl_wrapped_configILNS1_25lookback_scan_determinismE0ES3_S9_PfNS6_17constant_iteratorIiNS6_11use_defaultESE_EENS6_10device_ptrIfEENSG_IlEEPmS8_NS6_8equal_toIfEEEE10hipError_tPvRmT2_T3_mT4_T5_T6_T7_T8_P12ihipStream_tbENKUlT_T0_E_clISt17integral_constantIbLb0EES13_EEDaSY_SZ_EUlSY_E_NS1_11comp_targetILNS1_3genE10ELNS1_11target_archE1201ELNS1_3gpuE5ELNS1_3repE0EEENS1_30default_config_static_selectorELNS0_4arch9wavefront6targetE1EEEvT1_
    .private_segment_fixed_size: 0
    .sgpr_count:     4
    .sgpr_spill_count: 0
    .symbol:         _ZN7rocprim17ROCPRIM_400000_NS6detail17trampoline_kernelINS0_14default_configENS1_29reduce_by_key_config_selectorIflN6thrust23THRUST_200600_302600_NS4plusIlEEEEZZNS1_33reduce_by_key_impl_wrapped_configILNS1_25lookback_scan_determinismE0ES3_S9_PfNS6_17constant_iteratorIiNS6_11use_defaultESE_EENS6_10device_ptrIfEENSG_IlEEPmS8_NS6_8equal_toIfEEEE10hipError_tPvRmT2_T3_mT4_T5_T6_T7_T8_P12ihipStream_tbENKUlT_T0_E_clISt17integral_constantIbLb0EES13_EEDaSY_SZ_EUlSY_E_NS1_11comp_targetILNS1_3genE10ELNS1_11target_archE1201ELNS1_3gpuE5ELNS1_3repE0EEENS1_30default_config_static_selectorELNS0_4arch9wavefront6targetE1EEEvT1_.kd
    .uniform_work_group_size: 1
    .uses_dynamic_stack: false
    .vgpr_count:     0
    .vgpr_spill_count: 0
    .wavefront_size: 64
  - .agpr_count:     0
    .args:
      - .offset:         0
        .size:           144
        .value_kind:     by_value
    .group_segment_fixed_size: 0
    .kernarg_segment_align: 8
    .kernarg_segment_size: 144
    .language:       OpenCL C
    .language_version:
      - 2
      - 0
    .max_flat_workgroup_size: 256
    .name:           _ZN7rocprim17ROCPRIM_400000_NS6detail17trampoline_kernelINS0_14default_configENS1_29reduce_by_key_config_selectorIflN6thrust23THRUST_200600_302600_NS4plusIlEEEEZZNS1_33reduce_by_key_impl_wrapped_configILNS1_25lookback_scan_determinismE0ES3_S9_PfNS6_17constant_iteratorIiNS6_11use_defaultESE_EENS6_10device_ptrIfEENSG_IlEEPmS8_NS6_8equal_toIfEEEE10hipError_tPvRmT2_T3_mT4_T5_T6_T7_T8_P12ihipStream_tbENKUlT_T0_E_clISt17integral_constantIbLb0EES13_EEDaSY_SZ_EUlSY_E_NS1_11comp_targetILNS1_3genE10ELNS1_11target_archE1200ELNS1_3gpuE4ELNS1_3repE0EEENS1_30default_config_static_selectorELNS0_4arch9wavefront6targetE1EEEvT1_
    .private_segment_fixed_size: 0
    .sgpr_count:     4
    .sgpr_spill_count: 0
    .symbol:         _ZN7rocprim17ROCPRIM_400000_NS6detail17trampoline_kernelINS0_14default_configENS1_29reduce_by_key_config_selectorIflN6thrust23THRUST_200600_302600_NS4plusIlEEEEZZNS1_33reduce_by_key_impl_wrapped_configILNS1_25lookback_scan_determinismE0ES3_S9_PfNS6_17constant_iteratorIiNS6_11use_defaultESE_EENS6_10device_ptrIfEENSG_IlEEPmS8_NS6_8equal_toIfEEEE10hipError_tPvRmT2_T3_mT4_T5_T6_T7_T8_P12ihipStream_tbENKUlT_T0_E_clISt17integral_constantIbLb0EES13_EEDaSY_SZ_EUlSY_E_NS1_11comp_targetILNS1_3genE10ELNS1_11target_archE1200ELNS1_3gpuE4ELNS1_3repE0EEENS1_30default_config_static_selectorELNS0_4arch9wavefront6targetE1EEEvT1_.kd
    .uniform_work_group_size: 1
    .uses_dynamic_stack: false
    .vgpr_count:     0
    .vgpr_spill_count: 0
    .wavefront_size: 64
  - .agpr_count:     0
    .args:
      - .offset:         0
        .size:           144
        .value_kind:     by_value
    .group_segment_fixed_size: 0
    .kernarg_segment_align: 8
    .kernarg_segment_size: 144
    .language:       OpenCL C
    .language_version:
      - 2
      - 0
    .max_flat_workgroup_size: 256
    .name:           _ZN7rocprim17ROCPRIM_400000_NS6detail17trampoline_kernelINS0_14default_configENS1_29reduce_by_key_config_selectorIflN6thrust23THRUST_200600_302600_NS4plusIlEEEEZZNS1_33reduce_by_key_impl_wrapped_configILNS1_25lookback_scan_determinismE0ES3_S9_PfNS6_17constant_iteratorIiNS6_11use_defaultESE_EENS6_10device_ptrIfEENSG_IlEEPmS8_NS6_8equal_toIfEEEE10hipError_tPvRmT2_T3_mT4_T5_T6_T7_T8_P12ihipStream_tbENKUlT_T0_E_clISt17integral_constantIbLb0EES13_EEDaSY_SZ_EUlSY_E_NS1_11comp_targetILNS1_3genE9ELNS1_11target_archE1100ELNS1_3gpuE3ELNS1_3repE0EEENS1_30default_config_static_selectorELNS0_4arch9wavefront6targetE1EEEvT1_
    .private_segment_fixed_size: 0
    .sgpr_count:     4
    .sgpr_spill_count: 0
    .symbol:         _ZN7rocprim17ROCPRIM_400000_NS6detail17trampoline_kernelINS0_14default_configENS1_29reduce_by_key_config_selectorIflN6thrust23THRUST_200600_302600_NS4plusIlEEEEZZNS1_33reduce_by_key_impl_wrapped_configILNS1_25lookback_scan_determinismE0ES3_S9_PfNS6_17constant_iteratorIiNS6_11use_defaultESE_EENS6_10device_ptrIfEENSG_IlEEPmS8_NS6_8equal_toIfEEEE10hipError_tPvRmT2_T3_mT4_T5_T6_T7_T8_P12ihipStream_tbENKUlT_T0_E_clISt17integral_constantIbLb0EES13_EEDaSY_SZ_EUlSY_E_NS1_11comp_targetILNS1_3genE9ELNS1_11target_archE1100ELNS1_3gpuE3ELNS1_3repE0EEENS1_30default_config_static_selectorELNS0_4arch9wavefront6targetE1EEEvT1_.kd
    .uniform_work_group_size: 1
    .uses_dynamic_stack: false
    .vgpr_count:     0
    .vgpr_spill_count: 0
    .wavefront_size: 64
  - .agpr_count:     0
    .args:
      - .offset:         0
        .size:           144
        .value_kind:     by_value
    .group_segment_fixed_size: 0
    .kernarg_segment_align: 8
    .kernarg_segment_size: 144
    .language:       OpenCL C
    .language_version:
      - 2
      - 0
    .max_flat_workgroup_size: 256
    .name:           _ZN7rocprim17ROCPRIM_400000_NS6detail17trampoline_kernelINS0_14default_configENS1_29reduce_by_key_config_selectorIflN6thrust23THRUST_200600_302600_NS4plusIlEEEEZZNS1_33reduce_by_key_impl_wrapped_configILNS1_25lookback_scan_determinismE0ES3_S9_PfNS6_17constant_iteratorIiNS6_11use_defaultESE_EENS6_10device_ptrIfEENSG_IlEEPmS8_NS6_8equal_toIfEEEE10hipError_tPvRmT2_T3_mT4_T5_T6_T7_T8_P12ihipStream_tbENKUlT_T0_E_clISt17integral_constantIbLb0EES13_EEDaSY_SZ_EUlSY_E_NS1_11comp_targetILNS1_3genE8ELNS1_11target_archE1030ELNS1_3gpuE2ELNS1_3repE0EEENS1_30default_config_static_selectorELNS0_4arch9wavefront6targetE1EEEvT1_
    .private_segment_fixed_size: 0
    .sgpr_count:     4
    .sgpr_spill_count: 0
    .symbol:         _ZN7rocprim17ROCPRIM_400000_NS6detail17trampoline_kernelINS0_14default_configENS1_29reduce_by_key_config_selectorIflN6thrust23THRUST_200600_302600_NS4plusIlEEEEZZNS1_33reduce_by_key_impl_wrapped_configILNS1_25lookback_scan_determinismE0ES3_S9_PfNS6_17constant_iteratorIiNS6_11use_defaultESE_EENS6_10device_ptrIfEENSG_IlEEPmS8_NS6_8equal_toIfEEEE10hipError_tPvRmT2_T3_mT4_T5_T6_T7_T8_P12ihipStream_tbENKUlT_T0_E_clISt17integral_constantIbLb0EES13_EEDaSY_SZ_EUlSY_E_NS1_11comp_targetILNS1_3genE8ELNS1_11target_archE1030ELNS1_3gpuE2ELNS1_3repE0EEENS1_30default_config_static_selectorELNS0_4arch9wavefront6targetE1EEEvT1_.kd
    .uniform_work_group_size: 1
    .uses_dynamic_stack: false
    .vgpr_count:     0
    .vgpr_spill_count: 0
    .wavefront_size: 64
  - .agpr_count:     0
    .args:
      - .offset:         0
        .size:           144
        .value_kind:     by_value
    .group_segment_fixed_size: 0
    .kernarg_segment_align: 8
    .kernarg_segment_size: 144
    .language:       OpenCL C
    .language_version:
      - 2
      - 0
    .max_flat_workgroup_size: 256
    .name:           _ZN7rocprim17ROCPRIM_400000_NS6detail17trampoline_kernelINS0_14default_configENS1_29reduce_by_key_config_selectorIflN6thrust23THRUST_200600_302600_NS4plusIlEEEEZZNS1_33reduce_by_key_impl_wrapped_configILNS1_25lookback_scan_determinismE0ES3_S9_PfNS6_17constant_iteratorIiNS6_11use_defaultESE_EENS6_10device_ptrIfEENSG_IlEEPmS8_NS6_8equal_toIfEEEE10hipError_tPvRmT2_T3_mT4_T5_T6_T7_T8_P12ihipStream_tbENKUlT_T0_E_clISt17integral_constantIbLb1EES13_EEDaSY_SZ_EUlSY_E_NS1_11comp_targetILNS1_3genE0ELNS1_11target_archE4294967295ELNS1_3gpuE0ELNS1_3repE0EEENS1_30default_config_static_selectorELNS0_4arch9wavefront6targetE1EEEvT1_
    .private_segment_fixed_size: 0
    .sgpr_count:     4
    .sgpr_spill_count: 0
    .symbol:         _ZN7rocprim17ROCPRIM_400000_NS6detail17trampoline_kernelINS0_14default_configENS1_29reduce_by_key_config_selectorIflN6thrust23THRUST_200600_302600_NS4plusIlEEEEZZNS1_33reduce_by_key_impl_wrapped_configILNS1_25lookback_scan_determinismE0ES3_S9_PfNS6_17constant_iteratorIiNS6_11use_defaultESE_EENS6_10device_ptrIfEENSG_IlEEPmS8_NS6_8equal_toIfEEEE10hipError_tPvRmT2_T3_mT4_T5_T6_T7_T8_P12ihipStream_tbENKUlT_T0_E_clISt17integral_constantIbLb1EES13_EEDaSY_SZ_EUlSY_E_NS1_11comp_targetILNS1_3genE0ELNS1_11target_archE4294967295ELNS1_3gpuE0ELNS1_3repE0EEENS1_30default_config_static_selectorELNS0_4arch9wavefront6targetE1EEEvT1_.kd
    .uniform_work_group_size: 1
    .uses_dynamic_stack: false
    .vgpr_count:     0
    .vgpr_spill_count: 0
    .wavefront_size: 64
  - .agpr_count:     0
    .args:
      - .offset:         0
        .size:           144
        .value_kind:     by_value
    .group_segment_fixed_size: 0
    .kernarg_segment_align: 8
    .kernarg_segment_size: 144
    .language:       OpenCL C
    .language_version:
      - 2
      - 0
    .max_flat_workgroup_size: 256
    .name:           _ZN7rocprim17ROCPRIM_400000_NS6detail17trampoline_kernelINS0_14default_configENS1_29reduce_by_key_config_selectorIflN6thrust23THRUST_200600_302600_NS4plusIlEEEEZZNS1_33reduce_by_key_impl_wrapped_configILNS1_25lookback_scan_determinismE0ES3_S9_PfNS6_17constant_iteratorIiNS6_11use_defaultESE_EENS6_10device_ptrIfEENSG_IlEEPmS8_NS6_8equal_toIfEEEE10hipError_tPvRmT2_T3_mT4_T5_T6_T7_T8_P12ihipStream_tbENKUlT_T0_E_clISt17integral_constantIbLb1EES13_EEDaSY_SZ_EUlSY_E_NS1_11comp_targetILNS1_3genE5ELNS1_11target_archE942ELNS1_3gpuE9ELNS1_3repE0EEENS1_30default_config_static_selectorELNS0_4arch9wavefront6targetE1EEEvT1_
    .private_segment_fixed_size: 0
    .sgpr_count:     4
    .sgpr_spill_count: 0
    .symbol:         _ZN7rocprim17ROCPRIM_400000_NS6detail17trampoline_kernelINS0_14default_configENS1_29reduce_by_key_config_selectorIflN6thrust23THRUST_200600_302600_NS4plusIlEEEEZZNS1_33reduce_by_key_impl_wrapped_configILNS1_25lookback_scan_determinismE0ES3_S9_PfNS6_17constant_iteratorIiNS6_11use_defaultESE_EENS6_10device_ptrIfEENSG_IlEEPmS8_NS6_8equal_toIfEEEE10hipError_tPvRmT2_T3_mT4_T5_T6_T7_T8_P12ihipStream_tbENKUlT_T0_E_clISt17integral_constantIbLb1EES13_EEDaSY_SZ_EUlSY_E_NS1_11comp_targetILNS1_3genE5ELNS1_11target_archE942ELNS1_3gpuE9ELNS1_3repE0EEENS1_30default_config_static_selectorELNS0_4arch9wavefront6targetE1EEEvT1_.kd
    .uniform_work_group_size: 1
    .uses_dynamic_stack: false
    .vgpr_count:     0
    .vgpr_spill_count: 0
    .wavefront_size: 64
  - .agpr_count:     0
    .args:
      - .offset:         0
        .size:           144
        .value_kind:     by_value
    .group_segment_fixed_size: 30720
    .kernarg_segment_align: 8
    .kernarg_segment_size: 144
    .language:       OpenCL C
    .language_version:
      - 2
      - 0
    .max_flat_workgroup_size: 256
    .name:           _ZN7rocprim17ROCPRIM_400000_NS6detail17trampoline_kernelINS0_14default_configENS1_29reduce_by_key_config_selectorIflN6thrust23THRUST_200600_302600_NS4plusIlEEEEZZNS1_33reduce_by_key_impl_wrapped_configILNS1_25lookback_scan_determinismE0ES3_S9_PfNS6_17constant_iteratorIiNS6_11use_defaultESE_EENS6_10device_ptrIfEENSG_IlEEPmS8_NS6_8equal_toIfEEEE10hipError_tPvRmT2_T3_mT4_T5_T6_T7_T8_P12ihipStream_tbENKUlT_T0_E_clISt17integral_constantIbLb1EES13_EEDaSY_SZ_EUlSY_E_NS1_11comp_targetILNS1_3genE4ELNS1_11target_archE910ELNS1_3gpuE8ELNS1_3repE0EEENS1_30default_config_static_selectorELNS0_4arch9wavefront6targetE1EEEvT1_
    .private_segment_fixed_size: 0
    .sgpr_count:     68
    .sgpr_spill_count: 0
    .symbol:         _ZN7rocprim17ROCPRIM_400000_NS6detail17trampoline_kernelINS0_14default_configENS1_29reduce_by_key_config_selectorIflN6thrust23THRUST_200600_302600_NS4plusIlEEEEZZNS1_33reduce_by_key_impl_wrapped_configILNS1_25lookback_scan_determinismE0ES3_S9_PfNS6_17constant_iteratorIiNS6_11use_defaultESE_EENS6_10device_ptrIfEENSG_IlEEPmS8_NS6_8equal_toIfEEEE10hipError_tPvRmT2_T3_mT4_T5_T6_T7_T8_P12ihipStream_tbENKUlT_T0_E_clISt17integral_constantIbLb1EES13_EEDaSY_SZ_EUlSY_E_NS1_11comp_targetILNS1_3genE4ELNS1_11target_archE910ELNS1_3gpuE8ELNS1_3repE0EEENS1_30default_config_static_selectorELNS0_4arch9wavefront6targetE1EEEvT1_.kd
    .uniform_work_group_size: 1
    .uses_dynamic_stack: false
    .vgpr_count:     122
    .vgpr_spill_count: 0
    .wavefront_size: 64
  - .agpr_count:     0
    .args:
      - .offset:         0
        .size:           144
        .value_kind:     by_value
    .group_segment_fixed_size: 0
    .kernarg_segment_align: 8
    .kernarg_segment_size: 144
    .language:       OpenCL C
    .language_version:
      - 2
      - 0
    .max_flat_workgroup_size: 256
    .name:           _ZN7rocprim17ROCPRIM_400000_NS6detail17trampoline_kernelINS0_14default_configENS1_29reduce_by_key_config_selectorIflN6thrust23THRUST_200600_302600_NS4plusIlEEEEZZNS1_33reduce_by_key_impl_wrapped_configILNS1_25lookback_scan_determinismE0ES3_S9_PfNS6_17constant_iteratorIiNS6_11use_defaultESE_EENS6_10device_ptrIfEENSG_IlEEPmS8_NS6_8equal_toIfEEEE10hipError_tPvRmT2_T3_mT4_T5_T6_T7_T8_P12ihipStream_tbENKUlT_T0_E_clISt17integral_constantIbLb1EES13_EEDaSY_SZ_EUlSY_E_NS1_11comp_targetILNS1_3genE3ELNS1_11target_archE908ELNS1_3gpuE7ELNS1_3repE0EEENS1_30default_config_static_selectorELNS0_4arch9wavefront6targetE1EEEvT1_
    .private_segment_fixed_size: 0
    .sgpr_count:     4
    .sgpr_spill_count: 0
    .symbol:         _ZN7rocprim17ROCPRIM_400000_NS6detail17trampoline_kernelINS0_14default_configENS1_29reduce_by_key_config_selectorIflN6thrust23THRUST_200600_302600_NS4plusIlEEEEZZNS1_33reduce_by_key_impl_wrapped_configILNS1_25lookback_scan_determinismE0ES3_S9_PfNS6_17constant_iteratorIiNS6_11use_defaultESE_EENS6_10device_ptrIfEENSG_IlEEPmS8_NS6_8equal_toIfEEEE10hipError_tPvRmT2_T3_mT4_T5_T6_T7_T8_P12ihipStream_tbENKUlT_T0_E_clISt17integral_constantIbLb1EES13_EEDaSY_SZ_EUlSY_E_NS1_11comp_targetILNS1_3genE3ELNS1_11target_archE908ELNS1_3gpuE7ELNS1_3repE0EEENS1_30default_config_static_selectorELNS0_4arch9wavefront6targetE1EEEvT1_.kd
    .uniform_work_group_size: 1
    .uses_dynamic_stack: false
    .vgpr_count:     0
    .vgpr_spill_count: 0
    .wavefront_size: 64
  - .agpr_count:     0
    .args:
      - .offset:         0
        .size:           144
        .value_kind:     by_value
    .group_segment_fixed_size: 0
    .kernarg_segment_align: 8
    .kernarg_segment_size: 144
    .language:       OpenCL C
    .language_version:
      - 2
      - 0
    .max_flat_workgroup_size: 256
    .name:           _ZN7rocprim17ROCPRIM_400000_NS6detail17trampoline_kernelINS0_14default_configENS1_29reduce_by_key_config_selectorIflN6thrust23THRUST_200600_302600_NS4plusIlEEEEZZNS1_33reduce_by_key_impl_wrapped_configILNS1_25lookback_scan_determinismE0ES3_S9_PfNS6_17constant_iteratorIiNS6_11use_defaultESE_EENS6_10device_ptrIfEENSG_IlEEPmS8_NS6_8equal_toIfEEEE10hipError_tPvRmT2_T3_mT4_T5_T6_T7_T8_P12ihipStream_tbENKUlT_T0_E_clISt17integral_constantIbLb1EES13_EEDaSY_SZ_EUlSY_E_NS1_11comp_targetILNS1_3genE2ELNS1_11target_archE906ELNS1_3gpuE6ELNS1_3repE0EEENS1_30default_config_static_selectorELNS0_4arch9wavefront6targetE1EEEvT1_
    .private_segment_fixed_size: 0
    .sgpr_count:     4
    .sgpr_spill_count: 0
    .symbol:         _ZN7rocprim17ROCPRIM_400000_NS6detail17trampoline_kernelINS0_14default_configENS1_29reduce_by_key_config_selectorIflN6thrust23THRUST_200600_302600_NS4plusIlEEEEZZNS1_33reduce_by_key_impl_wrapped_configILNS1_25lookback_scan_determinismE0ES3_S9_PfNS6_17constant_iteratorIiNS6_11use_defaultESE_EENS6_10device_ptrIfEENSG_IlEEPmS8_NS6_8equal_toIfEEEE10hipError_tPvRmT2_T3_mT4_T5_T6_T7_T8_P12ihipStream_tbENKUlT_T0_E_clISt17integral_constantIbLb1EES13_EEDaSY_SZ_EUlSY_E_NS1_11comp_targetILNS1_3genE2ELNS1_11target_archE906ELNS1_3gpuE6ELNS1_3repE0EEENS1_30default_config_static_selectorELNS0_4arch9wavefront6targetE1EEEvT1_.kd
    .uniform_work_group_size: 1
    .uses_dynamic_stack: false
    .vgpr_count:     0
    .vgpr_spill_count: 0
    .wavefront_size: 64
  - .agpr_count:     0
    .args:
      - .offset:         0
        .size:           144
        .value_kind:     by_value
    .group_segment_fixed_size: 0
    .kernarg_segment_align: 8
    .kernarg_segment_size: 144
    .language:       OpenCL C
    .language_version:
      - 2
      - 0
    .max_flat_workgroup_size: 256
    .name:           _ZN7rocprim17ROCPRIM_400000_NS6detail17trampoline_kernelINS0_14default_configENS1_29reduce_by_key_config_selectorIflN6thrust23THRUST_200600_302600_NS4plusIlEEEEZZNS1_33reduce_by_key_impl_wrapped_configILNS1_25lookback_scan_determinismE0ES3_S9_PfNS6_17constant_iteratorIiNS6_11use_defaultESE_EENS6_10device_ptrIfEENSG_IlEEPmS8_NS6_8equal_toIfEEEE10hipError_tPvRmT2_T3_mT4_T5_T6_T7_T8_P12ihipStream_tbENKUlT_T0_E_clISt17integral_constantIbLb1EES13_EEDaSY_SZ_EUlSY_E_NS1_11comp_targetILNS1_3genE10ELNS1_11target_archE1201ELNS1_3gpuE5ELNS1_3repE0EEENS1_30default_config_static_selectorELNS0_4arch9wavefront6targetE1EEEvT1_
    .private_segment_fixed_size: 0
    .sgpr_count:     4
    .sgpr_spill_count: 0
    .symbol:         _ZN7rocprim17ROCPRIM_400000_NS6detail17trampoline_kernelINS0_14default_configENS1_29reduce_by_key_config_selectorIflN6thrust23THRUST_200600_302600_NS4plusIlEEEEZZNS1_33reduce_by_key_impl_wrapped_configILNS1_25lookback_scan_determinismE0ES3_S9_PfNS6_17constant_iteratorIiNS6_11use_defaultESE_EENS6_10device_ptrIfEENSG_IlEEPmS8_NS6_8equal_toIfEEEE10hipError_tPvRmT2_T3_mT4_T5_T6_T7_T8_P12ihipStream_tbENKUlT_T0_E_clISt17integral_constantIbLb1EES13_EEDaSY_SZ_EUlSY_E_NS1_11comp_targetILNS1_3genE10ELNS1_11target_archE1201ELNS1_3gpuE5ELNS1_3repE0EEENS1_30default_config_static_selectorELNS0_4arch9wavefront6targetE1EEEvT1_.kd
    .uniform_work_group_size: 1
    .uses_dynamic_stack: false
    .vgpr_count:     0
    .vgpr_spill_count: 0
    .wavefront_size: 64
  - .agpr_count:     0
    .args:
      - .offset:         0
        .size:           144
        .value_kind:     by_value
    .group_segment_fixed_size: 0
    .kernarg_segment_align: 8
    .kernarg_segment_size: 144
    .language:       OpenCL C
    .language_version:
      - 2
      - 0
    .max_flat_workgroup_size: 256
    .name:           _ZN7rocprim17ROCPRIM_400000_NS6detail17trampoline_kernelINS0_14default_configENS1_29reduce_by_key_config_selectorIflN6thrust23THRUST_200600_302600_NS4plusIlEEEEZZNS1_33reduce_by_key_impl_wrapped_configILNS1_25lookback_scan_determinismE0ES3_S9_PfNS6_17constant_iteratorIiNS6_11use_defaultESE_EENS6_10device_ptrIfEENSG_IlEEPmS8_NS6_8equal_toIfEEEE10hipError_tPvRmT2_T3_mT4_T5_T6_T7_T8_P12ihipStream_tbENKUlT_T0_E_clISt17integral_constantIbLb1EES13_EEDaSY_SZ_EUlSY_E_NS1_11comp_targetILNS1_3genE10ELNS1_11target_archE1200ELNS1_3gpuE4ELNS1_3repE0EEENS1_30default_config_static_selectorELNS0_4arch9wavefront6targetE1EEEvT1_
    .private_segment_fixed_size: 0
    .sgpr_count:     4
    .sgpr_spill_count: 0
    .symbol:         _ZN7rocprim17ROCPRIM_400000_NS6detail17trampoline_kernelINS0_14default_configENS1_29reduce_by_key_config_selectorIflN6thrust23THRUST_200600_302600_NS4plusIlEEEEZZNS1_33reduce_by_key_impl_wrapped_configILNS1_25lookback_scan_determinismE0ES3_S9_PfNS6_17constant_iteratorIiNS6_11use_defaultESE_EENS6_10device_ptrIfEENSG_IlEEPmS8_NS6_8equal_toIfEEEE10hipError_tPvRmT2_T3_mT4_T5_T6_T7_T8_P12ihipStream_tbENKUlT_T0_E_clISt17integral_constantIbLb1EES13_EEDaSY_SZ_EUlSY_E_NS1_11comp_targetILNS1_3genE10ELNS1_11target_archE1200ELNS1_3gpuE4ELNS1_3repE0EEENS1_30default_config_static_selectorELNS0_4arch9wavefront6targetE1EEEvT1_.kd
    .uniform_work_group_size: 1
    .uses_dynamic_stack: false
    .vgpr_count:     0
    .vgpr_spill_count: 0
    .wavefront_size: 64
  - .agpr_count:     0
    .args:
      - .offset:         0
        .size:           144
        .value_kind:     by_value
    .group_segment_fixed_size: 0
    .kernarg_segment_align: 8
    .kernarg_segment_size: 144
    .language:       OpenCL C
    .language_version:
      - 2
      - 0
    .max_flat_workgroup_size: 256
    .name:           _ZN7rocprim17ROCPRIM_400000_NS6detail17trampoline_kernelINS0_14default_configENS1_29reduce_by_key_config_selectorIflN6thrust23THRUST_200600_302600_NS4plusIlEEEEZZNS1_33reduce_by_key_impl_wrapped_configILNS1_25lookback_scan_determinismE0ES3_S9_PfNS6_17constant_iteratorIiNS6_11use_defaultESE_EENS6_10device_ptrIfEENSG_IlEEPmS8_NS6_8equal_toIfEEEE10hipError_tPvRmT2_T3_mT4_T5_T6_T7_T8_P12ihipStream_tbENKUlT_T0_E_clISt17integral_constantIbLb1EES13_EEDaSY_SZ_EUlSY_E_NS1_11comp_targetILNS1_3genE9ELNS1_11target_archE1100ELNS1_3gpuE3ELNS1_3repE0EEENS1_30default_config_static_selectorELNS0_4arch9wavefront6targetE1EEEvT1_
    .private_segment_fixed_size: 0
    .sgpr_count:     4
    .sgpr_spill_count: 0
    .symbol:         _ZN7rocprim17ROCPRIM_400000_NS6detail17trampoline_kernelINS0_14default_configENS1_29reduce_by_key_config_selectorIflN6thrust23THRUST_200600_302600_NS4plusIlEEEEZZNS1_33reduce_by_key_impl_wrapped_configILNS1_25lookback_scan_determinismE0ES3_S9_PfNS6_17constant_iteratorIiNS6_11use_defaultESE_EENS6_10device_ptrIfEENSG_IlEEPmS8_NS6_8equal_toIfEEEE10hipError_tPvRmT2_T3_mT4_T5_T6_T7_T8_P12ihipStream_tbENKUlT_T0_E_clISt17integral_constantIbLb1EES13_EEDaSY_SZ_EUlSY_E_NS1_11comp_targetILNS1_3genE9ELNS1_11target_archE1100ELNS1_3gpuE3ELNS1_3repE0EEENS1_30default_config_static_selectorELNS0_4arch9wavefront6targetE1EEEvT1_.kd
    .uniform_work_group_size: 1
    .uses_dynamic_stack: false
    .vgpr_count:     0
    .vgpr_spill_count: 0
    .wavefront_size: 64
  - .agpr_count:     0
    .args:
      - .offset:         0
        .size:           144
        .value_kind:     by_value
    .group_segment_fixed_size: 0
    .kernarg_segment_align: 8
    .kernarg_segment_size: 144
    .language:       OpenCL C
    .language_version:
      - 2
      - 0
    .max_flat_workgroup_size: 256
    .name:           _ZN7rocprim17ROCPRIM_400000_NS6detail17trampoline_kernelINS0_14default_configENS1_29reduce_by_key_config_selectorIflN6thrust23THRUST_200600_302600_NS4plusIlEEEEZZNS1_33reduce_by_key_impl_wrapped_configILNS1_25lookback_scan_determinismE0ES3_S9_PfNS6_17constant_iteratorIiNS6_11use_defaultESE_EENS6_10device_ptrIfEENSG_IlEEPmS8_NS6_8equal_toIfEEEE10hipError_tPvRmT2_T3_mT4_T5_T6_T7_T8_P12ihipStream_tbENKUlT_T0_E_clISt17integral_constantIbLb1EES13_EEDaSY_SZ_EUlSY_E_NS1_11comp_targetILNS1_3genE8ELNS1_11target_archE1030ELNS1_3gpuE2ELNS1_3repE0EEENS1_30default_config_static_selectorELNS0_4arch9wavefront6targetE1EEEvT1_
    .private_segment_fixed_size: 0
    .sgpr_count:     4
    .sgpr_spill_count: 0
    .symbol:         _ZN7rocprim17ROCPRIM_400000_NS6detail17trampoline_kernelINS0_14default_configENS1_29reduce_by_key_config_selectorIflN6thrust23THRUST_200600_302600_NS4plusIlEEEEZZNS1_33reduce_by_key_impl_wrapped_configILNS1_25lookback_scan_determinismE0ES3_S9_PfNS6_17constant_iteratorIiNS6_11use_defaultESE_EENS6_10device_ptrIfEENSG_IlEEPmS8_NS6_8equal_toIfEEEE10hipError_tPvRmT2_T3_mT4_T5_T6_T7_T8_P12ihipStream_tbENKUlT_T0_E_clISt17integral_constantIbLb1EES13_EEDaSY_SZ_EUlSY_E_NS1_11comp_targetILNS1_3genE8ELNS1_11target_archE1030ELNS1_3gpuE2ELNS1_3repE0EEENS1_30default_config_static_selectorELNS0_4arch9wavefront6targetE1EEEvT1_.kd
    .uniform_work_group_size: 1
    .uses_dynamic_stack: false
    .vgpr_count:     0
    .vgpr_spill_count: 0
    .wavefront_size: 64
  - .agpr_count:     0
    .args:
      - .offset:         0
        .size:           144
        .value_kind:     by_value
    .group_segment_fixed_size: 0
    .kernarg_segment_align: 8
    .kernarg_segment_size: 144
    .language:       OpenCL C
    .language_version:
      - 2
      - 0
    .max_flat_workgroup_size: 256
    .name:           _ZN7rocprim17ROCPRIM_400000_NS6detail17trampoline_kernelINS0_14default_configENS1_29reduce_by_key_config_selectorIflN6thrust23THRUST_200600_302600_NS4plusIlEEEEZZNS1_33reduce_by_key_impl_wrapped_configILNS1_25lookback_scan_determinismE0ES3_S9_PfNS6_17constant_iteratorIiNS6_11use_defaultESE_EENS6_10device_ptrIfEENSG_IlEEPmS8_NS6_8equal_toIfEEEE10hipError_tPvRmT2_T3_mT4_T5_T6_T7_T8_P12ihipStream_tbENKUlT_T0_E_clISt17integral_constantIbLb1EES12_IbLb0EEEEDaSY_SZ_EUlSY_E_NS1_11comp_targetILNS1_3genE0ELNS1_11target_archE4294967295ELNS1_3gpuE0ELNS1_3repE0EEENS1_30default_config_static_selectorELNS0_4arch9wavefront6targetE1EEEvT1_
    .private_segment_fixed_size: 0
    .sgpr_count:     4
    .sgpr_spill_count: 0
    .symbol:         _ZN7rocprim17ROCPRIM_400000_NS6detail17trampoline_kernelINS0_14default_configENS1_29reduce_by_key_config_selectorIflN6thrust23THRUST_200600_302600_NS4plusIlEEEEZZNS1_33reduce_by_key_impl_wrapped_configILNS1_25lookback_scan_determinismE0ES3_S9_PfNS6_17constant_iteratorIiNS6_11use_defaultESE_EENS6_10device_ptrIfEENSG_IlEEPmS8_NS6_8equal_toIfEEEE10hipError_tPvRmT2_T3_mT4_T5_T6_T7_T8_P12ihipStream_tbENKUlT_T0_E_clISt17integral_constantIbLb1EES12_IbLb0EEEEDaSY_SZ_EUlSY_E_NS1_11comp_targetILNS1_3genE0ELNS1_11target_archE4294967295ELNS1_3gpuE0ELNS1_3repE0EEENS1_30default_config_static_selectorELNS0_4arch9wavefront6targetE1EEEvT1_.kd
    .uniform_work_group_size: 1
    .uses_dynamic_stack: false
    .vgpr_count:     0
    .vgpr_spill_count: 0
    .wavefront_size: 64
  - .agpr_count:     0
    .args:
      - .offset:         0
        .size:           144
        .value_kind:     by_value
    .group_segment_fixed_size: 0
    .kernarg_segment_align: 8
    .kernarg_segment_size: 144
    .language:       OpenCL C
    .language_version:
      - 2
      - 0
    .max_flat_workgroup_size: 256
    .name:           _ZN7rocprim17ROCPRIM_400000_NS6detail17trampoline_kernelINS0_14default_configENS1_29reduce_by_key_config_selectorIflN6thrust23THRUST_200600_302600_NS4plusIlEEEEZZNS1_33reduce_by_key_impl_wrapped_configILNS1_25lookback_scan_determinismE0ES3_S9_PfNS6_17constant_iteratorIiNS6_11use_defaultESE_EENS6_10device_ptrIfEENSG_IlEEPmS8_NS6_8equal_toIfEEEE10hipError_tPvRmT2_T3_mT4_T5_T6_T7_T8_P12ihipStream_tbENKUlT_T0_E_clISt17integral_constantIbLb1EES12_IbLb0EEEEDaSY_SZ_EUlSY_E_NS1_11comp_targetILNS1_3genE5ELNS1_11target_archE942ELNS1_3gpuE9ELNS1_3repE0EEENS1_30default_config_static_selectorELNS0_4arch9wavefront6targetE1EEEvT1_
    .private_segment_fixed_size: 0
    .sgpr_count:     4
    .sgpr_spill_count: 0
    .symbol:         _ZN7rocprim17ROCPRIM_400000_NS6detail17trampoline_kernelINS0_14default_configENS1_29reduce_by_key_config_selectorIflN6thrust23THRUST_200600_302600_NS4plusIlEEEEZZNS1_33reduce_by_key_impl_wrapped_configILNS1_25lookback_scan_determinismE0ES3_S9_PfNS6_17constant_iteratorIiNS6_11use_defaultESE_EENS6_10device_ptrIfEENSG_IlEEPmS8_NS6_8equal_toIfEEEE10hipError_tPvRmT2_T3_mT4_T5_T6_T7_T8_P12ihipStream_tbENKUlT_T0_E_clISt17integral_constantIbLb1EES12_IbLb0EEEEDaSY_SZ_EUlSY_E_NS1_11comp_targetILNS1_3genE5ELNS1_11target_archE942ELNS1_3gpuE9ELNS1_3repE0EEENS1_30default_config_static_selectorELNS0_4arch9wavefront6targetE1EEEvT1_.kd
    .uniform_work_group_size: 1
    .uses_dynamic_stack: false
    .vgpr_count:     0
    .vgpr_spill_count: 0
    .wavefront_size: 64
  - .agpr_count:     0
    .args:
      - .offset:         0
        .size:           144
        .value_kind:     by_value
    .group_segment_fixed_size: 30720
    .kernarg_segment_align: 8
    .kernarg_segment_size: 144
    .language:       OpenCL C
    .language_version:
      - 2
      - 0
    .max_flat_workgroup_size: 256
    .name:           _ZN7rocprim17ROCPRIM_400000_NS6detail17trampoline_kernelINS0_14default_configENS1_29reduce_by_key_config_selectorIflN6thrust23THRUST_200600_302600_NS4plusIlEEEEZZNS1_33reduce_by_key_impl_wrapped_configILNS1_25lookback_scan_determinismE0ES3_S9_PfNS6_17constant_iteratorIiNS6_11use_defaultESE_EENS6_10device_ptrIfEENSG_IlEEPmS8_NS6_8equal_toIfEEEE10hipError_tPvRmT2_T3_mT4_T5_T6_T7_T8_P12ihipStream_tbENKUlT_T0_E_clISt17integral_constantIbLb1EES12_IbLb0EEEEDaSY_SZ_EUlSY_E_NS1_11comp_targetILNS1_3genE4ELNS1_11target_archE910ELNS1_3gpuE8ELNS1_3repE0EEENS1_30default_config_static_selectorELNS0_4arch9wavefront6targetE1EEEvT1_
    .private_segment_fixed_size: 0
    .sgpr_count:     66
    .sgpr_spill_count: 0
    .symbol:         _ZN7rocprim17ROCPRIM_400000_NS6detail17trampoline_kernelINS0_14default_configENS1_29reduce_by_key_config_selectorIflN6thrust23THRUST_200600_302600_NS4plusIlEEEEZZNS1_33reduce_by_key_impl_wrapped_configILNS1_25lookback_scan_determinismE0ES3_S9_PfNS6_17constant_iteratorIiNS6_11use_defaultESE_EENS6_10device_ptrIfEENSG_IlEEPmS8_NS6_8equal_toIfEEEE10hipError_tPvRmT2_T3_mT4_T5_T6_T7_T8_P12ihipStream_tbENKUlT_T0_E_clISt17integral_constantIbLb1EES12_IbLb0EEEEDaSY_SZ_EUlSY_E_NS1_11comp_targetILNS1_3genE4ELNS1_11target_archE910ELNS1_3gpuE8ELNS1_3repE0EEENS1_30default_config_static_selectorELNS0_4arch9wavefront6targetE1EEEvT1_.kd
    .uniform_work_group_size: 1
    .uses_dynamic_stack: false
    .vgpr_count:     122
    .vgpr_spill_count: 0
    .wavefront_size: 64
  - .agpr_count:     0
    .args:
      - .offset:         0
        .size:           144
        .value_kind:     by_value
    .group_segment_fixed_size: 0
    .kernarg_segment_align: 8
    .kernarg_segment_size: 144
    .language:       OpenCL C
    .language_version:
      - 2
      - 0
    .max_flat_workgroup_size: 256
    .name:           _ZN7rocprim17ROCPRIM_400000_NS6detail17trampoline_kernelINS0_14default_configENS1_29reduce_by_key_config_selectorIflN6thrust23THRUST_200600_302600_NS4plusIlEEEEZZNS1_33reduce_by_key_impl_wrapped_configILNS1_25lookback_scan_determinismE0ES3_S9_PfNS6_17constant_iteratorIiNS6_11use_defaultESE_EENS6_10device_ptrIfEENSG_IlEEPmS8_NS6_8equal_toIfEEEE10hipError_tPvRmT2_T3_mT4_T5_T6_T7_T8_P12ihipStream_tbENKUlT_T0_E_clISt17integral_constantIbLb1EES12_IbLb0EEEEDaSY_SZ_EUlSY_E_NS1_11comp_targetILNS1_3genE3ELNS1_11target_archE908ELNS1_3gpuE7ELNS1_3repE0EEENS1_30default_config_static_selectorELNS0_4arch9wavefront6targetE1EEEvT1_
    .private_segment_fixed_size: 0
    .sgpr_count:     4
    .sgpr_spill_count: 0
    .symbol:         _ZN7rocprim17ROCPRIM_400000_NS6detail17trampoline_kernelINS0_14default_configENS1_29reduce_by_key_config_selectorIflN6thrust23THRUST_200600_302600_NS4plusIlEEEEZZNS1_33reduce_by_key_impl_wrapped_configILNS1_25lookback_scan_determinismE0ES3_S9_PfNS6_17constant_iteratorIiNS6_11use_defaultESE_EENS6_10device_ptrIfEENSG_IlEEPmS8_NS6_8equal_toIfEEEE10hipError_tPvRmT2_T3_mT4_T5_T6_T7_T8_P12ihipStream_tbENKUlT_T0_E_clISt17integral_constantIbLb1EES12_IbLb0EEEEDaSY_SZ_EUlSY_E_NS1_11comp_targetILNS1_3genE3ELNS1_11target_archE908ELNS1_3gpuE7ELNS1_3repE0EEENS1_30default_config_static_selectorELNS0_4arch9wavefront6targetE1EEEvT1_.kd
    .uniform_work_group_size: 1
    .uses_dynamic_stack: false
    .vgpr_count:     0
    .vgpr_spill_count: 0
    .wavefront_size: 64
  - .agpr_count:     0
    .args:
      - .offset:         0
        .size:           144
        .value_kind:     by_value
    .group_segment_fixed_size: 0
    .kernarg_segment_align: 8
    .kernarg_segment_size: 144
    .language:       OpenCL C
    .language_version:
      - 2
      - 0
    .max_flat_workgroup_size: 256
    .name:           _ZN7rocprim17ROCPRIM_400000_NS6detail17trampoline_kernelINS0_14default_configENS1_29reduce_by_key_config_selectorIflN6thrust23THRUST_200600_302600_NS4plusIlEEEEZZNS1_33reduce_by_key_impl_wrapped_configILNS1_25lookback_scan_determinismE0ES3_S9_PfNS6_17constant_iteratorIiNS6_11use_defaultESE_EENS6_10device_ptrIfEENSG_IlEEPmS8_NS6_8equal_toIfEEEE10hipError_tPvRmT2_T3_mT4_T5_T6_T7_T8_P12ihipStream_tbENKUlT_T0_E_clISt17integral_constantIbLb1EES12_IbLb0EEEEDaSY_SZ_EUlSY_E_NS1_11comp_targetILNS1_3genE2ELNS1_11target_archE906ELNS1_3gpuE6ELNS1_3repE0EEENS1_30default_config_static_selectorELNS0_4arch9wavefront6targetE1EEEvT1_
    .private_segment_fixed_size: 0
    .sgpr_count:     4
    .sgpr_spill_count: 0
    .symbol:         _ZN7rocprim17ROCPRIM_400000_NS6detail17trampoline_kernelINS0_14default_configENS1_29reduce_by_key_config_selectorIflN6thrust23THRUST_200600_302600_NS4plusIlEEEEZZNS1_33reduce_by_key_impl_wrapped_configILNS1_25lookback_scan_determinismE0ES3_S9_PfNS6_17constant_iteratorIiNS6_11use_defaultESE_EENS6_10device_ptrIfEENSG_IlEEPmS8_NS6_8equal_toIfEEEE10hipError_tPvRmT2_T3_mT4_T5_T6_T7_T8_P12ihipStream_tbENKUlT_T0_E_clISt17integral_constantIbLb1EES12_IbLb0EEEEDaSY_SZ_EUlSY_E_NS1_11comp_targetILNS1_3genE2ELNS1_11target_archE906ELNS1_3gpuE6ELNS1_3repE0EEENS1_30default_config_static_selectorELNS0_4arch9wavefront6targetE1EEEvT1_.kd
    .uniform_work_group_size: 1
    .uses_dynamic_stack: false
    .vgpr_count:     0
    .vgpr_spill_count: 0
    .wavefront_size: 64
  - .agpr_count:     0
    .args:
      - .offset:         0
        .size:           144
        .value_kind:     by_value
    .group_segment_fixed_size: 0
    .kernarg_segment_align: 8
    .kernarg_segment_size: 144
    .language:       OpenCL C
    .language_version:
      - 2
      - 0
    .max_flat_workgroup_size: 256
    .name:           _ZN7rocprim17ROCPRIM_400000_NS6detail17trampoline_kernelINS0_14default_configENS1_29reduce_by_key_config_selectorIflN6thrust23THRUST_200600_302600_NS4plusIlEEEEZZNS1_33reduce_by_key_impl_wrapped_configILNS1_25lookback_scan_determinismE0ES3_S9_PfNS6_17constant_iteratorIiNS6_11use_defaultESE_EENS6_10device_ptrIfEENSG_IlEEPmS8_NS6_8equal_toIfEEEE10hipError_tPvRmT2_T3_mT4_T5_T6_T7_T8_P12ihipStream_tbENKUlT_T0_E_clISt17integral_constantIbLb1EES12_IbLb0EEEEDaSY_SZ_EUlSY_E_NS1_11comp_targetILNS1_3genE10ELNS1_11target_archE1201ELNS1_3gpuE5ELNS1_3repE0EEENS1_30default_config_static_selectorELNS0_4arch9wavefront6targetE1EEEvT1_
    .private_segment_fixed_size: 0
    .sgpr_count:     4
    .sgpr_spill_count: 0
    .symbol:         _ZN7rocprim17ROCPRIM_400000_NS6detail17trampoline_kernelINS0_14default_configENS1_29reduce_by_key_config_selectorIflN6thrust23THRUST_200600_302600_NS4plusIlEEEEZZNS1_33reduce_by_key_impl_wrapped_configILNS1_25lookback_scan_determinismE0ES3_S9_PfNS6_17constant_iteratorIiNS6_11use_defaultESE_EENS6_10device_ptrIfEENSG_IlEEPmS8_NS6_8equal_toIfEEEE10hipError_tPvRmT2_T3_mT4_T5_T6_T7_T8_P12ihipStream_tbENKUlT_T0_E_clISt17integral_constantIbLb1EES12_IbLb0EEEEDaSY_SZ_EUlSY_E_NS1_11comp_targetILNS1_3genE10ELNS1_11target_archE1201ELNS1_3gpuE5ELNS1_3repE0EEENS1_30default_config_static_selectorELNS0_4arch9wavefront6targetE1EEEvT1_.kd
    .uniform_work_group_size: 1
    .uses_dynamic_stack: false
    .vgpr_count:     0
    .vgpr_spill_count: 0
    .wavefront_size: 64
  - .agpr_count:     0
    .args:
      - .offset:         0
        .size:           144
        .value_kind:     by_value
    .group_segment_fixed_size: 0
    .kernarg_segment_align: 8
    .kernarg_segment_size: 144
    .language:       OpenCL C
    .language_version:
      - 2
      - 0
    .max_flat_workgroup_size: 256
    .name:           _ZN7rocprim17ROCPRIM_400000_NS6detail17trampoline_kernelINS0_14default_configENS1_29reduce_by_key_config_selectorIflN6thrust23THRUST_200600_302600_NS4plusIlEEEEZZNS1_33reduce_by_key_impl_wrapped_configILNS1_25lookback_scan_determinismE0ES3_S9_PfNS6_17constant_iteratorIiNS6_11use_defaultESE_EENS6_10device_ptrIfEENSG_IlEEPmS8_NS6_8equal_toIfEEEE10hipError_tPvRmT2_T3_mT4_T5_T6_T7_T8_P12ihipStream_tbENKUlT_T0_E_clISt17integral_constantIbLb1EES12_IbLb0EEEEDaSY_SZ_EUlSY_E_NS1_11comp_targetILNS1_3genE10ELNS1_11target_archE1200ELNS1_3gpuE4ELNS1_3repE0EEENS1_30default_config_static_selectorELNS0_4arch9wavefront6targetE1EEEvT1_
    .private_segment_fixed_size: 0
    .sgpr_count:     4
    .sgpr_spill_count: 0
    .symbol:         _ZN7rocprim17ROCPRIM_400000_NS6detail17trampoline_kernelINS0_14default_configENS1_29reduce_by_key_config_selectorIflN6thrust23THRUST_200600_302600_NS4plusIlEEEEZZNS1_33reduce_by_key_impl_wrapped_configILNS1_25lookback_scan_determinismE0ES3_S9_PfNS6_17constant_iteratorIiNS6_11use_defaultESE_EENS6_10device_ptrIfEENSG_IlEEPmS8_NS6_8equal_toIfEEEE10hipError_tPvRmT2_T3_mT4_T5_T6_T7_T8_P12ihipStream_tbENKUlT_T0_E_clISt17integral_constantIbLb1EES12_IbLb0EEEEDaSY_SZ_EUlSY_E_NS1_11comp_targetILNS1_3genE10ELNS1_11target_archE1200ELNS1_3gpuE4ELNS1_3repE0EEENS1_30default_config_static_selectorELNS0_4arch9wavefront6targetE1EEEvT1_.kd
    .uniform_work_group_size: 1
    .uses_dynamic_stack: false
    .vgpr_count:     0
    .vgpr_spill_count: 0
    .wavefront_size: 64
  - .agpr_count:     0
    .args:
      - .offset:         0
        .size:           144
        .value_kind:     by_value
    .group_segment_fixed_size: 0
    .kernarg_segment_align: 8
    .kernarg_segment_size: 144
    .language:       OpenCL C
    .language_version:
      - 2
      - 0
    .max_flat_workgroup_size: 256
    .name:           _ZN7rocprim17ROCPRIM_400000_NS6detail17trampoline_kernelINS0_14default_configENS1_29reduce_by_key_config_selectorIflN6thrust23THRUST_200600_302600_NS4plusIlEEEEZZNS1_33reduce_by_key_impl_wrapped_configILNS1_25lookback_scan_determinismE0ES3_S9_PfNS6_17constant_iteratorIiNS6_11use_defaultESE_EENS6_10device_ptrIfEENSG_IlEEPmS8_NS6_8equal_toIfEEEE10hipError_tPvRmT2_T3_mT4_T5_T6_T7_T8_P12ihipStream_tbENKUlT_T0_E_clISt17integral_constantIbLb1EES12_IbLb0EEEEDaSY_SZ_EUlSY_E_NS1_11comp_targetILNS1_3genE9ELNS1_11target_archE1100ELNS1_3gpuE3ELNS1_3repE0EEENS1_30default_config_static_selectorELNS0_4arch9wavefront6targetE1EEEvT1_
    .private_segment_fixed_size: 0
    .sgpr_count:     4
    .sgpr_spill_count: 0
    .symbol:         _ZN7rocprim17ROCPRIM_400000_NS6detail17trampoline_kernelINS0_14default_configENS1_29reduce_by_key_config_selectorIflN6thrust23THRUST_200600_302600_NS4plusIlEEEEZZNS1_33reduce_by_key_impl_wrapped_configILNS1_25lookback_scan_determinismE0ES3_S9_PfNS6_17constant_iteratorIiNS6_11use_defaultESE_EENS6_10device_ptrIfEENSG_IlEEPmS8_NS6_8equal_toIfEEEE10hipError_tPvRmT2_T3_mT4_T5_T6_T7_T8_P12ihipStream_tbENKUlT_T0_E_clISt17integral_constantIbLb1EES12_IbLb0EEEEDaSY_SZ_EUlSY_E_NS1_11comp_targetILNS1_3genE9ELNS1_11target_archE1100ELNS1_3gpuE3ELNS1_3repE0EEENS1_30default_config_static_selectorELNS0_4arch9wavefront6targetE1EEEvT1_.kd
    .uniform_work_group_size: 1
    .uses_dynamic_stack: false
    .vgpr_count:     0
    .vgpr_spill_count: 0
    .wavefront_size: 64
  - .agpr_count:     0
    .args:
      - .offset:         0
        .size:           144
        .value_kind:     by_value
    .group_segment_fixed_size: 0
    .kernarg_segment_align: 8
    .kernarg_segment_size: 144
    .language:       OpenCL C
    .language_version:
      - 2
      - 0
    .max_flat_workgroup_size: 256
    .name:           _ZN7rocprim17ROCPRIM_400000_NS6detail17trampoline_kernelINS0_14default_configENS1_29reduce_by_key_config_selectorIflN6thrust23THRUST_200600_302600_NS4plusIlEEEEZZNS1_33reduce_by_key_impl_wrapped_configILNS1_25lookback_scan_determinismE0ES3_S9_PfNS6_17constant_iteratorIiNS6_11use_defaultESE_EENS6_10device_ptrIfEENSG_IlEEPmS8_NS6_8equal_toIfEEEE10hipError_tPvRmT2_T3_mT4_T5_T6_T7_T8_P12ihipStream_tbENKUlT_T0_E_clISt17integral_constantIbLb1EES12_IbLb0EEEEDaSY_SZ_EUlSY_E_NS1_11comp_targetILNS1_3genE8ELNS1_11target_archE1030ELNS1_3gpuE2ELNS1_3repE0EEENS1_30default_config_static_selectorELNS0_4arch9wavefront6targetE1EEEvT1_
    .private_segment_fixed_size: 0
    .sgpr_count:     4
    .sgpr_spill_count: 0
    .symbol:         _ZN7rocprim17ROCPRIM_400000_NS6detail17trampoline_kernelINS0_14default_configENS1_29reduce_by_key_config_selectorIflN6thrust23THRUST_200600_302600_NS4plusIlEEEEZZNS1_33reduce_by_key_impl_wrapped_configILNS1_25lookback_scan_determinismE0ES3_S9_PfNS6_17constant_iteratorIiNS6_11use_defaultESE_EENS6_10device_ptrIfEENSG_IlEEPmS8_NS6_8equal_toIfEEEE10hipError_tPvRmT2_T3_mT4_T5_T6_T7_T8_P12ihipStream_tbENKUlT_T0_E_clISt17integral_constantIbLb1EES12_IbLb0EEEEDaSY_SZ_EUlSY_E_NS1_11comp_targetILNS1_3genE8ELNS1_11target_archE1030ELNS1_3gpuE2ELNS1_3repE0EEENS1_30default_config_static_selectorELNS0_4arch9wavefront6targetE1EEEvT1_.kd
    .uniform_work_group_size: 1
    .uses_dynamic_stack: false
    .vgpr_count:     0
    .vgpr_spill_count: 0
    .wavefront_size: 64
  - .agpr_count:     0
    .args:
      - .offset:         0
        .size:           144
        .value_kind:     by_value
    .group_segment_fixed_size: 0
    .kernarg_segment_align: 8
    .kernarg_segment_size: 144
    .language:       OpenCL C
    .language_version:
      - 2
      - 0
    .max_flat_workgroup_size: 256
    .name:           _ZN7rocprim17ROCPRIM_400000_NS6detail17trampoline_kernelINS0_14default_configENS1_29reduce_by_key_config_selectorIflN6thrust23THRUST_200600_302600_NS4plusIlEEEEZZNS1_33reduce_by_key_impl_wrapped_configILNS1_25lookback_scan_determinismE0ES3_S9_PfNS6_17constant_iteratorIiNS6_11use_defaultESE_EENS6_10device_ptrIfEENSG_IlEEPmS8_NS6_8equal_toIfEEEE10hipError_tPvRmT2_T3_mT4_T5_T6_T7_T8_P12ihipStream_tbENKUlT_T0_E_clISt17integral_constantIbLb0EES12_IbLb1EEEEDaSY_SZ_EUlSY_E_NS1_11comp_targetILNS1_3genE0ELNS1_11target_archE4294967295ELNS1_3gpuE0ELNS1_3repE0EEENS1_30default_config_static_selectorELNS0_4arch9wavefront6targetE1EEEvT1_
    .private_segment_fixed_size: 0
    .sgpr_count:     4
    .sgpr_spill_count: 0
    .symbol:         _ZN7rocprim17ROCPRIM_400000_NS6detail17trampoline_kernelINS0_14default_configENS1_29reduce_by_key_config_selectorIflN6thrust23THRUST_200600_302600_NS4plusIlEEEEZZNS1_33reduce_by_key_impl_wrapped_configILNS1_25lookback_scan_determinismE0ES3_S9_PfNS6_17constant_iteratorIiNS6_11use_defaultESE_EENS6_10device_ptrIfEENSG_IlEEPmS8_NS6_8equal_toIfEEEE10hipError_tPvRmT2_T3_mT4_T5_T6_T7_T8_P12ihipStream_tbENKUlT_T0_E_clISt17integral_constantIbLb0EES12_IbLb1EEEEDaSY_SZ_EUlSY_E_NS1_11comp_targetILNS1_3genE0ELNS1_11target_archE4294967295ELNS1_3gpuE0ELNS1_3repE0EEENS1_30default_config_static_selectorELNS0_4arch9wavefront6targetE1EEEvT1_.kd
    .uniform_work_group_size: 1
    .uses_dynamic_stack: false
    .vgpr_count:     0
    .vgpr_spill_count: 0
    .wavefront_size: 64
  - .agpr_count:     0
    .args:
      - .offset:         0
        .size:           144
        .value_kind:     by_value
    .group_segment_fixed_size: 0
    .kernarg_segment_align: 8
    .kernarg_segment_size: 144
    .language:       OpenCL C
    .language_version:
      - 2
      - 0
    .max_flat_workgroup_size: 256
    .name:           _ZN7rocprim17ROCPRIM_400000_NS6detail17trampoline_kernelINS0_14default_configENS1_29reduce_by_key_config_selectorIflN6thrust23THRUST_200600_302600_NS4plusIlEEEEZZNS1_33reduce_by_key_impl_wrapped_configILNS1_25lookback_scan_determinismE0ES3_S9_PfNS6_17constant_iteratorIiNS6_11use_defaultESE_EENS6_10device_ptrIfEENSG_IlEEPmS8_NS6_8equal_toIfEEEE10hipError_tPvRmT2_T3_mT4_T5_T6_T7_T8_P12ihipStream_tbENKUlT_T0_E_clISt17integral_constantIbLb0EES12_IbLb1EEEEDaSY_SZ_EUlSY_E_NS1_11comp_targetILNS1_3genE5ELNS1_11target_archE942ELNS1_3gpuE9ELNS1_3repE0EEENS1_30default_config_static_selectorELNS0_4arch9wavefront6targetE1EEEvT1_
    .private_segment_fixed_size: 0
    .sgpr_count:     4
    .sgpr_spill_count: 0
    .symbol:         _ZN7rocprim17ROCPRIM_400000_NS6detail17trampoline_kernelINS0_14default_configENS1_29reduce_by_key_config_selectorIflN6thrust23THRUST_200600_302600_NS4plusIlEEEEZZNS1_33reduce_by_key_impl_wrapped_configILNS1_25lookback_scan_determinismE0ES3_S9_PfNS6_17constant_iteratorIiNS6_11use_defaultESE_EENS6_10device_ptrIfEENSG_IlEEPmS8_NS6_8equal_toIfEEEE10hipError_tPvRmT2_T3_mT4_T5_T6_T7_T8_P12ihipStream_tbENKUlT_T0_E_clISt17integral_constantIbLb0EES12_IbLb1EEEEDaSY_SZ_EUlSY_E_NS1_11comp_targetILNS1_3genE5ELNS1_11target_archE942ELNS1_3gpuE9ELNS1_3repE0EEENS1_30default_config_static_selectorELNS0_4arch9wavefront6targetE1EEEvT1_.kd
    .uniform_work_group_size: 1
    .uses_dynamic_stack: false
    .vgpr_count:     0
    .vgpr_spill_count: 0
    .wavefront_size: 64
  - .agpr_count:     0
    .args:
      - .offset:         0
        .size:           144
        .value_kind:     by_value
    .group_segment_fixed_size: 30720
    .kernarg_segment_align: 8
    .kernarg_segment_size: 144
    .language:       OpenCL C
    .language_version:
      - 2
      - 0
    .max_flat_workgroup_size: 256
    .name:           _ZN7rocprim17ROCPRIM_400000_NS6detail17trampoline_kernelINS0_14default_configENS1_29reduce_by_key_config_selectorIflN6thrust23THRUST_200600_302600_NS4plusIlEEEEZZNS1_33reduce_by_key_impl_wrapped_configILNS1_25lookback_scan_determinismE0ES3_S9_PfNS6_17constant_iteratorIiNS6_11use_defaultESE_EENS6_10device_ptrIfEENSG_IlEEPmS8_NS6_8equal_toIfEEEE10hipError_tPvRmT2_T3_mT4_T5_T6_T7_T8_P12ihipStream_tbENKUlT_T0_E_clISt17integral_constantIbLb0EES12_IbLb1EEEEDaSY_SZ_EUlSY_E_NS1_11comp_targetILNS1_3genE4ELNS1_11target_archE910ELNS1_3gpuE8ELNS1_3repE0EEENS1_30default_config_static_selectorELNS0_4arch9wavefront6targetE1EEEvT1_
    .private_segment_fixed_size: 0
    .sgpr_count:     68
    .sgpr_spill_count: 0
    .symbol:         _ZN7rocprim17ROCPRIM_400000_NS6detail17trampoline_kernelINS0_14default_configENS1_29reduce_by_key_config_selectorIflN6thrust23THRUST_200600_302600_NS4plusIlEEEEZZNS1_33reduce_by_key_impl_wrapped_configILNS1_25lookback_scan_determinismE0ES3_S9_PfNS6_17constant_iteratorIiNS6_11use_defaultESE_EENS6_10device_ptrIfEENSG_IlEEPmS8_NS6_8equal_toIfEEEE10hipError_tPvRmT2_T3_mT4_T5_T6_T7_T8_P12ihipStream_tbENKUlT_T0_E_clISt17integral_constantIbLb0EES12_IbLb1EEEEDaSY_SZ_EUlSY_E_NS1_11comp_targetILNS1_3genE4ELNS1_11target_archE910ELNS1_3gpuE8ELNS1_3repE0EEENS1_30default_config_static_selectorELNS0_4arch9wavefront6targetE1EEEvT1_.kd
    .uniform_work_group_size: 1
    .uses_dynamic_stack: false
    .vgpr_count:     122
    .vgpr_spill_count: 0
    .wavefront_size: 64
  - .agpr_count:     0
    .args:
      - .offset:         0
        .size:           144
        .value_kind:     by_value
    .group_segment_fixed_size: 0
    .kernarg_segment_align: 8
    .kernarg_segment_size: 144
    .language:       OpenCL C
    .language_version:
      - 2
      - 0
    .max_flat_workgroup_size: 256
    .name:           _ZN7rocprim17ROCPRIM_400000_NS6detail17trampoline_kernelINS0_14default_configENS1_29reduce_by_key_config_selectorIflN6thrust23THRUST_200600_302600_NS4plusIlEEEEZZNS1_33reduce_by_key_impl_wrapped_configILNS1_25lookback_scan_determinismE0ES3_S9_PfNS6_17constant_iteratorIiNS6_11use_defaultESE_EENS6_10device_ptrIfEENSG_IlEEPmS8_NS6_8equal_toIfEEEE10hipError_tPvRmT2_T3_mT4_T5_T6_T7_T8_P12ihipStream_tbENKUlT_T0_E_clISt17integral_constantIbLb0EES12_IbLb1EEEEDaSY_SZ_EUlSY_E_NS1_11comp_targetILNS1_3genE3ELNS1_11target_archE908ELNS1_3gpuE7ELNS1_3repE0EEENS1_30default_config_static_selectorELNS0_4arch9wavefront6targetE1EEEvT1_
    .private_segment_fixed_size: 0
    .sgpr_count:     4
    .sgpr_spill_count: 0
    .symbol:         _ZN7rocprim17ROCPRIM_400000_NS6detail17trampoline_kernelINS0_14default_configENS1_29reduce_by_key_config_selectorIflN6thrust23THRUST_200600_302600_NS4plusIlEEEEZZNS1_33reduce_by_key_impl_wrapped_configILNS1_25lookback_scan_determinismE0ES3_S9_PfNS6_17constant_iteratorIiNS6_11use_defaultESE_EENS6_10device_ptrIfEENSG_IlEEPmS8_NS6_8equal_toIfEEEE10hipError_tPvRmT2_T3_mT4_T5_T6_T7_T8_P12ihipStream_tbENKUlT_T0_E_clISt17integral_constantIbLb0EES12_IbLb1EEEEDaSY_SZ_EUlSY_E_NS1_11comp_targetILNS1_3genE3ELNS1_11target_archE908ELNS1_3gpuE7ELNS1_3repE0EEENS1_30default_config_static_selectorELNS0_4arch9wavefront6targetE1EEEvT1_.kd
    .uniform_work_group_size: 1
    .uses_dynamic_stack: false
    .vgpr_count:     0
    .vgpr_spill_count: 0
    .wavefront_size: 64
  - .agpr_count:     0
    .args:
      - .offset:         0
        .size:           144
        .value_kind:     by_value
    .group_segment_fixed_size: 0
    .kernarg_segment_align: 8
    .kernarg_segment_size: 144
    .language:       OpenCL C
    .language_version:
      - 2
      - 0
    .max_flat_workgroup_size: 256
    .name:           _ZN7rocprim17ROCPRIM_400000_NS6detail17trampoline_kernelINS0_14default_configENS1_29reduce_by_key_config_selectorIflN6thrust23THRUST_200600_302600_NS4plusIlEEEEZZNS1_33reduce_by_key_impl_wrapped_configILNS1_25lookback_scan_determinismE0ES3_S9_PfNS6_17constant_iteratorIiNS6_11use_defaultESE_EENS6_10device_ptrIfEENSG_IlEEPmS8_NS6_8equal_toIfEEEE10hipError_tPvRmT2_T3_mT4_T5_T6_T7_T8_P12ihipStream_tbENKUlT_T0_E_clISt17integral_constantIbLb0EES12_IbLb1EEEEDaSY_SZ_EUlSY_E_NS1_11comp_targetILNS1_3genE2ELNS1_11target_archE906ELNS1_3gpuE6ELNS1_3repE0EEENS1_30default_config_static_selectorELNS0_4arch9wavefront6targetE1EEEvT1_
    .private_segment_fixed_size: 0
    .sgpr_count:     4
    .sgpr_spill_count: 0
    .symbol:         _ZN7rocprim17ROCPRIM_400000_NS6detail17trampoline_kernelINS0_14default_configENS1_29reduce_by_key_config_selectorIflN6thrust23THRUST_200600_302600_NS4plusIlEEEEZZNS1_33reduce_by_key_impl_wrapped_configILNS1_25lookback_scan_determinismE0ES3_S9_PfNS6_17constant_iteratorIiNS6_11use_defaultESE_EENS6_10device_ptrIfEENSG_IlEEPmS8_NS6_8equal_toIfEEEE10hipError_tPvRmT2_T3_mT4_T5_T6_T7_T8_P12ihipStream_tbENKUlT_T0_E_clISt17integral_constantIbLb0EES12_IbLb1EEEEDaSY_SZ_EUlSY_E_NS1_11comp_targetILNS1_3genE2ELNS1_11target_archE906ELNS1_3gpuE6ELNS1_3repE0EEENS1_30default_config_static_selectorELNS0_4arch9wavefront6targetE1EEEvT1_.kd
    .uniform_work_group_size: 1
    .uses_dynamic_stack: false
    .vgpr_count:     0
    .vgpr_spill_count: 0
    .wavefront_size: 64
  - .agpr_count:     0
    .args:
      - .offset:         0
        .size:           144
        .value_kind:     by_value
    .group_segment_fixed_size: 0
    .kernarg_segment_align: 8
    .kernarg_segment_size: 144
    .language:       OpenCL C
    .language_version:
      - 2
      - 0
    .max_flat_workgroup_size: 256
    .name:           _ZN7rocprim17ROCPRIM_400000_NS6detail17trampoline_kernelINS0_14default_configENS1_29reduce_by_key_config_selectorIflN6thrust23THRUST_200600_302600_NS4plusIlEEEEZZNS1_33reduce_by_key_impl_wrapped_configILNS1_25lookback_scan_determinismE0ES3_S9_PfNS6_17constant_iteratorIiNS6_11use_defaultESE_EENS6_10device_ptrIfEENSG_IlEEPmS8_NS6_8equal_toIfEEEE10hipError_tPvRmT2_T3_mT4_T5_T6_T7_T8_P12ihipStream_tbENKUlT_T0_E_clISt17integral_constantIbLb0EES12_IbLb1EEEEDaSY_SZ_EUlSY_E_NS1_11comp_targetILNS1_3genE10ELNS1_11target_archE1201ELNS1_3gpuE5ELNS1_3repE0EEENS1_30default_config_static_selectorELNS0_4arch9wavefront6targetE1EEEvT1_
    .private_segment_fixed_size: 0
    .sgpr_count:     4
    .sgpr_spill_count: 0
    .symbol:         _ZN7rocprim17ROCPRIM_400000_NS6detail17trampoline_kernelINS0_14default_configENS1_29reduce_by_key_config_selectorIflN6thrust23THRUST_200600_302600_NS4plusIlEEEEZZNS1_33reduce_by_key_impl_wrapped_configILNS1_25lookback_scan_determinismE0ES3_S9_PfNS6_17constant_iteratorIiNS6_11use_defaultESE_EENS6_10device_ptrIfEENSG_IlEEPmS8_NS6_8equal_toIfEEEE10hipError_tPvRmT2_T3_mT4_T5_T6_T7_T8_P12ihipStream_tbENKUlT_T0_E_clISt17integral_constantIbLb0EES12_IbLb1EEEEDaSY_SZ_EUlSY_E_NS1_11comp_targetILNS1_3genE10ELNS1_11target_archE1201ELNS1_3gpuE5ELNS1_3repE0EEENS1_30default_config_static_selectorELNS0_4arch9wavefront6targetE1EEEvT1_.kd
    .uniform_work_group_size: 1
    .uses_dynamic_stack: false
    .vgpr_count:     0
    .vgpr_spill_count: 0
    .wavefront_size: 64
  - .agpr_count:     0
    .args:
      - .offset:         0
        .size:           144
        .value_kind:     by_value
    .group_segment_fixed_size: 0
    .kernarg_segment_align: 8
    .kernarg_segment_size: 144
    .language:       OpenCL C
    .language_version:
      - 2
      - 0
    .max_flat_workgroup_size: 256
    .name:           _ZN7rocprim17ROCPRIM_400000_NS6detail17trampoline_kernelINS0_14default_configENS1_29reduce_by_key_config_selectorIflN6thrust23THRUST_200600_302600_NS4plusIlEEEEZZNS1_33reduce_by_key_impl_wrapped_configILNS1_25lookback_scan_determinismE0ES3_S9_PfNS6_17constant_iteratorIiNS6_11use_defaultESE_EENS6_10device_ptrIfEENSG_IlEEPmS8_NS6_8equal_toIfEEEE10hipError_tPvRmT2_T3_mT4_T5_T6_T7_T8_P12ihipStream_tbENKUlT_T0_E_clISt17integral_constantIbLb0EES12_IbLb1EEEEDaSY_SZ_EUlSY_E_NS1_11comp_targetILNS1_3genE10ELNS1_11target_archE1200ELNS1_3gpuE4ELNS1_3repE0EEENS1_30default_config_static_selectorELNS0_4arch9wavefront6targetE1EEEvT1_
    .private_segment_fixed_size: 0
    .sgpr_count:     4
    .sgpr_spill_count: 0
    .symbol:         _ZN7rocprim17ROCPRIM_400000_NS6detail17trampoline_kernelINS0_14default_configENS1_29reduce_by_key_config_selectorIflN6thrust23THRUST_200600_302600_NS4plusIlEEEEZZNS1_33reduce_by_key_impl_wrapped_configILNS1_25lookback_scan_determinismE0ES3_S9_PfNS6_17constant_iteratorIiNS6_11use_defaultESE_EENS6_10device_ptrIfEENSG_IlEEPmS8_NS6_8equal_toIfEEEE10hipError_tPvRmT2_T3_mT4_T5_T6_T7_T8_P12ihipStream_tbENKUlT_T0_E_clISt17integral_constantIbLb0EES12_IbLb1EEEEDaSY_SZ_EUlSY_E_NS1_11comp_targetILNS1_3genE10ELNS1_11target_archE1200ELNS1_3gpuE4ELNS1_3repE0EEENS1_30default_config_static_selectorELNS0_4arch9wavefront6targetE1EEEvT1_.kd
    .uniform_work_group_size: 1
    .uses_dynamic_stack: false
    .vgpr_count:     0
    .vgpr_spill_count: 0
    .wavefront_size: 64
  - .agpr_count:     0
    .args:
      - .offset:         0
        .size:           144
        .value_kind:     by_value
    .group_segment_fixed_size: 0
    .kernarg_segment_align: 8
    .kernarg_segment_size: 144
    .language:       OpenCL C
    .language_version:
      - 2
      - 0
    .max_flat_workgroup_size: 256
    .name:           _ZN7rocprim17ROCPRIM_400000_NS6detail17trampoline_kernelINS0_14default_configENS1_29reduce_by_key_config_selectorIflN6thrust23THRUST_200600_302600_NS4plusIlEEEEZZNS1_33reduce_by_key_impl_wrapped_configILNS1_25lookback_scan_determinismE0ES3_S9_PfNS6_17constant_iteratorIiNS6_11use_defaultESE_EENS6_10device_ptrIfEENSG_IlEEPmS8_NS6_8equal_toIfEEEE10hipError_tPvRmT2_T3_mT4_T5_T6_T7_T8_P12ihipStream_tbENKUlT_T0_E_clISt17integral_constantIbLb0EES12_IbLb1EEEEDaSY_SZ_EUlSY_E_NS1_11comp_targetILNS1_3genE9ELNS1_11target_archE1100ELNS1_3gpuE3ELNS1_3repE0EEENS1_30default_config_static_selectorELNS0_4arch9wavefront6targetE1EEEvT1_
    .private_segment_fixed_size: 0
    .sgpr_count:     4
    .sgpr_spill_count: 0
    .symbol:         _ZN7rocprim17ROCPRIM_400000_NS6detail17trampoline_kernelINS0_14default_configENS1_29reduce_by_key_config_selectorIflN6thrust23THRUST_200600_302600_NS4plusIlEEEEZZNS1_33reduce_by_key_impl_wrapped_configILNS1_25lookback_scan_determinismE0ES3_S9_PfNS6_17constant_iteratorIiNS6_11use_defaultESE_EENS6_10device_ptrIfEENSG_IlEEPmS8_NS6_8equal_toIfEEEE10hipError_tPvRmT2_T3_mT4_T5_T6_T7_T8_P12ihipStream_tbENKUlT_T0_E_clISt17integral_constantIbLb0EES12_IbLb1EEEEDaSY_SZ_EUlSY_E_NS1_11comp_targetILNS1_3genE9ELNS1_11target_archE1100ELNS1_3gpuE3ELNS1_3repE0EEENS1_30default_config_static_selectorELNS0_4arch9wavefront6targetE1EEEvT1_.kd
    .uniform_work_group_size: 1
    .uses_dynamic_stack: false
    .vgpr_count:     0
    .vgpr_spill_count: 0
    .wavefront_size: 64
  - .agpr_count:     0
    .args:
      - .offset:         0
        .size:           144
        .value_kind:     by_value
    .group_segment_fixed_size: 0
    .kernarg_segment_align: 8
    .kernarg_segment_size: 144
    .language:       OpenCL C
    .language_version:
      - 2
      - 0
    .max_flat_workgroup_size: 256
    .name:           _ZN7rocprim17ROCPRIM_400000_NS6detail17trampoline_kernelINS0_14default_configENS1_29reduce_by_key_config_selectorIflN6thrust23THRUST_200600_302600_NS4plusIlEEEEZZNS1_33reduce_by_key_impl_wrapped_configILNS1_25lookback_scan_determinismE0ES3_S9_PfNS6_17constant_iteratorIiNS6_11use_defaultESE_EENS6_10device_ptrIfEENSG_IlEEPmS8_NS6_8equal_toIfEEEE10hipError_tPvRmT2_T3_mT4_T5_T6_T7_T8_P12ihipStream_tbENKUlT_T0_E_clISt17integral_constantIbLb0EES12_IbLb1EEEEDaSY_SZ_EUlSY_E_NS1_11comp_targetILNS1_3genE8ELNS1_11target_archE1030ELNS1_3gpuE2ELNS1_3repE0EEENS1_30default_config_static_selectorELNS0_4arch9wavefront6targetE1EEEvT1_
    .private_segment_fixed_size: 0
    .sgpr_count:     4
    .sgpr_spill_count: 0
    .symbol:         _ZN7rocprim17ROCPRIM_400000_NS6detail17trampoline_kernelINS0_14default_configENS1_29reduce_by_key_config_selectorIflN6thrust23THRUST_200600_302600_NS4plusIlEEEEZZNS1_33reduce_by_key_impl_wrapped_configILNS1_25lookback_scan_determinismE0ES3_S9_PfNS6_17constant_iteratorIiNS6_11use_defaultESE_EENS6_10device_ptrIfEENSG_IlEEPmS8_NS6_8equal_toIfEEEE10hipError_tPvRmT2_T3_mT4_T5_T6_T7_T8_P12ihipStream_tbENKUlT_T0_E_clISt17integral_constantIbLb0EES12_IbLb1EEEEDaSY_SZ_EUlSY_E_NS1_11comp_targetILNS1_3genE8ELNS1_11target_archE1030ELNS1_3gpuE2ELNS1_3repE0EEENS1_30default_config_static_selectorELNS0_4arch9wavefront6targetE1EEEvT1_.kd
    .uniform_work_group_size: 1
    .uses_dynamic_stack: false
    .vgpr_count:     0
    .vgpr_spill_count: 0
    .wavefront_size: 64
  - .agpr_count:     0
    .args:
      - .offset:         0
        .size:           88
        .value_kind:     by_value
    .group_segment_fixed_size: 0
    .kernarg_segment_align: 8
    .kernarg_segment_size: 88
    .language:       OpenCL C
    .language_version:
      - 2
      - 0
    .max_flat_workgroup_size: 128
    .name:           _ZN7rocprim17ROCPRIM_400000_NS6detail17trampoline_kernelINS0_14default_configENS1_22reduce_config_selectorIN6thrust23THRUST_200600_302600_NS5tupleIblNS6_9null_typeES8_S8_S8_S8_S8_S8_S8_EEEEZNS1_11reduce_implILb1ES3_NS6_12zip_iteratorINS7_INS6_11hip_rocprim26transform_input_iterator_tIbPfNS6_6detail10functional5actorINSH_9compositeIJNSH_27transparent_binary_operatorINS6_8equal_toIvEEEENSI_INSH_8argumentILj0EEEEENSH_5valueIfEEEEEEEEENSD_19counting_iterator_tIlEES8_S8_S8_S8_S8_S8_S8_S8_EEEEPS9_S9_NSD_9__find_if7functorIS9_EEEE10hipError_tPvRmT1_T2_T3_mT4_P12ihipStream_tbEUlT_E0_NS1_11comp_targetILNS1_3genE0ELNS1_11target_archE4294967295ELNS1_3gpuE0ELNS1_3repE0EEENS1_30default_config_static_selectorELNS0_4arch9wavefront6targetE1EEEvS17_
    .private_segment_fixed_size: 0
    .sgpr_count:     4
    .sgpr_spill_count: 0
    .symbol:         _ZN7rocprim17ROCPRIM_400000_NS6detail17trampoline_kernelINS0_14default_configENS1_22reduce_config_selectorIN6thrust23THRUST_200600_302600_NS5tupleIblNS6_9null_typeES8_S8_S8_S8_S8_S8_S8_EEEEZNS1_11reduce_implILb1ES3_NS6_12zip_iteratorINS7_INS6_11hip_rocprim26transform_input_iterator_tIbPfNS6_6detail10functional5actorINSH_9compositeIJNSH_27transparent_binary_operatorINS6_8equal_toIvEEEENSI_INSH_8argumentILj0EEEEENSH_5valueIfEEEEEEEEENSD_19counting_iterator_tIlEES8_S8_S8_S8_S8_S8_S8_S8_EEEEPS9_S9_NSD_9__find_if7functorIS9_EEEE10hipError_tPvRmT1_T2_T3_mT4_P12ihipStream_tbEUlT_E0_NS1_11comp_targetILNS1_3genE0ELNS1_11target_archE4294967295ELNS1_3gpuE0ELNS1_3repE0EEENS1_30default_config_static_selectorELNS0_4arch9wavefront6targetE1EEEvS17_.kd
    .uniform_work_group_size: 1
    .uses_dynamic_stack: false
    .vgpr_count:     0
    .vgpr_spill_count: 0
    .wavefront_size: 64
  - .agpr_count:     0
    .args:
      - .offset:         0
        .size:           88
        .value_kind:     by_value
    .group_segment_fixed_size: 0
    .kernarg_segment_align: 8
    .kernarg_segment_size: 88
    .language:       OpenCL C
    .language_version:
      - 2
      - 0
    .max_flat_workgroup_size: 256
    .name:           _ZN7rocprim17ROCPRIM_400000_NS6detail17trampoline_kernelINS0_14default_configENS1_22reduce_config_selectorIN6thrust23THRUST_200600_302600_NS5tupleIblNS6_9null_typeES8_S8_S8_S8_S8_S8_S8_EEEEZNS1_11reduce_implILb1ES3_NS6_12zip_iteratorINS7_INS6_11hip_rocprim26transform_input_iterator_tIbPfNS6_6detail10functional5actorINSH_9compositeIJNSH_27transparent_binary_operatorINS6_8equal_toIvEEEENSI_INSH_8argumentILj0EEEEENSH_5valueIfEEEEEEEEENSD_19counting_iterator_tIlEES8_S8_S8_S8_S8_S8_S8_S8_EEEEPS9_S9_NSD_9__find_if7functorIS9_EEEE10hipError_tPvRmT1_T2_T3_mT4_P12ihipStream_tbEUlT_E0_NS1_11comp_targetILNS1_3genE5ELNS1_11target_archE942ELNS1_3gpuE9ELNS1_3repE0EEENS1_30default_config_static_selectorELNS0_4arch9wavefront6targetE1EEEvS17_
    .private_segment_fixed_size: 0
    .sgpr_count:     4
    .sgpr_spill_count: 0
    .symbol:         _ZN7rocprim17ROCPRIM_400000_NS6detail17trampoline_kernelINS0_14default_configENS1_22reduce_config_selectorIN6thrust23THRUST_200600_302600_NS5tupleIblNS6_9null_typeES8_S8_S8_S8_S8_S8_S8_EEEEZNS1_11reduce_implILb1ES3_NS6_12zip_iteratorINS7_INS6_11hip_rocprim26transform_input_iterator_tIbPfNS6_6detail10functional5actorINSH_9compositeIJNSH_27transparent_binary_operatorINS6_8equal_toIvEEEENSI_INSH_8argumentILj0EEEEENSH_5valueIfEEEEEEEEENSD_19counting_iterator_tIlEES8_S8_S8_S8_S8_S8_S8_S8_EEEEPS9_S9_NSD_9__find_if7functorIS9_EEEE10hipError_tPvRmT1_T2_T3_mT4_P12ihipStream_tbEUlT_E0_NS1_11comp_targetILNS1_3genE5ELNS1_11target_archE942ELNS1_3gpuE9ELNS1_3repE0EEENS1_30default_config_static_selectorELNS0_4arch9wavefront6targetE1EEEvS17_.kd
    .uniform_work_group_size: 1
    .uses_dynamic_stack: false
    .vgpr_count:     0
    .vgpr_spill_count: 0
    .wavefront_size: 64
  - .agpr_count:     0
    .args:
      - .offset:         0
        .size:           88
        .value_kind:     by_value
    .group_segment_fixed_size: 128
    .kernarg_segment_align: 8
    .kernarg_segment_size: 88
    .language:       OpenCL C
    .language_version:
      - 2
      - 0
    .max_flat_workgroup_size: 256
    .name:           _ZN7rocprim17ROCPRIM_400000_NS6detail17trampoline_kernelINS0_14default_configENS1_22reduce_config_selectorIN6thrust23THRUST_200600_302600_NS5tupleIblNS6_9null_typeES8_S8_S8_S8_S8_S8_S8_EEEEZNS1_11reduce_implILb1ES3_NS6_12zip_iteratorINS7_INS6_11hip_rocprim26transform_input_iterator_tIbPfNS6_6detail10functional5actorINSH_9compositeIJNSH_27transparent_binary_operatorINS6_8equal_toIvEEEENSI_INSH_8argumentILj0EEEEENSH_5valueIfEEEEEEEEENSD_19counting_iterator_tIlEES8_S8_S8_S8_S8_S8_S8_S8_EEEEPS9_S9_NSD_9__find_if7functorIS9_EEEE10hipError_tPvRmT1_T2_T3_mT4_P12ihipStream_tbEUlT_E0_NS1_11comp_targetILNS1_3genE4ELNS1_11target_archE910ELNS1_3gpuE8ELNS1_3repE0EEENS1_30default_config_static_selectorELNS0_4arch9wavefront6targetE1EEEvS17_
    .private_segment_fixed_size: 0
    .sgpr_count:     29
    .sgpr_spill_count: 0
    .symbol:         _ZN7rocprim17ROCPRIM_400000_NS6detail17trampoline_kernelINS0_14default_configENS1_22reduce_config_selectorIN6thrust23THRUST_200600_302600_NS5tupleIblNS6_9null_typeES8_S8_S8_S8_S8_S8_S8_EEEEZNS1_11reduce_implILb1ES3_NS6_12zip_iteratorINS7_INS6_11hip_rocprim26transform_input_iterator_tIbPfNS6_6detail10functional5actorINSH_9compositeIJNSH_27transparent_binary_operatorINS6_8equal_toIvEEEENSI_INSH_8argumentILj0EEEEENSH_5valueIfEEEEEEEEENSD_19counting_iterator_tIlEES8_S8_S8_S8_S8_S8_S8_S8_EEEEPS9_S9_NSD_9__find_if7functorIS9_EEEE10hipError_tPvRmT1_T2_T3_mT4_P12ihipStream_tbEUlT_E0_NS1_11comp_targetILNS1_3genE4ELNS1_11target_archE910ELNS1_3gpuE8ELNS1_3repE0EEENS1_30default_config_static_selectorELNS0_4arch9wavefront6targetE1EEEvS17_.kd
    .uniform_work_group_size: 1
    .uses_dynamic_stack: false
    .vgpr_count:     12
    .vgpr_spill_count: 0
    .wavefront_size: 64
  - .agpr_count:     0
    .args:
      - .offset:         0
        .size:           88
        .value_kind:     by_value
    .group_segment_fixed_size: 0
    .kernarg_segment_align: 8
    .kernarg_segment_size: 88
    .language:       OpenCL C
    .language_version:
      - 2
      - 0
    .max_flat_workgroup_size: 128
    .name:           _ZN7rocprim17ROCPRIM_400000_NS6detail17trampoline_kernelINS0_14default_configENS1_22reduce_config_selectorIN6thrust23THRUST_200600_302600_NS5tupleIblNS6_9null_typeES8_S8_S8_S8_S8_S8_S8_EEEEZNS1_11reduce_implILb1ES3_NS6_12zip_iteratorINS7_INS6_11hip_rocprim26transform_input_iterator_tIbPfNS6_6detail10functional5actorINSH_9compositeIJNSH_27transparent_binary_operatorINS6_8equal_toIvEEEENSI_INSH_8argumentILj0EEEEENSH_5valueIfEEEEEEEEENSD_19counting_iterator_tIlEES8_S8_S8_S8_S8_S8_S8_S8_EEEEPS9_S9_NSD_9__find_if7functorIS9_EEEE10hipError_tPvRmT1_T2_T3_mT4_P12ihipStream_tbEUlT_E0_NS1_11comp_targetILNS1_3genE3ELNS1_11target_archE908ELNS1_3gpuE7ELNS1_3repE0EEENS1_30default_config_static_selectorELNS0_4arch9wavefront6targetE1EEEvS17_
    .private_segment_fixed_size: 0
    .sgpr_count:     4
    .sgpr_spill_count: 0
    .symbol:         _ZN7rocprim17ROCPRIM_400000_NS6detail17trampoline_kernelINS0_14default_configENS1_22reduce_config_selectorIN6thrust23THRUST_200600_302600_NS5tupleIblNS6_9null_typeES8_S8_S8_S8_S8_S8_S8_EEEEZNS1_11reduce_implILb1ES3_NS6_12zip_iteratorINS7_INS6_11hip_rocprim26transform_input_iterator_tIbPfNS6_6detail10functional5actorINSH_9compositeIJNSH_27transparent_binary_operatorINS6_8equal_toIvEEEENSI_INSH_8argumentILj0EEEEENSH_5valueIfEEEEEEEEENSD_19counting_iterator_tIlEES8_S8_S8_S8_S8_S8_S8_S8_EEEEPS9_S9_NSD_9__find_if7functorIS9_EEEE10hipError_tPvRmT1_T2_T3_mT4_P12ihipStream_tbEUlT_E0_NS1_11comp_targetILNS1_3genE3ELNS1_11target_archE908ELNS1_3gpuE7ELNS1_3repE0EEENS1_30default_config_static_selectorELNS0_4arch9wavefront6targetE1EEEvS17_.kd
    .uniform_work_group_size: 1
    .uses_dynamic_stack: false
    .vgpr_count:     0
    .vgpr_spill_count: 0
    .wavefront_size: 64
  - .agpr_count:     0
    .args:
      - .offset:         0
        .size:           88
        .value_kind:     by_value
    .group_segment_fixed_size: 0
    .kernarg_segment_align: 8
    .kernarg_segment_size: 88
    .language:       OpenCL C
    .language_version:
      - 2
      - 0
    .max_flat_workgroup_size: 128
    .name:           _ZN7rocprim17ROCPRIM_400000_NS6detail17trampoline_kernelINS0_14default_configENS1_22reduce_config_selectorIN6thrust23THRUST_200600_302600_NS5tupleIblNS6_9null_typeES8_S8_S8_S8_S8_S8_S8_EEEEZNS1_11reduce_implILb1ES3_NS6_12zip_iteratorINS7_INS6_11hip_rocprim26transform_input_iterator_tIbPfNS6_6detail10functional5actorINSH_9compositeIJNSH_27transparent_binary_operatorINS6_8equal_toIvEEEENSI_INSH_8argumentILj0EEEEENSH_5valueIfEEEEEEEEENSD_19counting_iterator_tIlEES8_S8_S8_S8_S8_S8_S8_S8_EEEEPS9_S9_NSD_9__find_if7functorIS9_EEEE10hipError_tPvRmT1_T2_T3_mT4_P12ihipStream_tbEUlT_E0_NS1_11comp_targetILNS1_3genE2ELNS1_11target_archE906ELNS1_3gpuE6ELNS1_3repE0EEENS1_30default_config_static_selectorELNS0_4arch9wavefront6targetE1EEEvS17_
    .private_segment_fixed_size: 0
    .sgpr_count:     4
    .sgpr_spill_count: 0
    .symbol:         _ZN7rocprim17ROCPRIM_400000_NS6detail17trampoline_kernelINS0_14default_configENS1_22reduce_config_selectorIN6thrust23THRUST_200600_302600_NS5tupleIblNS6_9null_typeES8_S8_S8_S8_S8_S8_S8_EEEEZNS1_11reduce_implILb1ES3_NS6_12zip_iteratorINS7_INS6_11hip_rocprim26transform_input_iterator_tIbPfNS6_6detail10functional5actorINSH_9compositeIJNSH_27transparent_binary_operatorINS6_8equal_toIvEEEENSI_INSH_8argumentILj0EEEEENSH_5valueIfEEEEEEEEENSD_19counting_iterator_tIlEES8_S8_S8_S8_S8_S8_S8_S8_EEEEPS9_S9_NSD_9__find_if7functorIS9_EEEE10hipError_tPvRmT1_T2_T3_mT4_P12ihipStream_tbEUlT_E0_NS1_11comp_targetILNS1_3genE2ELNS1_11target_archE906ELNS1_3gpuE6ELNS1_3repE0EEENS1_30default_config_static_selectorELNS0_4arch9wavefront6targetE1EEEvS17_.kd
    .uniform_work_group_size: 1
    .uses_dynamic_stack: false
    .vgpr_count:     0
    .vgpr_spill_count: 0
    .wavefront_size: 64
  - .agpr_count:     0
    .args:
      - .offset:         0
        .size:           88
        .value_kind:     by_value
    .group_segment_fixed_size: 0
    .kernarg_segment_align: 8
    .kernarg_segment_size: 88
    .language:       OpenCL C
    .language_version:
      - 2
      - 0
    .max_flat_workgroup_size: 256
    .name:           _ZN7rocprim17ROCPRIM_400000_NS6detail17trampoline_kernelINS0_14default_configENS1_22reduce_config_selectorIN6thrust23THRUST_200600_302600_NS5tupleIblNS6_9null_typeES8_S8_S8_S8_S8_S8_S8_EEEEZNS1_11reduce_implILb1ES3_NS6_12zip_iteratorINS7_INS6_11hip_rocprim26transform_input_iterator_tIbPfNS6_6detail10functional5actorINSH_9compositeIJNSH_27transparent_binary_operatorINS6_8equal_toIvEEEENSI_INSH_8argumentILj0EEEEENSH_5valueIfEEEEEEEEENSD_19counting_iterator_tIlEES8_S8_S8_S8_S8_S8_S8_S8_EEEEPS9_S9_NSD_9__find_if7functorIS9_EEEE10hipError_tPvRmT1_T2_T3_mT4_P12ihipStream_tbEUlT_E0_NS1_11comp_targetILNS1_3genE10ELNS1_11target_archE1201ELNS1_3gpuE5ELNS1_3repE0EEENS1_30default_config_static_selectorELNS0_4arch9wavefront6targetE1EEEvS17_
    .private_segment_fixed_size: 0
    .sgpr_count:     4
    .sgpr_spill_count: 0
    .symbol:         _ZN7rocprim17ROCPRIM_400000_NS6detail17trampoline_kernelINS0_14default_configENS1_22reduce_config_selectorIN6thrust23THRUST_200600_302600_NS5tupleIblNS6_9null_typeES8_S8_S8_S8_S8_S8_S8_EEEEZNS1_11reduce_implILb1ES3_NS6_12zip_iteratorINS7_INS6_11hip_rocprim26transform_input_iterator_tIbPfNS6_6detail10functional5actorINSH_9compositeIJNSH_27transparent_binary_operatorINS6_8equal_toIvEEEENSI_INSH_8argumentILj0EEEEENSH_5valueIfEEEEEEEEENSD_19counting_iterator_tIlEES8_S8_S8_S8_S8_S8_S8_S8_EEEEPS9_S9_NSD_9__find_if7functorIS9_EEEE10hipError_tPvRmT1_T2_T3_mT4_P12ihipStream_tbEUlT_E0_NS1_11comp_targetILNS1_3genE10ELNS1_11target_archE1201ELNS1_3gpuE5ELNS1_3repE0EEENS1_30default_config_static_selectorELNS0_4arch9wavefront6targetE1EEEvS17_.kd
    .uniform_work_group_size: 1
    .uses_dynamic_stack: false
    .vgpr_count:     0
    .vgpr_spill_count: 0
    .wavefront_size: 64
  - .agpr_count:     0
    .args:
      - .offset:         0
        .size:           88
        .value_kind:     by_value
    .group_segment_fixed_size: 0
    .kernarg_segment_align: 8
    .kernarg_segment_size: 88
    .language:       OpenCL C
    .language_version:
      - 2
      - 0
    .max_flat_workgroup_size: 256
    .name:           _ZN7rocprim17ROCPRIM_400000_NS6detail17trampoline_kernelINS0_14default_configENS1_22reduce_config_selectorIN6thrust23THRUST_200600_302600_NS5tupleIblNS6_9null_typeES8_S8_S8_S8_S8_S8_S8_EEEEZNS1_11reduce_implILb1ES3_NS6_12zip_iteratorINS7_INS6_11hip_rocprim26transform_input_iterator_tIbPfNS6_6detail10functional5actorINSH_9compositeIJNSH_27transparent_binary_operatorINS6_8equal_toIvEEEENSI_INSH_8argumentILj0EEEEENSH_5valueIfEEEEEEEEENSD_19counting_iterator_tIlEES8_S8_S8_S8_S8_S8_S8_S8_EEEEPS9_S9_NSD_9__find_if7functorIS9_EEEE10hipError_tPvRmT1_T2_T3_mT4_P12ihipStream_tbEUlT_E0_NS1_11comp_targetILNS1_3genE10ELNS1_11target_archE1200ELNS1_3gpuE4ELNS1_3repE0EEENS1_30default_config_static_selectorELNS0_4arch9wavefront6targetE1EEEvS17_
    .private_segment_fixed_size: 0
    .sgpr_count:     4
    .sgpr_spill_count: 0
    .symbol:         _ZN7rocprim17ROCPRIM_400000_NS6detail17trampoline_kernelINS0_14default_configENS1_22reduce_config_selectorIN6thrust23THRUST_200600_302600_NS5tupleIblNS6_9null_typeES8_S8_S8_S8_S8_S8_S8_EEEEZNS1_11reduce_implILb1ES3_NS6_12zip_iteratorINS7_INS6_11hip_rocprim26transform_input_iterator_tIbPfNS6_6detail10functional5actorINSH_9compositeIJNSH_27transparent_binary_operatorINS6_8equal_toIvEEEENSI_INSH_8argumentILj0EEEEENSH_5valueIfEEEEEEEEENSD_19counting_iterator_tIlEES8_S8_S8_S8_S8_S8_S8_S8_EEEEPS9_S9_NSD_9__find_if7functorIS9_EEEE10hipError_tPvRmT1_T2_T3_mT4_P12ihipStream_tbEUlT_E0_NS1_11comp_targetILNS1_3genE10ELNS1_11target_archE1200ELNS1_3gpuE4ELNS1_3repE0EEENS1_30default_config_static_selectorELNS0_4arch9wavefront6targetE1EEEvS17_.kd
    .uniform_work_group_size: 1
    .uses_dynamic_stack: false
    .vgpr_count:     0
    .vgpr_spill_count: 0
    .wavefront_size: 64
  - .agpr_count:     0
    .args:
      - .offset:         0
        .size:           88
        .value_kind:     by_value
    .group_segment_fixed_size: 0
    .kernarg_segment_align: 8
    .kernarg_segment_size: 88
    .language:       OpenCL C
    .language_version:
      - 2
      - 0
    .max_flat_workgroup_size: 256
    .name:           _ZN7rocprim17ROCPRIM_400000_NS6detail17trampoline_kernelINS0_14default_configENS1_22reduce_config_selectorIN6thrust23THRUST_200600_302600_NS5tupleIblNS6_9null_typeES8_S8_S8_S8_S8_S8_S8_EEEEZNS1_11reduce_implILb1ES3_NS6_12zip_iteratorINS7_INS6_11hip_rocprim26transform_input_iterator_tIbPfNS6_6detail10functional5actorINSH_9compositeIJNSH_27transparent_binary_operatorINS6_8equal_toIvEEEENSI_INSH_8argumentILj0EEEEENSH_5valueIfEEEEEEEEENSD_19counting_iterator_tIlEES8_S8_S8_S8_S8_S8_S8_S8_EEEEPS9_S9_NSD_9__find_if7functorIS9_EEEE10hipError_tPvRmT1_T2_T3_mT4_P12ihipStream_tbEUlT_E0_NS1_11comp_targetILNS1_3genE9ELNS1_11target_archE1100ELNS1_3gpuE3ELNS1_3repE0EEENS1_30default_config_static_selectorELNS0_4arch9wavefront6targetE1EEEvS17_
    .private_segment_fixed_size: 0
    .sgpr_count:     4
    .sgpr_spill_count: 0
    .symbol:         _ZN7rocprim17ROCPRIM_400000_NS6detail17trampoline_kernelINS0_14default_configENS1_22reduce_config_selectorIN6thrust23THRUST_200600_302600_NS5tupleIblNS6_9null_typeES8_S8_S8_S8_S8_S8_S8_EEEEZNS1_11reduce_implILb1ES3_NS6_12zip_iteratorINS7_INS6_11hip_rocprim26transform_input_iterator_tIbPfNS6_6detail10functional5actorINSH_9compositeIJNSH_27transparent_binary_operatorINS6_8equal_toIvEEEENSI_INSH_8argumentILj0EEEEENSH_5valueIfEEEEEEEEENSD_19counting_iterator_tIlEES8_S8_S8_S8_S8_S8_S8_S8_EEEEPS9_S9_NSD_9__find_if7functorIS9_EEEE10hipError_tPvRmT1_T2_T3_mT4_P12ihipStream_tbEUlT_E0_NS1_11comp_targetILNS1_3genE9ELNS1_11target_archE1100ELNS1_3gpuE3ELNS1_3repE0EEENS1_30default_config_static_selectorELNS0_4arch9wavefront6targetE1EEEvS17_.kd
    .uniform_work_group_size: 1
    .uses_dynamic_stack: false
    .vgpr_count:     0
    .vgpr_spill_count: 0
    .wavefront_size: 64
  - .agpr_count:     0
    .args:
      - .offset:         0
        .size:           88
        .value_kind:     by_value
    .group_segment_fixed_size: 0
    .kernarg_segment_align: 8
    .kernarg_segment_size: 88
    .language:       OpenCL C
    .language_version:
      - 2
      - 0
    .max_flat_workgroup_size: 256
    .name:           _ZN7rocprim17ROCPRIM_400000_NS6detail17trampoline_kernelINS0_14default_configENS1_22reduce_config_selectorIN6thrust23THRUST_200600_302600_NS5tupleIblNS6_9null_typeES8_S8_S8_S8_S8_S8_S8_EEEEZNS1_11reduce_implILb1ES3_NS6_12zip_iteratorINS7_INS6_11hip_rocprim26transform_input_iterator_tIbPfNS6_6detail10functional5actorINSH_9compositeIJNSH_27transparent_binary_operatorINS6_8equal_toIvEEEENSI_INSH_8argumentILj0EEEEENSH_5valueIfEEEEEEEEENSD_19counting_iterator_tIlEES8_S8_S8_S8_S8_S8_S8_S8_EEEEPS9_S9_NSD_9__find_if7functorIS9_EEEE10hipError_tPvRmT1_T2_T3_mT4_P12ihipStream_tbEUlT_E0_NS1_11comp_targetILNS1_3genE8ELNS1_11target_archE1030ELNS1_3gpuE2ELNS1_3repE0EEENS1_30default_config_static_selectorELNS0_4arch9wavefront6targetE1EEEvS17_
    .private_segment_fixed_size: 0
    .sgpr_count:     4
    .sgpr_spill_count: 0
    .symbol:         _ZN7rocprim17ROCPRIM_400000_NS6detail17trampoline_kernelINS0_14default_configENS1_22reduce_config_selectorIN6thrust23THRUST_200600_302600_NS5tupleIblNS6_9null_typeES8_S8_S8_S8_S8_S8_S8_EEEEZNS1_11reduce_implILb1ES3_NS6_12zip_iteratorINS7_INS6_11hip_rocprim26transform_input_iterator_tIbPfNS6_6detail10functional5actorINSH_9compositeIJNSH_27transparent_binary_operatorINS6_8equal_toIvEEEENSI_INSH_8argumentILj0EEEEENSH_5valueIfEEEEEEEEENSD_19counting_iterator_tIlEES8_S8_S8_S8_S8_S8_S8_S8_EEEEPS9_S9_NSD_9__find_if7functorIS9_EEEE10hipError_tPvRmT1_T2_T3_mT4_P12ihipStream_tbEUlT_E0_NS1_11comp_targetILNS1_3genE8ELNS1_11target_archE1030ELNS1_3gpuE2ELNS1_3repE0EEENS1_30default_config_static_selectorELNS0_4arch9wavefront6targetE1EEEvS17_.kd
    .uniform_work_group_size: 1
    .uses_dynamic_stack: false
    .vgpr_count:     0
    .vgpr_spill_count: 0
    .wavefront_size: 64
  - .agpr_count:     0
    .args:
      - .offset:         0
        .size:           72
        .value_kind:     by_value
    .group_segment_fixed_size: 0
    .kernarg_segment_align: 8
    .kernarg_segment_size: 72
    .language:       OpenCL C
    .language_version:
      - 2
      - 0
    .max_flat_workgroup_size: 128
    .name:           _ZN7rocprim17ROCPRIM_400000_NS6detail17trampoline_kernelINS0_14default_configENS1_22reduce_config_selectorIN6thrust23THRUST_200600_302600_NS5tupleIblNS6_9null_typeES8_S8_S8_S8_S8_S8_S8_EEEEZNS1_11reduce_implILb1ES3_NS6_12zip_iteratorINS7_INS6_11hip_rocprim26transform_input_iterator_tIbPfNS6_6detail10functional5actorINSH_9compositeIJNSH_27transparent_binary_operatorINS6_8equal_toIvEEEENSI_INSH_8argumentILj0EEEEENSH_5valueIfEEEEEEEEENSD_19counting_iterator_tIlEES8_S8_S8_S8_S8_S8_S8_S8_EEEEPS9_S9_NSD_9__find_if7functorIS9_EEEE10hipError_tPvRmT1_T2_T3_mT4_P12ihipStream_tbEUlT_E1_NS1_11comp_targetILNS1_3genE0ELNS1_11target_archE4294967295ELNS1_3gpuE0ELNS1_3repE0EEENS1_30default_config_static_selectorELNS0_4arch9wavefront6targetE1EEEvS17_
    .private_segment_fixed_size: 0
    .sgpr_count:     4
    .sgpr_spill_count: 0
    .symbol:         _ZN7rocprim17ROCPRIM_400000_NS6detail17trampoline_kernelINS0_14default_configENS1_22reduce_config_selectorIN6thrust23THRUST_200600_302600_NS5tupleIblNS6_9null_typeES8_S8_S8_S8_S8_S8_S8_EEEEZNS1_11reduce_implILb1ES3_NS6_12zip_iteratorINS7_INS6_11hip_rocprim26transform_input_iterator_tIbPfNS6_6detail10functional5actorINSH_9compositeIJNSH_27transparent_binary_operatorINS6_8equal_toIvEEEENSI_INSH_8argumentILj0EEEEENSH_5valueIfEEEEEEEEENSD_19counting_iterator_tIlEES8_S8_S8_S8_S8_S8_S8_S8_EEEEPS9_S9_NSD_9__find_if7functorIS9_EEEE10hipError_tPvRmT1_T2_T3_mT4_P12ihipStream_tbEUlT_E1_NS1_11comp_targetILNS1_3genE0ELNS1_11target_archE4294967295ELNS1_3gpuE0ELNS1_3repE0EEENS1_30default_config_static_selectorELNS0_4arch9wavefront6targetE1EEEvS17_.kd
    .uniform_work_group_size: 1
    .uses_dynamic_stack: false
    .vgpr_count:     0
    .vgpr_spill_count: 0
    .wavefront_size: 64
  - .agpr_count:     0
    .args:
      - .offset:         0
        .size:           72
        .value_kind:     by_value
    .group_segment_fixed_size: 0
    .kernarg_segment_align: 8
    .kernarg_segment_size: 72
    .language:       OpenCL C
    .language_version:
      - 2
      - 0
    .max_flat_workgroup_size: 256
    .name:           _ZN7rocprim17ROCPRIM_400000_NS6detail17trampoline_kernelINS0_14default_configENS1_22reduce_config_selectorIN6thrust23THRUST_200600_302600_NS5tupleIblNS6_9null_typeES8_S8_S8_S8_S8_S8_S8_EEEEZNS1_11reduce_implILb1ES3_NS6_12zip_iteratorINS7_INS6_11hip_rocprim26transform_input_iterator_tIbPfNS6_6detail10functional5actorINSH_9compositeIJNSH_27transparent_binary_operatorINS6_8equal_toIvEEEENSI_INSH_8argumentILj0EEEEENSH_5valueIfEEEEEEEEENSD_19counting_iterator_tIlEES8_S8_S8_S8_S8_S8_S8_S8_EEEEPS9_S9_NSD_9__find_if7functorIS9_EEEE10hipError_tPvRmT1_T2_T3_mT4_P12ihipStream_tbEUlT_E1_NS1_11comp_targetILNS1_3genE5ELNS1_11target_archE942ELNS1_3gpuE9ELNS1_3repE0EEENS1_30default_config_static_selectorELNS0_4arch9wavefront6targetE1EEEvS17_
    .private_segment_fixed_size: 0
    .sgpr_count:     4
    .sgpr_spill_count: 0
    .symbol:         _ZN7rocprim17ROCPRIM_400000_NS6detail17trampoline_kernelINS0_14default_configENS1_22reduce_config_selectorIN6thrust23THRUST_200600_302600_NS5tupleIblNS6_9null_typeES8_S8_S8_S8_S8_S8_S8_EEEEZNS1_11reduce_implILb1ES3_NS6_12zip_iteratorINS7_INS6_11hip_rocprim26transform_input_iterator_tIbPfNS6_6detail10functional5actorINSH_9compositeIJNSH_27transparent_binary_operatorINS6_8equal_toIvEEEENSI_INSH_8argumentILj0EEEEENSH_5valueIfEEEEEEEEENSD_19counting_iterator_tIlEES8_S8_S8_S8_S8_S8_S8_S8_EEEEPS9_S9_NSD_9__find_if7functorIS9_EEEE10hipError_tPvRmT1_T2_T3_mT4_P12ihipStream_tbEUlT_E1_NS1_11comp_targetILNS1_3genE5ELNS1_11target_archE942ELNS1_3gpuE9ELNS1_3repE0EEENS1_30default_config_static_selectorELNS0_4arch9wavefront6targetE1EEEvS17_.kd
    .uniform_work_group_size: 1
    .uses_dynamic_stack: false
    .vgpr_count:     0
    .vgpr_spill_count: 0
    .wavefront_size: 64
  - .agpr_count:     0
    .args:
      - .offset:         0
        .size:           72
        .value_kind:     by_value
    .group_segment_fixed_size: 320
    .kernarg_segment_align: 8
    .kernarg_segment_size: 72
    .language:       OpenCL C
    .language_version:
      - 2
      - 0
    .max_flat_workgroup_size: 256
    .name:           _ZN7rocprim17ROCPRIM_400000_NS6detail17trampoline_kernelINS0_14default_configENS1_22reduce_config_selectorIN6thrust23THRUST_200600_302600_NS5tupleIblNS6_9null_typeES8_S8_S8_S8_S8_S8_S8_EEEEZNS1_11reduce_implILb1ES3_NS6_12zip_iteratorINS7_INS6_11hip_rocprim26transform_input_iterator_tIbPfNS6_6detail10functional5actorINSH_9compositeIJNSH_27transparent_binary_operatorINS6_8equal_toIvEEEENSI_INSH_8argumentILj0EEEEENSH_5valueIfEEEEEEEEENSD_19counting_iterator_tIlEES8_S8_S8_S8_S8_S8_S8_S8_EEEEPS9_S9_NSD_9__find_if7functorIS9_EEEE10hipError_tPvRmT1_T2_T3_mT4_P12ihipStream_tbEUlT_E1_NS1_11comp_targetILNS1_3genE4ELNS1_11target_archE910ELNS1_3gpuE8ELNS1_3repE0EEENS1_30default_config_static_selectorELNS0_4arch9wavefront6targetE1EEEvS17_
    .private_segment_fixed_size: 0
    .sgpr_count:     41
    .sgpr_spill_count: 0
    .symbol:         _ZN7rocprim17ROCPRIM_400000_NS6detail17trampoline_kernelINS0_14default_configENS1_22reduce_config_selectorIN6thrust23THRUST_200600_302600_NS5tupleIblNS6_9null_typeES8_S8_S8_S8_S8_S8_S8_EEEEZNS1_11reduce_implILb1ES3_NS6_12zip_iteratorINS7_INS6_11hip_rocprim26transform_input_iterator_tIbPfNS6_6detail10functional5actorINSH_9compositeIJNSH_27transparent_binary_operatorINS6_8equal_toIvEEEENSI_INSH_8argumentILj0EEEEENSH_5valueIfEEEEEEEEENSD_19counting_iterator_tIlEES8_S8_S8_S8_S8_S8_S8_S8_EEEEPS9_S9_NSD_9__find_if7functorIS9_EEEE10hipError_tPvRmT1_T2_T3_mT4_P12ihipStream_tbEUlT_E1_NS1_11comp_targetILNS1_3genE4ELNS1_11target_archE910ELNS1_3gpuE8ELNS1_3repE0EEENS1_30default_config_static_selectorELNS0_4arch9wavefront6targetE1EEEvS17_.kd
    .uniform_work_group_size: 1
    .uses_dynamic_stack: false
    .vgpr_count:     27
    .vgpr_spill_count: 0
    .wavefront_size: 64
  - .agpr_count:     0
    .args:
      - .offset:         0
        .size:           72
        .value_kind:     by_value
    .group_segment_fixed_size: 0
    .kernarg_segment_align: 8
    .kernarg_segment_size: 72
    .language:       OpenCL C
    .language_version:
      - 2
      - 0
    .max_flat_workgroup_size: 128
    .name:           _ZN7rocprim17ROCPRIM_400000_NS6detail17trampoline_kernelINS0_14default_configENS1_22reduce_config_selectorIN6thrust23THRUST_200600_302600_NS5tupleIblNS6_9null_typeES8_S8_S8_S8_S8_S8_S8_EEEEZNS1_11reduce_implILb1ES3_NS6_12zip_iteratorINS7_INS6_11hip_rocprim26transform_input_iterator_tIbPfNS6_6detail10functional5actorINSH_9compositeIJNSH_27transparent_binary_operatorINS6_8equal_toIvEEEENSI_INSH_8argumentILj0EEEEENSH_5valueIfEEEEEEEEENSD_19counting_iterator_tIlEES8_S8_S8_S8_S8_S8_S8_S8_EEEEPS9_S9_NSD_9__find_if7functorIS9_EEEE10hipError_tPvRmT1_T2_T3_mT4_P12ihipStream_tbEUlT_E1_NS1_11comp_targetILNS1_3genE3ELNS1_11target_archE908ELNS1_3gpuE7ELNS1_3repE0EEENS1_30default_config_static_selectorELNS0_4arch9wavefront6targetE1EEEvS17_
    .private_segment_fixed_size: 0
    .sgpr_count:     4
    .sgpr_spill_count: 0
    .symbol:         _ZN7rocprim17ROCPRIM_400000_NS6detail17trampoline_kernelINS0_14default_configENS1_22reduce_config_selectorIN6thrust23THRUST_200600_302600_NS5tupleIblNS6_9null_typeES8_S8_S8_S8_S8_S8_S8_EEEEZNS1_11reduce_implILb1ES3_NS6_12zip_iteratorINS7_INS6_11hip_rocprim26transform_input_iterator_tIbPfNS6_6detail10functional5actorINSH_9compositeIJNSH_27transparent_binary_operatorINS6_8equal_toIvEEEENSI_INSH_8argumentILj0EEEEENSH_5valueIfEEEEEEEEENSD_19counting_iterator_tIlEES8_S8_S8_S8_S8_S8_S8_S8_EEEEPS9_S9_NSD_9__find_if7functorIS9_EEEE10hipError_tPvRmT1_T2_T3_mT4_P12ihipStream_tbEUlT_E1_NS1_11comp_targetILNS1_3genE3ELNS1_11target_archE908ELNS1_3gpuE7ELNS1_3repE0EEENS1_30default_config_static_selectorELNS0_4arch9wavefront6targetE1EEEvS17_.kd
    .uniform_work_group_size: 1
    .uses_dynamic_stack: false
    .vgpr_count:     0
    .vgpr_spill_count: 0
    .wavefront_size: 64
  - .agpr_count:     0
    .args:
      - .offset:         0
        .size:           72
        .value_kind:     by_value
    .group_segment_fixed_size: 0
    .kernarg_segment_align: 8
    .kernarg_segment_size: 72
    .language:       OpenCL C
    .language_version:
      - 2
      - 0
    .max_flat_workgroup_size: 128
    .name:           _ZN7rocprim17ROCPRIM_400000_NS6detail17trampoline_kernelINS0_14default_configENS1_22reduce_config_selectorIN6thrust23THRUST_200600_302600_NS5tupleIblNS6_9null_typeES8_S8_S8_S8_S8_S8_S8_EEEEZNS1_11reduce_implILb1ES3_NS6_12zip_iteratorINS7_INS6_11hip_rocprim26transform_input_iterator_tIbPfNS6_6detail10functional5actorINSH_9compositeIJNSH_27transparent_binary_operatorINS6_8equal_toIvEEEENSI_INSH_8argumentILj0EEEEENSH_5valueIfEEEEEEEEENSD_19counting_iterator_tIlEES8_S8_S8_S8_S8_S8_S8_S8_EEEEPS9_S9_NSD_9__find_if7functorIS9_EEEE10hipError_tPvRmT1_T2_T3_mT4_P12ihipStream_tbEUlT_E1_NS1_11comp_targetILNS1_3genE2ELNS1_11target_archE906ELNS1_3gpuE6ELNS1_3repE0EEENS1_30default_config_static_selectorELNS0_4arch9wavefront6targetE1EEEvS17_
    .private_segment_fixed_size: 0
    .sgpr_count:     4
    .sgpr_spill_count: 0
    .symbol:         _ZN7rocprim17ROCPRIM_400000_NS6detail17trampoline_kernelINS0_14default_configENS1_22reduce_config_selectorIN6thrust23THRUST_200600_302600_NS5tupleIblNS6_9null_typeES8_S8_S8_S8_S8_S8_S8_EEEEZNS1_11reduce_implILb1ES3_NS6_12zip_iteratorINS7_INS6_11hip_rocprim26transform_input_iterator_tIbPfNS6_6detail10functional5actorINSH_9compositeIJNSH_27transparent_binary_operatorINS6_8equal_toIvEEEENSI_INSH_8argumentILj0EEEEENSH_5valueIfEEEEEEEEENSD_19counting_iterator_tIlEES8_S8_S8_S8_S8_S8_S8_S8_EEEEPS9_S9_NSD_9__find_if7functorIS9_EEEE10hipError_tPvRmT1_T2_T3_mT4_P12ihipStream_tbEUlT_E1_NS1_11comp_targetILNS1_3genE2ELNS1_11target_archE906ELNS1_3gpuE6ELNS1_3repE0EEENS1_30default_config_static_selectorELNS0_4arch9wavefront6targetE1EEEvS17_.kd
    .uniform_work_group_size: 1
    .uses_dynamic_stack: false
    .vgpr_count:     0
    .vgpr_spill_count: 0
    .wavefront_size: 64
  - .agpr_count:     0
    .args:
      - .offset:         0
        .size:           72
        .value_kind:     by_value
    .group_segment_fixed_size: 0
    .kernarg_segment_align: 8
    .kernarg_segment_size: 72
    .language:       OpenCL C
    .language_version:
      - 2
      - 0
    .max_flat_workgroup_size: 256
    .name:           _ZN7rocprim17ROCPRIM_400000_NS6detail17trampoline_kernelINS0_14default_configENS1_22reduce_config_selectorIN6thrust23THRUST_200600_302600_NS5tupleIblNS6_9null_typeES8_S8_S8_S8_S8_S8_S8_EEEEZNS1_11reduce_implILb1ES3_NS6_12zip_iteratorINS7_INS6_11hip_rocprim26transform_input_iterator_tIbPfNS6_6detail10functional5actorINSH_9compositeIJNSH_27transparent_binary_operatorINS6_8equal_toIvEEEENSI_INSH_8argumentILj0EEEEENSH_5valueIfEEEEEEEEENSD_19counting_iterator_tIlEES8_S8_S8_S8_S8_S8_S8_S8_EEEEPS9_S9_NSD_9__find_if7functorIS9_EEEE10hipError_tPvRmT1_T2_T3_mT4_P12ihipStream_tbEUlT_E1_NS1_11comp_targetILNS1_3genE10ELNS1_11target_archE1201ELNS1_3gpuE5ELNS1_3repE0EEENS1_30default_config_static_selectorELNS0_4arch9wavefront6targetE1EEEvS17_
    .private_segment_fixed_size: 0
    .sgpr_count:     4
    .sgpr_spill_count: 0
    .symbol:         _ZN7rocprim17ROCPRIM_400000_NS6detail17trampoline_kernelINS0_14default_configENS1_22reduce_config_selectorIN6thrust23THRUST_200600_302600_NS5tupleIblNS6_9null_typeES8_S8_S8_S8_S8_S8_S8_EEEEZNS1_11reduce_implILb1ES3_NS6_12zip_iteratorINS7_INS6_11hip_rocprim26transform_input_iterator_tIbPfNS6_6detail10functional5actorINSH_9compositeIJNSH_27transparent_binary_operatorINS6_8equal_toIvEEEENSI_INSH_8argumentILj0EEEEENSH_5valueIfEEEEEEEEENSD_19counting_iterator_tIlEES8_S8_S8_S8_S8_S8_S8_S8_EEEEPS9_S9_NSD_9__find_if7functorIS9_EEEE10hipError_tPvRmT1_T2_T3_mT4_P12ihipStream_tbEUlT_E1_NS1_11comp_targetILNS1_3genE10ELNS1_11target_archE1201ELNS1_3gpuE5ELNS1_3repE0EEENS1_30default_config_static_selectorELNS0_4arch9wavefront6targetE1EEEvS17_.kd
    .uniform_work_group_size: 1
    .uses_dynamic_stack: false
    .vgpr_count:     0
    .vgpr_spill_count: 0
    .wavefront_size: 64
  - .agpr_count:     0
    .args:
      - .offset:         0
        .size:           72
        .value_kind:     by_value
    .group_segment_fixed_size: 0
    .kernarg_segment_align: 8
    .kernarg_segment_size: 72
    .language:       OpenCL C
    .language_version:
      - 2
      - 0
    .max_flat_workgroup_size: 256
    .name:           _ZN7rocprim17ROCPRIM_400000_NS6detail17trampoline_kernelINS0_14default_configENS1_22reduce_config_selectorIN6thrust23THRUST_200600_302600_NS5tupleIblNS6_9null_typeES8_S8_S8_S8_S8_S8_S8_EEEEZNS1_11reduce_implILb1ES3_NS6_12zip_iteratorINS7_INS6_11hip_rocprim26transform_input_iterator_tIbPfNS6_6detail10functional5actorINSH_9compositeIJNSH_27transparent_binary_operatorINS6_8equal_toIvEEEENSI_INSH_8argumentILj0EEEEENSH_5valueIfEEEEEEEEENSD_19counting_iterator_tIlEES8_S8_S8_S8_S8_S8_S8_S8_EEEEPS9_S9_NSD_9__find_if7functorIS9_EEEE10hipError_tPvRmT1_T2_T3_mT4_P12ihipStream_tbEUlT_E1_NS1_11comp_targetILNS1_3genE10ELNS1_11target_archE1200ELNS1_3gpuE4ELNS1_3repE0EEENS1_30default_config_static_selectorELNS0_4arch9wavefront6targetE1EEEvS17_
    .private_segment_fixed_size: 0
    .sgpr_count:     4
    .sgpr_spill_count: 0
    .symbol:         _ZN7rocprim17ROCPRIM_400000_NS6detail17trampoline_kernelINS0_14default_configENS1_22reduce_config_selectorIN6thrust23THRUST_200600_302600_NS5tupleIblNS6_9null_typeES8_S8_S8_S8_S8_S8_S8_EEEEZNS1_11reduce_implILb1ES3_NS6_12zip_iteratorINS7_INS6_11hip_rocprim26transform_input_iterator_tIbPfNS6_6detail10functional5actorINSH_9compositeIJNSH_27transparent_binary_operatorINS6_8equal_toIvEEEENSI_INSH_8argumentILj0EEEEENSH_5valueIfEEEEEEEEENSD_19counting_iterator_tIlEES8_S8_S8_S8_S8_S8_S8_S8_EEEEPS9_S9_NSD_9__find_if7functorIS9_EEEE10hipError_tPvRmT1_T2_T3_mT4_P12ihipStream_tbEUlT_E1_NS1_11comp_targetILNS1_3genE10ELNS1_11target_archE1200ELNS1_3gpuE4ELNS1_3repE0EEENS1_30default_config_static_selectorELNS0_4arch9wavefront6targetE1EEEvS17_.kd
    .uniform_work_group_size: 1
    .uses_dynamic_stack: false
    .vgpr_count:     0
    .vgpr_spill_count: 0
    .wavefront_size: 64
  - .agpr_count:     0
    .args:
      - .offset:         0
        .size:           72
        .value_kind:     by_value
    .group_segment_fixed_size: 0
    .kernarg_segment_align: 8
    .kernarg_segment_size: 72
    .language:       OpenCL C
    .language_version:
      - 2
      - 0
    .max_flat_workgroup_size: 256
    .name:           _ZN7rocprim17ROCPRIM_400000_NS6detail17trampoline_kernelINS0_14default_configENS1_22reduce_config_selectorIN6thrust23THRUST_200600_302600_NS5tupleIblNS6_9null_typeES8_S8_S8_S8_S8_S8_S8_EEEEZNS1_11reduce_implILb1ES3_NS6_12zip_iteratorINS7_INS6_11hip_rocprim26transform_input_iterator_tIbPfNS6_6detail10functional5actorINSH_9compositeIJNSH_27transparent_binary_operatorINS6_8equal_toIvEEEENSI_INSH_8argumentILj0EEEEENSH_5valueIfEEEEEEEEENSD_19counting_iterator_tIlEES8_S8_S8_S8_S8_S8_S8_S8_EEEEPS9_S9_NSD_9__find_if7functorIS9_EEEE10hipError_tPvRmT1_T2_T3_mT4_P12ihipStream_tbEUlT_E1_NS1_11comp_targetILNS1_3genE9ELNS1_11target_archE1100ELNS1_3gpuE3ELNS1_3repE0EEENS1_30default_config_static_selectorELNS0_4arch9wavefront6targetE1EEEvS17_
    .private_segment_fixed_size: 0
    .sgpr_count:     4
    .sgpr_spill_count: 0
    .symbol:         _ZN7rocprim17ROCPRIM_400000_NS6detail17trampoline_kernelINS0_14default_configENS1_22reduce_config_selectorIN6thrust23THRUST_200600_302600_NS5tupleIblNS6_9null_typeES8_S8_S8_S8_S8_S8_S8_EEEEZNS1_11reduce_implILb1ES3_NS6_12zip_iteratorINS7_INS6_11hip_rocprim26transform_input_iterator_tIbPfNS6_6detail10functional5actorINSH_9compositeIJNSH_27transparent_binary_operatorINS6_8equal_toIvEEEENSI_INSH_8argumentILj0EEEEENSH_5valueIfEEEEEEEEENSD_19counting_iterator_tIlEES8_S8_S8_S8_S8_S8_S8_S8_EEEEPS9_S9_NSD_9__find_if7functorIS9_EEEE10hipError_tPvRmT1_T2_T3_mT4_P12ihipStream_tbEUlT_E1_NS1_11comp_targetILNS1_3genE9ELNS1_11target_archE1100ELNS1_3gpuE3ELNS1_3repE0EEENS1_30default_config_static_selectorELNS0_4arch9wavefront6targetE1EEEvS17_.kd
    .uniform_work_group_size: 1
    .uses_dynamic_stack: false
    .vgpr_count:     0
    .vgpr_spill_count: 0
    .wavefront_size: 64
  - .agpr_count:     0
    .args:
      - .offset:         0
        .size:           72
        .value_kind:     by_value
    .group_segment_fixed_size: 0
    .kernarg_segment_align: 8
    .kernarg_segment_size: 72
    .language:       OpenCL C
    .language_version:
      - 2
      - 0
    .max_flat_workgroup_size: 256
    .name:           _ZN7rocprim17ROCPRIM_400000_NS6detail17trampoline_kernelINS0_14default_configENS1_22reduce_config_selectorIN6thrust23THRUST_200600_302600_NS5tupleIblNS6_9null_typeES8_S8_S8_S8_S8_S8_S8_EEEEZNS1_11reduce_implILb1ES3_NS6_12zip_iteratorINS7_INS6_11hip_rocprim26transform_input_iterator_tIbPfNS6_6detail10functional5actorINSH_9compositeIJNSH_27transparent_binary_operatorINS6_8equal_toIvEEEENSI_INSH_8argumentILj0EEEEENSH_5valueIfEEEEEEEEENSD_19counting_iterator_tIlEES8_S8_S8_S8_S8_S8_S8_S8_EEEEPS9_S9_NSD_9__find_if7functorIS9_EEEE10hipError_tPvRmT1_T2_T3_mT4_P12ihipStream_tbEUlT_E1_NS1_11comp_targetILNS1_3genE8ELNS1_11target_archE1030ELNS1_3gpuE2ELNS1_3repE0EEENS1_30default_config_static_selectorELNS0_4arch9wavefront6targetE1EEEvS17_
    .private_segment_fixed_size: 0
    .sgpr_count:     4
    .sgpr_spill_count: 0
    .symbol:         _ZN7rocprim17ROCPRIM_400000_NS6detail17trampoline_kernelINS0_14default_configENS1_22reduce_config_selectorIN6thrust23THRUST_200600_302600_NS5tupleIblNS6_9null_typeES8_S8_S8_S8_S8_S8_S8_EEEEZNS1_11reduce_implILb1ES3_NS6_12zip_iteratorINS7_INS6_11hip_rocprim26transform_input_iterator_tIbPfNS6_6detail10functional5actorINSH_9compositeIJNSH_27transparent_binary_operatorINS6_8equal_toIvEEEENSI_INSH_8argumentILj0EEEEENSH_5valueIfEEEEEEEEENSD_19counting_iterator_tIlEES8_S8_S8_S8_S8_S8_S8_S8_EEEEPS9_S9_NSD_9__find_if7functorIS9_EEEE10hipError_tPvRmT1_T2_T3_mT4_P12ihipStream_tbEUlT_E1_NS1_11comp_targetILNS1_3genE8ELNS1_11target_archE1030ELNS1_3gpuE2ELNS1_3repE0EEENS1_30default_config_static_selectorELNS0_4arch9wavefront6targetE1EEEvS17_.kd
    .uniform_work_group_size: 1
    .uses_dynamic_stack: false
    .vgpr_count:     0
    .vgpr_spill_count: 0
    .wavefront_size: 64
  - .agpr_count:     0
    .args:           []
    .group_segment_fixed_size: 0
    .kernarg_segment_align: 4
    .kernarg_segment_size: 0
    .language:       OpenCL C
    .language_version:
      - 2
      - 0
    .max_flat_workgroup_size: 1024
    .name:           _ZN7rocprim17ROCPRIM_400000_NS6detail44device_merge_sort_compile_time_verifier_archINS1_11comp_targetILNS1_3genE0ELNS1_11target_archE4294967295ELNS1_3gpuE0ELNS1_3repE0EEES8_NS0_14default_configES9_NS1_37merge_sort_block_sort_config_selectorIN3c108BFloat16ElEENS1_38merge_sort_block_merge_config_selectorISC_lEEEEvv
    .private_segment_fixed_size: 0
    .sgpr_count:     4
    .sgpr_spill_count: 0
    .symbol:         _ZN7rocprim17ROCPRIM_400000_NS6detail44device_merge_sort_compile_time_verifier_archINS1_11comp_targetILNS1_3genE0ELNS1_11target_archE4294967295ELNS1_3gpuE0ELNS1_3repE0EEES8_NS0_14default_configES9_NS1_37merge_sort_block_sort_config_selectorIN3c108BFloat16ElEENS1_38merge_sort_block_merge_config_selectorISC_lEEEEvv.kd
    .uniform_work_group_size: 1
    .uses_dynamic_stack: false
    .vgpr_count:     0
    .vgpr_spill_count: 0
    .wavefront_size: 64
  - .agpr_count:     0
    .args:           []
    .group_segment_fixed_size: 0
    .kernarg_segment_align: 4
    .kernarg_segment_size: 0
    .language:       OpenCL C
    .language_version:
      - 2
      - 0
    .max_flat_workgroup_size: 1024
    .name:           _ZN7rocprim17ROCPRIM_400000_NS6detail44device_merge_sort_compile_time_verifier_archINS1_11comp_targetILNS1_3genE5ELNS1_11target_archE942ELNS1_3gpuE9ELNS1_3repE0EEES8_NS0_14default_configES9_NS1_37merge_sort_block_sort_config_selectorIN3c108BFloat16ElEENS1_38merge_sort_block_merge_config_selectorISC_lEEEEvv
    .private_segment_fixed_size: 0
    .sgpr_count:     4
    .sgpr_spill_count: 0
    .symbol:         _ZN7rocprim17ROCPRIM_400000_NS6detail44device_merge_sort_compile_time_verifier_archINS1_11comp_targetILNS1_3genE5ELNS1_11target_archE942ELNS1_3gpuE9ELNS1_3repE0EEES8_NS0_14default_configES9_NS1_37merge_sort_block_sort_config_selectorIN3c108BFloat16ElEENS1_38merge_sort_block_merge_config_selectorISC_lEEEEvv.kd
    .uniform_work_group_size: 1
    .uses_dynamic_stack: false
    .vgpr_count:     0
    .vgpr_spill_count: 0
    .wavefront_size: 64
  - .agpr_count:     0
    .args:           []
    .group_segment_fixed_size: 0
    .kernarg_segment_align: 4
    .kernarg_segment_size: 0
    .language:       OpenCL C
    .language_version:
      - 2
      - 0
    .max_flat_workgroup_size: 1024
    .name:           _ZN7rocprim17ROCPRIM_400000_NS6detail44device_merge_sort_compile_time_verifier_archINS1_11comp_targetILNS1_3genE4ELNS1_11target_archE910ELNS1_3gpuE8ELNS1_3repE0EEES8_NS0_14default_configES9_NS1_37merge_sort_block_sort_config_selectorIN3c108BFloat16ElEENS1_38merge_sort_block_merge_config_selectorISC_lEEEEvv
    .private_segment_fixed_size: 0
    .sgpr_count:     4
    .sgpr_spill_count: 0
    .symbol:         _ZN7rocprim17ROCPRIM_400000_NS6detail44device_merge_sort_compile_time_verifier_archINS1_11comp_targetILNS1_3genE4ELNS1_11target_archE910ELNS1_3gpuE8ELNS1_3repE0EEES8_NS0_14default_configES9_NS1_37merge_sort_block_sort_config_selectorIN3c108BFloat16ElEENS1_38merge_sort_block_merge_config_selectorISC_lEEEEvv.kd
    .uniform_work_group_size: 1
    .uses_dynamic_stack: false
    .vgpr_count:     0
    .vgpr_spill_count: 0
    .wavefront_size: 64
  - .agpr_count:     0
    .args:           []
    .group_segment_fixed_size: 0
    .kernarg_segment_align: 4
    .kernarg_segment_size: 0
    .language:       OpenCL C
    .language_version:
      - 2
      - 0
    .max_flat_workgroup_size: 1024
    .name:           _ZN7rocprim17ROCPRIM_400000_NS6detail44device_merge_sort_compile_time_verifier_archINS1_11comp_targetILNS1_3genE3ELNS1_11target_archE908ELNS1_3gpuE7ELNS1_3repE0EEES8_NS0_14default_configES9_NS1_37merge_sort_block_sort_config_selectorIN3c108BFloat16ElEENS1_38merge_sort_block_merge_config_selectorISC_lEEEEvv
    .private_segment_fixed_size: 0
    .sgpr_count:     4
    .sgpr_spill_count: 0
    .symbol:         _ZN7rocprim17ROCPRIM_400000_NS6detail44device_merge_sort_compile_time_verifier_archINS1_11comp_targetILNS1_3genE3ELNS1_11target_archE908ELNS1_3gpuE7ELNS1_3repE0EEES8_NS0_14default_configES9_NS1_37merge_sort_block_sort_config_selectorIN3c108BFloat16ElEENS1_38merge_sort_block_merge_config_selectorISC_lEEEEvv.kd
    .uniform_work_group_size: 1
    .uses_dynamic_stack: false
    .vgpr_count:     0
    .vgpr_spill_count: 0
    .wavefront_size: 64
  - .agpr_count:     0
    .args:           []
    .group_segment_fixed_size: 0
    .kernarg_segment_align: 4
    .kernarg_segment_size: 0
    .language:       OpenCL C
    .language_version:
      - 2
      - 0
    .max_flat_workgroup_size: 1024
    .name:           _ZN7rocprim17ROCPRIM_400000_NS6detail44device_merge_sort_compile_time_verifier_archINS1_11comp_targetILNS1_3genE2ELNS1_11target_archE906ELNS1_3gpuE6ELNS1_3repE0EEES8_NS0_14default_configES9_NS1_37merge_sort_block_sort_config_selectorIN3c108BFloat16ElEENS1_38merge_sort_block_merge_config_selectorISC_lEEEEvv
    .private_segment_fixed_size: 0
    .sgpr_count:     4
    .sgpr_spill_count: 0
    .symbol:         _ZN7rocprim17ROCPRIM_400000_NS6detail44device_merge_sort_compile_time_verifier_archINS1_11comp_targetILNS1_3genE2ELNS1_11target_archE906ELNS1_3gpuE6ELNS1_3repE0EEES8_NS0_14default_configES9_NS1_37merge_sort_block_sort_config_selectorIN3c108BFloat16ElEENS1_38merge_sort_block_merge_config_selectorISC_lEEEEvv.kd
    .uniform_work_group_size: 1
    .uses_dynamic_stack: false
    .vgpr_count:     0
    .vgpr_spill_count: 0
    .wavefront_size: 64
  - .agpr_count:     0
    .args:           []
    .group_segment_fixed_size: 0
    .kernarg_segment_align: 4
    .kernarg_segment_size: 0
    .language:       OpenCL C
    .language_version:
      - 2
      - 0
    .max_flat_workgroup_size: 1024
    .name:           _ZN7rocprim17ROCPRIM_400000_NS6detail44device_merge_sort_compile_time_verifier_archINS1_11comp_targetILNS1_3genE10ELNS1_11target_archE1201ELNS1_3gpuE5ELNS1_3repE0EEES8_NS0_14default_configES9_NS1_37merge_sort_block_sort_config_selectorIN3c108BFloat16ElEENS1_38merge_sort_block_merge_config_selectorISC_lEEEEvv
    .private_segment_fixed_size: 0
    .sgpr_count:     4
    .sgpr_spill_count: 0
    .symbol:         _ZN7rocprim17ROCPRIM_400000_NS6detail44device_merge_sort_compile_time_verifier_archINS1_11comp_targetILNS1_3genE10ELNS1_11target_archE1201ELNS1_3gpuE5ELNS1_3repE0EEES8_NS0_14default_configES9_NS1_37merge_sort_block_sort_config_selectorIN3c108BFloat16ElEENS1_38merge_sort_block_merge_config_selectorISC_lEEEEvv.kd
    .uniform_work_group_size: 1
    .uses_dynamic_stack: false
    .vgpr_count:     0
    .vgpr_spill_count: 0
    .wavefront_size: 64
  - .agpr_count:     0
    .args:           []
    .group_segment_fixed_size: 0
    .kernarg_segment_align: 4
    .kernarg_segment_size: 0
    .language:       OpenCL C
    .language_version:
      - 2
      - 0
    .max_flat_workgroup_size: 1024
    .name:           _ZN7rocprim17ROCPRIM_400000_NS6detail44device_merge_sort_compile_time_verifier_archINS1_11comp_targetILNS1_3genE10ELNS1_11target_archE1200ELNS1_3gpuE4ELNS1_3repE0EEENS3_ILS4_10ELS5_1201ELS6_5ELS7_0EEENS0_14default_configESA_NS1_37merge_sort_block_sort_config_selectorIN3c108BFloat16ElEENS1_38merge_sort_block_merge_config_selectorISD_lEEEEvv
    .private_segment_fixed_size: 0
    .sgpr_count:     4
    .sgpr_spill_count: 0
    .symbol:         _ZN7rocprim17ROCPRIM_400000_NS6detail44device_merge_sort_compile_time_verifier_archINS1_11comp_targetILNS1_3genE10ELNS1_11target_archE1200ELNS1_3gpuE4ELNS1_3repE0EEENS3_ILS4_10ELS5_1201ELS6_5ELS7_0EEENS0_14default_configESA_NS1_37merge_sort_block_sort_config_selectorIN3c108BFloat16ElEENS1_38merge_sort_block_merge_config_selectorISD_lEEEEvv.kd
    .uniform_work_group_size: 1
    .uses_dynamic_stack: false
    .vgpr_count:     0
    .vgpr_spill_count: 0
    .wavefront_size: 64
  - .agpr_count:     0
    .args:           []
    .group_segment_fixed_size: 0
    .kernarg_segment_align: 4
    .kernarg_segment_size: 0
    .language:       OpenCL C
    .language_version:
      - 2
      - 0
    .max_flat_workgroup_size: 1024
    .name:           _ZN7rocprim17ROCPRIM_400000_NS6detail44device_merge_sort_compile_time_verifier_archINS1_11comp_targetILNS1_3genE9ELNS1_11target_archE1100ELNS1_3gpuE3ELNS1_3repE0EEES8_NS0_14default_configES9_NS1_37merge_sort_block_sort_config_selectorIN3c108BFloat16ElEENS1_38merge_sort_block_merge_config_selectorISC_lEEEEvv
    .private_segment_fixed_size: 0
    .sgpr_count:     4
    .sgpr_spill_count: 0
    .symbol:         _ZN7rocprim17ROCPRIM_400000_NS6detail44device_merge_sort_compile_time_verifier_archINS1_11comp_targetILNS1_3genE9ELNS1_11target_archE1100ELNS1_3gpuE3ELNS1_3repE0EEES8_NS0_14default_configES9_NS1_37merge_sort_block_sort_config_selectorIN3c108BFloat16ElEENS1_38merge_sort_block_merge_config_selectorISC_lEEEEvv.kd
    .uniform_work_group_size: 1
    .uses_dynamic_stack: false
    .vgpr_count:     0
    .vgpr_spill_count: 0
    .wavefront_size: 64
  - .agpr_count:     0
    .args:           []
    .group_segment_fixed_size: 0
    .kernarg_segment_align: 4
    .kernarg_segment_size: 0
    .language:       OpenCL C
    .language_version:
      - 2
      - 0
    .max_flat_workgroup_size: 1024
    .name:           _ZN7rocprim17ROCPRIM_400000_NS6detail44device_merge_sort_compile_time_verifier_archINS1_11comp_targetILNS1_3genE8ELNS1_11target_archE1030ELNS1_3gpuE2ELNS1_3repE0EEES8_NS0_14default_configES9_NS1_37merge_sort_block_sort_config_selectorIN3c108BFloat16ElEENS1_38merge_sort_block_merge_config_selectorISC_lEEEEvv
    .private_segment_fixed_size: 0
    .sgpr_count:     4
    .sgpr_spill_count: 0
    .symbol:         _ZN7rocprim17ROCPRIM_400000_NS6detail44device_merge_sort_compile_time_verifier_archINS1_11comp_targetILNS1_3genE8ELNS1_11target_archE1030ELNS1_3gpuE2ELNS1_3repE0EEES8_NS0_14default_configES9_NS1_37merge_sort_block_sort_config_selectorIN3c108BFloat16ElEENS1_38merge_sort_block_merge_config_selectorISC_lEEEEvv.kd
    .uniform_work_group_size: 1
    .uses_dynamic_stack: false
    .vgpr_count:     0
    .vgpr_spill_count: 0
    .wavefront_size: 64
  - .agpr_count:     0
    .args:
      - .offset:         0
        .size:           64
        .value_kind:     by_value
    .group_segment_fixed_size: 0
    .kernarg_segment_align: 8
    .kernarg_segment_size: 64
    .language:       OpenCL C
    .language_version:
      - 2
      - 0
    .max_flat_workgroup_size: 256
    .name:           _ZN7rocprim17ROCPRIM_400000_NS6detail17trampoline_kernelINS0_14default_configENS1_37merge_sort_block_sort_config_selectorIN3c108BFloat16ElEEZNS1_21merge_sort_block_sortIS3_PS6_S9_N6thrust23THRUST_200600_302600_NS10device_ptrIlEESD_NSB_4lessIS6_EEEE10hipError_tT0_T1_T2_T3_mRjT4_P12ihipStream_tbNS1_7vsmem_tEEUlT_E_NS1_11comp_targetILNS1_3genE0ELNS1_11target_archE4294967295ELNS1_3gpuE0ELNS1_3repE0EEENS1_30default_config_static_selectorELNS0_4arch9wavefront6targetE1EEEvSI_
    .private_segment_fixed_size: 0
    .sgpr_count:     4
    .sgpr_spill_count: 0
    .symbol:         _ZN7rocprim17ROCPRIM_400000_NS6detail17trampoline_kernelINS0_14default_configENS1_37merge_sort_block_sort_config_selectorIN3c108BFloat16ElEEZNS1_21merge_sort_block_sortIS3_PS6_S9_N6thrust23THRUST_200600_302600_NS10device_ptrIlEESD_NSB_4lessIS6_EEEE10hipError_tT0_T1_T2_T3_mRjT4_P12ihipStream_tbNS1_7vsmem_tEEUlT_E_NS1_11comp_targetILNS1_3genE0ELNS1_11target_archE4294967295ELNS1_3gpuE0ELNS1_3repE0EEENS1_30default_config_static_selectorELNS0_4arch9wavefront6targetE1EEEvSI_.kd
    .uniform_work_group_size: 1
    .uses_dynamic_stack: false
    .vgpr_count:     0
    .vgpr_spill_count: 0
    .wavefront_size: 64
  - .agpr_count:     0
    .args:
      - .offset:         0
        .size:           64
        .value_kind:     by_value
    .group_segment_fixed_size: 0
    .kernarg_segment_align: 8
    .kernarg_segment_size: 64
    .language:       OpenCL C
    .language_version:
      - 2
      - 0
    .max_flat_workgroup_size: 256
    .name:           _ZN7rocprim17ROCPRIM_400000_NS6detail17trampoline_kernelINS0_14default_configENS1_37merge_sort_block_sort_config_selectorIN3c108BFloat16ElEEZNS1_21merge_sort_block_sortIS3_PS6_S9_N6thrust23THRUST_200600_302600_NS10device_ptrIlEESD_NSB_4lessIS6_EEEE10hipError_tT0_T1_T2_T3_mRjT4_P12ihipStream_tbNS1_7vsmem_tEEUlT_E_NS1_11comp_targetILNS1_3genE5ELNS1_11target_archE942ELNS1_3gpuE9ELNS1_3repE0EEENS1_30default_config_static_selectorELNS0_4arch9wavefront6targetE1EEEvSI_
    .private_segment_fixed_size: 0
    .sgpr_count:     4
    .sgpr_spill_count: 0
    .symbol:         _ZN7rocprim17ROCPRIM_400000_NS6detail17trampoline_kernelINS0_14default_configENS1_37merge_sort_block_sort_config_selectorIN3c108BFloat16ElEEZNS1_21merge_sort_block_sortIS3_PS6_S9_N6thrust23THRUST_200600_302600_NS10device_ptrIlEESD_NSB_4lessIS6_EEEE10hipError_tT0_T1_T2_T3_mRjT4_P12ihipStream_tbNS1_7vsmem_tEEUlT_E_NS1_11comp_targetILNS1_3genE5ELNS1_11target_archE942ELNS1_3gpuE9ELNS1_3repE0EEENS1_30default_config_static_selectorELNS0_4arch9wavefront6targetE1EEEvSI_.kd
    .uniform_work_group_size: 1
    .uses_dynamic_stack: false
    .vgpr_count:     0
    .vgpr_spill_count: 0
    .wavefront_size: 64
  - .agpr_count:     0
    .args:
      - .offset:         0
        .size:           64
        .value_kind:     by_value
      - .offset:         64
        .size:           4
        .value_kind:     hidden_block_count_x
      - .offset:         68
        .size:           4
        .value_kind:     hidden_block_count_y
      - .offset:         72
        .size:           4
        .value_kind:     hidden_block_count_z
      - .offset:         76
        .size:           2
        .value_kind:     hidden_group_size_x
      - .offset:         78
        .size:           2
        .value_kind:     hidden_group_size_y
      - .offset:         80
        .size:           2
        .value_kind:     hidden_group_size_z
      - .offset:         82
        .size:           2
        .value_kind:     hidden_remainder_x
      - .offset:         84
        .size:           2
        .value_kind:     hidden_remainder_y
      - .offset:         86
        .size:           2
        .value_kind:     hidden_remainder_z
      - .offset:         104
        .size:           8
        .value_kind:     hidden_global_offset_x
      - .offset:         112
        .size:           8
        .value_kind:     hidden_global_offset_y
      - .offset:         120
        .size:           8
        .value_kind:     hidden_global_offset_z
      - .offset:         128
        .size:           2
        .value_kind:     hidden_grid_dims
      - .offset:         144
        .size:           8
        .value_kind:     hidden_hostcall_buffer
      - .offset:         152
        .size:           8
        .value_kind:     hidden_multigrid_sync_arg
      - .offset:         160
        .size:           8
        .value_kind:     hidden_heap_v1
      - .offset:         168
        .size:           8
        .value_kind:     hidden_default_queue
      - .offset:         176
        .size:           8
        .value_kind:     hidden_completion_action
      - .offset:         264
        .size:           8
        .value_kind:     hidden_queue_ptr
    .group_segment_fixed_size: 16896
    .kernarg_segment_align: 8
    .kernarg_segment_size: 320
    .language:       OpenCL C
    .language_version:
      - 2
      - 0
    .max_flat_workgroup_size: 256
    .name:           _ZN7rocprim17ROCPRIM_400000_NS6detail17trampoline_kernelINS0_14default_configENS1_37merge_sort_block_sort_config_selectorIN3c108BFloat16ElEEZNS1_21merge_sort_block_sortIS3_PS6_S9_N6thrust23THRUST_200600_302600_NS10device_ptrIlEESD_NSB_4lessIS6_EEEE10hipError_tT0_T1_T2_T3_mRjT4_P12ihipStream_tbNS1_7vsmem_tEEUlT_E_NS1_11comp_targetILNS1_3genE4ELNS1_11target_archE910ELNS1_3gpuE8ELNS1_3repE0EEENS1_30default_config_static_selectorELNS0_4arch9wavefront6targetE1EEEvSI_
    .private_segment_fixed_size: 8
    .sgpr_count:     56
    .sgpr_spill_count: 0
    .symbol:         _ZN7rocprim17ROCPRIM_400000_NS6detail17trampoline_kernelINS0_14default_configENS1_37merge_sort_block_sort_config_selectorIN3c108BFloat16ElEEZNS1_21merge_sort_block_sortIS3_PS6_S9_N6thrust23THRUST_200600_302600_NS10device_ptrIlEESD_NSB_4lessIS6_EEEE10hipError_tT0_T1_T2_T3_mRjT4_P12ihipStream_tbNS1_7vsmem_tEEUlT_E_NS1_11comp_targetILNS1_3genE4ELNS1_11target_archE910ELNS1_3gpuE8ELNS1_3repE0EEENS1_30default_config_static_selectorELNS0_4arch9wavefront6targetE1EEEvSI_.kd
    .uniform_work_group_size: 1
    .uses_dynamic_stack: false
    .vgpr_count:     101
    .vgpr_spill_count: 0
    .wavefront_size: 64
  - .agpr_count:     0
    .args:
      - .offset:         0
        .size:           64
        .value_kind:     by_value
    .group_segment_fixed_size: 0
    .kernarg_segment_align: 8
    .kernarg_segment_size: 64
    .language:       OpenCL C
    .language_version:
      - 2
      - 0
    .max_flat_workgroup_size: 256
    .name:           _ZN7rocprim17ROCPRIM_400000_NS6detail17trampoline_kernelINS0_14default_configENS1_37merge_sort_block_sort_config_selectorIN3c108BFloat16ElEEZNS1_21merge_sort_block_sortIS3_PS6_S9_N6thrust23THRUST_200600_302600_NS10device_ptrIlEESD_NSB_4lessIS6_EEEE10hipError_tT0_T1_T2_T3_mRjT4_P12ihipStream_tbNS1_7vsmem_tEEUlT_E_NS1_11comp_targetILNS1_3genE3ELNS1_11target_archE908ELNS1_3gpuE7ELNS1_3repE0EEENS1_30default_config_static_selectorELNS0_4arch9wavefront6targetE1EEEvSI_
    .private_segment_fixed_size: 0
    .sgpr_count:     4
    .sgpr_spill_count: 0
    .symbol:         _ZN7rocprim17ROCPRIM_400000_NS6detail17trampoline_kernelINS0_14default_configENS1_37merge_sort_block_sort_config_selectorIN3c108BFloat16ElEEZNS1_21merge_sort_block_sortIS3_PS6_S9_N6thrust23THRUST_200600_302600_NS10device_ptrIlEESD_NSB_4lessIS6_EEEE10hipError_tT0_T1_T2_T3_mRjT4_P12ihipStream_tbNS1_7vsmem_tEEUlT_E_NS1_11comp_targetILNS1_3genE3ELNS1_11target_archE908ELNS1_3gpuE7ELNS1_3repE0EEENS1_30default_config_static_selectorELNS0_4arch9wavefront6targetE1EEEvSI_.kd
    .uniform_work_group_size: 1
    .uses_dynamic_stack: false
    .vgpr_count:     0
    .vgpr_spill_count: 0
    .wavefront_size: 64
  - .agpr_count:     0
    .args:
      - .offset:         0
        .size:           64
        .value_kind:     by_value
    .group_segment_fixed_size: 0
    .kernarg_segment_align: 8
    .kernarg_segment_size: 64
    .language:       OpenCL C
    .language_version:
      - 2
      - 0
    .max_flat_workgroup_size: 256
    .name:           _ZN7rocprim17ROCPRIM_400000_NS6detail17trampoline_kernelINS0_14default_configENS1_37merge_sort_block_sort_config_selectorIN3c108BFloat16ElEEZNS1_21merge_sort_block_sortIS3_PS6_S9_N6thrust23THRUST_200600_302600_NS10device_ptrIlEESD_NSB_4lessIS6_EEEE10hipError_tT0_T1_T2_T3_mRjT4_P12ihipStream_tbNS1_7vsmem_tEEUlT_E_NS1_11comp_targetILNS1_3genE2ELNS1_11target_archE906ELNS1_3gpuE6ELNS1_3repE0EEENS1_30default_config_static_selectorELNS0_4arch9wavefront6targetE1EEEvSI_
    .private_segment_fixed_size: 0
    .sgpr_count:     4
    .sgpr_spill_count: 0
    .symbol:         _ZN7rocprim17ROCPRIM_400000_NS6detail17trampoline_kernelINS0_14default_configENS1_37merge_sort_block_sort_config_selectorIN3c108BFloat16ElEEZNS1_21merge_sort_block_sortIS3_PS6_S9_N6thrust23THRUST_200600_302600_NS10device_ptrIlEESD_NSB_4lessIS6_EEEE10hipError_tT0_T1_T2_T3_mRjT4_P12ihipStream_tbNS1_7vsmem_tEEUlT_E_NS1_11comp_targetILNS1_3genE2ELNS1_11target_archE906ELNS1_3gpuE6ELNS1_3repE0EEENS1_30default_config_static_selectorELNS0_4arch9wavefront6targetE1EEEvSI_.kd
    .uniform_work_group_size: 1
    .uses_dynamic_stack: false
    .vgpr_count:     0
    .vgpr_spill_count: 0
    .wavefront_size: 64
  - .agpr_count:     0
    .args:
      - .offset:         0
        .size:           64
        .value_kind:     by_value
    .group_segment_fixed_size: 0
    .kernarg_segment_align: 8
    .kernarg_segment_size: 64
    .language:       OpenCL C
    .language_version:
      - 2
      - 0
    .max_flat_workgroup_size: 512
    .name:           _ZN7rocprim17ROCPRIM_400000_NS6detail17trampoline_kernelINS0_14default_configENS1_37merge_sort_block_sort_config_selectorIN3c108BFloat16ElEEZNS1_21merge_sort_block_sortIS3_PS6_S9_N6thrust23THRUST_200600_302600_NS10device_ptrIlEESD_NSB_4lessIS6_EEEE10hipError_tT0_T1_T2_T3_mRjT4_P12ihipStream_tbNS1_7vsmem_tEEUlT_E_NS1_11comp_targetILNS1_3genE10ELNS1_11target_archE1201ELNS1_3gpuE5ELNS1_3repE0EEENS1_30default_config_static_selectorELNS0_4arch9wavefront6targetE1EEEvSI_
    .private_segment_fixed_size: 0
    .sgpr_count:     4
    .sgpr_spill_count: 0
    .symbol:         _ZN7rocprim17ROCPRIM_400000_NS6detail17trampoline_kernelINS0_14default_configENS1_37merge_sort_block_sort_config_selectorIN3c108BFloat16ElEEZNS1_21merge_sort_block_sortIS3_PS6_S9_N6thrust23THRUST_200600_302600_NS10device_ptrIlEESD_NSB_4lessIS6_EEEE10hipError_tT0_T1_T2_T3_mRjT4_P12ihipStream_tbNS1_7vsmem_tEEUlT_E_NS1_11comp_targetILNS1_3genE10ELNS1_11target_archE1201ELNS1_3gpuE5ELNS1_3repE0EEENS1_30default_config_static_selectorELNS0_4arch9wavefront6targetE1EEEvSI_.kd
    .uniform_work_group_size: 1
    .uses_dynamic_stack: false
    .vgpr_count:     0
    .vgpr_spill_count: 0
    .wavefront_size: 64
  - .agpr_count:     0
    .args:
      - .offset:         0
        .size:           64
        .value_kind:     by_value
    .group_segment_fixed_size: 0
    .kernarg_segment_align: 8
    .kernarg_segment_size: 64
    .language:       OpenCL C
    .language_version:
      - 2
      - 0
    .max_flat_workgroup_size: 512
    .name:           _ZN7rocprim17ROCPRIM_400000_NS6detail17trampoline_kernelINS0_14default_configENS1_37merge_sort_block_sort_config_selectorIN3c108BFloat16ElEEZNS1_21merge_sort_block_sortIS3_PS6_S9_N6thrust23THRUST_200600_302600_NS10device_ptrIlEESD_NSB_4lessIS6_EEEE10hipError_tT0_T1_T2_T3_mRjT4_P12ihipStream_tbNS1_7vsmem_tEEUlT_E_NS1_11comp_targetILNS1_3genE10ELNS1_11target_archE1200ELNS1_3gpuE4ELNS1_3repE0EEENS1_30default_config_static_selectorELNS0_4arch9wavefront6targetE1EEEvSI_
    .private_segment_fixed_size: 0
    .sgpr_count:     4
    .sgpr_spill_count: 0
    .symbol:         _ZN7rocprim17ROCPRIM_400000_NS6detail17trampoline_kernelINS0_14default_configENS1_37merge_sort_block_sort_config_selectorIN3c108BFloat16ElEEZNS1_21merge_sort_block_sortIS3_PS6_S9_N6thrust23THRUST_200600_302600_NS10device_ptrIlEESD_NSB_4lessIS6_EEEE10hipError_tT0_T1_T2_T3_mRjT4_P12ihipStream_tbNS1_7vsmem_tEEUlT_E_NS1_11comp_targetILNS1_3genE10ELNS1_11target_archE1200ELNS1_3gpuE4ELNS1_3repE0EEENS1_30default_config_static_selectorELNS0_4arch9wavefront6targetE1EEEvSI_.kd
    .uniform_work_group_size: 1
    .uses_dynamic_stack: false
    .vgpr_count:     0
    .vgpr_spill_count: 0
    .wavefront_size: 64
  - .agpr_count:     0
    .args:
      - .offset:         0
        .size:           64
        .value_kind:     by_value
    .group_segment_fixed_size: 0
    .kernarg_segment_align: 8
    .kernarg_segment_size: 64
    .language:       OpenCL C
    .language_version:
      - 2
      - 0
    .max_flat_workgroup_size: 512
    .name:           _ZN7rocprim17ROCPRIM_400000_NS6detail17trampoline_kernelINS0_14default_configENS1_37merge_sort_block_sort_config_selectorIN3c108BFloat16ElEEZNS1_21merge_sort_block_sortIS3_PS6_S9_N6thrust23THRUST_200600_302600_NS10device_ptrIlEESD_NSB_4lessIS6_EEEE10hipError_tT0_T1_T2_T3_mRjT4_P12ihipStream_tbNS1_7vsmem_tEEUlT_E_NS1_11comp_targetILNS1_3genE9ELNS1_11target_archE1100ELNS1_3gpuE3ELNS1_3repE0EEENS1_30default_config_static_selectorELNS0_4arch9wavefront6targetE1EEEvSI_
    .private_segment_fixed_size: 0
    .sgpr_count:     4
    .sgpr_spill_count: 0
    .symbol:         _ZN7rocprim17ROCPRIM_400000_NS6detail17trampoline_kernelINS0_14default_configENS1_37merge_sort_block_sort_config_selectorIN3c108BFloat16ElEEZNS1_21merge_sort_block_sortIS3_PS6_S9_N6thrust23THRUST_200600_302600_NS10device_ptrIlEESD_NSB_4lessIS6_EEEE10hipError_tT0_T1_T2_T3_mRjT4_P12ihipStream_tbNS1_7vsmem_tEEUlT_E_NS1_11comp_targetILNS1_3genE9ELNS1_11target_archE1100ELNS1_3gpuE3ELNS1_3repE0EEENS1_30default_config_static_selectorELNS0_4arch9wavefront6targetE1EEEvSI_.kd
    .uniform_work_group_size: 1
    .uses_dynamic_stack: false
    .vgpr_count:     0
    .vgpr_spill_count: 0
    .wavefront_size: 64
  - .agpr_count:     0
    .args:
      - .offset:         0
        .size:           64
        .value_kind:     by_value
    .group_segment_fixed_size: 0
    .kernarg_segment_align: 8
    .kernarg_segment_size: 64
    .language:       OpenCL C
    .language_version:
      - 2
      - 0
    .max_flat_workgroup_size: 256
    .name:           _ZN7rocprim17ROCPRIM_400000_NS6detail17trampoline_kernelINS0_14default_configENS1_37merge_sort_block_sort_config_selectorIN3c108BFloat16ElEEZNS1_21merge_sort_block_sortIS3_PS6_S9_N6thrust23THRUST_200600_302600_NS10device_ptrIlEESD_NSB_4lessIS6_EEEE10hipError_tT0_T1_T2_T3_mRjT4_P12ihipStream_tbNS1_7vsmem_tEEUlT_E_NS1_11comp_targetILNS1_3genE8ELNS1_11target_archE1030ELNS1_3gpuE2ELNS1_3repE0EEENS1_30default_config_static_selectorELNS0_4arch9wavefront6targetE1EEEvSI_
    .private_segment_fixed_size: 0
    .sgpr_count:     4
    .sgpr_spill_count: 0
    .symbol:         _ZN7rocprim17ROCPRIM_400000_NS6detail17trampoline_kernelINS0_14default_configENS1_37merge_sort_block_sort_config_selectorIN3c108BFloat16ElEEZNS1_21merge_sort_block_sortIS3_PS6_S9_N6thrust23THRUST_200600_302600_NS10device_ptrIlEESD_NSB_4lessIS6_EEEE10hipError_tT0_T1_T2_T3_mRjT4_P12ihipStream_tbNS1_7vsmem_tEEUlT_E_NS1_11comp_targetILNS1_3genE8ELNS1_11target_archE1030ELNS1_3gpuE2ELNS1_3repE0EEENS1_30default_config_static_selectorELNS0_4arch9wavefront6targetE1EEEvSI_.kd
    .uniform_work_group_size: 1
    .uses_dynamic_stack: false
    .vgpr_count:     0
    .vgpr_spill_count: 0
    .wavefront_size: 64
  - .agpr_count:     0
    .args:
      - .offset:         0
        .size:           48
        .value_kind:     by_value
    .group_segment_fixed_size: 0
    .kernarg_segment_align: 8
    .kernarg_segment_size: 48
    .language:       OpenCL C
    .language_version:
      - 2
      - 0
    .max_flat_workgroup_size: 128
    .name:           _ZN7rocprim17ROCPRIM_400000_NS6detail17trampoline_kernelINS0_14default_configENS1_38merge_sort_block_merge_config_selectorIN3c108BFloat16ElEEZZNS1_27merge_sort_block_merge_implIS3_PS6_N6thrust23THRUST_200600_302600_NS10device_ptrIlEEmNSB_4lessIS6_EEEE10hipError_tT0_T1_T2_jT3_P12ihipStream_tbPNSt15iterator_traitsISH_E10value_typeEPNSN_ISI_E10value_typeEPSJ_NS1_7vsmem_tEENKUlT_SH_SI_SJ_E_clIS9_S9_PlSD_EESG_SW_SH_SI_SJ_EUlSW_E_NS1_11comp_targetILNS1_3genE0ELNS1_11target_archE4294967295ELNS1_3gpuE0ELNS1_3repE0EEENS1_48merge_mergepath_partition_config_static_selectorELNS0_4arch9wavefront6targetE1EEEvSI_
    .private_segment_fixed_size: 0
    .sgpr_count:     4
    .sgpr_spill_count: 0
    .symbol:         _ZN7rocprim17ROCPRIM_400000_NS6detail17trampoline_kernelINS0_14default_configENS1_38merge_sort_block_merge_config_selectorIN3c108BFloat16ElEEZZNS1_27merge_sort_block_merge_implIS3_PS6_N6thrust23THRUST_200600_302600_NS10device_ptrIlEEmNSB_4lessIS6_EEEE10hipError_tT0_T1_T2_jT3_P12ihipStream_tbPNSt15iterator_traitsISH_E10value_typeEPNSN_ISI_E10value_typeEPSJ_NS1_7vsmem_tEENKUlT_SH_SI_SJ_E_clIS9_S9_PlSD_EESG_SW_SH_SI_SJ_EUlSW_E_NS1_11comp_targetILNS1_3genE0ELNS1_11target_archE4294967295ELNS1_3gpuE0ELNS1_3repE0EEENS1_48merge_mergepath_partition_config_static_selectorELNS0_4arch9wavefront6targetE1EEEvSI_.kd
    .uniform_work_group_size: 1
    .uses_dynamic_stack: false
    .vgpr_count:     0
    .vgpr_spill_count: 0
    .wavefront_size: 64
  - .agpr_count:     0
    .args:
      - .offset:         0
        .size:           48
        .value_kind:     by_value
    .group_segment_fixed_size: 0
    .kernarg_segment_align: 8
    .kernarg_segment_size: 48
    .language:       OpenCL C
    .language_version:
      - 2
      - 0
    .max_flat_workgroup_size: 128
    .name:           _ZN7rocprim17ROCPRIM_400000_NS6detail17trampoline_kernelINS0_14default_configENS1_38merge_sort_block_merge_config_selectorIN3c108BFloat16ElEEZZNS1_27merge_sort_block_merge_implIS3_PS6_N6thrust23THRUST_200600_302600_NS10device_ptrIlEEmNSB_4lessIS6_EEEE10hipError_tT0_T1_T2_jT3_P12ihipStream_tbPNSt15iterator_traitsISH_E10value_typeEPNSN_ISI_E10value_typeEPSJ_NS1_7vsmem_tEENKUlT_SH_SI_SJ_E_clIS9_S9_PlSD_EESG_SW_SH_SI_SJ_EUlSW_E_NS1_11comp_targetILNS1_3genE10ELNS1_11target_archE1201ELNS1_3gpuE5ELNS1_3repE0EEENS1_48merge_mergepath_partition_config_static_selectorELNS0_4arch9wavefront6targetE1EEEvSI_
    .private_segment_fixed_size: 0
    .sgpr_count:     4
    .sgpr_spill_count: 0
    .symbol:         _ZN7rocprim17ROCPRIM_400000_NS6detail17trampoline_kernelINS0_14default_configENS1_38merge_sort_block_merge_config_selectorIN3c108BFloat16ElEEZZNS1_27merge_sort_block_merge_implIS3_PS6_N6thrust23THRUST_200600_302600_NS10device_ptrIlEEmNSB_4lessIS6_EEEE10hipError_tT0_T1_T2_jT3_P12ihipStream_tbPNSt15iterator_traitsISH_E10value_typeEPNSN_ISI_E10value_typeEPSJ_NS1_7vsmem_tEENKUlT_SH_SI_SJ_E_clIS9_S9_PlSD_EESG_SW_SH_SI_SJ_EUlSW_E_NS1_11comp_targetILNS1_3genE10ELNS1_11target_archE1201ELNS1_3gpuE5ELNS1_3repE0EEENS1_48merge_mergepath_partition_config_static_selectorELNS0_4arch9wavefront6targetE1EEEvSI_.kd
    .uniform_work_group_size: 1
    .uses_dynamic_stack: false
    .vgpr_count:     0
    .vgpr_spill_count: 0
    .wavefront_size: 64
  - .agpr_count:     0
    .args:
      - .offset:         0
        .size:           48
        .value_kind:     by_value
    .group_segment_fixed_size: 0
    .kernarg_segment_align: 8
    .kernarg_segment_size: 48
    .language:       OpenCL C
    .language_version:
      - 2
      - 0
    .max_flat_workgroup_size: 128
    .name:           _ZN7rocprim17ROCPRIM_400000_NS6detail17trampoline_kernelINS0_14default_configENS1_38merge_sort_block_merge_config_selectorIN3c108BFloat16ElEEZZNS1_27merge_sort_block_merge_implIS3_PS6_N6thrust23THRUST_200600_302600_NS10device_ptrIlEEmNSB_4lessIS6_EEEE10hipError_tT0_T1_T2_jT3_P12ihipStream_tbPNSt15iterator_traitsISH_E10value_typeEPNSN_ISI_E10value_typeEPSJ_NS1_7vsmem_tEENKUlT_SH_SI_SJ_E_clIS9_S9_PlSD_EESG_SW_SH_SI_SJ_EUlSW_E_NS1_11comp_targetILNS1_3genE5ELNS1_11target_archE942ELNS1_3gpuE9ELNS1_3repE0EEENS1_48merge_mergepath_partition_config_static_selectorELNS0_4arch9wavefront6targetE1EEEvSI_
    .private_segment_fixed_size: 0
    .sgpr_count:     4
    .sgpr_spill_count: 0
    .symbol:         _ZN7rocprim17ROCPRIM_400000_NS6detail17trampoline_kernelINS0_14default_configENS1_38merge_sort_block_merge_config_selectorIN3c108BFloat16ElEEZZNS1_27merge_sort_block_merge_implIS3_PS6_N6thrust23THRUST_200600_302600_NS10device_ptrIlEEmNSB_4lessIS6_EEEE10hipError_tT0_T1_T2_jT3_P12ihipStream_tbPNSt15iterator_traitsISH_E10value_typeEPNSN_ISI_E10value_typeEPSJ_NS1_7vsmem_tEENKUlT_SH_SI_SJ_E_clIS9_S9_PlSD_EESG_SW_SH_SI_SJ_EUlSW_E_NS1_11comp_targetILNS1_3genE5ELNS1_11target_archE942ELNS1_3gpuE9ELNS1_3repE0EEENS1_48merge_mergepath_partition_config_static_selectorELNS0_4arch9wavefront6targetE1EEEvSI_.kd
    .uniform_work_group_size: 1
    .uses_dynamic_stack: false
    .vgpr_count:     0
    .vgpr_spill_count: 0
    .wavefront_size: 64
  - .agpr_count:     0
    .args:
      - .offset:         0
        .size:           48
        .value_kind:     by_value
    .group_segment_fixed_size: 0
    .kernarg_segment_align: 8
    .kernarg_segment_size: 48
    .language:       OpenCL C
    .language_version:
      - 2
      - 0
    .max_flat_workgroup_size: 128
    .name:           _ZN7rocprim17ROCPRIM_400000_NS6detail17trampoline_kernelINS0_14default_configENS1_38merge_sort_block_merge_config_selectorIN3c108BFloat16ElEEZZNS1_27merge_sort_block_merge_implIS3_PS6_N6thrust23THRUST_200600_302600_NS10device_ptrIlEEmNSB_4lessIS6_EEEE10hipError_tT0_T1_T2_jT3_P12ihipStream_tbPNSt15iterator_traitsISH_E10value_typeEPNSN_ISI_E10value_typeEPSJ_NS1_7vsmem_tEENKUlT_SH_SI_SJ_E_clIS9_S9_PlSD_EESG_SW_SH_SI_SJ_EUlSW_E_NS1_11comp_targetILNS1_3genE4ELNS1_11target_archE910ELNS1_3gpuE8ELNS1_3repE0EEENS1_48merge_mergepath_partition_config_static_selectorELNS0_4arch9wavefront6targetE1EEEvSI_
    .private_segment_fixed_size: 0
    .sgpr_count:     12
    .sgpr_spill_count: 0
    .symbol:         _ZN7rocprim17ROCPRIM_400000_NS6detail17trampoline_kernelINS0_14default_configENS1_38merge_sort_block_merge_config_selectorIN3c108BFloat16ElEEZZNS1_27merge_sort_block_merge_implIS3_PS6_N6thrust23THRUST_200600_302600_NS10device_ptrIlEEmNSB_4lessIS6_EEEE10hipError_tT0_T1_T2_jT3_P12ihipStream_tbPNSt15iterator_traitsISH_E10value_typeEPNSN_ISI_E10value_typeEPSJ_NS1_7vsmem_tEENKUlT_SH_SI_SJ_E_clIS9_S9_PlSD_EESG_SW_SH_SI_SJ_EUlSW_E_NS1_11comp_targetILNS1_3genE4ELNS1_11target_archE910ELNS1_3gpuE8ELNS1_3repE0EEENS1_48merge_mergepath_partition_config_static_selectorELNS0_4arch9wavefront6targetE1EEEvSI_.kd
    .uniform_work_group_size: 1
    .uses_dynamic_stack: false
    .vgpr_count:     19
    .vgpr_spill_count: 0
    .wavefront_size: 64
  - .agpr_count:     0
    .args:
      - .offset:         0
        .size:           48
        .value_kind:     by_value
    .group_segment_fixed_size: 0
    .kernarg_segment_align: 8
    .kernarg_segment_size: 48
    .language:       OpenCL C
    .language_version:
      - 2
      - 0
    .max_flat_workgroup_size: 128
    .name:           _ZN7rocprim17ROCPRIM_400000_NS6detail17trampoline_kernelINS0_14default_configENS1_38merge_sort_block_merge_config_selectorIN3c108BFloat16ElEEZZNS1_27merge_sort_block_merge_implIS3_PS6_N6thrust23THRUST_200600_302600_NS10device_ptrIlEEmNSB_4lessIS6_EEEE10hipError_tT0_T1_T2_jT3_P12ihipStream_tbPNSt15iterator_traitsISH_E10value_typeEPNSN_ISI_E10value_typeEPSJ_NS1_7vsmem_tEENKUlT_SH_SI_SJ_E_clIS9_S9_PlSD_EESG_SW_SH_SI_SJ_EUlSW_E_NS1_11comp_targetILNS1_3genE3ELNS1_11target_archE908ELNS1_3gpuE7ELNS1_3repE0EEENS1_48merge_mergepath_partition_config_static_selectorELNS0_4arch9wavefront6targetE1EEEvSI_
    .private_segment_fixed_size: 0
    .sgpr_count:     4
    .sgpr_spill_count: 0
    .symbol:         _ZN7rocprim17ROCPRIM_400000_NS6detail17trampoline_kernelINS0_14default_configENS1_38merge_sort_block_merge_config_selectorIN3c108BFloat16ElEEZZNS1_27merge_sort_block_merge_implIS3_PS6_N6thrust23THRUST_200600_302600_NS10device_ptrIlEEmNSB_4lessIS6_EEEE10hipError_tT0_T1_T2_jT3_P12ihipStream_tbPNSt15iterator_traitsISH_E10value_typeEPNSN_ISI_E10value_typeEPSJ_NS1_7vsmem_tEENKUlT_SH_SI_SJ_E_clIS9_S9_PlSD_EESG_SW_SH_SI_SJ_EUlSW_E_NS1_11comp_targetILNS1_3genE3ELNS1_11target_archE908ELNS1_3gpuE7ELNS1_3repE0EEENS1_48merge_mergepath_partition_config_static_selectorELNS0_4arch9wavefront6targetE1EEEvSI_.kd
    .uniform_work_group_size: 1
    .uses_dynamic_stack: false
    .vgpr_count:     0
    .vgpr_spill_count: 0
    .wavefront_size: 64
  - .agpr_count:     0
    .args:
      - .offset:         0
        .size:           48
        .value_kind:     by_value
    .group_segment_fixed_size: 0
    .kernarg_segment_align: 8
    .kernarg_segment_size: 48
    .language:       OpenCL C
    .language_version:
      - 2
      - 0
    .max_flat_workgroup_size: 128
    .name:           _ZN7rocprim17ROCPRIM_400000_NS6detail17trampoline_kernelINS0_14default_configENS1_38merge_sort_block_merge_config_selectorIN3c108BFloat16ElEEZZNS1_27merge_sort_block_merge_implIS3_PS6_N6thrust23THRUST_200600_302600_NS10device_ptrIlEEmNSB_4lessIS6_EEEE10hipError_tT0_T1_T2_jT3_P12ihipStream_tbPNSt15iterator_traitsISH_E10value_typeEPNSN_ISI_E10value_typeEPSJ_NS1_7vsmem_tEENKUlT_SH_SI_SJ_E_clIS9_S9_PlSD_EESG_SW_SH_SI_SJ_EUlSW_E_NS1_11comp_targetILNS1_3genE2ELNS1_11target_archE906ELNS1_3gpuE6ELNS1_3repE0EEENS1_48merge_mergepath_partition_config_static_selectorELNS0_4arch9wavefront6targetE1EEEvSI_
    .private_segment_fixed_size: 0
    .sgpr_count:     4
    .sgpr_spill_count: 0
    .symbol:         _ZN7rocprim17ROCPRIM_400000_NS6detail17trampoline_kernelINS0_14default_configENS1_38merge_sort_block_merge_config_selectorIN3c108BFloat16ElEEZZNS1_27merge_sort_block_merge_implIS3_PS6_N6thrust23THRUST_200600_302600_NS10device_ptrIlEEmNSB_4lessIS6_EEEE10hipError_tT0_T1_T2_jT3_P12ihipStream_tbPNSt15iterator_traitsISH_E10value_typeEPNSN_ISI_E10value_typeEPSJ_NS1_7vsmem_tEENKUlT_SH_SI_SJ_E_clIS9_S9_PlSD_EESG_SW_SH_SI_SJ_EUlSW_E_NS1_11comp_targetILNS1_3genE2ELNS1_11target_archE906ELNS1_3gpuE6ELNS1_3repE0EEENS1_48merge_mergepath_partition_config_static_selectorELNS0_4arch9wavefront6targetE1EEEvSI_.kd
    .uniform_work_group_size: 1
    .uses_dynamic_stack: false
    .vgpr_count:     0
    .vgpr_spill_count: 0
    .wavefront_size: 64
  - .agpr_count:     0
    .args:
      - .offset:         0
        .size:           48
        .value_kind:     by_value
    .group_segment_fixed_size: 0
    .kernarg_segment_align: 8
    .kernarg_segment_size: 48
    .language:       OpenCL C
    .language_version:
      - 2
      - 0
    .max_flat_workgroup_size: 128
    .name:           _ZN7rocprim17ROCPRIM_400000_NS6detail17trampoline_kernelINS0_14default_configENS1_38merge_sort_block_merge_config_selectorIN3c108BFloat16ElEEZZNS1_27merge_sort_block_merge_implIS3_PS6_N6thrust23THRUST_200600_302600_NS10device_ptrIlEEmNSB_4lessIS6_EEEE10hipError_tT0_T1_T2_jT3_P12ihipStream_tbPNSt15iterator_traitsISH_E10value_typeEPNSN_ISI_E10value_typeEPSJ_NS1_7vsmem_tEENKUlT_SH_SI_SJ_E_clIS9_S9_PlSD_EESG_SW_SH_SI_SJ_EUlSW_E_NS1_11comp_targetILNS1_3genE9ELNS1_11target_archE1100ELNS1_3gpuE3ELNS1_3repE0EEENS1_48merge_mergepath_partition_config_static_selectorELNS0_4arch9wavefront6targetE1EEEvSI_
    .private_segment_fixed_size: 0
    .sgpr_count:     4
    .sgpr_spill_count: 0
    .symbol:         _ZN7rocprim17ROCPRIM_400000_NS6detail17trampoline_kernelINS0_14default_configENS1_38merge_sort_block_merge_config_selectorIN3c108BFloat16ElEEZZNS1_27merge_sort_block_merge_implIS3_PS6_N6thrust23THRUST_200600_302600_NS10device_ptrIlEEmNSB_4lessIS6_EEEE10hipError_tT0_T1_T2_jT3_P12ihipStream_tbPNSt15iterator_traitsISH_E10value_typeEPNSN_ISI_E10value_typeEPSJ_NS1_7vsmem_tEENKUlT_SH_SI_SJ_E_clIS9_S9_PlSD_EESG_SW_SH_SI_SJ_EUlSW_E_NS1_11comp_targetILNS1_3genE9ELNS1_11target_archE1100ELNS1_3gpuE3ELNS1_3repE0EEENS1_48merge_mergepath_partition_config_static_selectorELNS0_4arch9wavefront6targetE1EEEvSI_.kd
    .uniform_work_group_size: 1
    .uses_dynamic_stack: false
    .vgpr_count:     0
    .vgpr_spill_count: 0
    .wavefront_size: 64
  - .agpr_count:     0
    .args:
      - .offset:         0
        .size:           48
        .value_kind:     by_value
    .group_segment_fixed_size: 0
    .kernarg_segment_align: 8
    .kernarg_segment_size: 48
    .language:       OpenCL C
    .language_version:
      - 2
      - 0
    .max_flat_workgroup_size: 128
    .name:           _ZN7rocprim17ROCPRIM_400000_NS6detail17trampoline_kernelINS0_14default_configENS1_38merge_sort_block_merge_config_selectorIN3c108BFloat16ElEEZZNS1_27merge_sort_block_merge_implIS3_PS6_N6thrust23THRUST_200600_302600_NS10device_ptrIlEEmNSB_4lessIS6_EEEE10hipError_tT0_T1_T2_jT3_P12ihipStream_tbPNSt15iterator_traitsISH_E10value_typeEPNSN_ISI_E10value_typeEPSJ_NS1_7vsmem_tEENKUlT_SH_SI_SJ_E_clIS9_S9_PlSD_EESG_SW_SH_SI_SJ_EUlSW_E_NS1_11comp_targetILNS1_3genE8ELNS1_11target_archE1030ELNS1_3gpuE2ELNS1_3repE0EEENS1_48merge_mergepath_partition_config_static_selectorELNS0_4arch9wavefront6targetE1EEEvSI_
    .private_segment_fixed_size: 0
    .sgpr_count:     4
    .sgpr_spill_count: 0
    .symbol:         _ZN7rocprim17ROCPRIM_400000_NS6detail17trampoline_kernelINS0_14default_configENS1_38merge_sort_block_merge_config_selectorIN3c108BFloat16ElEEZZNS1_27merge_sort_block_merge_implIS3_PS6_N6thrust23THRUST_200600_302600_NS10device_ptrIlEEmNSB_4lessIS6_EEEE10hipError_tT0_T1_T2_jT3_P12ihipStream_tbPNSt15iterator_traitsISH_E10value_typeEPNSN_ISI_E10value_typeEPSJ_NS1_7vsmem_tEENKUlT_SH_SI_SJ_E_clIS9_S9_PlSD_EESG_SW_SH_SI_SJ_EUlSW_E_NS1_11comp_targetILNS1_3genE8ELNS1_11target_archE1030ELNS1_3gpuE2ELNS1_3repE0EEENS1_48merge_mergepath_partition_config_static_selectorELNS0_4arch9wavefront6targetE1EEEvSI_.kd
    .uniform_work_group_size: 1
    .uses_dynamic_stack: false
    .vgpr_count:     0
    .vgpr_spill_count: 0
    .wavefront_size: 64
  - .agpr_count:     0
    .args:
      - .offset:         0
        .size:           72
        .value_kind:     by_value
    .group_segment_fixed_size: 0
    .kernarg_segment_align: 8
    .kernarg_segment_size: 72
    .language:       OpenCL C
    .language_version:
      - 2
      - 0
    .max_flat_workgroup_size: 256
    .name:           _ZN7rocprim17ROCPRIM_400000_NS6detail17trampoline_kernelINS0_14default_configENS1_38merge_sort_block_merge_config_selectorIN3c108BFloat16ElEEZZNS1_27merge_sort_block_merge_implIS3_PS6_N6thrust23THRUST_200600_302600_NS10device_ptrIlEEmNSB_4lessIS6_EEEE10hipError_tT0_T1_T2_jT3_P12ihipStream_tbPNSt15iterator_traitsISH_E10value_typeEPNSN_ISI_E10value_typeEPSJ_NS1_7vsmem_tEENKUlT_SH_SI_SJ_E_clIS9_S9_PlSD_EESG_SW_SH_SI_SJ_EUlSW_E0_NS1_11comp_targetILNS1_3genE0ELNS1_11target_archE4294967295ELNS1_3gpuE0ELNS1_3repE0EEENS1_38merge_mergepath_config_static_selectorELNS0_4arch9wavefront6targetE1EEEvSI_
    .private_segment_fixed_size: 0
    .sgpr_count:     4
    .sgpr_spill_count: 0
    .symbol:         _ZN7rocprim17ROCPRIM_400000_NS6detail17trampoline_kernelINS0_14default_configENS1_38merge_sort_block_merge_config_selectorIN3c108BFloat16ElEEZZNS1_27merge_sort_block_merge_implIS3_PS6_N6thrust23THRUST_200600_302600_NS10device_ptrIlEEmNSB_4lessIS6_EEEE10hipError_tT0_T1_T2_jT3_P12ihipStream_tbPNSt15iterator_traitsISH_E10value_typeEPNSN_ISI_E10value_typeEPSJ_NS1_7vsmem_tEENKUlT_SH_SI_SJ_E_clIS9_S9_PlSD_EESG_SW_SH_SI_SJ_EUlSW_E0_NS1_11comp_targetILNS1_3genE0ELNS1_11target_archE4294967295ELNS1_3gpuE0ELNS1_3repE0EEENS1_38merge_mergepath_config_static_selectorELNS0_4arch9wavefront6targetE1EEEvSI_.kd
    .uniform_work_group_size: 1
    .uses_dynamic_stack: false
    .vgpr_count:     0
    .vgpr_spill_count: 0
    .wavefront_size: 64
  - .agpr_count:     0
    .args:
      - .offset:         0
        .size:           72
        .value_kind:     by_value
    .group_segment_fixed_size: 0
    .kernarg_segment_align: 8
    .kernarg_segment_size: 72
    .language:       OpenCL C
    .language_version:
      - 2
      - 0
    .max_flat_workgroup_size: 512
    .name:           _ZN7rocprim17ROCPRIM_400000_NS6detail17trampoline_kernelINS0_14default_configENS1_38merge_sort_block_merge_config_selectorIN3c108BFloat16ElEEZZNS1_27merge_sort_block_merge_implIS3_PS6_N6thrust23THRUST_200600_302600_NS10device_ptrIlEEmNSB_4lessIS6_EEEE10hipError_tT0_T1_T2_jT3_P12ihipStream_tbPNSt15iterator_traitsISH_E10value_typeEPNSN_ISI_E10value_typeEPSJ_NS1_7vsmem_tEENKUlT_SH_SI_SJ_E_clIS9_S9_PlSD_EESG_SW_SH_SI_SJ_EUlSW_E0_NS1_11comp_targetILNS1_3genE10ELNS1_11target_archE1201ELNS1_3gpuE5ELNS1_3repE0EEENS1_38merge_mergepath_config_static_selectorELNS0_4arch9wavefront6targetE1EEEvSI_
    .private_segment_fixed_size: 0
    .sgpr_count:     4
    .sgpr_spill_count: 0
    .symbol:         _ZN7rocprim17ROCPRIM_400000_NS6detail17trampoline_kernelINS0_14default_configENS1_38merge_sort_block_merge_config_selectorIN3c108BFloat16ElEEZZNS1_27merge_sort_block_merge_implIS3_PS6_N6thrust23THRUST_200600_302600_NS10device_ptrIlEEmNSB_4lessIS6_EEEE10hipError_tT0_T1_T2_jT3_P12ihipStream_tbPNSt15iterator_traitsISH_E10value_typeEPNSN_ISI_E10value_typeEPSJ_NS1_7vsmem_tEENKUlT_SH_SI_SJ_E_clIS9_S9_PlSD_EESG_SW_SH_SI_SJ_EUlSW_E0_NS1_11comp_targetILNS1_3genE10ELNS1_11target_archE1201ELNS1_3gpuE5ELNS1_3repE0EEENS1_38merge_mergepath_config_static_selectorELNS0_4arch9wavefront6targetE1EEEvSI_.kd
    .uniform_work_group_size: 1
    .uses_dynamic_stack: false
    .vgpr_count:     0
    .vgpr_spill_count: 0
    .wavefront_size: 64
  - .agpr_count:     0
    .args:
      - .offset:         0
        .size:           72
        .value_kind:     by_value
    .group_segment_fixed_size: 0
    .kernarg_segment_align: 8
    .kernarg_segment_size: 72
    .language:       OpenCL C
    .language_version:
      - 2
      - 0
    .max_flat_workgroup_size: 256
    .name:           _ZN7rocprim17ROCPRIM_400000_NS6detail17trampoline_kernelINS0_14default_configENS1_38merge_sort_block_merge_config_selectorIN3c108BFloat16ElEEZZNS1_27merge_sort_block_merge_implIS3_PS6_N6thrust23THRUST_200600_302600_NS10device_ptrIlEEmNSB_4lessIS6_EEEE10hipError_tT0_T1_T2_jT3_P12ihipStream_tbPNSt15iterator_traitsISH_E10value_typeEPNSN_ISI_E10value_typeEPSJ_NS1_7vsmem_tEENKUlT_SH_SI_SJ_E_clIS9_S9_PlSD_EESG_SW_SH_SI_SJ_EUlSW_E0_NS1_11comp_targetILNS1_3genE5ELNS1_11target_archE942ELNS1_3gpuE9ELNS1_3repE0EEENS1_38merge_mergepath_config_static_selectorELNS0_4arch9wavefront6targetE1EEEvSI_
    .private_segment_fixed_size: 0
    .sgpr_count:     4
    .sgpr_spill_count: 0
    .symbol:         _ZN7rocprim17ROCPRIM_400000_NS6detail17trampoline_kernelINS0_14default_configENS1_38merge_sort_block_merge_config_selectorIN3c108BFloat16ElEEZZNS1_27merge_sort_block_merge_implIS3_PS6_N6thrust23THRUST_200600_302600_NS10device_ptrIlEEmNSB_4lessIS6_EEEE10hipError_tT0_T1_T2_jT3_P12ihipStream_tbPNSt15iterator_traitsISH_E10value_typeEPNSN_ISI_E10value_typeEPSJ_NS1_7vsmem_tEENKUlT_SH_SI_SJ_E_clIS9_S9_PlSD_EESG_SW_SH_SI_SJ_EUlSW_E0_NS1_11comp_targetILNS1_3genE5ELNS1_11target_archE942ELNS1_3gpuE9ELNS1_3repE0EEENS1_38merge_mergepath_config_static_selectorELNS0_4arch9wavefront6targetE1EEEvSI_.kd
    .uniform_work_group_size: 1
    .uses_dynamic_stack: false
    .vgpr_count:     0
    .vgpr_spill_count: 0
    .wavefront_size: 64
  - .agpr_count:     0
    .args:
      - .offset:         0
        .size:           72
        .value_kind:     by_value
      - .offset:         72
        .size:           4
        .value_kind:     hidden_block_count_x
      - .offset:         76
        .size:           4
        .value_kind:     hidden_block_count_y
      - .offset:         80
        .size:           4
        .value_kind:     hidden_block_count_z
      - .offset:         84
        .size:           2
        .value_kind:     hidden_group_size_x
      - .offset:         86
        .size:           2
        .value_kind:     hidden_group_size_y
      - .offset:         88
        .size:           2
        .value_kind:     hidden_group_size_z
      - .offset:         90
        .size:           2
        .value_kind:     hidden_remainder_x
      - .offset:         92
        .size:           2
        .value_kind:     hidden_remainder_y
      - .offset:         94
        .size:           2
        .value_kind:     hidden_remainder_z
      - .offset:         112
        .size:           8
        .value_kind:     hidden_global_offset_x
      - .offset:         120
        .size:           8
        .value_kind:     hidden_global_offset_y
      - .offset:         128
        .size:           8
        .value_kind:     hidden_global_offset_z
      - .offset:         136
        .size:           2
        .value_kind:     hidden_grid_dims
    .group_segment_fixed_size: 8448
    .kernarg_segment_align: 8
    .kernarg_segment_size: 328
    .language:       OpenCL C
    .language_version:
      - 2
      - 0
    .max_flat_workgroup_size: 256
    .name:           _ZN7rocprim17ROCPRIM_400000_NS6detail17trampoline_kernelINS0_14default_configENS1_38merge_sort_block_merge_config_selectorIN3c108BFloat16ElEEZZNS1_27merge_sort_block_merge_implIS3_PS6_N6thrust23THRUST_200600_302600_NS10device_ptrIlEEmNSB_4lessIS6_EEEE10hipError_tT0_T1_T2_jT3_P12ihipStream_tbPNSt15iterator_traitsISH_E10value_typeEPNSN_ISI_E10value_typeEPSJ_NS1_7vsmem_tEENKUlT_SH_SI_SJ_E_clIS9_S9_PlSD_EESG_SW_SH_SI_SJ_EUlSW_E0_NS1_11comp_targetILNS1_3genE4ELNS1_11target_archE910ELNS1_3gpuE8ELNS1_3repE0EEENS1_38merge_mergepath_config_static_selectorELNS0_4arch9wavefront6targetE1EEEvSI_
    .private_segment_fixed_size: 0
    .sgpr_count:     42
    .sgpr_spill_count: 0
    .symbol:         _ZN7rocprim17ROCPRIM_400000_NS6detail17trampoline_kernelINS0_14default_configENS1_38merge_sort_block_merge_config_selectorIN3c108BFloat16ElEEZZNS1_27merge_sort_block_merge_implIS3_PS6_N6thrust23THRUST_200600_302600_NS10device_ptrIlEEmNSB_4lessIS6_EEEE10hipError_tT0_T1_T2_jT3_P12ihipStream_tbPNSt15iterator_traitsISH_E10value_typeEPNSN_ISI_E10value_typeEPSJ_NS1_7vsmem_tEENKUlT_SH_SI_SJ_E_clIS9_S9_PlSD_EESG_SW_SH_SI_SJ_EUlSW_E0_NS1_11comp_targetILNS1_3genE4ELNS1_11target_archE910ELNS1_3gpuE8ELNS1_3repE0EEENS1_38merge_mergepath_config_static_selectorELNS0_4arch9wavefront6targetE1EEEvSI_.kd
    .uniform_work_group_size: 1
    .uses_dynamic_stack: false
    .vgpr_count:     36
    .vgpr_spill_count: 0
    .wavefront_size: 64
  - .agpr_count:     0
    .args:
      - .offset:         0
        .size:           72
        .value_kind:     by_value
    .group_segment_fixed_size: 0
    .kernarg_segment_align: 8
    .kernarg_segment_size: 72
    .language:       OpenCL C
    .language_version:
      - 2
      - 0
    .max_flat_workgroup_size: 256
    .name:           _ZN7rocprim17ROCPRIM_400000_NS6detail17trampoline_kernelINS0_14default_configENS1_38merge_sort_block_merge_config_selectorIN3c108BFloat16ElEEZZNS1_27merge_sort_block_merge_implIS3_PS6_N6thrust23THRUST_200600_302600_NS10device_ptrIlEEmNSB_4lessIS6_EEEE10hipError_tT0_T1_T2_jT3_P12ihipStream_tbPNSt15iterator_traitsISH_E10value_typeEPNSN_ISI_E10value_typeEPSJ_NS1_7vsmem_tEENKUlT_SH_SI_SJ_E_clIS9_S9_PlSD_EESG_SW_SH_SI_SJ_EUlSW_E0_NS1_11comp_targetILNS1_3genE3ELNS1_11target_archE908ELNS1_3gpuE7ELNS1_3repE0EEENS1_38merge_mergepath_config_static_selectorELNS0_4arch9wavefront6targetE1EEEvSI_
    .private_segment_fixed_size: 0
    .sgpr_count:     4
    .sgpr_spill_count: 0
    .symbol:         _ZN7rocprim17ROCPRIM_400000_NS6detail17trampoline_kernelINS0_14default_configENS1_38merge_sort_block_merge_config_selectorIN3c108BFloat16ElEEZZNS1_27merge_sort_block_merge_implIS3_PS6_N6thrust23THRUST_200600_302600_NS10device_ptrIlEEmNSB_4lessIS6_EEEE10hipError_tT0_T1_T2_jT3_P12ihipStream_tbPNSt15iterator_traitsISH_E10value_typeEPNSN_ISI_E10value_typeEPSJ_NS1_7vsmem_tEENKUlT_SH_SI_SJ_E_clIS9_S9_PlSD_EESG_SW_SH_SI_SJ_EUlSW_E0_NS1_11comp_targetILNS1_3genE3ELNS1_11target_archE908ELNS1_3gpuE7ELNS1_3repE0EEENS1_38merge_mergepath_config_static_selectorELNS0_4arch9wavefront6targetE1EEEvSI_.kd
    .uniform_work_group_size: 1
    .uses_dynamic_stack: false
    .vgpr_count:     0
    .vgpr_spill_count: 0
    .wavefront_size: 64
  - .agpr_count:     0
    .args:
      - .offset:         0
        .size:           72
        .value_kind:     by_value
    .group_segment_fixed_size: 0
    .kernarg_segment_align: 8
    .kernarg_segment_size: 72
    .language:       OpenCL C
    .language_version:
      - 2
      - 0
    .max_flat_workgroup_size: 256
    .name:           _ZN7rocprim17ROCPRIM_400000_NS6detail17trampoline_kernelINS0_14default_configENS1_38merge_sort_block_merge_config_selectorIN3c108BFloat16ElEEZZNS1_27merge_sort_block_merge_implIS3_PS6_N6thrust23THRUST_200600_302600_NS10device_ptrIlEEmNSB_4lessIS6_EEEE10hipError_tT0_T1_T2_jT3_P12ihipStream_tbPNSt15iterator_traitsISH_E10value_typeEPNSN_ISI_E10value_typeEPSJ_NS1_7vsmem_tEENKUlT_SH_SI_SJ_E_clIS9_S9_PlSD_EESG_SW_SH_SI_SJ_EUlSW_E0_NS1_11comp_targetILNS1_3genE2ELNS1_11target_archE906ELNS1_3gpuE6ELNS1_3repE0EEENS1_38merge_mergepath_config_static_selectorELNS0_4arch9wavefront6targetE1EEEvSI_
    .private_segment_fixed_size: 0
    .sgpr_count:     4
    .sgpr_spill_count: 0
    .symbol:         _ZN7rocprim17ROCPRIM_400000_NS6detail17trampoline_kernelINS0_14default_configENS1_38merge_sort_block_merge_config_selectorIN3c108BFloat16ElEEZZNS1_27merge_sort_block_merge_implIS3_PS6_N6thrust23THRUST_200600_302600_NS10device_ptrIlEEmNSB_4lessIS6_EEEE10hipError_tT0_T1_T2_jT3_P12ihipStream_tbPNSt15iterator_traitsISH_E10value_typeEPNSN_ISI_E10value_typeEPSJ_NS1_7vsmem_tEENKUlT_SH_SI_SJ_E_clIS9_S9_PlSD_EESG_SW_SH_SI_SJ_EUlSW_E0_NS1_11comp_targetILNS1_3genE2ELNS1_11target_archE906ELNS1_3gpuE6ELNS1_3repE0EEENS1_38merge_mergepath_config_static_selectorELNS0_4arch9wavefront6targetE1EEEvSI_.kd
    .uniform_work_group_size: 1
    .uses_dynamic_stack: false
    .vgpr_count:     0
    .vgpr_spill_count: 0
    .wavefront_size: 64
  - .agpr_count:     0
    .args:
      - .offset:         0
        .size:           72
        .value_kind:     by_value
    .group_segment_fixed_size: 0
    .kernarg_segment_align: 8
    .kernarg_segment_size: 72
    .language:       OpenCL C
    .language_version:
      - 2
      - 0
    .max_flat_workgroup_size: 256
    .name:           _ZN7rocprim17ROCPRIM_400000_NS6detail17trampoline_kernelINS0_14default_configENS1_38merge_sort_block_merge_config_selectorIN3c108BFloat16ElEEZZNS1_27merge_sort_block_merge_implIS3_PS6_N6thrust23THRUST_200600_302600_NS10device_ptrIlEEmNSB_4lessIS6_EEEE10hipError_tT0_T1_T2_jT3_P12ihipStream_tbPNSt15iterator_traitsISH_E10value_typeEPNSN_ISI_E10value_typeEPSJ_NS1_7vsmem_tEENKUlT_SH_SI_SJ_E_clIS9_S9_PlSD_EESG_SW_SH_SI_SJ_EUlSW_E0_NS1_11comp_targetILNS1_3genE9ELNS1_11target_archE1100ELNS1_3gpuE3ELNS1_3repE0EEENS1_38merge_mergepath_config_static_selectorELNS0_4arch9wavefront6targetE1EEEvSI_
    .private_segment_fixed_size: 0
    .sgpr_count:     4
    .sgpr_spill_count: 0
    .symbol:         _ZN7rocprim17ROCPRIM_400000_NS6detail17trampoline_kernelINS0_14default_configENS1_38merge_sort_block_merge_config_selectorIN3c108BFloat16ElEEZZNS1_27merge_sort_block_merge_implIS3_PS6_N6thrust23THRUST_200600_302600_NS10device_ptrIlEEmNSB_4lessIS6_EEEE10hipError_tT0_T1_T2_jT3_P12ihipStream_tbPNSt15iterator_traitsISH_E10value_typeEPNSN_ISI_E10value_typeEPSJ_NS1_7vsmem_tEENKUlT_SH_SI_SJ_E_clIS9_S9_PlSD_EESG_SW_SH_SI_SJ_EUlSW_E0_NS1_11comp_targetILNS1_3genE9ELNS1_11target_archE1100ELNS1_3gpuE3ELNS1_3repE0EEENS1_38merge_mergepath_config_static_selectorELNS0_4arch9wavefront6targetE1EEEvSI_.kd
    .uniform_work_group_size: 1
    .uses_dynamic_stack: false
    .vgpr_count:     0
    .vgpr_spill_count: 0
    .wavefront_size: 64
  - .agpr_count:     0
    .args:
      - .offset:         0
        .size:           72
        .value_kind:     by_value
    .group_segment_fixed_size: 0
    .kernarg_segment_align: 8
    .kernarg_segment_size: 72
    .language:       OpenCL C
    .language_version:
      - 2
      - 0
    .max_flat_workgroup_size: 512
    .name:           _ZN7rocprim17ROCPRIM_400000_NS6detail17trampoline_kernelINS0_14default_configENS1_38merge_sort_block_merge_config_selectorIN3c108BFloat16ElEEZZNS1_27merge_sort_block_merge_implIS3_PS6_N6thrust23THRUST_200600_302600_NS10device_ptrIlEEmNSB_4lessIS6_EEEE10hipError_tT0_T1_T2_jT3_P12ihipStream_tbPNSt15iterator_traitsISH_E10value_typeEPNSN_ISI_E10value_typeEPSJ_NS1_7vsmem_tEENKUlT_SH_SI_SJ_E_clIS9_S9_PlSD_EESG_SW_SH_SI_SJ_EUlSW_E0_NS1_11comp_targetILNS1_3genE8ELNS1_11target_archE1030ELNS1_3gpuE2ELNS1_3repE0EEENS1_38merge_mergepath_config_static_selectorELNS0_4arch9wavefront6targetE1EEEvSI_
    .private_segment_fixed_size: 0
    .sgpr_count:     4
    .sgpr_spill_count: 0
    .symbol:         _ZN7rocprim17ROCPRIM_400000_NS6detail17trampoline_kernelINS0_14default_configENS1_38merge_sort_block_merge_config_selectorIN3c108BFloat16ElEEZZNS1_27merge_sort_block_merge_implIS3_PS6_N6thrust23THRUST_200600_302600_NS10device_ptrIlEEmNSB_4lessIS6_EEEE10hipError_tT0_T1_T2_jT3_P12ihipStream_tbPNSt15iterator_traitsISH_E10value_typeEPNSN_ISI_E10value_typeEPSJ_NS1_7vsmem_tEENKUlT_SH_SI_SJ_E_clIS9_S9_PlSD_EESG_SW_SH_SI_SJ_EUlSW_E0_NS1_11comp_targetILNS1_3genE8ELNS1_11target_archE1030ELNS1_3gpuE2ELNS1_3repE0EEENS1_38merge_mergepath_config_static_selectorELNS0_4arch9wavefront6targetE1EEEvSI_.kd
    .uniform_work_group_size: 1
    .uses_dynamic_stack: false
    .vgpr_count:     0
    .vgpr_spill_count: 0
    .wavefront_size: 64
  - .agpr_count:     0
    .args:
      - .offset:         0
        .size:           56
        .value_kind:     by_value
    .group_segment_fixed_size: 0
    .kernarg_segment_align: 8
    .kernarg_segment_size: 56
    .language:       OpenCL C
    .language_version:
      - 2
      - 0
    .max_flat_workgroup_size: 256
    .name:           _ZN7rocprim17ROCPRIM_400000_NS6detail17trampoline_kernelINS0_14default_configENS1_38merge_sort_block_merge_config_selectorIN3c108BFloat16ElEEZZNS1_27merge_sort_block_merge_implIS3_PS6_N6thrust23THRUST_200600_302600_NS10device_ptrIlEEmNSB_4lessIS6_EEEE10hipError_tT0_T1_T2_jT3_P12ihipStream_tbPNSt15iterator_traitsISH_E10value_typeEPNSN_ISI_E10value_typeEPSJ_NS1_7vsmem_tEENKUlT_SH_SI_SJ_E_clIS9_S9_PlSD_EESG_SW_SH_SI_SJ_EUlSW_E1_NS1_11comp_targetILNS1_3genE0ELNS1_11target_archE4294967295ELNS1_3gpuE0ELNS1_3repE0EEENS1_36merge_oddeven_config_static_selectorELNS0_4arch9wavefront6targetE1EEEvSI_
    .private_segment_fixed_size: 0
    .sgpr_count:     4
    .sgpr_spill_count: 0
    .symbol:         _ZN7rocprim17ROCPRIM_400000_NS6detail17trampoline_kernelINS0_14default_configENS1_38merge_sort_block_merge_config_selectorIN3c108BFloat16ElEEZZNS1_27merge_sort_block_merge_implIS3_PS6_N6thrust23THRUST_200600_302600_NS10device_ptrIlEEmNSB_4lessIS6_EEEE10hipError_tT0_T1_T2_jT3_P12ihipStream_tbPNSt15iterator_traitsISH_E10value_typeEPNSN_ISI_E10value_typeEPSJ_NS1_7vsmem_tEENKUlT_SH_SI_SJ_E_clIS9_S9_PlSD_EESG_SW_SH_SI_SJ_EUlSW_E1_NS1_11comp_targetILNS1_3genE0ELNS1_11target_archE4294967295ELNS1_3gpuE0ELNS1_3repE0EEENS1_36merge_oddeven_config_static_selectorELNS0_4arch9wavefront6targetE1EEEvSI_.kd
    .uniform_work_group_size: 1
    .uses_dynamic_stack: false
    .vgpr_count:     0
    .vgpr_spill_count: 0
    .wavefront_size: 64
  - .agpr_count:     0
    .args:
      - .offset:         0
        .size:           56
        .value_kind:     by_value
    .group_segment_fixed_size: 0
    .kernarg_segment_align: 8
    .kernarg_segment_size: 56
    .language:       OpenCL C
    .language_version:
      - 2
      - 0
    .max_flat_workgroup_size: 256
    .name:           _ZN7rocprim17ROCPRIM_400000_NS6detail17trampoline_kernelINS0_14default_configENS1_38merge_sort_block_merge_config_selectorIN3c108BFloat16ElEEZZNS1_27merge_sort_block_merge_implIS3_PS6_N6thrust23THRUST_200600_302600_NS10device_ptrIlEEmNSB_4lessIS6_EEEE10hipError_tT0_T1_T2_jT3_P12ihipStream_tbPNSt15iterator_traitsISH_E10value_typeEPNSN_ISI_E10value_typeEPSJ_NS1_7vsmem_tEENKUlT_SH_SI_SJ_E_clIS9_S9_PlSD_EESG_SW_SH_SI_SJ_EUlSW_E1_NS1_11comp_targetILNS1_3genE10ELNS1_11target_archE1201ELNS1_3gpuE5ELNS1_3repE0EEENS1_36merge_oddeven_config_static_selectorELNS0_4arch9wavefront6targetE1EEEvSI_
    .private_segment_fixed_size: 0
    .sgpr_count:     4
    .sgpr_spill_count: 0
    .symbol:         _ZN7rocprim17ROCPRIM_400000_NS6detail17trampoline_kernelINS0_14default_configENS1_38merge_sort_block_merge_config_selectorIN3c108BFloat16ElEEZZNS1_27merge_sort_block_merge_implIS3_PS6_N6thrust23THRUST_200600_302600_NS10device_ptrIlEEmNSB_4lessIS6_EEEE10hipError_tT0_T1_T2_jT3_P12ihipStream_tbPNSt15iterator_traitsISH_E10value_typeEPNSN_ISI_E10value_typeEPSJ_NS1_7vsmem_tEENKUlT_SH_SI_SJ_E_clIS9_S9_PlSD_EESG_SW_SH_SI_SJ_EUlSW_E1_NS1_11comp_targetILNS1_3genE10ELNS1_11target_archE1201ELNS1_3gpuE5ELNS1_3repE0EEENS1_36merge_oddeven_config_static_selectorELNS0_4arch9wavefront6targetE1EEEvSI_.kd
    .uniform_work_group_size: 1
    .uses_dynamic_stack: false
    .vgpr_count:     0
    .vgpr_spill_count: 0
    .wavefront_size: 64
  - .agpr_count:     0
    .args:
      - .offset:         0
        .size:           56
        .value_kind:     by_value
    .group_segment_fixed_size: 0
    .kernarg_segment_align: 8
    .kernarg_segment_size: 56
    .language:       OpenCL C
    .language_version:
      - 2
      - 0
    .max_flat_workgroup_size: 256
    .name:           _ZN7rocprim17ROCPRIM_400000_NS6detail17trampoline_kernelINS0_14default_configENS1_38merge_sort_block_merge_config_selectorIN3c108BFloat16ElEEZZNS1_27merge_sort_block_merge_implIS3_PS6_N6thrust23THRUST_200600_302600_NS10device_ptrIlEEmNSB_4lessIS6_EEEE10hipError_tT0_T1_T2_jT3_P12ihipStream_tbPNSt15iterator_traitsISH_E10value_typeEPNSN_ISI_E10value_typeEPSJ_NS1_7vsmem_tEENKUlT_SH_SI_SJ_E_clIS9_S9_PlSD_EESG_SW_SH_SI_SJ_EUlSW_E1_NS1_11comp_targetILNS1_3genE5ELNS1_11target_archE942ELNS1_3gpuE9ELNS1_3repE0EEENS1_36merge_oddeven_config_static_selectorELNS0_4arch9wavefront6targetE1EEEvSI_
    .private_segment_fixed_size: 0
    .sgpr_count:     4
    .sgpr_spill_count: 0
    .symbol:         _ZN7rocprim17ROCPRIM_400000_NS6detail17trampoline_kernelINS0_14default_configENS1_38merge_sort_block_merge_config_selectorIN3c108BFloat16ElEEZZNS1_27merge_sort_block_merge_implIS3_PS6_N6thrust23THRUST_200600_302600_NS10device_ptrIlEEmNSB_4lessIS6_EEEE10hipError_tT0_T1_T2_jT3_P12ihipStream_tbPNSt15iterator_traitsISH_E10value_typeEPNSN_ISI_E10value_typeEPSJ_NS1_7vsmem_tEENKUlT_SH_SI_SJ_E_clIS9_S9_PlSD_EESG_SW_SH_SI_SJ_EUlSW_E1_NS1_11comp_targetILNS1_3genE5ELNS1_11target_archE942ELNS1_3gpuE9ELNS1_3repE0EEENS1_36merge_oddeven_config_static_selectorELNS0_4arch9wavefront6targetE1EEEvSI_.kd
    .uniform_work_group_size: 1
    .uses_dynamic_stack: false
    .vgpr_count:     0
    .vgpr_spill_count: 0
    .wavefront_size: 64
  - .agpr_count:     0
    .args:
      - .offset:         0
        .size:           56
        .value_kind:     by_value
    .group_segment_fixed_size: 0
    .kernarg_segment_align: 8
    .kernarg_segment_size: 56
    .language:       OpenCL C
    .language_version:
      - 2
      - 0
    .max_flat_workgroup_size: 256
    .name:           _ZN7rocprim17ROCPRIM_400000_NS6detail17trampoline_kernelINS0_14default_configENS1_38merge_sort_block_merge_config_selectorIN3c108BFloat16ElEEZZNS1_27merge_sort_block_merge_implIS3_PS6_N6thrust23THRUST_200600_302600_NS10device_ptrIlEEmNSB_4lessIS6_EEEE10hipError_tT0_T1_T2_jT3_P12ihipStream_tbPNSt15iterator_traitsISH_E10value_typeEPNSN_ISI_E10value_typeEPSJ_NS1_7vsmem_tEENKUlT_SH_SI_SJ_E_clIS9_S9_PlSD_EESG_SW_SH_SI_SJ_EUlSW_E1_NS1_11comp_targetILNS1_3genE4ELNS1_11target_archE910ELNS1_3gpuE8ELNS1_3repE0EEENS1_36merge_oddeven_config_static_selectorELNS0_4arch9wavefront6targetE1EEEvSI_
    .private_segment_fixed_size: 0
    .sgpr_count:     28
    .sgpr_spill_count: 0
    .symbol:         _ZN7rocprim17ROCPRIM_400000_NS6detail17trampoline_kernelINS0_14default_configENS1_38merge_sort_block_merge_config_selectorIN3c108BFloat16ElEEZZNS1_27merge_sort_block_merge_implIS3_PS6_N6thrust23THRUST_200600_302600_NS10device_ptrIlEEmNSB_4lessIS6_EEEE10hipError_tT0_T1_T2_jT3_P12ihipStream_tbPNSt15iterator_traitsISH_E10value_typeEPNSN_ISI_E10value_typeEPSJ_NS1_7vsmem_tEENKUlT_SH_SI_SJ_E_clIS9_S9_PlSD_EESG_SW_SH_SI_SJ_EUlSW_E1_NS1_11comp_targetILNS1_3genE4ELNS1_11target_archE910ELNS1_3gpuE8ELNS1_3repE0EEENS1_36merge_oddeven_config_static_selectorELNS0_4arch9wavefront6targetE1EEEvSI_.kd
    .uniform_work_group_size: 1
    .uses_dynamic_stack: false
    .vgpr_count:     11
    .vgpr_spill_count: 0
    .wavefront_size: 64
  - .agpr_count:     0
    .args:
      - .offset:         0
        .size:           56
        .value_kind:     by_value
    .group_segment_fixed_size: 0
    .kernarg_segment_align: 8
    .kernarg_segment_size: 56
    .language:       OpenCL C
    .language_version:
      - 2
      - 0
    .max_flat_workgroup_size: 256
    .name:           _ZN7rocprim17ROCPRIM_400000_NS6detail17trampoline_kernelINS0_14default_configENS1_38merge_sort_block_merge_config_selectorIN3c108BFloat16ElEEZZNS1_27merge_sort_block_merge_implIS3_PS6_N6thrust23THRUST_200600_302600_NS10device_ptrIlEEmNSB_4lessIS6_EEEE10hipError_tT0_T1_T2_jT3_P12ihipStream_tbPNSt15iterator_traitsISH_E10value_typeEPNSN_ISI_E10value_typeEPSJ_NS1_7vsmem_tEENKUlT_SH_SI_SJ_E_clIS9_S9_PlSD_EESG_SW_SH_SI_SJ_EUlSW_E1_NS1_11comp_targetILNS1_3genE3ELNS1_11target_archE908ELNS1_3gpuE7ELNS1_3repE0EEENS1_36merge_oddeven_config_static_selectorELNS0_4arch9wavefront6targetE1EEEvSI_
    .private_segment_fixed_size: 0
    .sgpr_count:     4
    .sgpr_spill_count: 0
    .symbol:         _ZN7rocprim17ROCPRIM_400000_NS6detail17trampoline_kernelINS0_14default_configENS1_38merge_sort_block_merge_config_selectorIN3c108BFloat16ElEEZZNS1_27merge_sort_block_merge_implIS3_PS6_N6thrust23THRUST_200600_302600_NS10device_ptrIlEEmNSB_4lessIS6_EEEE10hipError_tT0_T1_T2_jT3_P12ihipStream_tbPNSt15iterator_traitsISH_E10value_typeEPNSN_ISI_E10value_typeEPSJ_NS1_7vsmem_tEENKUlT_SH_SI_SJ_E_clIS9_S9_PlSD_EESG_SW_SH_SI_SJ_EUlSW_E1_NS1_11comp_targetILNS1_3genE3ELNS1_11target_archE908ELNS1_3gpuE7ELNS1_3repE0EEENS1_36merge_oddeven_config_static_selectorELNS0_4arch9wavefront6targetE1EEEvSI_.kd
    .uniform_work_group_size: 1
    .uses_dynamic_stack: false
    .vgpr_count:     0
    .vgpr_spill_count: 0
    .wavefront_size: 64
  - .agpr_count:     0
    .args:
      - .offset:         0
        .size:           56
        .value_kind:     by_value
    .group_segment_fixed_size: 0
    .kernarg_segment_align: 8
    .kernarg_segment_size: 56
    .language:       OpenCL C
    .language_version:
      - 2
      - 0
    .max_flat_workgroup_size: 256
    .name:           _ZN7rocprim17ROCPRIM_400000_NS6detail17trampoline_kernelINS0_14default_configENS1_38merge_sort_block_merge_config_selectorIN3c108BFloat16ElEEZZNS1_27merge_sort_block_merge_implIS3_PS6_N6thrust23THRUST_200600_302600_NS10device_ptrIlEEmNSB_4lessIS6_EEEE10hipError_tT0_T1_T2_jT3_P12ihipStream_tbPNSt15iterator_traitsISH_E10value_typeEPNSN_ISI_E10value_typeEPSJ_NS1_7vsmem_tEENKUlT_SH_SI_SJ_E_clIS9_S9_PlSD_EESG_SW_SH_SI_SJ_EUlSW_E1_NS1_11comp_targetILNS1_3genE2ELNS1_11target_archE906ELNS1_3gpuE6ELNS1_3repE0EEENS1_36merge_oddeven_config_static_selectorELNS0_4arch9wavefront6targetE1EEEvSI_
    .private_segment_fixed_size: 0
    .sgpr_count:     4
    .sgpr_spill_count: 0
    .symbol:         _ZN7rocprim17ROCPRIM_400000_NS6detail17trampoline_kernelINS0_14default_configENS1_38merge_sort_block_merge_config_selectorIN3c108BFloat16ElEEZZNS1_27merge_sort_block_merge_implIS3_PS6_N6thrust23THRUST_200600_302600_NS10device_ptrIlEEmNSB_4lessIS6_EEEE10hipError_tT0_T1_T2_jT3_P12ihipStream_tbPNSt15iterator_traitsISH_E10value_typeEPNSN_ISI_E10value_typeEPSJ_NS1_7vsmem_tEENKUlT_SH_SI_SJ_E_clIS9_S9_PlSD_EESG_SW_SH_SI_SJ_EUlSW_E1_NS1_11comp_targetILNS1_3genE2ELNS1_11target_archE906ELNS1_3gpuE6ELNS1_3repE0EEENS1_36merge_oddeven_config_static_selectorELNS0_4arch9wavefront6targetE1EEEvSI_.kd
    .uniform_work_group_size: 1
    .uses_dynamic_stack: false
    .vgpr_count:     0
    .vgpr_spill_count: 0
    .wavefront_size: 64
  - .agpr_count:     0
    .args:
      - .offset:         0
        .size:           56
        .value_kind:     by_value
    .group_segment_fixed_size: 0
    .kernarg_segment_align: 8
    .kernarg_segment_size: 56
    .language:       OpenCL C
    .language_version:
      - 2
      - 0
    .max_flat_workgroup_size: 256
    .name:           _ZN7rocprim17ROCPRIM_400000_NS6detail17trampoline_kernelINS0_14default_configENS1_38merge_sort_block_merge_config_selectorIN3c108BFloat16ElEEZZNS1_27merge_sort_block_merge_implIS3_PS6_N6thrust23THRUST_200600_302600_NS10device_ptrIlEEmNSB_4lessIS6_EEEE10hipError_tT0_T1_T2_jT3_P12ihipStream_tbPNSt15iterator_traitsISH_E10value_typeEPNSN_ISI_E10value_typeEPSJ_NS1_7vsmem_tEENKUlT_SH_SI_SJ_E_clIS9_S9_PlSD_EESG_SW_SH_SI_SJ_EUlSW_E1_NS1_11comp_targetILNS1_3genE9ELNS1_11target_archE1100ELNS1_3gpuE3ELNS1_3repE0EEENS1_36merge_oddeven_config_static_selectorELNS0_4arch9wavefront6targetE1EEEvSI_
    .private_segment_fixed_size: 0
    .sgpr_count:     4
    .sgpr_spill_count: 0
    .symbol:         _ZN7rocprim17ROCPRIM_400000_NS6detail17trampoline_kernelINS0_14default_configENS1_38merge_sort_block_merge_config_selectorIN3c108BFloat16ElEEZZNS1_27merge_sort_block_merge_implIS3_PS6_N6thrust23THRUST_200600_302600_NS10device_ptrIlEEmNSB_4lessIS6_EEEE10hipError_tT0_T1_T2_jT3_P12ihipStream_tbPNSt15iterator_traitsISH_E10value_typeEPNSN_ISI_E10value_typeEPSJ_NS1_7vsmem_tEENKUlT_SH_SI_SJ_E_clIS9_S9_PlSD_EESG_SW_SH_SI_SJ_EUlSW_E1_NS1_11comp_targetILNS1_3genE9ELNS1_11target_archE1100ELNS1_3gpuE3ELNS1_3repE0EEENS1_36merge_oddeven_config_static_selectorELNS0_4arch9wavefront6targetE1EEEvSI_.kd
    .uniform_work_group_size: 1
    .uses_dynamic_stack: false
    .vgpr_count:     0
    .vgpr_spill_count: 0
    .wavefront_size: 64
  - .agpr_count:     0
    .args:
      - .offset:         0
        .size:           56
        .value_kind:     by_value
    .group_segment_fixed_size: 0
    .kernarg_segment_align: 8
    .kernarg_segment_size: 56
    .language:       OpenCL C
    .language_version:
      - 2
      - 0
    .max_flat_workgroup_size: 256
    .name:           _ZN7rocprim17ROCPRIM_400000_NS6detail17trampoline_kernelINS0_14default_configENS1_38merge_sort_block_merge_config_selectorIN3c108BFloat16ElEEZZNS1_27merge_sort_block_merge_implIS3_PS6_N6thrust23THRUST_200600_302600_NS10device_ptrIlEEmNSB_4lessIS6_EEEE10hipError_tT0_T1_T2_jT3_P12ihipStream_tbPNSt15iterator_traitsISH_E10value_typeEPNSN_ISI_E10value_typeEPSJ_NS1_7vsmem_tEENKUlT_SH_SI_SJ_E_clIS9_S9_PlSD_EESG_SW_SH_SI_SJ_EUlSW_E1_NS1_11comp_targetILNS1_3genE8ELNS1_11target_archE1030ELNS1_3gpuE2ELNS1_3repE0EEENS1_36merge_oddeven_config_static_selectorELNS0_4arch9wavefront6targetE1EEEvSI_
    .private_segment_fixed_size: 0
    .sgpr_count:     4
    .sgpr_spill_count: 0
    .symbol:         _ZN7rocprim17ROCPRIM_400000_NS6detail17trampoline_kernelINS0_14default_configENS1_38merge_sort_block_merge_config_selectorIN3c108BFloat16ElEEZZNS1_27merge_sort_block_merge_implIS3_PS6_N6thrust23THRUST_200600_302600_NS10device_ptrIlEEmNSB_4lessIS6_EEEE10hipError_tT0_T1_T2_jT3_P12ihipStream_tbPNSt15iterator_traitsISH_E10value_typeEPNSN_ISI_E10value_typeEPSJ_NS1_7vsmem_tEENKUlT_SH_SI_SJ_E_clIS9_S9_PlSD_EESG_SW_SH_SI_SJ_EUlSW_E1_NS1_11comp_targetILNS1_3genE8ELNS1_11target_archE1030ELNS1_3gpuE2ELNS1_3repE0EEENS1_36merge_oddeven_config_static_selectorELNS0_4arch9wavefront6targetE1EEEvSI_.kd
    .uniform_work_group_size: 1
    .uses_dynamic_stack: false
    .vgpr_count:     0
    .vgpr_spill_count: 0
    .wavefront_size: 64
  - .agpr_count:     0
    .args:
      - .offset:         0
        .size:           48
        .value_kind:     by_value
    .group_segment_fixed_size: 0
    .kernarg_segment_align: 8
    .kernarg_segment_size: 48
    .language:       OpenCL C
    .language_version:
      - 2
      - 0
    .max_flat_workgroup_size: 128
    .name:           _ZN7rocprim17ROCPRIM_400000_NS6detail17trampoline_kernelINS0_14default_configENS1_38merge_sort_block_merge_config_selectorIN3c108BFloat16ElEEZZNS1_27merge_sort_block_merge_implIS3_PS6_N6thrust23THRUST_200600_302600_NS10device_ptrIlEEmNSB_4lessIS6_EEEE10hipError_tT0_T1_T2_jT3_P12ihipStream_tbPNSt15iterator_traitsISH_E10value_typeEPNSN_ISI_E10value_typeEPSJ_NS1_7vsmem_tEENKUlT_SH_SI_SJ_E_clIS9_S9_SD_PlEESG_SW_SH_SI_SJ_EUlSW_E_NS1_11comp_targetILNS1_3genE0ELNS1_11target_archE4294967295ELNS1_3gpuE0ELNS1_3repE0EEENS1_48merge_mergepath_partition_config_static_selectorELNS0_4arch9wavefront6targetE1EEEvSI_
    .private_segment_fixed_size: 0
    .sgpr_count:     4
    .sgpr_spill_count: 0
    .symbol:         _ZN7rocprim17ROCPRIM_400000_NS6detail17trampoline_kernelINS0_14default_configENS1_38merge_sort_block_merge_config_selectorIN3c108BFloat16ElEEZZNS1_27merge_sort_block_merge_implIS3_PS6_N6thrust23THRUST_200600_302600_NS10device_ptrIlEEmNSB_4lessIS6_EEEE10hipError_tT0_T1_T2_jT3_P12ihipStream_tbPNSt15iterator_traitsISH_E10value_typeEPNSN_ISI_E10value_typeEPSJ_NS1_7vsmem_tEENKUlT_SH_SI_SJ_E_clIS9_S9_SD_PlEESG_SW_SH_SI_SJ_EUlSW_E_NS1_11comp_targetILNS1_3genE0ELNS1_11target_archE4294967295ELNS1_3gpuE0ELNS1_3repE0EEENS1_48merge_mergepath_partition_config_static_selectorELNS0_4arch9wavefront6targetE1EEEvSI_.kd
    .uniform_work_group_size: 1
    .uses_dynamic_stack: false
    .vgpr_count:     0
    .vgpr_spill_count: 0
    .wavefront_size: 64
  - .agpr_count:     0
    .args:
      - .offset:         0
        .size:           48
        .value_kind:     by_value
    .group_segment_fixed_size: 0
    .kernarg_segment_align: 8
    .kernarg_segment_size: 48
    .language:       OpenCL C
    .language_version:
      - 2
      - 0
    .max_flat_workgroup_size: 128
    .name:           _ZN7rocprim17ROCPRIM_400000_NS6detail17trampoline_kernelINS0_14default_configENS1_38merge_sort_block_merge_config_selectorIN3c108BFloat16ElEEZZNS1_27merge_sort_block_merge_implIS3_PS6_N6thrust23THRUST_200600_302600_NS10device_ptrIlEEmNSB_4lessIS6_EEEE10hipError_tT0_T1_T2_jT3_P12ihipStream_tbPNSt15iterator_traitsISH_E10value_typeEPNSN_ISI_E10value_typeEPSJ_NS1_7vsmem_tEENKUlT_SH_SI_SJ_E_clIS9_S9_SD_PlEESG_SW_SH_SI_SJ_EUlSW_E_NS1_11comp_targetILNS1_3genE10ELNS1_11target_archE1201ELNS1_3gpuE5ELNS1_3repE0EEENS1_48merge_mergepath_partition_config_static_selectorELNS0_4arch9wavefront6targetE1EEEvSI_
    .private_segment_fixed_size: 0
    .sgpr_count:     4
    .sgpr_spill_count: 0
    .symbol:         _ZN7rocprim17ROCPRIM_400000_NS6detail17trampoline_kernelINS0_14default_configENS1_38merge_sort_block_merge_config_selectorIN3c108BFloat16ElEEZZNS1_27merge_sort_block_merge_implIS3_PS6_N6thrust23THRUST_200600_302600_NS10device_ptrIlEEmNSB_4lessIS6_EEEE10hipError_tT0_T1_T2_jT3_P12ihipStream_tbPNSt15iterator_traitsISH_E10value_typeEPNSN_ISI_E10value_typeEPSJ_NS1_7vsmem_tEENKUlT_SH_SI_SJ_E_clIS9_S9_SD_PlEESG_SW_SH_SI_SJ_EUlSW_E_NS1_11comp_targetILNS1_3genE10ELNS1_11target_archE1201ELNS1_3gpuE5ELNS1_3repE0EEENS1_48merge_mergepath_partition_config_static_selectorELNS0_4arch9wavefront6targetE1EEEvSI_.kd
    .uniform_work_group_size: 1
    .uses_dynamic_stack: false
    .vgpr_count:     0
    .vgpr_spill_count: 0
    .wavefront_size: 64
  - .agpr_count:     0
    .args:
      - .offset:         0
        .size:           48
        .value_kind:     by_value
    .group_segment_fixed_size: 0
    .kernarg_segment_align: 8
    .kernarg_segment_size: 48
    .language:       OpenCL C
    .language_version:
      - 2
      - 0
    .max_flat_workgroup_size: 128
    .name:           _ZN7rocprim17ROCPRIM_400000_NS6detail17trampoline_kernelINS0_14default_configENS1_38merge_sort_block_merge_config_selectorIN3c108BFloat16ElEEZZNS1_27merge_sort_block_merge_implIS3_PS6_N6thrust23THRUST_200600_302600_NS10device_ptrIlEEmNSB_4lessIS6_EEEE10hipError_tT0_T1_T2_jT3_P12ihipStream_tbPNSt15iterator_traitsISH_E10value_typeEPNSN_ISI_E10value_typeEPSJ_NS1_7vsmem_tEENKUlT_SH_SI_SJ_E_clIS9_S9_SD_PlEESG_SW_SH_SI_SJ_EUlSW_E_NS1_11comp_targetILNS1_3genE5ELNS1_11target_archE942ELNS1_3gpuE9ELNS1_3repE0EEENS1_48merge_mergepath_partition_config_static_selectorELNS0_4arch9wavefront6targetE1EEEvSI_
    .private_segment_fixed_size: 0
    .sgpr_count:     4
    .sgpr_spill_count: 0
    .symbol:         _ZN7rocprim17ROCPRIM_400000_NS6detail17trampoline_kernelINS0_14default_configENS1_38merge_sort_block_merge_config_selectorIN3c108BFloat16ElEEZZNS1_27merge_sort_block_merge_implIS3_PS6_N6thrust23THRUST_200600_302600_NS10device_ptrIlEEmNSB_4lessIS6_EEEE10hipError_tT0_T1_T2_jT3_P12ihipStream_tbPNSt15iterator_traitsISH_E10value_typeEPNSN_ISI_E10value_typeEPSJ_NS1_7vsmem_tEENKUlT_SH_SI_SJ_E_clIS9_S9_SD_PlEESG_SW_SH_SI_SJ_EUlSW_E_NS1_11comp_targetILNS1_3genE5ELNS1_11target_archE942ELNS1_3gpuE9ELNS1_3repE0EEENS1_48merge_mergepath_partition_config_static_selectorELNS0_4arch9wavefront6targetE1EEEvSI_.kd
    .uniform_work_group_size: 1
    .uses_dynamic_stack: false
    .vgpr_count:     0
    .vgpr_spill_count: 0
    .wavefront_size: 64
  - .agpr_count:     0
    .args:
      - .offset:         0
        .size:           48
        .value_kind:     by_value
    .group_segment_fixed_size: 0
    .kernarg_segment_align: 8
    .kernarg_segment_size: 48
    .language:       OpenCL C
    .language_version:
      - 2
      - 0
    .max_flat_workgroup_size: 128
    .name:           _ZN7rocprim17ROCPRIM_400000_NS6detail17trampoline_kernelINS0_14default_configENS1_38merge_sort_block_merge_config_selectorIN3c108BFloat16ElEEZZNS1_27merge_sort_block_merge_implIS3_PS6_N6thrust23THRUST_200600_302600_NS10device_ptrIlEEmNSB_4lessIS6_EEEE10hipError_tT0_T1_T2_jT3_P12ihipStream_tbPNSt15iterator_traitsISH_E10value_typeEPNSN_ISI_E10value_typeEPSJ_NS1_7vsmem_tEENKUlT_SH_SI_SJ_E_clIS9_S9_SD_PlEESG_SW_SH_SI_SJ_EUlSW_E_NS1_11comp_targetILNS1_3genE4ELNS1_11target_archE910ELNS1_3gpuE8ELNS1_3repE0EEENS1_48merge_mergepath_partition_config_static_selectorELNS0_4arch9wavefront6targetE1EEEvSI_
    .private_segment_fixed_size: 0
    .sgpr_count:     12
    .sgpr_spill_count: 0
    .symbol:         _ZN7rocprim17ROCPRIM_400000_NS6detail17trampoline_kernelINS0_14default_configENS1_38merge_sort_block_merge_config_selectorIN3c108BFloat16ElEEZZNS1_27merge_sort_block_merge_implIS3_PS6_N6thrust23THRUST_200600_302600_NS10device_ptrIlEEmNSB_4lessIS6_EEEE10hipError_tT0_T1_T2_jT3_P12ihipStream_tbPNSt15iterator_traitsISH_E10value_typeEPNSN_ISI_E10value_typeEPSJ_NS1_7vsmem_tEENKUlT_SH_SI_SJ_E_clIS9_S9_SD_PlEESG_SW_SH_SI_SJ_EUlSW_E_NS1_11comp_targetILNS1_3genE4ELNS1_11target_archE910ELNS1_3gpuE8ELNS1_3repE0EEENS1_48merge_mergepath_partition_config_static_selectorELNS0_4arch9wavefront6targetE1EEEvSI_.kd
    .uniform_work_group_size: 1
    .uses_dynamic_stack: false
    .vgpr_count:     19
    .vgpr_spill_count: 0
    .wavefront_size: 64
  - .agpr_count:     0
    .args:
      - .offset:         0
        .size:           48
        .value_kind:     by_value
    .group_segment_fixed_size: 0
    .kernarg_segment_align: 8
    .kernarg_segment_size: 48
    .language:       OpenCL C
    .language_version:
      - 2
      - 0
    .max_flat_workgroup_size: 128
    .name:           _ZN7rocprim17ROCPRIM_400000_NS6detail17trampoline_kernelINS0_14default_configENS1_38merge_sort_block_merge_config_selectorIN3c108BFloat16ElEEZZNS1_27merge_sort_block_merge_implIS3_PS6_N6thrust23THRUST_200600_302600_NS10device_ptrIlEEmNSB_4lessIS6_EEEE10hipError_tT0_T1_T2_jT3_P12ihipStream_tbPNSt15iterator_traitsISH_E10value_typeEPNSN_ISI_E10value_typeEPSJ_NS1_7vsmem_tEENKUlT_SH_SI_SJ_E_clIS9_S9_SD_PlEESG_SW_SH_SI_SJ_EUlSW_E_NS1_11comp_targetILNS1_3genE3ELNS1_11target_archE908ELNS1_3gpuE7ELNS1_3repE0EEENS1_48merge_mergepath_partition_config_static_selectorELNS0_4arch9wavefront6targetE1EEEvSI_
    .private_segment_fixed_size: 0
    .sgpr_count:     4
    .sgpr_spill_count: 0
    .symbol:         _ZN7rocprim17ROCPRIM_400000_NS6detail17trampoline_kernelINS0_14default_configENS1_38merge_sort_block_merge_config_selectorIN3c108BFloat16ElEEZZNS1_27merge_sort_block_merge_implIS3_PS6_N6thrust23THRUST_200600_302600_NS10device_ptrIlEEmNSB_4lessIS6_EEEE10hipError_tT0_T1_T2_jT3_P12ihipStream_tbPNSt15iterator_traitsISH_E10value_typeEPNSN_ISI_E10value_typeEPSJ_NS1_7vsmem_tEENKUlT_SH_SI_SJ_E_clIS9_S9_SD_PlEESG_SW_SH_SI_SJ_EUlSW_E_NS1_11comp_targetILNS1_3genE3ELNS1_11target_archE908ELNS1_3gpuE7ELNS1_3repE0EEENS1_48merge_mergepath_partition_config_static_selectorELNS0_4arch9wavefront6targetE1EEEvSI_.kd
    .uniform_work_group_size: 1
    .uses_dynamic_stack: false
    .vgpr_count:     0
    .vgpr_spill_count: 0
    .wavefront_size: 64
  - .agpr_count:     0
    .args:
      - .offset:         0
        .size:           48
        .value_kind:     by_value
    .group_segment_fixed_size: 0
    .kernarg_segment_align: 8
    .kernarg_segment_size: 48
    .language:       OpenCL C
    .language_version:
      - 2
      - 0
    .max_flat_workgroup_size: 128
    .name:           _ZN7rocprim17ROCPRIM_400000_NS6detail17trampoline_kernelINS0_14default_configENS1_38merge_sort_block_merge_config_selectorIN3c108BFloat16ElEEZZNS1_27merge_sort_block_merge_implIS3_PS6_N6thrust23THRUST_200600_302600_NS10device_ptrIlEEmNSB_4lessIS6_EEEE10hipError_tT0_T1_T2_jT3_P12ihipStream_tbPNSt15iterator_traitsISH_E10value_typeEPNSN_ISI_E10value_typeEPSJ_NS1_7vsmem_tEENKUlT_SH_SI_SJ_E_clIS9_S9_SD_PlEESG_SW_SH_SI_SJ_EUlSW_E_NS1_11comp_targetILNS1_3genE2ELNS1_11target_archE906ELNS1_3gpuE6ELNS1_3repE0EEENS1_48merge_mergepath_partition_config_static_selectorELNS0_4arch9wavefront6targetE1EEEvSI_
    .private_segment_fixed_size: 0
    .sgpr_count:     4
    .sgpr_spill_count: 0
    .symbol:         _ZN7rocprim17ROCPRIM_400000_NS6detail17trampoline_kernelINS0_14default_configENS1_38merge_sort_block_merge_config_selectorIN3c108BFloat16ElEEZZNS1_27merge_sort_block_merge_implIS3_PS6_N6thrust23THRUST_200600_302600_NS10device_ptrIlEEmNSB_4lessIS6_EEEE10hipError_tT0_T1_T2_jT3_P12ihipStream_tbPNSt15iterator_traitsISH_E10value_typeEPNSN_ISI_E10value_typeEPSJ_NS1_7vsmem_tEENKUlT_SH_SI_SJ_E_clIS9_S9_SD_PlEESG_SW_SH_SI_SJ_EUlSW_E_NS1_11comp_targetILNS1_3genE2ELNS1_11target_archE906ELNS1_3gpuE6ELNS1_3repE0EEENS1_48merge_mergepath_partition_config_static_selectorELNS0_4arch9wavefront6targetE1EEEvSI_.kd
    .uniform_work_group_size: 1
    .uses_dynamic_stack: false
    .vgpr_count:     0
    .vgpr_spill_count: 0
    .wavefront_size: 64
  - .agpr_count:     0
    .args:
      - .offset:         0
        .size:           48
        .value_kind:     by_value
    .group_segment_fixed_size: 0
    .kernarg_segment_align: 8
    .kernarg_segment_size: 48
    .language:       OpenCL C
    .language_version:
      - 2
      - 0
    .max_flat_workgroup_size: 128
    .name:           _ZN7rocprim17ROCPRIM_400000_NS6detail17trampoline_kernelINS0_14default_configENS1_38merge_sort_block_merge_config_selectorIN3c108BFloat16ElEEZZNS1_27merge_sort_block_merge_implIS3_PS6_N6thrust23THRUST_200600_302600_NS10device_ptrIlEEmNSB_4lessIS6_EEEE10hipError_tT0_T1_T2_jT3_P12ihipStream_tbPNSt15iterator_traitsISH_E10value_typeEPNSN_ISI_E10value_typeEPSJ_NS1_7vsmem_tEENKUlT_SH_SI_SJ_E_clIS9_S9_SD_PlEESG_SW_SH_SI_SJ_EUlSW_E_NS1_11comp_targetILNS1_3genE9ELNS1_11target_archE1100ELNS1_3gpuE3ELNS1_3repE0EEENS1_48merge_mergepath_partition_config_static_selectorELNS0_4arch9wavefront6targetE1EEEvSI_
    .private_segment_fixed_size: 0
    .sgpr_count:     4
    .sgpr_spill_count: 0
    .symbol:         _ZN7rocprim17ROCPRIM_400000_NS6detail17trampoline_kernelINS0_14default_configENS1_38merge_sort_block_merge_config_selectorIN3c108BFloat16ElEEZZNS1_27merge_sort_block_merge_implIS3_PS6_N6thrust23THRUST_200600_302600_NS10device_ptrIlEEmNSB_4lessIS6_EEEE10hipError_tT0_T1_T2_jT3_P12ihipStream_tbPNSt15iterator_traitsISH_E10value_typeEPNSN_ISI_E10value_typeEPSJ_NS1_7vsmem_tEENKUlT_SH_SI_SJ_E_clIS9_S9_SD_PlEESG_SW_SH_SI_SJ_EUlSW_E_NS1_11comp_targetILNS1_3genE9ELNS1_11target_archE1100ELNS1_3gpuE3ELNS1_3repE0EEENS1_48merge_mergepath_partition_config_static_selectorELNS0_4arch9wavefront6targetE1EEEvSI_.kd
    .uniform_work_group_size: 1
    .uses_dynamic_stack: false
    .vgpr_count:     0
    .vgpr_spill_count: 0
    .wavefront_size: 64
  - .agpr_count:     0
    .args:
      - .offset:         0
        .size:           48
        .value_kind:     by_value
    .group_segment_fixed_size: 0
    .kernarg_segment_align: 8
    .kernarg_segment_size: 48
    .language:       OpenCL C
    .language_version:
      - 2
      - 0
    .max_flat_workgroup_size: 128
    .name:           _ZN7rocprim17ROCPRIM_400000_NS6detail17trampoline_kernelINS0_14default_configENS1_38merge_sort_block_merge_config_selectorIN3c108BFloat16ElEEZZNS1_27merge_sort_block_merge_implIS3_PS6_N6thrust23THRUST_200600_302600_NS10device_ptrIlEEmNSB_4lessIS6_EEEE10hipError_tT0_T1_T2_jT3_P12ihipStream_tbPNSt15iterator_traitsISH_E10value_typeEPNSN_ISI_E10value_typeEPSJ_NS1_7vsmem_tEENKUlT_SH_SI_SJ_E_clIS9_S9_SD_PlEESG_SW_SH_SI_SJ_EUlSW_E_NS1_11comp_targetILNS1_3genE8ELNS1_11target_archE1030ELNS1_3gpuE2ELNS1_3repE0EEENS1_48merge_mergepath_partition_config_static_selectorELNS0_4arch9wavefront6targetE1EEEvSI_
    .private_segment_fixed_size: 0
    .sgpr_count:     4
    .sgpr_spill_count: 0
    .symbol:         _ZN7rocprim17ROCPRIM_400000_NS6detail17trampoline_kernelINS0_14default_configENS1_38merge_sort_block_merge_config_selectorIN3c108BFloat16ElEEZZNS1_27merge_sort_block_merge_implIS3_PS6_N6thrust23THRUST_200600_302600_NS10device_ptrIlEEmNSB_4lessIS6_EEEE10hipError_tT0_T1_T2_jT3_P12ihipStream_tbPNSt15iterator_traitsISH_E10value_typeEPNSN_ISI_E10value_typeEPSJ_NS1_7vsmem_tEENKUlT_SH_SI_SJ_E_clIS9_S9_SD_PlEESG_SW_SH_SI_SJ_EUlSW_E_NS1_11comp_targetILNS1_3genE8ELNS1_11target_archE1030ELNS1_3gpuE2ELNS1_3repE0EEENS1_48merge_mergepath_partition_config_static_selectorELNS0_4arch9wavefront6targetE1EEEvSI_.kd
    .uniform_work_group_size: 1
    .uses_dynamic_stack: false
    .vgpr_count:     0
    .vgpr_spill_count: 0
    .wavefront_size: 64
  - .agpr_count:     0
    .args:
      - .offset:         0
        .size:           72
        .value_kind:     by_value
    .group_segment_fixed_size: 0
    .kernarg_segment_align: 8
    .kernarg_segment_size: 72
    .language:       OpenCL C
    .language_version:
      - 2
      - 0
    .max_flat_workgroup_size: 256
    .name:           _ZN7rocprim17ROCPRIM_400000_NS6detail17trampoline_kernelINS0_14default_configENS1_38merge_sort_block_merge_config_selectorIN3c108BFloat16ElEEZZNS1_27merge_sort_block_merge_implIS3_PS6_N6thrust23THRUST_200600_302600_NS10device_ptrIlEEmNSB_4lessIS6_EEEE10hipError_tT0_T1_T2_jT3_P12ihipStream_tbPNSt15iterator_traitsISH_E10value_typeEPNSN_ISI_E10value_typeEPSJ_NS1_7vsmem_tEENKUlT_SH_SI_SJ_E_clIS9_S9_SD_PlEESG_SW_SH_SI_SJ_EUlSW_E0_NS1_11comp_targetILNS1_3genE0ELNS1_11target_archE4294967295ELNS1_3gpuE0ELNS1_3repE0EEENS1_38merge_mergepath_config_static_selectorELNS0_4arch9wavefront6targetE1EEEvSI_
    .private_segment_fixed_size: 0
    .sgpr_count:     4
    .sgpr_spill_count: 0
    .symbol:         _ZN7rocprim17ROCPRIM_400000_NS6detail17trampoline_kernelINS0_14default_configENS1_38merge_sort_block_merge_config_selectorIN3c108BFloat16ElEEZZNS1_27merge_sort_block_merge_implIS3_PS6_N6thrust23THRUST_200600_302600_NS10device_ptrIlEEmNSB_4lessIS6_EEEE10hipError_tT0_T1_T2_jT3_P12ihipStream_tbPNSt15iterator_traitsISH_E10value_typeEPNSN_ISI_E10value_typeEPSJ_NS1_7vsmem_tEENKUlT_SH_SI_SJ_E_clIS9_S9_SD_PlEESG_SW_SH_SI_SJ_EUlSW_E0_NS1_11comp_targetILNS1_3genE0ELNS1_11target_archE4294967295ELNS1_3gpuE0ELNS1_3repE0EEENS1_38merge_mergepath_config_static_selectorELNS0_4arch9wavefront6targetE1EEEvSI_.kd
    .uniform_work_group_size: 1
    .uses_dynamic_stack: false
    .vgpr_count:     0
    .vgpr_spill_count: 0
    .wavefront_size: 64
  - .agpr_count:     0
    .args:
      - .offset:         0
        .size:           72
        .value_kind:     by_value
    .group_segment_fixed_size: 0
    .kernarg_segment_align: 8
    .kernarg_segment_size: 72
    .language:       OpenCL C
    .language_version:
      - 2
      - 0
    .max_flat_workgroup_size: 512
    .name:           _ZN7rocprim17ROCPRIM_400000_NS6detail17trampoline_kernelINS0_14default_configENS1_38merge_sort_block_merge_config_selectorIN3c108BFloat16ElEEZZNS1_27merge_sort_block_merge_implIS3_PS6_N6thrust23THRUST_200600_302600_NS10device_ptrIlEEmNSB_4lessIS6_EEEE10hipError_tT0_T1_T2_jT3_P12ihipStream_tbPNSt15iterator_traitsISH_E10value_typeEPNSN_ISI_E10value_typeEPSJ_NS1_7vsmem_tEENKUlT_SH_SI_SJ_E_clIS9_S9_SD_PlEESG_SW_SH_SI_SJ_EUlSW_E0_NS1_11comp_targetILNS1_3genE10ELNS1_11target_archE1201ELNS1_3gpuE5ELNS1_3repE0EEENS1_38merge_mergepath_config_static_selectorELNS0_4arch9wavefront6targetE1EEEvSI_
    .private_segment_fixed_size: 0
    .sgpr_count:     4
    .sgpr_spill_count: 0
    .symbol:         _ZN7rocprim17ROCPRIM_400000_NS6detail17trampoline_kernelINS0_14default_configENS1_38merge_sort_block_merge_config_selectorIN3c108BFloat16ElEEZZNS1_27merge_sort_block_merge_implIS3_PS6_N6thrust23THRUST_200600_302600_NS10device_ptrIlEEmNSB_4lessIS6_EEEE10hipError_tT0_T1_T2_jT3_P12ihipStream_tbPNSt15iterator_traitsISH_E10value_typeEPNSN_ISI_E10value_typeEPSJ_NS1_7vsmem_tEENKUlT_SH_SI_SJ_E_clIS9_S9_SD_PlEESG_SW_SH_SI_SJ_EUlSW_E0_NS1_11comp_targetILNS1_3genE10ELNS1_11target_archE1201ELNS1_3gpuE5ELNS1_3repE0EEENS1_38merge_mergepath_config_static_selectorELNS0_4arch9wavefront6targetE1EEEvSI_.kd
    .uniform_work_group_size: 1
    .uses_dynamic_stack: false
    .vgpr_count:     0
    .vgpr_spill_count: 0
    .wavefront_size: 64
  - .agpr_count:     0
    .args:
      - .offset:         0
        .size:           72
        .value_kind:     by_value
    .group_segment_fixed_size: 0
    .kernarg_segment_align: 8
    .kernarg_segment_size: 72
    .language:       OpenCL C
    .language_version:
      - 2
      - 0
    .max_flat_workgroup_size: 256
    .name:           _ZN7rocprim17ROCPRIM_400000_NS6detail17trampoline_kernelINS0_14default_configENS1_38merge_sort_block_merge_config_selectorIN3c108BFloat16ElEEZZNS1_27merge_sort_block_merge_implIS3_PS6_N6thrust23THRUST_200600_302600_NS10device_ptrIlEEmNSB_4lessIS6_EEEE10hipError_tT0_T1_T2_jT3_P12ihipStream_tbPNSt15iterator_traitsISH_E10value_typeEPNSN_ISI_E10value_typeEPSJ_NS1_7vsmem_tEENKUlT_SH_SI_SJ_E_clIS9_S9_SD_PlEESG_SW_SH_SI_SJ_EUlSW_E0_NS1_11comp_targetILNS1_3genE5ELNS1_11target_archE942ELNS1_3gpuE9ELNS1_3repE0EEENS1_38merge_mergepath_config_static_selectorELNS0_4arch9wavefront6targetE1EEEvSI_
    .private_segment_fixed_size: 0
    .sgpr_count:     4
    .sgpr_spill_count: 0
    .symbol:         _ZN7rocprim17ROCPRIM_400000_NS6detail17trampoline_kernelINS0_14default_configENS1_38merge_sort_block_merge_config_selectorIN3c108BFloat16ElEEZZNS1_27merge_sort_block_merge_implIS3_PS6_N6thrust23THRUST_200600_302600_NS10device_ptrIlEEmNSB_4lessIS6_EEEE10hipError_tT0_T1_T2_jT3_P12ihipStream_tbPNSt15iterator_traitsISH_E10value_typeEPNSN_ISI_E10value_typeEPSJ_NS1_7vsmem_tEENKUlT_SH_SI_SJ_E_clIS9_S9_SD_PlEESG_SW_SH_SI_SJ_EUlSW_E0_NS1_11comp_targetILNS1_3genE5ELNS1_11target_archE942ELNS1_3gpuE9ELNS1_3repE0EEENS1_38merge_mergepath_config_static_selectorELNS0_4arch9wavefront6targetE1EEEvSI_.kd
    .uniform_work_group_size: 1
    .uses_dynamic_stack: false
    .vgpr_count:     0
    .vgpr_spill_count: 0
    .wavefront_size: 64
  - .agpr_count:     0
    .args:
      - .offset:         0
        .size:           72
        .value_kind:     by_value
      - .offset:         72
        .size:           4
        .value_kind:     hidden_block_count_x
      - .offset:         76
        .size:           4
        .value_kind:     hidden_block_count_y
      - .offset:         80
        .size:           4
        .value_kind:     hidden_block_count_z
      - .offset:         84
        .size:           2
        .value_kind:     hidden_group_size_x
      - .offset:         86
        .size:           2
        .value_kind:     hidden_group_size_y
      - .offset:         88
        .size:           2
        .value_kind:     hidden_group_size_z
      - .offset:         90
        .size:           2
        .value_kind:     hidden_remainder_x
      - .offset:         92
        .size:           2
        .value_kind:     hidden_remainder_y
      - .offset:         94
        .size:           2
        .value_kind:     hidden_remainder_z
      - .offset:         112
        .size:           8
        .value_kind:     hidden_global_offset_x
      - .offset:         120
        .size:           8
        .value_kind:     hidden_global_offset_y
      - .offset:         128
        .size:           8
        .value_kind:     hidden_global_offset_z
      - .offset:         136
        .size:           2
        .value_kind:     hidden_grid_dims
    .group_segment_fixed_size: 8448
    .kernarg_segment_align: 8
    .kernarg_segment_size: 328
    .language:       OpenCL C
    .language_version:
      - 2
      - 0
    .max_flat_workgroup_size: 256
    .name:           _ZN7rocprim17ROCPRIM_400000_NS6detail17trampoline_kernelINS0_14default_configENS1_38merge_sort_block_merge_config_selectorIN3c108BFloat16ElEEZZNS1_27merge_sort_block_merge_implIS3_PS6_N6thrust23THRUST_200600_302600_NS10device_ptrIlEEmNSB_4lessIS6_EEEE10hipError_tT0_T1_T2_jT3_P12ihipStream_tbPNSt15iterator_traitsISH_E10value_typeEPNSN_ISI_E10value_typeEPSJ_NS1_7vsmem_tEENKUlT_SH_SI_SJ_E_clIS9_S9_SD_PlEESG_SW_SH_SI_SJ_EUlSW_E0_NS1_11comp_targetILNS1_3genE4ELNS1_11target_archE910ELNS1_3gpuE8ELNS1_3repE0EEENS1_38merge_mergepath_config_static_selectorELNS0_4arch9wavefront6targetE1EEEvSI_
    .private_segment_fixed_size: 0
    .sgpr_count:     42
    .sgpr_spill_count: 0
    .symbol:         _ZN7rocprim17ROCPRIM_400000_NS6detail17trampoline_kernelINS0_14default_configENS1_38merge_sort_block_merge_config_selectorIN3c108BFloat16ElEEZZNS1_27merge_sort_block_merge_implIS3_PS6_N6thrust23THRUST_200600_302600_NS10device_ptrIlEEmNSB_4lessIS6_EEEE10hipError_tT0_T1_T2_jT3_P12ihipStream_tbPNSt15iterator_traitsISH_E10value_typeEPNSN_ISI_E10value_typeEPSJ_NS1_7vsmem_tEENKUlT_SH_SI_SJ_E_clIS9_S9_SD_PlEESG_SW_SH_SI_SJ_EUlSW_E0_NS1_11comp_targetILNS1_3genE4ELNS1_11target_archE910ELNS1_3gpuE8ELNS1_3repE0EEENS1_38merge_mergepath_config_static_selectorELNS0_4arch9wavefront6targetE1EEEvSI_.kd
    .uniform_work_group_size: 1
    .uses_dynamic_stack: false
    .vgpr_count:     36
    .vgpr_spill_count: 0
    .wavefront_size: 64
  - .agpr_count:     0
    .args:
      - .offset:         0
        .size:           72
        .value_kind:     by_value
    .group_segment_fixed_size: 0
    .kernarg_segment_align: 8
    .kernarg_segment_size: 72
    .language:       OpenCL C
    .language_version:
      - 2
      - 0
    .max_flat_workgroup_size: 256
    .name:           _ZN7rocprim17ROCPRIM_400000_NS6detail17trampoline_kernelINS0_14default_configENS1_38merge_sort_block_merge_config_selectorIN3c108BFloat16ElEEZZNS1_27merge_sort_block_merge_implIS3_PS6_N6thrust23THRUST_200600_302600_NS10device_ptrIlEEmNSB_4lessIS6_EEEE10hipError_tT0_T1_T2_jT3_P12ihipStream_tbPNSt15iterator_traitsISH_E10value_typeEPNSN_ISI_E10value_typeEPSJ_NS1_7vsmem_tEENKUlT_SH_SI_SJ_E_clIS9_S9_SD_PlEESG_SW_SH_SI_SJ_EUlSW_E0_NS1_11comp_targetILNS1_3genE3ELNS1_11target_archE908ELNS1_3gpuE7ELNS1_3repE0EEENS1_38merge_mergepath_config_static_selectorELNS0_4arch9wavefront6targetE1EEEvSI_
    .private_segment_fixed_size: 0
    .sgpr_count:     4
    .sgpr_spill_count: 0
    .symbol:         _ZN7rocprim17ROCPRIM_400000_NS6detail17trampoline_kernelINS0_14default_configENS1_38merge_sort_block_merge_config_selectorIN3c108BFloat16ElEEZZNS1_27merge_sort_block_merge_implIS3_PS6_N6thrust23THRUST_200600_302600_NS10device_ptrIlEEmNSB_4lessIS6_EEEE10hipError_tT0_T1_T2_jT3_P12ihipStream_tbPNSt15iterator_traitsISH_E10value_typeEPNSN_ISI_E10value_typeEPSJ_NS1_7vsmem_tEENKUlT_SH_SI_SJ_E_clIS9_S9_SD_PlEESG_SW_SH_SI_SJ_EUlSW_E0_NS1_11comp_targetILNS1_3genE3ELNS1_11target_archE908ELNS1_3gpuE7ELNS1_3repE0EEENS1_38merge_mergepath_config_static_selectorELNS0_4arch9wavefront6targetE1EEEvSI_.kd
    .uniform_work_group_size: 1
    .uses_dynamic_stack: false
    .vgpr_count:     0
    .vgpr_spill_count: 0
    .wavefront_size: 64
  - .agpr_count:     0
    .args:
      - .offset:         0
        .size:           72
        .value_kind:     by_value
    .group_segment_fixed_size: 0
    .kernarg_segment_align: 8
    .kernarg_segment_size: 72
    .language:       OpenCL C
    .language_version:
      - 2
      - 0
    .max_flat_workgroup_size: 256
    .name:           _ZN7rocprim17ROCPRIM_400000_NS6detail17trampoline_kernelINS0_14default_configENS1_38merge_sort_block_merge_config_selectorIN3c108BFloat16ElEEZZNS1_27merge_sort_block_merge_implIS3_PS6_N6thrust23THRUST_200600_302600_NS10device_ptrIlEEmNSB_4lessIS6_EEEE10hipError_tT0_T1_T2_jT3_P12ihipStream_tbPNSt15iterator_traitsISH_E10value_typeEPNSN_ISI_E10value_typeEPSJ_NS1_7vsmem_tEENKUlT_SH_SI_SJ_E_clIS9_S9_SD_PlEESG_SW_SH_SI_SJ_EUlSW_E0_NS1_11comp_targetILNS1_3genE2ELNS1_11target_archE906ELNS1_3gpuE6ELNS1_3repE0EEENS1_38merge_mergepath_config_static_selectorELNS0_4arch9wavefront6targetE1EEEvSI_
    .private_segment_fixed_size: 0
    .sgpr_count:     4
    .sgpr_spill_count: 0
    .symbol:         _ZN7rocprim17ROCPRIM_400000_NS6detail17trampoline_kernelINS0_14default_configENS1_38merge_sort_block_merge_config_selectorIN3c108BFloat16ElEEZZNS1_27merge_sort_block_merge_implIS3_PS6_N6thrust23THRUST_200600_302600_NS10device_ptrIlEEmNSB_4lessIS6_EEEE10hipError_tT0_T1_T2_jT3_P12ihipStream_tbPNSt15iterator_traitsISH_E10value_typeEPNSN_ISI_E10value_typeEPSJ_NS1_7vsmem_tEENKUlT_SH_SI_SJ_E_clIS9_S9_SD_PlEESG_SW_SH_SI_SJ_EUlSW_E0_NS1_11comp_targetILNS1_3genE2ELNS1_11target_archE906ELNS1_3gpuE6ELNS1_3repE0EEENS1_38merge_mergepath_config_static_selectorELNS0_4arch9wavefront6targetE1EEEvSI_.kd
    .uniform_work_group_size: 1
    .uses_dynamic_stack: false
    .vgpr_count:     0
    .vgpr_spill_count: 0
    .wavefront_size: 64
  - .agpr_count:     0
    .args:
      - .offset:         0
        .size:           72
        .value_kind:     by_value
    .group_segment_fixed_size: 0
    .kernarg_segment_align: 8
    .kernarg_segment_size: 72
    .language:       OpenCL C
    .language_version:
      - 2
      - 0
    .max_flat_workgroup_size: 256
    .name:           _ZN7rocprim17ROCPRIM_400000_NS6detail17trampoline_kernelINS0_14default_configENS1_38merge_sort_block_merge_config_selectorIN3c108BFloat16ElEEZZNS1_27merge_sort_block_merge_implIS3_PS6_N6thrust23THRUST_200600_302600_NS10device_ptrIlEEmNSB_4lessIS6_EEEE10hipError_tT0_T1_T2_jT3_P12ihipStream_tbPNSt15iterator_traitsISH_E10value_typeEPNSN_ISI_E10value_typeEPSJ_NS1_7vsmem_tEENKUlT_SH_SI_SJ_E_clIS9_S9_SD_PlEESG_SW_SH_SI_SJ_EUlSW_E0_NS1_11comp_targetILNS1_3genE9ELNS1_11target_archE1100ELNS1_3gpuE3ELNS1_3repE0EEENS1_38merge_mergepath_config_static_selectorELNS0_4arch9wavefront6targetE1EEEvSI_
    .private_segment_fixed_size: 0
    .sgpr_count:     4
    .sgpr_spill_count: 0
    .symbol:         _ZN7rocprim17ROCPRIM_400000_NS6detail17trampoline_kernelINS0_14default_configENS1_38merge_sort_block_merge_config_selectorIN3c108BFloat16ElEEZZNS1_27merge_sort_block_merge_implIS3_PS6_N6thrust23THRUST_200600_302600_NS10device_ptrIlEEmNSB_4lessIS6_EEEE10hipError_tT0_T1_T2_jT3_P12ihipStream_tbPNSt15iterator_traitsISH_E10value_typeEPNSN_ISI_E10value_typeEPSJ_NS1_7vsmem_tEENKUlT_SH_SI_SJ_E_clIS9_S9_SD_PlEESG_SW_SH_SI_SJ_EUlSW_E0_NS1_11comp_targetILNS1_3genE9ELNS1_11target_archE1100ELNS1_3gpuE3ELNS1_3repE0EEENS1_38merge_mergepath_config_static_selectorELNS0_4arch9wavefront6targetE1EEEvSI_.kd
    .uniform_work_group_size: 1
    .uses_dynamic_stack: false
    .vgpr_count:     0
    .vgpr_spill_count: 0
    .wavefront_size: 64
  - .agpr_count:     0
    .args:
      - .offset:         0
        .size:           72
        .value_kind:     by_value
    .group_segment_fixed_size: 0
    .kernarg_segment_align: 8
    .kernarg_segment_size: 72
    .language:       OpenCL C
    .language_version:
      - 2
      - 0
    .max_flat_workgroup_size: 512
    .name:           _ZN7rocprim17ROCPRIM_400000_NS6detail17trampoline_kernelINS0_14default_configENS1_38merge_sort_block_merge_config_selectorIN3c108BFloat16ElEEZZNS1_27merge_sort_block_merge_implIS3_PS6_N6thrust23THRUST_200600_302600_NS10device_ptrIlEEmNSB_4lessIS6_EEEE10hipError_tT0_T1_T2_jT3_P12ihipStream_tbPNSt15iterator_traitsISH_E10value_typeEPNSN_ISI_E10value_typeEPSJ_NS1_7vsmem_tEENKUlT_SH_SI_SJ_E_clIS9_S9_SD_PlEESG_SW_SH_SI_SJ_EUlSW_E0_NS1_11comp_targetILNS1_3genE8ELNS1_11target_archE1030ELNS1_3gpuE2ELNS1_3repE0EEENS1_38merge_mergepath_config_static_selectorELNS0_4arch9wavefront6targetE1EEEvSI_
    .private_segment_fixed_size: 0
    .sgpr_count:     4
    .sgpr_spill_count: 0
    .symbol:         _ZN7rocprim17ROCPRIM_400000_NS6detail17trampoline_kernelINS0_14default_configENS1_38merge_sort_block_merge_config_selectorIN3c108BFloat16ElEEZZNS1_27merge_sort_block_merge_implIS3_PS6_N6thrust23THRUST_200600_302600_NS10device_ptrIlEEmNSB_4lessIS6_EEEE10hipError_tT0_T1_T2_jT3_P12ihipStream_tbPNSt15iterator_traitsISH_E10value_typeEPNSN_ISI_E10value_typeEPSJ_NS1_7vsmem_tEENKUlT_SH_SI_SJ_E_clIS9_S9_SD_PlEESG_SW_SH_SI_SJ_EUlSW_E0_NS1_11comp_targetILNS1_3genE8ELNS1_11target_archE1030ELNS1_3gpuE2ELNS1_3repE0EEENS1_38merge_mergepath_config_static_selectorELNS0_4arch9wavefront6targetE1EEEvSI_.kd
    .uniform_work_group_size: 1
    .uses_dynamic_stack: false
    .vgpr_count:     0
    .vgpr_spill_count: 0
    .wavefront_size: 64
  - .agpr_count:     0
    .args:
      - .offset:         0
        .size:           56
        .value_kind:     by_value
    .group_segment_fixed_size: 0
    .kernarg_segment_align: 8
    .kernarg_segment_size: 56
    .language:       OpenCL C
    .language_version:
      - 2
      - 0
    .max_flat_workgroup_size: 256
    .name:           _ZN7rocprim17ROCPRIM_400000_NS6detail17trampoline_kernelINS0_14default_configENS1_38merge_sort_block_merge_config_selectorIN3c108BFloat16ElEEZZNS1_27merge_sort_block_merge_implIS3_PS6_N6thrust23THRUST_200600_302600_NS10device_ptrIlEEmNSB_4lessIS6_EEEE10hipError_tT0_T1_T2_jT3_P12ihipStream_tbPNSt15iterator_traitsISH_E10value_typeEPNSN_ISI_E10value_typeEPSJ_NS1_7vsmem_tEENKUlT_SH_SI_SJ_E_clIS9_S9_SD_PlEESG_SW_SH_SI_SJ_EUlSW_E1_NS1_11comp_targetILNS1_3genE0ELNS1_11target_archE4294967295ELNS1_3gpuE0ELNS1_3repE0EEENS1_36merge_oddeven_config_static_selectorELNS0_4arch9wavefront6targetE1EEEvSI_
    .private_segment_fixed_size: 0
    .sgpr_count:     4
    .sgpr_spill_count: 0
    .symbol:         _ZN7rocprim17ROCPRIM_400000_NS6detail17trampoline_kernelINS0_14default_configENS1_38merge_sort_block_merge_config_selectorIN3c108BFloat16ElEEZZNS1_27merge_sort_block_merge_implIS3_PS6_N6thrust23THRUST_200600_302600_NS10device_ptrIlEEmNSB_4lessIS6_EEEE10hipError_tT0_T1_T2_jT3_P12ihipStream_tbPNSt15iterator_traitsISH_E10value_typeEPNSN_ISI_E10value_typeEPSJ_NS1_7vsmem_tEENKUlT_SH_SI_SJ_E_clIS9_S9_SD_PlEESG_SW_SH_SI_SJ_EUlSW_E1_NS1_11comp_targetILNS1_3genE0ELNS1_11target_archE4294967295ELNS1_3gpuE0ELNS1_3repE0EEENS1_36merge_oddeven_config_static_selectorELNS0_4arch9wavefront6targetE1EEEvSI_.kd
    .uniform_work_group_size: 1
    .uses_dynamic_stack: false
    .vgpr_count:     0
    .vgpr_spill_count: 0
    .wavefront_size: 64
  - .agpr_count:     0
    .args:
      - .offset:         0
        .size:           56
        .value_kind:     by_value
    .group_segment_fixed_size: 0
    .kernarg_segment_align: 8
    .kernarg_segment_size: 56
    .language:       OpenCL C
    .language_version:
      - 2
      - 0
    .max_flat_workgroup_size: 256
    .name:           _ZN7rocprim17ROCPRIM_400000_NS6detail17trampoline_kernelINS0_14default_configENS1_38merge_sort_block_merge_config_selectorIN3c108BFloat16ElEEZZNS1_27merge_sort_block_merge_implIS3_PS6_N6thrust23THRUST_200600_302600_NS10device_ptrIlEEmNSB_4lessIS6_EEEE10hipError_tT0_T1_T2_jT3_P12ihipStream_tbPNSt15iterator_traitsISH_E10value_typeEPNSN_ISI_E10value_typeEPSJ_NS1_7vsmem_tEENKUlT_SH_SI_SJ_E_clIS9_S9_SD_PlEESG_SW_SH_SI_SJ_EUlSW_E1_NS1_11comp_targetILNS1_3genE10ELNS1_11target_archE1201ELNS1_3gpuE5ELNS1_3repE0EEENS1_36merge_oddeven_config_static_selectorELNS0_4arch9wavefront6targetE1EEEvSI_
    .private_segment_fixed_size: 0
    .sgpr_count:     4
    .sgpr_spill_count: 0
    .symbol:         _ZN7rocprim17ROCPRIM_400000_NS6detail17trampoline_kernelINS0_14default_configENS1_38merge_sort_block_merge_config_selectorIN3c108BFloat16ElEEZZNS1_27merge_sort_block_merge_implIS3_PS6_N6thrust23THRUST_200600_302600_NS10device_ptrIlEEmNSB_4lessIS6_EEEE10hipError_tT0_T1_T2_jT3_P12ihipStream_tbPNSt15iterator_traitsISH_E10value_typeEPNSN_ISI_E10value_typeEPSJ_NS1_7vsmem_tEENKUlT_SH_SI_SJ_E_clIS9_S9_SD_PlEESG_SW_SH_SI_SJ_EUlSW_E1_NS1_11comp_targetILNS1_3genE10ELNS1_11target_archE1201ELNS1_3gpuE5ELNS1_3repE0EEENS1_36merge_oddeven_config_static_selectorELNS0_4arch9wavefront6targetE1EEEvSI_.kd
    .uniform_work_group_size: 1
    .uses_dynamic_stack: false
    .vgpr_count:     0
    .vgpr_spill_count: 0
    .wavefront_size: 64
  - .agpr_count:     0
    .args:
      - .offset:         0
        .size:           56
        .value_kind:     by_value
    .group_segment_fixed_size: 0
    .kernarg_segment_align: 8
    .kernarg_segment_size: 56
    .language:       OpenCL C
    .language_version:
      - 2
      - 0
    .max_flat_workgroup_size: 256
    .name:           _ZN7rocprim17ROCPRIM_400000_NS6detail17trampoline_kernelINS0_14default_configENS1_38merge_sort_block_merge_config_selectorIN3c108BFloat16ElEEZZNS1_27merge_sort_block_merge_implIS3_PS6_N6thrust23THRUST_200600_302600_NS10device_ptrIlEEmNSB_4lessIS6_EEEE10hipError_tT0_T1_T2_jT3_P12ihipStream_tbPNSt15iterator_traitsISH_E10value_typeEPNSN_ISI_E10value_typeEPSJ_NS1_7vsmem_tEENKUlT_SH_SI_SJ_E_clIS9_S9_SD_PlEESG_SW_SH_SI_SJ_EUlSW_E1_NS1_11comp_targetILNS1_3genE5ELNS1_11target_archE942ELNS1_3gpuE9ELNS1_3repE0EEENS1_36merge_oddeven_config_static_selectorELNS0_4arch9wavefront6targetE1EEEvSI_
    .private_segment_fixed_size: 0
    .sgpr_count:     4
    .sgpr_spill_count: 0
    .symbol:         _ZN7rocprim17ROCPRIM_400000_NS6detail17trampoline_kernelINS0_14default_configENS1_38merge_sort_block_merge_config_selectorIN3c108BFloat16ElEEZZNS1_27merge_sort_block_merge_implIS3_PS6_N6thrust23THRUST_200600_302600_NS10device_ptrIlEEmNSB_4lessIS6_EEEE10hipError_tT0_T1_T2_jT3_P12ihipStream_tbPNSt15iterator_traitsISH_E10value_typeEPNSN_ISI_E10value_typeEPSJ_NS1_7vsmem_tEENKUlT_SH_SI_SJ_E_clIS9_S9_SD_PlEESG_SW_SH_SI_SJ_EUlSW_E1_NS1_11comp_targetILNS1_3genE5ELNS1_11target_archE942ELNS1_3gpuE9ELNS1_3repE0EEENS1_36merge_oddeven_config_static_selectorELNS0_4arch9wavefront6targetE1EEEvSI_.kd
    .uniform_work_group_size: 1
    .uses_dynamic_stack: false
    .vgpr_count:     0
    .vgpr_spill_count: 0
    .wavefront_size: 64
  - .agpr_count:     0
    .args:
      - .offset:         0
        .size:           56
        .value_kind:     by_value
    .group_segment_fixed_size: 0
    .kernarg_segment_align: 8
    .kernarg_segment_size: 56
    .language:       OpenCL C
    .language_version:
      - 2
      - 0
    .max_flat_workgroup_size: 256
    .name:           _ZN7rocprim17ROCPRIM_400000_NS6detail17trampoline_kernelINS0_14default_configENS1_38merge_sort_block_merge_config_selectorIN3c108BFloat16ElEEZZNS1_27merge_sort_block_merge_implIS3_PS6_N6thrust23THRUST_200600_302600_NS10device_ptrIlEEmNSB_4lessIS6_EEEE10hipError_tT0_T1_T2_jT3_P12ihipStream_tbPNSt15iterator_traitsISH_E10value_typeEPNSN_ISI_E10value_typeEPSJ_NS1_7vsmem_tEENKUlT_SH_SI_SJ_E_clIS9_S9_SD_PlEESG_SW_SH_SI_SJ_EUlSW_E1_NS1_11comp_targetILNS1_3genE4ELNS1_11target_archE910ELNS1_3gpuE8ELNS1_3repE0EEENS1_36merge_oddeven_config_static_selectorELNS0_4arch9wavefront6targetE1EEEvSI_
    .private_segment_fixed_size: 0
    .sgpr_count:     28
    .sgpr_spill_count: 0
    .symbol:         _ZN7rocprim17ROCPRIM_400000_NS6detail17trampoline_kernelINS0_14default_configENS1_38merge_sort_block_merge_config_selectorIN3c108BFloat16ElEEZZNS1_27merge_sort_block_merge_implIS3_PS6_N6thrust23THRUST_200600_302600_NS10device_ptrIlEEmNSB_4lessIS6_EEEE10hipError_tT0_T1_T2_jT3_P12ihipStream_tbPNSt15iterator_traitsISH_E10value_typeEPNSN_ISI_E10value_typeEPSJ_NS1_7vsmem_tEENKUlT_SH_SI_SJ_E_clIS9_S9_SD_PlEESG_SW_SH_SI_SJ_EUlSW_E1_NS1_11comp_targetILNS1_3genE4ELNS1_11target_archE910ELNS1_3gpuE8ELNS1_3repE0EEENS1_36merge_oddeven_config_static_selectorELNS0_4arch9wavefront6targetE1EEEvSI_.kd
    .uniform_work_group_size: 1
    .uses_dynamic_stack: false
    .vgpr_count:     11
    .vgpr_spill_count: 0
    .wavefront_size: 64
  - .agpr_count:     0
    .args:
      - .offset:         0
        .size:           56
        .value_kind:     by_value
    .group_segment_fixed_size: 0
    .kernarg_segment_align: 8
    .kernarg_segment_size: 56
    .language:       OpenCL C
    .language_version:
      - 2
      - 0
    .max_flat_workgroup_size: 256
    .name:           _ZN7rocprim17ROCPRIM_400000_NS6detail17trampoline_kernelINS0_14default_configENS1_38merge_sort_block_merge_config_selectorIN3c108BFloat16ElEEZZNS1_27merge_sort_block_merge_implIS3_PS6_N6thrust23THRUST_200600_302600_NS10device_ptrIlEEmNSB_4lessIS6_EEEE10hipError_tT0_T1_T2_jT3_P12ihipStream_tbPNSt15iterator_traitsISH_E10value_typeEPNSN_ISI_E10value_typeEPSJ_NS1_7vsmem_tEENKUlT_SH_SI_SJ_E_clIS9_S9_SD_PlEESG_SW_SH_SI_SJ_EUlSW_E1_NS1_11comp_targetILNS1_3genE3ELNS1_11target_archE908ELNS1_3gpuE7ELNS1_3repE0EEENS1_36merge_oddeven_config_static_selectorELNS0_4arch9wavefront6targetE1EEEvSI_
    .private_segment_fixed_size: 0
    .sgpr_count:     4
    .sgpr_spill_count: 0
    .symbol:         _ZN7rocprim17ROCPRIM_400000_NS6detail17trampoline_kernelINS0_14default_configENS1_38merge_sort_block_merge_config_selectorIN3c108BFloat16ElEEZZNS1_27merge_sort_block_merge_implIS3_PS6_N6thrust23THRUST_200600_302600_NS10device_ptrIlEEmNSB_4lessIS6_EEEE10hipError_tT0_T1_T2_jT3_P12ihipStream_tbPNSt15iterator_traitsISH_E10value_typeEPNSN_ISI_E10value_typeEPSJ_NS1_7vsmem_tEENKUlT_SH_SI_SJ_E_clIS9_S9_SD_PlEESG_SW_SH_SI_SJ_EUlSW_E1_NS1_11comp_targetILNS1_3genE3ELNS1_11target_archE908ELNS1_3gpuE7ELNS1_3repE0EEENS1_36merge_oddeven_config_static_selectorELNS0_4arch9wavefront6targetE1EEEvSI_.kd
    .uniform_work_group_size: 1
    .uses_dynamic_stack: false
    .vgpr_count:     0
    .vgpr_spill_count: 0
    .wavefront_size: 64
  - .agpr_count:     0
    .args:
      - .offset:         0
        .size:           56
        .value_kind:     by_value
    .group_segment_fixed_size: 0
    .kernarg_segment_align: 8
    .kernarg_segment_size: 56
    .language:       OpenCL C
    .language_version:
      - 2
      - 0
    .max_flat_workgroup_size: 256
    .name:           _ZN7rocprim17ROCPRIM_400000_NS6detail17trampoline_kernelINS0_14default_configENS1_38merge_sort_block_merge_config_selectorIN3c108BFloat16ElEEZZNS1_27merge_sort_block_merge_implIS3_PS6_N6thrust23THRUST_200600_302600_NS10device_ptrIlEEmNSB_4lessIS6_EEEE10hipError_tT0_T1_T2_jT3_P12ihipStream_tbPNSt15iterator_traitsISH_E10value_typeEPNSN_ISI_E10value_typeEPSJ_NS1_7vsmem_tEENKUlT_SH_SI_SJ_E_clIS9_S9_SD_PlEESG_SW_SH_SI_SJ_EUlSW_E1_NS1_11comp_targetILNS1_3genE2ELNS1_11target_archE906ELNS1_3gpuE6ELNS1_3repE0EEENS1_36merge_oddeven_config_static_selectorELNS0_4arch9wavefront6targetE1EEEvSI_
    .private_segment_fixed_size: 0
    .sgpr_count:     4
    .sgpr_spill_count: 0
    .symbol:         _ZN7rocprim17ROCPRIM_400000_NS6detail17trampoline_kernelINS0_14default_configENS1_38merge_sort_block_merge_config_selectorIN3c108BFloat16ElEEZZNS1_27merge_sort_block_merge_implIS3_PS6_N6thrust23THRUST_200600_302600_NS10device_ptrIlEEmNSB_4lessIS6_EEEE10hipError_tT0_T1_T2_jT3_P12ihipStream_tbPNSt15iterator_traitsISH_E10value_typeEPNSN_ISI_E10value_typeEPSJ_NS1_7vsmem_tEENKUlT_SH_SI_SJ_E_clIS9_S9_SD_PlEESG_SW_SH_SI_SJ_EUlSW_E1_NS1_11comp_targetILNS1_3genE2ELNS1_11target_archE906ELNS1_3gpuE6ELNS1_3repE0EEENS1_36merge_oddeven_config_static_selectorELNS0_4arch9wavefront6targetE1EEEvSI_.kd
    .uniform_work_group_size: 1
    .uses_dynamic_stack: false
    .vgpr_count:     0
    .vgpr_spill_count: 0
    .wavefront_size: 64
  - .agpr_count:     0
    .args:
      - .offset:         0
        .size:           56
        .value_kind:     by_value
    .group_segment_fixed_size: 0
    .kernarg_segment_align: 8
    .kernarg_segment_size: 56
    .language:       OpenCL C
    .language_version:
      - 2
      - 0
    .max_flat_workgroup_size: 256
    .name:           _ZN7rocprim17ROCPRIM_400000_NS6detail17trampoline_kernelINS0_14default_configENS1_38merge_sort_block_merge_config_selectorIN3c108BFloat16ElEEZZNS1_27merge_sort_block_merge_implIS3_PS6_N6thrust23THRUST_200600_302600_NS10device_ptrIlEEmNSB_4lessIS6_EEEE10hipError_tT0_T1_T2_jT3_P12ihipStream_tbPNSt15iterator_traitsISH_E10value_typeEPNSN_ISI_E10value_typeEPSJ_NS1_7vsmem_tEENKUlT_SH_SI_SJ_E_clIS9_S9_SD_PlEESG_SW_SH_SI_SJ_EUlSW_E1_NS1_11comp_targetILNS1_3genE9ELNS1_11target_archE1100ELNS1_3gpuE3ELNS1_3repE0EEENS1_36merge_oddeven_config_static_selectorELNS0_4arch9wavefront6targetE1EEEvSI_
    .private_segment_fixed_size: 0
    .sgpr_count:     4
    .sgpr_spill_count: 0
    .symbol:         _ZN7rocprim17ROCPRIM_400000_NS6detail17trampoline_kernelINS0_14default_configENS1_38merge_sort_block_merge_config_selectorIN3c108BFloat16ElEEZZNS1_27merge_sort_block_merge_implIS3_PS6_N6thrust23THRUST_200600_302600_NS10device_ptrIlEEmNSB_4lessIS6_EEEE10hipError_tT0_T1_T2_jT3_P12ihipStream_tbPNSt15iterator_traitsISH_E10value_typeEPNSN_ISI_E10value_typeEPSJ_NS1_7vsmem_tEENKUlT_SH_SI_SJ_E_clIS9_S9_SD_PlEESG_SW_SH_SI_SJ_EUlSW_E1_NS1_11comp_targetILNS1_3genE9ELNS1_11target_archE1100ELNS1_3gpuE3ELNS1_3repE0EEENS1_36merge_oddeven_config_static_selectorELNS0_4arch9wavefront6targetE1EEEvSI_.kd
    .uniform_work_group_size: 1
    .uses_dynamic_stack: false
    .vgpr_count:     0
    .vgpr_spill_count: 0
    .wavefront_size: 64
  - .agpr_count:     0
    .args:
      - .offset:         0
        .size:           56
        .value_kind:     by_value
    .group_segment_fixed_size: 0
    .kernarg_segment_align: 8
    .kernarg_segment_size: 56
    .language:       OpenCL C
    .language_version:
      - 2
      - 0
    .max_flat_workgroup_size: 256
    .name:           _ZN7rocprim17ROCPRIM_400000_NS6detail17trampoline_kernelINS0_14default_configENS1_38merge_sort_block_merge_config_selectorIN3c108BFloat16ElEEZZNS1_27merge_sort_block_merge_implIS3_PS6_N6thrust23THRUST_200600_302600_NS10device_ptrIlEEmNSB_4lessIS6_EEEE10hipError_tT0_T1_T2_jT3_P12ihipStream_tbPNSt15iterator_traitsISH_E10value_typeEPNSN_ISI_E10value_typeEPSJ_NS1_7vsmem_tEENKUlT_SH_SI_SJ_E_clIS9_S9_SD_PlEESG_SW_SH_SI_SJ_EUlSW_E1_NS1_11comp_targetILNS1_3genE8ELNS1_11target_archE1030ELNS1_3gpuE2ELNS1_3repE0EEENS1_36merge_oddeven_config_static_selectorELNS0_4arch9wavefront6targetE1EEEvSI_
    .private_segment_fixed_size: 0
    .sgpr_count:     4
    .sgpr_spill_count: 0
    .symbol:         _ZN7rocprim17ROCPRIM_400000_NS6detail17trampoline_kernelINS0_14default_configENS1_38merge_sort_block_merge_config_selectorIN3c108BFloat16ElEEZZNS1_27merge_sort_block_merge_implIS3_PS6_N6thrust23THRUST_200600_302600_NS10device_ptrIlEEmNSB_4lessIS6_EEEE10hipError_tT0_T1_T2_jT3_P12ihipStream_tbPNSt15iterator_traitsISH_E10value_typeEPNSN_ISI_E10value_typeEPSJ_NS1_7vsmem_tEENKUlT_SH_SI_SJ_E_clIS9_S9_SD_PlEESG_SW_SH_SI_SJ_EUlSW_E1_NS1_11comp_targetILNS1_3genE8ELNS1_11target_archE1030ELNS1_3gpuE2ELNS1_3repE0EEENS1_36merge_oddeven_config_static_selectorELNS0_4arch9wavefront6targetE1EEEvSI_.kd
    .uniform_work_group_size: 1
    .uses_dynamic_stack: false
    .vgpr_count:     0
    .vgpr_spill_count: 0
    .wavefront_size: 64
  - .agpr_count:     0
    .args:
      - .offset:         0
        .size:           40
        .value_kind:     by_value
    .group_segment_fixed_size: 0
    .kernarg_segment_align: 8
    .kernarg_segment_size: 40
    .language:       OpenCL C
    .language_version:
      - 2
      - 0
    .max_flat_workgroup_size: 128
    .name:           _ZN7rocprim17ROCPRIM_400000_NS6detail17trampoline_kernelINS0_14default_configENS1_25transform_config_selectorIN3c108BFloat16ELb1EEEZNS1_14transform_implILb1ES3_S7_PS6_S9_NS0_8identityIS6_EEEE10hipError_tT2_T3_mT4_P12ihipStream_tbEUlT_E_NS1_11comp_targetILNS1_3genE0ELNS1_11target_archE4294967295ELNS1_3gpuE0ELNS1_3repE0EEENS1_30default_config_static_selectorELNS0_4arch9wavefront6targetE1EEEvT1_
    .private_segment_fixed_size: 0
    .sgpr_count:     4
    .sgpr_spill_count: 0
    .symbol:         _ZN7rocprim17ROCPRIM_400000_NS6detail17trampoline_kernelINS0_14default_configENS1_25transform_config_selectorIN3c108BFloat16ELb1EEEZNS1_14transform_implILb1ES3_S7_PS6_S9_NS0_8identityIS6_EEEE10hipError_tT2_T3_mT4_P12ihipStream_tbEUlT_E_NS1_11comp_targetILNS1_3genE0ELNS1_11target_archE4294967295ELNS1_3gpuE0ELNS1_3repE0EEENS1_30default_config_static_selectorELNS0_4arch9wavefront6targetE1EEEvT1_.kd
    .uniform_work_group_size: 1
    .uses_dynamic_stack: false
    .vgpr_count:     0
    .vgpr_spill_count: 0
    .wavefront_size: 64
  - .agpr_count:     0
    .args:
      - .offset:         0
        .size:           40
        .value_kind:     by_value
    .group_segment_fixed_size: 0
    .kernarg_segment_align: 8
    .kernarg_segment_size: 40
    .language:       OpenCL C
    .language_version:
      - 2
      - 0
    .max_flat_workgroup_size: 64
    .name:           _ZN7rocprim17ROCPRIM_400000_NS6detail17trampoline_kernelINS0_14default_configENS1_25transform_config_selectorIN3c108BFloat16ELb1EEEZNS1_14transform_implILb1ES3_S7_PS6_S9_NS0_8identityIS6_EEEE10hipError_tT2_T3_mT4_P12ihipStream_tbEUlT_E_NS1_11comp_targetILNS1_3genE10ELNS1_11target_archE1201ELNS1_3gpuE5ELNS1_3repE0EEENS1_30default_config_static_selectorELNS0_4arch9wavefront6targetE1EEEvT1_
    .private_segment_fixed_size: 0
    .sgpr_count:     4
    .sgpr_spill_count: 0
    .symbol:         _ZN7rocprim17ROCPRIM_400000_NS6detail17trampoline_kernelINS0_14default_configENS1_25transform_config_selectorIN3c108BFloat16ELb1EEEZNS1_14transform_implILb1ES3_S7_PS6_S9_NS0_8identityIS6_EEEE10hipError_tT2_T3_mT4_P12ihipStream_tbEUlT_E_NS1_11comp_targetILNS1_3genE10ELNS1_11target_archE1201ELNS1_3gpuE5ELNS1_3repE0EEENS1_30default_config_static_selectorELNS0_4arch9wavefront6targetE1EEEvT1_.kd
    .uniform_work_group_size: 1
    .uses_dynamic_stack: false
    .vgpr_count:     0
    .vgpr_spill_count: 0
    .wavefront_size: 64
  - .agpr_count:     0
    .args:
      - .offset:         0
        .size:           40
        .value_kind:     by_value
    .group_segment_fixed_size: 0
    .kernarg_segment_align: 8
    .kernarg_segment_size: 40
    .language:       OpenCL C
    .language_version:
      - 2
      - 0
    .max_flat_workgroup_size: 256
    .name:           _ZN7rocprim17ROCPRIM_400000_NS6detail17trampoline_kernelINS0_14default_configENS1_25transform_config_selectorIN3c108BFloat16ELb1EEEZNS1_14transform_implILb1ES3_S7_PS6_S9_NS0_8identityIS6_EEEE10hipError_tT2_T3_mT4_P12ihipStream_tbEUlT_E_NS1_11comp_targetILNS1_3genE5ELNS1_11target_archE942ELNS1_3gpuE9ELNS1_3repE0EEENS1_30default_config_static_selectorELNS0_4arch9wavefront6targetE1EEEvT1_
    .private_segment_fixed_size: 0
    .sgpr_count:     4
    .sgpr_spill_count: 0
    .symbol:         _ZN7rocprim17ROCPRIM_400000_NS6detail17trampoline_kernelINS0_14default_configENS1_25transform_config_selectorIN3c108BFloat16ELb1EEEZNS1_14transform_implILb1ES3_S7_PS6_S9_NS0_8identityIS6_EEEE10hipError_tT2_T3_mT4_P12ihipStream_tbEUlT_E_NS1_11comp_targetILNS1_3genE5ELNS1_11target_archE942ELNS1_3gpuE9ELNS1_3repE0EEENS1_30default_config_static_selectorELNS0_4arch9wavefront6targetE1EEEvT1_.kd
    .uniform_work_group_size: 1
    .uses_dynamic_stack: false
    .vgpr_count:     0
    .vgpr_spill_count: 0
    .wavefront_size: 64
  - .agpr_count:     0
    .args:
      - .offset:         0
        .size:           40
        .value_kind:     by_value
      - .offset:         40
        .size:           4
        .value_kind:     hidden_block_count_x
      - .offset:         44
        .size:           4
        .value_kind:     hidden_block_count_y
      - .offset:         48
        .size:           4
        .value_kind:     hidden_block_count_z
      - .offset:         52
        .size:           2
        .value_kind:     hidden_group_size_x
      - .offset:         54
        .size:           2
        .value_kind:     hidden_group_size_y
      - .offset:         56
        .size:           2
        .value_kind:     hidden_group_size_z
      - .offset:         58
        .size:           2
        .value_kind:     hidden_remainder_x
      - .offset:         60
        .size:           2
        .value_kind:     hidden_remainder_y
      - .offset:         62
        .size:           2
        .value_kind:     hidden_remainder_z
      - .offset:         80
        .size:           8
        .value_kind:     hidden_global_offset_x
      - .offset:         88
        .size:           8
        .value_kind:     hidden_global_offset_y
      - .offset:         96
        .size:           8
        .value_kind:     hidden_global_offset_z
      - .offset:         104
        .size:           2
        .value_kind:     hidden_grid_dims
    .group_segment_fixed_size: 0
    .kernarg_segment_align: 8
    .kernarg_segment_size: 296
    .language:       OpenCL C
    .language_version:
      - 2
      - 0
    .max_flat_workgroup_size: 1024
    .name:           _ZN7rocprim17ROCPRIM_400000_NS6detail17trampoline_kernelINS0_14default_configENS1_25transform_config_selectorIN3c108BFloat16ELb1EEEZNS1_14transform_implILb1ES3_S7_PS6_S9_NS0_8identityIS6_EEEE10hipError_tT2_T3_mT4_P12ihipStream_tbEUlT_E_NS1_11comp_targetILNS1_3genE4ELNS1_11target_archE910ELNS1_3gpuE8ELNS1_3repE0EEENS1_30default_config_static_selectorELNS0_4arch9wavefront6targetE1EEEvT1_
    .private_segment_fixed_size: 0
    .sgpr_count:     26
    .sgpr_spill_count: 0
    .symbol:         _ZN7rocprim17ROCPRIM_400000_NS6detail17trampoline_kernelINS0_14default_configENS1_25transform_config_selectorIN3c108BFloat16ELb1EEEZNS1_14transform_implILb1ES3_S7_PS6_S9_NS0_8identityIS6_EEEE10hipError_tT2_T3_mT4_P12ihipStream_tbEUlT_E_NS1_11comp_targetILNS1_3genE4ELNS1_11target_archE910ELNS1_3gpuE8ELNS1_3repE0EEENS1_30default_config_static_selectorELNS0_4arch9wavefront6targetE1EEEvT1_.kd
    .uniform_work_group_size: 1
    .uses_dynamic_stack: false
    .vgpr_count:     11
    .vgpr_spill_count: 0
    .wavefront_size: 64
  - .agpr_count:     0
    .args:
      - .offset:         0
        .size:           40
        .value_kind:     by_value
    .group_segment_fixed_size: 0
    .kernarg_segment_align: 8
    .kernarg_segment_size: 40
    .language:       OpenCL C
    .language_version:
      - 2
      - 0
    .max_flat_workgroup_size: 128
    .name:           _ZN7rocprim17ROCPRIM_400000_NS6detail17trampoline_kernelINS0_14default_configENS1_25transform_config_selectorIN3c108BFloat16ELb1EEEZNS1_14transform_implILb1ES3_S7_PS6_S9_NS0_8identityIS6_EEEE10hipError_tT2_T3_mT4_P12ihipStream_tbEUlT_E_NS1_11comp_targetILNS1_3genE3ELNS1_11target_archE908ELNS1_3gpuE7ELNS1_3repE0EEENS1_30default_config_static_selectorELNS0_4arch9wavefront6targetE1EEEvT1_
    .private_segment_fixed_size: 0
    .sgpr_count:     4
    .sgpr_spill_count: 0
    .symbol:         _ZN7rocprim17ROCPRIM_400000_NS6detail17trampoline_kernelINS0_14default_configENS1_25transform_config_selectorIN3c108BFloat16ELb1EEEZNS1_14transform_implILb1ES3_S7_PS6_S9_NS0_8identityIS6_EEEE10hipError_tT2_T3_mT4_P12ihipStream_tbEUlT_E_NS1_11comp_targetILNS1_3genE3ELNS1_11target_archE908ELNS1_3gpuE7ELNS1_3repE0EEENS1_30default_config_static_selectorELNS0_4arch9wavefront6targetE1EEEvT1_.kd
    .uniform_work_group_size: 1
    .uses_dynamic_stack: false
    .vgpr_count:     0
    .vgpr_spill_count: 0
    .wavefront_size: 64
  - .agpr_count:     0
    .args:
      - .offset:         0
        .size:           40
        .value_kind:     by_value
    .group_segment_fixed_size: 0
    .kernarg_segment_align: 8
    .kernarg_segment_size: 40
    .language:       OpenCL C
    .language_version:
      - 2
      - 0
    .max_flat_workgroup_size: 1024
    .name:           _ZN7rocprim17ROCPRIM_400000_NS6detail17trampoline_kernelINS0_14default_configENS1_25transform_config_selectorIN3c108BFloat16ELb1EEEZNS1_14transform_implILb1ES3_S7_PS6_S9_NS0_8identityIS6_EEEE10hipError_tT2_T3_mT4_P12ihipStream_tbEUlT_E_NS1_11comp_targetILNS1_3genE2ELNS1_11target_archE906ELNS1_3gpuE6ELNS1_3repE0EEENS1_30default_config_static_selectorELNS0_4arch9wavefront6targetE1EEEvT1_
    .private_segment_fixed_size: 0
    .sgpr_count:     4
    .sgpr_spill_count: 0
    .symbol:         _ZN7rocprim17ROCPRIM_400000_NS6detail17trampoline_kernelINS0_14default_configENS1_25transform_config_selectorIN3c108BFloat16ELb1EEEZNS1_14transform_implILb1ES3_S7_PS6_S9_NS0_8identityIS6_EEEE10hipError_tT2_T3_mT4_P12ihipStream_tbEUlT_E_NS1_11comp_targetILNS1_3genE2ELNS1_11target_archE906ELNS1_3gpuE6ELNS1_3repE0EEENS1_30default_config_static_selectorELNS0_4arch9wavefront6targetE1EEEvT1_.kd
    .uniform_work_group_size: 1
    .uses_dynamic_stack: false
    .vgpr_count:     0
    .vgpr_spill_count: 0
    .wavefront_size: 64
  - .agpr_count:     0
    .args:
      - .offset:         0
        .size:           40
        .value_kind:     by_value
    .group_segment_fixed_size: 0
    .kernarg_segment_align: 8
    .kernarg_segment_size: 40
    .language:       OpenCL C
    .language_version:
      - 2
      - 0
    .max_flat_workgroup_size: 1024
    .name:           _ZN7rocprim17ROCPRIM_400000_NS6detail17trampoline_kernelINS0_14default_configENS1_25transform_config_selectorIN3c108BFloat16ELb1EEEZNS1_14transform_implILb1ES3_S7_PS6_S9_NS0_8identityIS6_EEEE10hipError_tT2_T3_mT4_P12ihipStream_tbEUlT_E_NS1_11comp_targetILNS1_3genE9ELNS1_11target_archE1100ELNS1_3gpuE3ELNS1_3repE0EEENS1_30default_config_static_selectorELNS0_4arch9wavefront6targetE1EEEvT1_
    .private_segment_fixed_size: 0
    .sgpr_count:     4
    .sgpr_spill_count: 0
    .symbol:         _ZN7rocprim17ROCPRIM_400000_NS6detail17trampoline_kernelINS0_14default_configENS1_25transform_config_selectorIN3c108BFloat16ELb1EEEZNS1_14transform_implILb1ES3_S7_PS6_S9_NS0_8identityIS6_EEEE10hipError_tT2_T3_mT4_P12ihipStream_tbEUlT_E_NS1_11comp_targetILNS1_3genE9ELNS1_11target_archE1100ELNS1_3gpuE3ELNS1_3repE0EEENS1_30default_config_static_selectorELNS0_4arch9wavefront6targetE1EEEvT1_.kd
    .uniform_work_group_size: 1
    .uses_dynamic_stack: false
    .vgpr_count:     0
    .vgpr_spill_count: 0
    .wavefront_size: 64
  - .agpr_count:     0
    .args:
      - .offset:         0
        .size:           40
        .value_kind:     by_value
    .group_segment_fixed_size: 0
    .kernarg_segment_align: 8
    .kernarg_segment_size: 40
    .language:       OpenCL C
    .language_version:
      - 2
      - 0
    .max_flat_workgroup_size: 1024
    .name:           _ZN7rocprim17ROCPRIM_400000_NS6detail17trampoline_kernelINS0_14default_configENS1_25transform_config_selectorIN3c108BFloat16ELb1EEEZNS1_14transform_implILb1ES3_S7_PS6_S9_NS0_8identityIS6_EEEE10hipError_tT2_T3_mT4_P12ihipStream_tbEUlT_E_NS1_11comp_targetILNS1_3genE8ELNS1_11target_archE1030ELNS1_3gpuE2ELNS1_3repE0EEENS1_30default_config_static_selectorELNS0_4arch9wavefront6targetE1EEEvT1_
    .private_segment_fixed_size: 0
    .sgpr_count:     4
    .sgpr_spill_count: 0
    .symbol:         _ZN7rocprim17ROCPRIM_400000_NS6detail17trampoline_kernelINS0_14default_configENS1_25transform_config_selectorIN3c108BFloat16ELb1EEEZNS1_14transform_implILb1ES3_S7_PS6_S9_NS0_8identityIS6_EEEE10hipError_tT2_T3_mT4_P12ihipStream_tbEUlT_E_NS1_11comp_targetILNS1_3genE8ELNS1_11target_archE1030ELNS1_3gpuE2ELNS1_3repE0EEENS1_30default_config_static_selectorELNS0_4arch9wavefront6targetE1EEEvT1_.kd
    .uniform_work_group_size: 1
    .uses_dynamic_stack: false
    .vgpr_count:     0
    .vgpr_spill_count: 0
    .wavefront_size: 64
  - .agpr_count:     0
    .args:
      - .offset:         0
        .size:           72
        .value_kind:     by_value
    .group_segment_fixed_size: 0
    .kernarg_segment_align: 8
    .kernarg_segment_size: 72
    .language:       OpenCL C
    .language_version:
      - 2
      - 0
    .max_flat_workgroup_size: 256
    .name:           _ZN7rocprim17ROCPRIM_400000_NS6detail17trampoline_kernelINS0_14default_configENS1_22reduce_config_selectorIiEEZNS1_11reduce_implILb1ES3_N6thrust23THRUST_200600_302600_NS11hip_rocprim35transform_pair_of_input_iterators_tIiPN3c108BFloat16ESD_NS8_12not_equal_toISC_EEEEPiiNS8_4plusIiEEEE10hipError_tPvRmT1_T2_T3_mT4_P12ihipStream_tbEUlT_E0_NS1_11comp_targetILNS1_3genE0ELNS1_11target_archE4294967295ELNS1_3gpuE0ELNS1_3repE0EEENS1_30default_config_static_selectorELNS0_4arch9wavefront6targetE1EEEvSN_
    .private_segment_fixed_size: 0
    .sgpr_count:     4
    .sgpr_spill_count: 0
    .symbol:         _ZN7rocprim17ROCPRIM_400000_NS6detail17trampoline_kernelINS0_14default_configENS1_22reduce_config_selectorIiEEZNS1_11reduce_implILb1ES3_N6thrust23THRUST_200600_302600_NS11hip_rocprim35transform_pair_of_input_iterators_tIiPN3c108BFloat16ESD_NS8_12not_equal_toISC_EEEEPiiNS8_4plusIiEEEE10hipError_tPvRmT1_T2_T3_mT4_P12ihipStream_tbEUlT_E0_NS1_11comp_targetILNS1_3genE0ELNS1_11target_archE4294967295ELNS1_3gpuE0ELNS1_3repE0EEENS1_30default_config_static_selectorELNS0_4arch9wavefront6targetE1EEEvSN_.kd
    .uniform_work_group_size: 1
    .uses_dynamic_stack: false
    .vgpr_count:     0
    .vgpr_spill_count: 0
    .wavefront_size: 64
  - .agpr_count:     0
    .args:
      - .offset:         0
        .size:           72
        .value_kind:     by_value
    .group_segment_fixed_size: 0
    .kernarg_segment_align: 8
    .kernarg_segment_size: 72
    .language:       OpenCL C
    .language_version:
      - 2
      - 0
    .max_flat_workgroup_size: 256
    .name:           _ZN7rocprim17ROCPRIM_400000_NS6detail17trampoline_kernelINS0_14default_configENS1_22reduce_config_selectorIiEEZNS1_11reduce_implILb1ES3_N6thrust23THRUST_200600_302600_NS11hip_rocprim35transform_pair_of_input_iterators_tIiPN3c108BFloat16ESD_NS8_12not_equal_toISC_EEEEPiiNS8_4plusIiEEEE10hipError_tPvRmT1_T2_T3_mT4_P12ihipStream_tbEUlT_E0_NS1_11comp_targetILNS1_3genE5ELNS1_11target_archE942ELNS1_3gpuE9ELNS1_3repE0EEENS1_30default_config_static_selectorELNS0_4arch9wavefront6targetE1EEEvSN_
    .private_segment_fixed_size: 0
    .sgpr_count:     4
    .sgpr_spill_count: 0
    .symbol:         _ZN7rocprim17ROCPRIM_400000_NS6detail17trampoline_kernelINS0_14default_configENS1_22reduce_config_selectorIiEEZNS1_11reduce_implILb1ES3_N6thrust23THRUST_200600_302600_NS11hip_rocprim35transform_pair_of_input_iterators_tIiPN3c108BFloat16ESD_NS8_12not_equal_toISC_EEEEPiiNS8_4plusIiEEEE10hipError_tPvRmT1_T2_T3_mT4_P12ihipStream_tbEUlT_E0_NS1_11comp_targetILNS1_3genE5ELNS1_11target_archE942ELNS1_3gpuE9ELNS1_3repE0EEENS1_30default_config_static_selectorELNS0_4arch9wavefront6targetE1EEEvSN_.kd
    .uniform_work_group_size: 1
    .uses_dynamic_stack: false
    .vgpr_count:     0
    .vgpr_spill_count: 0
    .wavefront_size: 64
  - .agpr_count:     0
    .args:
      - .offset:         0
        .size:           72
        .value_kind:     by_value
    .group_segment_fixed_size: 16
    .kernarg_segment_align: 8
    .kernarg_segment_size: 72
    .language:       OpenCL C
    .language_version:
      - 2
      - 0
    .max_flat_workgroup_size: 128
    .name:           _ZN7rocprim17ROCPRIM_400000_NS6detail17trampoline_kernelINS0_14default_configENS1_22reduce_config_selectorIiEEZNS1_11reduce_implILb1ES3_N6thrust23THRUST_200600_302600_NS11hip_rocprim35transform_pair_of_input_iterators_tIiPN3c108BFloat16ESD_NS8_12not_equal_toISC_EEEEPiiNS8_4plusIiEEEE10hipError_tPvRmT1_T2_T3_mT4_P12ihipStream_tbEUlT_E0_NS1_11comp_targetILNS1_3genE4ELNS1_11target_archE910ELNS1_3gpuE8ELNS1_3repE0EEENS1_30default_config_static_selectorELNS0_4arch9wavefront6targetE1EEEvSN_
    .private_segment_fixed_size: 0
    .sgpr_count:     34
    .sgpr_spill_count: 0
    .symbol:         _ZN7rocprim17ROCPRIM_400000_NS6detail17trampoline_kernelINS0_14default_configENS1_22reduce_config_selectorIiEEZNS1_11reduce_implILb1ES3_N6thrust23THRUST_200600_302600_NS11hip_rocprim35transform_pair_of_input_iterators_tIiPN3c108BFloat16ESD_NS8_12not_equal_toISC_EEEEPiiNS8_4plusIiEEEE10hipError_tPvRmT1_T2_T3_mT4_P12ihipStream_tbEUlT_E0_NS1_11comp_targetILNS1_3genE4ELNS1_11target_archE910ELNS1_3gpuE8ELNS1_3repE0EEENS1_30default_config_static_selectorELNS0_4arch9wavefront6targetE1EEEvSN_.kd
    .uniform_work_group_size: 1
    .uses_dynamic_stack: false
    .vgpr_count:     21
    .vgpr_spill_count: 0
    .wavefront_size: 64
  - .agpr_count:     0
    .args:
      - .offset:         0
        .size:           72
        .value_kind:     by_value
    .group_segment_fixed_size: 0
    .kernarg_segment_align: 8
    .kernarg_segment_size: 72
    .language:       OpenCL C
    .language_version:
      - 2
      - 0
    .max_flat_workgroup_size: 256
    .name:           _ZN7rocprim17ROCPRIM_400000_NS6detail17trampoline_kernelINS0_14default_configENS1_22reduce_config_selectorIiEEZNS1_11reduce_implILb1ES3_N6thrust23THRUST_200600_302600_NS11hip_rocprim35transform_pair_of_input_iterators_tIiPN3c108BFloat16ESD_NS8_12not_equal_toISC_EEEEPiiNS8_4plusIiEEEE10hipError_tPvRmT1_T2_T3_mT4_P12ihipStream_tbEUlT_E0_NS1_11comp_targetILNS1_3genE3ELNS1_11target_archE908ELNS1_3gpuE7ELNS1_3repE0EEENS1_30default_config_static_selectorELNS0_4arch9wavefront6targetE1EEEvSN_
    .private_segment_fixed_size: 0
    .sgpr_count:     4
    .sgpr_spill_count: 0
    .symbol:         _ZN7rocprim17ROCPRIM_400000_NS6detail17trampoline_kernelINS0_14default_configENS1_22reduce_config_selectorIiEEZNS1_11reduce_implILb1ES3_N6thrust23THRUST_200600_302600_NS11hip_rocprim35transform_pair_of_input_iterators_tIiPN3c108BFloat16ESD_NS8_12not_equal_toISC_EEEEPiiNS8_4plusIiEEEE10hipError_tPvRmT1_T2_T3_mT4_P12ihipStream_tbEUlT_E0_NS1_11comp_targetILNS1_3genE3ELNS1_11target_archE908ELNS1_3gpuE7ELNS1_3repE0EEENS1_30default_config_static_selectorELNS0_4arch9wavefront6targetE1EEEvSN_.kd
    .uniform_work_group_size: 1
    .uses_dynamic_stack: false
    .vgpr_count:     0
    .vgpr_spill_count: 0
    .wavefront_size: 64
  - .agpr_count:     0
    .args:
      - .offset:         0
        .size:           72
        .value_kind:     by_value
    .group_segment_fixed_size: 0
    .kernarg_segment_align: 8
    .kernarg_segment_size: 72
    .language:       OpenCL C
    .language_version:
      - 2
      - 0
    .max_flat_workgroup_size: 256
    .name:           _ZN7rocprim17ROCPRIM_400000_NS6detail17trampoline_kernelINS0_14default_configENS1_22reduce_config_selectorIiEEZNS1_11reduce_implILb1ES3_N6thrust23THRUST_200600_302600_NS11hip_rocprim35transform_pair_of_input_iterators_tIiPN3c108BFloat16ESD_NS8_12not_equal_toISC_EEEEPiiNS8_4plusIiEEEE10hipError_tPvRmT1_T2_T3_mT4_P12ihipStream_tbEUlT_E0_NS1_11comp_targetILNS1_3genE2ELNS1_11target_archE906ELNS1_3gpuE6ELNS1_3repE0EEENS1_30default_config_static_selectorELNS0_4arch9wavefront6targetE1EEEvSN_
    .private_segment_fixed_size: 0
    .sgpr_count:     4
    .sgpr_spill_count: 0
    .symbol:         _ZN7rocprim17ROCPRIM_400000_NS6detail17trampoline_kernelINS0_14default_configENS1_22reduce_config_selectorIiEEZNS1_11reduce_implILb1ES3_N6thrust23THRUST_200600_302600_NS11hip_rocprim35transform_pair_of_input_iterators_tIiPN3c108BFloat16ESD_NS8_12not_equal_toISC_EEEEPiiNS8_4plusIiEEEE10hipError_tPvRmT1_T2_T3_mT4_P12ihipStream_tbEUlT_E0_NS1_11comp_targetILNS1_3genE2ELNS1_11target_archE906ELNS1_3gpuE6ELNS1_3repE0EEENS1_30default_config_static_selectorELNS0_4arch9wavefront6targetE1EEEvSN_.kd
    .uniform_work_group_size: 1
    .uses_dynamic_stack: false
    .vgpr_count:     0
    .vgpr_spill_count: 0
    .wavefront_size: 64
  - .agpr_count:     0
    .args:
      - .offset:         0
        .size:           72
        .value_kind:     by_value
    .group_segment_fixed_size: 0
    .kernarg_segment_align: 8
    .kernarg_segment_size: 72
    .language:       OpenCL C
    .language_version:
      - 2
      - 0
    .max_flat_workgroup_size: 256
    .name:           _ZN7rocprim17ROCPRIM_400000_NS6detail17trampoline_kernelINS0_14default_configENS1_22reduce_config_selectorIiEEZNS1_11reduce_implILb1ES3_N6thrust23THRUST_200600_302600_NS11hip_rocprim35transform_pair_of_input_iterators_tIiPN3c108BFloat16ESD_NS8_12not_equal_toISC_EEEEPiiNS8_4plusIiEEEE10hipError_tPvRmT1_T2_T3_mT4_P12ihipStream_tbEUlT_E0_NS1_11comp_targetILNS1_3genE10ELNS1_11target_archE1201ELNS1_3gpuE5ELNS1_3repE0EEENS1_30default_config_static_selectorELNS0_4arch9wavefront6targetE1EEEvSN_
    .private_segment_fixed_size: 0
    .sgpr_count:     4
    .sgpr_spill_count: 0
    .symbol:         _ZN7rocprim17ROCPRIM_400000_NS6detail17trampoline_kernelINS0_14default_configENS1_22reduce_config_selectorIiEEZNS1_11reduce_implILb1ES3_N6thrust23THRUST_200600_302600_NS11hip_rocprim35transform_pair_of_input_iterators_tIiPN3c108BFloat16ESD_NS8_12not_equal_toISC_EEEEPiiNS8_4plusIiEEEE10hipError_tPvRmT1_T2_T3_mT4_P12ihipStream_tbEUlT_E0_NS1_11comp_targetILNS1_3genE10ELNS1_11target_archE1201ELNS1_3gpuE5ELNS1_3repE0EEENS1_30default_config_static_selectorELNS0_4arch9wavefront6targetE1EEEvSN_.kd
    .uniform_work_group_size: 1
    .uses_dynamic_stack: false
    .vgpr_count:     0
    .vgpr_spill_count: 0
    .wavefront_size: 64
  - .agpr_count:     0
    .args:
      - .offset:         0
        .size:           72
        .value_kind:     by_value
    .group_segment_fixed_size: 0
    .kernarg_segment_align: 8
    .kernarg_segment_size: 72
    .language:       OpenCL C
    .language_version:
      - 2
      - 0
    .max_flat_workgroup_size: 256
    .name:           _ZN7rocprim17ROCPRIM_400000_NS6detail17trampoline_kernelINS0_14default_configENS1_22reduce_config_selectorIiEEZNS1_11reduce_implILb1ES3_N6thrust23THRUST_200600_302600_NS11hip_rocprim35transform_pair_of_input_iterators_tIiPN3c108BFloat16ESD_NS8_12not_equal_toISC_EEEEPiiNS8_4plusIiEEEE10hipError_tPvRmT1_T2_T3_mT4_P12ihipStream_tbEUlT_E0_NS1_11comp_targetILNS1_3genE10ELNS1_11target_archE1200ELNS1_3gpuE4ELNS1_3repE0EEENS1_30default_config_static_selectorELNS0_4arch9wavefront6targetE1EEEvSN_
    .private_segment_fixed_size: 0
    .sgpr_count:     4
    .sgpr_spill_count: 0
    .symbol:         _ZN7rocprim17ROCPRIM_400000_NS6detail17trampoline_kernelINS0_14default_configENS1_22reduce_config_selectorIiEEZNS1_11reduce_implILb1ES3_N6thrust23THRUST_200600_302600_NS11hip_rocprim35transform_pair_of_input_iterators_tIiPN3c108BFloat16ESD_NS8_12not_equal_toISC_EEEEPiiNS8_4plusIiEEEE10hipError_tPvRmT1_T2_T3_mT4_P12ihipStream_tbEUlT_E0_NS1_11comp_targetILNS1_3genE10ELNS1_11target_archE1200ELNS1_3gpuE4ELNS1_3repE0EEENS1_30default_config_static_selectorELNS0_4arch9wavefront6targetE1EEEvSN_.kd
    .uniform_work_group_size: 1
    .uses_dynamic_stack: false
    .vgpr_count:     0
    .vgpr_spill_count: 0
    .wavefront_size: 64
  - .agpr_count:     0
    .args:
      - .offset:         0
        .size:           72
        .value_kind:     by_value
    .group_segment_fixed_size: 0
    .kernarg_segment_align: 8
    .kernarg_segment_size: 72
    .language:       OpenCL C
    .language_version:
      - 2
      - 0
    .max_flat_workgroup_size: 256
    .name:           _ZN7rocprim17ROCPRIM_400000_NS6detail17trampoline_kernelINS0_14default_configENS1_22reduce_config_selectorIiEEZNS1_11reduce_implILb1ES3_N6thrust23THRUST_200600_302600_NS11hip_rocprim35transform_pair_of_input_iterators_tIiPN3c108BFloat16ESD_NS8_12not_equal_toISC_EEEEPiiNS8_4plusIiEEEE10hipError_tPvRmT1_T2_T3_mT4_P12ihipStream_tbEUlT_E0_NS1_11comp_targetILNS1_3genE9ELNS1_11target_archE1100ELNS1_3gpuE3ELNS1_3repE0EEENS1_30default_config_static_selectorELNS0_4arch9wavefront6targetE1EEEvSN_
    .private_segment_fixed_size: 0
    .sgpr_count:     4
    .sgpr_spill_count: 0
    .symbol:         _ZN7rocprim17ROCPRIM_400000_NS6detail17trampoline_kernelINS0_14default_configENS1_22reduce_config_selectorIiEEZNS1_11reduce_implILb1ES3_N6thrust23THRUST_200600_302600_NS11hip_rocprim35transform_pair_of_input_iterators_tIiPN3c108BFloat16ESD_NS8_12not_equal_toISC_EEEEPiiNS8_4plusIiEEEE10hipError_tPvRmT1_T2_T3_mT4_P12ihipStream_tbEUlT_E0_NS1_11comp_targetILNS1_3genE9ELNS1_11target_archE1100ELNS1_3gpuE3ELNS1_3repE0EEENS1_30default_config_static_selectorELNS0_4arch9wavefront6targetE1EEEvSN_.kd
    .uniform_work_group_size: 1
    .uses_dynamic_stack: false
    .vgpr_count:     0
    .vgpr_spill_count: 0
    .wavefront_size: 64
  - .agpr_count:     0
    .args:
      - .offset:         0
        .size:           72
        .value_kind:     by_value
    .group_segment_fixed_size: 0
    .kernarg_segment_align: 8
    .kernarg_segment_size: 72
    .language:       OpenCL C
    .language_version:
      - 2
      - 0
    .max_flat_workgroup_size: 256
    .name:           _ZN7rocprim17ROCPRIM_400000_NS6detail17trampoline_kernelINS0_14default_configENS1_22reduce_config_selectorIiEEZNS1_11reduce_implILb1ES3_N6thrust23THRUST_200600_302600_NS11hip_rocprim35transform_pair_of_input_iterators_tIiPN3c108BFloat16ESD_NS8_12not_equal_toISC_EEEEPiiNS8_4plusIiEEEE10hipError_tPvRmT1_T2_T3_mT4_P12ihipStream_tbEUlT_E0_NS1_11comp_targetILNS1_3genE8ELNS1_11target_archE1030ELNS1_3gpuE2ELNS1_3repE0EEENS1_30default_config_static_selectorELNS0_4arch9wavefront6targetE1EEEvSN_
    .private_segment_fixed_size: 0
    .sgpr_count:     4
    .sgpr_spill_count: 0
    .symbol:         _ZN7rocprim17ROCPRIM_400000_NS6detail17trampoline_kernelINS0_14default_configENS1_22reduce_config_selectorIiEEZNS1_11reduce_implILb1ES3_N6thrust23THRUST_200600_302600_NS11hip_rocprim35transform_pair_of_input_iterators_tIiPN3c108BFloat16ESD_NS8_12not_equal_toISC_EEEEPiiNS8_4plusIiEEEE10hipError_tPvRmT1_T2_T3_mT4_P12ihipStream_tbEUlT_E0_NS1_11comp_targetILNS1_3genE8ELNS1_11target_archE1030ELNS1_3gpuE2ELNS1_3repE0EEENS1_30default_config_static_selectorELNS0_4arch9wavefront6targetE1EEEvSN_.kd
    .uniform_work_group_size: 1
    .uses_dynamic_stack: false
    .vgpr_count:     0
    .vgpr_spill_count: 0
    .wavefront_size: 64
  - .agpr_count:     0
    .args:
      - .offset:         0
        .size:           56
        .value_kind:     by_value
    .group_segment_fixed_size: 0
    .kernarg_segment_align: 8
    .kernarg_segment_size: 56
    .language:       OpenCL C
    .language_version:
      - 2
      - 0
    .max_flat_workgroup_size: 256
    .name:           _ZN7rocprim17ROCPRIM_400000_NS6detail17trampoline_kernelINS0_14default_configENS1_22reduce_config_selectorIiEEZNS1_11reduce_implILb1ES3_N6thrust23THRUST_200600_302600_NS11hip_rocprim35transform_pair_of_input_iterators_tIiPN3c108BFloat16ESD_NS8_12not_equal_toISC_EEEEPiiNS8_4plusIiEEEE10hipError_tPvRmT1_T2_T3_mT4_P12ihipStream_tbEUlT_E1_NS1_11comp_targetILNS1_3genE0ELNS1_11target_archE4294967295ELNS1_3gpuE0ELNS1_3repE0EEENS1_30default_config_static_selectorELNS0_4arch9wavefront6targetE1EEEvSN_
    .private_segment_fixed_size: 0
    .sgpr_count:     4
    .sgpr_spill_count: 0
    .symbol:         _ZN7rocprim17ROCPRIM_400000_NS6detail17trampoline_kernelINS0_14default_configENS1_22reduce_config_selectorIiEEZNS1_11reduce_implILb1ES3_N6thrust23THRUST_200600_302600_NS11hip_rocprim35transform_pair_of_input_iterators_tIiPN3c108BFloat16ESD_NS8_12not_equal_toISC_EEEEPiiNS8_4plusIiEEEE10hipError_tPvRmT1_T2_T3_mT4_P12ihipStream_tbEUlT_E1_NS1_11comp_targetILNS1_3genE0ELNS1_11target_archE4294967295ELNS1_3gpuE0ELNS1_3repE0EEENS1_30default_config_static_selectorELNS0_4arch9wavefront6targetE1EEEvSN_.kd
    .uniform_work_group_size: 1
    .uses_dynamic_stack: false
    .vgpr_count:     0
    .vgpr_spill_count: 0
    .wavefront_size: 64
  - .agpr_count:     0
    .args:
      - .offset:         0
        .size:           56
        .value_kind:     by_value
    .group_segment_fixed_size: 0
    .kernarg_segment_align: 8
    .kernarg_segment_size: 56
    .language:       OpenCL C
    .language_version:
      - 2
      - 0
    .max_flat_workgroup_size: 256
    .name:           _ZN7rocprim17ROCPRIM_400000_NS6detail17trampoline_kernelINS0_14default_configENS1_22reduce_config_selectorIiEEZNS1_11reduce_implILb1ES3_N6thrust23THRUST_200600_302600_NS11hip_rocprim35transform_pair_of_input_iterators_tIiPN3c108BFloat16ESD_NS8_12not_equal_toISC_EEEEPiiNS8_4plusIiEEEE10hipError_tPvRmT1_T2_T3_mT4_P12ihipStream_tbEUlT_E1_NS1_11comp_targetILNS1_3genE5ELNS1_11target_archE942ELNS1_3gpuE9ELNS1_3repE0EEENS1_30default_config_static_selectorELNS0_4arch9wavefront6targetE1EEEvSN_
    .private_segment_fixed_size: 0
    .sgpr_count:     4
    .sgpr_spill_count: 0
    .symbol:         _ZN7rocprim17ROCPRIM_400000_NS6detail17trampoline_kernelINS0_14default_configENS1_22reduce_config_selectorIiEEZNS1_11reduce_implILb1ES3_N6thrust23THRUST_200600_302600_NS11hip_rocprim35transform_pair_of_input_iterators_tIiPN3c108BFloat16ESD_NS8_12not_equal_toISC_EEEEPiiNS8_4plusIiEEEE10hipError_tPvRmT1_T2_T3_mT4_P12ihipStream_tbEUlT_E1_NS1_11comp_targetILNS1_3genE5ELNS1_11target_archE942ELNS1_3gpuE9ELNS1_3repE0EEENS1_30default_config_static_selectorELNS0_4arch9wavefront6targetE1EEEvSN_.kd
    .uniform_work_group_size: 1
    .uses_dynamic_stack: false
    .vgpr_count:     0
    .vgpr_spill_count: 0
    .wavefront_size: 64
  - .agpr_count:     0
    .args:
      - .offset:         0
        .size:           56
        .value_kind:     by_value
    .group_segment_fixed_size: 56
    .kernarg_segment_align: 8
    .kernarg_segment_size: 56
    .language:       OpenCL C
    .language_version:
      - 2
      - 0
    .max_flat_workgroup_size: 128
    .name:           _ZN7rocprim17ROCPRIM_400000_NS6detail17trampoline_kernelINS0_14default_configENS1_22reduce_config_selectorIiEEZNS1_11reduce_implILb1ES3_N6thrust23THRUST_200600_302600_NS11hip_rocprim35transform_pair_of_input_iterators_tIiPN3c108BFloat16ESD_NS8_12not_equal_toISC_EEEEPiiNS8_4plusIiEEEE10hipError_tPvRmT1_T2_T3_mT4_P12ihipStream_tbEUlT_E1_NS1_11comp_targetILNS1_3genE4ELNS1_11target_archE910ELNS1_3gpuE8ELNS1_3repE0EEENS1_30default_config_static_selectorELNS0_4arch9wavefront6targetE1EEEvSN_
    .private_segment_fixed_size: 0
    .sgpr_count:     53
    .sgpr_spill_count: 0
    .symbol:         _ZN7rocprim17ROCPRIM_400000_NS6detail17trampoline_kernelINS0_14default_configENS1_22reduce_config_selectorIiEEZNS1_11reduce_implILb1ES3_N6thrust23THRUST_200600_302600_NS11hip_rocprim35transform_pair_of_input_iterators_tIiPN3c108BFloat16ESD_NS8_12not_equal_toISC_EEEEPiiNS8_4plusIiEEEE10hipError_tPvRmT1_T2_T3_mT4_P12ihipStream_tbEUlT_E1_NS1_11comp_targetILNS1_3genE4ELNS1_11target_archE910ELNS1_3gpuE8ELNS1_3repE0EEENS1_30default_config_static_selectorELNS0_4arch9wavefront6targetE1EEEvSN_.kd
    .uniform_work_group_size: 1
    .uses_dynamic_stack: false
    .vgpr_count:     60
    .vgpr_spill_count: 0
    .wavefront_size: 64
  - .agpr_count:     0
    .args:
      - .offset:         0
        .size:           56
        .value_kind:     by_value
    .group_segment_fixed_size: 0
    .kernarg_segment_align: 8
    .kernarg_segment_size: 56
    .language:       OpenCL C
    .language_version:
      - 2
      - 0
    .max_flat_workgroup_size: 256
    .name:           _ZN7rocprim17ROCPRIM_400000_NS6detail17trampoline_kernelINS0_14default_configENS1_22reduce_config_selectorIiEEZNS1_11reduce_implILb1ES3_N6thrust23THRUST_200600_302600_NS11hip_rocprim35transform_pair_of_input_iterators_tIiPN3c108BFloat16ESD_NS8_12not_equal_toISC_EEEEPiiNS8_4plusIiEEEE10hipError_tPvRmT1_T2_T3_mT4_P12ihipStream_tbEUlT_E1_NS1_11comp_targetILNS1_3genE3ELNS1_11target_archE908ELNS1_3gpuE7ELNS1_3repE0EEENS1_30default_config_static_selectorELNS0_4arch9wavefront6targetE1EEEvSN_
    .private_segment_fixed_size: 0
    .sgpr_count:     4
    .sgpr_spill_count: 0
    .symbol:         _ZN7rocprim17ROCPRIM_400000_NS6detail17trampoline_kernelINS0_14default_configENS1_22reduce_config_selectorIiEEZNS1_11reduce_implILb1ES3_N6thrust23THRUST_200600_302600_NS11hip_rocprim35transform_pair_of_input_iterators_tIiPN3c108BFloat16ESD_NS8_12not_equal_toISC_EEEEPiiNS8_4plusIiEEEE10hipError_tPvRmT1_T2_T3_mT4_P12ihipStream_tbEUlT_E1_NS1_11comp_targetILNS1_3genE3ELNS1_11target_archE908ELNS1_3gpuE7ELNS1_3repE0EEENS1_30default_config_static_selectorELNS0_4arch9wavefront6targetE1EEEvSN_.kd
    .uniform_work_group_size: 1
    .uses_dynamic_stack: false
    .vgpr_count:     0
    .vgpr_spill_count: 0
    .wavefront_size: 64
  - .agpr_count:     0
    .args:
      - .offset:         0
        .size:           56
        .value_kind:     by_value
    .group_segment_fixed_size: 0
    .kernarg_segment_align: 8
    .kernarg_segment_size: 56
    .language:       OpenCL C
    .language_version:
      - 2
      - 0
    .max_flat_workgroup_size: 256
    .name:           _ZN7rocprim17ROCPRIM_400000_NS6detail17trampoline_kernelINS0_14default_configENS1_22reduce_config_selectorIiEEZNS1_11reduce_implILb1ES3_N6thrust23THRUST_200600_302600_NS11hip_rocprim35transform_pair_of_input_iterators_tIiPN3c108BFloat16ESD_NS8_12not_equal_toISC_EEEEPiiNS8_4plusIiEEEE10hipError_tPvRmT1_T2_T3_mT4_P12ihipStream_tbEUlT_E1_NS1_11comp_targetILNS1_3genE2ELNS1_11target_archE906ELNS1_3gpuE6ELNS1_3repE0EEENS1_30default_config_static_selectorELNS0_4arch9wavefront6targetE1EEEvSN_
    .private_segment_fixed_size: 0
    .sgpr_count:     4
    .sgpr_spill_count: 0
    .symbol:         _ZN7rocprim17ROCPRIM_400000_NS6detail17trampoline_kernelINS0_14default_configENS1_22reduce_config_selectorIiEEZNS1_11reduce_implILb1ES3_N6thrust23THRUST_200600_302600_NS11hip_rocprim35transform_pair_of_input_iterators_tIiPN3c108BFloat16ESD_NS8_12not_equal_toISC_EEEEPiiNS8_4plusIiEEEE10hipError_tPvRmT1_T2_T3_mT4_P12ihipStream_tbEUlT_E1_NS1_11comp_targetILNS1_3genE2ELNS1_11target_archE906ELNS1_3gpuE6ELNS1_3repE0EEENS1_30default_config_static_selectorELNS0_4arch9wavefront6targetE1EEEvSN_.kd
    .uniform_work_group_size: 1
    .uses_dynamic_stack: false
    .vgpr_count:     0
    .vgpr_spill_count: 0
    .wavefront_size: 64
  - .agpr_count:     0
    .args:
      - .offset:         0
        .size:           56
        .value_kind:     by_value
    .group_segment_fixed_size: 0
    .kernarg_segment_align: 8
    .kernarg_segment_size: 56
    .language:       OpenCL C
    .language_version:
      - 2
      - 0
    .max_flat_workgroup_size: 256
    .name:           _ZN7rocprim17ROCPRIM_400000_NS6detail17trampoline_kernelINS0_14default_configENS1_22reduce_config_selectorIiEEZNS1_11reduce_implILb1ES3_N6thrust23THRUST_200600_302600_NS11hip_rocprim35transform_pair_of_input_iterators_tIiPN3c108BFloat16ESD_NS8_12not_equal_toISC_EEEEPiiNS8_4plusIiEEEE10hipError_tPvRmT1_T2_T3_mT4_P12ihipStream_tbEUlT_E1_NS1_11comp_targetILNS1_3genE10ELNS1_11target_archE1201ELNS1_3gpuE5ELNS1_3repE0EEENS1_30default_config_static_selectorELNS0_4arch9wavefront6targetE1EEEvSN_
    .private_segment_fixed_size: 0
    .sgpr_count:     4
    .sgpr_spill_count: 0
    .symbol:         _ZN7rocprim17ROCPRIM_400000_NS6detail17trampoline_kernelINS0_14default_configENS1_22reduce_config_selectorIiEEZNS1_11reduce_implILb1ES3_N6thrust23THRUST_200600_302600_NS11hip_rocprim35transform_pair_of_input_iterators_tIiPN3c108BFloat16ESD_NS8_12not_equal_toISC_EEEEPiiNS8_4plusIiEEEE10hipError_tPvRmT1_T2_T3_mT4_P12ihipStream_tbEUlT_E1_NS1_11comp_targetILNS1_3genE10ELNS1_11target_archE1201ELNS1_3gpuE5ELNS1_3repE0EEENS1_30default_config_static_selectorELNS0_4arch9wavefront6targetE1EEEvSN_.kd
    .uniform_work_group_size: 1
    .uses_dynamic_stack: false
    .vgpr_count:     0
    .vgpr_spill_count: 0
    .wavefront_size: 64
  - .agpr_count:     0
    .args:
      - .offset:         0
        .size:           56
        .value_kind:     by_value
    .group_segment_fixed_size: 0
    .kernarg_segment_align: 8
    .kernarg_segment_size: 56
    .language:       OpenCL C
    .language_version:
      - 2
      - 0
    .max_flat_workgroup_size: 256
    .name:           _ZN7rocprim17ROCPRIM_400000_NS6detail17trampoline_kernelINS0_14default_configENS1_22reduce_config_selectorIiEEZNS1_11reduce_implILb1ES3_N6thrust23THRUST_200600_302600_NS11hip_rocprim35transform_pair_of_input_iterators_tIiPN3c108BFloat16ESD_NS8_12not_equal_toISC_EEEEPiiNS8_4plusIiEEEE10hipError_tPvRmT1_T2_T3_mT4_P12ihipStream_tbEUlT_E1_NS1_11comp_targetILNS1_3genE10ELNS1_11target_archE1200ELNS1_3gpuE4ELNS1_3repE0EEENS1_30default_config_static_selectorELNS0_4arch9wavefront6targetE1EEEvSN_
    .private_segment_fixed_size: 0
    .sgpr_count:     4
    .sgpr_spill_count: 0
    .symbol:         _ZN7rocprim17ROCPRIM_400000_NS6detail17trampoline_kernelINS0_14default_configENS1_22reduce_config_selectorIiEEZNS1_11reduce_implILb1ES3_N6thrust23THRUST_200600_302600_NS11hip_rocprim35transform_pair_of_input_iterators_tIiPN3c108BFloat16ESD_NS8_12not_equal_toISC_EEEEPiiNS8_4plusIiEEEE10hipError_tPvRmT1_T2_T3_mT4_P12ihipStream_tbEUlT_E1_NS1_11comp_targetILNS1_3genE10ELNS1_11target_archE1200ELNS1_3gpuE4ELNS1_3repE0EEENS1_30default_config_static_selectorELNS0_4arch9wavefront6targetE1EEEvSN_.kd
    .uniform_work_group_size: 1
    .uses_dynamic_stack: false
    .vgpr_count:     0
    .vgpr_spill_count: 0
    .wavefront_size: 64
  - .agpr_count:     0
    .args:
      - .offset:         0
        .size:           56
        .value_kind:     by_value
    .group_segment_fixed_size: 0
    .kernarg_segment_align: 8
    .kernarg_segment_size: 56
    .language:       OpenCL C
    .language_version:
      - 2
      - 0
    .max_flat_workgroup_size: 256
    .name:           _ZN7rocprim17ROCPRIM_400000_NS6detail17trampoline_kernelINS0_14default_configENS1_22reduce_config_selectorIiEEZNS1_11reduce_implILb1ES3_N6thrust23THRUST_200600_302600_NS11hip_rocprim35transform_pair_of_input_iterators_tIiPN3c108BFloat16ESD_NS8_12not_equal_toISC_EEEEPiiNS8_4plusIiEEEE10hipError_tPvRmT1_T2_T3_mT4_P12ihipStream_tbEUlT_E1_NS1_11comp_targetILNS1_3genE9ELNS1_11target_archE1100ELNS1_3gpuE3ELNS1_3repE0EEENS1_30default_config_static_selectorELNS0_4arch9wavefront6targetE1EEEvSN_
    .private_segment_fixed_size: 0
    .sgpr_count:     4
    .sgpr_spill_count: 0
    .symbol:         _ZN7rocprim17ROCPRIM_400000_NS6detail17trampoline_kernelINS0_14default_configENS1_22reduce_config_selectorIiEEZNS1_11reduce_implILb1ES3_N6thrust23THRUST_200600_302600_NS11hip_rocprim35transform_pair_of_input_iterators_tIiPN3c108BFloat16ESD_NS8_12not_equal_toISC_EEEEPiiNS8_4plusIiEEEE10hipError_tPvRmT1_T2_T3_mT4_P12ihipStream_tbEUlT_E1_NS1_11comp_targetILNS1_3genE9ELNS1_11target_archE1100ELNS1_3gpuE3ELNS1_3repE0EEENS1_30default_config_static_selectorELNS0_4arch9wavefront6targetE1EEEvSN_.kd
    .uniform_work_group_size: 1
    .uses_dynamic_stack: false
    .vgpr_count:     0
    .vgpr_spill_count: 0
    .wavefront_size: 64
  - .agpr_count:     0
    .args:
      - .offset:         0
        .size:           56
        .value_kind:     by_value
    .group_segment_fixed_size: 0
    .kernarg_segment_align: 8
    .kernarg_segment_size: 56
    .language:       OpenCL C
    .language_version:
      - 2
      - 0
    .max_flat_workgroup_size: 256
    .name:           _ZN7rocprim17ROCPRIM_400000_NS6detail17trampoline_kernelINS0_14default_configENS1_22reduce_config_selectorIiEEZNS1_11reduce_implILb1ES3_N6thrust23THRUST_200600_302600_NS11hip_rocprim35transform_pair_of_input_iterators_tIiPN3c108BFloat16ESD_NS8_12not_equal_toISC_EEEEPiiNS8_4plusIiEEEE10hipError_tPvRmT1_T2_T3_mT4_P12ihipStream_tbEUlT_E1_NS1_11comp_targetILNS1_3genE8ELNS1_11target_archE1030ELNS1_3gpuE2ELNS1_3repE0EEENS1_30default_config_static_selectorELNS0_4arch9wavefront6targetE1EEEvSN_
    .private_segment_fixed_size: 0
    .sgpr_count:     4
    .sgpr_spill_count: 0
    .symbol:         _ZN7rocprim17ROCPRIM_400000_NS6detail17trampoline_kernelINS0_14default_configENS1_22reduce_config_selectorIiEEZNS1_11reduce_implILb1ES3_N6thrust23THRUST_200600_302600_NS11hip_rocprim35transform_pair_of_input_iterators_tIiPN3c108BFloat16ESD_NS8_12not_equal_toISC_EEEEPiiNS8_4plusIiEEEE10hipError_tPvRmT1_T2_T3_mT4_P12ihipStream_tbEUlT_E1_NS1_11comp_targetILNS1_3genE8ELNS1_11target_archE1030ELNS1_3gpuE2ELNS1_3repE0EEENS1_30default_config_static_selectorELNS0_4arch9wavefront6targetE1EEEvSN_.kd
    .uniform_work_group_size: 1
    .uses_dynamic_stack: false
    .vgpr_count:     0
    .vgpr_spill_count: 0
    .wavefront_size: 64
  - .agpr_count:     0
    .args:
      - .offset:         0
        .size:           144
        .value_kind:     by_value
    .group_segment_fixed_size: 0
    .kernarg_segment_align: 8
    .kernarg_segment_size: 144
    .language:       OpenCL C
    .language_version:
      - 2
      - 0
    .max_flat_workgroup_size: 256
    .name:           _ZN7rocprim17ROCPRIM_400000_NS6detail17trampoline_kernelINS0_14default_configENS1_29reduce_by_key_config_selectorIN3c108BFloat16ElN6thrust23THRUST_200600_302600_NS4plusIlEEEEZZNS1_33reduce_by_key_impl_wrapped_configILNS1_25lookback_scan_determinismE0ES3_SB_PS6_NS8_17constant_iteratorIiNS8_11use_defaultESG_EENS8_10device_ptrIS6_EENSI_IlEEPmSA_NS8_8equal_toIS6_EEEE10hipError_tPvRmT2_T3_mT4_T5_T6_T7_T8_P12ihipStream_tbENKUlT_T0_E_clISt17integral_constantIbLb0EES15_EEDaS10_S11_EUlS10_E_NS1_11comp_targetILNS1_3genE0ELNS1_11target_archE4294967295ELNS1_3gpuE0ELNS1_3repE0EEENS1_30default_config_static_selectorELNS0_4arch9wavefront6targetE1EEEvT1_
    .private_segment_fixed_size: 0
    .sgpr_count:     4
    .sgpr_spill_count: 0
    .symbol:         _ZN7rocprim17ROCPRIM_400000_NS6detail17trampoline_kernelINS0_14default_configENS1_29reduce_by_key_config_selectorIN3c108BFloat16ElN6thrust23THRUST_200600_302600_NS4plusIlEEEEZZNS1_33reduce_by_key_impl_wrapped_configILNS1_25lookback_scan_determinismE0ES3_SB_PS6_NS8_17constant_iteratorIiNS8_11use_defaultESG_EENS8_10device_ptrIS6_EENSI_IlEEPmSA_NS8_8equal_toIS6_EEEE10hipError_tPvRmT2_T3_mT4_T5_T6_T7_T8_P12ihipStream_tbENKUlT_T0_E_clISt17integral_constantIbLb0EES15_EEDaS10_S11_EUlS10_E_NS1_11comp_targetILNS1_3genE0ELNS1_11target_archE4294967295ELNS1_3gpuE0ELNS1_3repE0EEENS1_30default_config_static_selectorELNS0_4arch9wavefront6targetE1EEEvT1_.kd
    .uniform_work_group_size: 1
    .uses_dynamic_stack: false
    .vgpr_count:     0
    .vgpr_spill_count: 0
    .wavefront_size: 64
  - .agpr_count:     0
    .args:
      - .offset:         0
        .size:           144
        .value_kind:     by_value
    .group_segment_fixed_size: 0
    .kernarg_segment_align: 8
    .kernarg_segment_size: 144
    .language:       OpenCL C
    .language_version:
      - 2
      - 0
    .max_flat_workgroup_size: 256
    .name:           _ZN7rocprim17ROCPRIM_400000_NS6detail17trampoline_kernelINS0_14default_configENS1_29reduce_by_key_config_selectorIN3c108BFloat16ElN6thrust23THRUST_200600_302600_NS4plusIlEEEEZZNS1_33reduce_by_key_impl_wrapped_configILNS1_25lookback_scan_determinismE0ES3_SB_PS6_NS8_17constant_iteratorIiNS8_11use_defaultESG_EENS8_10device_ptrIS6_EENSI_IlEEPmSA_NS8_8equal_toIS6_EEEE10hipError_tPvRmT2_T3_mT4_T5_T6_T7_T8_P12ihipStream_tbENKUlT_T0_E_clISt17integral_constantIbLb0EES15_EEDaS10_S11_EUlS10_E_NS1_11comp_targetILNS1_3genE5ELNS1_11target_archE942ELNS1_3gpuE9ELNS1_3repE0EEENS1_30default_config_static_selectorELNS0_4arch9wavefront6targetE1EEEvT1_
    .private_segment_fixed_size: 0
    .sgpr_count:     4
    .sgpr_spill_count: 0
    .symbol:         _ZN7rocprim17ROCPRIM_400000_NS6detail17trampoline_kernelINS0_14default_configENS1_29reduce_by_key_config_selectorIN3c108BFloat16ElN6thrust23THRUST_200600_302600_NS4plusIlEEEEZZNS1_33reduce_by_key_impl_wrapped_configILNS1_25lookback_scan_determinismE0ES3_SB_PS6_NS8_17constant_iteratorIiNS8_11use_defaultESG_EENS8_10device_ptrIS6_EENSI_IlEEPmSA_NS8_8equal_toIS6_EEEE10hipError_tPvRmT2_T3_mT4_T5_T6_T7_T8_P12ihipStream_tbENKUlT_T0_E_clISt17integral_constantIbLb0EES15_EEDaS10_S11_EUlS10_E_NS1_11comp_targetILNS1_3genE5ELNS1_11target_archE942ELNS1_3gpuE9ELNS1_3repE0EEENS1_30default_config_static_selectorELNS0_4arch9wavefront6targetE1EEEvT1_.kd
    .uniform_work_group_size: 1
    .uses_dynamic_stack: false
    .vgpr_count:     0
    .vgpr_spill_count: 0
    .wavefront_size: 64
  - .agpr_count:     0
    .args:
      - .offset:         0
        .size:           144
        .value_kind:     by_value
    .group_segment_fixed_size: 30720
    .kernarg_segment_align: 8
    .kernarg_segment_size: 144
    .language:       OpenCL C
    .language_version:
      - 2
      - 0
    .max_flat_workgroup_size: 256
    .name:           _ZN7rocprim17ROCPRIM_400000_NS6detail17trampoline_kernelINS0_14default_configENS1_29reduce_by_key_config_selectorIN3c108BFloat16ElN6thrust23THRUST_200600_302600_NS4plusIlEEEEZZNS1_33reduce_by_key_impl_wrapped_configILNS1_25lookback_scan_determinismE0ES3_SB_PS6_NS8_17constant_iteratorIiNS8_11use_defaultESG_EENS8_10device_ptrIS6_EENSI_IlEEPmSA_NS8_8equal_toIS6_EEEE10hipError_tPvRmT2_T3_mT4_T5_T6_T7_T8_P12ihipStream_tbENKUlT_T0_E_clISt17integral_constantIbLb0EES15_EEDaS10_S11_EUlS10_E_NS1_11comp_targetILNS1_3genE4ELNS1_11target_archE910ELNS1_3gpuE8ELNS1_3repE0EEENS1_30default_config_static_selectorELNS0_4arch9wavefront6targetE1EEEvT1_
    .private_segment_fixed_size: 0
    .sgpr_count:     66
    .sgpr_spill_count: 0
    .symbol:         _ZN7rocprim17ROCPRIM_400000_NS6detail17trampoline_kernelINS0_14default_configENS1_29reduce_by_key_config_selectorIN3c108BFloat16ElN6thrust23THRUST_200600_302600_NS4plusIlEEEEZZNS1_33reduce_by_key_impl_wrapped_configILNS1_25lookback_scan_determinismE0ES3_SB_PS6_NS8_17constant_iteratorIiNS8_11use_defaultESG_EENS8_10device_ptrIS6_EENSI_IlEEPmSA_NS8_8equal_toIS6_EEEE10hipError_tPvRmT2_T3_mT4_T5_T6_T7_T8_P12ihipStream_tbENKUlT_T0_E_clISt17integral_constantIbLb0EES15_EEDaS10_S11_EUlS10_E_NS1_11comp_targetILNS1_3genE4ELNS1_11target_archE910ELNS1_3gpuE8ELNS1_3repE0EEENS1_30default_config_static_selectorELNS0_4arch9wavefront6targetE1EEEvT1_.kd
    .uniform_work_group_size: 1
    .uses_dynamic_stack: false
    .vgpr_count:     127
    .vgpr_spill_count: 0
    .wavefront_size: 64
  - .agpr_count:     0
    .args:
      - .offset:         0
        .size:           144
        .value_kind:     by_value
    .group_segment_fixed_size: 0
    .kernarg_segment_align: 8
    .kernarg_segment_size: 144
    .language:       OpenCL C
    .language_version:
      - 2
      - 0
    .max_flat_workgroup_size: 256
    .name:           _ZN7rocprim17ROCPRIM_400000_NS6detail17trampoline_kernelINS0_14default_configENS1_29reduce_by_key_config_selectorIN3c108BFloat16ElN6thrust23THRUST_200600_302600_NS4plusIlEEEEZZNS1_33reduce_by_key_impl_wrapped_configILNS1_25lookback_scan_determinismE0ES3_SB_PS6_NS8_17constant_iteratorIiNS8_11use_defaultESG_EENS8_10device_ptrIS6_EENSI_IlEEPmSA_NS8_8equal_toIS6_EEEE10hipError_tPvRmT2_T3_mT4_T5_T6_T7_T8_P12ihipStream_tbENKUlT_T0_E_clISt17integral_constantIbLb0EES15_EEDaS10_S11_EUlS10_E_NS1_11comp_targetILNS1_3genE3ELNS1_11target_archE908ELNS1_3gpuE7ELNS1_3repE0EEENS1_30default_config_static_selectorELNS0_4arch9wavefront6targetE1EEEvT1_
    .private_segment_fixed_size: 0
    .sgpr_count:     4
    .sgpr_spill_count: 0
    .symbol:         _ZN7rocprim17ROCPRIM_400000_NS6detail17trampoline_kernelINS0_14default_configENS1_29reduce_by_key_config_selectorIN3c108BFloat16ElN6thrust23THRUST_200600_302600_NS4plusIlEEEEZZNS1_33reduce_by_key_impl_wrapped_configILNS1_25lookback_scan_determinismE0ES3_SB_PS6_NS8_17constant_iteratorIiNS8_11use_defaultESG_EENS8_10device_ptrIS6_EENSI_IlEEPmSA_NS8_8equal_toIS6_EEEE10hipError_tPvRmT2_T3_mT4_T5_T6_T7_T8_P12ihipStream_tbENKUlT_T0_E_clISt17integral_constantIbLb0EES15_EEDaS10_S11_EUlS10_E_NS1_11comp_targetILNS1_3genE3ELNS1_11target_archE908ELNS1_3gpuE7ELNS1_3repE0EEENS1_30default_config_static_selectorELNS0_4arch9wavefront6targetE1EEEvT1_.kd
    .uniform_work_group_size: 1
    .uses_dynamic_stack: false
    .vgpr_count:     0
    .vgpr_spill_count: 0
    .wavefront_size: 64
  - .agpr_count:     0
    .args:
      - .offset:         0
        .size:           144
        .value_kind:     by_value
    .group_segment_fixed_size: 0
    .kernarg_segment_align: 8
    .kernarg_segment_size: 144
    .language:       OpenCL C
    .language_version:
      - 2
      - 0
    .max_flat_workgroup_size: 256
    .name:           _ZN7rocprim17ROCPRIM_400000_NS6detail17trampoline_kernelINS0_14default_configENS1_29reduce_by_key_config_selectorIN3c108BFloat16ElN6thrust23THRUST_200600_302600_NS4plusIlEEEEZZNS1_33reduce_by_key_impl_wrapped_configILNS1_25lookback_scan_determinismE0ES3_SB_PS6_NS8_17constant_iteratorIiNS8_11use_defaultESG_EENS8_10device_ptrIS6_EENSI_IlEEPmSA_NS8_8equal_toIS6_EEEE10hipError_tPvRmT2_T3_mT4_T5_T6_T7_T8_P12ihipStream_tbENKUlT_T0_E_clISt17integral_constantIbLb0EES15_EEDaS10_S11_EUlS10_E_NS1_11comp_targetILNS1_3genE2ELNS1_11target_archE906ELNS1_3gpuE6ELNS1_3repE0EEENS1_30default_config_static_selectorELNS0_4arch9wavefront6targetE1EEEvT1_
    .private_segment_fixed_size: 0
    .sgpr_count:     4
    .sgpr_spill_count: 0
    .symbol:         _ZN7rocprim17ROCPRIM_400000_NS6detail17trampoline_kernelINS0_14default_configENS1_29reduce_by_key_config_selectorIN3c108BFloat16ElN6thrust23THRUST_200600_302600_NS4plusIlEEEEZZNS1_33reduce_by_key_impl_wrapped_configILNS1_25lookback_scan_determinismE0ES3_SB_PS6_NS8_17constant_iteratorIiNS8_11use_defaultESG_EENS8_10device_ptrIS6_EENSI_IlEEPmSA_NS8_8equal_toIS6_EEEE10hipError_tPvRmT2_T3_mT4_T5_T6_T7_T8_P12ihipStream_tbENKUlT_T0_E_clISt17integral_constantIbLb0EES15_EEDaS10_S11_EUlS10_E_NS1_11comp_targetILNS1_3genE2ELNS1_11target_archE906ELNS1_3gpuE6ELNS1_3repE0EEENS1_30default_config_static_selectorELNS0_4arch9wavefront6targetE1EEEvT1_.kd
    .uniform_work_group_size: 1
    .uses_dynamic_stack: false
    .vgpr_count:     0
    .vgpr_spill_count: 0
    .wavefront_size: 64
  - .agpr_count:     0
    .args:
      - .offset:         0
        .size:           144
        .value_kind:     by_value
    .group_segment_fixed_size: 0
    .kernarg_segment_align: 8
    .kernarg_segment_size: 144
    .language:       OpenCL C
    .language_version:
      - 2
      - 0
    .max_flat_workgroup_size: 256
    .name:           _ZN7rocprim17ROCPRIM_400000_NS6detail17trampoline_kernelINS0_14default_configENS1_29reduce_by_key_config_selectorIN3c108BFloat16ElN6thrust23THRUST_200600_302600_NS4plusIlEEEEZZNS1_33reduce_by_key_impl_wrapped_configILNS1_25lookback_scan_determinismE0ES3_SB_PS6_NS8_17constant_iteratorIiNS8_11use_defaultESG_EENS8_10device_ptrIS6_EENSI_IlEEPmSA_NS8_8equal_toIS6_EEEE10hipError_tPvRmT2_T3_mT4_T5_T6_T7_T8_P12ihipStream_tbENKUlT_T0_E_clISt17integral_constantIbLb0EES15_EEDaS10_S11_EUlS10_E_NS1_11comp_targetILNS1_3genE10ELNS1_11target_archE1201ELNS1_3gpuE5ELNS1_3repE0EEENS1_30default_config_static_selectorELNS0_4arch9wavefront6targetE1EEEvT1_
    .private_segment_fixed_size: 0
    .sgpr_count:     4
    .sgpr_spill_count: 0
    .symbol:         _ZN7rocprim17ROCPRIM_400000_NS6detail17trampoline_kernelINS0_14default_configENS1_29reduce_by_key_config_selectorIN3c108BFloat16ElN6thrust23THRUST_200600_302600_NS4plusIlEEEEZZNS1_33reduce_by_key_impl_wrapped_configILNS1_25lookback_scan_determinismE0ES3_SB_PS6_NS8_17constant_iteratorIiNS8_11use_defaultESG_EENS8_10device_ptrIS6_EENSI_IlEEPmSA_NS8_8equal_toIS6_EEEE10hipError_tPvRmT2_T3_mT4_T5_T6_T7_T8_P12ihipStream_tbENKUlT_T0_E_clISt17integral_constantIbLb0EES15_EEDaS10_S11_EUlS10_E_NS1_11comp_targetILNS1_3genE10ELNS1_11target_archE1201ELNS1_3gpuE5ELNS1_3repE0EEENS1_30default_config_static_selectorELNS0_4arch9wavefront6targetE1EEEvT1_.kd
    .uniform_work_group_size: 1
    .uses_dynamic_stack: false
    .vgpr_count:     0
    .vgpr_spill_count: 0
    .wavefront_size: 64
  - .agpr_count:     0
    .args:
      - .offset:         0
        .size:           144
        .value_kind:     by_value
    .group_segment_fixed_size: 0
    .kernarg_segment_align: 8
    .kernarg_segment_size: 144
    .language:       OpenCL C
    .language_version:
      - 2
      - 0
    .max_flat_workgroup_size: 256
    .name:           _ZN7rocprim17ROCPRIM_400000_NS6detail17trampoline_kernelINS0_14default_configENS1_29reduce_by_key_config_selectorIN3c108BFloat16ElN6thrust23THRUST_200600_302600_NS4plusIlEEEEZZNS1_33reduce_by_key_impl_wrapped_configILNS1_25lookback_scan_determinismE0ES3_SB_PS6_NS8_17constant_iteratorIiNS8_11use_defaultESG_EENS8_10device_ptrIS6_EENSI_IlEEPmSA_NS8_8equal_toIS6_EEEE10hipError_tPvRmT2_T3_mT4_T5_T6_T7_T8_P12ihipStream_tbENKUlT_T0_E_clISt17integral_constantIbLb0EES15_EEDaS10_S11_EUlS10_E_NS1_11comp_targetILNS1_3genE10ELNS1_11target_archE1200ELNS1_3gpuE4ELNS1_3repE0EEENS1_30default_config_static_selectorELNS0_4arch9wavefront6targetE1EEEvT1_
    .private_segment_fixed_size: 0
    .sgpr_count:     4
    .sgpr_spill_count: 0
    .symbol:         _ZN7rocprim17ROCPRIM_400000_NS6detail17trampoline_kernelINS0_14default_configENS1_29reduce_by_key_config_selectorIN3c108BFloat16ElN6thrust23THRUST_200600_302600_NS4plusIlEEEEZZNS1_33reduce_by_key_impl_wrapped_configILNS1_25lookback_scan_determinismE0ES3_SB_PS6_NS8_17constant_iteratorIiNS8_11use_defaultESG_EENS8_10device_ptrIS6_EENSI_IlEEPmSA_NS8_8equal_toIS6_EEEE10hipError_tPvRmT2_T3_mT4_T5_T6_T7_T8_P12ihipStream_tbENKUlT_T0_E_clISt17integral_constantIbLb0EES15_EEDaS10_S11_EUlS10_E_NS1_11comp_targetILNS1_3genE10ELNS1_11target_archE1200ELNS1_3gpuE4ELNS1_3repE0EEENS1_30default_config_static_selectorELNS0_4arch9wavefront6targetE1EEEvT1_.kd
    .uniform_work_group_size: 1
    .uses_dynamic_stack: false
    .vgpr_count:     0
    .vgpr_spill_count: 0
    .wavefront_size: 64
  - .agpr_count:     0
    .args:
      - .offset:         0
        .size:           144
        .value_kind:     by_value
    .group_segment_fixed_size: 0
    .kernarg_segment_align: 8
    .kernarg_segment_size: 144
    .language:       OpenCL C
    .language_version:
      - 2
      - 0
    .max_flat_workgroup_size: 256
    .name:           _ZN7rocprim17ROCPRIM_400000_NS6detail17trampoline_kernelINS0_14default_configENS1_29reduce_by_key_config_selectorIN3c108BFloat16ElN6thrust23THRUST_200600_302600_NS4plusIlEEEEZZNS1_33reduce_by_key_impl_wrapped_configILNS1_25lookback_scan_determinismE0ES3_SB_PS6_NS8_17constant_iteratorIiNS8_11use_defaultESG_EENS8_10device_ptrIS6_EENSI_IlEEPmSA_NS8_8equal_toIS6_EEEE10hipError_tPvRmT2_T3_mT4_T5_T6_T7_T8_P12ihipStream_tbENKUlT_T0_E_clISt17integral_constantIbLb0EES15_EEDaS10_S11_EUlS10_E_NS1_11comp_targetILNS1_3genE9ELNS1_11target_archE1100ELNS1_3gpuE3ELNS1_3repE0EEENS1_30default_config_static_selectorELNS0_4arch9wavefront6targetE1EEEvT1_
    .private_segment_fixed_size: 0
    .sgpr_count:     4
    .sgpr_spill_count: 0
    .symbol:         _ZN7rocprim17ROCPRIM_400000_NS6detail17trampoline_kernelINS0_14default_configENS1_29reduce_by_key_config_selectorIN3c108BFloat16ElN6thrust23THRUST_200600_302600_NS4plusIlEEEEZZNS1_33reduce_by_key_impl_wrapped_configILNS1_25lookback_scan_determinismE0ES3_SB_PS6_NS8_17constant_iteratorIiNS8_11use_defaultESG_EENS8_10device_ptrIS6_EENSI_IlEEPmSA_NS8_8equal_toIS6_EEEE10hipError_tPvRmT2_T3_mT4_T5_T6_T7_T8_P12ihipStream_tbENKUlT_T0_E_clISt17integral_constantIbLb0EES15_EEDaS10_S11_EUlS10_E_NS1_11comp_targetILNS1_3genE9ELNS1_11target_archE1100ELNS1_3gpuE3ELNS1_3repE0EEENS1_30default_config_static_selectorELNS0_4arch9wavefront6targetE1EEEvT1_.kd
    .uniform_work_group_size: 1
    .uses_dynamic_stack: false
    .vgpr_count:     0
    .vgpr_spill_count: 0
    .wavefront_size: 64
  - .agpr_count:     0
    .args:
      - .offset:         0
        .size:           144
        .value_kind:     by_value
    .group_segment_fixed_size: 0
    .kernarg_segment_align: 8
    .kernarg_segment_size: 144
    .language:       OpenCL C
    .language_version:
      - 2
      - 0
    .max_flat_workgroup_size: 256
    .name:           _ZN7rocprim17ROCPRIM_400000_NS6detail17trampoline_kernelINS0_14default_configENS1_29reduce_by_key_config_selectorIN3c108BFloat16ElN6thrust23THRUST_200600_302600_NS4plusIlEEEEZZNS1_33reduce_by_key_impl_wrapped_configILNS1_25lookback_scan_determinismE0ES3_SB_PS6_NS8_17constant_iteratorIiNS8_11use_defaultESG_EENS8_10device_ptrIS6_EENSI_IlEEPmSA_NS8_8equal_toIS6_EEEE10hipError_tPvRmT2_T3_mT4_T5_T6_T7_T8_P12ihipStream_tbENKUlT_T0_E_clISt17integral_constantIbLb0EES15_EEDaS10_S11_EUlS10_E_NS1_11comp_targetILNS1_3genE8ELNS1_11target_archE1030ELNS1_3gpuE2ELNS1_3repE0EEENS1_30default_config_static_selectorELNS0_4arch9wavefront6targetE1EEEvT1_
    .private_segment_fixed_size: 0
    .sgpr_count:     4
    .sgpr_spill_count: 0
    .symbol:         _ZN7rocprim17ROCPRIM_400000_NS6detail17trampoline_kernelINS0_14default_configENS1_29reduce_by_key_config_selectorIN3c108BFloat16ElN6thrust23THRUST_200600_302600_NS4plusIlEEEEZZNS1_33reduce_by_key_impl_wrapped_configILNS1_25lookback_scan_determinismE0ES3_SB_PS6_NS8_17constant_iteratorIiNS8_11use_defaultESG_EENS8_10device_ptrIS6_EENSI_IlEEPmSA_NS8_8equal_toIS6_EEEE10hipError_tPvRmT2_T3_mT4_T5_T6_T7_T8_P12ihipStream_tbENKUlT_T0_E_clISt17integral_constantIbLb0EES15_EEDaS10_S11_EUlS10_E_NS1_11comp_targetILNS1_3genE8ELNS1_11target_archE1030ELNS1_3gpuE2ELNS1_3repE0EEENS1_30default_config_static_selectorELNS0_4arch9wavefront6targetE1EEEvT1_.kd
    .uniform_work_group_size: 1
    .uses_dynamic_stack: false
    .vgpr_count:     0
    .vgpr_spill_count: 0
    .wavefront_size: 64
  - .agpr_count:     0
    .args:
      - .offset:         0
        .size:           144
        .value_kind:     by_value
    .group_segment_fixed_size: 0
    .kernarg_segment_align: 8
    .kernarg_segment_size: 144
    .language:       OpenCL C
    .language_version:
      - 2
      - 0
    .max_flat_workgroup_size: 256
    .name:           _ZN7rocprim17ROCPRIM_400000_NS6detail17trampoline_kernelINS0_14default_configENS1_29reduce_by_key_config_selectorIN3c108BFloat16ElN6thrust23THRUST_200600_302600_NS4plusIlEEEEZZNS1_33reduce_by_key_impl_wrapped_configILNS1_25lookback_scan_determinismE0ES3_SB_PS6_NS8_17constant_iteratorIiNS8_11use_defaultESG_EENS8_10device_ptrIS6_EENSI_IlEEPmSA_NS8_8equal_toIS6_EEEE10hipError_tPvRmT2_T3_mT4_T5_T6_T7_T8_P12ihipStream_tbENKUlT_T0_E_clISt17integral_constantIbLb1EES15_EEDaS10_S11_EUlS10_E_NS1_11comp_targetILNS1_3genE0ELNS1_11target_archE4294967295ELNS1_3gpuE0ELNS1_3repE0EEENS1_30default_config_static_selectorELNS0_4arch9wavefront6targetE1EEEvT1_
    .private_segment_fixed_size: 0
    .sgpr_count:     4
    .sgpr_spill_count: 0
    .symbol:         _ZN7rocprim17ROCPRIM_400000_NS6detail17trampoline_kernelINS0_14default_configENS1_29reduce_by_key_config_selectorIN3c108BFloat16ElN6thrust23THRUST_200600_302600_NS4plusIlEEEEZZNS1_33reduce_by_key_impl_wrapped_configILNS1_25lookback_scan_determinismE0ES3_SB_PS6_NS8_17constant_iteratorIiNS8_11use_defaultESG_EENS8_10device_ptrIS6_EENSI_IlEEPmSA_NS8_8equal_toIS6_EEEE10hipError_tPvRmT2_T3_mT4_T5_T6_T7_T8_P12ihipStream_tbENKUlT_T0_E_clISt17integral_constantIbLb1EES15_EEDaS10_S11_EUlS10_E_NS1_11comp_targetILNS1_3genE0ELNS1_11target_archE4294967295ELNS1_3gpuE0ELNS1_3repE0EEENS1_30default_config_static_selectorELNS0_4arch9wavefront6targetE1EEEvT1_.kd
    .uniform_work_group_size: 1
    .uses_dynamic_stack: false
    .vgpr_count:     0
    .vgpr_spill_count: 0
    .wavefront_size: 64
  - .agpr_count:     0
    .args:
      - .offset:         0
        .size:           144
        .value_kind:     by_value
    .group_segment_fixed_size: 0
    .kernarg_segment_align: 8
    .kernarg_segment_size: 144
    .language:       OpenCL C
    .language_version:
      - 2
      - 0
    .max_flat_workgroup_size: 256
    .name:           _ZN7rocprim17ROCPRIM_400000_NS6detail17trampoline_kernelINS0_14default_configENS1_29reduce_by_key_config_selectorIN3c108BFloat16ElN6thrust23THRUST_200600_302600_NS4plusIlEEEEZZNS1_33reduce_by_key_impl_wrapped_configILNS1_25lookback_scan_determinismE0ES3_SB_PS6_NS8_17constant_iteratorIiNS8_11use_defaultESG_EENS8_10device_ptrIS6_EENSI_IlEEPmSA_NS8_8equal_toIS6_EEEE10hipError_tPvRmT2_T3_mT4_T5_T6_T7_T8_P12ihipStream_tbENKUlT_T0_E_clISt17integral_constantIbLb1EES15_EEDaS10_S11_EUlS10_E_NS1_11comp_targetILNS1_3genE5ELNS1_11target_archE942ELNS1_3gpuE9ELNS1_3repE0EEENS1_30default_config_static_selectorELNS0_4arch9wavefront6targetE1EEEvT1_
    .private_segment_fixed_size: 0
    .sgpr_count:     4
    .sgpr_spill_count: 0
    .symbol:         _ZN7rocprim17ROCPRIM_400000_NS6detail17trampoline_kernelINS0_14default_configENS1_29reduce_by_key_config_selectorIN3c108BFloat16ElN6thrust23THRUST_200600_302600_NS4plusIlEEEEZZNS1_33reduce_by_key_impl_wrapped_configILNS1_25lookback_scan_determinismE0ES3_SB_PS6_NS8_17constant_iteratorIiNS8_11use_defaultESG_EENS8_10device_ptrIS6_EENSI_IlEEPmSA_NS8_8equal_toIS6_EEEE10hipError_tPvRmT2_T3_mT4_T5_T6_T7_T8_P12ihipStream_tbENKUlT_T0_E_clISt17integral_constantIbLb1EES15_EEDaS10_S11_EUlS10_E_NS1_11comp_targetILNS1_3genE5ELNS1_11target_archE942ELNS1_3gpuE9ELNS1_3repE0EEENS1_30default_config_static_selectorELNS0_4arch9wavefront6targetE1EEEvT1_.kd
    .uniform_work_group_size: 1
    .uses_dynamic_stack: false
    .vgpr_count:     0
    .vgpr_spill_count: 0
    .wavefront_size: 64
  - .agpr_count:     0
    .args:
      - .offset:         0
        .size:           144
        .value_kind:     by_value
    .group_segment_fixed_size: 30720
    .kernarg_segment_align: 8
    .kernarg_segment_size: 144
    .language:       OpenCL C
    .language_version:
      - 2
      - 0
    .max_flat_workgroup_size: 256
    .name:           _ZN7rocprim17ROCPRIM_400000_NS6detail17trampoline_kernelINS0_14default_configENS1_29reduce_by_key_config_selectorIN3c108BFloat16ElN6thrust23THRUST_200600_302600_NS4plusIlEEEEZZNS1_33reduce_by_key_impl_wrapped_configILNS1_25lookback_scan_determinismE0ES3_SB_PS6_NS8_17constant_iteratorIiNS8_11use_defaultESG_EENS8_10device_ptrIS6_EENSI_IlEEPmSA_NS8_8equal_toIS6_EEEE10hipError_tPvRmT2_T3_mT4_T5_T6_T7_T8_P12ihipStream_tbENKUlT_T0_E_clISt17integral_constantIbLb1EES15_EEDaS10_S11_EUlS10_E_NS1_11comp_targetILNS1_3genE4ELNS1_11target_archE910ELNS1_3gpuE8ELNS1_3repE0EEENS1_30default_config_static_selectorELNS0_4arch9wavefront6targetE1EEEvT1_
    .private_segment_fixed_size: 0
    .sgpr_count:     69
    .sgpr_spill_count: 0
    .symbol:         _ZN7rocprim17ROCPRIM_400000_NS6detail17trampoline_kernelINS0_14default_configENS1_29reduce_by_key_config_selectorIN3c108BFloat16ElN6thrust23THRUST_200600_302600_NS4plusIlEEEEZZNS1_33reduce_by_key_impl_wrapped_configILNS1_25lookback_scan_determinismE0ES3_SB_PS6_NS8_17constant_iteratorIiNS8_11use_defaultESG_EENS8_10device_ptrIS6_EENSI_IlEEPmSA_NS8_8equal_toIS6_EEEE10hipError_tPvRmT2_T3_mT4_T5_T6_T7_T8_P12ihipStream_tbENKUlT_T0_E_clISt17integral_constantIbLb1EES15_EEDaS10_S11_EUlS10_E_NS1_11comp_targetILNS1_3genE4ELNS1_11target_archE910ELNS1_3gpuE8ELNS1_3repE0EEENS1_30default_config_static_selectorELNS0_4arch9wavefront6targetE1EEEvT1_.kd
    .uniform_work_group_size: 1
    .uses_dynamic_stack: false
    .vgpr_count:     127
    .vgpr_spill_count: 0
    .wavefront_size: 64
  - .agpr_count:     0
    .args:
      - .offset:         0
        .size:           144
        .value_kind:     by_value
    .group_segment_fixed_size: 0
    .kernarg_segment_align: 8
    .kernarg_segment_size: 144
    .language:       OpenCL C
    .language_version:
      - 2
      - 0
    .max_flat_workgroup_size: 256
    .name:           _ZN7rocprim17ROCPRIM_400000_NS6detail17trampoline_kernelINS0_14default_configENS1_29reduce_by_key_config_selectorIN3c108BFloat16ElN6thrust23THRUST_200600_302600_NS4plusIlEEEEZZNS1_33reduce_by_key_impl_wrapped_configILNS1_25lookback_scan_determinismE0ES3_SB_PS6_NS8_17constant_iteratorIiNS8_11use_defaultESG_EENS8_10device_ptrIS6_EENSI_IlEEPmSA_NS8_8equal_toIS6_EEEE10hipError_tPvRmT2_T3_mT4_T5_T6_T7_T8_P12ihipStream_tbENKUlT_T0_E_clISt17integral_constantIbLb1EES15_EEDaS10_S11_EUlS10_E_NS1_11comp_targetILNS1_3genE3ELNS1_11target_archE908ELNS1_3gpuE7ELNS1_3repE0EEENS1_30default_config_static_selectorELNS0_4arch9wavefront6targetE1EEEvT1_
    .private_segment_fixed_size: 0
    .sgpr_count:     4
    .sgpr_spill_count: 0
    .symbol:         _ZN7rocprim17ROCPRIM_400000_NS6detail17trampoline_kernelINS0_14default_configENS1_29reduce_by_key_config_selectorIN3c108BFloat16ElN6thrust23THRUST_200600_302600_NS4plusIlEEEEZZNS1_33reduce_by_key_impl_wrapped_configILNS1_25lookback_scan_determinismE0ES3_SB_PS6_NS8_17constant_iteratorIiNS8_11use_defaultESG_EENS8_10device_ptrIS6_EENSI_IlEEPmSA_NS8_8equal_toIS6_EEEE10hipError_tPvRmT2_T3_mT4_T5_T6_T7_T8_P12ihipStream_tbENKUlT_T0_E_clISt17integral_constantIbLb1EES15_EEDaS10_S11_EUlS10_E_NS1_11comp_targetILNS1_3genE3ELNS1_11target_archE908ELNS1_3gpuE7ELNS1_3repE0EEENS1_30default_config_static_selectorELNS0_4arch9wavefront6targetE1EEEvT1_.kd
    .uniform_work_group_size: 1
    .uses_dynamic_stack: false
    .vgpr_count:     0
    .vgpr_spill_count: 0
    .wavefront_size: 64
  - .agpr_count:     0
    .args:
      - .offset:         0
        .size:           144
        .value_kind:     by_value
    .group_segment_fixed_size: 0
    .kernarg_segment_align: 8
    .kernarg_segment_size: 144
    .language:       OpenCL C
    .language_version:
      - 2
      - 0
    .max_flat_workgroup_size: 256
    .name:           _ZN7rocprim17ROCPRIM_400000_NS6detail17trampoline_kernelINS0_14default_configENS1_29reduce_by_key_config_selectorIN3c108BFloat16ElN6thrust23THRUST_200600_302600_NS4plusIlEEEEZZNS1_33reduce_by_key_impl_wrapped_configILNS1_25lookback_scan_determinismE0ES3_SB_PS6_NS8_17constant_iteratorIiNS8_11use_defaultESG_EENS8_10device_ptrIS6_EENSI_IlEEPmSA_NS8_8equal_toIS6_EEEE10hipError_tPvRmT2_T3_mT4_T5_T6_T7_T8_P12ihipStream_tbENKUlT_T0_E_clISt17integral_constantIbLb1EES15_EEDaS10_S11_EUlS10_E_NS1_11comp_targetILNS1_3genE2ELNS1_11target_archE906ELNS1_3gpuE6ELNS1_3repE0EEENS1_30default_config_static_selectorELNS0_4arch9wavefront6targetE1EEEvT1_
    .private_segment_fixed_size: 0
    .sgpr_count:     4
    .sgpr_spill_count: 0
    .symbol:         _ZN7rocprim17ROCPRIM_400000_NS6detail17trampoline_kernelINS0_14default_configENS1_29reduce_by_key_config_selectorIN3c108BFloat16ElN6thrust23THRUST_200600_302600_NS4plusIlEEEEZZNS1_33reduce_by_key_impl_wrapped_configILNS1_25lookback_scan_determinismE0ES3_SB_PS6_NS8_17constant_iteratorIiNS8_11use_defaultESG_EENS8_10device_ptrIS6_EENSI_IlEEPmSA_NS8_8equal_toIS6_EEEE10hipError_tPvRmT2_T3_mT4_T5_T6_T7_T8_P12ihipStream_tbENKUlT_T0_E_clISt17integral_constantIbLb1EES15_EEDaS10_S11_EUlS10_E_NS1_11comp_targetILNS1_3genE2ELNS1_11target_archE906ELNS1_3gpuE6ELNS1_3repE0EEENS1_30default_config_static_selectorELNS0_4arch9wavefront6targetE1EEEvT1_.kd
    .uniform_work_group_size: 1
    .uses_dynamic_stack: false
    .vgpr_count:     0
    .vgpr_spill_count: 0
    .wavefront_size: 64
  - .agpr_count:     0
    .args:
      - .offset:         0
        .size:           144
        .value_kind:     by_value
    .group_segment_fixed_size: 0
    .kernarg_segment_align: 8
    .kernarg_segment_size: 144
    .language:       OpenCL C
    .language_version:
      - 2
      - 0
    .max_flat_workgroup_size: 256
    .name:           _ZN7rocprim17ROCPRIM_400000_NS6detail17trampoline_kernelINS0_14default_configENS1_29reduce_by_key_config_selectorIN3c108BFloat16ElN6thrust23THRUST_200600_302600_NS4plusIlEEEEZZNS1_33reduce_by_key_impl_wrapped_configILNS1_25lookback_scan_determinismE0ES3_SB_PS6_NS8_17constant_iteratorIiNS8_11use_defaultESG_EENS8_10device_ptrIS6_EENSI_IlEEPmSA_NS8_8equal_toIS6_EEEE10hipError_tPvRmT2_T3_mT4_T5_T6_T7_T8_P12ihipStream_tbENKUlT_T0_E_clISt17integral_constantIbLb1EES15_EEDaS10_S11_EUlS10_E_NS1_11comp_targetILNS1_3genE10ELNS1_11target_archE1201ELNS1_3gpuE5ELNS1_3repE0EEENS1_30default_config_static_selectorELNS0_4arch9wavefront6targetE1EEEvT1_
    .private_segment_fixed_size: 0
    .sgpr_count:     4
    .sgpr_spill_count: 0
    .symbol:         _ZN7rocprim17ROCPRIM_400000_NS6detail17trampoline_kernelINS0_14default_configENS1_29reduce_by_key_config_selectorIN3c108BFloat16ElN6thrust23THRUST_200600_302600_NS4plusIlEEEEZZNS1_33reduce_by_key_impl_wrapped_configILNS1_25lookback_scan_determinismE0ES3_SB_PS6_NS8_17constant_iteratorIiNS8_11use_defaultESG_EENS8_10device_ptrIS6_EENSI_IlEEPmSA_NS8_8equal_toIS6_EEEE10hipError_tPvRmT2_T3_mT4_T5_T6_T7_T8_P12ihipStream_tbENKUlT_T0_E_clISt17integral_constantIbLb1EES15_EEDaS10_S11_EUlS10_E_NS1_11comp_targetILNS1_3genE10ELNS1_11target_archE1201ELNS1_3gpuE5ELNS1_3repE0EEENS1_30default_config_static_selectorELNS0_4arch9wavefront6targetE1EEEvT1_.kd
    .uniform_work_group_size: 1
    .uses_dynamic_stack: false
    .vgpr_count:     0
    .vgpr_spill_count: 0
    .wavefront_size: 64
  - .agpr_count:     0
    .args:
      - .offset:         0
        .size:           144
        .value_kind:     by_value
    .group_segment_fixed_size: 0
    .kernarg_segment_align: 8
    .kernarg_segment_size: 144
    .language:       OpenCL C
    .language_version:
      - 2
      - 0
    .max_flat_workgroup_size: 256
    .name:           _ZN7rocprim17ROCPRIM_400000_NS6detail17trampoline_kernelINS0_14default_configENS1_29reduce_by_key_config_selectorIN3c108BFloat16ElN6thrust23THRUST_200600_302600_NS4plusIlEEEEZZNS1_33reduce_by_key_impl_wrapped_configILNS1_25lookback_scan_determinismE0ES3_SB_PS6_NS8_17constant_iteratorIiNS8_11use_defaultESG_EENS8_10device_ptrIS6_EENSI_IlEEPmSA_NS8_8equal_toIS6_EEEE10hipError_tPvRmT2_T3_mT4_T5_T6_T7_T8_P12ihipStream_tbENKUlT_T0_E_clISt17integral_constantIbLb1EES15_EEDaS10_S11_EUlS10_E_NS1_11comp_targetILNS1_3genE10ELNS1_11target_archE1200ELNS1_3gpuE4ELNS1_3repE0EEENS1_30default_config_static_selectorELNS0_4arch9wavefront6targetE1EEEvT1_
    .private_segment_fixed_size: 0
    .sgpr_count:     4
    .sgpr_spill_count: 0
    .symbol:         _ZN7rocprim17ROCPRIM_400000_NS6detail17trampoline_kernelINS0_14default_configENS1_29reduce_by_key_config_selectorIN3c108BFloat16ElN6thrust23THRUST_200600_302600_NS4plusIlEEEEZZNS1_33reduce_by_key_impl_wrapped_configILNS1_25lookback_scan_determinismE0ES3_SB_PS6_NS8_17constant_iteratorIiNS8_11use_defaultESG_EENS8_10device_ptrIS6_EENSI_IlEEPmSA_NS8_8equal_toIS6_EEEE10hipError_tPvRmT2_T3_mT4_T5_T6_T7_T8_P12ihipStream_tbENKUlT_T0_E_clISt17integral_constantIbLb1EES15_EEDaS10_S11_EUlS10_E_NS1_11comp_targetILNS1_3genE10ELNS1_11target_archE1200ELNS1_3gpuE4ELNS1_3repE0EEENS1_30default_config_static_selectorELNS0_4arch9wavefront6targetE1EEEvT1_.kd
    .uniform_work_group_size: 1
    .uses_dynamic_stack: false
    .vgpr_count:     0
    .vgpr_spill_count: 0
    .wavefront_size: 64
  - .agpr_count:     0
    .args:
      - .offset:         0
        .size:           144
        .value_kind:     by_value
    .group_segment_fixed_size: 0
    .kernarg_segment_align: 8
    .kernarg_segment_size: 144
    .language:       OpenCL C
    .language_version:
      - 2
      - 0
    .max_flat_workgroup_size: 256
    .name:           _ZN7rocprim17ROCPRIM_400000_NS6detail17trampoline_kernelINS0_14default_configENS1_29reduce_by_key_config_selectorIN3c108BFloat16ElN6thrust23THRUST_200600_302600_NS4plusIlEEEEZZNS1_33reduce_by_key_impl_wrapped_configILNS1_25lookback_scan_determinismE0ES3_SB_PS6_NS8_17constant_iteratorIiNS8_11use_defaultESG_EENS8_10device_ptrIS6_EENSI_IlEEPmSA_NS8_8equal_toIS6_EEEE10hipError_tPvRmT2_T3_mT4_T5_T6_T7_T8_P12ihipStream_tbENKUlT_T0_E_clISt17integral_constantIbLb1EES15_EEDaS10_S11_EUlS10_E_NS1_11comp_targetILNS1_3genE9ELNS1_11target_archE1100ELNS1_3gpuE3ELNS1_3repE0EEENS1_30default_config_static_selectorELNS0_4arch9wavefront6targetE1EEEvT1_
    .private_segment_fixed_size: 0
    .sgpr_count:     4
    .sgpr_spill_count: 0
    .symbol:         _ZN7rocprim17ROCPRIM_400000_NS6detail17trampoline_kernelINS0_14default_configENS1_29reduce_by_key_config_selectorIN3c108BFloat16ElN6thrust23THRUST_200600_302600_NS4plusIlEEEEZZNS1_33reduce_by_key_impl_wrapped_configILNS1_25lookback_scan_determinismE0ES3_SB_PS6_NS8_17constant_iteratorIiNS8_11use_defaultESG_EENS8_10device_ptrIS6_EENSI_IlEEPmSA_NS8_8equal_toIS6_EEEE10hipError_tPvRmT2_T3_mT4_T5_T6_T7_T8_P12ihipStream_tbENKUlT_T0_E_clISt17integral_constantIbLb1EES15_EEDaS10_S11_EUlS10_E_NS1_11comp_targetILNS1_3genE9ELNS1_11target_archE1100ELNS1_3gpuE3ELNS1_3repE0EEENS1_30default_config_static_selectorELNS0_4arch9wavefront6targetE1EEEvT1_.kd
    .uniform_work_group_size: 1
    .uses_dynamic_stack: false
    .vgpr_count:     0
    .vgpr_spill_count: 0
    .wavefront_size: 64
  - .agpr_count:     0
    .args:
      - .offset:         0
        .size:           144
        .value_kind:     by_value
    .group_segment_fixed_size: 0
    .kernarg_segment_align: 8
    .kernarg_segment_size: 144
    .language:       OpenCL C
    .language_version:
      - 2
      - 0
    .max_flat_workgroup_size: 256
    .name:           _ZN7rocprim17ROCPRIM_400000_NS6detail17trampoline_kernelINS0_14default_configENS1_29reduce_by_key_config_selectorIN3c108BFloat16ElN6thrust23THRUST_200600_302600_NS4plusIlEEEEZZNS1_33reduce_by_key_impl_wrapped_configILNS1_25lookback_scan_determinismE0ES3_SB_PS6_NS8_17constant_iteratorIiNS8_11use_defaultESG_EENS8_10device_ptrIS6_EENSI_IlEEPmSA_NS8_8equal_toIS6_EEEE10hipError_tPvRmT2_T3_mT4_T5_T6_T7_T8_P12ihipStream_tbENKUlT_T0_E_clISt17integral_constantIbLb1EES15_EEDaS10_S11_EUlS10_E_NS1_11comp_targetILNS1_3genE8ELNS1_11target_archE1030ELNS1_3gpuE2ELNS1_3repE0EEENS1_30default_config_static_selectorELNS0_4arch9wavefront6targetE1EEEvT1_
    .private_segment_fixed_size: 0
    .sgpr_count:     4
    .sgpr_spill_count: 0
    .symbol:         _ZN7rocprim17ROCPRIM_400000_NS6detail17trampoline_kernelINS0_14default_configENS1_29reduce_by_key_config_selectorIN3c108BFloat16ElN6thrust23THRUST_200600_302600_NS4plusIlEEEEZZNS1_33reduce_by_key_impl_wrapped_configILNS1_25lookback_scan_determinismE0ES3_SB_PS6_NS8_17constant_iteratorIiNS8_11use_defaultESG_EENS8_10device_ptrIS6_EENSI_IlEEPmSA_NS8_8equal_toIS6_EEEE10hipError_tPvRmT2_T3_mT4_T5_T6_T7_T8_P12ihipStream_tbENKUlT_T0_E_clISt17integral_constantIbLb1EES15_EEDaS10_S11_EUlS10_E_NS1_11comp_targetILNS1_3genE8ELNS1_11target_archE1030ELNS1_3gpuE2ELNS1_3repE0EEENS1_30default_config_static_selectorELNS0_4arch9wavefront6targetE1EEEvT1_.kd
    .uniform_work_group_size: 1
    .uses_dynamic_stack: false
    .vgpr_count:     0
    .vgpr_spill_count: 0
    .wavefront_size: 64
  - .agpr_count:     0
    .args:
      - .offset:         0
        .size:           144
        .value_kind:     by_value
    .group_segment_fixed_size: 0
    .kernarg_segment_align: 8
    .kernarg_segment_size: 144
    .language:       OpenCL C
    .language_version:
      - 2
      - 0
    .max_flat_workgroup_size: 256
    .name:           _ZN7rocprim17ROCPRIM_400000_NS6detail17trampoline_kernelINS0_14default_configENS1_29reduce_by_key_config_selectorIN3c108BFloat16ElN6thrust23THRUST_200600_302600_NS4plusIlEEEEZZNS1_33reduce_by_key_impl_wrapped_configILNS1_25lookback_scan_determinismE0ES3_SB_PS6_NS8_17constant_iteratorIiNS8_11use_defaultESG_EENS8_10device_ptrIS6_EENSI_IlEEPmSA_NS8_8equal_toIS6_EEEE10hipError_tPvRmT2_T3_mT4_T5_T6_T7_T8_P12ihipStream_tbENKUlT_T0_E_clISt17integral_constantIbLb1EES14_IbLb0EEEEDaS10_S11_EUlS10_E_NS1_11comp_targetILNS1_3genE0ELNS1_11target_archE4294967295ELNS1_3gpuE0ELNS1_3repE0EEENS1_30default_config_static_selectorELNS0_4arch9wavefront6targetE1EEEvT1_
    .private_segment_fixed_size: 0
    .sgpr_count:     4
    .sgpr_spill_count: 0
    .symbol:         _ZN7rocprim17ROCPRIM_400000_NS6detail17trampoline_kernelINS0_14default_configENS1_29reduce_by_key_config_selectorIN3c108BFloat16ElN6thrust23THRUST_200600_302600_NS4plusIlEEEEZZNS1_33reduce_by_key_impl_wrapped_configILNS1_25lookback_scan_determinismE0ES3_SB_PS6_NS8_17constant_iteratorIiNS8_11use_defaultESG_EENS8_10device_ptrIS6_EENSI_IlEEPmSA_NS8_8equal_toIS6_EEEE10hipError_tPvRmT2_T3_mT4_T5_T6_T7_T8_P12ihipStream_tbENKUlT_T0_E_clISt17integral_constantIbLb1EES14_IbLb0EEEEDaS10_S11_EUlS10_E_NS1_11comp_targetILNS1_3genE0ELNS1_11target_archE4294967295ELNS1_3gpuE0ELNS1_3repE0EEENS1_30default_config_static_selectorELNS0_4arch9wavefront6targetE1EEEvT1_.kd
    .uniform_work_group_size: 1
    .uses_dynamic_stack: false
    .vgpr_count:     0
    .vgpr_spill_count: 0
    .wavefront_size: 64
  - .agpr_count:     0
    .args:
      - .offset:         0
        .size:           144
        .value_kind:     by_value
    .group_segment_fixed_size: 0
    .kernarg_segment_align: 8
    .kernarg_segment_size: 144
    .language:       OpenCL C
    .language_version:
      - 2
      - 0
    .max_flat_workgroup_size: 256
    .name:           _ZN7rocprim17ROCPRIM_400000_NS6detail17trampoline_kernelINS0_14default_configENS1_29reduce_by_key_config_selectorIN3c108BFloat16ElN6thrust23THRUST_200600_302600_NS4plusIlEEEEZZNS1_33reduce_by_key_impl_wrapped_configILNS1_25lookback_scan_determinismE0ES3_SB_PS6_NS8_17constant_iteratorIiNS8_11use_defaultESG_EENS8_10device_ptrIS6_EENSI_IlEEPmSA_NS8_8equal_toIS6_EEEE10hipError_tPvRmT2_T3_mT4_T5_T6_T7_T8_P12ihipStream_tbENKUlT_T0_E_clISt17integral_constantIbLb1EES14_IbLb0EEEEDaS10_S11_EUlS10_E_NS1_11comp_targetILNS1_3genE5ELNS1_11target_archE942ELNS1_3gpuE9ELNS1_3repE0EEENS1_30default_config_static_selectorELNS0_4arch9wavefront6targetE1EEEvT1_
    .private_segment_fixed_size: 0
    .sgpr_count:     4
    .sgpr_spill_count: 0
    .symbol:         _ZN7rocprim17ROCPRIM_400000_NS6detail17trampoline_kernelINS0_14default_configENS1_29reduce_by_key_config_selectorIN3c108BFloat16ElN6thrust23THRUST_200600_302600_NS4plusIlEEEEZZNS1_33reduce_by_key_impl_wrapped_configILNS1_25lookback_scan_determinismE0ES3_SB_PS6_NS8_17constant_iteratorIiNS8_11use_defaultESG_EENS8_10device_ptrIS6_EENSI_IlEEPmSA_NS8_8equal_toIS6_EEEE10hipError_tPvRmT2_T3_mT4_T5_T6_T7_T8_P12ihipStream_tbENKUlT_T0_E_clISt17integral_constantIbLb1EES14_IbLb0EEEEDaS10_S11_EUlS10_E_NS1_11comp_targetILNS1_3genE5ELNS1_11target_archE942ELNS1_3gpuE9ELNS1_3repE0EEENS1_30default_config_static_selectorELNS0_4arch9wavefront6targetE1EEEvT1_.kd
    .uniform_work_group_size: 1
    .uses_dynamic_stack: false
    .vgpr_count:     0
    .vgpr_spill_count: 0
    .wavefront_size: 64
  - .agpr_count:     0
    .args:
      - .offset:         0
        .size:           144
        .value_kind:     by_value
    .group_segment_fixed_size: 30720
    .kernarg_segment_align: 8
    .kernarg_segment_size: 144
    .language:       OpenCL C
    .language_version:
      - 2
      - 0
    .max_flat_workgroup_size: 256
    .name:           _ZN7rocprim17ROCPRIM_400000_NS6detail17trampoline_kernelINS0_14default_configENS1_29reduce_by_key_config_selectorIN3c108BFloat16ElN6thrust23THRUST_200600_302600_NS4plusIlEEEEZZNS1_33reduce_by_key_impl_wrapped_configILNS1_25lookback_scan_determinismE0ES3_SB_PS6_NS8_17constant_iteratorIiNS8_11use_defaultESG_EENS8_10device_ptrIS6_EENSI_IlEEPmSA_NS8_8equal_toIS6_EEEE10hipError_tPvRmT2_T3_mT4_T5_T6_T7_T8_P12ihipStream_tbENKUlT_T0_E_clISt17integral_constantIbLb1EES14_IbLb0EEEEDaS10_S11_EUlS10_E_NS1_11comp_targetILNS1_3genE4ELNS1_11target_archE910ELNS1_3gpuE8ELNS1_3repE0EEENS1_30default_config_static_selectorELNS0_4arch9wavefront6targetE1EEEvT1_
    .private_segment_fixed_size: 0
    .sgpr_count:     66
    .sgpr_spill_count: 0
    .symbol:         _ZN7rocprim17ROCPRIM_400000_NS6detail17trampoline_kernelINS0_14default_configENS1_29reduce_by_key_config_selectorIN3c108BFloat16ElN6thrust23THRUST_200600_302600_NS4plusIlEEEEZZNS1_33reduce_by_key_impl_wrapped_configILNS1_25lookback_scan_determinismE0ES3_SB_PS6_NS8_17constant_iteratorIiNS8_11use_defaultESG_EENS8_10device_ptrIS6_EENSI_IlEEPmSA_NS8_8equal_toIS6_EEEE10hipError_tPvRmT2_T3_mT4_T5_T6_T7_T8_P12ihipStream_tbENKUlT_T0_E_clISt17integral_constantIbLb1EES14_IbLb0EEEEDaS10_S11_EUlS10_E_NS1_11comp_targetILNS1_3genE4ELNS1_11target_archE910ELNS1_3gpuE8ELNS1_3repE0EEENS1_30default_config_static_selectorELNS0_4arch9wavefront6targetE1EEEvT1_.kd
    .uniform_work_group_size: 1
    .uses_dynamic_stack: false
    .vgpr_count:     127
    .vgpr_spill_count: 0
    .wavefront_size: 64
  - .agpr_count:     0
    .args:
      - .offset:         0
        .size:           144
        .value_kind:     by_value
    .group_segment_fixed_size: 0
    .kernarg_segment_align: 8
    .kernarg_segment_size: 144
    .language:       OpenCL C
    .language_version:
      - 2
      - 0
    .max_flat_workgroup_size: 256
    .name:           _ZN7rocprim17ROCPRIM_400000_NS6detail17trampoline_kernelINS0_14default_configENS1_29reduce_by_key_config_selectorIN3c108BFloat16ElN6thrust23THRUST_200600_302600_NS4plusIlEEEEZZNS1_33reduce_by_key_impl_wrapped_configILNS1_25lookback_scan_determinismE0ES3_SB_PS6_NS8_17constant_iteratorIiNS8_11use_defaultESG_EENS8_10device_ptrIS6_EENSI_IlEEPmSA_NS8_8equal_toIS6_EEEE10hipError_tPvRmT2_T3_mT4_T5_T6_T7_T8_P12ihipStream_tbENKUlT_T0_E_clISt17integral_constantIbLb1EES14_IbLb0EEEEDaS10_S11_EUlS10_E_NS1_11comp_targetILNS1_3genE3ELNS1_11target_archE908ELNS1_3gpuE7ELNS1_3repE0EEENS1_30default_config_static_selectorELNS0_4arch9wavefront6targetE1EEEvT1_
    .private_segment_fixed_size: 0
    .sgpr_count:     4
    .sgpr_spill_count: 0
    .symbol:         _ZN7rocprim17ROCPRIM_400000_NS6detail17trampoline_kernelINS0_14default_configENS1_29reduce_by_key_config_selectorIN3c108BFloat16ElN6thrust23THRUST_200600_302600_NS4plusIlEEEEZZNS1_33reduce_by_key_impl_wrapped_configILNS1_25lookback_scan_determinismE0ES3_SB_PS6_NS8_17constant_iteratorIiNS8_11use_defaultESG_EENS8_10device_ptrIS6_EENSI_IlEEPmSA_NS8_8equal_toIS6_EEEE10hipError_tPvRmT2_T3_mT4_T5_T6_T7_T8_P12ihipStream_tbENKUlT_T0_E_clISt17integral_constantIbLb1EES14_IbLb0EEEEDaS10_S11_EUlS10_E_NS1_11comp_targetILNS1_3genE3ELNS1_11target_archE908ELNS1_3gpuE7ELNS1_3repE0EEENS1_30default_config_static_selectorELNS0_4arch9wavefront6targetE1EEEvT1_.kd
    .uniform_work_group_size: 1
    .uses_dynamic_stack: false
    .vgpr_count:     0
    .vgpr_spill_count: 0
    .wavefront_size: 64
  - .agpr_count:     0
    .args:
      - .offset:         0
        .size:           144
        .value_kind:     by_value
    .group_segment_fixed_size: 0
    .kernarg_segment_align: 8
    .kernarg_segment_size: 144
    .language:       OpenCL C
    .language_version:
      - 2
      - 0
    .max_flat_workgroup_size: 256
    .name:           _ZN7rocprim17ROCPRIM_400000_NS6detail17trampoline_kernelINS0_14default_configENS1_29reduce_by_key_config_selectorIN3c108BFloat16ElN6thrust23THRUST_200600_302600_NS4plusIlEEEEZZNS1_33reduce_by_key_impl_wrapped_configILNS1_25lookback_scan_determinismE0ES3_SB_PS6_NS8_17constant_iteratorIiNS8_11use_defaultESG_EENS8_10device_ptrIS6_EENSI_IlEEPmSA_NS8_8equal_toIS6_EEEE10hipError_tPvRmT2_T3_mT4_T5_T6_T7_T8_P12ihipStream_tbENKUlT_T0_E_clISt17integral_constantIbLb1EES14_IbLb0EEEEDaS10_S11_EUlS10_E_NS1_11comp_targetILNS1_3genE2ELNS1_11target_archE906ELNS1_3gpuE6ELNS1_3repE0EEENS1_30default_config_static_selectorELNS0_4arch9wavefront6targetE1EEEvT1_
    .private_segment_fixed_size: 0
    .sgpr_count:     4
    .sgpr_spill_count: 0
    .symbol:         _ZN7rocprim17ROCPRIM_400000_NS6detail17trampoline_kernelINS0_14default_configENS1_29reduce_by_key_config_selectorIN3c108BFloat16ElN6thrust23THRUST_200600_302600_NS4plusIlEEEEZZNS1_33reduce_by_key_impl_wrapped_configILNS1_25lookback_scan_determinismE0ES3_SB_PS6_NS8_17constant_iteratorIiNS8_11use_defaultESG_EENS8_10device_ptrIS6_EENSI_IlEEPmSA_NS8_8equal_toIS6_EEEE10hipError_tPvRmT2_T3_mT4_T5_T6_T7_T8_P12ihipStream_tbENKUlT_T0_E_clISt17integral_constantIbLb1EES14_IbLb0EEEEDaS10_S11_EUlS10_E_NS1_11comp_targetILNS1_3genE2ELNS1_11target_archE906ELNS1_3gpuE6ELNS1_3repE0EEENS1_30default_config_static_selectorELNS0_4arch9wavefront6targetE1EEEvT1_.kd
    .uniform_work_group_size: 1
    .uses_dynamic_stack: false
    .vgpr_count:     0
    .vgpr_spill_count: 0
    .wavefront_size: 64
  - .agpr_count:     0
    .args:
      - .offset:         0
        .size:           144
        .value_kind:     by_value
    .group_segment_fixed_size: 0
    .kernarg_segment_align: 8
    .kernarg_segment_size: 144
    .language:       OpenCL C
    .language_version:
      - 2
      - 0
    .max_flat_workgroup_size: 256
    .name:           _ZN7rocprim17ROCPRIM_400000_NS6detail17trampoline_kernelINS0_14default_configENS1_29reduce_by_key_config_selectorIN3c108BFloat16ElN6thrust23THRUST_200600_302600_NS4plusIlEEEEZZNS1_33reduce_by_key_impl_wrapped_configILNS1_25lookback_scan_determinismE0ES3_SB_PS6_NS8_17constant_iteratorIiNS8_11use_defaultESG_EENS8_10device_ptrIS6_EENSI_IlEEPmSA_NS8_8equal_toIS6_EEEE10hipError_tPvRmT2_T3_mT4_T5_T6_T7_T8_P12ihipStream_tbENKUlT_T0_E_clISt17integral_constantIbLb1EES14_IbLb0EEEEDaS10_S11_EUlS10_E_NS1_11comp_targetILNS1_3genE10ELNS1_11target_archE1201ELNS1_3gpuE5ELNS1_3repE0EEENS1_30default_config_static_selectorELNS0_4arch9wavefront6targetE1EEEvT1_
    .private_segment_fixed_size: 0
    .sgpr_count:     4
    .sgpr_spill_count: 0
    .symbol:         _ZN7rocprim17ROCPRIM_400000_NS6detail17trampoline_kernelINS0_14default_configENS1_29reduce_by_key_config_selectorIN3c108BFloat16ElN6thrust23THRUST_200600_302600_NS4plusIlEEEEZZNS1_33reduce_by_key_impl_wrapped_configILNS1_25lookback_scan_determinismE0ES3_SB_PS6_NS8_17constant_iteratorIiNS8_11use_defaultESG_EENS8_10device_ptrIS6_EENSI_IlEEPmSA_NS8_8equal_toIS6_EEEE10hipError_tPvRmT2_T3_mT4_T5_T6_T7_T8_P12ihipStream_tbENKUlT_T0_E_clISt17integral_constantIbLb1EES14_IbLb0EEEEDaS10_S11_EUlS10_E_NS1_11comp_targetILNS1_3genE10ELNS1_11target_archE1201ELNS1_3gpuE5ELNS1_3repE0EEENS1_30default_config_static_selectorELNS0_4arch9wavefront6targetE1EEEvT1_.kd
    .uniform_work_group_size: 1
    .uses_dynamic_stack: false
    .vgpr_count:     0
    .vgpr_spill_count: 0
    .wavefront_size: 64
  - .agpr_count:     0
    .args:
      - .offset:         0
        .size:           144
        .value_kind:     by_value
    .group_segment_fixed_size: 0
    .kernarg_segment_align: 8
    .kernarg_segment_size: 144
    .language:       OpenCL C
    .language_version:
      - 2
      - 0
    .max_flat_workgroup_size: 256
    .name:           _ZN7rocprim17ROCPRIM_400000_NS6detail17trampoline_kernelINS0_14default_configENS1_29reduce_by_key_config_selectorIN3c108BFloat16ElN6thrust23THRUST_200600_302600_NS4plusIlEEEEZZNS1_33reduce_by_key_impl_wrapped_configILNS1_25lookback_scan_determinismE0ES3_SB_PS6_NS8_17constant_iteratorIiNS8_11use_defaultESG_EENS8_10device_ptrIS6_EENSI_IlEEPmSA_NS8_8equal_toIS6_EEEE10hipError_tPvRmT2_T3_mT4_T5_T6_T7_T8_P12ihipStream_tbENKUlT_T0_E_clISt17integral_constantIbLb1EES14_IbLb0EEEEDaS10_S11_EUlS10_E_NS1_11comp_targetILNS1_3genE10ELNS1_11target_archE1200ELNS1_3gpuE4ELNS1_3repE0EEENS1_30default_config_static_selectorELNS0_4arch9wavefront6targetE1EEEvT1_
    .private_segment_fixed_size: 0
    .sgpr_count:     4
    .sgpr_spill_count: 0
    .symbol:         _ZN7rocprim17ROCPRIM_400000_NS6detail17trampoline_kernelINS0_14default_configENS1_29reduce_by_key_config_selectorIN3c108BFloat16ElN6thrust23THRUST_200600_302600_NS4plusIlEEEEZZNS1_33reduce_by_key_impl_wrapped_configILNS1_25lookback_scan_determinismE0ES3_SB_PS6_NS8_17constant_iteratorIiNS8_11use_defaultESG_EENS8_10device_ptrIS6_EENSI_IlEEPmSA_NS8_8equal_toIS6_EEEE10hipError_tPvRmT2_T3_mT4_T5_T6_T7_T8_P12ihipStream_tbENKUlT_T0_E_clISt17integral_constantIbLb1EES14_IbLb0EEEEDaS10_S11_EUlS10_E_NS1_11comp_targetILNS1_3genE10ELNS1_11target_archE1200ELNS1_3gpuE4ELNS1_3repE0EEENS1_30default_config_static_selectorELNS0_4arch9wavefront6targetE1EEEvT1_.kd
    .uniform_work_group_size: 1
    .uses_dynamic_stack: false
    .vgpr_count:     0
    .vgpr_spill_count: 0
    .wavefront_size: 64
  - .agpr_count:     0
    .args:
      - .offset:         0
        .size:           144
        .value_kind:     by_value
    .group_segment_fixed_size: 0
    .kernarg_segment_align: 8
    .kernarg_segment_size: 144
    .language:       OpenCL C
    .language_version:
      - 2
      - 0
    .max_flat_workgroup_size: 256
    .name:           _ZN7rocprim17ROCPRIM_400000_NS6detail17trampoline_kernelINS0_14default_configENS1_29reduce_by_key_config_selectorIN3c108BFloat16ElN6thrust23THRUST_200600_302600_NS4plusIlEEEEZZNS1_33reduce_by_key_impl_wrapped_configILNS1_25lookback_scan_determinismE0ES3_SB_PS6_NS8_17constant_iteratorIiNS8_11use_defaultESG_EENS8_10device_ptrIS6_EENSI_IlEEPmSA_NS8_8equal_toIS6_EEEE10hipError_tPvRmT2_T3_mT4_T5_T6_T7_T8_P12ihipStream_tbENKUlT_T0_E_clISt17integral_constantIbLb1EES14_IbLb0EEEEDaS10_S11_EUlS10_E_NS1_11comp_targetILNS1_3genE9ELNS1_11target_archE1100ELNS1_3gpuE3ELNS1_3repE0EEENS1_30default_config_static_selectorELNS0_4arch9wavefront6targetE1EEEvT1_
    .private_segment_fixed_size: 0
    .sgpr_count:     4
    .sgpr_spill_count: 0
    .symbol:         _ZN7rocprim17ROCPRIM_400000_NS6detail17trampoline_kernelINS0_14default_configENS1_29reduce_by_key_config_selectorIN3c108BFloat16ElN6thrust23THRUST_200600_302600_NS4plusIlEEEEZZNS1_33reduce_by_key_impl_wrapped_configILNS1_25lookback_scan_determinismE0ES3_SB_PS6_NS8_17constant_iteratorIiNS8_11use_defaultESG_EENS8_10device_ptrIS6_EENSI_IlEEPmSA_NS8_8equal_toIS6_EEEE10hipError_tPvRmT2_T3_mT4_T5_T6_T7_T8_P12ihipStream_tbENKUlT_T0_E_clISt17integral_constantIbLb1EES14_IbLb0EEEEDaS10_S11_EUlS10_E_NS1_11comp_targetILNS1_3genE9ELNS1_11target_archE1100ELNS1_3gpuE3ELNS1_3repE0EEENS1_30default_config_static_selectorELNS0_4arch9wavefront6targetE1EEEvT1_.kd
    .uniform_work_group_size: 1
    .uses_dynamic_stack: false
    .vgpr_count:     0
    .vgpr_spill_count: 0
    .wavefront_size: 64
  - .agpr_count:     0
    .args:
      - .offset:         0
        .size:           144
        .value_kind:     by_value
    .group_segment_fixed_size: 0
    .kernarg_segment_align: 8
    .kernarg_segment_size: 144
    .language:       OpenCL C
    .language_version:
      - 2
      - 0
    .max_flat_workgroup_size: 256
    .name:           _ZN7rocprim17ROCPRIM_400000_NS6detail17trampoline_kernelINS0_14default_configENS1_29reduce_by_key_config_selectorIN3c108BFloat16ElN6thrust23THRUST_200600_302600_NS4plusIlEEEEZZNS1_33reduce_by_key_impl_wrapped_configILNS1_25lookback_scan_determinismE0ES3_SB_PS6_NS8_17constant_iteratorIiNS8_11use_defaultESG_EENS8_10device_ptrIS6_EENSI_IlEEPmSA_NS8_8equal_toIS6_EEEE10hipError_tPvRmT2_T3_mT4_T5_T6_T7_T8_P12ihipStream_tbENKUlT_T0_E_clISt17integral_constantIbLb1EES14_IbLb0EEEEDaS10_S11_EUlS10_E_NS1_11comp_targetILNS1_3genE8ELNS1_11target_archE1030ELNS1_3gpuE2ELNS1_3repE0EEENS1_30default_config_static_selectorELNS0_4arch9wavefront6targetE1EEEvT1_
    .private_segment_fixed_size: 0
    .sgpr_count:     4
    .sgpr_spill_count: 0
    .symbol:         _ZN7rocprim17ROCPRIM_400000_NS6detail17trampoline_kernelINS0_14default_configENS1_29reduce_by_key_config_selectorIN3c108BFloat16ElN6thrust23THRUST_200600_302600_NS4plusIlEEEEZZNS1_33reduce_by_key_impl_wrapped_configILNS1_25lookback_scan_determinismE0ES3_SB_PS6_NS8_17constant_iteratorIiNS8_11use_defaultESG_EENS8_10device_ptrIS6_EENSI_IlEEPmSA_NS8_8equal_toIS6_EEEE10hipError_tPvRmT2_T3_mT4_T5_T6_T7_T8_P12ihipStream_tbENKUlT_T0_E_clISt17integral_constantIbLb1EES14_IbLb0EEEEDaS10_S11_EUlS10_E_NS1_11comp_targetILNS1_3genE8ELNS1_11target_archE1030ELNS1_3gpuE2ELNS1_3repE0EEENS1_30default_config_static_selectorELNS0_4arch9wavefront6targetE1EEEvT1_.kd
    .uniform_work_group_size: 1
    .uses_dynamic_stack: false
    .vgpr_count:     0
    .vgpr_spill_count: 0
    .wavefront_size: 64
  - .agpr_count:     0
    .args:
      - .offset:         0
        .size:           144
        .value_kind:     by_value
    .group_segment_fixed_size: 0
    .kernarg_segment_align: 8
    .kernarg_segment_size: 144
    .language:       OpenCL C
    .language_version:
      - 2
      - 0
    .max_flat_workgroup_size: 256
    .name:           _ZN7rocprim17ROCPRIM_400000_NS6detail17trampoline_kernelINS0_14default_configENS1_29reduce_by_key_config_selectorIN3c108BFloat16ElN6thrust23THRUST_200600_302600_NS4plusIlEEEEZZNS1_33reduce_by_key_impl_wrapped_configILNS1_25lookback_scan_determinismE0ES3_SB_PS6_NS8_17constant_iteratorIiNS8_11use_defaultESG_EENS8_10device_ptrIS6_EENSI_IlEEPmSA_NS8_8equal_toIS6_EEEE10hipError_tPvRmT2_T3_mT4_T5_T6_T7_T8_P12ihipStream_tbENKUlT_T0_E_clISt17integral_constantIbLb0EES14_IbLb1EEEEDaS10_S11_EUlS10_E_NS1_11comp_targetILNS1_3genE0ELNS1_11target_archE4294967295ELNS1_3gpuE0ELNS1_3repE0EEENS1_30default_config_static_selectorELNS0_4arch9wavefront6targetE1EEEvT1_
    .private_segment_fixed_size: 0
    .sgpr_count:     4
    .sgpr_spill_count: 0
    .symbol:         _ZN7rocprim17ROCPRIM_400000_NS6detail17trampoline_kernelINS0_14default_configENS1_29reduce_by_key_config_selectorIN3c108BFloat16ElN6thrust23THRUST_200600_302600_NS4plusIlEEEEZZNS1_33reduce_by_key_impl_wrapped_configILNS1_25lookback_scan_determinismE0ES3_SB_PS6_NS8_17constant_iteratorIiNS8_11use_defaultESG_EENS8_10device_ptrIS6_EENSI_IlEEPmSA_NS8_8equal_toIS6_EEEE10hipError_tPvRmT2_T3_mT4_T5_T6_T7_T8_P12ihipStream_tbENKUlT_T0_E_clISt17integral_constantIbLb0EES14_IbLb1EEEEDaS10_S11_EUlS10_E_NS1_11comp_targetILNS1_3genE0ELNS1_11target_archE4294967295ELNS1_3gpuE0ELNS1_3repE0EEENS1_30default_config_static_selectorELNS0_4arch9wavefront6targetE1EEEvT1_.kd
    .uniform_work_group_size: 1
    .uses_dynamic_stack: false
    .vgpr_count:     0
    .vgpr_spill_count: 0
    .wavefront_size: 64
  - .agpr_count:     0
    .args:
      - .offset:         0
        .size:           144
        .value_kind:     by_value
    .group_segment_fixed_size: 0
    .kernarg_segment_align: 8
    .kernarg_segment_size: 144
    .language:       OpenCL C
    .language_version:
      - 2
      - 0
    .max_flat_workgroup_size: 256
    .name:           _ZN7rocprim17ROCPRIM_400000_NS6detail17trampoline_kernelINS0_14default_configENS1_29reduce_by_key_config_selectorIN3c108BFloat16ElN6thrust23THRUST_200600_302600_NS4plusIlEEEEZZNS1_33reduce_by_key_impl_wrapped_configILNS1_25lookback_scan_determinismE0ES3_SB_PS6_NS8_17constant_iteratorIiNS8_11use_defaultESG_EENS8_10device_ptrIS6_EENSI_IlEEPmSA_NS8_8equal_toIS6_EEEE10hipError_tPvRmT2_T3_mT4_T5_T6_T7_T8_P12ihipStream_tbENKUlT_T0_E_clISt17integral_constantIbLb0EES14_IbLb1EEEEDaS10_S11_EUlS10_E_NS1_11comp_targetILNS1_3genE5ELNS1_11target_archE942ELNS1_3gpuE9ELNS1_3repE0EEENS1_30default_config_static_selectorELNS0_4arch9wavefront6targetE1EEEvT1_
    .private_segment_fixed_size: 0
    .sgpr_count:     4
    .sgpr_spill_count: 0
    .symbol:         _ZN7rocprim17ROCPRIM_400000_NS6detail17trampoline_kernelINS0_14default_configENS1_29reduce_by_key_config_selectorIN3c108BFloat16ElN6thrust23THRUST_200600_302600_NS4plusIlEEEEZZNS1_33reduce_by_key_impl_wrapped_configILNS1_25lookback_scan_determinismE0ES3_SB_PS6_NS8_17constant_iteratorIiNS8_11use_defaultESG_EENS8_10device_ptrIS6_EENSI_IlEEPmSA_NS8_8equal_toIS6_EEEE10hipError_tPvRmT2_T3_mT4_T5_T6_T7_T8_P12ihipStream_tbENKUlT_T0_E_clISt17integral_constantIbLb0EES14_IbLb1EEEEDaS10_S11_EUlS10_E_NS1_11comp_targetILNS1_3genE5ELNS1_11target_archE942ELNS1_3gpuE9ELNS1_3repE0EEENS1_30default_config_static_selectorELNS0_4arch9wavefront6targetE1EEEvT1_.kd
    .uniform_work_group_size: 1
    .uses_dynamic_stack: false
    .vgpr_count:     0
    .vgpr_spill_count: 0
    .wavefront_size: 64
  - .agpr_count:     0
    .args:
      - .offset:         0
        .size:           144
        .value_kind:     by_value
    .group_segment_fixed_size: 30720
    .kernarg_segment_align: 8
    .kernarg_segment_size: 144
    .language:       OpenCL C
    .language_version:
      - 2
      - 0
    .max_flat_workgroup_size: 256
    .name:           _ZN7rocprim17ROCPRIM_400000_NS6detail17trampoline_kernelINS0_14default_configENS1_29reduce_by_key_config_selectorIN3c108BFloat16ElN6thrust23THRUST_200600_302600_NS4plusIlEEEEZZNS1_33reduce_by_key_impl_wrapped_configILNS1_25lookback_scan_determinismE0ES3_SB_PS6_NS8_17constant_iteratorIiNS8_11use_defaultESG_EENS8_10device_ptrIS6_EENSI_IlEEPmSA_NS8_8equal_toIS6_EEEE10hipError_tPvRmT2_T3_mT4_T5_T6_T7_T8_P12ihipStream_tbENKUlT_T0_E_clISt17integral_constantIbLb0EES14_IbLb1EEEEDaS10_S11_EUlS10_E_NS1_11comp_targetILNS1_3genE4ELNS1_11target_archE910ELNS1_3gpuE8ELNS1_3repE0EEENS1_30default_config_static_selectorELNS0_4arch9wavefront6targetE1EEEvT1_
    .private_segment_fixed_size: 0
    .sgpr_count:     69
    .sgpr_spill_count: 0
    .symbol:         _ZN7rocprim17ROCPRIM_400000_NS6detail17trampoline_kernelINS0_14default_configENS1_29reduce_by_key_config_selectorIN3c108BFloat16ElN6thrust23THRUST_200600_302600_NS4plusIlEEEEZZNS1_33reduce_by_key_impl_wrapped_configILNS1_25lookback_scan_determinismE0ES3_SB_PS6_NS8_17constant_iteratorIiNS8_11use_defaultESG_EENS8_10device_ptrIS6_EENSI_IlEEPmSA_NS8_8equal_toIS6_EEEE10hipError_tPvRmT2_T3_mT4_T5_T6_T7_T8_P12ihipStream_tbENKUlT_T0_E_clISt17integral_constantIbLb0EES14_IbLb1EEEEDaS10_S11_EUlS10_E_NS1_11comp_targetILNS1_3genE4ELNS1_11target_archE910ELNS1_3gpuE8ELNS1_3repE0EEENS1_30default_config_static_selectorELNS0_4arch9wavefront6targetE1EEEvT1_.kd
    .uniform_work_group_size: 1
    .uses_dynamic_stack: false
    .vgpr_count:     127
    .vgpr_spill_count: 0
    .wavefront_size: 64
  - .agpr_count:     0
    .args:
      - .offset:         0
        .size:           144
        .value_kind:     by_value
    .group_segment_fixed_size: 0
    .kernarg_segment_align: 8
    .kernarg_segment_size: 144
    .language:       OpenCL C
    .language_version:
      - 2
      - 0
    .max_flat_workgroup_size: 256
    .name:           _ZN7rocprim17ROCPRIM_400000_NS6detail17trampoline_kernelINS0_14default_configENS1_29reduce_by_key_config_selectorIN3c108BFloat16ElN6thrust23THRUST_200600_302600_NS4plusIlEEEEZZNS1_33reduce_by_key_impl_wrapped_configILNS1_25lookback_scan_determinismE0ES3_SB_PS6_NS8_17constant_iteratorIiNS8_11use_defaultESG_EENS8_10device_ptrIS6_EENSI_IlEEPmSA_NS8_8equal_toIS6_EEEE10hipError_tPvRmT2_T3_mT4_T5_T6_T7_T8_P12ihipStream_tbENKUlT_T0_E_clISt17integral_constantIbLb0EES14_IbLb1EEEEDaS10_S11_EUlS10_E_NS1_11comp_targetILNS1_3genE3ELNS1_11target_archE908ELNS1_3gpuE7ELNS1_3repE0EEENS1_30default_config_static_selectorELNS0_4arch9wavefront6targetE1EEEvT1_
    .private_segment_fixed_size: 0
    .sgpr_count:     4
    .sgpr_spill_count: 0
    .symbol:         _ZN7rocprim17ROCPRIM_400000_NS6detail17trampoline_kernelINS0_14default_configENS1_29reduce_by_key_config_selectorIN3c108BFloat16ElN6thrust23THRUST_200600_302600_NS4plusIlEEEEZZNS1_33reduce_by_key_impl_wrapped_configILNS1_25lookback_scan_determinismE0ES3_SB_PS6_NS8_17constant_iteratorIiNS8_11use_defaultESG_EENS8_10device_ptrIS6_EENSI_IlEEPmSA_NS8_8equal_toIS6_EEEE10hipError_tPvRmT2_T3_mT4_T5_T6_T7_T8_P12ihipStream_tbENKUlT_T0_E_clISt17integral_constantIbLb0EES14_IbLb1EEEEDaS10_S11_EUlS10_E_NS1_11comp_targetILNS1_3genE3ELNS1_11target_archE908ELNS1_3gpuE7ELNS1_3repE0EEENS1_30default_config_static_selectorELNS0_4arch9wavefront6targetE1EEEvT1_.kd
    .uniform_work_group_size: 1
    .uses_dynamic_stack: false
    .vgpr_count:     0
    .vgpr_spill_count: 0
    .wavefront_size: 64
  - .agpr_count:     0
    .args:
      - .offset:         0
        .size:           144
        .value_kind:     by_value
    .group_segment_fixed_size: 0
    .kernarg_segment_align: 8
    .kernarg_segment_size: 144
    .language:       OpenCL C
    .language_version:
      - 2
      - 0
    .max_flat_workgroup_size: 256
    .name:           _ZN7rocprim17ROCPRIM_400000_NS6detail17trampoline_kernelINS0_14default_configENS1_29reduce_by_key_config_selectorIN3c108BFloat16ElN6thrust23THRUST_200600_302600_NS4plusIlEEEEZZNS1_33reduce_by_key_impl_wrapped_configILNS1_25lookback_scan_determinismE0ES3_SB_PS6_NS8_17constant_iteratorIiNS8_11use_defaultESG_EENS8_10device_ptrIS6_EENSI_IlEEPmSA_NS8_8equal_toIS6_EEEE10hipError_tPvRmT2_T3_mT4_T5_T6_T7_T8_P12ihipStream_tbENKUlT_T0_E_clISt17integral_constantIbLb0EES14_IbLb1EEEEDaS10_S11_EUlS10_E_NS1_11comp_targetILNS1_3genE2ELNS1_11target_archE906ELNS1_3gpuE6ELNS1_3repE0EEENS1_30default_config_static_selectorELNS0_4arch9wavefront6targetE1EEEvT1_
    .private_segment_fixed_size: 0
    .sgpr_count:     4
    .sgpr_spill_count: 0
    .symbol:         _ZN7rocprim17ROCPRIM_400000_NS6detail17trampoline_kernelINS0_14default_configENS1_29reduce_by_key_config_selectorIN3c108BFloat16ElN6thrust23THRUST_200600_302600_NS4plusIlEEEEZZNS1_33reduce_by_key_impl_wrapped_configILNS1_25lookback_scan_determinismE0ES3_SB_PS6_NS8_17constant_iteratorIiNS8_11use_defaultESG_EENS8_10device_ptrIS6_EENSI_IlEEPmSA_NS8_8equal_toIS6_EEEE10hipError_tPvRmT2_T3_mT4_T5_T6_T7_T8_P12ihipStream_tbENKUlT_T0_E_clISt17integral_constantIbLb0EES14_IbLb1EEEEDaS10_S11_EUlS10_E_NS1_11comp_targetILNS1_3genE2ELNS1_11target_archE906ELNS1_3gpuE6ELNS1_3repE0EEENS1_30default_config_static_selectorELNS0_4arch9wavefront6targetE1EEEvT1_.kd
    .uniform_work_group_size: 1
    .uses_dynamic_stack: false
    .vgpr_count:     0
    .vgpr_spill_count: 0
    .wavefront_size: 64
  - .agpr_count:     0
    .args:
      - .offset:         0
        .size:           144
        .value_kind:     by_value
    .group_segment_fixed_size: 0
    .kernarg_segment_align: 8
    .kernarg_segment_size: 144
    .language:       OpenCL C
    .language_version:
      - 2
      - 0
    .max_flat_workgroup_size: 256
    .name:           _ZN7rocprim17ROCPRIM_400000_NS6detail17trampoline_kernelINS0_14default_configENS1_29reduce_by_key_config_selectorIN3c108BFloat16ElN6thrust23THRUST_200600_302600_NS4plusIlEEEEZZNS1_33reduce_by_key_impl_wrapped_configILNS1_25lookback_scan_determinismE0ES3_SB_PS6_NS8_17constant_iteratorIiNS8_11use_defaultESG_EENS8_10device_ptrIS6_EENSI_IlEEPmSA_NS8_8equal_toIS6_EEEE10hipError_tPvRmT2_T3_mT4_T5_T6_T7_T8_P12ihipStream_tbENKUlT_T0_E_clISt17integral_constantIbLb0EES14_IbLb1EEEEDaS10_S11_EUlS10_E_NS1_11comp_targetILNS1_3genE10ELNS1_11target_archE1201ELNS1_3gpuE5ELNS1_3repE0EEENS1_30default_config_static_selectorELNS0_4arch9wavefront6targetE1EEEvT1_
    .private_segment_fixed_size: 0
    .sgpr_count:     4
    .sgpr_spill_count: 0
    .symbol:         _ZN7rocprim17ROCPRIM_400000_NS6detail17trampoline_kernelINS0_14default_configENS1_29reduce_by_key_config_selectorIN3c108BFloat16ElN6thrust23THRUST_200600_302600_NS4plusIlEEEEZZNS1_33reduce_by_key_impl_wrapped_configILNS1_25lookback_scan_determinismE0ES3_SB_PS6_NS8_17constant_iteratorIiNS8_11use_defaultESG_EENS8_10device_ptrIS6_EENSI_IlEEPmSA_NS8_8equal_toIS6_EEEE10hipError_tPvRmT2_T3_mT4_T5_T6_T7_T8_P12ihipStream_tbENKUlT_T0_E_clISt17integral_constantIbLb0EES14_IbLb1EEEEDaS10_S11_EUlS10_E_NS1_11comp_targetILNS1_3genE10ELNS1_11target_archE1201ELNS1_3gpuE5ELNS1_3repE0EEENS1_30default_config_static_selectorELNS0_4arch9wavefront6targetE1EEEvT1_.kd
    .uniform_work_group_size: 1
    .uses_dynamic_stack: false
    .vgpr_count:     0
    .vgpr_spill_count: 0
    .wavefront_size: 64
  - .agpr_count:     0
    .args:
      - .offset:         0
        .size:           144
        .value_kind:     by_value
    .group_segment_fixed_size: 0
    .kernarg_segment_align: 8
    .kernarg_segment_size: 144
    .language:       OpenCL C
    .language_version:
      - 2
      - 0
    .max_flat_workgroup_size: 256
    .name:           _ZN7rocprim17ROCPRIM_400000_NS6detail17trampoline_kernelINS0_14default_configENS1_29reduce_by_key_config_selectorIN3c108BFloat16ElN6thrust23THRUST_200600_302600_NS4plusIlEEEEZZNS1_33reduce_by_key_impl_wrapped_configILNS1_25lookback_scan_determinismE0ES3_SB_PS6_NS8_17constant_iteratorIiNS8_11use_defaultESG_EENS8_10device_ptrIS6_EENSI_IlEEPmSA_NS8_8equal_toIS6_EEEE10hipError_tPvRmT2_T3_mT4_T5_T6_T7_T8_P12ihipStream_tbENKUlT_T0_E_clISt17integral_constantIbLb0EES14_IbLb1EEEEDaS10_S11_EUlS10_E_NS1_11comp_targetILNS1_3genE10ELNS1_11target_archE1200ELNS1_3gpuE4ELNS1_3repE0EEENS1_30default_config_static_selectorELNS0_4arch9wavefront6targetE1EEEvT1_
    .private_segment_fixed_size: 0
    .sgpr_count:     4
    .sgpr_spill_count: 0
    .symbol:         _ZN7rocprim17ROCPRIM_400000_NS6detail17trampoline_kernelINS0_14default_configENS1_29reduce_by_key_config_selectorIN3c108BFloat16ElN6thrust23THRUST_200600_302600_NS4plusIlEEEEZZNS1_33reduce_by_key_impl_wrapped_configILNS1_25lookback_scan_determinismE0ES3_SB_PS6_NS8_17constant_iteratorIiNS8_11use_defaultESG_EENS8_10device_ptrIS6_EENSI_IlEEPmSA_NS8_8equal_toIS6_EEEE10hipError_tPvRmT2_T3_mT4_T5_T6_T7_T8_P12ihipStream_tbENKUlT_T0_E_clISt17integral_constantIbLb0EES14_IbLb1EEEEDaS10_S11_EUlS10_E_NS1_11comp_targetILNS1_3genE10ELNS1_11target_archE1200ELNS1_3gpuE4ELNS1_3repE0EEENS1_30default_config_static_selectorELNS0_4arch9wavefront6targetE1EEEvT1_.kd
    .uniform_work_group_size: 1
    .uses_dynamic_stack: false
    .vgpr_count:     0
    .vgpr_spill_count: 0
    .wavefront_size: 64
  - .agpr_count:     0
    .args:
      - .offset:         0
        .size:           144
        .value_kind:     by_value
    .group_segment_fixed_size: 0
    .kernarg_segment_align: 8
    .kernarg_segment_size: 144
    .language:       OpenCL C
    .language_version:
      - 2
      - 0
    .max_flat_workgroup_size: 256
    .name:           _ZN7rocprim17ROCPRIM_400000_NS6detail17trampoline_kernelINS0_14default_configENS1_29reduce_by_key_config_selectorIN3c108BFloat16ElN6thrust23THRUST_200600_302600_NS4plusIlEEEEZZNS1_33reduce_by_key_impl_wrapped_configILNS1_25lookback_scan_determinismE0ES3_SB_PS6_NS8_17constant_iteratorIiNS8_11use_defaultESG_EENS8_10device_ptrIS6_EENSI_IlEEPmSA_NS8_8equal_toIS6_EEEE10hipError_tPvRmT2_T3_mT4_T5_T6_T7_T8_P12ihipStream_tbENKUlT_T0_E_clISt17integral_constantIbLb0EES14_IbLb1EEEEDaS10_S11_EUlS10_E_NS1_11comp_targetILNS1_3genE9ELNS1_11target_archE1100ELNS1_3gpuE3ELNS1_3repE0EEENS1_30default_config_static_selectorELNS0_4arch9wavefront6targetE1EEEvT1_
    .private_segment_fixed_size: 0
    .sgpr_count:     4
    .sgpr_spill_count: 0
    .symbol:         _ZN7rocprim17ROCPRIM_400000_NS6detail17trampoline_kernelINS0_14default_configENS1_29reduce_by_key_config_selectorIN3c108BFloat16ElN6thrust23THRUST_200600_302600_NS4plusIlEEEEZZNS1_33reduce_by_key_impl_wrapped_configILNS1_25lookback_scan_determinismE0ES3_SB_PS6_NS8_17constant_iteratorIiNS8_11use_defaultESG_EENS8_10device_ptrIS6_EENSI_IlEEPmSA_NS8_8equal_toIS6_EEEE10hipError_tPvRmT2_T3_mT4_T5_T6_T7_T8_P12ihipStream_tbENKUlT_T0_E_clISt17integral_constantIbLb0EES14_IbLb1EEEEDaS10_S11_EUlS10_E_NS1_11comp_targetILNS1_3genE9ELNS1_11target_archE1100ELNS1_3gpuE3ELNS1_3repE0EEENS1_30default_config_static_selectorELNS0_4arch9wavefront6targetE1EEEvT1_.kd
    .uniform_work_group_size: 1
    .uses_dynamic_stack: false
    .vgpr_count:     0
    .vgpr_spill_count: 0
    .wavefront_size: 64
  - .agpr_count:     0
    .args:
      - .offset:         0
        .size:           144
        .value_kind:     by_value
    .group_segment_fixed_size: 0
    .kernarg_segment_align: 8
    .kernarg_segment_size: 144
    .language:       OpenCL C
    .language_version:
      - 2
      - 0
    .max_flat_workgroup_size: 256
    .name:           _ZN7rocprim17ROCPRIM_400000_NS6detail17trampoline_kernelINS0_14default_configENS1_29reduce_by_key_config_selectorIN3c108BFloat16ElN6thrust23THRUST_200600_302600_NS4plusIlEEEEZZNS1_33reduce_by_key_impl_wrapped_configILNS1_25lookback_scan_determinismE0ES3_SB_PS6_NS8_17constant_iteratorIiNS8_11use_defaultESG_EENS8_10device_ptrIS6_EENSI_IlEEPmSA_NS8_8equal_toIS6_EEEE10hipError_tPvRmT2_T3_mT4_T5_T6_T7_T8_P12ihipStream_tbENKUlT_T0_E_clISt17integral_constantIbLb0EES14_IbLb1EEEEDaS10_S11_EUlS10_E_NS1_11comp_targetILNS1_3genE8ELNS1_11target_archE1030ELNS1_3gpuE2ELNS1_3repE0EEENS1_30default_config_static_selectorELNS0_4arch9wavefront6targetE1EEEvT1_
    .private_segment_fixed_size: 0
    .sgpr_count:     4
    .sgpr_spill_count: 0
    .symbol:         _ZN7rocprim17ROCPRIM_400000_NS6detail17trampoline_kernelINS0_14default_configENS1_29reduce_by_key_config_selectorIN3c108BFloat16ElN6thrust23THRUST_200600_302600_NS4plusIlEEEEZZNS1_33reduce_by_key_impl_wrapped_configILNS1_25lookback_scan_determinismE0ES3_SB_PS6_NS8_17constant_iteratorIiNS8_11use_defaultESG_EENS8_10device_ptrIS6_EENSI_IlEEPmSA_NS8_8equal_toIS6_EEEE10hipError_tPvRmT2_T3_mT4_T5_T6_T7_T8_P12ihipStream_tbENKUlT_T0_E_clISt17integral_constantIbLb0EES14_IbLb1EEEEDaS10_S11_EUlS10_E_NS1_11comp_targetILNS1_3genE8ELNS1_11target_archE1030ELNS1_3gpuE2ELNS1_3repE0EEENS1_30default_config_static_selectorELNS0_4arch9wavefront6targetE1EEEvT1_.kd
    .uniform_work_group_size: 1
    .uses_dynamic_stack: false
    .vgpr_count:     0
    .vgpr_spill_count: 0
    .wavefront_size: 64
  - .agpr_count:     0
    .args:
      - .offset:         0
        .size:           88
        .value_kind:     by_value
    .group_segment_fixed_size: 0
    .kernarg_segment_align: 8
    .kernarg_segment_size: 88
    .language:       OpenCL C
    .language_version:
      - 2
      - 0
    .max_flat_workgroup_size: 128
    .name:           _ZN7rocprim17ROCPRIM_400000_NS6detail17trampoline_kernelINS0_14default_configENS1_22reduce_config_selectorIN6thrust23THRUST_200600_302600_NS5tupleIblNS6_9null_typeES8_S8_S8_S8_S8_S8_S8_EEEEZNS1_11reduce_implILb1ES3_NS6_12zip_iteratorINS7_INS6_11hip_rocprim26transform_input_iterator_tIbPN3c108BFloat16ENS6_6detail10functional5actorINSJ_9compositeIJNSJ_27transparent_binary_operatorINS6_8equal_toIvEEEENSK_INSJ_8argumentILj0EEEEENSJ_5valueISG_EEEEEEEEENSD_19counting_iterator_tIlEES8_S8_S8_S8_S8_S8_S8_S8_EEEEPS9_S9_NSD_9__find_if7functorIS9_EEEE10hipError_tPvRmT1_T2_T3_mT4_P12ihipStream_tbEUlT_E0_NS1_11comp_targetILNS1_3genE0ELNS1_11target_archE4294967295ELNS1_3gpuE0ELNS1_3repE0EEENS1_30default_config_static_selectorELNS0_4arch9wavefront6targetE1EEEvS19_
    .private_segment_fixed_size: 0
    .sgpr_count:     4
    .sgpr_spill_count: 0
    .symbol:         _ZN7rocprim17ROCPRIM_400000_NS6detail17trampoline_kernelINS0_14default_configENS1_22reduce_config_selectorIN6thrust23THRUST_200600_302600_NS5tupleIblNS6_9null_typeES8_S8_S8_S8_S8_S8_S8_EEEEZNS1_11reduce_implILb1ES3_NS6_12zip_iteratorINS7_INS6_11hip_rocprim26transform_input_iterator_tIbPN3c108BFloat16ENS6_6detail10functional5actorINSJ_9compositeIJNSJ_27transparent_binary_operatorINS6_8equal_toIvEEEENSK_INSJ_8argumentILj0EEEEENSJ_5valueISG_EEEEEEEEENSD_19counting_iterator_tIlEES8_S8_S8_S8_S8_S8_S8_S8_EEEEPS9_S9_NSD_9__find_if7functorIS9_EEEE10hipError_tPvRmT1_T2_T3_mT4_P12ihipStream_tbEUlT_E0_NS1_11comp_targetILNS1_3genE0ELNS1_11target_archE4294967295ELNS1_3gpuE0ELNS1_3repE0EEENS1_30default_config_static_selectorELNS0_4arch9wavefront6targetE1EEEvS19_.kd
    .uniform_work_group_size: 1
    .uses_dynamic_stack: false
    .vgpr_count:     0
    .vgpr_spill_count: 0
    .wavefront_size: 64
  - .agpr_count:     0
    .args:
      - .offset:         0
        .size:           88
        .value_kind:     by_value
    .group_segment_fixed_size: 0
    .kernarg_segment_align: 8
    .kernarg_segment_size: 88
    .language:       OpenCL C
    .language_version:
      - 2
      - 0
    .max_flat_workgroup_size: 256
    .name:           _ZN7rocprim17ROCPRIM_400000_NS6detail17trampoline_kernelINS0_14default_configENS1_22reduce_config_selectorIN6thrust23THRUST_200600_302600_NS5tupleIblNS6_9null_typeES8_S8_S8_S8_S8_S8_S8_EEEEZNS1_11reduce_implILb1ES3_NS6_12zip_iteratorINS7_INS6_11hip_rocprim26transform_input_iterator_tIbPN3c108BFloat16ENS6_6detail10functional5actorINSJ_9compositeIJNSJ_27transparent_binary_operatorINS6_8equal_toIvEEEENSK_INSJ_8argumentILj0EEEEENSJ_5valueISG_EEEEEEEEENSD_19counting_iterator_tIlEES8_S8_S8_S8_S8_S8_S8_S8_EEEEPS9_S9_NSD_9__find_if7functorIS9_EEEE10hipError_tPvRmT1_T2_T3_mT4_P12ihipStream_tbEUlT_E0_NS1_11comp_targetILNS1_3genE5ELNS1_11target_archE942ELNS1_3gpuE9ELNS1_3repE0EEENS1_30default_config_static_selectorELNS0_4arch9wavefront6targetE1EEEvS19_
    .private_segment_fixed_size: 0
    .sgpr_count:     4
    .sgpr_spill_count: 0
    .symbol:         _ZN7rocprim17ROCPRIM_400000_NS6detail17trampoline_kernelINS0_14default_configENS1_22reduce_config_selectorIN6thrust23THRUST_200600_302600_NS5tupleIblNS6_9null_typeES8_S8_S8_S8_S8_S8_S8_EEEEZNS1_11reduce_implILb1ES3_NS6_12zip_iteratorINS7_INS6_11hip_rocprim26transform_input_iterator_tIbPN3c108BFloat16ENS6_6detail10functional5actorINSJ_9compositeIJNSJ_27transparent_binary_operatorINS6_8equal_toIvEEEENSK_INSJ_8argumentILj0EEEEENSJ_5valueISG_EEEEEEEEENSD_19counting_iterator_tIlEES8_S8_S8_S8_S8_S8_S8_S8_EEEEPS9_S9_NSD_9__find_if7functorIS9_EEEE10hipError_tPvRmT1_T2_T3_mT4_P12ihipStream_tbEUlT_E0_NS1_11comp_targetILNS1_3genE5ELNS1_11target_archE942ELNS1_3gpuE9ELNS1_3repE0EEENS1_30default_config_static_selectorELNS0_4arch9wavefront6targetE1EEEvS19_.kd
    .uniform_work_group_size: 1
    .uses_dynamic_stack: false
    .vgpr_count:     0
    .vgpr_spill_count: 0
    .wavefront_size: 64
  - .agpr_count:     0
    .args:
      - .offset:         0
        .size:           88
        .value_kind:     by_value
    .group_segment_fixed_size: 128
    .kernarg_segment_align: 8
    .kernarg_segment_size: 88
    .language:       OpenCL C
    .language_version:
      - 2
      - 0
    .max_flat_workgroup_size: 256
    .name:           _ZN7rocprim17ROCPRIM_400000_NS6detail17trampoline_kernelINS0_14default_configENS1_22reduce_config_selectorIN6thrust23THRUST_200600_302600_NS5tupleIblNS6_9null_typeES8_S8_S8_S8_S8_S8_S8_EEEEZNS1_11reduce_implILb1ES3_NS6_12zip_iteratorINS7_INS6_11hip_rocprim26transform_input_iterator_tIbPN3c108BFloat16ENS6_6detail10functional5actorINSJ_9compositeIJNSJ_27transparent_binary_operatorINS6_8equal_toIvEEEENSK_INSJ_8argumentILj0EEEEENSJ_5valueISG_EEEEEEEEENSD_19counting_iterator_tIlEES8_S8_S8_S8_S8_S8_S8_S8_EEEEPS9_S9_NSD_9__find_if7functorIS9_EEEE10hipError_tPvRmT1_T2_T3_mT4_P12ihipStream_tbEUlT_E0_NS1_11comp_targetILNS1_3genE4ELNS1_11target_archE910ELNS1_3gpuE8ELNS1_3repE0EEENS1_30default_config_static_selectorELNS0_4arch9wavefront6targetE1EEEvS19_
    .private_segment_fixed_size: 0
    .sgpr_count:     29
    .sgpr_spill_count: 0
    .symbol:         _ZN7rocprim17ROCPRIM_400000_NS6detail17trampoline_kernelINS0_14default_configENS1_22reduce_config_selectorIN6thrust23THRUST_200600_302600_NS5tupleIblNS6_9null_typeES8_S8_S8_S8_S8_S8_S8_EEEEZNS1_11reduce_implILb1ES3_NS6_12zip_iteratorINS7_INS6_11hip_rocprim26transform_input_iterator_tIbPN3c108BFloat16ENS6_6detail10functional5actorINSJ_9compositeIJNSJ_27transparent_binary_operatorINS6_8equal_toIvEEEENSK_INSJ_8argumentILj0EEEEENSJ_5valueISG_EEEEEEEEENSD_19counting_iterator_tIlEES8_S8_S8_S8_S8_S8_S8_S8_EEEEPS9_S9_NSD_9__find_if7functorIS9_EEEE10hipError_tPvRmT1_T2_T3_mT4_P12ihipStream_tbEUlT_E0_NS1_11comp_targetILNS1_3genE4ELNS1_11target_archE910ELNS1_3gpuE8ELNS1_3repE0EEENS1_30default_config_static_selectorELNS0_4arch9wavefront6targetE1EEEvS19_.kd
    .uniform_work_group_size: 1
    .uses_dynamic_stack: false
    .vgpr_count:     12
    .vgpr_spill_count: 0
    .wavefront_size: 64
  - .agpr_count:     0
    .args:
      - .offset:         0
        .size:           88
        .value_kind:     by_value
    .group_segment_fixed_size: 0
    .kernarg_segment_align: 8
    .kernarg_segment_size: 88
    .language:       OpenCL C
    .language_version:
      - 2
      - 0
    .max_flat_workgroup_size: 128
    .name:           _ZN7rocprim17ROCPRIM_400000_NS6detail17trampoline_kernelINS0_14default_configENS1_22reduce_config_selectorIN6thrust23THRUST_200600_302600_NS5tupleIblNS6_9null_typeES8_S8_S8_S8_S8_S8_S8_EEEEZNS1_11reduce_implILb1ES3_NS6_12zip_iteratorINS7_INS6_11hip_rocprim26transform_input_iterator_tIbPN3c108BFloat16ENS6_6detail10functional5actorINSJ_9compositeIJNSJ_27transparent_binary_operatorINS6_8equal_toIvEEEENSK_INSJ_8argumentILj0EEEEENSJ_5valueISG_EEEEEEEEENSD_19counting_iterator_tIlEES8_S8_S8_S8_S8_S8_S8_S8_EEEEPS9_S9_NSD_9__find_if7functorIS9_EEEE10hipError_tPvRmT1_T2_T3_mT4_P12ihipStream_tbEUlT_E0_NS1_11comp_targetILNS1_3genE3ELNS1_11target_archE908ELNS1_3gpuE7ELNS1_3repE0EEENS1_30default_config_static_selectorELNS0_4arch9wavefront6targetE1EEEvS19_
    .private_segment_fixed_size: 0
    .sgpr_count:     4
    .sgpr_spill_count: 0
    .symbol:         _ZN7rocprim17ROCPRIM_400000_NS6detail17trampoline_kernelINS0_14default_configENS1_22reduce_config_selectorIN6thrust23THRUST_200600_302600_NS5tupleIblNS6_9null_typeES8_S8_S8_S8_S8_S8_S8_EEEEZNS1_11reduce_implILb1ES3_NS6_12zip_iteratorINS7_INS6_11hip_rocprim26transform_input_iterator_tIbPN3c108BFloat16ENS6_6detail10functional5actorINSJ_9compositeIJNSJ_27transparent_binary_operatorINS6_8equal_toIvEEEENSK_INSJ_8argumentILj0EEEEENSJ_5valueISG_EEEEEEEEENSD_19counting_iterator_tIlEES8_S8_S8_S8_S8_S8_S8_S8_EEEEPS9_S9_NSD_9__find_if7functorIS9_EEEE10hipError_tPvRmT1_T2_T3_mT4_P12ihipStream_tbEUlT_E0_NS1_11comp_targetILNS1_3genE3ELNS1_11target_archE908ELNS1_3gpuE7ELNS1_3repE0EEENS1_30default_config_static_selectorELNS0_4arch9wavefront6targetE1EEEvS19_.kd
    .uniform_work_group_size: 1
    .uses_dynamic_stack: false
    .vgpr_count:     0
    .vgpr_spill_count: 0
    .wavefront_size: 64
  - .agpr_count:     0
    .args:
      - .offset:         0
        .size:           88
        .value_kind:     by_value
    .group_segment_fixed_size: 0
    .kernarg_segment_align: 8
    .kernarg_segment_size: 88
    .language:       OpenCL C
    .language_version:
      - 2
      - 0
    .max_flat_workgroup_size: 128
    .name:           _ZN7rocprim17ROCPRIM_400000_NS6detail17trampoline_kernelINS0_14default_configENS1_22reduce_config_selectorIN6thrust23THRUST_200600_302600_NS5tupleIblNS6_9null_typeES8_S8_S8_S8_S8_S8_S8_EEEEZNS1_11reduce_implILb1ES3_NS6_12zip_iteratorINS7_INS6_11hip_rocprim26transform_input_iterator_tIbPN3c108BFloat16ENS6_6detail10functional5actorINSJ_9compositeIJNSJ_27transparent_binary_operatorINS6_8equal_toIvEEEENSK_INSJ_8argumentILj0EEEEENSJ_5valueISG_EEEEEEEEENSD_19counting_iterator_tIlEES8_S8_S8_S8_S8_S8_S8_S8_EEEEPS9_S9_NSD_9__find_if7functorIS9_EEEE10hipError_tPvRmT1_T2_T3_mT4_P12ihipStream_tbEUlT_E0_NS1_11comp_targetILNS1_3genE2ELNS1_11target_archE906ELNS1_3gpuE6ELNS1_3repE0EEENS1_30default_config_static_selectorELNS0_4arch9wavefront6targetE1EEEvS19_
    .private_segment_fixed_size: 0
    .sgpr_count:     4
    .sgpr_spill_count: 0
    .symbol:         _ZN7rocprim17ROCPRIM_400000_NS6detail17trampoline_kernelINS0_14default_configENS1_22reduce_config_selectorIN6thrust23THRUST_200600_302600_NS5tupleIblNS6_9null_typeES8_S8_S8_S8_S8_S8_S8_EEEEZNS1_11reduce_implILb1ES3_NS6_12zip_iteratorINS7_INS6_11hip_rocprim26transform_input_iterator_tIbPN3c108BFloat16ENS6_6detail10functional5actorINSJ_9compositeIJNSJ_27transparent_binary_operatorINS6_8equal_toIvEEEENSK_INSJ_8argumentILj0EEEEENSJ_5valueISG_EEEEEEEEENSD_19counting_iterator_tIlEES8_S8_S8_S8_S8_S8_S8_S8_EEEEPS9_S9_NSD_9__find_if7functorIS9_EEEE10hipError_tPvRmT1_T2_T3_mT4_P12ihipStream_tbEUlT_E0_NS1_11comp_targetILNS1_3genE2ELNS1_11target_archE906ELNS1_3gpuE6ELNS1_3repE0EEENS1_30default_config_static_selectorELNS0_4arch9wavefront6targetE1EEEvS19_.kd
    .uniform_work_group_size: 1
    .uses_dynamic_stack: false
    .vgpr_count:     0
    .vgpr_spill_count: 0
    .wavefront_size: 64
  - .agpr_count:     0
    .args:
      - .offset:         0
        .size:           88
        .value_kind:     by_value
    .group_segment_fixed_size: 0
    .kernarg_segment_align: 8
    .kernarg_segment_size: 88
    .language:       OpenCL C
    .language_version:
      - 2
      - 0
    .max_flat_workgroup_size: 256
    .name:           _ZN7rocprim17ROCPRIM_400000_NS6detail17trampoline_kernelINS0_14default_configENS1_22reduce_config_selectorIN6thrust23THRUST_200600_302600_NS5tupleIblNS6_9null_typeES8_S8_S8_S8_S8_S8_S8_EEEEZNS1_11reduce_implILb1ES3_NS6_12zip_iteratorINS7_INS6_11hip_rocprim26transform_input_iterator_tIbPN3c108BFloat16ENS6_6detail10functional5actorINSJ_9compositeIJNSJ_27transparent_binary_operatorINS6_8equal_toIvEEEENSK_INSJ_8argumentILj0EEEEENSJ_5valueISG_EEEEEEEEENSD_19counting_iterator_tIlEES8_S8_S8_S8_S8_S8_S8_S8_EEEEPS9_S9_NSD_9__find_if7functorIS9_EEEE10hipError_tPvRmT1_T2_T3_mT4_P12ihipStream_tbEUlT_E0_NS1_11comp_targetILNS1_3genE10ELNS1_11target_archE1201ELNS1_3gpuE5ELNS1_3repE0EEENS1_30default_config_static_selectorELNS0_4arch9wavefront6targetE1EEEvS19_
    .private_segment_fixed_size: 0
    .sgpr_count:     4
    .sgpr_spill_count: 0
    .symbol:         _ZN7rocprim17ROCPRIM_400000_NS6detail17trampoline_kernelINS0_14default_configENS1_22reduce_config_selectorIN6thrust23THRUST_200600_302600_NS5tupleIblNS6_9null_typeES8_S8_S8_S8_S8_S8_S8_EEEEZNS1_11reduce_implILb1ES3_NS6_12zip_iteratorINS7_INS6_11hip_rocprim26transform_input_iterator_tIbPN3c108BFloat16ENS6_6detail10functional5actorINSJ_9compositeIJNSJ_27transparent_binary_operatorINS6_8equal_toIvEEEENSK_INSJ_8argumentILj0EEEEENSJ_5valueISG_EEEEEEEEENSD_19counting_iterator_tIlEES8_S8_S8_S8_S8_S8_S8_S8_EEEEPS9_S9_NSD_9__find_if7functorIS9_EEEE10hipError_tPvRmT1_T2_T3_mT4_P12ihipStream_tbEUlT_E0_NS1_11comp_targetILNS1_3genE10ELNS1_11target_archE1201ELNS1_3gpuE5ELNS1_3repE0EEENS1_30default_config_static_selectorELNS0_4arch9wavefront6targetE1EEEvS19_.kd
    .uniform_work_group_size: 1
    .uses_dynamic_stack: false
    .vgpr_count:     0
    .vgpr_spill_count: 0
    .wavefront_size: 64
  - .agpr_count:     0
    .args:
      - .offset:         0
        .size:           88
        .value_kind:     by_value
    .group_segment_fixed_size: 0
    .kernarg_segment_align: 8
    .kernarg_segment_size: 88
    .language:       OpenCL C
    .language_version:
      - 2
      - 0
    .max_flat_workgroup_size: 256
    .name:           _ZN7rocprim17ROCPRIM_400000_NS6detail17trampoline_kernelINS0_14default_configENS1_22reduce_config_selectorIN6thrust23THRUST_200600_302600_NS5tupleIblNS6_9null_typeES8_S8_S8_S8_S8_S8_S8_EEEEZNS1_11reduce_implILb1ES3_NS6_12zip_iteratorINS7_INS6_11hip_rocprim26transform_input_iterator_tIbPN3c108BFloat16ENS6_6detail10functional5actorINSJ_9compositeIJNSJ_27transparent_binary_operatorINS6_8equal_toIvEEEENSK_INSJ_8argumentILj0EEEEENSJ_5valueISG_EEEEEEEEENSD_19counting_iterator_tIlEES8_S8_S8_S8_S8_S8_S8_S8_EEEEPS9_S9_NSD_9__find_if7functorIS9_EEEE10hipError_tPvRmT1_T2_T3_mT4_P12ihipStream_tbEUlT_E0_NS1_11comp_targetILNS1_3genE10ELNS1_11target_archE1200ELNS1_3gpuE4ELNS1_3repE0EEENS1_30default_config_static_selectorELNS0_4arch9wavefront6targetE1EEEvS19_
    .private_segment_fixed_size: 0
    .sgpr_count:     4
    .sgpr_spill_count: 0
    .symbol:         _ZN7rocprim17ROCPRIM_400000_NS6detail17trampoline_kernelINS0_14default_configENS1_22reduce_config_selectorIN6thrust23THRUST_200600_302600_NS5tupleIblNS6_9null_typeES8_S8_S8_S8_S8_S8_S8_EEEEZNS1_11reduce_implILb1ES3_NS6_12zip_iteratorINS7_INS6_11hip_rocprim26transform_input_iterator_tIbPN3c108BFloat16ENS6_6detail10functional5actorINSJ_9compositeIJNSJ_27transparent_binary_operatorINS6_8equal_toIvEEEENSK_INSJ_8argumentILj0EEEEENSJ_5valueISG_EEEEEEEEENSD_19counting_iterator_tIlEES8_S8_S8_S8_S8_S8_S8_S8_EEEEPS9_S9_NSD_9__find_if7functorIS9_EEEE10hipError_tPvRmT1_T2_T3_mT4_P12ihipStream_tbEUlT_E0_NS1_11comp_targetILNS1_3genE10ELNS1_11target_archE1200ELNS1_3gpuE4ELNS1_3repE0EEENS1_30default_config_static_selectorELNS0_4arch9wavefront6targetE1EEEvS19_.kd
    .uniform_work_group_size: 1
    .uses_dynamic_stack: false
    .vgpr_count:     0
    .vgpr_spill_count: 0
    .wavefront_size: 64
  - .agpr_count:     0
    .args:
      - .offset:         0
        .size:           88
        .value_kind:     by_value
    .group_segment_fixed_size: 0
    .kernarg_segment_align: 8
    .kernarg_segment_size: 88
    .language:       OpenCL C
    .language_version:
      - 2
      - 0
    .max_flat_workgroup_size: 256
    .name:           _ZN7rocprim17ROCPRIM_400000_NS6detail17trampoline_kernelINS0_14default_configENS1_22reduce_config_selectorIN6thrust23THRUST_200600_302600_NS5tupleIblNS6_9null_typeES8_S8_S8_S8_S8_S8_S8_EEEEZNS1_11reduce_implILb1ES3_NS6_12zip_iteratorINS7_INS6_11hip_rocprim26transform_input_iterator_tIbPN3c108BFloat16ENS6_6detail10functional5actorINSJ_9compositeIJNSJ_27transparent_binary_operatorINS6_8equal_toIvEEEENSK_INSJ_8argumentILj0EEEEENSJ_5valueISG_EEEEEEEEENSD_19counting_iterator_tIlEES8_S8_S8_S8_S8_S8_S8_S8_EEEEPS9_S9_NSD_9__find_if7functorIS9_EEEE10hipError_tPvRmT1_T2_T3_mT4_P12ihipStream_tbEUlT_E0_NS1_11comp_targetILNS1_3genE9ELNS1_11target_archE1100ELNS1_3gpuE3ELNS1_3repE0EEENS1_30default_config_static_selectorELNS0_4arch9wavefront6targetE1EEEvS19_
    .private_segment_fixed_size: 0
    .sgpr_count:     4
    .sgpr_spill_count: 0
    .symbol:         _ZN7rocprim17ROCPRIM_400000_NS6detail17trampoline_kernelINS0_14default_configENS1_22reduce_config_selectorIN6thrust23THRUST_200600_302600_NS5tupleIblNS6_9null_typeES8_S8_S8_S8_S8_S8_S8_EEEEZNS1_11reduce_implILb1ES3_NS6_12zip_iteratorINS7_INS6_11hip_rocprim26transform_input_iterator_tIbPN3c108BFloat16ENS6_6detail10functional5actorINSJ_9compositeIJNSJ_27transparent_binary_operatorINS6_8equal_toIvEEEENSK_INSJ_8argumentILj0EEEEENSJ_5valueISG_EEEEEEEEENSD_19counting_iterator_tIlEES8_S8_S8_S8_S8_S8_S8_S8_EEEEPS9_S9_NSD_9__find_if7functorIS9_EEEE10hipError_tPvRmT1_T2_T3_mT4_P12ihipStream_tbEUlT_E0_NS1_11comp_targetILNS1_3genE9ELNS1_11target_archE1100ELNS1_3gpuE3ELNS1_3repE0EEENS1_30default_config_static_selectorELNS0_4arch9wavefront6targetE1EEEvS19_.kd
    .uniform_work_group_size: 1
    .uses_dynamic_stack: false
    .vgpr_count:     0
    .vgpr_spill_count: 0
    .wavefront_size: 64
  - .agpr_count:     0
    .args:
      - .offset:         0
        .size:           88
        .value_kind:     by_value
    .group_segment_fixed_size: 0
    .kernarg_segment_align: 8
    .kernarg_segment_size: 88
    .language:       OpenCL C
    .language_version:
      - 2
      - 0
    .max_flat_workgroup_size: 256
    .name:           _ZN7rocprim17ROCPRIM_400000_NS6detail17trampoline_kernelINS0_14default_configENS1_22reduce_config_selectorIN6thrust23THRUST_200600_302600_NS5tupleIblNS6_9null_typeES8_S8_S8_S8_S8_S8_S8_EEEEZNS1_11reduce_implILb1ES3_NS6_12zip_iteratorINS7_INS6_11hip_rocprim26transform_input_iterator_tIbPN3c108BFloat16ENS6_6detail10functional5actorINSJ_9compositeIJNSJ_27transparent_binary_operatorINS6_8equal_toIvEEEENSK_INSJ_8argumentILj0EEEEENSJ_5valueISG_EEEEEEEEENSD_19counting_iterator_tIlEES8_S8_S8_S8_S8_S8_S8_S8_EEEEPS9_S9_NSD_9__find_if7functorIS9_EEEE10hipError_tPvRmT1_T2_T3_mT4_P12ihipStream_tbEUlT_E0_NS1_11comp_targetILNS1_3genE8ELNS1_11target_archE1030ELNS1_3gpuE2ELNS1_3repE0EEENS1_30default_config_static_selectorELNS0_4arch9wavefront6targetE1EEEvS19_
    .private_segment_fixed_size: 0
    .sgpr_count:     4
    .sgpr_spill_count: 0
    .symbol:         _ZN7rocprim17ROCPRIM_400000_NS6detail17trampoline_kernelINS0_14default_configENS1_22reduce_config_selectorIN6thrust23THRUST_200600_302600_NS5tupleIblNS6_9null_typeES8_S8_S8_S8_S8_S8_S8_EEEEZNS1_11reduce_implILb1ES3_NS6_12zip_iteratorINS7_INS6_11hip_rocprim26transform_input_iterator_tIbPN3c108BFloat16ENS6_6detail10functional5actorINSJ_9compositeIJNSJ_27transparent_binary_operatorINS6_8equal_toIvEEEENSK_INSJ_8argumentILj0EEEEENSJ_5valueISG_EEEEEEEEENSD_19counting_iterator_tIlEES8_S8_S8_S8_S8_S8_S8_S8_EEEEPS9_S9_NSD_9__find_if7functorIS9_EEEE10hipError_tPvRmT1_T2_T3_mT4_P12ihipStream_tbEUlT_E0_NS1_11comp_targetILNS1_3genE8ELNS1_11target_archE1030ELNS1_3gpuE2ELNS1_3repE0EEENS1_30default_config_static_selectorELNS0_4arch9wavefront6targetE1EEEvS19_.kd
    .uniform_work_group_size: 1
    .uses_dynamic_stack: false
    .vgpr_count:     0
    .vgpr_spill_count: 0
    .wavefront_size: 64
  - .agpr_count:     0
    .args:
      - .offset:         0
        .size:           72
        .value_kind:     by_value
    .group_segment_fixed_size: 0
    .kernarg_segment_align: 8
    .kernarg_segment_size: 72
    .language:       OpenCL C
    .language_version:
      - 2
      - 0
    .max_flat_workgroup_size: 128
    .name:           _ZN7rocprim17ROCPRIM_400000_NS6detail17trampoline_kernelINS0_14default_configENS1_22reduce_config_selectorIN6thrust23THRUST_200600_302600_NS5tupleIblNS6_9null_typeES8_S8_S8_S8_S8_S8_S8_EEEEZNS1_11reduce_implILb1ES3_NS6_12zip_iteratorINS7_INS6_11hip_rocprim26transform_input_iterator_tIbPN3c108BFloat16ENS6_6detail10functional5actorINSJ_9compositeIJNSJ_27transparent_binary_operatorINS6_8equal_toIvEEEENSK_INSJ_8argumentILj0EEEEENSJ_5valueISG_EEEEEEEEENSD_19counting_iterator_tIlEES8_S8_S8_S8_S8_S8_S8_S8_EEEEPS9_S9_NSD_9__find_if7functorIS9_EEEE10hipError_tPvRmT1_T2_T3_mT4_P12ihipStream_tbEUlT_E1_NS1_11comp_targetILNS1_3genE0ELNS1_11target_archE4294967295ELNS1_3gpuE0ELNS1_3repE0EEENS1_30default_config_static_selectorELNS0_4arch9wavefront6targetE1EEEvS19_
    .private_segment_fixed_size: 0
    .sgpr_count:     4
    .sgpr_spill_count: 0
    .symbol:         _ZN7rocprim17ROCPRIM_400000_NS6detail17trampoline_kernelINS0_14default_configENS1_22reduce_config_selectorIN6thrust23THRUST_200600_302600_NS5tupleIblNS6_9null_typeES8_S8_S8_S8_S8_S8_S8_EEEEZNS1_11reduce_implILb1ES3_NS6_12zip_iteratorINS7_INS6_11hip_rocprim26transform_input_iterator_tIbPN3c108BFloat16ENS6_6detail10functional5actorINSJ_9compositeIJNSJ_27transparent_binary_operatorINS6_8equal_toIvEEEENSK_INSJ_8argumentILj0EEEEENSJ_5valueISG_EEEEEEEEENSD_19counting_iterator_tIlEES8_S8_S8_S8_S8_S8_S8_S8_EEEEPS9_S9_NSD_9__find_if7functorIS9_EEEE10hipError_tPvRmT1_T2_T3_mT4_P12ihipStream_tbEUlT_E1_NS1_11comp_targetILNS1_3genE0ELNS1_11target_archE4294967295ELNS1_3gpuE0ELNS1_3repE0EEENS1_30default_config_static_selectorELNS0_4arch9wavefront6targetE1EEEvS19_.kd
    .uniform_work_group_size: 1
    .uses_dynamic_stack: false
    .vgpr_count:     0
    .vgpr_spill_count: 0
    .wavefront_size: 64
  - .agpr_count:     0
    .args:
      - .offset:         0
        .size:           72
        .value_kind:     by_value
    .group_segment_fixed_size: 0
    .kernarg_segment_align: 8
    .kernarg_segment_size: 72
    .language:       OpenCL C
    .language_version:
      - 2
      - 0
    .max_flat_workgroup_size: 256
    .name:           _ZN7rocprim17ROCPRIM_400000_NS6detail17trampoline_kernelINS0_14default_configENS1_22reduce_config_selectorIN6thrust23THRUST_200600_302600_NS5tupleIblNS6_9null_typeES8_S8_S8_S8_S8_S8_S8_EEEEZNS1_11reduce_implILb1ES3_NS6_12zip_iteratorINS7_INS6_11hip_rocprim26transform_input_iterator_tIbPN3c108BFloat16ENS6_6detail10functional5actorINSJ_9compositeIJNSJ_27transparent_binary_operatorINS6_8equal_toIvEEEENSK_INSJ_8argumentILj0EEEEENSJ_5valueISG_EEEEEEEEENSD_19counting_iterator_tIlEES8_S8_S8_S8_S8_S8_S8_S8_EEEEPS9_S9_NSD_9__find_if7functorIS9_EEEE10hipError_tPvRmT1_T2_T3_mT4_P12ihipStream_tbEUlT_E1_NS1_11comp_targetILNS1_3genE5ELNS1_11target_archE942ELNS1_3gpuE9ELNS1_3repE0EEENS1_30default_config_static_selectorELNS0_4arch9wavefront6targetE1EEEvS19_
    .private_segment_fixed_size: 0
    .sgpr_count:     4
    .sgpr_spill_count: 0
    .symbol:         _ZN7rocprim17ROCPRIM_400000_NS6detail17trampoline_kernelINS0_14default_configENS1_22reduce_config_selectorIN6thrust23THRUST_200600_302600_NS5tupleIblNS6_9null_typeES8_S8_S8_S8_S8_S8_S8_EEEEZNS1_11reduce_implILb1ES3_NS6_12zip_iteratorINS7_INS6_11hip_rocprim26transform_input_iterator_tIbPN3c108BFloat16ENS6_6detail10functional5actorINSJ_9compositeIJNSJ_27transparent_binary_operatorINS6_8equal_toIvEEEENSK_INSJ_8argumentILj0EEEEENSJ_5valueISG_EEEEEEEEENSD_19counting_iterator_tIlEES8_S8_S8_S8_S8_S8_S8_S8_EEEEPS9_S9_NSD_9__find_if7functorIS9_EEEE10hipError_tPvRmT1_T2_T3_mT4_P12ihipStream_tbEUlT_E1_NS1_11comp_targetILNS1_3genE5ELNS1_11target_archE942ELNS1_3gpuE9ELNS1_3repE0EEENS1_30default_config_static_selectorELNS0_4arch9wavefront6targetE1EEEvS19_.kd
    .uniform_work_group_size: 1
    .uses_dynamic_stack: false
    .vgpr_count:     0
    .vgpr_spill_count: 0
    .wavefront_size: 64
  - .agpr_count:     0
    .args:
      - .offset:         0
        .size:           72
        .value_kind:     by_value
    .group_segment_fixed_size: 320
    .kernarg_segment_align: 8
    .kernarg_segment_size: 72
    .language:       OpenCL C
    .language_version:
      - 2
      - 0
    .max_flat_workgroup_size: 256
    .name:           _ZN7rocprim17ROCPRIM_400000_NS6detail17trampoline_kernelINS0_14default_configENS1_22reduce_config_selectorIN6thrust23THRUST_200600_302600_NS5tupleIblNS6_9null_typeES8_S8_S8_S8_S8_S8_S8_EEEEZNS1_11reduce_implILb1ES3_NS6_12zip_iteratorINS7_INS6_11hip_rocprim26transform_input_iterator_tIbPN3c108BFloat16ENS6_6detail10functional5actorINSJ_9compositeIJNSJ_27transparent_binary_operatorINS6_8equal_toIvEEEENSK_INSJ_8argumentILj0EEEEENSJ_5valueISG_EEEEEEEEENSD_19counting_iterator_tIlEES8_S8_S8_S8_S8_S8_S8_S8_EEEEPS9_S9_NSD_9__find_if7functorIS9_EEEE10hipError_tPvRmT1_T2_T3_mT4_P12ihipStream_tbEUlT_E1_NS1_11comp_targetILNS1_3genE4ELNS1_11target_archE910ELNS1_3gpuE8ELNS1_3repE0EEENS1_30default_config_static_selectorELNS0_4arch9wavefront6targetE1EEEvS19_
    .private_segment_fixed_size: 0
    .sgpr_count:     44
    .sgpr_spill_count: 0
    .symbol:         _ZN7rocprim17ROCPRIM_400000_NS6detail17trampoline_kernelINS0_14default_configENS1_22reduce_config_selectorIN6thrust23THRUST_200600_302600_NS5tupleIblNS6_9null_typeES8_S8_S8_S8_S8_S8_S8_EEEEZNS1_11reduce_implILb1ES3_NS6_12zip_iteratorINS7_INS6_11hip_rocprim26transform_input_iterator_tIbPN3c108BFloat16ENS6_6detail10functional5actorINSJ_9compositeIJNSJ_27transparent_binary_operatorINS6_8equal_toIvEEEENSK_INSJ_8argumentILj0EEEEENSJ_5valueISG_EEEEEEEEENSD_19counting_iterator_tIlEES8_S8_S8_S8_S8_S8_S8_S8_EEEEPS9_S9_NSD_9__find_if7functorIS9_EEEE10hipError_tPvRmT1_T2_T3_mT4_P12ihipStream_tbEUlT_E1_NS1_11comp_targetILNS1_3genE4ELNS1_11target_archE910ELNS1_3gpuE8ELNS1_3repE0EEENS1_30default_config_static_selectorELNS0_4arch9wavefront6targetE1EEEvS19_.kd
    .uniform_work_group_size: 1
    .uses_dynamic_stack: false
    .vgpr_count:     27
    .vgpr_spill_count: 0
    .wavefront_size: 64
  - .agpr_count:     0
    .args:
      - .offset:         0
        .size:           72
        .value_kind:     by_value
    .group_segment_fixed_size: 0
    .kernarg_segment_align: 8
    .kernarg_segment_size: 72
    .language:       OpenCL C
    .language_version:
      - 2
      - 0
    .max_flat_workgroup_size: 128
    .name:           _ZN7rocprim17ROCPRIM_400000_NS6detail17trampoline_kernelINS0_14default_configENS1_22reduce_config_selectorIN6thrust23THRUST_200600_302600_NS5tupleIblNS6_9null_typeES8_S8_S8_S8_S8_S8_S8_EEEEZNS1_11reduce_implILb1ES3_NS6_12zip_iteratorINS7_INS6_11hip_rocprim26transform_input_iterator_tIbPN3c108BFloat16ENS6_6detail10functional5actorINSJ_9compositeIJNSJ_27transparent_binary_operatorINS6_8equal_toIvEEEENSK_INSJ_8argumentILj0EEEEENSJ_5valueISG_EEEEEEEEENSD_19counting_iterator_tIlEES8_S8_S8_S8_S8_S8_S8_S8_EEEEPS9_S9_NSD_9__find_if7functorIS9_EEEE10hipError_tPvRmT1_T2_T3_mT4_P12ihipStream_tbEUlT_E1_NS1_11comp_targetILNS1_3genE3ELNS1_11target_archE908ELNS1_3gpuE7ELNS1_3repE0EEENS1_30default_config_static_selectorELNS0_4arch9wavefront6targetE1EEEvS19_
    .private_segment_fixed_size: 0
    .sgpr_count:     4
    .sgpr_spill_count: 0
    .symbol:         _ZN7rocprim17ROCPRIM_400000_NS6detail17trampoline_kernelINS0_14default_configENS1_22reduce_config_selectorIN6thrust23THRUST_200600_302600_NS5tupleIblNS6_9null_typeES8_S8_S8_S8_S8_S8_S8_EEEEZNS1_11reduce_implILb1ES3_NS6_12zip_iteratorINS7_INS6_11hip_rocprim26transform_input_iterator_tIbPN3c108BFloat16ENS6_6detail10functional5actorINSJ_9compositeIJNSJ_27transparent_binary_operatorINS6_8equal_toIvEEEENSK_INSJ_8argumentILj0EEEEENSJ_5valueISG_EEEEEEEEENSD_19counting_iterator_tIlEES8_S8_S8_S8_S8_S8_S8_S8_EEEEPS9_S9_NSD_9__find_if7functorIS9_EEEE10hipError_tPvRmT1_T2_T3_mT4_P12ihipStream_tbEUlT_E1_NS1_11comp_targetILNS1_3genE3ELNS1_11target_archE908ELNS1_3gpuE7ELNS1_3repE0EEENS1_30default_config_static_selectorELNS0_4arch9wavefront6targetE1EEEvS19_.kd
    .uniform_work_group_size: 1
    .uses_dynamic_stack: false
    .vgpr_count:     0
    .vgpr_spill_count: 0
    .wavefront_size: 64
  - .agpr_count:     0
    .args:
      - .offset:         0
        .size:           72
        .value_kind:     by_value
    .group_segment_fixed_size: 0
    .kernarg_segment_align: 8
    .kernarg_segment_size: 72
    .language:       OpenCL C
    .language_version:
      - 2
      - 0
    .max_flat_workgroup_size: 128
    .name:           _ZN7rocprim17ROCPRIM_400000_NS6detail17trampoline_kernelINS0_14default_configENS1_22reduce_config_selectorIN6thrust23THRUST_200600_302600_NS5tupleIblNS6_9null_typeES8_S8_S8_S8_S8_S8_S8_EEEEZNS1_11reduce_implILb1ES3_NS6_12zip_iteratorINS7_INS6_11hip_rocprim26transform_input_iterator_tIbPN3c108BFloat16ENS6_6detail10functional5actorINSJ_9compositeIJNSJ_27transparent_binary_operatorINS6_8equal_toIvEEEENSK_INSJ_8argumentILj0EEEEENSJ_5valueISG_EEEEEEEEENSD_19counting_iterator_tIlEES8_S8_S8_S8_S8_S8_S8_S8_EEEEPS9_S9_NSD_9__find_if7functorIS9_EEEE10hipError_tPvRmT1_T2_T3_mT4_P12ihipStream_tbEUlT_E1_NS1_11comp_targetILNS1_3genE2ELNS1_11target_archE906ELNS1_3gpuE6ELNS1_3repE0EEENS1_30default_config_static_selectorELNS0_4arch9wavefront6targetE1EEEvS19_
    .private_segment_fixed_size: 0
    .sgpr_count:     4
    .sgpr_spill_count: 0
    .symbol:         _ZN7rocprim17ROCPRIM_400000_NS6detail17trampoline_kernelINS0_14default_configENS1_22reduce_config_selectorIN6thrust23THRUST_200600_302600_NS5tupleIblNS6_9null_typeES8_S8_S8_S8_S8_S8_S8_EEEEZNS1_11reduce_implILb1ES3_NS6_12zip_iteratorINS7_INS6_11hip_rocprim26transform_input_iterator_tIbPN3c108BFloat16ENS6_6detail10functional5actorINSJ_9compositeIJNSJ_27transparent_binary_operatorINS6_8equal_toIvEEEENSK_INSJ_8argumentILj0EEEEENSJ_5valueISG_EEEEEEEEENSD_19counting_iterator_tIlEES8_S8_S8_S8_S8_S8_S8_S8_EEEEPS9_S9_NSD_9__find_if7functorIS9_EEEE10hipError_tPvRmT1_T2_T3_mT4_P12ihipStream_tbEUlT_E1_NS1_11comp_targetILNS1_3genE2ELNS1_11target_archE906ELNS1_3gpuE6ELNS1_3repE0EEENS1_30default_config_static_selectorELNS0_4arch9wavefront6targetE1EEEvS19_.kd
    .uniform_work_group_size: 1
    .uses_dynamic_stack: false
    .vgpr_count:     0
    .vgpr_spill_count: 0
    .wavefront_size: 64
  - .agpr_count:     0
    .args:
      - .offset:         0
        .size:           72
        .value_kind:     by_value
    .group_segment_fixed_size: 0
    .kernarg_segment_align: 8
    .kernarg_segment_size: 72
    .language:       OpenCL C
    .language_version:
      - 2
      - 0
    .max_flat_workgroup_size: 256
    .name:           _ZN7rocprim17ROCPRIM_400000_NS6detail17trampoline_kernelINS0_14default_configENS1_22reduce_config_selectorIN6thrust23THRUST_200600_302600_NS5tupleIblNS6_9null_typeES8_S8_S8_S8_S8_S8_S8_EEEEZNS1_11reduce_implILb1ES3_NS6_12zip_iteratorINS7_INS6_11hip_rocprim26transform_input_iterator_tIbPN3c108BFloat16ENS6_6detail10functional5actorINSJ_9compositeIJNSJ_27transparent_binary_operatorINS6_8equal_toIvEEEENSK_INSJ_8argumentILj0EEEEENSJ_5valueISG_EEEEEEEEENSD_19counting_iterator_tIlEES8_S8_S8_S8_S8_S8_S8_S8_EEEEPS9_S9_NSD_9__find_if7functorIS9_EEEE10hipError_tPvRmT1_T2_T3_mT4_P12ihipStream_tbEUlT_E1_NS1_11comp_targetILNS1_3genE10ELNS1_11target_archE1201ELNS1_3gpuE5ELNS1_3repE0EEENS1_30default_config_static_selectorELNS0_4arch9wavefront6targetE1EEEvS19_
    .private_segment_fixed_size: 0
    .sgpr_count:     4
    .sgpr_spill_count: 0
    .symbol:         _ZN7rocprim17ROCPRIM_400000_NS6detail17trampoline_kernelINS0_14default_configENS1_22reduce_config_selectorIN6thrust23THRUST_200600_302600_NS5tupleIblNS6_9null_typeES8_S8_S8_S8_S8_S8_S8_EEEEZNS1_11reduce_implILb1ES3_NS6_12zip_iteratorINS7_INS6_11hip_rocprim26transform_input_iterator_tIbPN3c108BFloat16ENS6_6detail10functional5actorINSJ_9compositeIJNSJ_27transparent_binary_operatorINS6_8equal_toIvEEEENSK_INSJ_8argumentILj0EEEEENSJ_5valueISG_EEEEEEEEENSD_19counting_iterator_tIlEES8_S8_S8_S8_S8_S8_S8_S8_EEEEPS9_S9_NSD_9__find_if7functorIS9_EEEE10hipError_tPvRmT1_T2_T3_mT4_P12ihipStream_tbEUlT_E1_NS1_11comp_targetILNS1_3genE10ELNS1_11target_archE1201ELNS1_3gpuE5ELNS1_3repE0EEENS1_30default_config_static_selectorELNS0_4arch9wavefront6targetE1EEEvS19_.kd
    .uniform_work_group_size: 1
    .uses_dynamic_stack: false
    .vgpr_count:     0
    .vgpr_spill_count: 0
    .wavefront_size: 64
  - .agpr_count:     0
    .args:
      - .offset:         0
        .size:           72
        .value_kind:     by_value
    .group_segment_fixed_size: 0
    .kernarg_segment_align: 8
    .kernarg_segment_size: 72
    .language:       OpenCL C
    .language_version:
      - 2
      - 0
    .max_flat_workgroup_size: 256
    .name:           _ZN7rocprim17ROCPRIM_400000_NS6detail17trampoline_kernelINS0_14default_configENS1_22reduce_config_selectorIN6thrust23THRUST_200600_302600_NS5tupleIblNS6_9null_typeES8_S8_S8_S8_S8_S8_S8_EEEEZNS1_11reduce_implILb1ES3_NS6_12zip_iteratorINS7_INS6_11hip_rocprim26transform_input_iterator_tIbPN3c108BFloat16ENS6_6detail10functional5actorINSJ_9compositeIJNSJ_27transparent_binary_operatorINS6_8equal_toIvEEEENSK_INSJ_8argumentILj0EEEEENSJ_5valueISG_EEEEEEEEENSD_19counting_iterator_tIlEES8_S8_S8_S8_S8_S8_S8_S8_EEEEPS9_S9_NSD_9__find_if7functorIS9_EEEE10hipError_tPvRmT1_T2_T3_mT4_P12ihipStream_tbEUlT_E1_NS1_11comp_targetILNS1_3genE10ELNS1_11target_archE1200ELNS1_3gpuE4ELNS1_3repE0EEENS1_30default_config_static_selectorELNS0_4arch9wavefront6targetE1EEEvS19_
    .private_segment_fixed_size: 0
    .sgpr_count:     4
    .sgpr_spill_count: 0
    .symbol:         _ZN7rocprim17ROCPRIM_400000_NS6detail17trampoline_kernelINS0_14default_configENS1_22reduce_config_selectorIN6thrust23THRUST_200600_302600_NS5tupleIblNS6_9null_typeES8_S8_S8_S8_S8_S8_S8_EEEEZNS1_11reduce_implILb1ES3_NS6_12zip_iteratorINS7_INS6_11hip_rocprim26transform_input_iterator_tIbPN3c108BFloat16ENS6_6detail10functional5actorINSJ_9compositeIJNSJ_27transparent_binary_operatorINS6_8equal_toIvEEEENSK_INSJ_8argumentILj0EEEEENSJ_5valueISG_EEEEEEEEENSD_19counting_iterator_tIlEES8_S8_S8_S8_S8_S8_S8_S8_EEEEPS9_S9_NSD_9__find_if7functorIS9_EEEE10hipError_tPvRmT1_T2_T3_mT4_P12ihipStream_tbEUlT_E1_NS1_11comp_targetILNS1_3genE10ELNS1_11target_archE1200ELNS1_3gpuE4ELNS1_3repE0EEENS1_30default_config_static_selectorELNS0_4arch9wavefront6targetE1EEEvS19_.kd
    .uniform_work_group_size: 1
    .uses_dynamic_stack: false
    .vgpr_count:     0
    .vgpr_spill_count: 0
    .wavefront_size: 64
  - .agpr_count:     0
    .args:
      - .offset:         0
        .size:           72
        .value_kind:     by_value
    .group_segment_fixed_size: 0
    .kernarg_segment_align: 8
    .kernarg_segment_size: 72
    .language:       OpenCL C
    .language_version:
      - 2
      - 0
    .max_flat_workgroup_size: 256
    .name:           _ZN7rocprim17ROCPRIM_400000_NS6detail17trampoline_kernelINS0_14default_configENS1_22reduce_config_selectorIN6thrust23THRUST_200600_302600_NS5tupleIblNS6_9null_typeES8_S8_S8_S8_S8_S8_S8_EEEEZNS1_11reduce_implILb1ES3_NS6_12zip_iteratorINS7_INS6_11hip_rocprim26transform_input_iterator_tIbPN3c108BFloat16ENS6_6detail10functional5actorINSJ_9compositeIJNSJ_27transparent_binary_operatorINS6_8equal_toIvEEEENSK_INSJ_8argumentILj0EEEEENSJ_5valueISG_EEEEEEEEENSD_19counting_iterator_tIlEES8_S8_S8_S8_S8_S8_S8_S8_EEEEPS9_S9_NSD_9__find_if7functorIS9_EEEE10hipError_tPvRmT1_T2_T3_mT4_P12ihipStream_tbEUlT_E1_NS1_11comp_targetILNS1_3genE9ELNS1_11target_archE1100ELNS1_3gpuE3ELNS1_3repE0EEENS1_30default_config_static_selectorELNS0_4arch9wavefront6targetE1EEEvS19_
    .private_segment_fixed_size: 0
    .sgpr_count:     4
    .sgpr_spill_count: 0
    .symbol:         _ZN7rocprim17ROCPRIM_400000_NS6detail17trampoline_kernelINS0_14default_configENS1_22reduce_config_selectorIN6thrust23THRUST_200600_302600_NS5tupleIblNS6_9null_typeES8_S8_S8_S8_S8_S8_S8_EEEEZNS1_11reduce_implILb1ES3_NS6_12zip_iteratorINS7_INS6_11hip_rocprim26transform_input_iterator_tIbPN3c108BFloat16ENS6_6detail10functional5actorINSJ_9compositeIJNSJ_27transparent_binary_operatorINS6_8equal_toIvEEEENSK_INSJ_8argumentILj0EEEEENSJ_5valueISG_EEEEEEEEENSD_19counting_iterator_tIlEES8_S8_S8_S8_S8_S8_S8_S8_EEEEPS9_S9_NSD_9__find_if7functorIS9_EEEE10hipError_tPvRmT1_T2_T3_mT4_P12ihipStream_tbEUlT_E1_NS1_11comp_targetILNS1_3genE9ELNS1_11target_archE1100ELNS1_3gpuE3ELNS1_3repE0EEENS1_30default_config_static_selectorELNS0_4arch9wavefront6targetE1EEEvS19_.kd
    .uniform_work_group_size: 1
    .uses_dynamic_stack: false
    .vgpr_count:     0
    .vgpr_spill_count: 0
    .wavefront_size: 64
  - .agpr_count:     0
    .args:
      - .offset:         0
        .size:           72
        .value_kind:     by_value
    .group_segment_fixed_size: 0
    .kernarg_segment_align: 8
    .kernarg_segment_size: 72
    .language:       OpenCL C
    .language_version:
      - 2
      - 0
    .max_flat_workgroup_size: 256
    .name:           _ZN7rocprim17ROCPRIM_400000_NS6detail17trampoline_kernelINS0_14default_configENS1_22reduce_config_selectorIN6thrust23THRUST_200600_302600_NS5tupleIblNS6_9null_typeES8_S8_S8_S8_S8_S8_S8_EEEEZNS1_11reduce_implILb1ES3_NS6_12zip_iteratorINS7_INS6_11hip_rocprim26transform_input_iterator_tIbPN3c108BFloat16ENS6_6detail10functional5actorINSJ_9compositeIJNSJ_27transparent_binary_operatorINS6_8equal_toIvEEEENSK_INSJ_8argumentILj0EEEEENSJ_5valueISG_EEEEEEEEENSD_19counting_iterator_tIlEES8_S8_S8_S8_S8_S8_S8_S8_EEEEPS9_S9_NSD_9__find_if7functorIS9_EEEE10hipError_tPvRmT1_T2_T3_mT4_P12ihipStream_tbEUlT_E1_NS1_11comp_targetILNS1_3genE8ELNS1_11target_archE1030ELNS1_3gpuE2ELNS1_3repE0EEENS1_30default_config_static_selectorELNS0_4arch9wavefront6targetE1EEEvS19_
    .private_segment_fixed_size: 0
    .sgpr_count:     4
    .sgpr_spill_count: 0
    .symbol:         _ZN7rocprim17ROCPRIM_400000_NS6detail17trampoline_kernelINS0_14default_configENS1_22reduce_config_selectorIN6thrust23THRUST_200600_302600_NS5tupleIblNS6_9null_typeES8_S8_S8_S8_S8_S8_S8_EEEEZNS1_11reduce_implILb1ES3_NS6_12zip_iteratorINS7_INS6_11hip_rocprim26transform_input_iterator_tIbPN3c108BFloat16ENS6_6detail10functional5actorINSJ_9compositeIJNSJ_27transparent_binary_operatorINS6_8equal_toIvEEEENSK_INSJ_8argumentILj0EEEEENSJ_5valueISG_EEEEEEEEENSD_19counting_iterator_tIlEES8_S8_S8_S8_S8_S8_S8_S8_EEEEPS9_S9_NSD_9__find_if7functorIS9_EEEE10hipError_tPvRmT1_T2_T3_mT4_P12ihipStream_tbEUlT_E1_NS1_11comp_targetILNS1_3genE8ELNS1_11target_archE1030ELNS1_3gpuE2ELNS1_3repE0EEENS1_30default_config_static_selectorELNS0_4arch9wavefront6targetE1EEEvS19_.kd
    .uniform_work_group_size: 1
    .uses_dynamic_stack: false
    .vgpr_count:     0
    .vgpr_spill_count: 0
    .wavefront_size: 64
  - .agpr_count:     0
    .args:           []
    .group_segment_fixed_size: 0
    .kernarg_segment_align: 4
    .kernarg_segment_size: 0
    .language:       OpenCL C
    .language_version:
      - 2
      - 0
    .max_flat_workgroup_size: 1024
    .name:           _ZN7rocprim17ROCPRIM_400000_NS6detail44device_merge_sort_compile_time_verifier_archINS1_11comp_targetILNS1_3genE0ELNS1_11target_archE4294967295ELNS1_3gpuE0ELNS1_3repE0EEES8_NS0_14default_configES9_NS1_37merge_sort_block_sort_config_selectorIN3c104HalfElEENS1_38merge_sort_block_merge_config_selectorISC_lEEEEvv
    .private_segment_fixed_size: 0
    .sgpr_count:     4
    .sgpr_spill_count: 0
    .symbol:         _ZN7rocprim17ROCPRIM_400000_NS6detail44device_merge_sort_compile_time_verifier_archINS1_11comp_targetILNS1_3genE0ELNS1_11target_archE4294967295ELNS1_3gpuE0ELNS1_3repE0EEES8_NS0_14default_configES9_NS1_37merge_sort_block_sort_config_selectorIN3c104HalfElEENS1_38merge_sort_block_merge_config_selectorISC_lEEEEvv.kd
    .uniform_work_group_size: 1
    .uses_dynamic_stack: false
    .vgpr_count:     0
    .vgpr_spill_count: 0
    .wavefront_size: 64
  - .agpr_count:     0
    .args:           []
    .group_segment_fixed_size: 0
    .kernarg_segment_align: 4
    .kernarg_segment_size: 0
    .language:       OpenCL C
    .language_version:
      - 2
      - 0
    .max_flat_workgroup_size: 1024
    .name:           _ZN7rocprim17ROCPRIM_400000_NS6detail44device_merge_sort_compile_time_verifier_archINS1_11comp_targetILNS1_3genE5ELNS1_11target_archE942ELNS1_3gpuE9ELNS1_3repE0EEES8_NS0_14default_configES9_NS1_37merge_sort_block_sort_config_selectorIN3c104HalfElEENS1_38merge_sort_block_merge_config_selectorISC_lEEEEvv
    .private_segment_fixed_size: 0
    .sgpr_count:     4
    .sgpr_spill_count: 0
    .symbol:         _ZN7rocprim17ROCPRIM_400000_NS6detail44device_merge_sort_compile_time_verifier_archINS1_11comp_targetILNS1_3genE5ELNS1_11target_archE942ELNS1_3gpuE9ELNS1_3repE0EEES8_NS0_14default_configES9_NS1_37merge_sort_block_sort_config_selectorIN3c104HalfElEENS1_38merge_sort_block_merge_config_selectorISC_lEEEEvv.kd
    .uniform_work_group_size: 1
    .uses_dynamic_stack: false
    .vgpr_count:     0
    .vgpr_spill_count: 0
    .wavefront_size: 64
  - .agpr_count:     0
    .args:           []
    .group_segment_fixed_size: 0
    .kernarg_segment_align: 4
    .kernarg_segment_size: 0
    .language:       OpenCL C
    .language_version:
      - 2
      - 0
    .max_flat_workgroup_size: 1024
    .name:           _ZN7rocprim17ROCPRIM_400000_NS6detail44device_merge_sort_compile_time_verifier_archINS1_11comp_targetILNS1_3genE4ELNS1_11target_archE910ELNS1_3gpuE8ELNS1_3repE0EEES8_NS0_14default_configES9_NS1_37merge_sort_block_sort_config_selectorIN3c104HalfElEENS1_38merge_sort_block_merge_config_selectorISC_lEEEEvv
    .private_segment_fixed_size: 0
    .sgpr_count:     4
    .sgpr_spill_count: 0
    .symbol:         _ZN7rocprim17ROCPRIM_400000_NS6detail44device_merge_sort_compile_time_verifier_archINS1_11comp_targetILNS1_3genE4ELNS1_11target_archE910ELNS1_3gpuE8ELNS1_3repE0EEES8_NS0_14default_configES9_NS1_37merge_sort_block_sort_config_selectorIN3c104HalfElEENS1_38merge_sort_block_merge_config_selectorISC_lEEEEvv.kd
    .uniform_work_group_size: 1
    .uses_dynamic_stack: false
    .vgpr_count:     0
    .vgpr_spill_count: 0
    .wavefront_size: 64
  - .agpr_count:     0
    .args:           []
    .group_segment_fixed_size: 0
    .kernarg_segment_align: 4
    .kernarg_segment_size: 0
    .language:       OpenCL C
    .language_version:
      - 2
      - 0
    .max_flat_workgroup_size: 1024
    .name:           _ZN7rocprim17ROCPRIM_400000_NS6detail44device_merge_sort_compile_time_verifier_archINS1_11comp_targetILNS1_3genE3ELNS1_11target_archE908ELNS1_3gpuE7ELNS1_3repE0EEES8_NS0_14default_configES9_NS1_37merge_sort_block_sort_config_selectorIN3c104HalfElEENS1_38merge_sort_block_merge_config_selectorISC_lEEEEvv
    .private_segment_fixed_size: 0
    .sgpr_count:     4
    .sgpr_spill_count: 0
    .symbol:         _ZN7rocprim17ROCPRIM_400000_NS6detail44device_merge_sort_compile_time_verifier_archINS1_11comp_targetILNS1_3genE3ELNS1_11target_archE908ELNS1_3gpuE7ELNS1_3repE0EEES8_NS0_14default_configES9_NS1_37merge_sort_block_sort_config_selectorIN3c104HalfElEENS1_38merge_sort_block_merge_config_selectorISC_lEEEEvv.kd
    .uniform_work_group_size: 1
    .uses_dynamic_stack: false
    .vgpr_count:     0
    .vgpr_spill_count: 0
    .wavefront_size: 64
  - .agpr_count:     0
    .args:           []
    .group_segment_fixed_size: 0
    .kernarg_segment_align: 4
    .kernarg_segment_size: 0
    .language:       OpenCL C
    .language_version:
      - 2
      - 0
    .max_flat_workgroup_size: 1024
    .name:           _ZN7rocprim17ROCPRIM_400000_NS6detail44device_merge_sort_compile_time_verifier_archINS1_11comp_targetILNS1_3genE2ELNS1_11target_archE906ELNS1_3gpuE6ELNS1_3repE0EEES8_NS0_14default_configES9_NS1_37merge_sort_block_sort_config_selectorIN3c104HalfElEENS1_38merge_sort_block_merge_config_selectorISC_lEEEEvv
    .private_segment_fixed_size: 0
    .sgpr_count:     4
    .sgpr_spill_count: 0
    .symbol:         _ZN7rocprim17ROCPRIM_400000_NS6detail44device_merge_sort_compile_time_verifier_archINS1_11comp_targetILNS1_3genE2ELNS1_11target_archE906ELNS1_3gpuE6ELNS1_3repE0EEES8_NS0_14default_configES9_NS1_37merge_sort_block_sort_config_selectorIN3c104HalfElEENS1_38merge_sort_block_merge_config_selectorISC_lEEEEvv.kd
    .uniform_work_group_size: 1
    .uses_dynamic_stack: false
    .vgpr_count:     0
    .vgpr_spill_count: 0
    .wavefront_size: 64
  - .agpr_count:     0
    .args:           []
    .group_segment_fixed_size: 0
    .kernarg_segment_align: 4
    .kernarg_segment_size: 0
    .language:       OpenCL C
    .language_version:
      - 2
      - 0
    .max_flat_workgroup_size: 1024
    .name:           _ZN7rocprim17ROCPRIM_400000_NS6detail44device_merge_sort_compile_time_verifier_archINS1_11comp_targetILNS1_3genE10ELNS1_11target_archE1201ELNS1_3gpuE5ELNS1_3repE0EEES8_NS0_14default_configES9_NS1_37merge_sort_block_sort_config_selectorIN3c104HalfElEENS1_38merge_sort_block_merge_config_selectorISC_lEEEEvv
    .private_segment_fixed_size: 0
    .sgpr_count:     4
    .sgpr_spill_count: 0
    .symbol:         _ZN7rocprim17ROCPRIM_400000_NS6detail44device_merge_sort_compile_time_verifier_archINS1_11comp_targetILNS1_3genE10ELNS1_11target_archE1201ELNS1_3gpuE5ELNS1_3repE0EEES8_NS0_14default_configES9_NS1_37merge_sort_block_sort_config_selectorIN3c104HalfElEENS1_38merge_sort_block_merge_config_selectorISC_lEEEEvv.kd
    .uniform_work_group_size: 1
    .uses_dynamic_stack: false
    .vgpr_count:     0
    .vgpr_spill_count: 0
    .wavefront_size: 64
  - .agpr_count:     0
    .args:           []
    .group_segment_fixed_size: 0
    .kernarg_segment_align: 4
    .kernarg_segment_size: 0
    .language:       OpenCL C
    .language_version:
      - 2
      - 0
    .max_flat_workgroup_size: 1024
    .name:           _ZN7rocprim17ROCPRIM_400000_NS6detail44device_merge_sort_compile_time_verifier_archINS1_11comp_targetILNS1_3genE10ELNS1_11target_archE1200ELNS1_3gpuE4ELNS1_3repE0EEENS3_ILS4_10ELS5_1201ELS6_5ELS7_0EEENS0_14default_configESA_NS1_37merge_sort_block_sort_config_selectorIN3c104HalfElEENS1_38merge_sort_block_merge_config_selectorISD_lEEEEvv
    .private_segment_fixed_size: 0
    .sgpr_count:     4
    .sgpr_spill_count: 0
    .symbol:         _ZN7rocprim17ROCPRIM_400000_NS6detail44device_merge_sort_compile_time_verifier_archINS1_11comp_targetILNS1_3genE10ELNS1_11target_archE1200ELNS1_3gpuE4ELNS1_3repE0EEENS3_ILS4_10ELS5_1201ELS6_5ELS7_0EEENS0_14default_configESA_NS1_37merge_sort_block_sort_config_selectorIN3c104HalfElEENS1_38merge_sort_block_merge_config_selectorISD_lEEEEvv.kd
    .uniform_work_group_size: 1
    .uses_dynamic_stack: false
    .vgpr_count:     0
    .vgpr_spill_count: 0
    .wavefront_size: 64
  - .agpr_count:     0
    .args:           []
    .group_segment_fixed_size: 0
    .kernarg_segment_align: 4
    .kernarg_segment_size: 0
    .language:       OpenCL C
    .language_version:
      - 2
      - 0
    .max_flat_workgroup_size: 1024
    .name:           _ZN7rocprim17ROCPRIM_400000_NS6detail44device_merge_sort_compile_time_verifier_archINS1_11comp_targetILNS1_3genE9ELNS1_11target_archE1100ELNS1_3gpuE3ELNS1_3repE0EEES8_NS0_14default_configES9_NS1_37merge_sort_block_sort_config_selectorIN3c104HalfElEENS1_38merge_sort_block_merge_config_selectorISC_lEEEEvv
    .private_segment_fixed_size: 0
    .sgpr_count:     4
    .sgpr_spill_count: 0
    .symbol:         _ZN7rocprim17ROCPRIM_400000_NS6detail44device_merge_sort_compile_time_verifier_archINS1_11comp_targetILNS1_3genE9ELNS1_11target_archE1100ELNS1_3gpuE3ELNS1_3repE0EEES8_NS0_14default_configES9_NS1_37merge_sort_block_sort_config_selectorIN3c104HalfElEENS1_38merge_sort_block_merge_config_selectorISC_lEEEEvv.kd
    .uniform_work_group_size: 1
    .uses_dynamic_stack: false
    .vgpr_count:     0
    .vgpr_spill_count: 0
    .wavefront_size: 64
  - .agpr_count:     0
    .args:           []
    .group_segment_fixed_size: 0
    .kernarg_segment_align: 4
    .kernarg_segment_size: 0
    .language:       OpenCL C
    .language_version:
      - 2
      - 0
    .max_flat_workgroup_size: 1024
    .name:           _ZN7rocprim17ROCPRIM_400000_NS6detail44device_merge_sort_compile_time_verifier_archINS1_11comp_targetILNS1_3genE8ELNS1_11target_archE1030ELNS1_3gpuE2ELNS1_3repE0EEES8_NS0_14default_configES9_NS1_37merge_sort_block_sort_config_selectorIN3c104HalfElEENS1_38merge_sort_block_merge_config_selectorISC_lEEEEvv
    .private_segment_fixed_size: 0
    .sgpr_count:     4
    .sgpr_spill_count: 0
    .symbol:         _ZN7rocprim17ROCPRIM_400000_NS6detail44device_merge_sort_compile_time_verifier_archINS1_11comp_targetILNS1_3genE8ELNS1_11target_archE1030ELNS1_3gpuE2ELNS1_3repE0EEES8_NS0_14default_configES9_NS1_37merge_sort_block_sort_config_selectorIN3c104HalfElEENS1_38merge_sort_block_merge_config_selectorISC_lEEEEvv.kd
    .uniform_work_group_size: 1
    .uses_dynamic_stack: false
    .vgpr_count:     0
    .vgpr_spill_count: 0
    .wavefront_size: 64
  - .agpr_count:     0
    .args:
      - .offset:         0
        .size:           64
        .value_kind:     by_value
    .group_segment_fixed_size: 0
    .kernarg_segment_align: 8
    .kernarg_segment_size: 64
    .language:       OpenCL C
    .language_version:
      - 2
      - 0
    .max_flat_workgroup_size: 256
    .name:           _ZN7rocprim17ROCPRIM_400000_NS6detail17trampoline_kernelINS0_14default_configENS1_37merge_sort_block_sort_config_selectorIN3c104HalfElEEZNS1_21merge_sort_block_sortIS3_PS6_S9_N6thrust23THRUST_200600_302600_NS10device_ptrIlEESD_NSB_4lessIS6_EEEE10hipError_tT0_T1_T2_T3_mRjT4_P12ihipStream_tbNS1_7vsmem_tEEUlT_E_NS1_11comp_targetILNS1_3genE0ELNS1_11target_archE4294967295ELNS1_3gpuE0ELNS1_3repE0EEENS1_30default_config_static_selectorELNS0_4arch9wavefront6targetE1EEEvSI_
    .private_segment_fixed_size: 0
    .sgpr_count:     4
    .sgpr_spill_count: 0
    .symbol:         _ZN7rocprim17ROCPRIM_400000_NS6detail17trampoline_kernelINS0_14default_configENS1_37merge_sort_block_sort_config_selectorIN3c104HalfElEEZNS1_21merge_sort_block_sortIS3_PS6_S9_N6thrust23THRUST_200600_302600_NS10device_ptrIlEESD_NSB_4lessIS6_EEEE10hipError_tT0_T1_T2_T3_mRjT4_P12ihipStream_tbNS1_7vsmem_tEEUlT_E_NS1_11comp_targetILNS1_3genE0ELNS1_11target_archE4294967295ELNS1_3gpuE0ELNS1_3repE0EEENS1_30default_config_static_selectorELNS0_4arch9wavefront6targetE1EEEvSI_.kd
    .uniform_work_group_size: 1
    .uses_dynamic_stack: false
    .vgpr_count:     0
    .vgpr_spill_count: 0
    .wavefront_size: 64
  - .agpr_count:     0
    .args:
      - .offset:         0
        .size:           64
        .value_kind:     by_value
    .group_segment_fixed_size: 0
    .kernarg_segment_align: 8
    .kernarg_segment_size: 64
    .language:       OpenCL C
    .language_version:
      - 2
      - 0
    .max_flat_workgroup_size: 256
    .name:           _ZN7rocprim17ROCPRIM_400000_NS6detail17trampoline_kernelINS0_14default_configENS1_37merge_sort_block_sort_config_selectorIN3c104HalfElEEZNS1_21merge_sort_block_sortIS3_PS6_S9_N6thrust23THRUST_200600_302600_NS10device_ptrIlEESD_NSB_4lessIS6_EEEE10hipError_tT0_T1_T2_T3_mRjT4_P12ihipStream_tbNS1_7vsmem_tEEUlT_E_NS1_11comp_targetILNS1_3genE5ELNS1_11target_archE942ELNS1_3gpuE9ELNS1_3repE0EEENS1_30default_config_static_selectorELNS0_4arch9wavefront6targetE1EEEvSI_
    .private_segment_fixed_size: 0
    .sgpr_count:     4
    .sgpr_spill_count: 0
    .symbol:         _ZN7rocprim17ROCPRIM_400000_NS6detail17trampoline_kernelINS0_14default_configENS1_37merge_sort_block_sort_config_selectorIN3c104HalfElEEZNS1_21merge_sort_block_sortIS3_PS6_S9_N6thrust23THRUST_200600_302600_NS10device_ptrIlEESD_NSB_4lessIS6_EEEE10hipError_tT0_T1_T2_T3_mRjT4_P12ihipStream_tbNS1_7vsmem_tEEUlT_E_NS1_11comp_targetILNS1_3genE5ELNS1_11target_archE942ELNS1_3gpuE9ELNS1_3repE0EEENS1_30default_config_static_selectorELNS0_4arch9wavefront6targetE1EEEvSI_.kd
    .uniform_work_group_size: 1
    .uses_dynamic_stack: false
    .vgpr_count:     0
    .vgpr_spill_count: 0
    .wavefront_size: 64
  - .agpr_count:     0
    .args:
      - .offset:         0
        .size:           64
        .value_kind:     by_value
      - .offset:         64
        .size:           4
        .value_kind:     hidden_block_count_x
      - .offset:         68
        .size:           4
        .value_kind:     hidden_block_count_y
      - .offset:         72
        .size:           4
        .value_kind:     hidden_block_count_z
      - .offset:         76
        .size:           2
        .value_kind:     hidden_group_size_x
      - .offset:         78
        .size:           2
        .value_kind:     hidden_group_size_y
      - .offset:         80
        .size:           2
        .value_kind:     hidden_group_size_z
      - .offset:         82
        .size:           2
        .value_kind:     hidden_remainder_x
      - .offset:         84
        .size:           2
        .value_kind:     hidden_remainder_y
      - .offset:         86
        .size:           2
        .value_kind:     hidden_remainder_z
      - .offset:         104
        .size:           8
        .value_kind:     hidden_global_offset_x
      - .offset:         112
        .size:           8
        .value_kind:     hidden_global_offset_y
      - .offset:         120
        .size:           8
        .value_kind:     hidden_global_offset_z
      - .offset:         128
        .size:           2
        .value_kind:     hidden_grid_dims
      - .offset:         144
        .size:           8
        .value_kind:     hidden_hostcall_buffer
      - .offset:         152
        .size:           8
        .value_kind:     hidden_multigrid_sync_arg
      - .offset:         160
        .size:           8
        .value_kind:     hidden_heap_v1
      - .offset:         168
        .size:           8
        .value_kind:     hidden_default_queue
      - .offset:         176
        .size:           8
        .value_kind:     hidden_completion_action
      - .offset:         264
        .size:           8
        .value_kind:     hidden_queue_ptr
    .group_segment_fixed_size: 16896
    .kernarg_segment_align: 8
    .kernarg_segment_size: 320
    .language:       OpenCL C
    .language_version:
      - 2
      - 0
    .max_flat_workgroup_size: 256
    .name:           _ZN7rocprim17ROCPRIM_400000_NS6detail17trampoline_kernelINS0_14default_configENS1_37merge_sort_block_sort_config_selectorIN3c104HalfElEEZNS1_21merge_sort_block_sortIS3_PS6_S9_N6thrust23THRUST_200600_302600_NS10device_ptrIlEESD_NSB_4lessIS6_EEEE10hipError_tT0_T1_T2_T3_mRjT4_P12ihipStream_tbNS1_7vsmem_tEEUlT_E_NS1_11comp_targetILNS1_3genE4ELNS1_11target_archE910ELNS1_3gpuE8ELNS1_3repE0EEENS1_30default_config_static_selectorELNS0_4arch9wavefront6targetE1EEEvSI_
    .private_segment_fixed_size: 8
    .sgpr_count:     56
    .sgpr_spill_count: 0
    .symbol:         _ZN7rocprim17ROCPRIM_400000_NS6detail17trampoline_kernelINS0_14default_configENS1_37merge_sort_block_sort_config_selectorIN3c104HalfElEEZNS1_21merge_sort_block_sortIS3_PS6_S9_N6thrust23THRUST_200600_302600_NS10device_ptrIlEESD_NSB_4lessIS6_EEEE10hipError_tT0_T1_T2_T3_mRjT4_P12ihipStream_tbNS1_7vsmem_tEEUlT_E_NS1_11comp_targetILNS1_3genE4ELNS1_11target_archE910ELNS1_3gpuE8ELNS1_3repE0EEENS1_30default_config_static_selectorELNS0_4arch9wavefront6targetE1EEEvSI_.kd
    .uniform_work_group_size: 1
    .uses_dynamic_stack: false
    .vgpr_count:     166
    .vgpr_spill_count: 0
    .wavefront_size: 64
  - .agpr_count:     0
    .args:
      - .offset:         0
        .size:           64
        .value_kind:     by_value
    .group_segment_fixed_size: 0
    .kernarg_segment_align: 8
    .kernarg_segment_size: 64
    .language:       OpenCL C
    .language_version:
      - 2
      - 0
    .max_flat_workgroup_size: 256
    .name:           _ZN7rocprim17ROCPRIM_400000_NS6detail17trampoline_kernelINS0_14default_configENS1_37merge_sort_block_sort_config_selectorIN3c104HalfElEEZNS1_21merge_sort_block_sortIS3_PS6_S9_N6thrust23THRUST_200600_302600_NS10device_ptrIlEESD_NSB_4lessIS6_EEEE10hipError_tT0_T1_T2_T3_mRjT4_P12ihipStream_tbNS1_7vsmem_tEEUlT_E_NS1_11comp_targetILNS1_3genE3ELNS1_11target_archE908ELNS1_3gpuE7ELNS1_3repE0EEENS1_30default_config_static_selectorELNS0_4arch9wavefront6targetE1EEEvSI_
    .private_segment_fixed_size: 0
    .sgpr_count:     4
    .sgpr_spill_count: 0
    .symbol:         _ZN7rocprim17ROCPRIM_400000_NS6detail17trampoline_kernelINS0_14default_configENS1_37merge_sort_block_sort_config_selectorIN3c104HalfElEEZNS1_21merge_sort_block_sortIS3_PS6_S9_N6thrust23THRUST_200600_302600_NS10device_ptrIlEESD_NSB_4lessIS6_EEEE10hipError_tT0_T1_T2_T3_mRjT4_P12ihipStream_tbNS1_7vsmem_tEEUlT_E_NS1_11comp_targetILNS1_3genE3ELNS1_11target_archE908ELNS1_3gpuE7ELNS1_3repE0EEENS1_30default_config_static_selectorELNS0_4arch9wavefront6targetE1EEEvSI_.kd
    .uniform_work_group_size: 1
    .uses_dynamic_stack: false
    .vgpr_count:     0
    .vgpr_spill_count: 0
    .wavefront_size: 64
  - .agpr_count:     0
    .args:
      - .offset:         0
        .size:           64
        .value_kind:     by_value
    .group_segment_fixed_size: 0
    .kernarg_segment_align: 8
    .kernarg_segment_size: 64
    .language:       OpenCL C
    .language_version:
      - 2
      - 0
    .max_flat_workgroup_size: 256
    .name:           _ZN7rocprim17ROCPRIM_400000_NS6detail17trampoline_kernelINS0_14default_configENS1_37merge_sort_block_sort_config_selectorIN3c104HalfElEEZNS1_21merge_sort_block_sortIS3_PS6_S9_N6thrust23THRUST_200600_302600_NS10device_ptrIlEESD_NSB_4lessIS6_EEEE10hipError_tT0_T1_T2_T3_mRjT4_P12ihipStream_tbNS1_7vsmem_tEEUlT_E_NS1_11comp_targetILNS1_3genE2ELNS1_11target_archE906ELNS1_3gpuE6ELNS1_3repE0EEENS1_30default_config_static_selectorELNS0_4arch9wavefront6targetE1EEEvSI_
    .private_segment_fixed_size: 0
    .sgpr_count:     4
    .sgpr_spill_count: 0
    .symbol:         _ZN7rocprim17ROCPRIM_400000_NS6detail17trampoline_kernelINS0_14default_configENS1_37merge_sort_block_sort_config_selectorIN3c104HalfElEEZNS1_21merge_sort_block_sortIS3_PS6_S9_N6thrust23THRUST_200600_302600_NS10device_ptrIlEESD_NSB_4lessIS6_EEEE10hipError_tT0_T1_T2_T3_mRjT4_P12ihipStream_tbNS1_7vsmem_tEEUlT_E_NS1_11comp_targetILNS1_3genE2ELNS1_11target_archE906ELNS1_3gpuE6ELNS1_3repE0EEENS1_30default_config_static_selectorELNS0_4arch9wavefront6targetE1EEEvSI_.kd
    .uniform_work_group_size: 1
    .uses_dynamic_stack: false
    .vgpr_count:     0
    .vgpr_spill_count: 0
    .wavefront_size: 64
  - .agpr_count:     0
    .args:
      - .offset:         0
        .size:           64
        .value_kind:     by_value
    .group_segment_fixed_size: 0
    .kernarg_segment_align: 8
    .kernarg_segment_size: 64
    .language:       OpenCL C
    .language_version:
      - 2
      - 0
    .max_flat_workgroup_size: 512
    .name:           _ZN7rocprim17ROCPRIM_400000_NS6detail17trampoline_kernelINS0_14default_configENS1_37merge_sort_block_sort_config_selectorIN3c104HalfElEEZNS1_21merge_sort_block_sortIS3_PS6_S9_N6thrust23THRUST_200600_302600_NS10device_ptrIlEESD_NSB_4lessIS6_EEEE10hipError_tT0_T1_T2_T3_mRjT4_P12ihipStream_tbNS1_7vsmem_tEEUlT_E_NS1_11comp_targetILNS1_3genE10ELNS1_11target_archE1201ELNS1_3gpuE5ELNS1_3repE0EEENS1_30default_config_static_selectorELNS0_4arch9wavefront6targetE1EEEvSI_
    .private_segment_fixed_size: 0
    .sgpr_count:     4
    .sgpr_spill_count: 0
    .symbol:         _ZN7rocprim17ROCPRIM_400000_NS6detail17trampoline_kernelINS0_14default_configENS1_37merge_sort_block_sort_config_selectorIN3c104HalfElEEZNS1_21merge_sort_block_sortIS3_PS6_S9_N6thrust23THRUST_200600_302600_NS10device_ptrIlEESD_NSB_4lessIS6_EEEE10hipError_tT0_T1_T2_T3_mRjT4_P12ihipStream_tbNS1_7vsmem_tEEUlT_E_NS1_11comp_targetILNS1_3genE10ELNS1_11target_archE1201ELNS1_3gpuE5ELNS1_3repE0EEENS1_30default_config_static_selectorELNS0_4arch9wavefront6targetE1EEEvSI_.kd
    .uniform_work_group_size: 1
    .uses_dynamic_stack: false
    .vgpr_count:     0
    .vgpr_spill_count: 0
    .wavefront_size: 64
  - .agpr_count:     0
    .args:
      - .offset:         0
        .size:           64
        .value_kind:     by_value
    .group_segment_fixed_size: 0
    .kernarg_segment_align: 8
    .kernarg_segment_size: 64
    .language:       OpenCL C
    .language_version:
      - 2
      - 0
    .max_flat_workgroup_size: 512
    .name:           _ZN7rocprim17ROCPRIM_400000_NS6detail17trampoline_kernelINS0_14default_configENS1_37merge_sort_block_sort_config_selectorIN3c104HalfElEEZNS1_21merge_sort_block_sortIS3_PS6_S9_N6thrust23THRUST_200600_302600_NS10device_ptrIlEESD_NSB_4lessIS6_EEEE10hipError_tT0_T1_T2_T3_mRjT4_P12ihipStream_tbNS1_7vsmem_tEEUlT_E_NS1_11comp_targetILNS1_3genE10ELNS1_11target_archE1200ELNS1_3gpuE4ELNS1_3repE0EEENS1_30default_config_static_selectorELNS0_4arch9wavefront6targetE1EEEvSI_
    .private_segment_fixed_size: 0
    .sgpr_count:     4
    .sgpr_spill_count: 0
    .symbol:         _ZN7rocprim17ROCPRIM_400000_NS6detail17trampoline_kernelINS0_14default_configENS1_37merge_sort_block_sort_config_selectorIN3c104HalfElEEZNS1_21merge_sort_block_sortIS3_PS6_S9_N6thrust23THRUST_200600_302600_NS10device_ptrIlEESD_NSB_4lessIS6_EEEE10hipError_tT0_T1_T2_T3_mRjT4_P12ihipStream_tbNS1_7vsmem_tEEUlT_E_NS1_11comp_targetILNS1_3genE10ELNS1_11target_archE1200ELNS1_3gpuE4ELNS1_3repE0EEENS1_30default_config_static_selectorELNS0_4arch9wavefront6targetE1EEEvSI_.kd
    .uniform_work_group_size: 1
    .uses_dynamic_stack: false
    .vgpr_count:     0
    .vgpr_spill_count: 0
    .wavefront_size: 64
  - .agpr_count:     0
    .args:
      - .offset:         0
        .size:           64
        .value_kind:     by_value
    .group_segment_fixed_size: 0
    .kernarg_segment_align: 8
    .kernarg_segment_size: 64
    .language:       OpenCL C
    .language_version:
      - 2
      - 0
    .max_flat_workgroup_size: 512
    .name:           _ZN7rocprim17ROCPRIM_400000_NS6detail17trampoline_kernelINS0_14default_configENS1_37merge_sort_block_sort_config_selectorIN3c104HalfElEEZNS1_21merge_sort_block_sortIS3_PS6_S9_N6thrust23THRUST_200600_302600_NS10device_ptrIlEESD_NSB_4lessIS6_EEEE10hipError_tT0_T1_T2_T3_mRjT4_P12ihipStream_tbNS1_7vsmem_tEEUlT_E_NS1_11comp_targetILNS1_3genE9ELNS1_11target_archE1100ELNS1_3gpuE3ELNS1_3repE0EEENS1_30default_config_static_selectorELNS0_4arch9wavefront6targetE1EEEvSI_
    .private_segment_fixed_size: 0
    .sgpr_count:     4
    .sgpr_spill_count: 0
    .symbol:         _ZN7rocprim17ROCPRIM_400000_NS6detail17trampoline_kernelINS0_14default_configENS1_37merge_sort_block_sort_config_selectorIN3c104HalfElEEZNS1_21merge_sort_block_sortIS3_PS6_S9_N6thrust23THRUST_200600_302600_NS10device_ptrIlEESD_NSB_4lessIS6_EEEE10hipError_tT0_T1_T2_T3_mRjT4_P12ihipStream_tbNS1_7vsmem_tEEUlT_E_NS1_11comp_targetILNS1_3genE9ELNS1_11target_archE1100ELNS1_3gpuE3ELNS1_3repE0EEENS1_30default_config_static_selectorELNS0_4arch9wavefront6targetE1EEEvSI_.kd
    .uniform_work_group_size: 1
    .uses_dynamic_stack: false
    .vgpr_count:     0
    .vgpr_spill_count: 0
    .wavefront_size: 64
  - .agpr_count:     0
    .args:
      - .offset:         0
        .size:           64
        .value_kind:     by_value
    .group_segment_fixed_size: 0
    .kernarg_segment_align: 8
    .kernarg_segment_size: 64
    .language:       OpenCL C
    .language_version:
      - 2
      - 0
    .max_flat_workgroup_size: 256
    .name:           _ZN7rocprim17ROCPRIM_400000_NS6detail17trampoline_kernelINS0_14default_configENS1_37merge_sort_block_sort_config_selectorIN3c104HalfElEEZNS1_21merge_sort_block_sortIS3_PS6_S9_N6thrust23THRUST_200600_302600_NS10device_ptrIlEESD_NSB_4lessIS6_EEEE10hipError_tT0_T1_T2_T3_mRjT4_P12ihipStream_tbNS1_7vsmem_tEEUlT_E_NS1_11comp_targetILNS1_3genE8ELNS1_11target_archE1030ELNS1_3gpuE2ELNS1_3repE0EEENS1_30default_config_static_selectorELNS0_4arch9wavefront6targetE1EEEvSI_
    .private_segment_fixed_size: 0
    .sgpr_count:     4
    .sgpr_spill_count: 0
    .symbol:         _ZN7rocprim17ROCPRIM_400000_NS6detail17trampoline_kernelINS0_14default_configENS1_37merge_sort_block_sort_config_selectorIN3c104HalfElEEZNS1_21merge_sort_block_sortIS3_PS6_S9_N6thrust23THRUST_200600_302600_NS10device_ptrIlEESD_NSB_4lessIS6_EEEE10hipError_tT0_T1_T2_T3_mRjT4_P12ihipStream_tbNS1_7vsmem_tEEUlT_E_NS1_11comp_targetILNS1_3genE8ELNS1_11target_archE1030ELNS1_3gpuE2ELNS1_3repE0EEENS1_30default_config_static_selectorELNS0_4arch9wavefront6targetE1EEEvSI_.kd
    .uniform_work_group_size: 1
    .uses_dynamic_stack: false
    .vgpr_count:     0
    .vgpr_spill_count: 0
    .wavefront_size: 64
  - .agpr_count:     0
    .args:
      - .offset:         0
        .size:           48
        .value_kind:     by_value
    .group_segment_fixed_size: 0
    .kernarg_segment_align: 8
    .kernarg_segment_size: 48
    .language:       OpenCL C
    .language_version:
      - 2
      - 0
    .max_flat_workgroup_size: 128
    .name:           _ZN7rocprim17ROCPRIM_400000_NS6detail17trampoline_kernelINS0_14default_configENS1_38merge_sort_block_merge_config_selectorIN3c104HalfElEEZZNS1_27merge_sort_block_merge_implIS3_PS6_N6thrust23THRUST_200600_302600_NS10device_ptrIlEEmNSB_4lessIS6_EEEE10hipError_tT0_T1_T2_jT3_P12ihipStream_tbPNSt15iterator_traitsISH_E10value_typeEPNSN_ISI_E10value_typeEPSJ_NS1_7vsmem_tEENKUlT_SH_SI_SJ_E_clIS9_S9_PlSD_EESG_SW_SH_SI_SJ_EUlSW_E_NS1_11comp_targetILNS1_3genE0ELNS1_11target_archE4294967295ELNS1_3gpuE0ELNS1_3repE0EEENS1_48merge_mergepath_partition_config_static_selectorELNS0_4arch9wavefront6targetE1EEEvSI_
    .private_segment_fixed_size: 0
    .sgpr_count:     4
    .sgpr_spill_count: 0
    .symbol:         _ZN7rocprim17ROCPRIM_400000_NS6detail17trampoline_kernelINS0_14default_configENS1_38merge_sort_block_merge_config_selectorIN3c104HalfElEEZZNS1_27merge_sort_block_merge_implIS3_PS6_N6thrust23THRUST_200600_302600_NS10device_ptrIlEEmNSB_4lessIS6_EEEE10hipError_tT0_T1_T2_jT3_P12ihipStream_tbPNSt15iterator_traitsISH_E10value_typeEPNSN_ISI_E10value_typeEPSJ_NS1_7vsmem_tEENKUlT_SH_SI_SJ_E_clIS9_S9_PlSD_EESG_SW_SH_SI_SJ_EUlSW_E_NS1_11comp_targetILNS1_3genE0ELNS1_11target_archE4294967295ELNS1_3gpuE0ELNS1_3repE0EEENS1_48merge_mergepath_partition_config_static_selectorELNS0_4arch9wavefront6targetE1EEEvSI_.kd
    .uniform_work_group_size: 1
    .uses_dynamic_stack: false
    .vgpr_count:     0
    .vgpr_spill_count: 0
    .wavefront_size: 64
  - .agpr_count:     0
    .args:
      - .offset:         0
        .size:           48
        .value_kind:     by_value
    .group_segment_fixed_size: 0
    .kernarg_segment_align: 8
    .kernarg_segment_size: 48
    .language:       OpenCL C
    .language_version:
      - 2
      - 0
    .max_flat_workgroup_size: 128
    .name:           _ZN7rocprim17ROCPRIM_400000_NS6detail17trampoline_kernelINS0_14default_configENS1_38merge_sort_block_merge_config_selectorIN3c104HalfElEEZZNS1_27merge_sort_block_merge_implIS3_PS6_N6thrust23THRUST_200600_302600_NS10device_ptrIlEEmNSB_4lessIS6_EEEE10hipError_tT0_T1_T2_jT3_P12ihipStream_tbPNSt15iterator_traitsISH_E10value_typeEPNSN_ISI_E10value_typeEPSJ_NS1_7vsmem_tEENKUlT_SH_SI_SJ_E_clIS9_S9_PlSD_EESG_SW_SH_SI_SJ_EUlSW_E_NS1_11comp_targetILNS1_3genE10ELNS1_11target_archE1201ELNS1_3gpuE5ELNS1_3repE0EEENS1_48merge_mergepath_partition_config_static_selectorELNS0_4arch9wavefront6targetE1EEEvSI_
    .private_segment_fixed_size: 0
    .sgpr_count:     4
    .sgpr_spill_count: 0
    .symbol:         _ZN7rocprim17ROCPRIM_400000_NS6detail17trampoline_kernelINS0_14default_configENS1_38merge_sort_block_merge_config_selectorIN3c104HalfElEEZZNS1_27merge_sort_block_merge_implIS3_PS6_N6thrust23THRUST_200600_302600_NS10device_ptrIlEEmNSB_4lessIS6_EEEE10hipError_tT0_T1_T2_jT3_P12ihipStream_tbPNSt15iterator_traitsISH_E10value_typeEPNSN_ISI_E10value_typeEPSJ_NS1_7vsmem_tEENKUlT_SH_SI_SJ_E_clIS9_S9_PlSD_EESG_SW_SH_SI_SJ_EUlSW_E_NS1_11comp_targetILNS1_3genE10ELNS1_11target_archE1201ELNS1_3gpuE5ELNS1_3repE0EEENS1_48merge_mergepath_partition_config_static_selectorELNS0_4arch9wavefront6targetE1EEEvSI_.kd
    .uniform_work_group_size: 1
    .uses_dynamic_stack: false
    .vgpr_count:     0
    .vgpr_spill_count: 0
    .wavefront_size: 64
  - .agpr_count:     0
    .args:
      - .offset:         0
        .size:           48
        .value_kind:     by_value
    .group_segment_fixed_size: 0
    .kernarg_segment_align: 8
    .kernarg_segment_size: 48
    .language:       OpenCL C
    .language_version:
      - 2
      - 0
    .max_flat_workgroup_size: 128
    .name:           _ZN7rocprim17ROCPRIM_400000_NS6detail17trampoline_kernelINS0_14default_configENS1_38merge_sort_block_merge_config_selectorIN3c104HalfElEEZZNS1_27merge_sort_block_merge_implIS3_PS6_N6thrust23THRUST_200600_302600_NS10device_ptrIlEEmNSB_4lessIS6_EEEE10hipError_tT0_T1_T2_jT3_P12ihipStream_tbPNSt15iterator_traitsISH_E10value_typeEPNSN_ISI_E10value_typeEPSJ_NS1_7vsmem_tEENKUlT_SH_SI_SJ_E_clIS9_S9_PlSD_EESG_SW_SH_SI_SJ_EUlSW_E_NS1_11comp_targetILNS1_3genE5ELNS1_11target_archE942ELNS1_3gpuE9ELNS1_3repE0EEENS1_48merge_mergepath_partition_config_static_selectorELNS0_4arch9wavefront6targetE1EEEvSI_
    .private_segment_fixed_size: 0
    .sgpr_count:     4
    .sgpr_spill_count: 0
    .symbol:         _ZN7rocprim17ROCPRIM_400000_NS6detail17trampoline_kernelINS0_14default_configENS1_38merge_sort_block_merge_config_selectorIN3c104HalfElEEZZNS1_27merge_sort_block_merge_implIS3_PS6_N6thrust23THRUST_200600_302600_NS10device_ptrIlEEmNSB_4lessIS6_EEEE10hipError_tT0_T1_T2_jT3_P12ihipStream_tbPNSt15iterator_traitsISH_E10value_typeEPNSN_ISI_E10value_typeEPSJ_NS1_7vsmem_tEENKUlT_SH_SI_SJ_E_clIS9_S9_PlSD_EESG_SW_SH_SI_SJ_EUlSW_E_NS1_11comp_targetILNS1_3genE5ELNS1_11target_archE942ELNS1_3gpuE9ELNS1_3repE0EEENS1_48merge_mergepath_partition_config_static_selectorELNS0_4arch9wavefront6targetE1EEEvSI_.kd
    .uniform_work_group_size: 1
    .uses_dynamic_stack: false
    .vgpr_count:     0
    .vgpr_spill_count: 0
    .wavefront_size: 64
  - .agpr_count:     0
    .args:
      - .offset:         0
        .size:           48
        .value_kind:     by_value
    .group_segment_fixed_size: 0
    .kernarg_segment_align: 8
    .kernarg_segment_size: 48
    .language:       OpenCL C
    .language_version:
      - 2
      - 0
    .max_flat_workgroup_size: 128
    .name:           _ZN7rocprim17ROCPRIM_400000_NS6detail17trampoline_kernelINS0_14default_configENS1_38merge_sort_block_merge_config_selectorIN3c104HalfElEEZZNS1_27merge_sort_block_merge_implIS3_PS6_N6thrust23THRUST_200600_302600_NS10device_ptrIlEEmNSB_4lessIS6_EEEE10hipError_tT0_T1_T2_jT3_P12ihipStream_tbPNSt15iterator_traitsISH_E10value_typeEPNSN_ISI_E10value_typeEPSJ_NS1_7vsmem_tEENKUlT_SH_SI_SJ_E_clIS9_S9_PlSD_EESG_SW_SH_SI_SJ_EUlSW_E_NS1_11comp_targetILNS1_3genE4ELNS1_11target_archE910ELNS1_3gpuE8ELNS1_3repE0EEENS1_48merge_mergepath_partition_config_static_selectorELNS0_4arch9wavefront6targetE1EEEvSI_
    .private_segment_fixed_size: 0
    .sgpr_count:     12
    .sgpr_spill_count: 0
    .symbol:         _ZN7rocprim17ROCPRIM_400000_NS6detail17trampoline_kernelINS0_14default_configENS1_38merge_sort_block_merge_config_selectorIN3c104HalfElEEZZNS1_27merge_sort_block_merge_implIS3_PS6_N6thrust23THRUST_200600_302600_NS10device_ptrIlEEmNSB_4lessIS6_EEEE10hipError_tT0_T1_T2_jT3_P12ihipStream_tbPNSt15iterator_traitsISH_E10value_typeEPNSN_ISI_E10value_typeEPSJ_NS1_7vsmem_tEENKUlT_SH_SI_SJ_E_clIS9_S9_PlSD_EESG_SW_SH_SI_SJ_EUlSW_E_NS1_11comp_targetILNS1_3genE4ELNS1_11target_archE910ELNS1_3gpuE8ELNS1_3repE0EEENS1_48merge_mergepath_partition_config_static_selectorELNS0_4arch9wavefront6targetE1EEEvSI_.kd
    .uniform_work_group_size: 1
    .uses_dynamic_stack: false
    .vgpr_count:     18
    .vgpr_spill_count: 0
    .wavefront_size: 64
  - .agpr_count:     0
    .args:
      - .offset:         0
        .size:           48
        .value_kind:     by_value
    .group_segment_fixed_size: 0
    .kernarg_segment_align: 8
    .kernarg_segment_size: 48
    .language:       OpenCL C
    .language_version:
      - 2
      - 0
    .max_flat_workgroup_size: 128
    .name:           _ZN7rocprim17ROCPRIM_400000_NS6detail17trampoline_kernelINS0_14default_configENS1_38merge_sort_block_merge_config_selectorIN3c104HalfElEEZZNS1_27merge_sort_block_merge_implIS3_PS6_N6thrust23THRUST_200600_302600_NS10device_ptrIlEEmNSB_4lessIS6_EEEE10hipError_tT0_T1_T2_jT3_P12ihipStream_tbPNSt15iterator_traitsISH_E10value_typeEPNSN_ISI_E10value_typeEPSJ_NS1_7vsmem_tEENKUlT_SH_SI_SJ_E_clIS9_S9_PlSD_EESG_SW_SH_SI_SJ_EUlSW_E_NS1_11comp_targetILNS1_3genE3ELNS1_11target_archE908ELNS1_3gpuE7ELNS1_3repE0EEENS1_48merge_mergepath_partition_config_static_selectorELNS0_4arch9wavefront6targetE1EEEvSI_
    .private_segment_fixed_size: 0
    .sgpr_count:     4
    .sgpr_spill_count: 0
    .symbol:         _ZN7rocprim17ROCPRIM_400000_NS6detail17trampoline_kernelINS0_14default_configENS1_38merge_sort_block_merge_config_selectorIN3c104HalfElEEZZNS1_27merge_sort_block_merge_implIS3_PS6_N6thrust23THRUST_200600_302600_NS10device_ptrIlEEmNSB_4lessIS6_EEEE10hipError_tT0_T1_T2_jT3_P12ihipStream_tbPNSt15iterator_traitsISH_E10value_typeEPNSN_ISI_E10value_typeEPSJ_NS1_7vsmem_tEENKUlT_SH_SI_SJ_E_clIS9_S9_PlSD_EESG_SW_SH_SI_SJ_EUlSW_E_NS1_11comp_targetILNS1_3genE3ELNS1_11target_archE908ELNS1_3gpuE7ELNS1_3repE0EEENS1_48merge_mergepath_partition_config_static_selectorELNS0_4arch9wavefront6targetE1EEEvSI_.kd
    .uniform_work_group_size: 1
    .uses_dynamic_stack: false
    .vgpr_count:     0
    .vgpr_spill_count: 0
    .wavefront_size: 64
  - .agpr_count:     0
    .args:
      - .offset:         0
        .size:           48
        .value_kind:     by_value
    .group_segment_fixed_size: 0
    .kernarg_segment_align: 8
    .kernarg_segment_size: 48
    .language:       OpenCL C
    .language_version:
      - 2
      - 0
    .max_flat_workgroup_size: 128
    .name:           _ZN7rocprim17ROCPRIM_400000_NS6detail17trampoline_kernelINS0_14default_configENS1_38merge_sort_block_merge_config_selectorIN3c104HalfElEEZZNS1_27merge_sort_block_merge_implIS3_PS6_N6thrust23THRUST_200600_302600_NS10device_ptrIlEEmNSB_4lessIS6_EEEE10hipError_tT0_T1_T2_jT3_P12ihipStream_tbPNSt15iterator_traitsISH_E10value_typeEPNSN_ISI_E10value_typeEPSJ_NS1_7vsmem_tEENKUlT_SH_SI_SJ_E_clIS9_S9_PlSD_EESG_SW_SH_SI_SJ_EUlSW_E_NS1_11comp_targetILNS1_3genE2ELNS1_11target_archE906ELNS1_3gpuE6ELNS1_3repE0EEENS1_48merge_mergepath_partition_config_static_selectorELNS0_4arch9wavefront6targetE1EEEvSI_
    .private_segment_fixed_size: 0
    .sgpr_count:     4
    .sgpr_spill_count: 0
    .symbol:         _ZN7rocprim17ROCPRIM_400000_NS6detail17trampoline_kernelINS0_14default_configENS1_38merge_sort_block_merge_config_selectorIN3c104HalfElEEZZNS1_27merge_sort_block_merge_implIS3_PS6_N6thrust23THRUST_200600_302600_NS10device_ptrIlEEmNSB_4lessIS6_EEEE10hipError_tT0_T1_T2_jT3_P12ihipStream_tbPNSt15iterator_traitsISH_E10value_typeEPNSN_ISI_E10value_typeEPSJ_NS1_7vsmem_tEENKUlT_SH_SI_SJ_E_clIS9_S9_PlSD_EESG_SW_SH_SI_SJ_EUlSW_E_NS1_11comp_targetILNS1_3genE2ELNS1_11target_archE906ELNS1_3gpuE6ELNS1_3repE0EEENS1_48merge_mergepath_partition_config_static_selectorELNS0_4arch9wavefront6targetE1EEEvSI_.kd
    .uniform_work_group_size: 1
    .uses_dynamic_stack: false
    .vgpr_count:     0
    .vgpr_spill_count: 0
    .wavefront_size: 64
  - .agpr_count:     0
    .args:
      - .offset:         0
        .size:           48
        .value_kind:     by_value
    .group_segment_fixed_size: 0
    .kernarg_segment_align: 8
    .kernarg_segment_size: 48
    .language:       OpenCL C
    .language_version:
      - 2
      - 0
    .max_flat_workgroup_size: 128
    .name:           _ZN7rocprim17ROCPRIM_400000_NS6detail17trampoline_kernelINS0_14default_configENS1_38merge_sort_block_merge_config_selectorIN3c104HalfElEEZZNS1_27merge_sort_block_merge_implIS3_PS6_N6thrust23THRUST_200600_302600_NS10device_ptrIlEEmNSB_4lessIS6_EEEE10hipError_tT0_T1_T2_jT3_P12ihipStream_tbPNSt15iterator_traitsISH_E10value_typeEPNSN_ISI_E10value_typeEPSJ_NS1_7vsmem_tEENKUlT_SH_SI_SJ_E_clIS9_S9_PlSD_EESG_SW_SH_SI_SJ_EUlSW_E_NS1_11comp_targetILNS1_3genE9ELNS1_11target_archE1100ELNS1_3gpuE3ELNS1_3repE0EEENS1_48merge_mergepath_partition_config_static_selectorELNS0_4arch9wavefront6targetE1EEEvSI_
    .private_segment_fixed_size: 0
    .sgpr_count:     4
    .sgpr_spill_count: 0
    .symbol:         _ZN7rocprim17ROCPRIM_400000_NS6detail17trampoline_kernelINS0_14default_configENS1_38merge_sort_block_merge_config_selectorIN3c104HalfElEEZZNS1_27merge_sort_block_merge_implIS3_PS6_N6thrust23THRUST_200600_302600_NS10device_ptrIlEEmNSB_4lessIS6_EEEE10hipError_tT0_T1_T2_jT3_P12ihipStream_tbPNSt15iterator_traitsISH_E10value_typeEPNSN_ISI_E10value_typeEPSJ_NS1_7vsmem_tEENKUlT_SH_SI_SJ_E_clIS9_S9_PlSD_EESG_SW_SH_SI_SJ_EUlSW_E_NS1_11comp_targetILNS1_3genE9ELNS1_11target_archE1100ELNS1_3gpuE3ELNS1_3repE0EEENS1_48merge_mergepath_partition_config_static_selectorELNS0_4arch9wavefront6targetE1EEEvSI_.kd
    .uniform_work_group_size: 1
    .uses_dynamic_stack: false
    .vgpr_count:     0
    .vgpr_spill_count: 0
    .wavefront_size: 64
  - .agpr_count:     0
    .args:
      - .offset:         0
        .size:           48
        .value_kind:     by_value
    .group_segment_fixed_size: 0
    .kernarg_segment_align: 8
    .kernarg_segment_size: 48
    .language:       OpenCL C
    .language_version:
      - 2
      - 0
    .max_flat_workgroup_size: 128
    .name:           _ZN7rocprim17ROCPRIM_400000_NS6detail17trampoline_kernelINS0_14default_configENS1_38merge_sort_block_merge_config_selectorIN3c104HalfElEEZZNS1_27merge_sort_block_merge_implIS3_PS6_N6thrust23THRUST_200600_302600_NS10device_ptrIlEEmNSB_4lessIS6_EEEE10hipError_tT0_T1_T2_jT3_P12ihipStream_tbPNSt15iterator_traitsISH_E10value_typeEPNSN_ISI_E10value_typeEPSJ_NS1_7vsmem_tEENKUlT_SH_SI_SJ_E_clIS9_S9_PlSD_EESG_SW_SH_SI_SJ_EUlSW_E_NS1_11comp_targetILNS1_3genE8ELNS1_11target_archE1030ELNS1_3gpuE2ELNS1_3repE0EEENS1_48merge_mergepath_partition_config_static_selectorELNS0_4arch9wavefront6targetE1EEEvSI_
    .private_segment_fixed_size: 0
    .sgpr_count:     4
    .sgpr_spill_count: 0
    .symbol:         _ZN7rocprim17ROCPRIM_400000_NS6detail17trampoline_kernelINS0_14default_configENS1_38merge_sort_block_merge_config_selectorIN3c104HalfElEEZZNS1_27merge_sort_block_merge_implIS3_PS6_N6thrust23THRUST_200600_302600_NS10device_ptrIlEEmNSB_4lessIS6_EEEE10hipError_tT0_T1_T2_jT3_P12ihipStream_tbPNSt15iterator_traitsISH_E10value_typeEPNSN_ISI_E10value_typeEPSJ_NS1_7vsmem_tEENKUlT_SH_SI_SJ_E_clIS9_S9_PlSD_EESG_SW_SH_SI_SJ_EUlSW_E_NS1_11comp_targetILNS1_3genE8ELNS1_11target_archE1030ELNS1_3gpuE2ELNS1_3repE0EEENS1_48merge_mergepath_partition_config_static_selectorELNS0_4arch9wavefront6targetE1EEEvSI_.kd
    .uniform_work_group_size: 1
    .uses_dynamic_stack: false
    .vgpr_count:     0
    .vgpr_spill_count: 0
    .wavefront_size: 64
  - .agpr_count:     0
    .args:
      - .offset:         0
        .size:           72
        .value_kind:     by_value
    .group_segment_fixed_size: 0
    .kernarg_segment_align: 8
    .kernarg_segment_size: 72
    .language:       OpenCL C
    .language_version:
      - 2
      - 0
    .max_flat_workgroup_size: 256
    .name:           _ZN7rocprim17ROCPRIM_400000_NS6detail17trampoline_kernelINS0_14default_configENS1_38merge_sort_block_merge_config_selectorIN3c104HalfElEEZZNS1_27merge_sort_block_merge_implIS3_PS6_N6thrust23THRUST_200600_302600_NS10device_ptrIlEEmNSB_4lessIS6_EEEE10hipError_tT0_T1_T2_jT3_P12ihipStream_tbPNSt15iterator_traitsISH_E10value_typeEPNSN_ISI_E10value_typeEPSJ_NS1_7vsmem_tEENKUlT_SH_SI_SJ_E_clIS9_S9_PlSD_EESG_SW_SH_SI_SJ_EUlSW_E0_NS1_11comp_targetILNS1_3genE0ELNS1_11target_archE4294967295ELNS1_3gpuE0ELNS1_3repE0EEENS1_38merge_mergepath_config_static_selectorELNS0_4arch9wavefront6targetE1EEEvSI_
    .private_segment_fixed_size: 0
    .sgpr_count:     4
    .sgpr_spill_count: 0
    .symbol:         _ZN7rocprim17ROCPRIM_400000_NS6detail17trampoline_kernelINS0_14default_configENS1_38merge_sort_block_merge_config_selectorIN3c104HalfElEEZZNS1_27merge_sort_block_merge_implIS3_PS6_N6thrust23THRUST_200600_302600_NS10device_ptrIlEEmNSB_4lessIS6_EEEE10hipError_tT0_T1_T2_jT3_P12ihipStream_tbPNSt15iterator_traitsISH_E10value_typeEPNSN_ISI_E10value_typeEPSJ_NS1_7vsmem_tEENKUlT_SH_SI_SJ_E_clIS9_S9_PlSD_EESG_SW_SH_SI_SJ_EUlSW_E0_NS1_11comp_targetILNS1_3genE0ELNS1_11target_archE4294967295ELNS1_3gpuE0ELNS1_3repE0EEENS1_38merge_mergepath_config_static_selectorELNS0_4arch9wavefront6targetE1EEEvSI_.kd
    .uniform_work_group_size: 1
    .uses_dynamic_stack: false
    .vgpr_count:     0
    .vgpr_spill_count: 0
    .wavefront_size: 64
  - .agpr_count:     0
    .args:
      - .offset:         0
        .size:           72
        .value_kind:     by_value
    .group_segment_fixed_size: 0
    .kernarg_segment_align: 8
    .kernarg_segment_size: 72
    .language:       OpenCL C
    .language_version:
      - 2
      - 0
    .max_flat_workgroup_size: 512
    .name:           _ZN7rocprim17ROCPRIM_400000_NS6detail17trampoline_kernelINS0_14default_configENS1_38merge_sort_block_merge_config_selectorIN3c104HalfElEEZZNS1_27merge_sort_block_merge_implIS3_PS6_N6thrust23THRUST_200600_302600_NS10device_ptrIlEEmNSB_4lessIS6_EEEE10hipError_tT0_T1_T2_jT3_P12ihipStream_tbPNSt15iterator_traitsISH_E10value_typeEPNSN_ISI_E10value_typeEPSJ_NS1_7vsmem_tEENKUlT_SH_SI_SJ_E_clIS9_S9_PlSD_EESG_SW_SH_SI_SJ_EUlSW_E0_NS1_11comp_targetILNS1_3genE10ELNS1_11target_archE1201ELNS1_3gpuE5ELNS1_3repE0EEENS1_38merge_mergepath_config_static_selectorELNS0_4arch9wavefront6targetE1EEEvSI_
    .private_segment_fixed_size: 0
    .sgpr_count:     4
    .sgpr_spill_count: 0
    .symbol:         _ZN7rocprim17ROCPRIM_400000_NS6detail17trampoline_kernelINS0_14default_configENS1_38merge_sort_block_merge_config_selectorIN3c104HalfElEEZZNS1_27merge_sort_block_merge_implIS3_PS6_N6thrust23THRUST_200600_302600_NS10device_ptrIlEEmNSB_4lessIS6_EEEE10hipError_tT0_T1_T2_jT3_P12ihipStream_tbPNSt15iterator_traitsISH_E10value_typeEPNSN_ISI_E10value_typeEPSJ_NS1_7vsmem_tEENKUlT_SH_SI_SJ_E_clIS9_S9_PlSD_EESG_SW_SH_SI_SJ_EUlSW_E0_NS1_11comp_targetILNS1_3genE10ELNS1_11target_archE1201ELNS1_3gpuE5ELNS1_3repE0EEENS1_38merge_mergepath_config_static_selectorELNS0_4arch9wavefront6targetE1EEEvSI_.kd
    .uniform_work_group_size: 1
    .uses_dynamic_stack: false
    .vgpr_count:     0
    .vgpr_spill_count: 0
    .wavefront_size: 64
  - .agpr_count:     0
    .args:
      - .offset:         0
        .size:           72
        .value_kind:     by_value
    .group_segment_fixed_size: 0
    .kernarg_segment_align: 8
    .kernarg_segment_size: 72
    .language:       OpenCL C
    .language_version:
      - 2
      - 0
    .max_flat_workgroup_size: 256
    .name:           _ZN7rocprim17ROCPRIM_400000_NS6detail17trampoline_kernelINS0_14default_configENS1_38merge_sort_block_merge_config_selectorIN3c104HalfElEEZZNS1_27merge_sort_block_merge_implIS3_PS6_N6thrust23THRUST_200600_302600_NS10device_ptrIlEEmNSB_4lessIS6_EEEE10hipError_tT0_T1_T2_jT3_P12ihipStream_tbPNSt15iterator_traitsISH_E10value_typeEPNSN_ISI_E10value_typeEPSJ_NS1_7vsmem_tEENKUlT_SH_SI_SJ_E_clIS9_S9_PlSD_EESG_SW_SH_SI_SJ_EUlSW_E0_NS1_11comp_targetILNS1_3genE5ELNS1_11target_archE942ELNS1_3gpuE9ELNS1_3repE0EEENS1_38merge_mergepath_config_static_selectorELNS0_4arch9wavefront6targetE1EEEvSI_
    .private_segment_fixed_size: 0
    .sgpr_count:     4
    .sgpr_spill_count: 0
    .symbol:         _ZN7rocprim17ROCPRIM_400000_NS6detail17trampoline_kernelINS0_14default_configENS1_38merge_sort_block_merge_config_selectorIN3c104HalfElEEZZNS1_27merge_sort_block_merge_implIS3_PS6_N6thrust23THRUST_200600_302600_NS10device_ptrIlEEmNSB_4lessIS6_EEEE10hipError_tT0_T1_T2_jT3_P12ihipStream_tbPNSt15iterator_traitsISH_E10value_typeEPNSN_ISI_E10value_typeEPSJ_NS1_7vsmem_tEENKUlT_SH_SI_SJ_E_clIS9_S9_PlSD_EESG_SW_SH_SI_SJ_EUlSW_E0_NS1_11comp_targetILNS1_3genE5ELNS1_11target_archE942ELNS1_3gpuE9ELNS1_3repE0EEENS1_38merge_mergepath_config_static_selectorELNS0_4arch9wavefront6targetE1EEEvSI_.kd
    .uniform_work_group_size: 1
    .uses_dynamic_stack: false
    .vgpr_count:     0
    .vgpr_spill_count: 0
    .wavefront_size: 64
  - .agpr_count:     0
    .args:
      - .offset:         0
        .size:           72
        .value_kind:     by_value
      - .offset:         72
        .size:           4
        .value_kind:     hidden_block_count_x
      - .offset:         76
        .size:           4
        .value_kind:     hidden_block_count_y
      - .offset:         80
        .size:           4
        .value_kind:     hidden_block_count_z
      - .offset:         84
        .size:           2
        .value_kind:     hidden_group_size_x
      - .offset:         86
        .size:           2
        .value_kind:     hidden_group_size_y
      - .offset:         88
        .size:           2
        .value_kind:     hidden_group_size_z
      - .offset:         90
        .size:           2
        .value_kind:     hidden_remainder_x
      - .offset:         92
        .size:           2
        .value_kind:     hidden_remainder_y
      - .offset:         94
        .size:           2
        .value_kind:     hidden_remainder_z
      - .offset:         112
        .size:           8
        .value_kind:     hidden_global_offset_x
      - .offset:         120
        .size:           8
        .value_kind:     hidden_global_offset_y
      - .offset:         128
        .size:           8
        .value_kind:     hidden_global_offset_z
      - .offset:         136
        .size:           2
        .value_kind:     hidden_grid_dims
    .group_segment_fixed_size: 8448
    .kernarg_segment_align: 8
    .kernarg_segment_size: 328
    .language:       OpenCL C
    .language_version:
      - 2
      - 0
    .max_flat_workgroup_size: 256
    .name:           _ZN7rocprim17ROCPRIM_400000_NS6detail17trampoline_kernelINS0_14default_configENS1_38merge_sort_block_merge_config_selectorIN3c104HalfElEEZZNS1_27merge_sort_block_merge_implIS3_PS6_N6thrust23THRUST_200600_302600_NS10device_ptrIlEEmNSB_4lessIS6_EEEE10hipError_tT0_T1_T2_jT3_P12ihipStream_tbPNSt15iterator_traitsISH_E10value_typeEPNSN_ISI_E10value_typeEPSJ_NS1_7vsmem_tEENKUlT_SH_SI_SJ_E_clIS9_S9_PlSD_EESG_SW_SH_SI_SJ_EUlSW_E0_NS1_11comp_targetILNS1_3genE4ELNS1_11target_archE910ELNS1_3gpuE8ELNS1_3repE0EEENS1_38merge_mergepath_config_static_selectorELNS0_4arch9wavefront6targetE1EEEvSI_
    .private_segment_fixed_size: 0
    .sgpr_count:     42
    .sgpr_spill_count: 0
    .symbol:         _ZN7rocprim17ROCPRIM_400000_NS6detail17trampoline_kernelINS0_14default_configENS1_38merge_sort_block_merge_config_selectorIN3c104HalfElEEZZNS1_27merge_sort_block_merge_implIS3_PS6_N6thrust23THRUST_200600_302600_NS10device_ptrIlEEmNSB_4lessIS6_EEEE10hipError_tT0_T1_T2_jT3_P12ihipStream_tbPNSt15iterator_traitsISH_E10value_typeEPNSN_ISI_E10value_typeEPSJ_NS1_7vsmem_tEENKUlT_SH_SI_SJ_E_clIS9_S9_PlSD_EESG_SW_SH_SI_SJ_EUlSW_E0_NS1_11comp_targetILNS1_3genE4ELNS1_11target_archE910ELNS1_3gpuE8ELNS1_3repE0EEENS1_38merge_mergepath_config_static_selectorELNS0_4arch9wavefront6targetE1EEEvSI_.kd
    .uniform_work_group_size: 1
    .uses_dynamic_stack: false
    .vgpr_count:     36
    .vgpr_spill_count: 0
    .wavefront_size: 64
  - .agpr_count:     0
    .args:
      - .offset:         0
        .size:           72
        .value_kind:     by_value
    .group_segment_fixed_size: 0
    .kernarg_segment_align: 8
    .kernarg_segment_size: 72
    .language:       OpenCL C
    .language_version:
      - 2
      - 0
    .max_flat_workgroup_size: 256
    .name:           _ZN7rocprim17ROCPRIM_400000_NS6detail17trampoline_kernelINS0_14default_configENS1_38merge_sort_block_merge_config_selectorIN3c104HalfElEEZZNS1_27merge_sort_block_merge_implIS3_PS6_N6thrust23THRUST_200600_302600_NS10device_ptrIlEEmNSB_4lessIS6_EEEE10hipError_tT0_T1_T2_jT3_P12ihipStream_tbPNSt15iterator_traitsISH_E10value_typeEPNSN_ISI_E10value_typeEPSJ_NS1_7vsmem_tEENKUlT_SH_SI_SJ_E_clIS9_S9_PlSD_EESG_SW_SH_SI_SJ_EUlSW_E0_NS1_11comp_targetILNS1_3genE3ELNS1_11target_archE908ELNS1_3gpuE7ELNS1_3repE0EEENS1_38merge_mergepath_config_static_selectorELNS0_4arch9wavefront6targetE1EEEvSI_
    .private_segment_fixed_size: 0
    .sgpr_count:     4
    .sgpr_spill_count: 0
    .symbol:         _ZN7rocprim17ROCPRIM_400000_NS6detail17trampoline_kernelINS0_14default_configENS1_38merge_sort_block_merge_config_selectorIN3c104HalfElEEZZNS1_27merge_sort_block_merge_implIS3_PS6_N6thrust23THRUST_200600_302600_NS10device_ptrIlEEmNSB_4lessIS6_EEEE10hipError_tT0_T1_T2_jT3_P12ihipStream_tbPNSt15iterator_traitsISH_E10value_typeEPNSN_ISI_E10value_typeEPSJ_NS1_7vsmem_tEENKUlT_SH_SI_SJ_E_clIS9_S9_PlSD_EESG_SW_SH_SI_SJ_EUlSW_E0_NS1_11comp_targetILNS1_3genE3ELNS1_11target_archE908ELNS1_3gpuE7ELNS1_3repE0EEENS1_38merge_mergepath_config_static_selectorELNS0_4arch9wavefront6targetE1EEEvSI_.kd
    .uniform_work_group_size: 1
    .uses_dynamic_stack: false
    .vgpr_count:     0
    .vgpr_spill_count: 0
    .wavefront_size: 64
  - .agpr_count:     0
    .args:
      - .offset:         0
        .size:           72
        .value_kind:     by_value
    .group_segment_fixed_size: 0
    .kernarg_segment_align: 8
    .kernarg_segment_size: 72
    .language:       OpenCL C
    .language_version:
      - 2
      - 0
    .max_flat_workgroup_size: 256
    .name:           _ZN7rocprim17ROCPRIM_400000_NS6detail17trampoline_kernelINS0_14default_configENS1_38merge_sort_block_merge_config_selectorIN3c104HalfElEEZZNS1_27merge_sort_block_merge_implIS3_PS6_N6thrust23THRUST_200600_302600_NS10device_ptrIlEEmNSB_4lessIS6_EEEE10hipError_tT0_T1_T2_jT3_P12ihipStream_tbPNSt15iterator_traitsISH_E10value_typeEPNSN_ISI_E10value_typeEPSJ_NS1_7vsmem_tEENKUlT_SH_SI_SJ_E_clIS9_S9_PlSD_EESG_SW_SH_SI_SJ_EUlSW_E0_NS1_11comp_targetILNS1_3genE2ELNS1_11target_archE906ELNS1_3gpuE6ELNS1_3repE0EEENS1_38merge_mergepath_config_static_selectorELNS0_4arch9wavefront6targetE1EEEvSI_
    .private_segment_fixed_size: 0
    .sgpr_count:     4
    .sgpr_spill_count: 0
    .symbol:         _ZN7rocprim17ROCPRIM_400000_NS6detail17trampoline_kernelINS0_14default_configENS1_38merge_sort_block_merge_config_selectorIN3c104HalfElEEZZNS1_27merge_sort_block_merge_implIS3_PS6_N6thrust23THRUST_200600_302600_NS10device_ptrIlEEmNSB_4lessIS6_EEEE10hipError_tT0_T1_T2_jT3_P12ihipStream_tbPNSt15iterator_traitsISH_E10value_typeEPNSN_ISI_E10value_typeEPSJ_NS1_7vsmem_tEENKUlT_SH_SI_SJ_E_clIS9_S9_PlSD_EESG_SW_SH_SI_SJ_EUlSW_E0_NS1_11comp_targetILNS1_3genE2ELNS1_11target_archE906ELNS1_3gpuE6ELNS1_3repE0EEENS1_38merge_mergepath_config_static_selectorELNS0_4arch9wavefront6targetE1EEEvSI_.kd
    .uniform_work_group_size: 1
    .uses_dynamic_stack: false
    .vgpr_count:     0
    .vgpr_spill_count: 0
    .wavefront_size: 64
  - .agpr_count:     0
    .args:
      - .offset:         0
        .size:           72
        .value_kind:     by_value
    .group_segment_fixed_size: 0
    .kernarg_segment_align: 8
    .kernarg_segment_size: 72
    .language:       OpenCL C
    .language_version:
      - 2
      - 0
    .max_flat_workgroup_size: 256
    .name:           _ZN7rocprim17ROCPRIM_400000_NS6detail17trampoline_kernelINS0_14default_configENS1_38merge_sort_block_merge_config_selectorIN3c104HalfElEEZZNS1_27merge_sort_block_merge_implIS3_PS6_N6thrust23THRUST_200600_302600_NS10device_ptrIlEEmNSB_4lessIS6_EEEE10hipError_tT0_T1_T2_jT3_P12ihipStream_tbPNSt15iterator_traitsISH_E10value_typeEPNSN_ISI_E10value_typeEPSJ_NS1_7vsmem_tEENKUlT_SH_SI_SJ_E_clIS9_S9_PlSD_EESG_SW_SH_SI_SJ_EUlSW_E0_NS1_11comp_targetILNS1_3genE9ELNS1_11target_archE1100ELNS1_3gpuE3ELNS1_3repE0EEENS1_38merge_mergepath_config_static_selectorELNS0_4arch9wavefront6targetE1EEEvSI_
    .private_segment_fixed_size: 0
    .sgpr_count:     4
    .sgpr_spill_count: 0
    .symbol:         _ZN7rocprim17ROCPRIM_400000_NS6detail17trampoline_kernelINS0_14default_configENS1_38merge_sort_block_merge_config_selectorIN3c104HalfElEEZZNS1_27merge_sort_block_merge_implIS3_PS6_N6thrust23THRUST_200600_302600_NS10device_ptrIlEEmNSB_4lessIS6_EEEE10hipError_tT0_T1_T2_jT3_P12ihipStream_tbPNSt15iterator_traitsISH_E10value_typeEPNSN_ISI_E10value_typeEPSJ_NS1_7vsmem_tEENKUlT_SH_SI_SJ_E_clIS9_S9_PlSD_EESG_SW_SH_SI_SJ_EUlSW_E0_NS1_11comp_targetILNS1_3genE9ELNS1_11target_archE1100ELNS1_3gpuE3ELNS1_3repE0EEENS1_38merge_mergepath_config_static_selectorELNS0_4arch9wavefront6targetE1EEEvSI_.kd
    .uniform_work_group_size: 1
    .uses_dynamic_stack: false
    .vgpr_count:     0
    .vgpr_spill_count: 0
    .wavefront_size: 64
  - .agpr_count:     0
    .args:
      - .offset:         0
        .size:           72
        .value_kind:     by_value
    .group_segment_fixed_size: 0
    .kernarg_segment_align: 8
    .kernarg_segment_size: 72
    .language:       OpenCL C
    .language_version:
      - 2
      - 0
    .max_flat_workgroup_size: 512
    .name:           _ZN7rocprim17ROCPRIM_400000_NS6detail17trampoline_kernelINS0_14default_configENS1_38merge_sort_block_merge_config_selectorIN3c104HalfElEEZZNS1_27merge_sort_block_merge_implIS3_PS6_N6thrust23THRUST_200600_302600_NS10device_ptrIlEEmNSB_4lessIS6_EEEE10hipError_tT0_T1_T2_jT3_P12ihipStream_tbPNSt15iterator_traitsISH_E10value_typeEPNSN_ISI_E10value_typeEPSJ_NS1_7vsmem_tEENKUlT_SH_SI_SJ_E_clIS9_S9_PlSD_EESG_SW_SH_SI_SJ_EUlSW_E0_NS1_11comp_targetILNS1_3genE8ELNS1_11target_archE1030ELNS1_3gpuE2ELNS1_3repE0EEENS1_38merge_mergepath_config_static_selectorELNS0_4arch9wavefront6targetE1EEEvSI_
    .private_segment_fixed_size: 0
    .sgpr_count:     4
    .sgpr_spill_count: 0
    .symbol:         _ZN7rocprim17ROCPRIM_400000_NS6detail17trampoline_kernelINS0_14default_configENS1_38merge_sort_block_merge_config_selectorIN3c104HalfElEEZZNS1_27merge_sort_block_merge_implIS3_PS6_N6thrust23THRUST_200600_302600_NS10device_ptrIlEEmNSB_4lessIS6_EEEE10hipError_tT0_T1_T2_jT3_P12ihipStream_tbPNSt15iterator_traitsISH_E10value_typeEPNSN_ISI_E10value_typeEPSJ_NS1_7vsmem_tEENKUlT_SH_SI_SJ_E_clIS9_S9_PlSD_EESG_SW_SH_SI_SJ_EUlSW_E0_NS1_11comp_targetILNS1_3genE8ELNS1_11target_archE1030ELNS1_3gpuE2ELNS1_3repE0EEENS1_38merge_mergepath_config_static_selectorELNS0_4arch9wavefront6targetE1EEEvSI_.kd
    .uniform_work_group_size: 1
    .uses_dynamic_stack: false
    .vgpr_count:     0
    .vgpr_spill_count: 0
    .wavefront_size: 64
  - .agpr_count:     0
    .args:
      - .offset:         0
        .size:           56
        .value_kind:     by_value
    .group_segment_fixed_size: 0
    .kernarg_segment_align: 8
    .kernarg_segment_size: 56
    .language:       OpenCL C
    .language_version:
      - 2
      - 0
    .max_flat_workgroup_size: 256
    .name:           _ZN7rocprim17ROCPRIM_400000_NS6detail17trampoline_kernelINS0_14default_configENS1_38merge_sort_block_merge_config_selectorIN3c104HalfElEEZZNS1_27merge_sort_block_merge_implIS3_PS6_N6thrust23THRUST_200600_302600_NS10device_ptrIlEEmNSB_4lessIS6_EEEE10hipError_tT0_T1_T2_jT3_P12ihipStream_tbPNSt15iterator_traitsISH_E10value_typeEPNSN_ISI_E10value_typeEPSJ_NS1_7vsmem_tEENKUlT_SH_SI_SJ_E_clIS9_S9_PlSD_EESG_SW_SH_SI_SJ_EUlSW_E1_NS1_11comp_targetILNS1_3genE0ELNS1_11target_archE4294967295ELNS1_3gpuE0ELNS1_3repE0EEENS1_36merge_oddeven_config_static_selectorELNS0_4arch9wavefront6targetE1EEEvSI_
    .private_segment_fixed_size: 0
    .sgpr_count:     4
    .sgpr_spill_count: 0
    .symbol:         _ZN7rocprim17ROCPRIM_400000_NS6detail17trampoline_kernelINS0_14default_configENS1_38merge_sort_block_merge_config_selectorIN3c104HalfElEEZZNS1_27merge_sort_block_merge_implIS3_PS6_N6thrust23THRUST_200600_302600_NS10device_ptrIlEEmNSB_4lessIS6_EEEE10hipError_tT0_T1_T2_jT3_P12ihipStream_tbPNSt15iterator_traitsISH_E10value_typeEPNSN_ISI_E10value_typeEPSJ_NS1_7vsmem_tEENKUlT_SH_SI_SJ_E_clIS9_S9_PlSD_EESG_SW_SH_SI_SJ_EUlSW_E1_NS1_11comp_targetILNS1_3genE0ELNS1_11target_archE4294967295ELNS1_3gpuE0ELNS1_3repE0EEENS1_36merge_oddeven_config_static_selectorELNS0_4arch9wavefront6targetE1EEEvSI_.kd
    .uniform_work_group_size: 1
    .uses_dynamic_stack: false
    .vgpr_count:     0
    .vgpr_spill_count: 0
    .wavefront_size: 64
  - .agpr_count:     0
    .args:
      - .offset:         0
        .size:           56
        .value_kind:     by_value
    .group_segment_fixed_size: 0
    .kernarg_segment_align: 8
    .kernarg_segment_size: 56
    .language:       OpenCL C
    .language_version:
      - 2
      - 0
    .max_flat_workgroup_size: 256
    .name:           _ZN7rocprim17ROCPRIM_400000_NS6detail17trampoline_kernelINS0_14default_configENS1_38merge_sort_block_merge_config_selectorIN3c104HalfElEEZZNS1_27merge_sort_block_merge_implIS3_PS6_N6thrust23THRUST_200600_302600_NS10device_ptrIlEEmNSB_4lessIS6_EEEE10hipError_tT0_T1_T2_jT3_P12ihipStream_tbPNSt15iterator_traitsISH_E10value_typeEPNSN_ISI_E10value_typeEPSJ_NS1_7vsmem_tEENKUlT_SH_SI_SJ_E_clIS9_S9_PlSD_EESG_SW_SH_SI_SJ_EUlSW_E1_NS1_11comp_targetILNS1_3genE10ELNS1_11target_archE1201ELNS1_3gpuE5ELNS1_3repE0EEENS1_36merge_oddeven_config_static_selectorELNS0_4arch9wavefront6targetE1EEEvSI_
    .private_segment_fixed_size: 0
    .sgpr_count:     4
    .sgpr_spill_count: 0
    .symbol:         _ZN7rocprim17ROCPRIM_400000_NS6detail17trampoline_kernelINS0_14default_configENS1_38merge_sort_block_merge_config_selectorIN3c104HalfElEEZZNS1_27merge_sort_block_merge_implIS3_PS6_N6thrust23THRUST_200600_302600_NS10device_ptrIlEEmNSB_4lessIS6_EEEE10hipError_tT0_T1_T2_jT3_P12ihipStream_tbPNSt15iterator_traitsISH_E10value_typeEPNSN_ISI_E10value_typeEPSJ_NS1_7vsmem_tEENKUlT_SH_SI_SJ_E_clIS9_S9_PlSD_EESG_SW_SH_SI_SJ_EUlSW_E1_NS1_11comp_targetILNS1_3genE10ELNS1_11target_archE1201ELNS1_3gpuE5ELNS1_3repE0EEENS1_36merge_oddeven_config_static_selectorELNS0_4arch9wavefront6targetE1EEEvSI_.kd
    .uniform_work_group_size: 1
    .uses_dynamic_stack: false
    .vgpr_count:     0
    .vgpr_spill_count: 0
    .wavefront_size: 64
  - .agpr_count:     0
    .args:
      - .offset:         0
        .size:           56
        .value_kind:     by_value
    .group_segment_fixed_size: 0
    .kernarg_segment_align: 8
    .kernarg_segment_size: 56
    .language:       OpenCL C
    .language_version:
      - 2
      - 0
    .max_flat_workgroup_size: 256
    .name:           _ZN7rocprim17ROCPRIM_400000_NS6detail17trampoline_kernelINS0_14default_configENS1_38merge_sort_block_merge_config_selectorIN3c104HalfElEEZZNS1_27merge_sort_block_merge_implIS3_PS6_N6thrust23THRUST_200600_302600_NS10device_ptrIlEEmNSB_4lessIS6_EEEE10hipError_tT0_T1_T2_jT3_P12ihipStream_tbPNSt15iterator_traitsISH_E10value_typeEPNSN_ISI_E10value_typeEPSJ_NS1_7vsmem_tEENKUlT_SH_SI_SJ_E_clIS9_S9_PlSD_EESG_SW_SH_SI_SJ_EUlSW_E1_NS1_11comp_targetILNS1_3genE5ELNS1_11target_archE942ELNS1_3gpuE9ELNS1_3repE0EEENS1_36merge_oddeven_config_static_selectorELNS0_4arch9wavefront6targetE1EEEvSI_
    .private_segment_fixed_size: 0
    .sgpr_count:     4
    .sgpr_spill_count: 0
    .symbol:         _ZN7rocprim17ROCPRIM_400000_NS6detail17trampoline_kernelINS0_14default_configENS1_38merge_sort_block_merge_config_selectorIN3c104HalfElEEZZNS1_27merge_sort_block_merge_implIS3_PS6_N6thrust23THRUST_200600_302600_NS10device_ptrIlEEmNSB_4lessIS6_EEEE10hipError_tT0_T1_T2_jT3_P12ihipStream_tbPNSt15iterator_traitsISH_E10value_typeEPNSN_ISI_E10value_typeEPSJ_NS1_7vsmem_tEENKUlT_SH_SI_SJ_E_clIS9_S9_PlSD_EESG_SW_SH_SI_SJ_EUlSW_E1_NS1_11comp_targetILNS1_3genE5ELNS1_11target_archE942ELNS1_3gpuE9ELNS1_3repE0EEENS1_36merge_oddeven_config_static_selectorELNS0_4arch9wavefront6targetE1EEEvSI_.kd
    .uniform_work_group_size: 1
    .uses_dynamic_stack: false
    .vgpr_count:     0
    .vgpr_spill_count: 0
    .wavefront_size: 64
  - .agpr_count:     0
    .args:
      - .offset:         0
        .size:           56
        .value_kind:     by_value
    .group_segment_fixed_size: 0
    .kernarg_segment_align: 8
    .kernarg_segment_size: 56
    .language:       OpenCL C
    .language_version:
      - 2
      - 0
    .max_flat_workgroup_size: 256
    .name:           _ZN7rocprim17ROCPRIM_400000_NS6detail17trampoline_kernelINS0_14default_configENS1_38merge_sort_block_merge_config_selectorIN3c104HalfElEEZZNS1_27merge_sort_block_merge_implIS3_PS6_N6thrust23THRUST_200600_302600_NS10device_ptrIlEEmNSB_4lessIS6_EEEE10hipError_tT0_T1_T2_jT3_P12ihipStream_tbPNSt15iterator_traitsISH_E10value_typeEPNSN_ISI_E10value_typeEPSJ_NS1_7vsmem_tEENKUlT_SH_SI_SJ_E_clIS9_S9_PlSD_EESG_SW_SH_SI_SJ_EUlSW_E1_NS1_11comp_targetILNS1_3genE4ELNS1_11target_archE910ELNS1_3gpuE8ELNS1_3repE0EEENS1_36merge_oddeven_config_static_selectorELNS0_4arch9wavefront6targetE1EEEvSI_
    .private_segment_fixed_size: 0
    .sgpr_count:     28
    .sgpr_spill_count: 0
    .symbol:         _ZN7rocprim17ROCPRIM_400000_NS6detail17trampoline_kernelINS0_14default_configENS1_38merge_sort_block_merge_config_selectorIN3c104HalfElEEZZNS1_27merge_sort_block_merge_implIS3_PS6_N6thrust23THRUST_200600_302600_NS10device_ptrIlEEmNSB_4lessIS6_EEEE10hipError_tT0_T1_T2_jT3_P12ihipStream_tbPNSt15iterator_traitsISH_E10value_typeEPNSN_ISI_E10value_typeEPSJ_NS1_7vsmem_tEENKUlT_SH_SI_SJ_E_clIS9_S9_PlSD_EESG_SW_SH_SI_SJ_EUlSW_E1_NS1_11comp_targetILNS1_3genE4ELNS1_11target_archE910ELNS1_3gpuE8ELNS1_3repE0EEENS1_36merge_oddeven_config_static_selectorELNS0_4arch9wavefront6targetE1EEEvSI_.kd
    .uniform_work_group_size: 1
    .uses_dynamic_stack: false
    .vgpr_count:     10
    .vgpr_spill_count: 0
    .wavefront_size: 64
  - .agpr_count:     0
    .args:
      - .offset:         0
        .size:           56
        .value_kind:     by_value
    .group_segment_fixed_size: 0
    .kernarg_segment_align: 8
    .kernarg_segment_size: 56
    .language:       OpenCL C
    .language_version:
      - 2
      - 0
    .max_flat_workgroup_size: 256
    .name:           _ZN7rocprim17ROCPRIM_400000_NS6detail17trampoline_kernelINS0_14default_configENS1_38merge_sort_block_merge_config_selectorIN3c104HalfElEEZZNS1_27merge_sort_block_merge_implIS3_PS6_N6thrust23THRUST_200600_302600_NS10device_ptrIlEEmNSB_4lessIS6_EEEE10hipError_tT0_T1_T2_jT3_P12ihipStream_tbPNSt15iterator_traitsISH_E10value_typeEPNSN_ISI_E10value_typeEPSJ_NS1_7vsmem_tEENKUlT_SH_SI_SJ_E_clIS9_S9_PlSD_EESG_SW_SH_SI_SJ_EUlSW_E1_NS1_11comp_targetILNS1_3genE3ELNS1_11target_archE908ELNS1_3gpuE7ELNS1_3repE0EEENS1_36merge_oddeven_config_static_selectorELNS0_4arch9wavefront6targetE1EEEvSI_
    .private_segment_fixed_size: 0
    .sgpr_count:     4
    .sgpr_spill_count: 0
    .symbol:         _ZN7rocprim17ROCPRIM_400000_NS6detail17trampoline_kernelINS0_14default_configENS1_38merge_sort_block_merge_config_selectorIN3c104HalfElEEZZNS1_27merge_sort_block_merge_implIS3_PS6_N6thrust23THRUST_200600_302600_NS10device_ptrIlEEmNSB_4lessIS6_EEEE10hipError_tT0_T1_T2_jT3_P12ihipStream_tbPNSt15iterator_traitsISH_E10value_typeEPNSN_ISI_E10value_typeEPSJ_NS1_7vsmem_tEENKUlT_SH_SI_SJ_E_clIS9_S9_PlSD_EESG_SW_SH_SI_SJ_EUlSW_E1_NS1_11comp_targetILNS1_3genE3ELNS1_11target_archE908ELNS1_3gpuE7ELNS1_3repE0EEENS1_36merge_oddeven_config_static_selectorELNS0_4arch9wavefront6targetE1EEEvSI_.kd
    .uniform_work_group_size: 1
    .uses_dynamic_stack: false
    .vgpr_count:     0
    .vgpr_spill_count: 0
    .wavefront_size: 64
  - .agpr_count:     0
    .args:
      - .offset:         0
        .size:           56
        .value_kind:     by_value
    .group_segment_fixed_size: 0
    .kernarg_segment_align: 8
    .kernarg_segment_size: 56
    .language:       OpenCL C
    .language_version:
      - 2
      - 0
    .max_flat_workgroup_size: 256
    .name:           _ZN7rocprim17ROCPRIM_400000_NS6detail17trampoline_kernelINS0_14default_configENS1_38merge_sort_block_merge_config_selectorIN3c104HalfElEEZZNS1_27merge_sort_block_merge_implIS3_PS6_N6thrust23THRUST_200600_302600_NS10device_ptrIlEEmNSB_4lessIS6_EEEE10hipError_tT0_T1_T2_jT3_P12ihipStream_tbPNSt15iterator_traitsISH_E10value_typeEPNSN_ISI_E10value_typeEPSJ_NS1_7vsmem_tEENKUlT_SH_SI_SJ_E_clIS9_S9_PlSD_EESG_SW_SH_SI_SJ_EUlSW_E1_NS1_11comp_targetILNS1_3genE2ELNS1_11target_archE906ELNS1_3gpuE6ELNS1_3repE0EEENS1_36merge_oddeven_config_static_selectorELNS0_4arch9wavefront6targetE1EEEvSI_
    .private_segment_fixed_size: 0
    .sgpr_count:     4
    .sgpr_spill_count: 0
    .symbol:         _ZN7rocprim17ROCPRIM_400000_NS6detail17trampoline_kernelINS0_14default_configENS1_38merge_sort_block_merge_config_selectorIN3c104HalfElEEZZNS1_27merge_sort_block_merge_implIS3_PS6_N6thrust23THRUST_200600_302600_NS10device_ptrIlEEmNSB_4lessIS6_EEEE10hipError_tT0_T1_T2_jT3_P12ihipStream_tbPNSt15iterator_traitsISH_E10value_typeEPNSN_ISI_E10value_typeEPSJ_NS1_7vsmem_tEENKUlT_SH_SI_SJ_E_clIS9_S9_PlSD_EESG_SW_SH_SI_SJ_EUlSW_E1_NS1_11comp_targetILNS1_3genE2ELNS1_11target_archE906ELNS1_3gpuE6ELNS1_3repE0EEENS1_36merge_oddeven_config_static_selectorELNS0_4arch9wavefront6targetE1EEEvSI_.kd
    .uniform_work_group_size: 1
    .uses_dynamic_stack: false
    .vgpr_count:     0
    .vgpr_spill_count: 0
    .wavefront_size: 64
  - .agpr_count:     0
    .args:
      - .offset:         0
        .size:           56
        .value_kind:     by_value
    .group_segment_fixed_size: 0
    .kernarg_segment_align: 8
    .kernarg_segment_size: 56
    .language:       OpenCL C
    .language_version:
      - 2
      - 0
    .max_flat_workgroup_size: 256
    .name:           _ZN7rocprim17ROCPRIM_400000_NS6detail17trampoline_kernelINS0_14default_configENS1_38merge_sort_block_merge_config_selectorIN3c104HalfElEEZZNS1_27merge_sort_block_merge_implIS3_PS6_N6thrust23THRUST_200600_302600_NS10device_ptrIlEEmNSB_4lessIS6_EEEE10hipError_tT0_T1_T2_jT3_P12ihipStream_tbPNSt15iterator_traitsISH_E10value_typeEPNSN_ISI_E10value_typeEPSJ_NS1_7vsmem_tEENKUlT_SH_SI_SJ_E_clIS9_S9_PlSD_EESG_SW_SH_SI_SJ_EUlSW_E1_NS1_11comp_targetILNS1_3genE9ELNS1_11target_archE1100ELNS1_3gpuE3ELNS1_3repE0EEENS1_36merge_oddeven_config_static_selectorELNS0_4arch9wavefront6targetE1EEEvSI_
    .private_segment_fixed_size: 0
    .sgpr_count:     4
    .sgpr_spill_count: 0
    .symbol:         _ZN7rocprim17ROCPRIM_400000_NS6detail17trampoline_kernelINS0_14default_configENS1_38merge_sort_block_merge_config_selectorIN3c104HalfElEEZZNS1_27merge_sort_block_merge_implIS3_PS6_N6thrust23THRUST_200600_302600_NS10device_ptrIlEEmNSB_4lessIS6_EEEE10hipError_tT0_T1_T2_jT3_P12ihipStream_tbPNSt15iterator_traitsISH_E10value_typeEPNSN_ISI_E10value_typeEPSJ_NS1_7vsmem_tEENKUlT_SH_SI_SJ_E_clIS9_S9_PlSD_EESG_SW_SH_SI_SJ_EUlSW_E1_NS1_11comp_targetILNS1_3genE9ELNS1_11target_archE1100ELNS1_3gpuE3ELNS1_3repE0EEENS1_36merge_oddeven_config_static_selectorELNS0_4arch9wavefront6targetE1EEEvSI_.kd
    .uniform_work_group_size: 1
    .uses_dynamic_stack: false
    .vgpr_count:     0
    .vgpr_spill_count: 0
    .wavefront_size: 64
  - .agpr_count:     0
    .args:
      - .offset:         0
        .size:           56
        .value_kind:     by_value
    .group_segment_fixed_size: 0
    .kernarg_segment_align: 8
    .kernarg_segment_size: 56
    .language:       OpenCL C
    .language_version:
      - 2
      - 0
    .max_flat_workgroup_size: 256
    .name:           _ZN7rocprim17ROCPRIM_400000_NS6detail17trampoline_kernelINS0_14default_configENS1_38merge_sort_block_merge_config_selectorIN3c104HalfElEEZZNS1_27merge_sort_block_merge_implIS3_PS6_N6thrust23THRUST_200600_302600_NS10device_ptrIlEEmNSB_4lessIS6_EEEE10hipError_tT0_T1_T2_jT3_P12ihipStream_tbPNSt15iterator_traitsISH_E10value_typeEPNSN_ISI_E10value_typeEPSJ_NS1_7vsmem_tEENKUlT_SH_SI_SJ_E_clIS9_S9_PlSD_EESG_SW_SH_SI_SJ_EUlSW_E1_NS1_11comp_targetILNS1_3genE8ELNS1_11target_archE1030ELNS1_3gpuE2ELNS1_3repE0EEENS1_36merge_oddeven_config_static_selectorELNS0_4arch9wavefront6targetE1EEEvSI_
    .private_segment_fixed_size: 0
    .sgpr_count:     4
    .sgpr_spill_count: 0
    .symbol:         _ZN7rocprim17ROCPRIM_400000_NS6detail17trampoline_kernelINS0_14default_configENS1_38merge_sort_block_merge_config_selectorIN3c104HalfElEEZZNS1_27merge_sort_block_merge_implIS3_PS6_N6thrust23THRUST_200600_302600_NS10device_ptrIlEEmNSB_4lessIS6_EEEE10hipError_tT0_T1_T2_jT3_P12ihipStream_tbPNSt15iterator_traitsISH_E10value_typeEPNSN_ISI_E10value_typeEPSJ_NS1_7vsmem_tEENKUlT_SH_SI_SJ_E_clIS9_S9_PlSD_EESG_SW_SH_SI_SJ_EUlSW_E1_NS1_11comp_targetILNS1_3genE8ELNS1_11target_archE1030ELNS1_3gpuE2ELNS1_3repE0EEENS1_36merge_oddeven_config_static_selectorELNS0_4arch9wavefront6targetE1EEEvSI_.kd
    .uniform_work_group_size: 1
    .uses_dynamic_stack: false
    .vgpr_count:     0
    .vgpr_spill_count: 0
    .wavefront_size: 64
  - .agpr_count:     0
    .args:
      - .offset:         0
        .size:           48
        .value_kind:     by_value
    .group_segment_fixed_size: 0
    .kernarg_segment_align: 8
    .kernarg_segment_size: 48
    .language:       OpenCL C
    .language_version:
      - 2
      - 0
    .max_flat_workgroup_size: 128
    .name:           _ZN7rocprim17ROCPRIM_400000_NS6detail17trampoline_kernelINS0_14default_configENS1_38merge_sort_block_merge_config_selectorIN3c104HalfElEEZZNS1_27merge_sort_block_merge_implIS3_PS6_N6thrust23THRUST_200600_302600_NS10device_ptrIlEEmNSB_4lessIS6_EEEE10hipError_tT0_T1_T2_jT3_P12ihipStream_tbPNSt15iterator_traitsISH_E10value_typeEPNSN_ISI_E10value_typeEPSJ_NS1_7vsmem_tEENKUlT_SH_SI_SJ_E_clIS9_S9_SD_PlEESG_SW_SH_SI_SJ_EUlSW_E_NS1_11comp_targetILNS1_3genE0ELNS1_11target_archE4294967295ELNS1_3gpuE0ELNS1_3repE0EEENS1_48merge_mergepath_partition_config_static_selectorELNS0_4arch9wavefront6targetE1EEEvSI_
    .private_segment_fixed_size: 0
    .sgpr_count:     4
    .sgpr_spill_count: 0
    .symbol:         _ZN7rocprim17ROCPRIM_400000_NS6detail17trampoline_kernelINS0_14default_configENS1_38merge_sort_block_merge_config_selectorIN3c104HalfElEEZZNS1_27merge_sort_block_merge_implIS3_PS6_N6thrust23THRUST_200600_302600_NS10device_ptrIlEEmNSB_4lessIS6_EEEE10hipError_tT0_T1_T2_jT3_P12ihipStream_tbPNSt15iterator_traitsISH_E10value_typeEPNSN_ISI_E10value_typeEPSJ_NS1_7vsmem_tEENKUlT_SH_SI_SJ_E_clIS9_S9_SD_PlEESG_SW_SH_SI_SJ_EUlSW_E_NS1_11comp_targetILNS1_3genE0ELNS1_11target_archE4294967295ELNS1_3gpuE0ELNS1_3repE0EEENS1_48merge_mergepath_partition_config_static_selectorELNS0_4arch9wavefront6targetE1EEEvSI_.kd
    .uniform_work_group_size: 1
    .uses_dynamic_stack: false
    .vgpr_count:     0
    .vgpr_spill_count: 0
    .wavefront_size: 64
  - .agpr_count:     0
    .args:
      - .offset:         0
        .size:           48
        .value_kind:     by_value
    .group_segment_fixed_size: 0
    .kernarg_segment_align: 8
    .kernarg_segment_size: 48
    .language:       OpenCL C
    .language_version:
      - 2
      - 0
    .max_flat_workgroup_size: 128
    .name:           _ZN7rocprim17ROCPRIM_400000_NS6detail17trampoline_kernelINS0_14default_configENS1_38merge_sort_block_merge_config_selectorIN3c104HalfElEEZZNS1_27merge_sort_block_merge_implIS3_PS6_N6thrust23THRUST_200600_302600_NS10device_ptrIlEEmNSB_4lessIS6_EEEE10hipError_tT0_T1_T2_jT3_P12ihipStream_tbPNSt15iterator_traitsISH_E10value_typeEPNSN_ISI_E10value_typeEPSJ_NS1_7vsmem_tEENKUlT_SH_SI_SJ_E_clIS9_S9_SD_PlEESG_SW_SH_SI_SJ_EUlSW_E_NS1_11comp_targetILNS1_3genE10ELNS1_11target_archE1201ELNS1_3gpuE5ELNS1_3repE0EEENS1_48merge_mergepath_partition_config_static_selectorELNS0_4arch9wavefront6targetE1EEEvSI_
    .private_segment_fixed_size: 0
    .sgpr_count:     4
    .sgpr_spill_count: 0
    .symbol:         _ZN7rocprim17ROCPRIM_400000_NS6detail17trampoline_kernelINS0_14default_configENS1_38merge_sort_block_merge_config_selectorIN3c104HalfElEEZZNS1_27merge_sort_block_merge_implIS3_PS6_N6thrust23THRUST_200600_302600_NS10device_ptrIlEEmNSB_4lessIS6_EEEE10hipError_tT0_T1_T2_jT3_P12ihipStream_tbPNSt15iterator_traitsISH_E10value_typeEPNSN_ISI_E10value_typeEPSJ_NS1_7vsmem_tEENKUlT_SH_SI_SJ_E_clIS9_S9_SD_PlEESG_SW_SH_SI_SJ_EUlSW_E_NS1_11comp_targetILNS1_3genE10ELNS1_11target_archE1201ELNS1_3gpuE5ELNS1_3repE0EEENS1_48merge_mergepath_partition_config_static_selectorELNS0_4arch9wavefront6targetE1EEEvSI_.kd
    .uniform_work_group_size: 1
    .uses_dynamic_stack: false
    .vgpr_count:     0
    .vgpr_spill_count: 0
    .wavefront_size: 64
  - .agpr_count:     0
    .args:
      - .offset:         0
        .size:           48
        .value_kind:     by_value
    .group_segment_fixed_size: 0
    .kernarg_segment_align: 8
    .kernarg_segment_size: 48
    .language:       OpenCL C
    .language_version:
      - 2
      - 0
    .max_flat_workgroup_size: 128
    .name:           _ZN7rocprim17ROCPRIM_400000_NS6detail17trampoline_kernelINS0_14default_configENS1_38merge_sort_block_merge_config_selectorIN3c104HalfElEEZZNS1_27merge_sort_block_merge_implIS3_PS6_N6thrust23THRUST_200600_302600_NS10device_ptrIlEEmNSB_4lessIS6_EEEE10hipError_tT0_T1_T2_jT3_P12ihipStream_tbPNSt15iterator_traitsISH_E10value_typeEPNSN_ISI_E10value_typeEPSJ_NS1_7vsmem_tEENKUlT_SH_SI_SJ_E_clIS9_S9_SD_PlEESG_SW_SH_SI_SJ_EUlSW_E_NS1_11comp_targetILNS1_3genE5ELNS1_11target_archE942ELNS1_3gpuE9ELNS1_3repE0EEENS1_48merge_mergepath_partition_config_static_selectorELNS0_4arch9wavefront6targetE1EEEvSI_
    .private_segment_fixed_size: 0
    .sgpr_count:     4
    .sgpr_spill_count: 0
    .symbol:         _ZN7rocprim17ROCPRIM_400000_NS6detail17trampoline_kernelINS0_14default_configENS1_38merge_sort_block_merge_config_selectorIN3c104HalfElEEZZNS1_27merge_sort_block_merge_implIS3_PS6_N6thrust23THRUST_200600_302600_NS10device_ptrIlEEmNSB_4lessIS6_EEEE10hipError_tT0_T1_T2_jT3_P12ihipStream_tbPNSt15iterator_traitsISH_E10value_typeEPNSN_ISI_E10value_typeEPSJ_NS1_7vsmem_tEENKUlT_SH_SI_SJ_E_clIS9_S9_SD_PlEESG_SW_SH_SI_SJ_EUlSW_E_NS1_11comp_targetILNS1_3genE5ELNS1_11target_archE942ELNS1_3gpuE9ELNS1_3repE0EEENS1_48merge_mergepath_partition_config_static_selectorELNS0_4arch9wavefront6targetE1EEEvSI_.kd
    .uniform_work_group_size: 1
    .uses_dynamic_stack: false
    .vgpr_count:     0
    .vgpr_spill_count: 0
    .wavefront_size: 64
  - .agpr_count:     0
    .args:
      - .offset:         0
        .size:           48
        .value_kind:     by_value
    .group_segment_fixed_size: 0
    .kernarg_segment_align: 8
    .kernarg_segment_size: 48
    .language:       OpenCL C
    .language_version:
      - 2
      - 0
    .max_flat_workgroup_size: 128
    .name:           _ZN7rocprim17ROCPRIM_400000_NS6detail17trampoline_kernelINS0_14default_configENS1_38merge_sort_block_merge_config_selectorIN3c104HalfElEEZZNS1_27merge_sort_block_merge_implIS3_PS6_N6thrust23THRUST_200600_302600_NS10device_ptrIlEEmNSB_4lessIS6_EEEE10hipError_tT0_T1_T2_jT3_P12ihipStream_tbPNSt15iterator_traitsISH_E10value_typeEPNSN_ISI_E10value_typeEPSJ_NS1_7vsmem_tEENKUlT_SH_SI_SJ_E_clIS9_S9_SD_PlEESG_SW_SH_SI_SJ_EUlSW_E_NS1_11comp_targetILNS1_3genE4ELNS1_11target_archE910ELNS1_3gpuE8ELNS1_3repE0EEENS1_48merge_mergepath_partition_config_static_selectorELNS0_4arch9wavefront6targetE1EEEvSI_
    .private_segment_fixed_size: 0
    .sgpr_count:     12
    .sgpr_spill_count: 0
    .symbol:         _ZN7rocprim17ROCPRIM_400000_NS6detail17trampoline_kernelINS0_14default_configENS1_38merge_sort_block_merge_config_selectorIN3c104HalfElEEZZNS1_27merge_sort_block_merge_implIS3_PS6_N6thrust23THRUST_200600_302600_NS10device_ptrIlEEmNSB_4lessIS6_EEEE10hipError_tT0_T1_T2_jT3_P12ihipStream_tbPNSt15iterator_traitsISH_E10value_typeEPNSN_ISI_E10value_typeEPSJ_NS1_7vsmem_tEENKUlT_SH_SI_SJ_E_clIS9_S9_SD_PlEESG_SW_SH_SI_SJ_EUlSW_E_NS1_11comp_targetILNS1_3genE4ELNS1_11target_archE910ELNS1_3gpuE8ELNS1_3repE0EEENS1_48merge_mergepath_partition_config_static_selectorELNS0_4arch9wavefront6targetE1EEEvSI_.kd
    .uniform_work_group_size: 1
    .uses_dynamic_stack: false
    .vgpr_count:     18
    .vgpr_spill_count: 0
    .wavefront_size: 64
  - .agpr_count:     0
    .args:
      - .offset:         0
        .size:           48
        .value_kind:     by_value
    .group_segment_fixed_size: 0
    .kernarg_segment_align: 8
    .kernarg_segment_size: 48
    .language:       OpenCL C
    .language_version:
      - 2
      - 0
    .max_flat_workgroup_size: 128
    .name:           _ZN7rocprim17ROCPRIM_400000_NS6detail17trampoline_kernelINS0_14default_configENS1_38merge_sort_block_merge_config_selectorIN3c104HalfElEEZZNS1_27merge_sort_block_merge_implIS3_PS6_N6thrust23THRUST_200600_302600_NS10device_ptrIlEEmNSB_4lessIS6_EEEE10hipError_tT0_T1_T2_jT3_P12ihipStream_tbPNSt15iterator_traitsISH_E10value_typeEPNSN_ISI_E10value_typeEPSJ_NS1_7vsmem_tEENKUlT_SH_SI_SJ_E_clIS9_S9_SD_PlEESG_SW_SH_SI_SJ_EUlSW_E_NS1_11comp_targetILNS1_3genE3ELNS1_11target_archE908ELNS1_3gpuE7ELNS1_3repE0EEENS1_48merge_mergepath_partition_config_static_selectorELNS0_4arch9wavefront6targetE1EEEvSI_
    .private_segment_fixed_size: 0
    .sgpr_count:     4
    .sgpr_spill_count: 0
    .symbol:         _ZN7rocprim17ROCPRIM_400000_NS6detail17trampoline_kernelINS0_14default_configENS1_38merge_sort_block_merge_config_selectorIN3c104HalfElEEZZNS1_27merge_sort_block_merge_implIS3_PS6_N6thrust23THRUST_200600_302600_NS10device_ptrIlEEmNSB_4lessIS6_EEEE10hipError_tT0_T1_T2_jT3_P12ihipStream_tbPNSt15iterator_traitsISH_E10value_typeEPNSN_ISI_E10value_typeEPSJ_NS1_7vsmem_tEENKUlT_SH_SI_SJ_E_clIS9_S9_SD_PlEESG_SW_SH_SI_SJ_EUlSW_E_NS1_11comp_targetILNS1_3genE3ELNS1_11target_archE908ELNS1_3gpuE7ELNS1_3repE0EEENS1_48merge_mergepath_partition_config_static_selectorELNS0_4arch9wavefront6targetE1EEEvSI_.kd
    .uniform_work_group_size: 1
    .uses_dynamic_stack: false
    .vgpr_count:     0
    .vgpr_spill_count: 0
    .wavefront_size: 64
  - .agpr_count:     0
    .args:
      - .offset:         0
        .size:           48
        .value_kind:     by_value
    .group_segment_fixed_size: 0
    .kernarg_segment_align: 8
    .kernarg_segment_size: 48
    .language:       OpenCL C
    .language_version:
      - 2
      - 0
    .max_flat_workgroup_size: 128
    .name:           _ZN7rocprim17ROCPRIM_400000_NS6detail17trampoline_kernelINS0_14default_configENS1_38merge_sort_block_merge_config_selectorIN3c104HalfElEEZZNS1_27merge_sort_block_merge_implIS3_PS6_N6thrust23THRUST_200600_302600_NS10device_ptrIlEEmNSB_4lessIS6_EEEE10hipError_tT0_T1_T2_jT3_P12ihipStream_tbPNSt15iterator_traitsISH_E10value_typeEPNSN_ISI_E10value_typeEPSJ_NS1_7vsmem_tEENKUlT_SH_SI_SJ_E_clIS9_S9_SD_PlEESG_SW_SH_SI_SJ_EUlSW_E_NS1_11comp_targetILNS1_3genE2ELNS1_11target_archE906ELNS1_3gpuE6ELNS1_3repE0EEENS1_48merge_mergepath_partition_config_static_selectorELNS0_4arch9wavefront6targetE1EEEvSI_
    .private_segment_fixed_size: 0
    .sgpr_count:     4
    .sgpr_spill_count: 0
    .symbol:         _ZN7rocprim17ROCPRIM_400000_NS6detail17trampoline_kernelINS0_14default_configENS1_38merge_sort_block_merge_config_selectorIN3c104HalfElEEZZNS1_27merge_sort_block_merge_implIS3_PS6_N6thrust23THRUST_200600_302600_NS10device_ptrIlEEmNSB_4lessIS6_EEEE10hipError_tT0_T1_T2_jT3_P12ihipStream_tbPNSt15iterator_traitsISH_E10value_typeEPNSN_ISI_E10value_typeEPSJ_NS1_7vsmem_tEENKUlT_SH_SI_SJ_E_clIS9_S9_SD_PlEESG_SW_SH_SI_SJ_EUlSW_E_NS1_11comp_targetILNS1_3genE2ELNS1_11target_archE906ELNS1_3gpuE6ELNS1_3repE0EEENS1_48merge_mergepath_partition_config_static_selectorELNS0_4arch9wavefront6targetE1EEEvSI_.kd
    .uniform_work_group_size: 1
    .uses_dynamic_stack: false
    .vgpr_count:     0
    .vgpr_spill_count: 0
    .wavefront_size: 64
  - .agpr_count:     0
    .args:
      - .offset:         0
        .size:           48
        .value_kind:     by_value
    .group_segment_fixed_size: 0
    .kernarg_segment_align: 8
    .kernarg_segment_size: 48
    .language:       OpenCL C
    .language_version:
      - 2
      - 0
    .max_flat_workgroup_size: 128
    .name:           _ZN7rocprim17ROCPRIM_400000_NS6detail17trampoline_kernelINS0_14default_configENS1_38merge_sort_block_merge_config_selectorIN3c104HalfElEEZZNS1_27merge_sort_block_merge_implIS3_PS6_N6thrust23THRUST_200600_302600_NS10device_ptrIlEEmNSB_4lessIS6_EEEE10hipError_tT0_T1_T2_jT3_P12ihipStream_tbPNSt15iterator_traitsISH_E10value_typeEPNSN_ISI_E10value_typeEPSJ_NS1_7vsmem_tEENKUlT_SH_SI_SJ_E_clIS9_S9_SD_PlEESG_SW_SH_SI_SJ_EUlSW_E_NS1_11comp_targetILNS1_3genE9ELNS1_11target_archE1100ELNS1_3gpuE3ELNS1_3repE0EEENS1_48merge_mergepath_partition_config_static_selectorELNS0_4arch9wavefront6targetE1EEEvSI_
    .private_segment_fixed_size: 0
    .sgpr_count:     4
    .sgpr_spill_count: 0
    .symbol:         _ZN7rocprim17ROCPRIM_400000_NS6detail17trampoline_kernelINS0_14default_configENS1_38merge_sort_block_merge_config_selectorIN3c104HalfElEEZZNS1_27merge_sort_block_merge_implIS3_PS6_N6thrust23THRUST_200600_302600_NS10device_ptrIlEEmNSB_4lessIS6_EEEE10hipError_tT0_T1_T2_jT3_P12ihipStream_tbPNSt15iterator_traitsISH_E10value_typeEPNSN_ISI_E10value_typeEPSJ_NS1_7vsmem_tEENKUlT_SH_SI_SJ_E_clIS9_S9_SD_PlEESG_SW_SH_SI_SJ_EUlSW_E_NS1_11comp_targetILNS1_3genE9ELNS1_11target_archE1100ELNS1_3gpuE3ELNS1_3repE0EEENS1_48merge_mergepath_partition_config_static_selectorELNS0_4arch9wavefront6targetE1EEEvSI_.kd
    .uniform_work_group_size: 1
    .uses_dynamic_stack: false
    .vgpr_count:     0
    .vgpr_spill_count: 0
    .wavefront_size: 64
  - .agpr_count:     0
    .args:
      - .offset:         0
        .size:           48
        .value_kind:     by_value
    .group_segment_fixed_size: 0
    .kernarg_segment_align: 8
    .kernarg_segment_size: 48
    .language:       OpenCL C
    .language_version:
      - 2
      - 0
    .max_flat_workgroup_size: 128
    .name:           _ZN7rocprim17ROCPRIM_400000_NS6detail17trampoline_kernelINS0_14default_configENS1_38merge_sort_block_merge_config_selectorIN3c104HalfElEEZZNS1_27merge_sort_block_merge_implIS3_PS6_N6thrust23THRUST_200600_302600_NS10device_ptrIlEEmNSB_4lessIS6_EEEE10hipError_tT0_T1_T2_jT3_P12ihipStream_tbPNSt15iterator_traitsISH_E10value_typeEPNSN_ISI_E10value_typeEPSJ_NS1_7vsmem_tEENKUlT_SH_SI_SJ_E_clIS9_S9_SD_PlEESG_SW_SH_SI_SJ_EUlSW_E_NS1_11comp_targetILNS1_3genE8ELNS1_11target_archE1030ELNS1_3gpuE2ELNS1_3repE0EEENS1_48merge_mergepath_partition_config_static_selectorELNS0_4arch9wavefront6targetE1EEEvSI_
    .private_segment_fixed_size: 0
    .sgpr_count:     4
    .sgpr_spill_count: 0
    .symbol:         _ZN7rocprim17ROCPRIM_400000_NS6detail17trampoline_kernelINS0_14default_configENS1_38merge_sort_block_merge_config_selectorIN3c104HalfElEEZZNS1_27merge_sort_block_merge_implIS3_PS6_N6thrust23THRUST_200600_302600_NS10device_ptrIlEEmNSB_4lessIS6_EEEE10hipError_tT0_T1_T2_jT3_P12ihipStream_tbPNSt15iterator_traitsISH_E10value_typeEPNSN_ISI_E10value_typeEPSJ_NS1_7vsmem_tEENKUlT_SH_SI_SJ_E_clIS9_S9_SD_PlEESG_SW_SH_SI_SJ_EUlSW_E_NS1_11comp_targetILNS1_3genE8ELNS1_11target_archE1030ELNS1_3gpuE2ELNS1_3repE0EEENS1_48merge_mergepath_partition_config_static_selectorELNS0_4arch9wavefront6targetE1EEEvSI_.kd
    .uniform_work_group_size: 1
    .uses_dynamic_stack: false
    .vgpr_count:     0
    .vgpr_spill_count: 0
    .wavefront_size: 64
  - .agpr_count:     0
    .args:
      - .offset:         0
        .size:           72
        .value_kind:     by_value
    .group_segment_fixed_size: 0
    .kernarg_segment_align: 8
    .kernarg_segment_size: 72
    .language:       OpenCL C
    .language_version:
      - 2
      - 0
    .max_flat_workgroup_size: 256
    .name:           _ZN7rocprim17ROCPRIM_400000_NS6detail17trampoline_kernelINS0_14default_configENS1_38merge_sort_block_merge_config_selectorIN3c104HalfElEEZZNS1_27merge_sort_block_merge_implIS3_PS6_N6thrust23THRUST_200600_302600_NS10device_ptrIlEEmNSB_4lessIS6_EEEE10hipError_tT0_T1_T2_jT3_P12ihipStream_tbPNSt15iterator_traitsISH_E10value_typeEPNSN_ISI_E10value_typeEPSJ_NS1_7vsmem_tEENKUlT_SH_SI_SJ_E_clIS9_S9_SD_PlEESG_SW_SH_SI_SJ_EUlSW_E0_NS1_11comp_targetILNS1_3genE0ELNS1_11target_archE4294967295ELNS1_3gpuE0ELNS1_3repE0EEENS1_38merge_mergepath_config_static_selectorELNS0_4arch9wavefront6targetE1EEEvSI_
    .private_segment_fixed_size: 0
    .sgpr_count:     4
    .sgpr_spill_count: 0
    .symbol:         _ZN7rocprim17ROCPRIM_400000_NS6detail17trampoline_kernelINS0_14default_configENS1_38merge_sort_block_merge_config_selectorIN3c104HalfElEEZZNS1_27merge_sort_block_merge_implIS3_PS6_N6thrust23THRUST_200600_302600_NS10device_ptrIlEEmNSB_4lessIS6_EEEE10hipError_tT0_T1_T2_jT3_P12ihipStream_tbPNSt15iterator_traitsISH_E10value_typeEPNSN_ISI_E10value_typeEPSJ_NS1_7vsmem_tEENKUlT_SH_SI_SJ_E_clIS9_S9_SD_PlEESG_SW_SH_SI_SJ_EUlSW_E0_NS1_11comp_targetILNS1_3genE0ELNS1_11target_archE4294967295ELNS1_3gpuE0ELNS1_3repE0EEENS1_38merge_mergepath_config_static_selectorELNS0_4arch9wavefront6targetE1EEEvSI_.kd
    .uniform_work_group_size: 1
    .uses_dynamic_stack: false
    .vgpr_count:     0
    .vgpr_spill_count: 0
    .wavefront_size: 64
  - .agpr_count:     0
    .args:
      - .offset:         0
        .size:           72
        .value_kind:     by_value
    .group_segment_fixed_size: 0
    .kernarg_segment_align: 8
    .kernarg_segment_size: 72
    .language:       OpenCL C
    .language_version:
      - 2
      - 0
    .max_flat_workgroup_size: 512
    .name:           _ZN7rocprim17ROCPRIM_400000_NS6detail17trampoline_kernelINS0_14default_configENS1_38merge_sort_block_merge_config_selectorIN3c104HalfElEEZZNS1_27merge_sort_block_merge_implIS3_PS6_N6thrust23THRUST_200600_302600_NS10device_ptrIlEEmNSB_4lessIS6_EEEE10hipError_tT0_T1_T2_jT3_P12ihipStream_tbPNSt15iterator_traitsISH_E10value_typeEPNSN_ISI_E10value_typeEPSJ_NS1_7vsmem_tEENKUlT_SH_SI_SJ_E_clIS9_S9_SD_PlEESG_SW_SH_SI_SJ_EUlSW_E0_NS1_11comp_targetILNS1_3genE10ELNS1_11target_archE1201ELNS1_3gpuE5ELNS1_3repE0EEENS1_38merge_mergepath_config_static_selectorELNS0_4arch9wavefront6targetE1EEEvSI_
    .private_segment_fixed_size: 0
    .sgpr_count:     4
    .sgpr_spill_count: 0
    .symbol:         _ZN7rocprim17ROCPRIM_400000_NS6detail17trampoline_kernelINS0_14default_configENS1_38merge_sort_block_merge_config_selectorIN3c104HalfElEEZZNS1_27merge_sort_block_merge_implIS3_PS6_N6thrust23THRUST_200600_302600_NS10device_ptrIlEEmNSB_4lessIS6_EEEE10hipError_tT0_T1_T2_jT3_P12ihipStream_tbPNSt15iterator_traitsISH_E10value_typeEPNSN_ISI_E10value_typeEPSJ_NS1_7vsmem_tEENKUlT_SH_SI_SJ_E_clIS9_S9_SD_PlEESG_SW_SH_SI_SJ_EUlSW_E0_NS1_11comp_targetILNS1_3genE10ELNS1_11target_archE1201ELNS1_3gpuE5ELNS1_3repE0EEENS1_38merge_mergepath_config_static_selectorELNS0_4arch9wavefront6targetE1EEEvSI_.kd
    .uniform_work_group_size: 1
    .uses_dynamic_stack: false
    .vgpr_count:     0
    .vgpr_spill_count: 0
    .wavefront_size: 64
  - .agpr_count:     0
    .args:
      - .offset:         0
        .size:           72
        .value_kind:     by_value
    .group_segment_fixed_size: 0
    .kernarg_segment_align: 8
    .kernarg_segment_size: 72
    .language:       OpenCL C
    .language_version:
      - 2
      - 0
    .max_flat_workgroup_size: 256
    .name:           _ZN7rocprim17ROCPRIM_400000_NS6detail17trampoline_kernelINS0_14default_configENS1_38merge_sort_block_merge_config_selectorIN3c104HalfElEEZZNS1_27merge_sort_block_merge_implIS3_PS6_N6thrust23THRUST_200600_302600_NS10device_ptrIlEEmNSB_4lessIS6_EEEE10hipError_tT0_T1_T2_jT3_P12ihipStream_tbPNSt15iterator_traitsISH_E10value_typeEPNSN_ISI_E10value_typeEPSJ_NS1_7vsmem_tEENKUlT_SH_SI_SJ_E_clIS9_S9_SD_PlEESG_SW_SH_SI_SJ_EUlSW_E0_NS1_11comp_targetILNS1_3genE5ELNS1_11target_archE942ELNS1_3gpuE9ELNS1_3repE0EEENS1_38merge_mergepath_config_static_selectorELNS0_4arch9wavefront6targetE1EEEvSI_
    .private_segment_fixed_size: 0
    .sgpr_count:     4
    .sgpr_spill_count: 0
    .symbol:         _ZN7rocprim17ROCPRIM_400000_NS6detail17trampoline_kernelINS0_14default_configENS1_38merge_sort_block_merge_config_selectorIN3c104HalfElEEZZNS1_27merge_sort_block_merge_implIS3_PS6_N6thrust23THRUST_200600_302600_NS10device_ptrIlEEmNSB_4lessIS6_EEEE10hipError_tT0_T1_T2_jT3_P12ihipStream_tbPNSt15iterator_traitsISH_E10value_typeEPNSN_ISI_E10value_typeEPSJ_NS1_7vsmem_tEENKUlT_SH_SI_SJ_E_clIS9_S9_SD_PlEESG_SW_SH_SI_SJ_EUlSW_E0_NS1_11comp_targetILNS1_3genE5ELNS1_11target_archE942ELNS1_3gpuE9ELNS1_3repE0EEENS1_38merge_mergepath_config_static_selectorELNS0_4arch9wavefront6targetE1EEEvSI_.kd
    .uniform_work_group_size: 1
    .uses_dynamic_stack: false
    .vgpr_count:     0
    .vgpr_spill_count: 0
    .wavefront_size: 64
  - .agpr_count:     0
    .args:
      - .offset:         0
        .size:           72
        .value_kind:     by_value
      - .offset:         72
        .size:           4
        .value_kind:     hidden_block_count_x
      - .offset:         76
        .size:           4
        .value_kind:     hidden_block_count_y
      - .offset:         80
        .size:           4
        .value_kind:     hidden_block_count_z
      - .offset:         84
        .size:           2
        .value_kind:     hidden_group_size_x
      - .offset:         86
        .size:           2
        .value_kind:     hidden_group_size_y
      - .offset:         88
        .size:           2
        .value_kind:     hidden_group_size_z
      - .offset:         90
        .size:           2
        .value_kind:     hidden_remainder_x
      - .offset:         92
        .size:           2
        .value_kind:     hidden_remainder_y
      - .offset:         94
        .size:           2
        .value_kind:     hidden_remainder_z
      - .offset:         112
        .size:           8
        .value_kind:     hidden_global_offset_x
      - .offset:         120
        .size:           8
        .value_kind:     hidden_global_offset_y
      - .offset:         128
        .size:           8
        .value_kind:     hidden_global_offset_z
      - .offset:         136
        .size:           2
        .value_kind:     hidden_grid_dims
    .group_segment_fixed_size: 8448
    .kernarg_segment_align: 8
    .kernarg_segment_size: 328
    .language:       OpenCL C
    .language_version:
      - 2
      - 0
    .max_flat_workgroup_size: 256
    .name:           _ZN7rocprim17ROCPRIM_400000_NS6detail17trampoline_kernelINS0_14default_configENS1_38merge_sort_block_merge_config_selectorIN3c104HalfElEEZZNS1_27merge_sort_block_merge_implIS3_PS6_N6thrust23THRUST_200600_302600_NS10device_ptrIlEEmNSB_4lessIS6_EEEE10hipError_tT0_T1_T2_jT3_P12ihipStream_tbPNSt15iterator_traitsISH_E10value_typeEPNSN_ISI_E10value_typeEPSJ_NS1_7vsmem_tEENKUlT_SH_SI_SJ_E_clIS9_S9_SD_PlEESG_SW_SH_SI_SJ_EUlSW_E0_NS1_11comp_targetILNS1_3genE4ELNS1_11target_archE910ELNS1_3gpuE8ELNS1_3repE0EEENS1_38merge_mergepath_config_static_selectorELNS0_4arch9wavefront6targetE1EEEvSI_
    .private_segment_fixed_size: 0
    .sgpr_count:     42
    .sgpr_spill_count: 0
    .symbol:         _ZN7rocprim17ROCPRIM_400000_NS6detail17trampoline_kernelINS0_14default_configENS1_38merge_sort_block_merge_config_selectorIN3c104HalfElEEZZNS1_27merge_sort_block_merge_implIS3_PS6_N6thrust23THRUST_200600_302600_NS10device_ptrIlEEmNSB_4lessIS6_EEEE10hipError_tT0_T1_T2_jT3_P12ihipStream_tbPNSt15iterator_traitsISH_E10value_typeEPNSN_ISI_E10value_typeEPSJ_NS1_7vsmem_tEENKUlT_SH_SI_SJ_E_clIS9_S9_SD_PlEESG_SW_SH_SI_SJ_EUlSW_E0_NS1_11comp_targetILNS1_3genE4ELNS1_11target_archE910ELNS1_3gpuE8ELNS1_3repE0EEENS1_38merge_mergepath_config_static_selectorELNS0_4arch9wavefront6targetE1EEEvSI_.kd
    .uniform_work_group_size: 1
    .uses_dynamic_stack: false
    .vgpr_count:     36
    .vgpr_spill_count: 0
    .wavefront_size: 64
  - .agpr_count:     0
    .args:
      - .offset:         0
        .size:           72
        .value_kind:     by_value
    .group_segment_fixed_size: 0
    .kernarg_segment_align: 8
    .kernarg_segment_size: 72
    .language:       OpenCL C
    .language_version:
      - 2
      - 0
    .max_flat_workgroup_size: 256
    .name:           _ZN7rocprim17ROCPRIM_400000_NS6detail17trampoline_kernelINS0_14default_configENS1_38merge_sort_block_merge_config_selectorIN3c104HalfElEEZZNS1_27merge_sort_block_merge_implIS3_PS6_N6thrust23THRUST_200600_302600_NS10device_ptrIlEEmNSB_4lessIS6_EEEE10hipError_tT0_T1_T2_jT3_P12ihipStream_tbPNSt15iterator_traitsISH_E10value_typeEPNSN_ISI_E10value_typeEPSJ_NS1_7vsmem_tEENKUlT_SH_SI_SJ_E_clIS9_S9_SD_PlEESG_SW_SH_SI_SJ_EUlSW_E0_NS1_11comp_targetILNS1_3genE3ELNS1_11target_archE908ELNS1_3gpuE7ELNS1_3repE0EEENS1_38merge_mergepath_config_static_selectorELNS0_4arch9wavefront6targetE1EEEvSI_
    .private_segment_fixed_size: 0
    .sgpr_count:     4
    .sgpr_spill_count: 0
    .symbol:         _ZN7rocprim17ROCPRIM_400000_NS6detail17trampoline_kernelINS0_14default_configENS1_38merge_sort_block_merge_config_selectorIN3c104HalfElEEZZNS1_27merge_sort_block_merge_implIS3_PS6_N6thrust23THRUST_200600_302600_NS10device_ptrIlEEmNSB_4lessIS6_EEEE10hipError_tT0_T1_T2_jT3_P12ihipStream_tbPNSt15iterator_traitsISH_E10value_typeEPNSN_ISI_E10value_typeEPSJ_NS1_7vsmem_tEENKUlT_SH_SI_SJ_E_clIS9_S9_SD_PlEESG_SW_SH_SI_SJ_EUlSW_E0_NS1_11comp_targetILNS1_3genE3ELNS1_11target_archE908ELNS1_3gpuE7ELNS1_3repE0EEENS1_38merge_mergepath_config_static_selectorELNS0_4arch9wavefront6targetE1EEEvSI_.kd
    .uniform_work_group_size: 1
    .uses_dynamic_stack: false
    .vgpr_count:     0
    .vgpr_spill_count: 0
    .wavefront_size: 64
  - .agpr_count:     0
    .args:
      - .offset:         0
        .size:           72
        .value_kind:     by_value
    .group_segment_fixed_size: 0
    .kernarg_segment_align: 8
    .kernarg_segment_size: 72
    .language:       OpenCL C
    .language_version:
      - 2
      - 0
    .max_flat_workgroup_size: 256
    .name:           _ZN7rocprim17ROCPRIM_400000_NS6detail17trampoline_kernelINS0_14default_configENS1_38merge_sort_block_merge_config_selectorIN3c104HalfElEEZZNS1_27merge_sort_block_merge_implIS3_PS6_N6thrust23THRUST_200600_302600_NS10device_ptrIlEEmNSB_4lessIS6_EEEE10hipError_tT0_T1_T2_jT3_P12ihipStream_tbPNSt15iterator_traitsISH_E10value_typeEPNSN_ISI_E10value_typeEPSJ_NS1_7vsmem_tEENKUlT_SH_SI_SJ_E_clIS9_S9_SD_PlEESG_SW_SH_SI_SJ_EUlSW_E0_NS1_11comp_targetILNS1_3genE2ELNS1_11target_archE906ELNS1_3gpuE6ELNS1_3repE0EEENS1_38merge_mergepath_config_static_selectorELNS0_4arch9wavefront6targetE1EEEvSI_
    .private_segment_fixed_size: 0
    .sgpr_count:     4
    .sgpr_spill_count: 0
    .symbol:         _ZN7rocprim17ROCPRIM_400000_NS6detail17trampoline_kernelINS0_14default_configENS1_38merge_sort_block_merge_config_selectorIN3c104HalfElEEZZNS1_27merge_sort_block_merge_implIS3_PS6_N6thrust23THRUST_200600_302600_NS10device_ptrIlEEmNSB_4lessIS6_EEEE10hipError_tT0_T1_T2_jT3_P12ihipStream_tbPNSt15iterator_traitsISH_E10value_typeEPNSN_ISI_E10value_typeEPSJ_NS1_7vsmem_tEENKUlT_SH_SI_SJ_E_clIS9_S9_SD_PlEESG_SW_SH_SI_SJ_EUlSW_E0_NS1_11comp_targetILNS1_3genE2ELNS1_11target_archE906ELNS1_3gpuE6ELNS1_3repE0EEENS1_38merge_mergepath_config_static_selectorELNS0_4arch9wavefront6targetE1EEEvSI_.kd
    .uniform_work_group_size: 1
    .uses_dynamic_stack: false
    .vgpr_count:     0
    .vgpr_spill_count: 0
    .wavefront_size: 64
  - .agpr_count:     0
    .args:
      - .offset:         0
        .size:           72
        .value_kind:     by_value
    .group_segment_fixed_size: 0
    .kernarg_segment_align: 8
    .kernarg_segment_size: 72
    .language:       OpenCL C
    .language_version:
      - 2
      - 0
    .max_flat_workgroup_size: 256
    .name:           _ZN7rocprim17ROCPRIM_400000_NS6detail17trampoline_kernelINS0_14default_configENS1_38merge_sort_block_merge_config_selectorIN3c104HalfElEEZZNS1_27merge_sort_block_merge_implIS3_PS6_N6thrust23THRUST_200600_302600_NS10device_ptrIlEEmNSB_4lessIS6_EEEE10hipError_tT0_T1_T2_jT3_P12ihipStream_tbPNSt15iterator_traitsISH_E10value_typeEPNSN_ISI_E10value_typeEPSJ_NS1_7vsmem_tEENKUlT_SH_SI_SJ_E_clIS9_S9_SD_PlEESG_SW_SH_SI_SJ_EUlSW_E0_NS1_11comp_targetILNS1_3genE9ELNS1_11target_archE1100ELNS1_3gpuE3ELNS1_3repE0EEENS1_38merge_mergepath_config_static_selectorELNS0_4arch9wavefront6targetE1EEEvSI_
    .private_segment_fixed_size: 0
    .sgpr_count:     4
    .sgpr_spill_count: 0
    .symbol:         _ZN7rocprim17ROCPRIM_400000_NS6detail17trampoline_kernelINS0_14default_configENS1_38merge_sort_block_merge_config_selectorIN3c104HalfElEEZZNS1_27merge_sort_block_merge_implIS3_PS6_N6thrust23THRUST_200600_302600_NS10device_ptrIlEEmNSB_4lessIS6_EEEE10hipError_tT0_T1_T2_jT3_P12ihipStream_tbPNSt15iterator_traitsISH_E10value_typeEPNSN_ISI_E10value_typeEPSJ_NS1_7vsmem_tEENKUlT_SH_SI_SJ_E_clIS9_S9_SD_PlEESG_SW_SH_SI_SJ_EUlSW_E0_NS1_11comp_targetILNS1_3genE9ELNS1_11target_archE1100ELNS1_3gpuE3ELNS1_3repE0EEENS1_38merge_mergepath_config_static_selectorELNS0_4arch9wavefront6targetE1EEEvSI_.kd
    .uniform_work_group_size: 1
    .uses_dynamic_stack: false
    .vgpr_count:     0
    .vgpr_spill_count: 0
    .wavefront_size: 64
  - .agpr_count:     0
    .args:
      - .offset:         0
        .size:           72
        .value_kind:     by_value
    .group_segment_fixed_size: 0
    .kernarg_segment_align: 8
    .kernarg_segment_size: 72
    .language:       OpenCL C
    .language_version:
      - 2
      - 0
    .max_flat_workgroup_size: 512
    .name:           _ZN7rocprim17ROCPRIM_400000_NS6detail17trampoline_kernelINS0_14default_configENS1_38merge_sort_block_merge_config_selectorIN3c104HalfElEEZZNS1_27merge_sort_block_merge_implIS3_PS6_N6thrust23THRUST_200600_302600_NS10device_ptrIlEEmNSB_4lessIS6_EEEE10hipError_tT0_T1_T2_jT3_P12ihipStream_tbPNSt15iterator_traitsISH_E10value_typeEPNSN_ISI_E10value_typeEPSJ_NS1_7vsmem_tEENKUlT_SH_SI_SJ_E_clIS9_S9_SD_PlEESG_SW_SH_SI_SJ_EUlSW_E0_NS1_11comp_targetILNS1_3genE8ELNS1_11target_archE1030ELNS1_3gpuE2ELNS1_3repE0EEENS1_38merge_mergepath_config_static_selectorELNS0_4arch9wavefront6targetE1EEEvSI_
    .private_segment_fixed_size: 0
    .sgpr_count:     4
    .sgpr_spill_count: 0
    .symbol:         _ZN7rocprim17ROCPRIM_400000_NS6detail17trampoline_kernelINS0_14default_configENS1_38merge_sort_block_merge_config_selectorIN3c104HalfElEEZZNS1_27merge_sort_block_merge_implIS3_PS6_N6thrust23THRUST_200600_302600_NS10device_ptrIlEEmNSB_4lessIS6_EEEE10hipError_tT0_T1_T2_jT3_P12ihipStream_tbPNSt15iterator_traitsISH_E10value_typeEPNSN_ISI_E10value_typeEPSJ_NS1_7vsmem_tEENKUlT_SH_SI_SJ_E_clIS9_S9_SD_PlEESG_SW_SH_SI_SJ_EUlSW_E0_NS1_11comp_targetILNS1_3genE8ELNS1_11target_archE1030ELNS1_3gpuE2ELNS1_3repE0EEENS1_38merge_mergepath_config_static_selectorELNS0_4arch9wavefront6targetE1EEEvSI_.kd
    .uniform_work_group_size: 1
    .uses_dynamic_stack: false
    .vgpr_count:     0
    .vgpr_spill_count: 0
    .wavefront_size: 64
  - .agpr_count:     0
    .args:
      - .offset:         0
        .size:           56
        .value_kind:     by_value
    .group_segment_fixed_size: 0
    .kernarg_segment_align: 8
    .kernarg_segment_size: 56
    .language:       OpenCL C
    .language_version:
      - 2
      - 0
    .max_flat_workgroup_size: 256
    .name:           _ZN7rocprim17ROCPRIM_400000_NS6detail17trampoline_kernelINS0_14default_configENS1_38merge_sort_block_merge_config_selectorIN3c104HalfElEEZZNS1_27merge_sort_block_merge_implIS3_PS6_N6thrust23THRUST_200600_302600_NS10device_ptrIlEEmNSB_4lessIS6_EEEE10hipError_tT0_T1_T2_jT3_P12ihipStream_tbPNSt15iterator_traitsISH_E10value_typeEPNSN_ISI_E10value_typeEPSJ_NS1_7vsmem_tEENKUlT_SH_SI_SJ_E_clIS9_S9_SD_PlEESG_SW_SH_SI_SJ_EUlSW_E1_NS1_11comp_targetILNS1_3genE0ELNS1_11target_archE4294967295ELNS1_3gpuE0ELNS1_3repE0EEENS1_36merge_oddeven_config_static_selectorELNS0_4arch9wavefront6targetE1EEEvSI_
    .private_segment_fixed_size: 0
    .sgpr_count:     4
    .sgpr_spill_count: 0
    .symbol:         _ZN7rocprim17ROCPRIM_400000_NS6detail17trampoline_kernelINS0_14default_configENS1_38merge_sort_block_merge_config_selectorIN3c104HalfElEEZZNS1_27merge_sort_block_merge_implIS3_PS6_N6thrust23THRUST_200600_302600_NS10device_ptrIlEEmNSB_4lessIS6_EEEE10hipError_tT0_T1_T2_jT3_P12ihipStream_tbPNSt15iterator_traitsISH_E10value_typeEPNSN_ISI_E10value_typeEPSJ_NS1_7vsmem_tEENKUlT_SH_SI_SJ_E_clIS9_S9_SD_PlEESG_SW_SH_SI_SJ_EUlSW_E1_NS1_11comp_targetILNS1_3genE0ELNS1_11target_archE4294967295ELNS1_3gpuE0ELNS1_3repE0EEENS1_36merge_oddeven_config_static_selectorELNS0_4arch9wavefront6targetE1EEEvSI_.kd
    .uniform_work_group_size: 1
    .uses_dynamic_stack: false
    .vgpr_count:     0
    .vgpr_spill_count: 0
    .wavefront_size: 64
  - .agpr_count:     0
    .args:
      - .offset:         0
        .size:           56
        .value_kind:     by_value
    .group_segment_fixed_size: 0
    .kernarg_segment_align: 8
    .kernarg_segment_size: 56
    .language:       OpenCL C
    .language_version:
      - 2
      - 0
    .max_flat_workgroup_size: 256
    .name:           _ZN7rocprim17ROCPRIM_400000_NS6detail17trampoline_kernelINS0_14default_configENS1_38merge_sort_block_merge_config_selectorIN3c104HalfElEEZZNS1_27merge_sort_block_merge_implIS3_PS6_N6thrust23THRUST_200600_302600_NS10device_ptrIlEEmNSB_4lessIS6_EEEE10hipError_tT0_T1_T2_jT3_P12ihipStream_tbPNSt15iterator_traitsISH_E10value_typeEPNSN_ISI_E10value_typeEPSJ_NS1_7vsmem_tEENKUlT_SH_SI_SJ_E_clIS9_S9_SD_PlEESG_SW_SH_SI_SJ_EUlSW_E1_NS1_11comp_targetILNS1_3genE10ELNS1_11target_archE1201ELNS1_3gpuE5ELNS1_3repE0EEENS1_36merge_oddeven_config_static_selectorELNS0_4arch9wavefront6targetE1EEEvSI_
    .private_segment_fixed_size: 0
    .sgpr_count:     4
    .sgpr_spill_count: 0
    .symbol:         _ZN7rocprim17ROCPRIM_400000_NS6detail17trampoline_kernelINS0_14default_configENS1_38merge_sort_block_merge_config_selectorIN3c104HalfElEEZZNS1_27merge_sort_block_merge_implIS3_PS6_N6thrust23THRUST_200600_302600_NS10device_ptrIlEEmNSB_4lessIS6_EEEE10hipError_tT0_T1_T2_jT3_P12ihipStream_tbPNSt15iterator_traitsISH_E10value_typeEPNSN_ISI_E10value_typeEPSJ_NS1_7vsmem_tEENKUlT_SH_SI_SJ_E_clIS9_S9_SD_PlEESG_SW_SH_SI_SJ_EUlSW_E1_NS1_11comp_targetILNS1_3genE10ELNS1_11target_archE1201ELNS1_3gpuE5ELNS1_3repE0EEENS1_36merge_oddeven_config_static_selectorELNS0_4arch9wavefront6targetE1EEEvSI_.kd
    .uniform_work_group_size: 1
    .uses_dynamic_stack: false
    .vgpr_count:     0
    .vgpr_spill_count: 0
    .wavefront_size: 64
  - .agpr_count:     0
    .args:
      - .offset:         0
        .size:           56
        .value_kind:     by_value
    .group_segment_fixed_size: 0
    .kernarg_segment_align: 8
    .kernarg_segment_size: 56
    .language:       OpenCL C
    .language_version:
      - 2
      - 0
    .max_flat_workgroup_size: 256
    .name:           _ZN7rocprim17ROCPRIM_400000_NS6detail17trampoline_kernelINS0_14default_configENS1_38merge_sort_block_merge_config_selectorIN3c104HalfElEEZZNS1_27merge_sort_block_merge_implIS3_PS6_N6thrust23THRUST_200600_302600_NS10device_ptrIlEEmNSB_4lessIS6_EEEE10hipError_tT0_T1_T2_jT3_P12ihipStream_tbPNSt15iterator_traitsISH_E10value_typeEPNSN_ISI_E10value_typeEPSJ_NS1_7vsmem_tEENKUlT_SH_SI_SJ_E_clIS9_S9_SD_PlEESG_SW_SH_SI_SJ_EUlSW_E1_NS1_11comp_targetILNS1_3genE5ELNS1_11target_archE942ELNS1_3gpuE9ELNS1_3repE0EEENS1_36merge_oddeven_config_static_selectorELNS0_4arch9wavefront6targetE1EEEvSI_
    .private_segment_fixed_size: 0
    .sgpr_count:     4
    .sgpr_spill_count: 0
    .symbol:         _ZN7rocprim17ROCPRIM_400000_NS6detail17trampoline_kernelINS0_14default_configENS1_38merge_sort_block_merge_config_selectorIN3c104HalfElEEZZNS1_27merge_sort_block_merge_implIS3_PS6_N6thrust23THRUST_200600_302600_NS10device_ptrIlEEmNSB_4lessIS6_EEEE10hipError_tT0_T1_T2_jT3_P12ihipStream_tbPNSt15iterator_traitsISH_E10value_typeEPNSN_ISI_E10value_typeEPSJ_NS1_7vsmem_tEENKUlT_SH_SI_SJ_E_clIS9_S9_SD_PlEESG_SW_SH_SI_SJ_EUlSW_E1_NS1_11comp_targetILNS1_3genE5ELNS1_11target_archE942ELNS1_3gpuE9ELNS1_3repE0EEENS1_36merge_oddeven_config_static_selectorELNS0_4arch9wavefront6targetE1EEEvSI_.kd
    .uniform_work_group_size: 1
    .uses_dynamic_stack: false
    .vgpr_count:     0
    .vgpr_spill_count: 0
    .wavefront_size: 64
  - .agpr_count:     0
    .args:
      - .offset:         0
        .size:           56
        .value_kind:     by_value
    .group_segment_fixed_size: 0
    .kernarg_segment_align: 8
    .kernarg_segment_size: 56
    .language:       OpenCL C
    .language_version:
      - 2
      - 0
    .max_flat_workgroup_size: 256
    .name:           _ZN7rocprim17ROCPRIM_400000_NS6detail17trampoline_kernelINS0_14default_configENS1_38merge_sort_block_merge_config_selectorIN3c104HalfElEEZZNS1_27merge_sort_block_merge_implIS3_PS6_N6thrust23THRUST_200600_302600_NS10device_ptrIlEEmNSB_4lessIS6_EEEE10hipError_tT0_T1_T2_jT3_P12ihipStream_tbPNSt15iterator_traitsISH_E10value_typeEPNSN_ISI_E10value_typeEPSJ_NS1_7vsmem_tEENKUlT_SH_SI_SJ_E_clIS9_S9_SD_PlEESG_SW_SH_SI_SJ_EUlSW_E1_NS1_11comp_targetILNS1_3genE4ELNS1_11target_archE910ELNS1_3gpuE8ELNS1_3repE0EEENS1_36merge_oddeven_config_static_selectorELNS0_4arch9wavefront6targetE1EEEvSI_
    .private_segment_fixed_size: 0
    .sgpr_count:     28
    .sgpr_spill_count: 0
    .symbol:         _ZN7rocprim17ROCPRIM_400000_NS6detail17trampoline_kernelINS0_14default_configENS1_38merge_sort_block_merge_config_selectorIN3c104HalfElEEZZNS1_27merge_sort_block_merge_implIS3_PS6_N6thrust23THRUST_200600_302600_NS10device_ptrIlEEmNSB_4lessIS6_EEEE10hipError_tT0_T1_T2_jT3_P12ihipStream_tbPNSt15iterator_traitsISH_E10value_typeEPNSN_ISI_E10value_typeEPSJ_NS1_7vsmem_tEENKUlT_SH_SI_SJ_E_clIS9_S9_SD_PlEESG_SW_SH_SI_SJ_EUlSW_E1_NS1_11comp_targetILNS1_3genE4ELNS1_11target_archE910ELNS1_3gpuE8ELNS1_3repE0EEENS1_36merge_oddeven_config_static_selectorELNS0_4arch9wavefront6targetE1EEEvSI_.kd
    .uniform_work_group_size: 1
    .uses_dynamic_stack: false
    .vgpr_count:     10
    .vgpr_spill_count: 0
    .wavefront_size: 64
  - .agpr_count:     0
    .args:
      - .offset:         0
        .size:           56
        .value_kind:     by_value
    .group_segment_fixed_size: 0
    .kernarg_segment_align: 8
    .kernarg_segment_size: 56
    .language:       OpenCL C
    .language_version:
      - 2
      - 0
    .max_flat_workgroup_size: 256
    .name:           _ZN7rocprim17ROCPRIM_400000_NS6detail17trampoline_kernelINS0_14default_configENS1_38merge_sort_block_merge_config_selectorIN3c104HalfElEEZZNS1_27merge_sort_block_merge_implIS3_PS6_N6thrust23THRUST_200600_302600_NS10device_ptrIlEEmNSB_4lessIS6_EEEE10hipError_tT0_T1_T2_jT3_P12ihipStream_tbPNSt15iterator_traitsISH_E10value_typeEPNSN_ISI_E10value_typeEPSJ_NS1_7vsmem_tEENKUlT_SH_SI_SJ_E_clIS9_S9_SD_PlEESG_SW_SH_SI_SJ_EUlSW_E1_NS1_11comp_targetILNS1_3genE3ELNS1_11target_archE908ELNS1_3gpuE7ELNS1_3repE0EEENS1_36merge_oddeven_config_static_selectorELNS0_4arch9wavefront6targetE1EEEvSI_
    .private_segment_fixed_size: 0
    .sgpr_count:     4
    .sgpr_spill_count: 0
    .symbol:         _ZN7rocprim17ROCPRIM_400000_NS6detail17trampoline_kernelINS0_14default_configENS1_38merge_sort_block_merge_config_selectorIN3c104HalfElEEZZNS1_27merge_sort_block_merge_implIS3_PS6_N6thrust23THRUST_200600_302600_NS10device_ptrIlEEmNSB_4lessIS6_EEEE10hipError_tT0_T1_T2_jT3_P12ihipStream_tbPNSt15iterator_traitsISH_E10value_typeEPNSN_ISI_E10value_typeEPSJ_NS1_7vsmem_tEENKUlT_SH_SI_SJ_E_clIS9_S9_SD_PlEESG_SW_SH_SI_SJ_EUlSW_E1_NS1_11comp_targetILNS1_3genE3ELNS1_11target_archE908ELNS1_3gpuE7ELNS1_3repE0EEENS1_36merge_oddeven_config_static_selectorELNS0_4arch9wavefront6targetE1EEEvSI_.kd
    .uniform_work_group_size: 1
    .uses_dynamic_stack: false
    .vgpr_count:     0
    .vgpr_spill_count: 0
    .wavefront_size: 64
  - .agpr_count:     0
    .args:
      - .offset:         0
        .size:           56
        .value_kind:     by_value
    .group_segment_fixed_size: 0
    .kernarg_segment_align: 8
    .kernarg_segment_size: 56
    .language:       OpenCL C
    .language_version:
      - 2
      - 0
    .max_flat_workgroup_size: 256
    .name:           _ZN7rocprim17ROCPRIM_400000_NS6detail17trampoline_kernelINS0_14default_configENS1_38merge_sort_block_merge_config_selectorIN3c104HalfElEEZZNS1_27merge_sort_block_merge_implIS3_PS6_N6thrust23THRUST_200600_302600_NS10device_ptrIlEEmNSB_4lessIS6_EEEE10hipError_tT0_T1_T2_jT3_P12ihipStream_tbPNSt15iterator_traitsISH_E10value_typeEPNSN_ISI_E10value_typeEPSJ_NS1_7vsmem_tEENKUlT_SH_SI_SJ_E_clIS9_S9_SD_PlEESG_SW_SH_SI_SJ_EUlSW_E1_NS1_11comp_targetILNS1_3genE2ELNS1_11target_archE906ELNS1_3gpuE6ELNS1_3repE0EEENS1_36merge_oddeven_config_static_selectorELNS0_4arch9wavefront6targetE1EEEvSI_
    .private_segment_fixed_size: 0
    .sgpr_count:     4
    .sgpr_spill_count: 0
    .symbol:         _ZN7rocprim17ROCPRIM_400000_NS6detail17trampoline_kernelINS0_14default_configENS1_38merge_sort_block_merge_config_selectorIN3c104HalfElEEZZNS1_27merge_sort_block_merge_implIS3_PS6_N6thrust23THRUST_200600_302600_NS10device_ptrIlEEmNSB_4lessIS6_EEEE10hipError_tT0_T1_T2_jT3_P12ihipStream_tbPNSt15iterator_traitsISH_E10value_typeEPNSN_ISI_E10value_typeEPSJ_NS1_7vsmem_tEENKUlT_SH_SI_SJ_E_clIS9_S9_SD_PlEESG_SW_SH_SI_SJ_EUlSW_E1_NS1_11comp_targetILNS1_3genE2ELNS1_11target_archE906ELNS1_3gpuE6ELNS1_3repE0EEENS1_36merge_oddeven_config_static_selectorELNS0_4arch9wavefront6targetE1EEEvSI_.kd
    .uniform_work_group_size: 1
    .uses_dynamic_stack: false
    .vgpr_count:     0
    .vgpr_spill_count: 0
    .wavefront_size: 64
  - .agpr_count:     0
    .args:
      - .offset:         0
        .size:           56
        .value_kind:     by_value
    .group_segment_fixed_size: 0
    .kernarg_segment_align: 8
    .kernarg_segment_size: 56
    .language:       OpenCL C
    .language_version:
      - 2
      - 0
    .max_flat_workgroup_size: 256
    .name:           _ZN7rocprim17ROCPRIM_400000_NS6detail17trampoline_kernelINS0_14default_configENS1_38merge_sort_block_merge_config_selectorIN3c104HalfElEEZZNS1_27merge_sort_block_merge_implIS3_PS6_N6thrust23THRUST_200600_302600_NS10device_ptrIlEEmNSB_4lessIS6_EEEE10hipError_tT0_T1_T2_jT3_P12ihipStream_tbPNSt15iterator_traitsISH_E10value_typeEPNSN_ISI_E10value_typeEPSJ_NS1_7vsmem_tEENKUlT_SH_SI_SJ_E_clIS9_S9_SD_PlEESG_SW_SH_SI_SJ_EUlSW_E1_NS1_11comp_targetILNS1_3genE9ELNS1_11target_archE1100ELNS1_3gpuE3ELNS1_3repE0EEENS1_36merge_oddeven_config_static_selectorELNS0_4arch9wavefront6targetE1EEEvSI_
    .private_segment_fixed_size: 0
    .sgpr_count:     4
    .sgpr_spill_count: 0
    .symbol:         _ZN7rocprim17ROCPRIM_400000_NS6detail17trampoline_kernelINS0_14default_configENS1_38merge_sort_block_merge_config_selectorIN3c104HalfElEEZZNS1_27merge_sort_block_merge_implIS3_PS6_N6thrust23THRUST_200600_302600_NS10device_ptrIlEEmNSB_4lessIS6_EEEE10hipError_tT0_T1_T2_jT3_P12ihipStream_tbPNSt15iterator_traitsISH_E10value_typeEPNSN_ISI_E10value_typeEPSJ_NS1_7vsmem_tEENKUlT_SH_SI_SJ_E_clIS9_S9_SD_PlEESG_SW_SH_SI_SJ_EUlSW_E1_NS1_11comp_targetILNS1_3genE9ELNS1_11target_archE1100ELNS1_3gpuE3ELNS1_3repE0EEENS1_36merge_oddeven_config_static_selectorELNS0_4arch9wavefront6targetE1EEEvSI_.kd
    .uniform_work_group_size: 1
    .uses_dynamic_stack: false
    .vgpr_count:     0
    .vgpr_spill_count: 0
    .wavefront_size: 64
  - .agpr_count:     0
    .args:
      - .offset:         0
        .size:           56
        .value_kind:     by_value
    .group_segment_fixed_size: 0
    .kernarg_segment_align: 8
    .kernarg_segment_size: 56
    .language:       OpenCL C
    .language_version:
      - 2
      - 0
    .max_flat_workgroup_size: 256
    .name:           _ZN7rocprim17ROCPRIM_400000_NS6detail17trampoline_kernelINS0_14default_configENS1_38merge_sort_block_merge_config_selectorIN3c104HalfElEEZZNS1_27merge_sort_block_merge_implIS3_PS6_N6thrust23THRUST_200600_302600_NS10device_ptrIlEEmNSB_4lessIS6_EEEE10hipError_tT0_T1_T2_jT3_P12ihipStream_tbPNSt15iterator_traitsISH_E10value_typeEPNSN_ISI_E10value_typeEPSJ_NS1_7vsmem_tEENKUlT_SH_SI_SJ_E_clIS9_S9_SD_PlEESG_SW_SH_SI_SJ_EUlSW_E1_NS1_11comp_targetILNS1_3genE8ELNS1_11target_archE1030ELNS1_3gpuE2ELNS1_3repE0EEENS1_36merge_oddeven_config_static_selectorELNS0_4arch9wavefront6targetE1EEEvSI_
    .private_segment_fixed_size: 0
    .sgpr_count:     4
    .sgpr_spill_count: 0
    .symbol:         _ZN7rocprim17ROCPRIM_400000_NS6detail17trampoline_kernelINS0_14default_configENS1_38merge_sort_block_merge_config_selectorIN3c104HalfElEEZZNS1_27merge_sort_block_merge_implIS3_PS6_N6thrust23THRUST_200600_302600_NS10device_ptrIlEEmNSB_4lessIS6_EEEE10hipError_tT0_T1_T2_jT3_P12ihipStream_tbPNSt15iterator_traitsISH_E10value_typeEPNSN_ISI_E10value_typeEPSJ_NS1_7vsmem_tEENKUlT_SH_SI_SJ_E_clIS9_S9_SD_PlEESG_SW_SH_SI_SJ_EUlSW_E1_NS1_11comp_targetILNS1_3genE8ELNS1_11target_archE1030ELNS1_3gpuE2ELNS1_3repE0EEENS1_36merge_oddeven_config_static_selectorELNS0_4arch9wavefront6targetE1EEEvSI_.kd
    .uniform_work_group_size: 1
    .uses_dynamic_stack: false
    .vgpr_count:     0
    .vgpr_spill_count: 0
    .wavefront_size: 64
  - .agpr_count:     0
    .args:
      - .offset:         0
        .size:           40
        .value_kind:     by_value
    .group_segment_fixed_size: 0
    .kernarg_segment_align: 8
    .kernarg_segment_size: 40
    .language:       OpenCL C
    .language_version:
      - 2
      - 0
    .max_flat_workgroup_size: 128
    .name:           _ZN7rocprim17ROCPRIM_400000_NS6detail17trampoline_kernelINS0_14default_configENS1_25transform_config_selectorIN3c104HalfELb1EEEZNS1_14transform_implILb1ES3_S7_PS6_S9_NS0_8identityIS6_EEEE10hipError_tT2_T3_mT4_P12ihipStream_tbEUlT_E_NS1_11comp_targetILNS1_3genE0ELNS1_11target_archE4294967295ELNS1_3gpuE0ELNS1_3repE0EEENS1_30default_config_static_selectorELNS0_4arch9wavefront6targetE1EEEvT1_
    .private_segment_fixed_size: 0
    .sgpr_count:     4
    .sgpr_spill_count: 0
    .symbol:         _ZN7rocprim17ROCPRIM_400000_NS6detail17trampoline_kernelINS0_14default_configENS1_25transform_config_selectorIN3c104HalfELb1EEEZNS1_14transform_implILb1ES3_S7_PS6_S9_NS0_8identityIS6_EEEE10hipError_tT2_T3_mT4_P12ihipStream_tbEUlT_E_NS1_11comp_targetILNS1_3genE0ELNS1_11target_archE4294967295ELNS1_3gpuE0ELNS1_3repE0EEENS1_30default_config_static_selectorELNS0_4arch9wavefront6targetE1EEEvT1_.kd
    .uniform_work_group_size: 1
    .uses_dynamic_stack: false
    .vgpr_count:     0
    .vgpr_spill_count: 0
    .wavefront_size: 64
  - .agpr_count:     0
    .args:
      - .offset:         0
        .size:           40
        .value_kind:     by_value
    .group_segment_fixed_size: 0
    .kernarg_segment_align: 8
    .kernarg_segment_size: 40
    .language:       OpenCL C
    .language_version:
      - 2
      - 0
    .max_flat_workgroup_size: 64
    .name:           _ZN7rocprim17ROCPRIM_400000_NS6detail17trampoline_kernelINS0_14default_configENS1_25transform_config_selectorIN3c104HalfELb1EEEZNS1_14transform_implILb1ES3_S7_PS6_S9_NS0_8identityIS6_EEEE10hipError_tT2_T3_mT4_P12ihipStream_tbEUlT_E_NS1_11comp_targetILNS1_3genE10ELNS1_11target_archE1201ELNS1_3gpuE5ELNS1_3repE0EEENS1_30default_config_static_selectorELNS0_4arch9wavefront6targetE1EEEvT1_
    .private_segment_fixed_size: 0
    .sgpr_count:     4
    .sgpr_spill_count: 0
    .symbol:         _ZN7rocprim17ROCPRIM_400000_NS6detail17trampoline_kernelINS0_14default_configENS1_25transform_config_selectorIN3c104HalfELb1EEEZNS1_14transform_implILb1ES3_S7_PS6_S9_NS0_8identityIS6_EEEE10hipError_tT2_T3_mT4_P12ihipStream_tbEUlT_E_NS1_11comp_targetILNS1_3genE10ELNS1_11target_archE1201ELNS1_3gpuE5ELNS1_3repE0EEENS1_30default_config_static_selectorELNS0_4arch9wavefront6targetE1EEEvT1_.kd
    .uniform_work_group_size: 1
    .uses_dynamic_stack: false
    .vgpr_count:     0
    .vgpr_spill_count: 0
    .wavefront_size: 64
  - .agpr_count:     0
    .args:
      - .offset:         0
        .size:           40
        .value_kind:     by_value
    .group_segment_fixed_size: 0
    .kernarg_segment_align: 8
    .kernarg_segment_size: 40
    .language:       OpenCL C
    .language_version:
      - 2
      - 0
    .max_flat_workgroup_size: 256
    .name:           _ZN7rocprim17ROCPRIM_400000_NS6detail17trampoline_kernelINS0_14default_configENS1_25transform_config_selectorIN3c104HalfELb1EEEZNS1_14transform_implILb1ES3_S7_PS6_S9_NS0_8identityIS6_EEEE10hipError_tT2_T3_mT4_P12ihipStream_tbEUlT_E_NS1_11comp_targetILNS1_3genE5ELNS1_11target_archE942ELNS1_3gpuE9ELNS1_3repE0EEENS1_30default_config_static_selectorELNS0_4arch9wavefront6targetE1EEEvT1_
    .private_segment_fixed_size: 0
    .sgpr_count:     4
    .sgpr_spill_count: 0
    .symbol:         _ZN7rocprim17ROCPRIM_400000_NS6detail17trampoline_kernelINS0_14default_configENS1_25transform_config_selectorIN3c104HalfELb1EEEZNS1_14transform_implILb1ES3_S7_PS6_S9_NS0_8identityIS6_EEEE10hipError_tT2_T3_mT4_P12ihipStream_tbEUlT_E_NS1_11comp_targetILNS1_3genE5ELNS1_11target_archE942ELNS1_3gpuE9ELNS1_3repE0EEENS1_30default_config_static_selectorELNS0_4arch9wavefront6targetE1EEEvT1_.kd
    .uniform_work_group_size: 1
    .uses_dynamic_stack: false
    .vgpr_count:     0
    .vgpr_spill_count: 0
    .wavefront_size: 64
  - .agpr_count:     0
    .args:
      - .offset:         0
        .size:           40
        .value_kind:     by_value
      - .offset:         40
        .size:           4
        .value_kind:     hidden_block_count_x
      - .offset:         44
        .size:           4
        .value_kind:     hidden_block_count_y
      - .offset:         48
        .size:           4
        .value_kind:     hidden_block_count_z
      - .offset:         52
        .size:           2
        .value_kind:     hidden_group_size_x
      - .offset:         54
        .size:           2
        .value_kind:     hidden_group_size_y
      - .offset:         56
        .size:           2
        .value_kind:     hidden_group_size_z
      - .offset:         58
        .size:           2
        .value_kind:     hidden_remainder_x
      - .offset:         60
        .size:           2
        .value_kind:     hidden_remainder_y
      - .offset:         62
        .size:           2
        .value_kind:     hidden_remainder_z
      - .offset:         80
        .size:           8
        .value_kind:     hidden_global_offset_x
      - .offset:         88
        .size:           8
        .value_kind:     hidden_global_offset_y
      - .offset:         96
        .size:           8
        .value_kind:     hidden_global_offset_z
      - .offset:         104
        .size:           2
        .value_kind:     hidden_grid_dims
    .group_segment_fixed_size: 0
    .kernarg_segment_align: 8
    .kernarg_segment_size: 296
    .language:       OpenCL C
    .language_version:
      - 2
      - 0
    .max_flat_workgroup_size: 1024
    .name:           _ZN7rocprim17ROCPRIM_400000_NS6detail17trampoline_kernelINS0_14default_configENS1_25transform_config_selectorIN3c104HalfELb1EEEZNS1_14transform_implILb1ES3_S7_PS6_S9_NS0_8identityIS6_EEEE10hipError_tT2_T3_mT4_P12ihipStream_tbEUlT_E_NS1_11comp_targetILNS1_3genE4ELNS1_11target_archE910ELNS1_3gpuE8ELNS1_3repE0EEENS1_30default_config_static_selectorELNS0_4arch9wavefront6targetE1EEEvT1_
    .private_segment_fixed_size: 0
    .sgpr_count:     26
    .sgpr_spill_count: 0
    .symbol:         _ZN7rocprim17ROCPRIM_400000_NS6detail17trampoline_kernelINS0_14default_configENS1_25transform_config_selectorIN3c104HalfELb1EEEZNS1_14transform_implILb1ES3_S7_PS6_S9_NS0_8identityIS6_EEEE10hipError_tT2_T3_mT4_P12ihipStream_tbEUlT_E_NS1_11comp_targetILNS1_3genE4ELNS1_11target_archE910ELNS1_3gpuE8ELNS1_3repE0EEENS1_30default_config_static_selectorELNS0_4arch9wavefront6targetE1EEEvT1_.kd
    .uniform_work_group_size: 1
    .uses_dynamic_stack: false
    .vgpr_count:     11
    .vgpr_spill_count: 0
    .wavefront_size: 64
  - .agpr_count:     0
    .args:
      - .offset:         0
        .size:           40
        .value_kind:     by_value
    .group_segment_fixed_size: 0
    .kernarg_segment_align: 8
    .kernarg_segment_size: 40
    .language:       OpenCL C
    .language_version:
      - 2
      - 0
    .max_flat_workgroup_size: 128
    .name:           _ZN7rocprim17ROCPRIM_400000_NS6detail17trampoline_kernelINS0_14default_configENS1_25transform_config_selectorIN3c104HalfELb1EEEZNS1_14transform_implILb1ES3_S7_PS6_S9_NS0_8identityIS6_EEEE10hipError_tT2_T3_mT4_P12ihipStream_tbEUlT_E_NS1_11comp_targetILNS1_3genE3ELNS1_11target_archE908ELNS1_3gpuE7ELNS1_3repE0EEENS1_30default_config_static_selectorELNS0_4arch9wavefront6targetE1EEEvT1_
    .private_segment_fixed_size: 0
    .sgpr_count:     4
    .sgpr_spill_count: 0
    .symbol:         _ZN7rocprim17ROCPRIM_400000_NS6detail17trampoline_kernelINS0_14default_configENS1_25transform_config_selectorIN3c104HalfELb1EEEZNS1_14transform_implILb1ES3_S7_PS6_S9_NS0_8identityIS6_EEEE10hipError_tT2_T3_mT4_P12ihipStream_tbEUlT_E_NS1_11comp_targetILNS1_3genE3ELNS1_11target_archE908ELNS1_3gpuE7ELNS1_3repE0EEENS1_30default_config_static_selectorELNS0_4arch9wavefront6targetE1EEEvT1_.kd
    .uniform_work_group_size: 1
    .uses_dynamic_stack: false
    .vgpr_count:     0
    .vgpr_spill_count: 0
    .wavefront_size: 64
  - .agpr_count:     0
    .args:
      - .offset:         0
        .size:           40
        .value_kind:     by_value
    .group_segment_fixed_size: 0
    .kernarg_segment_align: 8
    .kernarg_segment_size: 40
    .language:       OpenCL C
    .language_version:
      - 2
      - 0
    .max_flat_workgroup_size: 1024
    .name:           _ZN7rocprim17ROCPRIM_400000_NS6detail17trampoline_kernelINS0_14default_configENS1_25transform_config_selectorIN3c104HalfELb1EEEZNS1_14transform_implILb1ES3_S7_PS6_S9_NS0_8identityIS6_EEEE10hipError_tT2_T3_mT4_P12ihipStream_tbEUlT_E_NS1_11comp_targetILNS1_3genE2ELNS1_11target_archE906ELNS1_3gpuE6ELNS1_3repE0EEENS1_30default_config_static_selectorELNS0_4arch9wavefront6targetE1EEEvT1_
    .private_segment_fixed_size: 0
    .sgpr_count:     4
    .sgpr_spill_count: 0
    .symbol:         _ZN7rocprim17ROCPRIM_400000_NS6detail17trampoline_kernelINS0_14default_configENS1_25transform_config_selectorIN3c104HalfELb1EEEZNS1_14transform_implILb1ES3_S7_PS6_S9_NS0_8identityIS6_EEEE10hipError_tT2_T3_mT4_P12ihipStream_tbEUlT_E_NS1_11comp_targetILNS1_3genE2ELNS1_11target_archE906ELNS1_3gpuE6ELNS1_3repE0EEENS1_30default_config_static_selectorELNS0_4arch9wavefront6targetE1EEEvT1_.kd
    .uniform_work_group_size: 1
    .uses_dynamic_stack: false
    .vgpr_count:     0
    .vgpr_spill_count: 0
    .wavefront_size: 64
  - .agpr_count:     0
    .args:
      - .offset:         0
        .size:           40
        .value_kind:     by_value
    .group_segment_fixed_size: 0
    .kernarg_segment_align: 8
    .kernarg_segment_size: 40
    .language:       OpenCL C
    .language_version:
      - 2
      - 0
    .max_flat_workgroup_size: 1024
    .name:           _ZN7rocprim17ROCPRIM_400000_NS6detail17trampoline_kernelINS0_14default_configENS1_25transform_config_selectorIN3c104HalfELb1EEEZNS1_14transform_implILb1ES3_S7_PS6_S9_NS0_8identityIS6_EEEE10hipError_tT2_T3_mT4_P12ihipStream_tbEUlT_E_NS1_11comp_targetILNS1_3genE9ELNS1_11target_archE1100ELNS1_3gpuE3ELNS1_3repE0EEENS1_30default_config_static_selectorELNS0_4arch9wavefront6targetE1EEEvT1_
    .private_segment_fixed_size: 0
    .sgpr_count:     4
    .sgpr_spill_count: 0
    .symbol:         _ZN7rocprim17ROCPRIM_400000_NS6detail17trampoline_kernelINS0_14default_configENS1_25transform_config_selectorIN3c104HalfELb1EEEZNS1_14transform_implILb1ES3_S7_PS6_S9_NS0_8identityIS6_EEEE10hipError_tT2_T3_mT4_P12ihipStream_tbEUlT_E_NS1_11comp_targetILNS1_3genE9ELNS1_11target_archE1100ELNS1_3gpuE3ELNS1_3repE0EEENS1_30default_config_static_selectorELNS0_4arch9wavefront6targetE1EEEvT1_.kd
    .uniform_work_group_size: 1
    .uses_dynamic_stack: false
    .vgpr_count:     0
    .vgpr_spill_count: 0
    .wavefront_size: 64
  - .agpr_count:     0
    .args:
      - .offset:         0
        .size:           40
        .value_kind:     by_value
    .group_segment_fixed_size: 0
    .kernarg_segment_align: 8
    .kernarg_segment_size: 40
    .language:       OpenCL C
    .language_version:
      - 2
      - 0
    .max_flat_workgroup_size: 1024
    .name:           _ZN7rocprim17ROCPRIM_400000_NS6detail17trampoline_kernelINS0_14default_configENS1_25transform_config_selectorIN3c104HalfELb1EEEZNS1_14transform_implILb1ES3_S7_PS6_S9_NS0_8identityIS6_EEEE10hipError_tT2_T3_mT4_P12ihipStream_tbEUlT_E_NS1_11comp_targetILNS1_3genE8ELNS1_11target_archE1030ELNS1_3gpuE2ELNS1_3repE0EEENS1_30default_config_static_selectorELNS0_4arch9wavefront6targetE1EEEvT1_
    .private_segment_fixed_size: 0
    .sgpr_count:     4
    .sgpr_spill_count: 0
    .symbol:         _ZN7rocprim17ROCPRIM_400000_NS6detail17trampoline_kernelINS0_14default_configENS1_25transform_config_selectorIN3c104HalfELb1EEEZNS1_14transform_implILb1ES3_S7_PS6_S9_NS0_8identityIS6_EEEE10hipError_tT2_T3_mT4_P12ihipStream_tbEUlT_E_NS1_11comp_targetILNS1_3genE8ELNS1_11target_archE1030ELNS1_3gpuE2ELNS1_3repE0EEENS1_30default_config_static_selectorELNS0_4arch9wavefront6targetE1EEEvT1_.kd
    .uniform_work_group_size: 1
    .uses_dynamic_stack: false
    .vgpr_count:     0
    .vgpr_spill_count: 0
    .wavefront_size: 64
  - .agpr_count:     0
    .args:
      - .offset:         0
        .size:           72
        .value_kind:     by_value
    .group_segment_fixed_size: 0
    .kernarg_segment_align: 8
    .kernarg_segment_size: 72
    .language:       OpenCL C
    .language_version:
      - 2
      - 0
    .max_flat_workgroup_size: 256
    .name:           _ZN7rocprim17ROCPRIM_400000_NS6detail17trampoline_kernelINS0_14default_configENS1_22reduce_config_selectorIiEEZNS1_11reduce_implILb1ES3_N6thrust23THRUST_200600_302600_NS11hip_rocprim35transform_pair_of_input_iterators_tIiPN3c104HalfESD_NS8_12not_equal_toISC_EEEEPiiNS8_4plusIiEEEE10hipError_tPvRmT1_T2_T3_mT4_P12ihipStream_tbEUlT_E0_NS1_11comp_targetILNS1_3genE0ELNS1_11target_archE4294967295ELNS1_3gpuE0ELNS1_3repE0EEENS1_30default_config_static_selectorELNS0_4arch9wavefront6targetE1EEEvSN_
    .private_segment_fixed_size: 0
    .sgpr_count:     4
    .sgpr_spill_count: 0
    .symbol:         _ZN7rocprim17ROCPRIM_400000_NS6detail17trampoline_kernelINS0_14default_configENS1_22reduce_config_selectorIiEEZNS1_11reduce_implILb1ES3_N6thrust23THRUST_200600_302600_NS11hip_rocprim35transform_pair_of_input_iterators_tIiPN3c104HalfESD_NS8_12not_equal_toISC_EEEEPiiNS8_4plusIiEEEE10hipError_tPvRmT1_T2_T3_mT4_P12ihipStream_tbEUlT_E0_NS1_11comp_targetILNS1_3genE0ELNS1_11target_archE4294967295ELNS1_3gpuE0ELNS1_3repE0EEENS1_30default_config_static_selectorELNS0_4arch9wavefront6targetE1EEEvSN_.kd
    .uniform_work_group_size: 1
    .uses_dynamic_stack: false
    .vgpr_count:     0
    .vgpr_spill_count: 0
    .wavefront_size: 64
  - .agpr_count:     0
    .args:
      - .offset:         0
        .size:           72
        .value_kind:     by_value
    .group_segment_fixed_size: 0
    .kernarg_segment_align: 8
    .kernarg_segment_size: 72
    .language:       OpenCL C
    .language_version:
      - 2
      - 0
    .max_flat_workgroup_size: 256
    .name:           _ZN7rocprim17ROCPRIM_400000_NS6detail17trampoline_kernelINS0_14default_configENS1_22reduce_config_selectorIiEEZNS1_11reduce_implILb1ES3_N6thrust23THRUST_200600_302600_NS11hip_rocprim35transform_pair_of_input_iterators_tIiPN3c104HalfESD_NS8_12not_equal_toISC_EEEEPiiNS8_4plusIiEEEE10hipError_tPvRmT1_T2_T3_mT4_P12ihipStream_tbEUlT_E0_NS1_11comp_targetILNS1_3genE5ELNS1_11target_archE942ELNS1_3gpuE9ELNS1_3repE0EEENS1_30default_config_static_selectorELNS0_4arch9wavefront6targetE1EEEvSN_
    .private_segment_fixed_size: 0
    .sgpr_count:     4
    .sgpr_spill_count: 0
    .symbol:         _ZN7rocprim17ROCPRIM_400000_NS6detail17trampoline_kernelINS0_14default_configENS1_22reduce_config_selectorIiEEZNS1_11reduce_implILb1ES3_N6thrust23THRUST_200600_302600_NS11hip_rocprim35transform_pair_of_input_iterators_tIiPN3c104HalfESD_NS8_12not_equal_toISC_EEEEPiiNS8_4plusIiEEEE10hipError_tPvRmT1_T2_T3_mT4_P12ihipStream_tbEUlT_E0_NS1_11comp_targetILNS1_3genE5ELNS1_11target_archE942ELNS1_3gpuE9ELNS1_3repE0EEENS1_30default_config_static_selectorELNS0_4arch9wavefront6targetE1EEEvSN_.kd
    .uniform_work_group_size: 1
    .uses_dynamic_stack: false
    .vgpr_count:     0
    .vgpr_spill_count: 0
    .wavefront_size: 64
  - .agpr_count:     0
    .args:
      - .offset:         0
        .size:           72
        .value_kind:     by_value
    .group_segment_fixed_size: 16
    .kernarg_segment_align: 8
    .kernarg_segment_size: 72
    .language:       OpenCL C
    .language_version:
      - 2
      - 0
    .max_flat_workgroup_size: 128
    .name:           _ZN7rocprim17ROCPRIM_400000_NS6detail17trampoline_kernelINS0_14default_configENS1_22reduce_config_selectorIiEEZNS1_11reduce_implILb1ES3_N6thrust23THRUST_200600_302600_NS11hip_rocprim35transform_pair_of_input_iterators_tIiPN3c104HalfESD_NS8_12not_equal_toISC_EEEEPiiNS8_4plusIiEEEE10hipError_tPvRmT1_T2_T3_mT4_P12ihipStream_tbEUlT_E0_NS1_11comp_targetILNS1_3genE4ELNS1_11target_archE910ELNS1_3gpuE8ELNS1_3repE0EEENS1_30default_config_static_selectorELNS0_4arch9wavefront6targetE1EEEvSN_
    .private_segment_fixed_size: 0
    .sgpr_count:     34
    .sgpr_spill_count: 0
    .symbol:         _ZN7rocprim17ROCPRIM_400000_NS6detail17trampoline_kernelINS0_14default_configENS1_22reduce_config_selectorIiEEZNS1_11reduce_implILb1ES3_N6thrust23THRUST_200600_302600_NS11hip_rocprim35transform_pair_of_input_iterators_tIiPN3c104HalfESD_NS8_12not_equal_toISC_EEEEPiiNS8_4plusIiEEEE10hipError_tPvRmT1_T2_T3_mT4_P12ihipStream_tbEUlT_E0_NS1_11comp_targetILNS1_3genE4ELNS1_11target_archE910ELNS1_3gpuE8ELNS1_3repE0EEENS1_30default_config_static_selectorELNS0_4arch9wavefront6targetE1EEEvSN_.kd
    .uniform_work_group_size: 1
    .uses_dynamic_stack: false
    .vgpr_count:     21
    .vgpr_spill_count: 0
    .wavefront_size: 64
  - .agpr_count:     0
    .args:
      - .offset:         0
        .size:           72
        .value_kind:     by_value
    .group_segment_fixed_size: 0
    .kernarg_segment_align: 8
    .kernarg_segment_size: 72
    .language:       OpenCL C
    .language_version:
      - 2
      - 0
    .max_flat_workgroup_size: 256
    .name:           _ZN7rocprim17ROCPRIM_400000_NS6detail17trampoline_kernelINS0_14default_configENS1_22reduce_config_selectorIiEEZNS1_11reduce_implILb1ES3_N6thrust23THRUST_200600_302600_NS11hip_rocprim35transform_pair_of_input_iterators_tIiPN3c104HalfESD_NS8_12not_equal_toISC_EEEEPiiNS8_4plusIiEEEE10hipError_tPvRmT1_T2_T3_mT4_P12ihipStream_tbEUlT_E0_NS1_11comp_targetILNS1_3genE3ELNS1_11target_archE908ELNS1_3gpuE7ELNS1_3repE0EEENS1_30default_config_static_selectorELNS0_4arch9wavefront6targetE1EEEvSN_
    .private_segment_fixed_size: 0
    .sgpr_count:     4
    .sgpr_spill_count: 0
    .symbol:         _ZN7rocprim17ROCPRIM_400000_NS6detail17trampoline_kernelINS0_14default_configENS1_22reduce_config_selectorIiEEZNS1_11reduce_implILb1ES3_N6thrust23THRUST_200600_302600_NS11hip_rocprim35transform_pair_of_input_iterators_tIiPN3c104HalfESD_NS8_12not_equal_toISC_EEEEPiiNS8_4plusIiEEEE10hipError_tPvRmT1_T2_T3_mT4_P12ihipStream_tbEUlT_E0_NS1_11comp_targetILNS1_3genE3ELNS1_11target_archE908ELNS1_3gpuE7ELNS1_3repE0EEENS1_30default_config_static_selectorELNS0_4arch9wavefront6targetE1EEEvSN_.kd
    .uniform_work_group_size: 1
    .uses_dynamic_stack: false
    .vgpr_count:     0
    .vgpr_spill_count: 0
    .wavefront_size: 64
  - .agpr_count:     0
    .args:
      - .offset:         0
        .size:           72
        .value_kind:     by_value
    .group_segment_fixed_size: 0
    .kernarg_segment_align: 8
    .kernarg_segment_size: 72
    .language:       OpenCL C
    .language_version:
      - 2
      - 0
    .max_flat_workgroup_size: 256
    .name:           _ZN7rocprim17ROCPRIM_400000_NS6detail17trampoline_kernelINS0_14default_configENS1_22reduce_config_selectorIiEEZNS1_11reduce_implILb1ES3_N6thrust23THRUST_200600_302600_NS11hip_rocprim35transform_pair_of_input_iterators_tIiPN3c104HalfESD_NS8_12not_equal_toISC_EEEEPiiNS8_4plusIiEEEE10hipError_tPvRmT1_T2_T3_mT4_P12ihipStream_tbEUlT_E0_NS1_11comp_targetILNS1_3genE2ELNS1_11target_archE906ELNS1_3gpuE6ELNS1_3repE0EEENS1_30default_config_static_selectorELNS0_4arch9wavefront6targetE1EEEvSN_
    .private_segment_fixed_size: 0
    .sgpr_count:     4
    .sgpr_spill_count: 0
    .symbol:         _ZN7rocprim17ROCPRIM_400000_NS6detail17trampoline_kernelINS0_14default_configENS1_22reduce_config_selectorIiEEZNS1_11reduce_implILb1ES3_N6thrust23THRUST_200600_302600_NS11hip_rocprim35transform_pair_of_input_iterators_tIiPN3c104HalfESD_NS8_12not_equal_toISC_EEEEPiiNS8_4plusIiEEEE10hipError_tPvRmT1_T2_T3_mT4_P12ihipStream_tbEUlT_E0_NS1_11comp_targetILNS1_3genE2ELNS1_11target_archE906ELNS1_3gpuE6ELNS1_3repE0EEENS1_30default_config_static_selectorELNS0_4arch9wavefront6targetE1EEEvSN_.kd
    .uniform_work_group_size: 1
    .uses_dynamic_stack: false
    .vgpr_count:     0
    .vgpr_spill_count: 0
    .wavefront_size: 64
  - .agpr_count:     0
    .args:
      - .offset:         0
        .size:           72
        .value_kind:     by_value
    .group_segment_fixed_size: 0
    .kernarg_segment_align: 8
    .kernarg_segment_size: 72
    .language:       OpenCL C
    .language_version:
      - 2
      - 0
    .max_flat_workgroup_size: 256
    .name:           _ZN7rocprim17ROCPRIM_400000_NS6detail17trampoline_kernelINS0_14default_configENS1_22reduce_config_selectorIiEEZNS1_11reduce_implILb1ES3_N6thrust23THRUST_200600_302600_NS11hip_rocprim35transform_pair_of_input_iterators_tIiPN3c104HalfESD_NS8_12not_equal_toISC_EEEEPiiNS8_4plusIiEEEE10hipError_tPvRmT1_T2_T3_mT4_P12ihipStream_tbEUlT_E0_NS1_11comp_targetILNS1_3genE10ELNS1_11target_archE1201ELNS1_3gpuE5ELNS1_3repE0EEENS1_30default_config_static_selectorELNS0_4arch9wavefront6targetE1EEEvSN_
    .private_segment_fixed_size: 0
    .sgpr_count:     4
    .sgpr_spill_count: 0
    .symbol:         _ZN7rocprim17ROCPRIM_400000_NS6detail17trampoline_kernelINS0_14default_configENS1_22reduce_config_selectorIiEEZNS1_11reduce_implILb1ES3_N6thrust23THRUST_200600_302600_NS11hip_rocprim35transform_pair_of_input_iterators_tIiPN3c104HalfESD_NS8_12not_equal_toISC_EEEEPiiNS8_4plusIiEEEE10hipError_tPvRmT1_T2_T3_mT4_P12ihipStream_tbEUlT_E0_NS1_11comp_targetILNS1_3genE10ELNS1_11target_archE1201ELNS1_3gpuE5ELNS1_3repE0EEENS1_30default_config_static_selectorELNS0_4arch9wavefront6targetE1EEEvSN_.kd
    .uniform_work_group_size: 1
    .uses_dynamic_stack: false
    .vgpr_count:     0
    .vgpr_spill_count: 0
    .wavefront_size: 64
  - .agpr_count:     0
    .args:
      - .offset:         0
        .size:           72
        .value_kind:     by_value
    .group_segment_fixed_size: 0
    .kernarg_segment_align: 8
    .kernarg_segment_size: 72
    .language:       OpenCL C
    .language_version:
      - 2
      - 0
    .max_flat_workgroup_size: 256
    .name:           _ZN7rocprim17ROCPRIM_400000_NS6detail17trampoline_kernelINS0_14default_configENS1_22reduce_config_selectorIiEEZNS1_11reduce_implILb1ES3_N6thrust23THRUST_200600_302600_NS11hip_rocprim35transform_pair_of_input_iterators_tIiPN3c104HalfESD_NS8_12not_equal_toISC_EEEEPiiNS8_4plusIiEEEE10hipError_tPvRmT1_T2_T3_mT4_P12ihipStream_tbEUlT_E0_NS1_11comp_targetILNS1_3genE10ELNS1_11target_archE1200ELNS1_3gpuE4ELNS1_3repE0EEENS1_30default_config_static_selectorELNS0_4arch9wavefront6targetE1EEEvSN_
    .private_segment_fixed_size: 0
    .sgpr_count:     4
    .sgpr_spill_count: 0
    .symbol:         _ZN7rocprim17ROCPRIM_400000_NS6detail17trampoline_kernelINS0_14default_configENS1_22reduce_config_selectorIiEEZNS1_11reduce_implILb1ES3_N6thrust23THRUST_200600_302600_NS11hip_rocprim35transform_pair_of_input_iterators_tIiPN3c104HalfESD_NS8_12not_equal_toISC_EEEEPiiNS8_4plusIiEEEE10hipError_tPvRmT1_T2_T3_mT4_P12ihipStream_tbEUlT_E0_NS1_11comp_targetILNS1_3genE10ELNS1_11target_archE1200ELNS1_3gpuE4ELNS1_3repE0EEENS1_30default_config_static_selectorELNS0_4arch9wavefront6targetE1EEEvSN_.kd
    .uniform_work_group_size: 1
    .uses_dynamic_stack: false
    .vgpr_count:     0
    .vgpr_spill_count: 0
    .wavefront_size: 64
  - .agpr_count:     0
    .args:
      - .offset:         0
        .size:           72
        .value_kind:     by_value
    .group_segment_fixed_size: 0
    .kernarg_segment_align: 8
    .kernarg_segment_size: 72
    .language:       OpenCL C
    .language_version:
      - 2
      - 0
    .max_flat_workgroup_size: 256
    .name:           _ZN7rocprim17ROCPRIM_400000_NS6detail17trampoline_kernelINS0_14default_configENS1_22reduce_config_selectorIiEEZNS1_11reduce_implILb1ES3_N6thrust23THRUST_200600_302600_NS11hip_rocprim35transform_pair_of_input_iterators_tIiPN3c104HalfESD_NS8_12not_equal_toISC_EEEEPiiNS8_4plusIiEEEE10hipError_tPvRmT1_T2_T3_mT4_P12ihipStream_tbEUlT_E0_NS1_11comp_targetILNS1_3genE9ELNS1_11target_archE1100ELNS1_3gpuE3ELNS1_3repE0EEENS1_30default_config_static_selectorELNS0_4arch9wavefront6targetE1EEEvSN_
    .private_segment_fixed_size: 0
    .sgpr_count:     4
    .sgpr_spill_count: 0
    .symbol:         _ZN7rocprim17ROCPRIM_400000_NS6detail17trampoline_kernelINS0_14default_configENS1_22reduce_config_selectorIiEEZNS1_11reduce_implILb1ES3_N6thrust23THRUST_200600_302600_NS11hip_rocprim35transform_pair_of_input_iterators_tIiPN3c104HalfESD_NS8_12not_equal_toISC_EEEEPiiNS8_4plusIiEEEE10hipError_tPvRmT1_T2_T3_mT4_P12ihipStream_tbEUlT_E0_NS1_11comp_targetILNS1_3genE9ELNS1_11target_archE1100ELNS1_3gpuE3ELNS1_3repE0EEENS1_30default_config_static_selectorELNS0_4arch9wavefront6targetE1EEEvSN_.kd
    .uniform_work_group_size: 1
    .uses_dynamic_stack: false
    .vgpr_count:     0
    .vgpr_spill_count: 0
    .wavefront_size: 64
  - .agpr_count:     0
    .args:
      - .offset:         0
        .size:           72
        .value_kind:     by_value
    .group_segment_fixed_size: 0
    .kernarg_segment_align: 8
    .kernarg_segment_size: 72
    .language:       OpenCL C
    .language_version:
      - 2
      - 0
    .max_flat_workgroup_size: 256
    .name:           _ZN7rocprim17ROCPRIM_400000_NS6detail17trampoline_kernelINS0_14default_configENS1_22reduce_config_selectorIiEEZNS1_11reduce_implILb1ES3_N6thrust23THRUST_200600_302600_NS11hip_rocprim35transform_pair_of_input_iterators_tIiPN3c104HalfESD_NS8_12not_equal_toISC_EEEEPiiNS8_4plusIiEEEE10hipError_tPvRmT1_T2_T3_mT4_P12ihipStream_tbEUlT_E0_NS1_11comp_targetILNS1_3genE8ELNS1_11target_archE1030ELNS1_3gpuE2ELNS1_3repE0EEENS1_30default_config_static_selectorELNS0_4arch9wavefront6targetE1EEEvSN_
    .private_segment_fixed_size: 0
    .sgpr_count:     4
    .sgpr_spill_count: 0
    .symbol:         _ZN7rocprim17ROCPRIM_400000_NS6detail17trampoline_kernelINS0_14default_configENS1_22reduce_config_selectorIiEEZNS1_11reduce_implILb1ES3_N6thrust23THRUST_200600_302600_NS11hip_rocprim35transform_pair_of_input_iterators_tIiPN3c104HalfESD_NS8_12not_equal_toISC_EEEEPiiNS8_4plusIiEEEE10hipError_tPvRmT1_T2_T3_mT4_P12ihipStream_tbEUlT_E0_NS1_11comp_targetILNS1_3genE8ELNS1_11target_archE1030ELNS1_3gpuE2ELNS1_3repE0EEENS1_30default_config_static_selectorELNS0_4arch9wavefront6targetE1EEEvSN_.kd
    .uniform_work_group_size: 1
    .uses_dynamic_stack: false
    .vgpr_count:     0
    .vgpr_spill_count: 0
    .wavefront_size: 64
  - .agpr_count:     0
    .args:
      - .offset:         0
        .size:           56
        .value_kind:     by_value
    .group_segment_fixed_size: 0
    .kernarg_segment_align: 8
    .kernarg_segment_size: 56
    .language:       OpenCL C
    .language_version:
      - 2
      - 0
    .max_flat_workgroup_size: 256
    .name:           _ZN7rocprim17ROCPRIM_400000_NS6detail17trampoline_kernelINS0_14default_configENS1_22reduce_config_selectorIiEEZNS1_11reduce_implILb1ES3_N6thrust23THRUST_200600_302600_NS11hip_rocprim35transform_pair_of_input_iterators_tIiPN3c104HalfESD_NS8_12not_equal_toISC_EEEEPiiNS8_4plusIiEEEE10hipError_tPvRmT1_T2_T3_mT4_P12ihipStream_tbEUlT_E1_NS1_11comp_targetILNS1_3genE0ELNS1_11target_archE4294967295ELNS1_3gpuE0ELNS1_3repE0EEENS1_30default_config_static_selectorELNS0_4arch9wavefront6targetE1EEEvSN_
    .private_segment_fixed_size: 0
    .sgpr_count:     4
    .sgpr_spill_count: 0
    .symbol:         _ZN7rocprim17ROCPRIM_400000_NS6detail17trampoline_kernelINS0_14default_configENS1_22reduce_config_selectorIiEEZNS1_11reduce_implILb1ES3_N6thrust23THRUST_200600_302600_NS11hip_rocprim35transform_pair_of_input_iterators_tIiPN3c104HalfESD_NS8_12not_equal_toISC_EEEEPiiNS8_4plusIiEEEE10hipError_tPvRmT1_T2_T3_mT4_P12ihipStream_tbEUlT_E1_NS1_11comp_targetILNS1_3genE0ELNS1_11target_archE4294967295ELNS1_3gpuE0ELNS1_3repE0EEENS1_30default_config_static_selectorELNS0_4arch9wavefront6targetE1EEEvSN_.kd
    .uniform_work_group_size: 1
    .uses_dynamic_stack: false
    .vgpr_count:     0
    .vgpr_spill_count: 0
    .wavefront_size: 64
  - .agpr_count:     0
    .args:
      - .offset:         0
        .size:           56
        .value_kind:     by_value
    .group_segment_fixed_size: 0
    .kernarg_segment_align: 8
    .kernarg_segment_size: 56
    .language:       OpenCL C
    .language_version:
      - 2
      - 0
    .max_flat_workgroup_size: 256
    .name:           _ZN7rocprim17ROCPRIM_400000_NS6detail17trampoline_kernelINS0_14default_configENS1_22reduce_config_selectorIiEEZNS1_11reduce_implILb1ES3_N6thrust23THRUST_200600_302600_NS11hip_rocprim35transform_pair_of_input_iterators_tIiPN3c104HalfESD_NS8_12not_equal_toISC_EEEEPiiNS8_4plusIiEEEE10hipError_tPvRmT1_T2_T3_mT4_P12ihipStream_tbEUlT_E1_NS1_11comp_targetILNS1_3genE5ELNS1_11target_archE942ELNS1_3gpuE9ELNS1_3repE0EEENS1_30default_config_static_selectorELNS0_4arch9wavefront6targetE1EEEvSN_
    .private_segment_fixed_size: 0
    .sgpr_count:     4
    .sgpr_spill_count: 0
    .symbol:         _ZN7rocprim17ROCPRIM_400000_NS6detail17trampoline_kernelINS0_14default_configENS1_22reduce_config_selectorIiEEZNS1_11reduce_implILb1ES3_N6thrust23THRUST_200600_302600_NS11hip_rocprim35transform_pair_of_input_iterators_tIiPN3c104HalfESD_NS8_12not_equal_toISC_EEEEPiiNS8_4plusIiEEEE10hipError_tPvRmT1_T2_T3_mT4_P12ihipStream_tbEUlT_E1_NS1_11comp_targetILNS1_3genE5ELNS1_11target_archE942ELNS1_3gpuE9ELNS1_3repE0EEENS1_30default_config_static_selectorELNS0_4arch9wavefront6targetE1EEEvSN_.kd
    .uniform_work_group_size: 1
    .uses_dynamic_stack: false
    .vgpr_count:     0
    .vgpr_spill_count: 0
    .wavefront_size: 64
  - .agpr_count:     0
    .args:
      - .offset:         0
        .size:           56
        .value_kind:     by_value
    .group_segment_fixed_size: 56
    .kernarg_segment_align: 8
    .kernarg_segment_size: 56
    .language:       OpenCL C
    .language_version:
      - 2
      - 0
    .max_flat_workgroup_size: 128
    .name:           _ZN7rocprim17ROCPRIM_400000_NS6detail17trampoline_kernelINS0_14default_configENS1_22reduce_config_selectorIiEEZNS1_11reduce_implILb1ES3_N6thrust23THRUST_200600_302600_NS11hip_rocprim35transform_pair_of_input_iterators_tIiPN3c104HalfESD_NS8_12not_equal_toISC_EEEEPiiNS8_4plusIiEEEE10hipError_tPvRmT1_T2_T3_mT4_P12ihipStream_tbEUlT_E1_NS1_11comp_targetILNS1_3genE4ELNS1_11target_archE910ELNS1_3gpuE8ELNS1_3repE0EEENS1_30default_config_static_selectorELNS0_4arch9wavefront6targetE1EEEvSN_
    .private_segment_fixed_size: 0
    .sgpr_count:     53
    .sgpr_spill_count: 0
    .symbol:         _ZN7rocprim17ROCPRIM_400000_NS6detail17trampoline_kernelINS0_14default_configENS1_22reduce_config_selectorIiEEZNS1_11reduce_implILb1ES3_N6thrust23THRUST_200600_302600_NS11hip_rocprim35transform_pair_of_input_iterators_tIiPN3c104HalfESD_NS8_12not_equal_toISC_EEEEPiiNS8_4plusIiEEEE10hipError_tPvRmT1_T2_T3_mT4_P12ihipStream_tbEUlT_E1_NS1_11comp_targetILNS1_3genE4ELNS1_11target_archE910ELNS1_3gpuE8ELNS1_3repE0EEENS1_30default_config_static_selectorELNS0_4arch9wavefront6targetE1EEEvSN_.kd
    .uniform_work_group_size: 1
    .uses_dynamic_stack: false
    .vgpr_count:     63
    .vgpr_spill_count: 0
    .wavefront_size: 64
  - .agpr_count:     0
    .args:
      - .offset:         0
        .size:           56
        .value_kind:     by_value
    .group_segment_fixed_size: 0
    .kernarg_segment_align: 8
    .kernarg_segment_size: 56
    .language:       OpenCL C
    .language_version:
      - 2
      - 0
    .max_flat_workgroup_size: 256
    .name:           _ZN7rocprim17ROCPRIM_400000_NS6detail17trampoline_kernelINS0_14default_configENS1_22reduce_config_selectorIiEEZNS1_11reduce_implILb1ES3_N6thrust23THRUST_200600_302600_NS11hip_rocprim35transform_pair_of_input_iterators_tIiPN3c104HalfESD_NS8_12not_equal_toISC_EEEEPiiNS8_4plusIiEEEE10hipError_tPvRmT1_T2_T3_mT4_P12ihipStream_tbEUlT_E1_NS1_11comp_targetILNS1_3genE3ELNS1_11target_archE908ELNS1_3gpuE7ELNS1_3repE0EEENS1_30default_config_static_selectorELNS0_4arch9wavefront6targetE1EEEvSN_
    .private_segment_fixed_size: 0
    .sgpr_count:     4
    .sgpr_spill_count: 0
    .symbol:         _ZN7rocprim17ROCPRIM_400000_NS6detail17trampoline_kernelINS0_14default_configENS1_22reduce_config_selectorIiEEZNS1_11reduce_implILb1ES3_N6thrust23THRUST_200600_302600_NS11hip_rocprim35transform_pair_of_input_iterators_tIiPN3c104HalfESD_NS8_12not_equal_toISC_EEEEPiiNS8_4plusIiEEEE10hipError_tPvRmT1_T2_T3_mT4_P12ihipStream_tbEUlT_E1_NS1_11comp_targetILNS1_3genE3ELNS1_11target_archE908ELNS1_3gpuE7ELNS1_3repE0EEENS1_30default_config_static_selectorELNS0_4arch9wavefront6targetE1EEEvSN_.kd
    .uniform_work_group_size: 1
    .uses_dynamic_stack: false
    .vgpr_count:     0
    .vgpr_spill_count: 0
    .wavefront_size: 64
  - .agpr_count:     0
    .args:
      - .offset:         0
        .size:           56
        .value_kind:     by_value
    .group_segment_fixed_size: 0
    .kernarg_segment_align: 8
    .kernarg_segment_size: 56
    .language:       OpenCL C
    .language_version:
      - 2
      - 0
    .max_flat_workgroup_size: 256
    .name:           _ZN7rocprim17ROCPRIM_400000_NS6detail17trampoline_kernelINS0_14default_configENS1_22reduce_config_selectorIiEEZNS1_11reduce_implILb1ES3_N6thrust23THRUST_200600_302600_NS11hip_rocprim35transform_pair_of_input_iterators_tIiPN3c104HalfESD_NS8_12not_equal_toISC_EEEEPiiNS8_4plusIiEEEE10hipError_tPvRmT1_T2_T3_mT4_P12ihipStream_tbEUlT_E1_NS1_11comp_targetILNS1_3genE2ELNS1_11target_archE906ELNS1_3gpuE6ELNS1_3repE0EEENS1_30default_config_static_selectorELNS0_4arch9wavefront6targetE1EEEvSN_
    .private_segment_fixed_size: 0
    .sgpr_count:     4
    .sgpr_spill_count: 0
    .symbol:         _ZN7rocprim17ROCPRIM_400000_NS6detail17trampoline_kernelINS0_14default_configENS1_22reduce_config_selectorIiEEZNS1_11reduce_implILb1ES3_N6thrust23THRUST_200600_302600_NS11hip_rocprim35transform_pair_of_input_iterators_tIiPN3c104HalfESD_NS8_12not_equal_toISC_EEEEPiiNS8_4plusIiEEEE10hipError_tPvRmT1_T2_T3_mT4_P12ihipStream_tbEUlT_E1_NS1_11comp_targetILNS1_3genE2ELNS1_11target_archE906ELNS1_3gpuE6ELNS1_3repE0EEENS1_30default_config_static_selectorELNS0_4arch9wavefront6targetE1EEEvSN_.kd
    .uniform_work_group_size: 1
    .uses_dynamic_stack: false
    .vgpr_count:     0
    .vgpr_spill_count: 0
    .wavefront_size: 64
  - .agpr_count:     0
    .args:
      - .offset:         0
        .size:           56
        .value_kind:     by_value
    .group_segment_fixed_size: 0
    .kernarg_segment_align: 8
    .kernarg_segment_size: 56
    .language:       OpenCL C
    .language_version:
      - 2
      - 0
    .max_flat_workgroup_size: 256
    .name:           _ZN7rocprim17ROCPRIM_400000_NS6detail17trampoline_kernelINS0_14default_configENS1_22reduce_config_selectorIiEEZNS1_11reduce_implILb1ES3_N6thrust23THRUST_200600_302600_NS11hip_rocprim35transform_pair_of_input_iterators_tIiPN3c104HalfESD_NS8_12not_equal_toISC_EEEEPiiNS8_4plusIiEEEE10hipError_tPvRmT1_T2_T3_mT4_P12ihipStream_tbEUlT_E1_NS1_11comp_targetILNS1_3genE10ELNS1_11target_archE1201ELNS1_3gpuE5ELNS1_3repE0EEENS1_30default_config_static_selectorELNS0_4arch9wavefront6targetE1EEEvSN_
    .private_segment_fixed_size: 0
    .sgpr_count:     4
    .sgpr_spill_count: 0
    .symbol:         _ZN7rocprim17ROCPRIM_400000_NS6detail17trampoline_kernelINS0_14default_configENS1_22reduce_config_selectorIiEEZNS1_11reduce_implILb1ES3_N6thrust23THRUST_200600_302600_NS11hip_rocprim35transform_pair_of_input_iterators_tIiPN3c104HalfESD_NS8_12not_equal_toISC_EEEEPiiNS8_4plusIiEEEE10hipError_tPvRmT1_T2_T3_mT4_P12ihipStream_tbEUlT_E1_NS1_11comp_targetILNS1_3genE10ELNS1_11target_archE1201ELNS1_3gpuE5ELNS1_3repE0EEENS1_30default_config_static_selectorELNS0_4arch9wavefront6targetE1EEEvSN_.kd
    .uniform_work_group_size: 1
    .uses_dynamic_stack: false
    .vgpr_count:     0
    .vgpr_spill_count: 0
    .wavefront_size: 64
  - .agpr_count:     0
    .args:
      - .offset:         0
        .size:           56
        .value_kind:     by_value
    .group_segment_fixed_size: 0
    .kernarg_segment_align: 8
    .kernarg_segment_size: 56
    .language:       OpenCL C
    .language_version:
      - 2
      - 0
    .max_flat_workgroup_size: 256
    .name:           _ZN7rocprim17ROCPRIM_400000_NS6detail17trampoline_kernelINS0_14default_configENS1_22reduce_config_selectorIiEEZNS1_11reduce_implILb1ES3_N6thrust23THRUST_200600_302600_NS11hip_rocprim35transform_pair_of_input_iterators_tIiPN3c104HalfESD_NS8_12not_equal_toISC_EEEEPiiNS8_4plusIiEEEE10hipError_tPvRmT1_T2_T3_mT4_P12ihipStream_tbEUlT_E1_NS1_11comp_targetILNS1_3genE10ELNS1_11target_archE1200ELNS1_3gpuE4ELNS1_3repE0EEENS1_30default_config_static_selectorELNS0_4arch9wavefront6targetE1EEEvSN_
    .private_segment_fixed_size: 0
    .sgpr_count:     4
    .sgpr_spill_count: 0
    .symbol:         _ZN7rocprim17ROCPRIM_400000_NS6detail17trampoline_kernelINS0_14default_configENS1_22reduce_config_selectorIiEEZNS1_11reduce_implILb1ES3_N6thrust23THRUST_200600_302600_NS11hip_rocprim35transform_pair_of_input_iterators_tIiPN3c104HalfESD_NS8_12not_equal_toISC_EEEEPiiNS8_4plusIiEEEE10hipError_tPvRmT1_T2_T3_mT4_P12ihipStream_tbEUlT_E1_NS1_11comp_targetILNS1_3genE10ELNS1_11target_archE1200ELNS1_3gpuE4ELNS1_3repE0EEENS1_30default_config_static_selectorELNS0_4arch9wavefront6targetE1EEEvSN_.kd
    .uniform_work_group_size: 1
    .uses_dynamic_stack: false
    .vgpr_count:     0
    .vgpr_spill_count: 0
    .wavefront_size: 64
  - .agpr_count:     0
    .args:
      - .offset:         0
        .size:           56
        .value_kind:     by_value
    .group_segment_fixed_size: 0
    .kernarg_segment_align: 8
    .kernarg_segment_size: 56
    .language:       OpenCL C
    .language_version:
      - 2
      - 0
    .max_flat_workgroup_size: 256
    .name:           _ZN7rocprim17ROCPRIM_400000_NS6detail17trampoline_kernelINS0_14default_configENS1_22reduce_config_selectorIiEEZNS1_11reduce_implILb1ES3_N6thrust23THRUST_200600_302600_NS11hip_rocprim35transform_pair_of_input_iterators_tIiPN3c104HalfESD_NS8_12not_equal_toISC_EEEEPiiNS8_4plusIiEEEE10hipError_tPvRmT1_T2_T3_mT4_P12ihipStream_tbEUlT_E1_NS1_11comp_targetILNS1_3genE9ELNS1_11target_archE1100ELNS1_3gpuE3ELNS1_3repE0EEENS1_30default_config_static_selectorELNS0_4arch9wavefront6targetE1EEEvSN_
    .private_segment_fixed_size: 0
    .sgpr_count:     4
    .sgpr_spill_count: 0
    .symbol:         _ZN7rocprim17ROCPRIM_400000_NS6detail17trampoline_kernelINS0_14default_configENS1_22reduce_config_selectorIiEEZNS1_11reduce_implILb1ES3_N6thrust23THRUST_200600_302600_NS11hip_rocprim35transform_pair_of_input_iterators_tIiPN3c104HalfESD_NS8_12not_equal_toISC_EEEEPiiNS8_4plusIiEEEE10hipError_tPvRmT1_T2_T3_mT4_P12ihipStream_tbEUlT_E1_NS1_11comp_targetILNS1_3genE9ELNS1_11target_archE1100ELNS1_3gpuE3ELNS1_3repE0EEENS1_30default_config_static_selectorELNS0_4arch9wavefront6targetE1EEEvSN_.kd
    .uniform_work_group_size: 1
    .uses_dynamic_stack: false
    .vgpr_count:     0
    .vgpr_spill_count: 0
    .wavefront_size: 64
  - .agpr_count:     0
    .args:
      - .offset:         0
        .size:           56
        .value_kind:     by_value
    .group_segment_fixed_size: 0
    .kernarg_segment_align: 8
    .kernarg_segment_size: 56
    .language:       OpenCL C
    .language_version:
      - 2
      - 0
    .max_flat_workgroup_size: 256
    .name:           _ZN7rocprim17ROCPRIM_400000_NS6detail17trampoline_kernelINS0_14default_configENS1_22reduce_config_selectorIiEEZNS1_11reduce_implILb1ES3_N6thrust23THRUST_200600_302600_NS11hip_rocprim35transform_pair_of_input_iterators_tIiPN3c104HalfESD_NS8_12not_equal_toISC_EEEEPiiNS8_4plusIiEEEE10hipError_tPvRmT1_T2_T3_mT4_P12ihipStream_tbEUlT_E1_NS1_11comp_targetILNS1_3genE8ELNS1_11target_archE1030ELNS1_3gpuE2ELNS1_3repE0EEENS1_30default_config_static_selectorELNS0_4arch9wavefront6targetE1EEEvSN_
    .private_segment_fixed_size: 0
    .sgpr_count:     4
    .sgpr_spill_count: 0
    .symbol:         _ZN7rocprim17ROCPRIM_400000_NS6detail17trampoline_kernelINS0_14default_configENS1_22reduce_config_selectorIiEEZNS1_11reduce_implILb1ES3_N6thrust23THRUST_200600_302600_NS11hip_rocprim35transform_pair_of_input_iterators_tIiPN3c104HalfESD_NS8_12not_equal_toISC_EEEEPiiNS8_4plusIiEEEE10hipError_tPvRmT1_T2_T3_mT4_P12ihipStream_tbEUlT_E1_NS1_11comp_targetILNS1_3genE8ELNS1_11target_archE1030ELNS1_3gpuE2ELNS1_3repE0EEENS1_30default_config_static_selectorELNS0_4arch9wavefront6targetE1EEEvSN_.kd
    .uniform_work_group_size: 1
    .uses_dynamic_stack: false
    .vgpr_count:     0
    .vgpr_spill_count: 0
    .wavefront_size: 64
  - .agpr_count:     0
    .args:
      - .offset:         0
        .size:           144
        .value_kind:     by_value
    .group_segment_fixed_size: 0
    .kernarg_segment_align: 8
    .kernarg_segment_size: 144
    .language:       OpenCL C
    .language_version:
      - 2
      - 0
    .max_flat_workgroup_size: 256
    .name:           _ZN7rocprim17ROCPRIM_400000_NS6detail17trampoline_kernelINS0_14default_configENS1_29reduce_by_key_config_selectorIN3c104HalfElN6thrust23THRUST_200600_302600_NS4plusIlEEEEZZNS1_33reduce_by_key_impl_wrapped_configILNS1_25lookback_scan_determinismE0ES3_SB_PS6_NS8_17constant_iteratorIiNS8_11use_defaultESG_EENS8_10device_ptrIS6_EENSI_IlEEPmSA_NS8_8equal_toIS6_EEEE10hipError_tPvRmT2_T3_mT4_T5_T6_T7_T8_P12ihipStream_tbENKUlT_T0_E_clISt17integral_constantIbLb0EES15_EEDaS10_S11_EUlS10_E_NS1_11comp_targetILNS1_3genE0ELNS1_11target_archE4294967295ELNS1_3gpuE0ELNS1_3repE0EEENS1_30default_config_static_selectorELNS0_4arch9wavefront6targetE1EEEvT1_
    .private_segment_fixed_size: 0
    .sgpr_count:     4
    .sgpr_spill_count: 0
    .symbol:         _ZN7rocprim17ROCPRIM_400000_NS6detail17trampoline_kernelINS0_14default_configENS1_29reduce_by_key_config_selectorIN3c104HalfElN6thrust23THRUST_200600_302600_NS4plusIlEEEEZZNS1_33reduce_by_key_impl_wrapped_configILNS1_25lookback_scan_determinismE0ES3_SB_PS6_NS8_17constant_iteratorIiNS8_11use_defaultESG_EENS8_10device_ptrIS6_EENSI_IlEEPmSA_NS8_8equal_toIS6_EEEE10hipError_tPvRmT2_T3_mT4_T5_T6_T7_T8_P12ihipStream_tbENKUlT_T0_E_clISt17integral_constantIbLb0EES15_EEDaS10_S11_EUlS10_E_NS1_11comp_targetILNS1_3genE0ELNS1_11target_archE4294967295ELNS1_3gpuE0ELNS1_3repE0EEENS1_30default_config_static_selectorELNS0_4arch9wavefront6targetE1EEEvT1_.kd
    .uniform_work_group_size: 1
    .uses_dynamic_stack: false
    .vgpr_count:     0
    .vgpr_spill_count: 0
    .wavefront_size: 64
  - .agpr_count:     0
    .args:
      - .offset:         0
        .size:           144
        .value_kind:     by_value
    .group_segment_fixed_size: 0
    .kernarg_segment_align: 8
    .kernarg_segment_size: 144
    .language:       OpenCL C
    .language_version:
      - 2
      - 0
    .max_flat_workgroup_size: 256
    .name:           _ZN7rocprim17ROCPRIM_400000_NS6detail17trampoline_kernelINS0_14default_configENS1_29reduce_by_key_config_selectorIN3c104HalfElN6thrust23THRUST_200600_302600_NS4plusIlEEEEZZNS1_33reduce_by_key_impl_wrapped_configILNS1_25lookback_scan_determinismE0ES3_SB_PS6_NS8_17constant_iteratorIiNS8_11use_defaultESG_EENS8_10device_ptrIS6_EENSI_IlEEPmSA_NS8_8equal_toIS6_EEEE10hipError_tPvRmT2_T3_mT4_T5_T6_T7_T8_P12ihipStream_tbENKUlT_T0_E_clISt17integral_constantIbLb0EES15_EEDaS10_S11_EUlS10_E_NS1_11comp_targetILNS1_3genE5ELNS1_11target_archE942ELNS1_3gpuE9ELNS1_3repE0EEENS1_30default_config_static_selectorELNS0_4arch9wavefront6targetE1EEEvT1_
    .private_segment_fixed_size: 0
    .sgpr_count:     4
    .sgpr_spill_count: 0
    .symbol:         _ZN7rocprim17ROCPRIM_400000_NS6detail17trampoline_kernelINS0_14default_configENS1_29reduce_by_key_config_selectorIN3c104HalfElN6thrust23THRUST_200600_302600_NS4plusIlEEEEZZNS1_33reduce_by_key_impl_wrapped_configILNS1_25lookback_scan_determinismE0ES3_SB_PS6_NS8_17constant_iteratorIiNS8_11use_defaultESG_EENS8_10device_ptrIS6_EENSI_IlEEPmSA_NS8_8equal_toIS6_EEEE10hipError_tPvRmT2_T3_mT4_T5_T6_T7_T8_P12ihipStream_tbENKUlT_T0_E_clISt17integral_constantIbLb0EES15_EEDaS10_S11_EUlS10_E_NS1_11comp_targetILNS1_3genE5ELNS1_11target_archE942ELNS1_3gpuE9ELNS1_3repE0EEENS1_30default_config_static_selectorELNS0_4arch9wavefront6targetE1EEEvT1_.kd
    .uniform_work_group_size: 1
    .uses_dynamic_stack: false
    .vgpr_count:     0
    .vgpr_spill_count: 0
    .wavefront_size: 64
  - .agpr_count:     0
    .args:
      - .offset:         0
        .size:           144
        .value_kind:     by_value
    .group_segment_fixed_size: 30720
    .kernarg_segment_align: 8
    .kernarg_segment_size: 144
    .language:       OpenCL C
    .language_version:
      - 2
      - 0
    .max_flat_workgroup_size: 256
    .name:           _ZN7rocprim17ROCPRIM_400000_NS6detail17trampoline_kernelINS0_14default_configENS1_29reduce_by_key_config_selectorIN3c104HalfElN6thrust23THRUST_200600_302600_NS4plusIlEEEEZZNS1_33reduce_by_key_impl_wrapped_configILNS1_25lookback_scan_determinismE0ES3_SB_PS6_NS8_17constant_iteratorIiNS8_11use_defaultESG_EENS8_10device_ptrIS6_EENSI_IlEEPmSA_NS8_8equal_toIS6_EEEE10hipError_tPvRmT2_T3_mT4_T5_T6_T7_T8_P12ihipStream_tbENKUlT_T0_E_clISt17integral_constantIbLb0EES15_EEDaS10_S11_EUlS10_E_NS1_11comp_targetILNS1_3genE4ELNS1_11target_archE910ELNS1_3gpuE8ELNS1_3repE0EEENS1_30default_config_static_selectorELNS0_4arch9wavefront6targetE1EEEvT1_
    .private_segment_fixed_size: 0
    .sgpr_count:     68
    .sgpr_spill_count: 0
    .symbol:         _ZN7rocprim17ROCPRIM_400000_NS6detail17trampoline_kernelINS0_14default_configENS1_29reduce_by_key_config_selectorIN3c104HalfElN6thrust23THRUST_200600_302600_NS4plusIlEEEEZZNS1_33reduce_by_key_impl_wrapped_configILNS1_25lookback_scan_determinismE0ES3_SB_PS6_NS8_17constant_iteratorIiNS8_11use_defaultESG_EENS8_10device_ptrIS6_EENSI_IlEEPmSA_NS8_8equal_toIS6_EEEE10hipError_tPvRmT2_T3_mT4_T5_T6_T7_T8_P12ihipStream_tbENKUlT_T0_E_clISt17integral_constantIbLb0EES15_EEDaS10_S11_EUlS10_E_NS1_11comp_targetILNS1_3genE4ELNS1_11target_archE910ELNS1_3gpuE8ELNS1_3repE0EEENS1_30default_config_static_selectorELNS0_4arch9wavefront6targetE1EEEvT1_.kd
    .uniform_work_group_size: 1
    .uses_dynamic_stack: false
    .vgpr_count:     127
    .vgpr_spill_count: 0
    .wavefront_size: 64
  - .agpr_count:     0
    .args:
      - .offset:         0
        .size:           144
        .value_kind:     by_value
    .group_segment_fixed_size: 0
    .kernarg_segment_align: 8
    .kernarg_segment_size: 144
    .language:       OpenCL C
    .language_version:
      - 2
      - 0
    .max_flat_workgroup_size: 256
    .name:           _ZN7rocprim17ROCPRIM_400000_NS6detail17trampoline_kernelINS0_14default_configENS1_29reduce_by_key_config_selectorIN3c104HalfElN6thrust23THRUST_200600_302600_NS4plusIlEEEEZZNS1_33reduce_by_key_impl_wrapped_configILNS1_25lookback_scan_determinismE0ES3_SB_PS6_NS8_17constant_iteratorIiNS8_11use_defaultESG_EENS8_10device_ptrIS6_EENSI_IlEEPmSA_NS8_8equal_toIS6_EEEE10hipError_tPvRmT2_T3_mT4_T5_T6_T7_T8_P12ihipStream_tbENKUlT_T0_E_clISt17integral_constantIbLb0EES15_EEDaS10_S11_EUlS10_E_NS1_11comp_targetILNS1_3genE3ELNS1_11target_archE908ELNS1_3gpuE7ELNS1_3repE0EEENS1_30default_config_static_selectorELNS0_4arch9wavefront6targetE1EEEvT1_
    .private_segment_fixed_size: 0
    .sgpr_count:     4
    .sgpr_spill_count: 0
    .symbol:         _ZN7rocprim17ROCPRIM_400000_NS6detail17trampoline_kernelINS0_14default_configENS1_29reduce_by_key_config_selectorIN3c104HalfElN6thrust23THRUST_200600_302600_NS4plusIlEEEEZZNS1_33reduce_by_key_impl_wrapped_configILNS1_25lookback_scan_determinismE0ES3_SB_PS6_NS8_17constant_iteratorIiNS8_11use_defaultESG_EENS8_10device_ptrIS6_EENSI_IlEEPmSA_NS8_8equal_toIS6_EEEE10hipError_tPvRmT2_T3_mT4_T5_T6_T7_T8_P12ihipStream_tbENKUlT_T0_E_clISt17integral_constantIbLb0EES15_EEDaS10_S11_EUlS10_E_NS1_11comp_targetILNS1_3genE3ELNS1_11target_archE908ELNS1_3gpuE7ELNS1_3repE0EEENS1_30default_config_static_selectorELNS0_4arch9wavefront6targetE1EEEvT1_.kd
    .uniform_work_group_size: 1
    .uses_dynamic_stack: false
    .vgpr_count:     0
    .vgpr_spill_count: 0
    .wavefront_size: 64
  - .agpr_count:     0
    .args:
      - .offset:         0
        .size:           144
        .value_kind:     by_value
    .group_segment_fixed_size: 0
    .kernarg_segment_align: 8
    .kernarg_segment_size: 144
    .language:       OpenCL C
    .language_version:
      - 2
      - 0
    .max_flat_workgroup_size: 256
    .name:           _ZN7rocprim17ROCPRIM_400000_NS6detail17trampoline_kernelINS0_14default_configENS1_29reduce_by_key_config_selectorIN3c104HalfElN6thrust23THRUST_200600_302600_NS4plusIlEEEEZZNS1_33reduce_by_key_impl_wrapped_configILNS1_25lookback_scan_determinismE0ES3_SB_PS6_NS8_17constant_iteratorIiNS8_11use_defaultESG_EENS8_10device_ptrIS6_EENSI_IlEEPmSA_NS8_8equal_toIS6_EEEE10hipError_tPvRmT2_T3_mT4_T5_T6_T7_T8_P12ihipStream_tbENKUlT_T0_E_clISt17integral_constantIbLb0EES15_EEDaS10_S11_EUlS10_E_NS1_11comp_targetILNS1_3genE2ELNS1_11target_archE906ELNS1_3gpuE6ELNS1_3repE0EEENS1_30default_config_static_selectorELNS0_4arch9wavefront6targetE1EEEvT1_
    .private_segment_fixed_size: 0
    .sgpr_count:     4
    .sgpr_spill_count: 0
    .symbol:         _ZN7rocprim17ROCPRIM_400000_NS6detail17trampoline_kernelINS0_14default_configENS1_29reduce_by_key_config_selectorIN3c104HalfElN6thrust23THRUST_200600_302600_NS4plusIlEEEEZZNS1_33reduce_by_key_impl_wrapped_configILNS1_25lookback_scan_determinismE0ES3_SB_PS6_NS8_17constant_iteratorIiNS8_11use_defaultESG_EENS8_10device_ptrIS6_EENSI_IlEEPmSA_NS8_8equal_toIS6_EEEE10hipError_tPvRmT2_T3_mT4_T5_T6_T7_T8_P12ihipStream_tbENKUlT_T0_E_clISt17integral_constantIbLb0EES15_EEDaS10_S11_EUlS10_E_NS1_11comp_targetILNS1_3genE2ELNS1_11target_archE906ELNS1_3gpuE6ELNS1_3repE0EEENS1_30default_config_static_selectorELNS0_4arch9wavefront6targetE1EEEvT1_.kd
    .uniform_work_group_size: 1
    .uses_dynamic_stack: false
    .vgpr_count:     0
    .vgpr_spill_count: 0
    .wavefront_size: 64
  - .agpr_count:     0
    .args:
      - .offset:         0
        .size:           144
        .value_kind:     by_value
    .group_segment_fixed_size: 0
    .kernarg_segment_align: 8
    .kernarg_segment_size: 144
    .language:       OpenCL C
    .language_version:
      - 2
      - 0
    .max_flat_workgroup_size: 256
    .name:           _ZN7rocprim17ROCPRIM_400000_NS6detail17trampoline_kernelINS0_14default_configENS1_29reduce_by_key_config_selectorIN3c104HalfElN6thrust23THRUST_200600_302600_NS4plusIlEEEEZZNS1_33reduce_by_key_impl_wrapped_configILNS1_25lookback_scan_determinismE0ES3_SB_PS6_NS8_17constant_iteratorIiNS8_11use_defaultESG_EENS8_10device_ptrIS6_EENSI_IlEEPmSA_NS8_8equal_toIS6_EEEE10hipError_tPvRmT2_T3_mT4_T5_T6_T7_T8_P12ihipStream_tbENKUlT_T0_E_clISt17integral_constantIbLb0EES15_EEDaS10_S11_EUlS10_E_NS1_11comp_targetILNS1_3genE10ELNS1_11target_archE1201ELNS1_3gpuE5ELNS1_3repE0EEENS1_30default_config_static_selectorELNS0_4arch9wavefront6targetE1EEEvT1_
    .private_segment_fixed_size: 0
    .sgpr_count:     4
    .sgpr_spill_count: 0
    .symbol:         _ZN7rocprim17ROCPRIM_400000_NS6detail17trampoline_kernelINS0_14default_configENS1_29reduce_by_key_config_selectorIN3c104HalfElN6thrust23THRUST_200600_302600_NS4plusIlEEEEZZNS1_33reduce_by_key_impl_wrapped_configILNS1_25lookback_scan_determinismE0ES3_SB_PS6_NS8_17constant_iteratorIiNS8_11use_defaultESG_EENS8_10device_ptrIS6_EENSI_IlEEPmSA_NS8_8equal_toIS6_EEEE10hipError_tPvRmT2_T3_mT4_T5_T6_T7_T8_P12ihipStream_tbENKUlT_T0_E_clISt17integral_constantIbLb0EES15_EEDaS10_S11_EUlS10_E_NS1_11comp_targetILNS1_3genE10ELNS1_11target_archE1201ELNS1_3gpuE5ELNS1_3repE0EEENS1_30default_config_static_selectorELNS0_4arch9wavefront6targetE1EEEvT1_.kd
    .uniform_work_group_size: 1
    .uses_dynamic_stack: false
    .vgpr_count:     0
    .vgpr_spill_count: 0
    .wavefront_size: 64
  - .agpr_count:     0
    .args:
      - .offset:         0
        .size:           144
        .value_kind:     by_value
    .group_segment_fixed_size: 0
    .kernarg_segment_align: 8
    .kernarg_segment_size: 144
    .language:       OpenCL C
    .language_version:
      - 2
      - 0
    .max_flat_workgroup_size: 256
    .name:           _ZN7rocprim17ROCPRIM_400000_NS6detail17trampoline_kernelINS0_14default_configENS1_29reduce_by_key_config_selectorIN3c104HalfElN6thrust23THRUST_200600_302600_NS4plusIlEEEEZZNS1_33reduce_by_key_impl_wrapped_configILNS1_25lookback_scan_determinismE0ES3_SB_PS6_NS8_17constant_iteratorIiNS8_11use_defaultESG_EENS8_10device_ptrIS6_EENSI_IlEEPmSA_NS8_8equal_toIS6_EEEE10hipError_tPvRmT2_T3_mT4_T5_T6_T7_T8_P12ihipStream_tbENKUlT_T0_E_clISt17integral_constantIbLb0EES15_EEDaS10_S11_EUlS10_E_NS1_11comp_targetILNS1_3genE10ELNS1_11target_archE1200ELNS1_3gpuE4ELNS1_3repE0EEENS1_30default_config_static_selectorELNS0_4arch9wavefront6targetE1EEEvT1_
    .private_segment_fixed_size: 0
    .sgpr_count:     4
    .sgpr_spill_count: 0
    .symbol:         _ZN7rocprim17ROCPRIM_400000_NS6detail17trampoline_kernelINS0_14default_configENS1_29reduce_by_key_config_selectorIN3c104HalfElN6thrust23THRUST_200600_302600_NS4plusIlEEEEZZNS1_33reduce_by_key_impl_wrapped_configILNS1_25lookback_scan_determinismE0ES3_SB_PS6_NS8_17constant_iteratorIiNS8_11use_defaultESG_EENS8_10device_ptrIS6_EENSI_IlEEPmSA_NS8_8equal_toIS6_EEEE10hipError_tPvRmT2_T3_mT4_T5_T6_T7_T8_P12ihipStream_tbENKUlT_T0_E_clISt17integral_constantIbLb0EES15_EEDaS10_S11_EUlS10_E_NS1_11comp_targetILNS1_3genE10ELNS1_11target_archE1200ELNS1_3gpuE4ELNS1_3repE0EEENS1_30default_config_static_selectorELNS0_4arch9wavefront6targetE1EEEvT1_.kd
    .uniform_work_group_size: 1
    .uses_dynamic_stack: false
    .vgpr_count:     0
    .vgpr_spill_count: 0
    .wavefront_size: 64
  - .agpr_count:     0
    .args:
      - .offset:         0
        .size:           144
        .value_kind:     by_value
    .group_segment_fixed_size: 0
    .kernarg_segment_align: 8
    .kernarg_segment_size: 144
    .language:       OpenCL C
    .language_version:
      - 2
      - 0
    .max_flat_workgroup_size: 256
    .name:           _ZN7rocprim17ROCPRIM_400000_NS6detail17trampoline_kernelINS0_14default_configENS1_29reduce_by_key_config_selectorIN3c104HalfElN6thrust23THRUST_200600_302600_NS4plusIlEEEEZZNS1_33reduce_by_key_impl_wrapped_configILNS1_25lookback_scan_determinismE0ES3_SB_PS6_NS8_17constant_iteratorIiNS8_11use_defaultESG_EENS8_10device_ptrIS6_EENSI_IlEEPmSA_NS8_8equal_toIS6_EEEE10hipError_tPvRmT2_T3_mT4_T5_T6_T7_T8_P12ihipStream_tbENKUlT_T0_E_clISt17integral_constantIbLb0EES15_EEDaS10_S11_EUlS10_E_NS1_11comp_targetILNS1_3genE9ELNS1_11target_archE1100ELNS1_3gpuE3ELNS1_3repE0EEENS1_30default_config_static_selectorELNS0_4arch9wavefront6targetE1EEEvT1_
    .private_segment_fixed_size: 0
    .sgpr_count:     4
    .sgpr_spill_count: 0
    .symbol:         _ZN7rocprim17ROCPRIM_400000_NS6detail17trampoline_kernelINS0_14default_configENS1_29reduce_by_key_config_selectorIN3c104HalfElN6thrust23THRUST_200600_302600_NS4plusIlEEEEZZNS1_33reduce_by_key_impl_wrapped_configILNS1_25lookback_scan_determinismE0ES3_SB_PS6_NS8_17constant_iteratorIiNS8_11use_defaultESG_EENS8_10device_ptrIS6_EENSI_IlEEPmSA_NS8_8equal_toIS6_EEEE10hipError_tPvRmT2_T3_mT4_T5_T6_T7_T8_P12ihipStream_tbENKUlT_T0_E_clISt17integral_constantIbLb0EES15_EEDaS10_S11_EUlS10_E_NS1_11comp_targetILNS1_3genE9ELNS1_11target_archE1100ELNS1_3gpuE3ELNS1_3repE0EEENS1_30default_config_static_selectorELNS0_4arch9wavefront6targetE1EEEvT1_.kd
    .uniform_work_group_size: 1
    .uses_dynamic_stack: false
    .vgpr_count:     0
    .vgpr_spill_count: 0
    .wavefront_size: 64
  - .agpr_count:     0
    .args:
      - .offset:         0
        .size:           144
        .value_kind:     by_value
    .group_segment_fixed_size: 0
    .kernarg_segment_align: 8
    .kernarg_segment_size: 144
    .language:       OpenCL C
    .language_version:
      - 2
      - 0
    .max_flat_workgroup_size: 256
    .name:           _ZN7rocprim17ROCPRIM_400000_NS6detail17trampoline_kernelINS0_14default_configENS1_29reduce_by_key_config_selectorIN3c104HalfElN6thrust23THRUST_200600_302600_NS4plusIlEEEEZZNS1_33reduce_by_key_impl_wrapped_configILNS1_25lookback_scan_determinismE0ES3_SB_PS6_NS8_17constant_iteratorIiNS8_11use_defaultESG_EENS8_10device_ptrIS6_EENSI_IlEEPmSA_NS8_8equal_toIS6_EEEE10hipError_tPvRmT2_T3_mT4_T5_T6_T7_T8_P12ihipStream_tbENKUlT_T0_E_clISt17integral_constantIbLb0EES15_EEDaS10_S11_EUlS10_E_NS1_11comp_targetILNS1_3genE8ELNS1_11target_archE1030ELNS1_3gpuE2ELNS1_3repE0EEENS1_30default_config_static_selectorELNS0_4arch9wavefront6targetE1EEEvT1_
    .private_segment_fixed_size: 0
    .sgpr_count:     4
    .sgpr_spill_count: 0
    .symbol:         _ZN7rocprim17ROCPRIM_400000_NS6detail17trampoline_kernelINS0_14default_configENS1_29reduce_by_key_config_selectorIN3c104HalfElN6thrust23THRUST_200600_302600_NS4plusIlEEEEZZNS1_33reduce_by_key_impl_wrapped_configILNS1_25lookback_scan_determinismE0ES3_SB_PS6_NS8_17constant_iteratorIiNS8_11use_defaultESG_EENS8_10device_ptrIS6_EENSI_IlEEPmSA_NS8_8equal_toIS6_EEEE10hipError_tPvRmT2_T3_mT4_T5_T6_T7_T8_P12ihipStream_tbENKUlT_T0_E_clISt17integral_constantIbLb0EES15_EEDaS10_S11_EUlS10_E_NS1_11comp_targetILNS1_3genE8ELNS1_11target_archE1030ELNS1_3gpuE2ELNS1_3repE0EEENS1_30default_config_static_selectorELNS0_4arch9wavefront6targetE1EEEvT1_.kd
    .uniform_work_group_size: 1
    .uses_dynamic_stack: false
    .vgpr_count:     0
    .vgpr_spill_count: 0
    .wavefront_size: 64
  - .agpr_count:     0
    .args:
      - .offset:         0
        .size:           144
        .value_kind:     by_value
    .group_segment_fixed_size: 0
    .kernarg_segment_align: 8
    .kernarg_segment_size: 144
    .language:       OpenCL C
    .language_version:
      - 2
      - 0
    .max_flat_workgroup_size: 256
    .name:           _ZN7rocprim17ROCPRIM_400000_NS6detail17trampoline_kernelINS0_14default_configENS1_29reduce_by_key_config_selectorIN3c104HalfElN6thrust23THRUST_200600_302600_NS4plusIlEEEEZZNS1_33reduce_by_key_impl_wrapped_configILNS1_25lookback_scan_determinismE0ES3_SB_PS6_NS8_17constant_iteratorIiNS8_11use_defaultESG_EENS8_10device_ptrIS6_EENSI_IlEEPmSA_NS8_8equal_toIS6_EEEE10hipError_tPvRmT2_T3_mT4_T5_T6_T7_T8_P12ihipStream_tbENKUlT_T0_E_clISt17integral_constantIbLb1EES15_EEDaS10_S11_EUlS10_E_NS1_11comp_targetILNS1_3genE0ELNS1_11target_archE4294967295ELNS1_3gpuE0ELNS1_3repE0EEENS1_30default_config_static_selectorELNS0_4arch9wavefront6targetE1EEEvT1_
    .private_segment_fixed_size: 0
    .sgpr_count:     4
    .sgpr_spill_count: 0
    .symbol:         _ZN7rocprim17ROCPRIM_400000_NS6detail17trampoline_kernelINS0_14default_configENS1_29reduce_by_key_config_selectorIN3c104HalfElN6thrust23THRUST_200600_302600_NS4plusIlEEEEZZNS1_33reduce_by_key_impl_wrapped_configILNS1_25lookback_scan_determinismE0ES3_SB_PS6_NS8_17constant_iteratorIiNS8_11use_defaultESG_EENS8_10device_ptrIS6_EENSI_IlEEPmSA_NS8_8equal_toIS6_EEEE10hipError_tPvRmT2_T3_mT4_T5_T6_T7_T8_P12ihipStream_tbENKUlT_T0_E_clISt17integral_constantIbLb1EES15_EEDaS10_S11_EUlS10_E_NS1_11comp_targetILNS1_3genE0ELNS1_11target_archE4294967295ELNS1_3gpuE0ELNS1_3repE0EEENS1_30default_config_static_selectorELNS0_4arch9wavefront6targetE1EEEvT1_.kd
    .uniform_work_group_size: 1
    .uses_dynamic_stack: false
    .vgpr_count:     0
    .vgpr_spill_count: 0
    .wavefront_size: 64
  - .agpr_count:     0
    .args:
      - .offset:         0
        .size:           144
        .value_kind:     by_value
    .group_segment_fixed_size: 0
    .kernarg_segment_align: 8
    .kernarg_segment_size: 144
    .language:       OpenCL C
    .language_version:
      - 2
      - 0
    .max_flat_workgroup_size: 256
    .name:           _ZN7rocprim17ROCPRIM_400000_NS6detail17trampoline_kernelINS0_14default_configENS1_29reduce_by_key_config_selectorIN3c104HalfElN6thrust23THRUST_200600_302600_NS4plusIlEEEEZZNS1_33reduce_by_key_impl_wrapped_configILNS1_25lookback_scan_determinismE0ES3_SB_PS6_NS8_17constant_iteratorIiNS8_11use_defaultESG_EENS8_10device_ptrIS6_EENSI_IlEEPmSA_NS8_8equal_toIS6_EEEE10hipError_tPvRmT2_T3_mT4_T5_T6_T7_T8_P12ihipStream_tbENKUlT_T0_E_clISt17integral_constantIbLb1EES15_EEDaS10_S11_EUlS10_E_NS1_11comp_targetILNS1_3genE5ELNS1_11target_archE942ELNS1_3gpuE9ELNS1_3repE0EEENS1_30default_config_static_selectorELNS0_4arch9wavefront6targetE1EEEvT1_
    .private_segment_fixed_size: 0
    .sgpr_count:     4
    .sgpr_spill_count: 0
    .symbol:         _ZN7rocprim17ROCPRIM_400000_NS6detail17trampoline_kernelINS0_14default_configENS1_29reduce_by_key_config_selectorIN3c104HalfElN6thrust23THRUST_200600_302600_NS4plusIlEEEEZZNS1_33reduce_by_key_impl_wrapped_configILNS1_25lookback_scan_determinismE0ES3_SB_PS6_NS8_17constant_iteratorIiNS8_11use_defaultESG_EENS8_10device_ptrIS6_EENSI_IlEEPmSA_NS8_8equal_toIS6_EEEE10hipError_tPvRmT2_T3_mT4_T5_T6_T7_T8_P12ihipStream_tbENKUlT_T0_E_clISt17integral_constantIbLb1EES15_EEDaS10_S11_EUlS10_E_NS1_11comp_targetILNS1_3genE5ELNS1_11target_archE942ELNS1_3gpuE9ELNS1_3repE0EEENS1_30default_config_static_selectorELNS0_4arch9wavefront6targetE1EEEvT1_.kd
    .uniform_work_group_size: 1
    .uses_dynamic_stack: false
    .vgpr_count:     0
    .vgpr_spill_count: 0
    .wavefront_size: 64
  - .agpr_count:     0
    .args:
      - .offset:         0
        .size:           144
        .value_kind:     by_value
    .group_segment_fixed_size: 30720
    .kernarg_segment_align: 8
    .kernarg_segment_size: 144
    .language:       OpenCL C
    .language_version:
      - 2
      - 0
    .max_flat_workgroup_size: 256
    .name:           _ZN7rocprim17ROCPRIM_400000_NS6detail17trampoline_kernelINS0_14default_configENS1_29reduce_by_key_config_selectorIN3c104HalfElN6thrust23THRUST_200600_302600_NS4plusIlEEEEZZNS1_33reduce_by_key_impl_wrapped_configILNS1_25lookback_scan_determinismE0ES3_SB_PS6_NS8_17constant_iteratorIiNS8_11use_defaultESG_EENS8_10device_ptrIS6_EENSI_IlEEPmSA_NS8_8equal_toIS6_EEEE10hipError_tPvRmT2_T3_mT4_T5_T6_T7_T8_P12ihipStream_tbENKUlT_T0_E_clISt17integral_constantIbLb1EES15_EEDaS10_S11_EUlS10_E_NS1_11comp_targetILNS1_3genE4ELNS1_11target_archE910ELNS1_3gpuE8ELNS1_3repE0EEENS1_30default_config_static_selectorELNS0_4arch9wavefront6targetE1EEEvT1_
    .private_segment_fixed_size: 0
    .sgpr_count:     70
    .sgpr_spill_count: 0
    .symbol:         _ZN7rocprim17ROCPRIM_400000_NS6detail17trampoline_kernelINS0_14default_configENS1_29reduce_by_key_config_selectorIN3c104HalfElN6thrust23THRUST_200600_302600_NS4plusIlEEEEZZNS1_33reduce_by_key_impl_wrapped_configILNS1_25lookback_scan_determinismE0ES3_SB_PS6_NS8_17constant_iteratorIiNS8_11use_defaultESG_EENS8_10device_ptrIS6_EENSI_IlEEPmSA_NS8_8equal_toIS6_EEEE10hipError_tPvRmT2_T3_mT4_T5_T6_T7_T8_P12ihipStream_tbENKUlT_T0_E_clISt17integral_constantIbLb1EES15_EEDaS10_S11_EUlS10_E_NS1_11comp_targetILNS1_3genE4ELNS1_11target_archE910ELNS1_3gpuE8ELNS1_3repE0EEENS1_30default_config_static_selectorELNS0_4arch9wavefront6targetE1EEEvT1_.kd
    .uniform_work_group_size: 1
    .uses_dynamic_stack: false
    .vgpr_count:     127
    .vgpr_spill_count: 0
    .wavefront_size: 64
  - .agpr_count:     0
    .args:
      - .offset:         0
        .size:           144
        .value_kind:     by_value
    .group_segment_fixed_size: 0
    .kernarg_segment_align: 8
    .kernarg_segment_size: 144
    .language:       OpenCL C
    .language_version:
      - 2
      - 0
    .max_flat_workgroup_size: 256
    .name:           _ZN7rocprim17ROCPRIM_400000_NS6detail17trampoline_kernelINS0_14default_configENS1_29reduce_by_key_config_selectorIN3c104HalfElN6thrust23THRUST_200600_302600_NS4plusIlEEEEZZNS1_33reduce_by_key_impl_wrapped_configILNS1_25lookback_scan_determinismE0ES3_SB_PS6_NS8_17constant_iteratorIiNS8_11use_defaultESG_EENS8_10device_ptrIS6_EENSI_IlEEPmSA_NS8_8equal_toIS6_EEEE10hipError_tPvRmT2_T3_mT4_T5_T6_T7_T8_P12ihipStream_tbENKUlT_T0_E_clISt17integral_constantIbLb1EES15_EEDaS10_S11_EUlS10_E_NS1_11comp_targetILNS1_3genE3ELNS1_11target_archE908ELNS1_3gpuE7ELNS1_3repE0EEENS1_30default_config_static_selectorELNS0_4arch9wavefront6targetE1EEEvT1_
    .private_segment_fixed_size: 0
    .sgpr_count:     4
    .sgpr_spill_count: 0
    .symbol:         _ZN7rocprim17ROCPRIM_400000_NS6detail17trampoline_kernelINS0_14default_configENS1_29reduce_by_key_config_selectorIN3c104HalfElN6thrust23THRUST_200600_302600_NS4plusIlEEEEZZNS1_33reduce_by_key_impl_wrapped_configILNS1_25lookback_scan_determinismE0ES3_SB_PS6_NS8_17constant_iteratorIiNS8_11use_defaultESG_EENS8_10device_ptrIS6_EENSI_IlEEPmSA_NS8_8equal_toIS6_EEEE10hipError_tPvRmT2_T3_mT4_T5_T6_T7_T8_P12ihipStream_tbENKUlT_T0_E_clISt17integral_constantIbLb1EES15_EEDaS10_S11_EUlS10_E_NS1_11comp_targetILNS1_3genE3ELNS1_11target_archE908ELNS1_3gpuE7ELNS1_3repE0EEENS1_30default_config_static_selectorELNS0_4arch9wavefront6targetE1EEEvT1_.kd
    .uniform_work_group_size: 1
    .uses_dynamic_stack: false
    .vgpr_count:     0
    .vgpr_spill_count: 0
    .wavefront_size: 64
  - .agpr_count:     0
    .args:
      - .offset:         0
        .size:           144
        .value_kind:     by_value
    .group_segment_fixed_size: 0
    .kernarg_segment_align: 8
    .kernarg_segment_size: 144
    .language:       OpenCL C
    .language_version:
      - 2
      - 0
    .max_flat_workgroup_size: 256
    .name:           _ZN7rocprim17ROCPRIM_400000_NS6detail17trampoline_kernelINS0_14default_configENS1_29reduce_by_key_config_selectorIN3c104HalfElN6thrust23THRUST_200600_302600_NS4plusIlEEEEZZNS1_33reduce_by_key_impl_wrapped_configILNS1_25lookback_scan_determinismE0ES3_SB_PS6_NS8_17constant_iteratorIiNS8_11use_defaultESG_EENS8_10device_ptrIS6_EENSI_IlEEPmSA_NS8_8equal_toIS6_EEEE10hipError_tPvRmT2_T3_mT4_T5_T6_T7_T8_P12ihipStream_tbENKUlT_T0_E_clISt17integral_constantIbLb1EES15_EEDaS10_S11_EUlS10_E_NS1_11comp_targetILNS1_3genE2ELNS1_11target_archE906ELNS1_3gpuE6ELNS1_3repE0EEENS1_30default_config_static_selectorELNS0_4arch9wavefront6targetE1EEEvT1_
    .private_segment_fixed_size: 0
    .sgpr_count:     4
    .sgpr_spill_count: 0
    .symbol:         _ZN7rocprim17ROCPRIM_400000_NS6detail17trampoline_kernelINS0_14default_configENS1_29reduce_by_key_config_selectorIN3c104HalfElN6thrust23THRUST_200600_302600_NS4plusIlEEEEZZNS1_33reduce_by_key_impl_wrapped_configILNS1_25lookback_scan_determinismE0ES3_SB_PS6_NS8_17constant_iteratorIiNS8_11use_defaultESG_EENS8_10device_ptrIS6_EENSI_IlEEPmSA_NS8_8equal_toIS6_EEEE10hipError_tPvRmT2_T3_mT4_T5_T6_T7_T8_P12ihipStream_tbENKUlT_T0_E_clISt17integral_constantIbLb1EES15_EEDaS10_S11_EUlS10_E_NS1_11comp_targetILNS1_3genE2ELNS1_11target_archE906ELNS1_3gpuE6ELNS1_3repE0EEENS1_30default_config_static_selectorELNS0_4arch9wavefront6targetE1EEEvT1_.kd
    .uniform_work_group_size: 1
    .uses_dynamic_stack: false
    .vgpr_count:     0
    .vgpr_spill_count: 0
    .wavefront_size: 64
  - .agpr_count:     0
    .args:
      - .offset:         0
        .size:           144
        .value_kind:     by_value
    .group_segment_fixed_size: 0
    .kernarg_segment_align: 8
    .kernarg_segment_size: 144
    .language:       OpenCL C
    .language_version:
      - 2
      - 0
    .max_flat_workgroup_size: 256
    .name:           _ZN7rocprim17ROCPRIM_400000_NS6detail17trampoline_kernelINS0_14default_configENS1_29reduce_by_key_config_selectorIN3c104HalfElN6thrust23THRUST_200600_302600_NS4plusIlEEEEZZNS1_33reduce_by_key_impl_wrapped_configILNS1_25lookback_scan_determinismE0ES3_SB_PS6_NS8_17constant_iteratorIiNS8_11use_defaultESG_EENS8_10device_ptrIS6_EENSI_IlEEPmSA_NS8_8equal_toIS6_EEEE10hipError_tPvRmT2_T3_mT4_T5_T6_T7_T8_P12ihipStream_tbENKUlT_T0_E_clISt17integral_constantIbLb1EES15_EEDaS10_S11_EUlS10_E_NS1_11comp_targetILNS1_3genE10ELNS1_11target_archE1201ELNS1_3gpuE5ELNS1_3repE0EEENS1_30default_config_static_selectorELNS0_4arch9wavefront6targetE1EEEvT1_
    .private_segment_fixed_size: 0
    .sgpr_count:     4
    .sgpr_spill_count: 0
    .symbol:         _ZN7rocprim17ROCPRIM_400000_NS6detail17trampoline_kernelINS0_14default_configENS1_29reduce_by_key_config_selectorIN3c104HalfElN6thrust23THRUST_200600_302600_NS4plusIlEEEEZZNS1_33reduce_by_key_impl_wrapped_configILNS1_25lookback_scan_determinismE0ES3_SB_PS6_NS8_17constant_iteratorIiNS8_11use_defaultESG_EENS8_10device_ptrIS6_EENSI_IlEEPmSA_NS8_8equal_toIS6_EEEE10hipError_tPvRmT2_T3_mT4_T5_T6_T7_T8_P12ihipStream_tbENKUlT_T0_E_clISt17integral_constantIbLb1EES15_EEDaS10_S11_EUlS10_E_NS1_11comp_targetILNS1_3genE10ELNS1_11target_archE1201ELNS1_3gpuE5ELNS1_3repE0EEENS1_30default_config_static_selectorELNS0_4arch9wavefront6targetE1EEEvT1_.kd
    .uniform_work_group_size: 1
    .uses_dynamic_stack: false
    .vgpr_count:     0
    .vgpr_spill_count: 0
    .wavefront_size: 64
  - .agpr_count:     0
    .args:
      - .offset:         0
        .size:           144
        .value_kind:     by_value
    .group_segment_fixed_size: 0
    .kernarg_segment_align: 8
    .kernarg_segment_size: 144
    .language:       OpenCL C
    .language_version:
      - 2
      - 0
    .max_flat_workgroup_size: 256
    .name:           _ZN7rocprim17ROCPRIM_400000_NS6detail17trampoline_kernelINS0_14default_configENS1_29reduce_by_key_config_selectorIN3c104HalfElN6thrust23THRUST_200600_302600_NS4plusIlEEEEZZNS1_33reduce_by_key_impl_wrapped_configILNS1_25lookback_scan_determinismE0ES3_SB_PS6_NS8_17constant_iteratorIiNS8_11use_defaultESG_EENS8_10device_ptrIS6_EENSI_IlEEPmSA_NS8_8equal_toIS6_EEEE10hipError_tPvRmT2_T3_mT4_T5_T6_T7_T8_P12ihipStream_tbENKUlT_T0_E_clISt17integral_constantIbLb1EES15_EEDaS10_S11_EUlS10_E_NS1_11comp_targetILNS1_3genE10ELNS1_11target_archE1200ELNS1_3gpuE4ELNS1_3repE0EEENS1_30default_config_static_selectorELNS0_4arch9wavefront6targetE1EEEvT1_
    .private_segment_fixed_size: 0
    .sgpr_count:     4
    .sgpr_spill_count: 0
    .symbol:         _ZN7rocprim17ROCPRIM_400000_NS6detail17trampoline_kernelINS0_14default_configENS1_29reduce_by_key_config_selectorIN3c104HalfElN6thrust23THRUST_200600_302600_NS4plusIlEEEEZZNS1_33reduce_by_key_impl_wrapped_configILNS1_25lookback_scan_determinismE0ES3_SB_PS6_NS8_17constant_iteratorIiNS8_11use_defaultESG_EENS8_10device_ptrIS6_EENSI_IlEEPmSA_NS8_8equal_toIS6_EEEE10hipError_tPvRmT2_T3_mT4_T5_T6_T7_T8_P12ihipStream_tbENKUlT_T0_E_clISt17integral_constantIbLb1EES15_EEDaS10_S11_EUlS10_E_NS1_11comp_targetILNS1_3genE10ELNS1_11target_archE1200ELNS1_3gpuE4ELNS1_3repE0EEENS1_30default_config_static_selectorELNS0_4arch9wavefront6targetE1EEEvT1_.kd
    .uniform_work_group_size: 1
    .uses_dynamic_stack: false
    .vgpr_count:     0
    .vgpr_spill_count: 0
    .wavefront_size: 64
  - .agpr_count:     0
    .args:
      - .offset:         0
        .size:           144
        .value_kind:     by_value
    .group_segment_fixed_size: 0
    .kernarg_segment_align: 8
    .kernarg_segment_size: 144
    .language:       OpenCL C
    .language_version:
      - 2
      - 0
    .max_flat_workgroup_size: 256
    .name:           _ZN7rocprim17ROCPRIM_400000_NS6detail17trampoline_kernelINS0_14default_configENS1_29reduce_by_key_config_selectorIN3c104HalfElN6thrust23THRUST_200600_302600_NS4plusIlEEEEZZNS1_33reduce_by_key_impl_wrapped_configILNS1_25lookback_scan_determinismE0ES3_SB_PS6_NS8_17constant_iteratorIiNS8_11use_defaultESG_EENS8_10device_ptrIS6_EENSI_IlEEPmSA_NS8_8equal_toIS6_EEEE10hipError_tPvRmT2_T3_mT4_T5_T6_T7_T8_P12ihipStream_tbENKUlT_T0_E_clISt17integral_constantIbLb1EES15_EEDaS10_S11_EUlS10_E_NS1_11comp_targetILNS1_3genE9ELNS1_11target_archE1100ELNS1_3gpuE3ELNS1_3repE0EEENS1_30default_config_static_selectorELNS0_4arch9wavefront6targetE1EEEvT1_
    .private_segment_fixed_size: 0
    .sgpr_count:     4
    .sgpr_spill_count: 0
    .symbol:         _ZN7rocprim17ROCPRIM_400000_NS6detail17trampoline_kernelINS0_14default_configENS1_29reduce_by_key_config_selectorIN3c104HalfElN6thrust23THRUST_200600_302600_NS4plusIlEEEEZZNS1_33reduce_by_key_impl_wrapped_configILNS1_25lookback_scan_determinismE0ES3_SB_PS6_NS8_17constant_iteratorIiNS8_11use_defaultESG_EENS8_10device_ptrIS6_EENSI_IlEEPmSA_NS8_8equal_toIS6_EEEE10hipError_tPvRmT2_T3_mT4_T5_T6_T7_T8_P12ihipStream_tbENKUlT_T0_E_clISt17integral_constantIbLb1EES15_EEDaS10_S11_EUlS10_E_NS1_11comp_targetILNS1_3genE9ELNS1_11target_archE1100ELNS1_3gpuE3ELNS1_3repE0EEENS1_30default_config_static_selectorELNS0_4arch9wavefront6targetE1EEEvT1_.kd
    .uniform_work_group_size: 1
    .uses_dynamic_stack: false
    .vgpr_count:     0
    .vgpr_spill_count: 0
    .wavefront_size: 64
  - .agpr_count:     0
    .args:
      - .offset:         0
        .size:           144
        .value_kind:     by_value
    .group_segment_fixed_size: 0
    .kernarg_segment_align: 8
    .kernarg_segment_size: 144
    .language:       OpenCL C
    .language_version:
      - 2
      - 0
    .max_flat_workgroup_size: 256
    .name:           _ZN7rocprim17ROCPRIM_400000_NS6detail17trampoline_kernelINS0_14default_configENS1_29reduce_by_key_config_selectorIN3c104HalfElN6thrust23THRUST_200600_302600_NS4plusIlEEEEZZNS1_33reduce_by_key_impl_wrapped_configILNS1_25lookback_scan_determinismE0ES3_SB_PS6_NS8_17constant_iteratorIiNS8_11use_defaultESG_EENS8_10device_ptrIS6_EENSI_IlEEPmSA_NS8_8equal_toIS6_EEEE10hipError_tPvRmT2_T3_mT4_T5_T6_T7_T8_P12ihipStream_tbENKUlT_T0_E_clISt17integral_constantIbLb1EES15_EEDaS10_S11_EUlS10_E_NS1_11comp_targetILNS1_3genE8ELNS1_11target_archE1030ELNS1_3gpuE2ELNS1_3repE0EEENS1_30default_config_static_selectorELNS0_4arch9wavefront6targetE1EEEvT1_
    .private_segment_fixed_size: 0
    .sgpr_count:     4
    .sgpr_spill_count: 0
    .symbol:         _ZN7rocprim17ROCPRIM_400000_NS6detail17trampoline_kernelINS0_14default_configENS1_29reduce_by_key_config_selectorIN3c104HalfElN6thrust23THRUST_200600_302600_NS4plusIlEEEEZZNS1_33reduce_by_key_impl_wrapped_configILNS1_25lookback_scan_determinismE0ES3_SB_PS6_NS8_17constant_iteratorIiNS8_11use_defaultESG_EENS8_10device_ptrIS6_EENSI_IlEEPmSA_NS8_8equal_toIS6_EEEE10hipError_tPvRmT2_T3_mT4_T5_T6_T7_T8_P12ihipStream_tbENKUlT_T0_E_clISt17integral_constantIbLb1EES15_EEDaS10_S11_EUlS10_E_NS1_11comp_targetILNS1_3genE8ELNS1_11target_archE1030ELNS1_3gpuE2ELNS1_3repE0EEENS1_30default_config_static_selectorELNS0_4arch9wavefront6targetE1EEEvT1_.kd
    .uniform_work_group_size: 1
    .uses_dynamic_stack: false
    .vgpr_count:     0
    .vgpr_spill_count: 0
    .wavefront_size: 64
  - .agpr_count:     0
    .args:
      - .offset:         0
        .size:           144
        .value_kind:     by_value
    .group_segment_fixed_size: 0
    .kernarg_segment_align: 8
    .kernarg_segment_size: 144
    .language:       OpenCL C
    .language_version:
      - 2
      - 0
    .max_flat_workgroup_size: 256
    .name:           _ZN7rocprim17ROCPRIM_400000_NS6detail17trampoline_kernelINS0_14default_configENS1_29reduce_by_key_config_selectorIN3c104HalfElN6thrust23THRUST_200600_302600_NS4plusIlEEEEZZNS1_33reduce_by_key_impl_wrapped_configILNS1_25lookback_scan_determinismE0ES3_SB_PS6_NS8_17constant_iteratorIiNS8_11use_defaultESG_EENS8_10device_ptrIS6_EENSI_IlEEPmSA_NS8_8equal_toIS6_EEEE10hipError_tPvRmT2_T3_mT4_T5_T6_T7_T8_P12ihipStream_tbENKUlT_T0_E_clISt17integral_constantIbLb1EES14_IbLb0EEEEDaS10_S11_EUlS10_E_NS1_11comp_targetILNS1_3genE0ELNS1_11target_archE4294967295ELNS1_3gpuE0ELNS1_3repE0EEENS1_30default_config_static_selectorELNS0_4arch9wavefront6targetE1EEEvT1_
    .private_segment_fixed_size: 0
    .sgpr_count:     4
    .sgpr_spill_count: 0
    .symbol:         _ZN7rocprim17ROCPRIM_400000_NS6detail17trampoline_kernelINS0_14default_configENS1_29reduce_by_key_config_selectorIN3c104HalfElN6thrust23THRUST_200600_302600_NS4plusIlEEEEZZNS1_33reduce_by_key_impl_wrapped_configILNS1_25lookback_scan_determinismE0ES3_SB_PS6_NS8_17constant_iteratorIiNS8_11use_defaultESG_EENS8_10device_ptrIS6_EENSI_IlEEPmSA_NS8_8equal_toIS6_EEEE10hipError_tPvRmT2_T3_mT4_T5_T6_T7_T8_P12ihipStream_tbENKUlT_T0_E_clISt17integral_constantIbLb1EES14_IbLb0EEEEDaS10_S11_EUlS10_E_NS1_11comp_targetILNS1_3genE0ELNS1_11target_archE4294967295ELNS1_3gpuE0ELNS1_3repE0EEENS1_30default_config_static_selectorELNS0_4arch9wavefront6targetE1EEEvT1_.kd
    .uniform_work_group_size: 1
    .uses_dynamic_stack: false
    .vgpr_count:     0
    .vgpr_spill_count: 0
    .wavefront_size: 64
  - .agpr_count:     0
    .args:
      - .offset:         0
        .size:           144
        .value_kind:     by_value
    .group_segment_fixed_size: 0
    .kernarg_segment_align: 8
    .kernarg_segment_size: 144
    .language:       OpenCL C
    .language_version:
      - 2
      - 0
    .max_flat_workgroup_size: 256
    .name:           _ZN7rocprim17ROCPRIM_400000_NS6detail17trampoline_kernelINS0_14default_configENS1_29reduce_by_key_config_selectorIN3c104HalfElN6thrust23THRUST_200600_302600_NS4plusIlEEEEZZNS1_33reduce_by_key_impl_wrapped_configILNS1_25lookback_scan_determinismE0ES3_SB_PS6_NS8_17constant_iteratorIiNS8_11use_defaultESG_EENS8_10device_ptrIS6_EENSI_IlEEPmSA_NS8_8equal_toIS6_EEEE10hipError_tPvRmT2_T3_mT4_T5_T6_T7_T8_P12ihipStream_tbENKUlT_T0_E_clISt17integral_constantIbLb1EES14_IbLb0EEEEDaS10_S11_EUlS10_E_NS1_11comp_targetILNS1_3genE5ELNS1_11target_archE942ELNS1_3gpuE9ELNS1_3repE0EEENS1_30default_config_static_selectorELNS0_4arch9wavefront6targetE1EEEvT1_
    .private_segment_fixed_size: 0
    .sgpr_count:     4
    .sgpr_spill_count: 0
    .symbol:         _ZN7rocprim17ROCPRIM_400000_NS6detail17trampoline_kernelINS0_14default_configENS1_29reduce_by_key_config_selectorIN3c104HalfElN6thrust23THRUST_200600_302600_NS4plusIlEEEEZZNS1_33reduce_by_key_impl_wrapped_configILNS1_25lookback_scan_determinismE0ES3_SB_PS6_NS8_17constant_iteratorIiNS8_11use_defaultESG_EENS8_10device_ptrIS6_EENSI_IlEEPmSA_NS8_8equal_toIS6_EEEE10hipError_tPvRmT2_T3_mT4_T5_T6_T7_T8_P12ihipStream_tbENKUlT_T0_E_clISt17integral_constantIbLb1EES14_IbLb0EEEEDaS10_S11_EUlS10_E_NS1_11comp_targetILNS1_3genE5ELNS1_11target_archE942ELNS1_3gpuE9ELNS1_3repE0EEENS1_30default_config_static_selectorELNS0_4arch9wavefront6targetE1EEEvT1_.kd
    .uniform_work_group_size: 1
    .uses_dynamic_stack: false
    .vgpr_count:     0
    .vgpr_spill_count: 0
    .wavefront_size: 64
  - .agpr_count:     0
    .args:
      - .offset:         0
        .size:           144
        .value_kind:     by_value
    .group_segment_fixed_size: 30720
    .kernarg_segment_align: 8
    .kernarg_segment_size: 144
    .language:       OpenCL C
    .language_version:
      - 2
      - 0
    .max_flat_workgroup_size: 256
    .name:           _ZN7rocprim17ROCPRIM_400000_NS6detail17trampoline_kernelINS0_14default_configENS1_29reduce_by_key_config_selectorIN3c104HalfElN6thrust23THRUST_200600_302600_NS4plusIlEEEEZZNS1_33reduce_by_key_impl_wrapped_configILNS1_25lookback_scan_determinismE0ES3_SB_PS6_NS8_17constant_iteratorIiNS8_11use_defaultESG_EENS8_10device_ptrIS6_EENSI_IlEEPmSA_NS8_8equal_toIS6_EEEE10hipError_tPvRmT2_T3_mT4_T5_T6_T7_T8_P12ihipStream_tbENKUlT_T0_E_clISt17integral_constantIbLb1EES14_IbLb0EEEEDaS10_S11_EUlS10_E_NS1_11comp_targetILNS1_3genE4ELNS1_11target_archE910ELNS1_3gpuE8ELNS1_3repE0EEENS1_30default_config_static_selectorELNS0_4arch9wavefront6targetE1EEEvT1_
    .private_segment_fixed_size: 0
    .sgpr_count:     68
    .sgpr_spill_count: 0
    .symbol:         _ZN7rocprim17ROCPRIM_400000_NS6detail17trampoline_kernelINS0_14default_configENS1_29reduce_by_key_config_selectorIN3c104HalfElN6thrust23THRUST_200600_302600_NS4plusIlEEEEZZNS1_33reduce_by_key_impl_wrapped_configILNS1_25lookback_scan_determinismE0ES3_SB_PS6_NS8_17constant_iteratorIiNS8_11use_defaultESG_EENS8_10device_ptrIS6_EENSI_IlEEPmSA_NS8_8equal_toIS6_EEEE10hipError_tPvRmT2_T3_mT4_T5_T6_T7_T8_P12ihipStream_tbENKUlT_T0_E_clISt17integral_constantIbLb1EES14_IbLb0EEEEDaS10_S11_EUlS10_E_NS1_11comp_targetILNS1_3genE4ELNS1_11target_archE910ELNS1_3gpuE8ELNS1_3repE0EEENS1_30default_config_static_selectorELNS0_4arch9wavefront6targetE1EEEvT1_.kd
    .uniform_work_group_size: 1
    .uses_dynamic_stack: false
    .vgpr_count:     127
    .vgpr_spill_count: 0
    .wavefront_size: 64
  - .agpr_count:     0
    .args:
      - .offset:         0
        .size:           144
        .value_kind:     by_value
    .group_segment_fixed_size: 0
    .kernarg_segment_align: 8
    .kernarg_segment_size: 144
    .language:       OpenCL C
    .language_version:
      - 2
      - 0
    .max_flat_workgroup_size: 256
    .name:           _ZN7rocprim17ROCPRIM_400000_NS6detail17trampoline_kernelINS0_14default_configENS1_29reduce_by_key_config_selectorIN3c104HalfElN6thrust23THRUST_200600_302600_NS4plusIlEEEEZZNS1_33reduce_by_key_impl_wrapped_configILNS1_25lookback_scan_determinismE0ES3_SB_PS6_NS8_17constant_iteratorIiNS8_11use_defaultESG_EENS8_10device_ptrIS6_EENSI_IlEEPmSA_NS8_8equal_toIS6_EEEE10hipError_tPvRmT2_T3_mT4_T5_T6_T7_T8_P12ihipStream_tbENKUlT_T0_E_clISt17integral_constantIbLb1EES14_IbLb0EEEEDaS10_S11_EUlS10_E_NS1_11comp_targetILNS1_3genE3ELNS1_11target_archE908ELNS1_3gpuE7ELNS1_3repE0EEENS1_30default_config_static_selectorELNS0_4arch9wavefront6targetE1EEEvT1_
    .private_segment_fixed_size: 0
    .sgpr_count:     4
    .sgpr_spill_count: 0
    .symbol:         _ZN7rocprim17ROCPRIM_400000_NS6detail17trampoline_kernelINS0_14default_configENS1_29reduce_by_key_config_selectorIN3c104HalfElN6thrust23THRUST_200600_302600_NS4plusIlEEEEZZNS1_33reduce_by_key_impl_wrapped_configILNS1_25lookback_scan_determinismE0ES3_SB_PS6_NS8_17constant_iteratorIiNS8_11use_defaultESG_EENS8_10device_ptrIS6_EENSI_IlEEPmSA_NS8_8equal_toIS6_EEEE10hipError_tPvRmT2_T3_mT4_T5_T6_T7_T8_P12ihipStream_tbENKUlT_T0_E_clISt17integral_constantIbLb1EES14_IbLb0EEEEDaS10_S11_EUlS10_E_NS1_11comp_targetILNS1_3genE3ELNS1_11target_archE908ELNS1_3gpuE7ELNS1_3repE0EEENS1_30default_config_static_selectorELNS0_4arch9wavefront6targetE1EEEvT1_.kd
    .uniform_work_group_size: 1
    .uses_dynamic_stack: false
    .vgpr_count:     0
    .vgpr_spill_count: 0
    .wavefront_size: 64
  - .agpr_count:     0
    .args:
      - .offset:         0
        .size:           144
        .value_kind:     by_value
    .group_segment_fixed_size: 0
    .kernarg_segment_align: 8
    .kernarg_segment_size: 144
    .language:       OpenCL C
    .language_version:
      - 2
      - 0
    .max_flat_workgroup_size: 256
    .name:           _ZN7rocprim17ROCPRIM_400000_NS6detail17trampoline_kernelINS0_14default_configENS1_29reduce_by_key_config_selectorIN3c104HalfElN6thrust23THRUST_200600_302600_NS4plusIlEEEEZZNS1_33reduce_by_key_impl_wrapped_configILNS1_25lookback_scan_determinismE0ES3_SB_PS6_NS8_17constant_iteratorIiNS8_11use_defaultESG_EENS8_10device_ptrIS6_EENSI_IlEEPmSA_NS8_8equal_toIS6_EEEE10hipError_tPvRmT2_T3_mT4_T5_T6_T7_T8_P12ihipStream_tbENKUlT_T0_E_clISt17integral_constantIbLb1EES14_IbLb0EEEEDaS10_S11_EUlS10_E_NS1_11comp_targetILNS1_3genE2ELNS1_11target_archE906ELNS1_3gpuE6ELNS1_3repE0EEENS1_30default_config_static_selectorELNS0_4arch9wavefront6targetE1EEEvT1_
    .private_segment_fixed_size: 0
    .sgpr_count:     4
    .sgpr_spill_count: 0
    .symbol:         _ZN7rocprim17ROCPRIM_400000_NS6detail17trampoline_kernelINS0_14default_configENS1_29reduce_by_key_config_selectorIN3c104HalfElN6thrust23THRUST_200600_302600_NS4plusIlEEEEZZNS1_33reduce_by_key_impl_wrapped_configILNS1_25lookback_scan_determinismE0ES3_SB_PS6_NS8_17constant_iteratorIiNS8_11use_defaultESG_EENS8_10device_ptrIS6_EENSI_IlEEPmSA_NS8_8equal_toIS6_EEEE10hipError_tPvRmT2_T3_mT4_T5_T6_T7_T8_P12ihipStream_tbENKUlT_T0_E_clISt17integral_constantIbLb1EES14_IbLb0EEEEDaS10_S11_EUlS10_E_NS1_11comp_targetILNS1_3genE2ELNS1_11target_archE906ELNS1_3gpuE6ELNS1_3repE0EEENS1_30default_config_static_selectorELNS0_4arch9wavefront6targetE1EEEvT1_.kd
    .uniform_work_group_size: 1
    .uses_dynamic_stack: false
    .vgpr_count:     0
    .vgpr_spill_count: 0
    .wavefront_size: 64
  - .agpr_count:     0
    .args:
      - .offset:         0
        .size:           144
        .value_kind:     by_value
    .group_segment_fixed_size: 0
    .kernarg_segment_align: 8
    .kernarg_segment_size: 144
    .language:       OpenCL C
    .language_version:
      - 2
      - 0
    .max_flat_workgroup_size: 256
    .name:           _ZN7rocprim17ROCPRIM_400000_NS6detail17trampoline_kernelINS0_14default_configENS1_29reduce_by_key_config_selectorIN3c104HalfElN6thrust23THRUST_200600_302600_NS4plusIlEEEEZZNS1_33reduce_by_key_impl_wrapped_configILNS1_25lookback_scan_determinismE0ES3_SB_PS6_NS8_17constant_iteratorIiNS8_11use_defaultESG_EENS8_10device_ptrIS6_EENSI_IlEEPmSA_NS8_8equal_toIS6_EEEE10hipError_tPvRmT2_T3_mT4_T5_T6_T7_T8_P12ihipStream_tbENKUlT_T0_E_clISt17integral_constantIbLb1EES14_IbLb0EEEEDaS10_S11_EUlS10_E_NS1_11comp_targetILNS1_3genE10ELNS1_11target_archE1201ELNS1_3gpuE5ELNS1_3repE0EEENS1_30default_config_static_selectorELNS0_4arch9wavefront6targetE1EEEvT1_
    .private_segment_fixed_size: 0
    .sgpr_count:     4
    .sgpr_spill_count: 0
    .symbol:         _ZN7rocprim17ROCPRIM_400000_NS6detail17trampoline_kernelINS0_14default_configENS1_29reduce_by_key_config_selectorIN3c104HalfElN6thrust23THRUST_200600_302600_NS4plusIlEEEEZZNS1_33reduce_by_key_impl_wrapped_configILNS1_25lookback_scan_determinismE0ES3_SB_PS6_NS8_17constant_iteratorIiNS8_11use_defaultESG_EENS8_10device_ptrIS6_EENSI_IlEEPmSA_NS8_8equal_toIS6_EEEE10hipError_tPvRmT2_T3_mT4_T5_T6_T7_T8_P12ihipStream_tbENKUlT_T0_E_clISt17integral_constantIbLb1EES14_IbLb0EEEEDaS10_S11_EUlS10_E_NS1_11comp_targetILNS1_3genE10ELNS1_11target_archE1201ELNS1_3gpuE5ELNS1_3repE0EEENS1_30default_config_static_selectorELNS0_4arch9wavefront6targetE1EEEvT1_.kd
    .uniform_work_group_size: 1
    .uses_dynamic_stack: false
    .vgpr_count:     0
    .vgpr_spill_count: 0
    .wavefront_size: 64
  - .agpr_count:     0
    .args:
      - .offset:         0
        .size:           144
        .value_kind:     by_value
    .group_segment_fixed_size: 0
    .kernarg_segment_align: 8
    .kernarg_segment_size: 144
    .language:       OpenCL C
    .language_version:
      - 2
      - 0
    .max_flat_workgroup_size: 256
    .name:           _ZN7rocprim17ROCPRIM_400000_NS6detail17trampoline_kernelINS0_14default_configENS1_29reduce_by_key_config_selectorIN3c104HalfElN6thrust23THRUST_200600_302600_NS4plusIlEEEEZZNS1_33reduce_by_key_impl_wrapped_configILNS1_25lookback_scan_determinismE0ES3_SB_PS6_NS8_17constant_iteratorIiNS8_11use_defaultESG_EENS8_10device_ptrIS6_EENSI_IlEEPmSA_NS8_8equal_toIS6_EEEE10hipError_tPvRmT2_T3_mT4_T5_T6_T7_T8_P12ihipStream_tbENKUlT_T0_E_clISt17integral_constantIbLb1EES14_IbLb0EEEEDaS10_S11_EUlS10_E_NS1_11comp_targetILNS1_3genE10ELNS1_11target_archE1200ELNS1_3gpuE4ELNS1_3repE0EEENS1_30default_config_static_selectorELNS0_4arch9wavefront6targetE1EEEvT1_
    .private_segment_fixed_size: 0
    .sgpr_count:     4
    .sgpr_spill_count: 0
    .symbol:         _ZN7rocprim17ROCPRIM_400000_NS6detail17trampoline_kernelINS0_14default_configENS1_29reduce_by_key_config_selectorIN3c104HalfElN6thrust23THRUST_200600_302600_NS4plusIlEEEEZZNS1_33reduce_by_key_impl_wrapped_configILNS1_25lookback_scan_determinismE0ES3_SB_PS6_NS8_17constant_iteratorIiNS8_11use_defaultESG_EENS8_10device_ptrIS6_EENSI_IlEEPmSA_NS8_8equal_toIS6_EEEE10hipError_tPvRmT2_T3_mT4_T5_T6_T7_T8_P12ihipStream_tbENKUlT_T0_E_clISt17integral_constantIbLb1EES14_IbLb0EEEEDaS10_S11_EUlS10_E_NS1_11comp_targetILNS1_3genE10ELNS1_11target_archE1200ELNS1_3gpuE4ELNS1_3repE0EEENS1_30default_config_static_selectorELNS0_4arch9wavefront6targetE1EEEvT1_.kd
    .uniform_work_group_size: 1
    .uses_dynamic_stack: false
    .vgpr_count:     0
    .vgpr_spill_count: 0
    .wavefront_size: 64
  - .agpr_count:     0
    .args:
      - .offset:         0
        .size:           144
        .value_kind:     by_value
    .group_segment_fixed_size: 0
    .kernarg_segment_align: 8
    .kernarg_segment_size: 144
    .language:       OpenCL C
    .language_version:
      - 2
      - 0
    .max_flat_workgroup_size: 256
    .name:           _ZN7rocprim17ROCPRIM_400000_NS6detail17trampoline_kernelINS0_14default_configENS1_29reduce_by_key_config_selectorIN3c104HalfElN6thrust23THRUST_200600_302600_NS4plusIlEEEEZZNS1_33reduce_by_key_impl_wrapped_configILNS1_25lookback_scan_determinismE0ES3_SB_PS6_NS8_17constant_iteratorIiNS8_11use_defaultESG_EENS8_10device_ptrIS6_EENSI_IlEEPmSA_NS8_8equal_toIS6_EEEE10hipError_tPvRmT2_T3_mT4_T5_T6_T7_T8_P12ihipStream_tbENKUlT_T0_E_clISt17integral_constantIbLb1EES14_IbLb0EEEEDaS10_S11_EUlS10_E_NS1_11comp_targetILNS1_3genE9ELNS1_11target_archE1100ELNS1_3gpuE3ELNS1_3repE0EEENS1_30default_config_static_selectorELNS0_4arch9wavefront6targetE1EEEvT1_
    .private_segment_fixed_size: 0
    .sgpr_count:     4
    .sgpr_spill_count: 0
    .symbol:         _ZN7rocprim17ROCPRIM_400000_NS6detail17trampoline_kernelINS0_14default_configENS1_29reduce_by_key_config_selectorIN3c104HalfElN6thrust23THRUST_200600_302600_NS4plusIlEEEEZZNS1_33reduce_by_key_impl_wrapped_configILNS1_25lookback_scan_determinismE0ES3_SB_PS6_NS8_17constant_iteratorIiNS8_11use_defaultESG_EENS8_10device_ptrIS6_EENSI_IlEEPmSA_NS8_8equal_toIS6_EEEE10hipError_tPvRmT2_T3_mT4_T5_T6_T7_T8_P12ihipStream_tbENKUlT_T0_E_clISt17integral_constantIbLb1EES14_IbLb0EEEEDaS10_S11_EUlS10_E_NS1_11comp_targetILNS1_3genE9ELNS1_11target_archE1100ELNS1_3gpuE3ELNS1_3repE0EEENS1_30default_config_static_selectorELNS0_4arch9wavefront6targetE1EEEvT1_.kd
    .uniform_work_group_size: 1
    .uses_dynamic_stack: false
    .vgpr_count:     0
    .vgpr_spill_count: 0
    .wavefront_size: 64
  - .agpr_count:     0
    .args:
      - .offset:         0
        .size:           144
        .value_kind:     by_value
    .group_segment_fixed_size: 0
    .kernarg_segment_align: 8
    .kernarg_segment_size: 144
    .language:       OpenCL C
    .language_version:
      - 2
      - 0
    .max_flat_workgroup_size: 256
    .name:           _ZN7rocprim17ROCPRIM_400000_NS6detail17trampoline_kernelINS0_14default_configENS1_29reduce_by_key_config_selectorIN3c104HalfElN6thrust23THRUST_200600_302600_NS4plusIlEEEEZZNS1_33reduce_by_key_impl_wrapped_configILNS1_25lookback_scan_determinismE0ES3_SB_PS6_NS8_17constant_iteratorIiNS8_11use_defaultESG_EENS8_10device_ptrIS6_EENSI_IlEEPmSA_NS8_8equal_toIS6_EEEE10hipError_tPvRmT2_T3_mT4_T5_T6_T7_T8_P12ihipStream_tbENKUlT_T0_E_clISt17integral_constantIbLb1EES14_IbLb0EEEEDaS10_S11_EUlS10_E_NS1_11comp_targetILNS1_3genE8ELNS1_11target_archE1030ELNS1_3gpuE2ELNS1_3repE0EEENS1_30default_config_static_selectorELNS0_4arch9wavefront6targetE1EEEvT1_
    .private_segment_fixed_size: 0
    .sgpr_count:     4
    .sgpr_spill_count: 0
    .symbol:         _ZN7rocprim17ROCPRIM_400000_NS6detail17trampoline_kernelINS0_14default_configENS1_29reduce_by_key_config_selectorIN3c104HalfElN6thrust23THRUST_200600_302600_NS4plusIlEEEEZZNS1_33reduce_by_key_impl_wrapped_configILNS1_25lookback_scan_determinismE0ES3_SB_PS6_NS8_17constant_iteratorIiNS8_11use_defaultESG_EENS8_10device_ptrIS6_EENSI_IlEEPmSA_NS8_8equal_toIS6_EEEE10hipError_tPvRmT2_T3_mT4_T5_T6_T7_T8_P12ihipStream_tbENKUlT_T0_E_clISt17integral_constantIbLb1EES14_IbLb0EEEEDaS10_S11_EUlS10_E_NS1_11comp_targetILNS1_3genE8ELNS1_11target_archE1030ELNS1_3gpuE2ELNS1_3repE0EEENS1_30default_config_static_selectorELNS0_4arch9wavefront6targetE1EEEvT1_.kd
    .uniform_work_group_size: 1
    .uses_dynamic_stack: false
    .vgpr_count:     0
    .vgpr_spill_count: 0
    .wavefront_size: 64
  - .agpr_count:     0
    .args:
      - .offset:         0
        .size:           144
        .value_kind:     by_value
    .group_segment_fixed_size: 0
    .kernarg_segment_align: 8
    .kernarg_segment_size: 144
    .language:       OpenCL C
    .language_version:
      - 2
      - 0
    .max_flat_workgroup_size: 256
    .name:           _ZN7rocprim17ROCPRIM_400000_NS6detail17trampoline_kernelINS0_14default_configENS1_29reduce_by_key_config_selectorIN3c104HalfElN6thrust23THRUST_200600_302600_NS4plusIlEEEEZZNS1_33reduce_by_key_impl_wrapped_configILNS1_25lookback_scan_determinismE0ES3_SB_PS6_NS8_17constant_iteratorIiNS8_11use_defaultESG_EENS8_10device_ptrIS6_EENSI_IlEEPmSA_NS8_8equal_toIS6_EEEE10hipError_tPvRmT2_T3_mT4_T5_T6_T7_T8_P12ihipStream_tbENKUlT_T0_E_clISt17integral_constantIbLb0EES14_IbLb1EEEEDaS10_S11_EUlS10_E_NS1_11comp_targetILNS1_3genE0ELNS1_11target_archE4294967295ELNS1_3gpuE0ELNS1_3repE0EEENS1_30default_config_static_selectorELNS0_4arch9wavefront6targetE1EEEvT1_
    .private_segment_fixed_size: 0
    .sgpr_count:     4
    .sgpr_spill_count: 0
    .symbol:         _ZN7rocprim17ROCPRIM_400000_NS6detail17trampoline_kernelINS0_14default_configENS1_29reduce_by_key_config_selectorIN3c104HalfElN6thrust23THRUST_200600_302600_NS4plusIlEEEEZZNS1_33reduce_by_key_impl_wrapped_configILNS1_25lookback_scan_determinismE0ES3_SB_PS6_NS8_17constant_iteratorIiNS8_11use_defaultESG_EENS8_10device_ptrIS6_EENSI_IlEEPmSA_NS8_8equal_toIS6_EEEE10hipError_tPvRmT2_T3_mT4_T5_T6_T7_T8_P12ihipStream_tbENKUlT_T0_E_clISt17integral_constantIbLb0EES14_IbLb1EEEEDaS10_S11_EUlS10_E_NS1_11comp_targetILNS1_3genE0ELNS1_11target_archE4294967295ELNS1_3gpuE0ELNS1_3repE0EEENS1_30default_config_static_selectorELNS0_4arch9wavefront6targetE1EEEvT1_.kd
    .uniform_work_group_size: 1
    .uses_dynamic_stack: false
    .vgpr_count:     0
    .vgpr_spill_count: 0
    .wavefront_size: 64
  - .agpr_count:     0
    .args:
      - .offset:         0
        .size:           144
        .value_kind:     by_value
    .group_segment_fixed_size: 0
    .kernarg_segment_align: 8
    .kernarg_segment_size: 144
    .language:       OpenCL C
    .language_version:
      - 2
      - 0
    .max_flat_workgroup_size: 256
    .name:           _ZN7rocprim17ROCPRIM_400000_NS6detail17trampoline_kernelINS0_14default_configENS1_29reduce_by_key_config_selectorIN3c104HalfElN6thrust23THRUST_200600_302600_NS4plusIlEEEEZZNS1_33reduce_by_key_impl_wrapped_configILNS1_25lookback_scan_determinismE0ES3_SB_PS6_NS8_17constant_iteratorIiNS8_11use_defaultESG_EENS8_10device_ptrIS6_EENSI_IlEEPmSA_NS8_8equal_toIS6_EEEE10hipError_tPvRmT2_T3_mT4_T5_T6_T7_T8_P12ihipStream_tbENKUlT_T0_E_clISt17integral_constantIbLb0EES14_IbLb1EEEEDaS10_S11_EUlS10_E_NS1_11comp_targetILNS1_3genE5ELNS1_11target_archE942ELNS1_3gpuE9ELNS1_3repE0EEENS1_30default_config_static_selectorELNS0_4arch9wavefront6targetE1EEEvT1_
    .private_segment_fixed_size: 0
    .sgpr_count:     4
    .sgpr_spill_count: 0
    .symbol:         _ZN7rocprim17ROCPRIM_400000_NS6detail17trampoline_kernelINS0_14default_configENS1_29reduce_by_key_config_selectorIN3c104HalfElN6thrust23THRUST_200600_302600_NS4plusIlEEEEZZNS1_33reduce_by_key_impl_wrapped_configILNS1_25lookback_scan_determinismE0ES3_SB_PS6_NS8_17constant_iteratorIiNS8_11use_defaultESG_EENS8_10device_ptrIS6_EENSI_IlEEPmSA_NS8_8equal_toIS6_EEEE10hipError_tPvRmT2_T3_mT4_T5_T6_T7_T8_P12ihipStream_tbENKUlT_T0_E_clISt17integral_constantIbLb0EES14_IbLb1EEEEDaS10_S11_EUlS10_E_NS1_11comp_targetILNS1_3genE5ELNS1_11target_archE942ELNS1_3gpuE9ELNS1_3repE0EEENS1_30default_config_static_selectorELNS0_4arch9wavefront6targetE1EEEvT1_.kd
    .uniform_work_group_size: 1
    .uses_dynamic_stack: false
    .vgpr_count:     0
    .vgpr_spill_count: 0
    .wavefront_size: 64
  - .agpr_count:     0
    .args:
      - .offset:         0
        .size:           144
        .value_kind:     by_value
    .group_segment_fixed_size: 30720
    .kernarg_segment_align: 8
    .kernarg_segment_size: 144
    .language:       OpenCL C
    .language_version:
      - 2
      - 0
    .max_flat_workgroup_size: 256
    .name:           _ZN7rocprim17ROCPRIM_400000_NS6detail17trampoline_kernelINS0_14default_configENS1_29reduce_by_key_config_selectorIN3c104HalfElN6thrust23THRUST_200600_302600_NS4plusIlEEEEZZNS1_33reduce_by_key_impl_wrapped_configILNS1_25lookback_scan_determinismE0ES3_SB_PS6_NS8_17constant_iteratorIiNS8_11use_defaultESG_EENS8_10device_ptrIS6_EENSI_IlEEPmSA_NS8_8equal_toIS6_EEEE10hipError_tPvRmT2_T3_mT4_T5_T6_T7_T8_P12ihipStream_tbENKUlT_T0_E_clISt17integral_constantIbLb0EES14_IbLb1EEEEDaS10_S11_EUlS10_E_NS1_11comp_targetILNS1_3genE4ELNS1_11target_archE910ELNS1_3gpuE8ELNS1_3repE0EEENS1_30default_config_static_selectorELNS0_4arch9wavefront6targetE1EEEvT1_
    .private_segment_fixed_size: 0
    .sgpr_count:     67
    .sgpr_spill_count: 0
    .symbol:         _ZN7rocprim17ROCPRIM_400000_NS6detail17trampoline_kernelINS0_14default_configENS1_29reduce_by_key_config_selectorIN3c104HalfElN6thrust23THRUST_200600_302600_NS4plusIlEEEEZZNS1_33reduce_by_key_impl_wrapped_configILNS1_25lookback_scan_determinismE0ES3_SB_PS6_NS8_17constant_iteratorIiNS8_11use_defaultESG_EENS8_10device_ptrIS6_EENSI_IlEEPmSA_NS8_8equal_toIS6_EEEE10hipError_tPvRmT2_T3_mT4_T5_T6_T7_T8_P12ihipStream_tbENKUlT_T0_E_clISt17integral_constantIbLb0EES14_IbLb1EEEEDaS10_S11_EUlS10_E_NS1_11comp_targetILNS1_3genE4ELNS1_11target_archE910ELNS1_3gpuE8ELNS1_3repE0EEENS1_30default_config_static_selectorELNS0_4arch9wavefront6targetE1EEEvT1_.kd
    .uniform_work_group_size: 1
    .uses_dynamic_stack: false
    .vgpr_count:     127
    .vgpr_spill_count: 0
    .wavefront_size: 64
  - .agpr_count:     0
    .args:
      - .offset:         0
        .size:           144
        .value_kind:     by_value
    .group_segment_fixed_size: 0
    .kernarg_segment_align: 8
    .kernarg_segment_size: 144
    .language:       OpenCL C
    .language_version:
      - 2
      - 0
    .max_flat_workgroup_size: 256
    .name:           _ZN7rocprim17ROCPRIM_400000_NS6detail17trampoline_kernelINS0_14default_configENS1_29reduce_by_key_config_selectorIN3c104HalfElN6thrust23THRUST_200600_302600_NS4plusIlEEEEZZNS1_33reduce_by_key_impl_wrapped_configILNS1_25lookback_scan_determinismE0ES3_SB_PS6_NS8_17constant_iteratorIiNS8_11use_defaultESG_EENS8_10device_ptrIS6_EENSI_IlEEPmSA_NS8_8equal_toIS6_EEEE10hipError_tPvRmT2_T3_mT4_T5_T6_T7_T8_P12ihipStream_tbENKUlT_T0_E_clISt17integral_constantIbLb0EES14_IbLb1EEEEDaS10_S11_EUlS10_E_NS1_11comp_targetILNS1_3genE3ELNS1_11target_archE908ELNS1_3gpuE7ELNS1_3repE0EEENS1_30default_config_static_selectorELNS0_4arch9wavefront6targetE1EEEvT1_
    .private_segment_fixed_size: 0
    .sgpr_count:     4
    .sgpr_spill_count: 0
    .symbol:         _ZN7rocprim17ROCPRIM_400000_NS6detail17trampoline_kernelINS0_14default_configENS1_29reduce_by_key_config_selectorIN3c104HalfElN6thrust23THRUST_200600_302600_NS4plusIlEEEEZZNS1_33reduce_by_key_impl_wrapped_configILNS1_25lookback_scan_determinismE0ES3_SB_PS6_NS8_17constant_iteratorIiNS8_11use_defaultESG_EENS8_10device_ptrIS6_EENSI_IlEEPmSA_NS8_8equal_toIS6_EEEE10hipError_tPvRmT2_T3_mT4_T5_T6_T7_T8_P12ihipStream_tbENKUlT_T0_E_clISt17integral_constantIbLb0EES14_IbLb1EEEEDaS10_S11_EUlS10_E_NS1_11comp_targetILNS1_3genE3ELNS1_11target_archE908ELNS1_3gpuE7ELNS1_3repE0EEENS1_30default_config_static_selectorELNS0_4arch9wavefront6targetE1EEEvT1_.kd
    .uniform_work_group_size: 1
    .uses_dynamic_stack: false
    .vgpr_count:     0
    .vgpr_spill_count: 0
    .wavefront_size: 64
  - .agpr_count:     0
    .args:
      - .offset:         0
        .size:           144
        .value_kind:     by_value
    .group_segment_fixed_size: 0
    .kernarg_segment_align: 8
    .kernarg_segment_size: 144
    .language:       OpenCL C
    .language_version:
      - 2
      - 0
    .max_flat_workgroup_size: 256
    .name:           _ZN7rocprim17ROCPRIM_400000_NS6detail17trampoline_kernelINS0_14default_configENS1_29reduce_by_key_config_selectorIN3c104HalfElN6thrust23THRUST_200600_302600_NS4plusIlEEEEZZNS1_33reduce_by_key_impl_wrapped_configILNS1_25lookback_scan_determinismE0ES3_SB_PS6_NS8_17constant_iteratorIiNS8_11use_defaultESG_EENS8_10device_ptrIS6_EENSI_IlEEPmSA_NS8_8equal_toIS6_EEEE10hipError_tPvRmT2_T3_mT4_T5_T6_T7_T8_P12ihipStream_tbENKUlT_T0_E_clISt17integral_constantIbLb0EES14_IbLb1EEEEDaS10_S11_EUlS10_E_NS1_11comp_targetILNS1_3genE2ELNS1_11target_archE906ELNS1_3gpuE6ELNS1_3repE0EEENS1_30default_config_static_selectorELNS0_4arch9wavefront6targetE1EEEvT1_
    .private_segment_fixed_size: 0
    .sgpr_count:     4
    .sgpr_spill_count: 0
    .symbol:         _ZN7rocprim17ROCPRIM_400000_NS6detail17trampoline_kernelINS0_14default_configENS1_29reduce_by_key_config_selectorIN3c104HalfElN6thrust23THRUST_200600_302600_NS4plusIlEEEEZZNS1_33reduce_by_key_impl_wrapped_configILNS1_25lookback_scan_determinismE0ES3_SB_PS6_NS8_17constant_iteratorIiNS8_11use_defaultESG_EENS8_10device_ptrIS6_EENSI_IlEEPmSA_NS8_8equal_toIS6_EEEE10hipError_tPvRmT2_T3_mT4_T5_T6_T7_T8_P12ihipStream_tbENKUlT_T0_E_clISt17integral_constantIbLb0EES14_IbLb1EEEEDaS10_S11_EUlS10_E_NS1_11comp_targetILNS1_3genE2ELNS1_11target_archE906ELNS1_3gpuE6ELNS1_3repE0EEENS1_30default_config_static_selectorELNS0_4arch9wavefront6targetE1EEEvT1_.kd
    .uniform_work_group_size: 1
    .uses_dynamic_stack: false
    .vgpr_count:     0
    .vgpr_spill_count: 0
    .wavefront_size: 64
  - .agpr_count:     0
    .args:
      - .offset:         0
        .size:           144
        .value_kind:     by_value
    .group_segment_fixed_size: 0
    .kernarg_segment_align: 8
    .kernarg_segment_size: 144
    .language:       OpenCL C
    .language_version:
      - 2
      - 0
    .max_flat_workgroup_size: 256
    .name:           _ZN7rocprim17ROCPRIM_400000_NS6detail17trampoline_kernelINS0_14default_configENS1_29reduce_by_key_config_selectorIN3c104HalfElN6thrust23THRUST_200600_302600_NS4plusIlEEEEZZNS1_33reduce_by_key_impl_wrapped_configILNS1_25lookback_scan_determinismE0ES3_SB_PS6_NS8_17constant_iteratorIiNS8_11use_defaultESG_EENS8_10device_ptrIS6_EENSI_IlEEPmSA_NS8_8equal_toIS6_EEEE10hipError_tPvRmT2_T3_mT4_T5_T6_T7_T8_P12ihipStream_tbENKUlT_T0_E_clISt17integral_constantIbLb0EES14_IbLb1EEEEDaS10_S11_EUlS10_E_NS1_11comp_targetILNS1_3genE10ELNS1_11target_archE1201ELNS1_3gpuE5ELNS1_3repE0EEENS1_30default_config_static_selectorELNS0_4arch9wavefront6targetE1EEEvT1_
    .private_segment_fixed_size: 0
    .sgpr_count:     4
    .sgpr_spill_count: 0
    .symbol:         _ZN7rocprim17ROCPRIM_400000_NS6detail17trampoline_kernelINS0_14default_configENS1_29reduce_by_key_config_selectorIN3c104HalfElN6thrust23THRUST_200600_302600_NS4plusIlEEEEZZNS1_33reduce_by_key_impl_wrapped_configILNS1_25lookback_scan_determinismE0ES3_SB_PS6_NS8_17constant_iteratorIiNS8_11use_defaultESG_EENS8_10device_ptrIS6_EENSI_IlEEPmSA_NS8_8equal_toIS6_EEEE10hipError_tPvRmT2_T3_mT4_T5_T6_T7_T8_P12ihipStream_tbENKUlT_T0_E_clISt17integral_constantIbLb0EES14_IbLb1EEEEDaS10_S11_EUlS10_E_NS1_11comp_targetILNS1_3genE10ELNS1_11target_archE1201ELNS1_3gpuE5ELNS1_3repE0EEENS1_30default_config_static_selectorELNS0_4arch9wavefront6targetE1EEEvT1_.kd
    .uniform_work_group_size: 1
    .uses_dynamic_stack: false
    .vgpr_count:     0
    .vgpr_spill_count: 0
    .wavefront_size: 64
  - .agpr_count:     0
    .args:
      - .offset:         0
        .size:           144
        .value_kind:     by_value
    .group_segment_fixed_size: 0
    .kernarg_segment_align: 8
    .kernarg_segment_size: 144
    .language:       OpenCL C
    .language_version:
      - 2
      - 0
    .max_flat_workgroup_size: 256
    .name:           _ZN7rocprim17ROCPRIM_400000_NS6detail17trampoline_kernelINS0_14default_configENS1_29reduce_by_key_config_selectorIN3c104HalfElN6thrust23THRUST_200600_302600_NS4plusIlEEEEZZNS1_33reduce_by_key_impl_wrapped_configILNS1_25lookback_scan_determinismE0ES3_SB_PS6_NS8_17constant_iteratorIiNS8_11use_defaultESG_EENS8_10device_ptrIS6_EENSI_IlEEPmSA_NS8_8equal_toIS6_EEEE10hipError_tPvRmT2_T3_mT4_T5_T6_T7_T8_P12ihipStream_tbENKUlT_T0_E_clISt17integral_constantIbLb0EES14_IbLb1EEEEDaS10_S11_EUlS10_E_NS1_11comp_targetILNS1_3genE10ELNS1_11target_archE1200ELNS1_3gpuE4ELNS1_3repE0EEENS1_30default_config_static_selectorELNS0_4arch9wavefront6targetE1EEEvT1_
    .private_segment_fixed_size: 0
    .sgpr_count:     4
    .sgpr_spill_count: 0
    .symbol:         _ZN7rocprim17ROCPRIM_400000_NS6detail17trampoline_kernelINS0_14default_configENS1_29reduce_by_key_config_selectorIN3c104HalfElN6thrust23THRUST_200600_302600_NS4plusIlEEEEZZNS1_33reduce_by_key_impl_wrapped_configILNS1_25lookback_scan_determinismE0ES3_SB_PS6_NS8_17constant_iteratorIiNS8_11use_defaultESG_EENS8_10device_ptrIS6_EENSI_IlEEPmSA_NS8_8equal_toIS6_EEEE10hipError_tPvRmT2_T3_mT4_T5_T6_T7_T8_P12ihipStream_tbENKUlT_T0_E_clISt17integral_constantIbLb0EES14_IbLb1EEEEDaS10_S11_EUlS10_E_NS1_11comp_targetILNS1_3genE10ELNS1_11target_archE1200ELNS1_3gpuE4ELNS1_3repE0EEENS1_30default_config_static_selectorELNS0_4arch9wavefront6targetE1EEEvT1_.kd
    .uniform_work_group_size: 1
    .uses_dynamic_stack: false
    .vgpr_count:     0
    .vgpr_spill_count: 0
    .wavefront_size: 64
  - .agpr_count:     0
    .args:
      - .offset:         0
        .size:           144
        .value_kind:     by_value
    .group_segment_fixed_size: 0
    .kernarg_segment_align: 8
    .kernarg_segment_size: 144
    .language:       OpenCL C
    .language_version:
      - 2
      - 0
    .max_flat_workgroup_size: 256
    .name:           _ZN7rocprim17ROCPRIM_400000_NS6detail17trampoline_kernelINS0_14default_configENS1_29reduce_by_key_config_selectorIN3c104HalfElN6thrust23THRUST_200600_302600_NS4plusIlEEEEZZNS1_33reduce_by_key_impl_wrapped_configILNS1_25lookback_scan_determinismE0ES3_SB_PS6_NS8_17constant_iteratorIiNS8_11use_defaultESG_EENS8_10device_ptrIS6_EENSI_IlEEPmSA_NS8_8equal_toIS6_EEEE10hipError_tPvRmT2_T3_mT4_T5_T6_T7_T8_P12ihipStream_tbENKUlT_T0_E_clISt17integral_constantIbLb0EES14_IbLb1EEEEDaS10_S11_EUlS10_E_NS1_11comp_targetILNS1_3genE9ELNS1_11target_archE1100ELNS1_3gpuE3ELNS1_3repE0EEENS1_30default_config_static_selectorELNS0_4arch9wavefront6targetE1EEEvT1_
    .private_segment_fixed_size: 0
    .sgpr_count:     4
    .sgpr_spill_count: 0
    .symbol:         _ZN7rocprim17ROCPRIM_400000_NS6detail17trampoline_kernelINS0_14default_configENS1_29reduce_by_key_config_selectorIN3c104HalfElN6thrust23THRUST_200600_302600_NS4plusIlEEEEZZNS1_33reduce_by_key_impl_wrapped_configILNS1_25lookback_scan_determinismE0ES3_SB_PS6_NS8_17constant_iteratorIiNS8_11use_defaultESG_EENS8_10device_ptrIS6_EENSI_IlEEPmSA_NS8_8equal_toIS6_EEEE10hipError_tPvRmT2_T3_mT4_T5_T6_T7_T8_P12ihipStream_tbENKUlT_T0_E_clISt17integral_constantIbLb0EES14_IbLb1EEEEDaS10_S11_EUlS10_E_NS1_11comp_targetILNS1_3genE9ELNS1_11target_archE1100ELNS1_3gpuE3ELNS1_3repE0EEENS1_30default_config_static_selectorELNS0_4arch9wavefront6targetE1EEEvT1_.kd
    .uniform_work_group_size: 1
    .uses_dynamic_stack: false
    .vgpr_count:     0
    .vgpr_spill_count: 0
    .wavefront_size: 64
  - .agpr_count:     0
    .args:
      - .offset:         0
        .size:           144
        .value_kind:     by_value
    .group_segment_fixed_size: 0
    .kernarg_segment_align: 8
    .kernarg_segment_size: 144
    .language:       OpenCL C
    .language_version:
      - 2
      - 0
    .max_flat_workgroup_size: 256
    .name:           _ZN7rocprim17ROCPRIM_400000_NS6detail17trampoline_kernelINS0_14default_configENS1_29reduce_by_key_config_selectorIN3c104HalfElN6thrust23THRUST_200600_302600_NS4plusIlEEEEZZNS1_33reduce_by_key_impl_wrapped_configILNS1_25lookback_scan_determinismE0ES3_SB_PS6_NS8_17constant_iteratorIiNS8_11use_defaultESG_EENS8_10device_ptrIS6_EENSI_IlEEPmSA_NS8_8equal_toIS6_EEEE10hipError_tPvRmT2_T3_mT4_T5_T6_T7_T8_P12ihipStream_tbENKUlT_T0_E_clISt17integral_constantIbLb0EES14_IbLb1EEEEDaS10_S11_EUlS10_E_NS1_11comp_targetILNS1_3genE8ELNS1_11target_archE1030ELNS1_3gpuE2ELNS1_3repE0EEENS1_30default_config_static_selectorELNS0_4arch9wavefront6targetE1EEEvT1_
    .private_segment_fixed_size: 0
    .sgpr_count:     4
    .sgpr_spill_count: 0
    .symbol:         _ZN7rocprim17ROCPRIM_400000_NS6detail17trampoline_kernelINS0_14default_configENS1_29reduce_by_key_config_selectorIN3c104HalfElN6thrust23THRUST_200600_302600_NS4plusIlEEEEZZNS1_33reduce_by_key_impl_wrapped_configILNS1_25lookback_scan_determinismE0ES3_SB_PS6_NS8_17constant_iteratorIiNS8_11use_defaultESG_EENS8_10device_ptrIS6_EENSI_IlEEPmSA_NS8_8equal_toIS6_EEEE10hipError_tPvRmT2_T3_mT4_T5_T6_T7_T8_P12ihipStream_tbENKUlT_T0_E_clISt17integral_constantIbLb0EES14_IbLb1EEEEDaS10_S11_EUlS10_E_NS1_11comp_targetILNS1_3genE8ELNS1_11target_archE1030ELNS1_3gpuE2ELNS1_3repE0EEENS1_30default_config_static_selectorELNS0_4arch9wavefront6targetE1EEEvT1_.kd
    .uniform_work_group_size: 1
    .uses_dynamic_stack: false
    .vgpr_count:     0
    .vgpr_spill_count: 0
    .wavefront_size: 64
  - .agpr_count:     0
    .args:
      - .offset:         0
        .size:           88
        .value_kind:     by_value
    .group_segment_fixed_size: 0
    .kernarg_segment_align: 8
    .kernarg_segment_size: 88
    .language:       OpenCL C
    .language_version:
      - 2
      - 0
    .max_flat_workgroup_size: 128
    .name:           _ZN7rocprim17ROCPRIM_400000_NS6detail17trampoline_kernelINS0_14default_configENS1_22reduce_config_selectorIN6thrust23THRUST_200600_302600_NS5tupleIblNS6_9null_typeES8_S8_S8_S8_S8_S8_S8_EEEEZNS1_11reduce_implILb1ES3_NS6_12zip_iteratorINS7_INS6_11hip_rocprim26transform_input_iterator_tIbPN3c104HalfENS6_6detail10functional5actorINSJ_9compositeIJNSJ_27transparent_binary_operatorINS6_8equal_toIvEEEENSK_INSJ_8argumentILj0EEEEENSJ_5valueISG_EEEEEEEEENSD_19counting_iterator_tIlEES8_S8_S8_S8_S8_S8_S8_S8_EEEEPS9_S9_NSD_9__find_if7functorIS9_EEEE10hipError_tPvRmT1_T2_T3_mT4_P12ihipStream_tbEUlT_E0_NS1_11comp_targetILNS1_3genE0ELNS1_11target_archE4294967295ELNS1_3gpuE0ELNS1_3repE0EEENS1_30default_config_static_selectorELNS0_4arch9wavefront6targetE1EEEvS19_
    .private_segment_fixed_size: 0
    .sgpr_count:     4
    .sgpr_spill_count: 0
    .symbol:         _ZN7rocprim17ROCPRIM_400000_NS6detail17trampoline_kernelINS0_14default_configENS1_22reduce_config_selectorIN6thrust23THRUST_200600_302600_NS5tupleIblNS6_9null_typeES8_S8_S8_S8_S8_S8_S8_EEEEZNS1_11reduce_implILb1ES3_NS6_12zip_iteratorINS7_INS6_11hip_rocprim26transform_input_iterator_tIbPN3c104HalfENS6_6detail10functional5actorINSJ_9compositeIJNSJ_27transparent_binary_operatorINS6_8equal_toIvEEEENSK_INSJ_8argumentILj0EEEEENSJ_5valueISG_EEEEEEEEENSD_19counting_iterator_tIlEES8_S8_S8_S8_S8_S8_S8_S8_EEEEPS9_S9_NSD_9__find_if7functorIS9_EEEE10hipError_tPvRmT1_T2_T3_mT4_P12ihipStream_tbEUlT_E0_NS1_11comp_targetILNS1_3genE0ELNS1_11target_archE4294967295ELNS1_3gpuE0ELNS1_3repE0EEENS1_30default_config_static_selectorELNS0_4arch9wavefront6targetE1EEEvS19_.kd
    .uniform_work_group_size: 1
    .uses_dynamic_stack: false
    .vgpr_count:     0
    .vgpr_spill_count: 0
    .wavefront_size: 64
  - .agpr_count:     0
    .args:
      - .offset:         0
        .size:           88
        .value_kind:     by_value
    .group_segment_fixed_size: 0
    .kernarg_segment_align: 8
    .kernarg_segment_size: 88
    .language:       OpenCL C
    .language_version:
      - 2
      - 0
    .max_flat_workgroup_size: 256
    .name:           _ZN7rocprim17ROCPRIM_400000_NS6detail17trampoline_kernelINS0_14default_configENS1_22reduce_config_selectorIN6thrust23THRUST_200600_302600_NS5tupleIblNS6_9null_typeES8_S8_S8_S8_S8_S8_S8_EEEEZNS1_11reduce_implILb1ES3_NS6_12zip_iteratorINS7_INS6_11hip_rocprim26transform_input_iterator_tIbPN3c104HalfENS6_6detail10functional5actorINSJ_9compositeIJNSJ_27transparent_binary_operatorINS6_8equal_toIvEEEENSK_INSJ_8argumentILj0EEEEENSJ_5valueISG_EEEEEEEEENSD_19counting_iterator_tIlEES8_S8_S8_S8_S8_S8_S8_S8_EEEEPS9_S9_NSD_9__find_if7functorIS9_EEEE10hipError_tPvRmT1_T2_T3_mT4_P12ihipStream_tbEUlT_E0_NS1_11comp_targetILNS1_3genE5ELNS1_11target_archE942ELNS1_3gpuE9ELNS1_3repE0EEENS1_30default_config_static_selectorELNS0_4arch9wavefront6targetE1EEEvS19_
    .private_segment_fixed_size: 0
    .sgpr_count:     4
    .sgpr_spill_count: 0
    .symbol:         _ZN7rocprim17ROCPRIM_400000_NS6detail17trampoline_kernelINS0_14default_configENS1_22reduce_config_selectorIN6thrust23THRUST_200600_302600_NS5tupleIblNS6_9null_typeES8_S8_S8_S8_S8_S8_S8_EEEEZNS1_11reduce_implILb1ES3_NS6_12zip_iteratorINS7_INS6_11hip_rocprim26transform_input_iterator_tIbPN3c104HalfENS6_6detail10functional5actorINSJ_9compositeIJNSJ_27transparent_binary_operatorINS6_8equal_toIvEEEENSK_INSJ_8argumentILj0EEEEENSJ_5valueISG_EEEEEEEEENSD_19counting_iterator_tIlEES8_S8_S8_S8_S8_S8_S8_S8_EEEEPS9_S9_NSD_9__find_if7functorIS9_EEEE10hipError_tPvRmT1_T2_T3_mT4_P12ihipStream_tbEUlT_E0_NS1_11comp_targetILNS1_3genE5ELNS1_11target_archE942ELNS1_3gpuE9ELNS1_3repE0EEENS1_30default_config_static_selectorELNS0_4arch9wavefront6targetE1EEEvS19_.kd
    .uniform_work_group_size: 1
    .uses_dynamic_stack: false
    .vgpr_count:     0
    .vgpr_spill_count: 0
    .wavefront_size: 64
  - .agpr_count:     0
    .args:
      - .offset:         0
        .size:           88
        .value_kind:     by_value
    .group_segment_fixed_size: 128
    .kernarg_segment_align: 8
    .kernarg_segment_size: 88
    .language:       OpenCL C
    .language_version:
      - 2
      - 0
    .max_flat_workgroup_size: 256
    .name:           _ZN7rocprim17ROCPRIM_400000_NS6detail17trampoline_kernelINS0_14default_configENS1_22reduce_config_selectorIN6thrust23THRUST_200600_302600_NS5tupleIblNS6_9null_typeES8_S8_S8_S8_S8_S8_S8_EEEEZNS1_11reduce_implILb1ES3_NS6_12zip_iteratorINS7_INS6_11hip_rocprim26transform_input_iterator_tIbPN3c104HalfENS6_6detail10functional5actorINSJ_9compositeIJNSJ_27transparent_binary_operatorINS6_8equal_toIvEEEENSK_INSJ_8argumentILj0EEEEENSJ_5valueISG_EEEEEEEEENSD_19counting_iterator_tIlEES8_S8_S8_S8_S8_S8_S8_S8_EEEEPS9_S9_NSD_9__find_if7functorIS9_EEEE10hipError_tPvRmT1_T2_T3_mT4_P12ihipStream_tbEUlT_E0_NS1_11comp_targetILNS1_3genE4ELNS1_11target_archE910ELNS1_3gpuE8ELNS1_3repE0EEENS1_30default_config_static_selectorELNS0_4arch9wavefront6targetE1EEEvS19_
    .private_segment_fixed_size: 0
    .sgpr_count:     29
    .sgpr_spill_count: 0
    .symbol:         _ZN7rocprim17ROCPRIM_400000_NS6detail17trampoline_kernelINS0_14default_configENS1_22reduce_config_selectorIN6thrust23THRUST_200600_302600_NS5tupleIblNS6_9null_typeES8_S8_S8_S8_S8_S8_S8_EEEEZNS1_11reduce_implILb1ES3_NS6_12zip_iteratorINS7_INS6_11hip_rocprim26transform_input_iterator_tIbPN3c104HalfENS6_6detail10functional5actorINSJ_9compositeIJNSJ_27transparent_binary_operatorINS6_8equal_toIvEEEENSK_INSJ_8argumentILj0EEEEENSJ_5valueISG_EEEEEEEEENSD_19counting_iterator_tIlEES8_S8_S8_S8_S8_S8_S8_S8_EEEEPS9_S9_NSD_9__find_if7functorIS9_EEEE10hipError_tPvRmT1_T2_T3_mT4_P12ihipStream_tbEUlT_E0_NS1_11comp_targetILNS1_3genE4ELNS1_11target_archE910ELNS1_3gpuE8ELNS1_3repE0EEENS1_30default_config_static_selectorELNS0_4arch9wavefront6targetE1EEEvS19_.kd
    .uniform_work_group_size: 1
    .uses_dynamic_stack: false
    .vgpr_count:     12
    .vgpr_spill_count: 0
    .wavefront_size: 64
  - .agpr_count:     0
    .args:
      - .offset:         0
        .size:           88
        .value_kind:     by_value
    .group_segment_fixed_size: 0
    .kernarg_segment_align: 8
    .kernarg_segment_size: 88
    .language:       OpenCL C
    .language_version:
      - 2
      - 0
    .max_flat_workgroup_size: 128
    .name:           _ZN7rocprim17ROCPRIM_400000_NS6detail17trampoline_kernelINS0_14default_configENS1_22reduce_config_selectorIN6thrust23THRUST_200600_302600_NS5tupleIblNS6_9null_typeES8_S8_S8_S8_S8_S8_S8_EEEEZNS1_11reduce_implILb1ES3_NS6_12zip_iteratorINS7_INS6_11hip_rocprim26transform_input_iterator_tIbPN3c104HalfENS6_6detail10functional5actorINSJ_9compositeIJNSJ_27transparent_binary_operatorINS6_8equal_toIvEEEENSK_INSJ_8argumentILj0EEEEENSJ_5valueISG_EEEEEEEEENSD_19counting_iterator_tIlEES8_S8_S8_S8_S8_S8_S8_S8_EEEEPS9_S9_NSD_9__find_if7functorIS9_EEEE10hipError_tPvRmT1_T2_T3_mT4_P12ihipStream_tbEUlT_E0_NS1_11comp_targetILNS1_3genE3ELNS1_11target_archE908ELNS1_3gpuE7ELNS1_3repE0EEENS1_30default_config_static_selectorELNS0_4arch9wavefront6targetE1EEEvS19_
    .private_segment_fixed_size: 0
    .sgpr_count:     4
    .sgpr_spill_count: 0
    .symbol:         _ZN7rocprim17ROCPRIM_400000_NS6detail17trampoline_kernelINS0_14default_configENS1_22reduce_config_selectorIN6thrust23THRUST_200600_302600_NS5tupleIblNS6_9null_typeES8_S8_S8_S8_S8_S8_S8_EEEEZNS1_11reduce_implILb1ES3_NS6_12zip_iteratorINS7_INS6_11hip_rocprim26transform_input_iterator_tIbPN3c104HalfENS6_6detail10functional5actorINSJ_9compositeIJNSJ_27transparent_binary_operatorINS6_8equal_toIvEEEENSK_INSJ_8argumentILj0EEEEENSJ_5valueISG_EEEEEEEEENSD_19counting_iterator_tIlEES8_S8_S8_S8_S8_S8_S8_S8_EEEEPS9_S9_NSD_9__find_if7functorIS9_EEEE10hipError_tPvRmT1_T2_T3_mT4_P12ihipStream_tbEUlT_E0_NS1_11comp_targetILNS1_3genE3ELNS1_11target_archE908ELNS1_3gpuE7ELNS1_3repE0EEENS1_30default_config_static_selectorELNS0_4arch9wavefront6targetE1EEEvS19_.kd
    .uniform_work_group_size: 1
    .uses_dynamic_stack: false
    .vgpr_count:     0
    .vgpr_spill_count: 0
    .wavefront_size: 64
  - .agpr_count:     0
    .args:
      - .offset:         0
        .size:           88
        .value_kind:     by_value
    .group_segment_fixed_size: 0
    .kernarg_segment_align: 8
    .kernarg_segment_size: 88
    .language:       OpenCL C
    .language_version:
      - 2
      - 0
    .max_flat_workgroup_size: 128
    .name:           _ZN7rocprim17ROCPRIM_400000_NS6detail17trampoline_kernelINS0_14default_configENS1_22reduce_config_selectorIN6thrust23THRUST_200600_302600_NS5tupleIblNS6_9null_typeES8_S8_S8_S8_S8_S8_S8_EEEEZNS1_11reduce_implILb1ES3_NS6_12zip_iteratorINS7_INS6_11hip_rocprim26transform_input_iterator_tIbPN3c104HalfENS6_6detail10functional5actorINSJ_9compositeIJNSJ_27transparent_binary_operatorINS6_8equal_toIvEEEENSK_INSJ_8argumentILj0EEEEENSJ_5valueISG_EEEEEEEEENSD_19counting_iterator_tIlEES8_S8_S8_S8_S8_S8_S8_S8_EEEEPS9_S9_NSD_9__find_if7functorIS9_EEEE10hipError_tPvRmT1_T2_T3_mT4_P12ihipStream_tbEUlT_E0_NS1_11comp_targetILNS1_3genE2ELNS1_11target_archE906ELNS1_3gpuE6ELNS1_3repE0EEENS1_30default_config_static_selectorELNS0_4arch9wavefront6targetE1EEEvS19_
    .private_segment_fixed_size: 0
    .sgpr_count:     4
    .sgpr_spill_count: 0
    .symbol:         _ZN7rocprim17ROCPRIM_400000_NS6detail17trampoline_kernelINS0_14default_configENS1_22reduce_config_selectorIN6thrust23THRUST_200600_302600_NS5tupleIblNS6_9null_typeES8_S8_S8_S8_S8_S8_S8_EEEEZNS1_11reduce_implILb1ES3_NS6_12zip_iteratorINS7_INS6_11hip_rocprim26transform_input_iterator_tIbPN3c104HalfENS6_6detail10functional5actorINSJ_9compositeIJNSJ_27transparent_binary_operatorINS6_8equal_toIvEEEENSK_INSJ_8argumentILj0EEEEENSJ_5valueISG_EEEEEEEEENSD_19counting_iterator_tIlEES8_S8_S8_S8_S8_S8_S8_S8_EEEEPS9_S9_NSD_9__find_if7functorIS9_EEEE10hipError_tPvRmT1_T2_T3_mT4_P12ihipStream_tbEUlT_E0_NS1_11comp_targetILNS1_3genE2ELNS1_11target_archE906ELNS1_3gpuE6ELNS1_3repE0EEENS1_30default_config_static_selectorELNS0_4arch9wavefront6targetE1EEEvS19_.kd
    .uniform_work_group_size: 1
    .uses_dynamic_stack: false
    .vgpr_count:     0
    .vgpr_spill_count: 0
    .wavefront_size: 64
  - .agpr_count:     0
    .args:
      - .offset:         0
        .size:           88
        .value_kind:     by_value
    .group_segment_fixed_size: 0
    .kernarg_segment_align: 8
    .kernarg_segment_size: 88
    .language:       OpenCL C
    .language_version:
      - 2
      - 0
    .max_flat_workgroup_size: 256
    .name:           _ZN7rocprim17ROCPRIM_400000_NS6detail17trampoline_kernelINS0_14default_configENS1_22reduce_config_selectorIN6thrust23THRUST_200600_302600_NS5tupleIblNS6_9null_typeES8_S8_S8_S8_S8_S8_S8_EEEEZNS1_11reduce_implILb1ES3_NS6_12zip_iteratorINS7_INS6_11hip_rocprim26transform_input_iterator_tIbPN3c104HalfENS6_6detail10functional5actorINSJ_9compositeIJNSJ_27transparent_binary_operatorINS6_8equal_toIvEEEENSK_INSJ_8argumentILj0EEEEENSJ_5valueISG_EEEEEEEEENSD_19counting_iterator_tIlEES8_S8_S8_S8_S8_S8_S8_S8_EEEEPS9_S9_NSD_9__find_if7functorIS9_EEEE10hipError_tPvRmT1_T2_T3_mT4_P12ihipStream_tbEUlT_E0_NS1_11comp_targetILNS1_3genE10ELNS1_11target_archE1201ELNS1_3gpuE5ELNS1_3repE0EEENS1_30default_config_static_selectorELNS0_4arch9wavefront6targetE1EEEvS19_
    .private_segment_fixed_size: 0
    .sgpr_count:     4
    .sgpr_spill_count: 0
    .symbol:         _ZN7rocprim17ROCPRIM_400000_NS6detail17trampoline_kernelINS0_14default_configENS1_22reduce_config_selectorIN6thrust23THRUST_200600_302600_NS5tupleIblNS6_9null_typeES8_S8_S8_S8_S8_S8_S8_EEEEZNS1_11reduce_implILb1ES3_NS6_12zip_iteratorINS7_INS6_11hip_rocprim26transform_input_iterator_tIbPN3c104HalfENS6_6detail10functional5actorINSJ_9compositeIJNSJ_27transparent_binary_operatorINS6_8equal_toIvEEEENSK_INSJ_8argumentILj0EEEEENSJ_5valueISG_EEEEEEEEENSD_19counting_iterator_tIlEES8_S8_S8_S8_S8_S8_S8_S8_EEEEPS9_S9_NSD_9__find_if7functorIS9_EEEE10hipError_tPvRmT1_T2_T3_mT4_P12ihipStream_tbEUlT_E0_NS1_11comp_targetILNS1_3genE10ELNS1_11target_archE1201ELNS1_3gpuE5ELNS1_3repE0EEENS1_30default_config_static_selectorELNS0_4arch9wavefront6targetE1EEEvS19_.kd
    .uniform_work_group_size: 1
    .uses_dynamic_stack: false
    .vgpr_count:     0
    .vgpr_spill_count: 0
    .wavefront_size: 64
  - .agpr_count:     0
    .args:
      - .offset:         0
        .size:           88
        .value_kind:     by_value
    .group_segment_fixed_size: 0
    .kernarg_segment_align: 8
    .kernarg_segment_size: 88
    .language:       OpenCL C
    .language_version:
      - 2
      - 0
    .max_flat_workgroup_size: 256
    .name:           _ZN7rocprim17ROCPRIM_400000_NS6detail17trampoline_kernelINS0_14default_configENS1_22reduce_config_selectorIN6thrust23THRUST_200600_302600_NS5tupleIblNS6_9null_typeES8_S8_S8_S8_S8_S8_S8_EEEEZNS1_11reduce_implILb1ES3_NS6_12zip_iteratorINS7_INS6_11hip_rocprim26transform_input_iterator_tIbPN3c104HalfENS6_6detail10functional5actorINSJ_9compositeIJNSJ_27transparent_binary_operatorINS6_8equal_toIvEEEENSK_INSJ_8argumentILj0EEEEENSJ_5valueISG_EEEEEEEEENSD_19counting_iterator_tIlEES8_S8_S8_S8_S8_S8_S8_S8_EEEEPS9_S9_NSD_9__find_if7functorIS9_EEEE10hipError_tPvRmT1_T2_T3_mT4_P12ihipStream_tbEUlT_E0_NS1_11comp_targetILNS1_3genE10ELNS1_11target_archE1200ELNS1_3gpuE4ELNS1_3repE0EEENS1_30default_config_static_selectorELNS0_4arch9wavefront6targetE1EEEvS19_
    .private_segment_fixed_size: 0
    .sgpr_count:     4
    .sgpr_spill_count: 0
    .symbol:         _ZN7rocprim17ROCPRIM_400000_NS6detail17trampoline_kernelINS0_14default_configENS1_22reduce_config_selectorIN6thrust23THRUST_200600_302600_NS5tupleIblNS6_9null_typeES8_S8_S8_S8_S8_S8_S8_EEEEZNS1_11reduce_implILb1ES3_NS6_12zip_iteratorINS7_INS6_11hip_rocprim26transform_input_iterator_tIbPN3c104HalfENS6_6detail10functional5actorINSJ_9compositeIJNSJ_27transparent_binary_operatorINS6_8equal_toIvEEEENSK_INSJ_8argumentILj0EEEEENSJ_5valueISG_EEEEEEEEENSD_19counting_iterator_tIlEES8_S8_S8_S8_S8_S8_S8_S8_EEEEPS9_S9_NSD_9__find_if7functorIS9_EEEE10hipError_tPvRmT1_T2_T3_mT4_P12ihipStream_tbEUlT_E0_NS1_11comp_targetILNS1_3genE10ELNS1_11target_archE1200ELNS1_3gpuE4ELNS1_3repE0EEENS1_30default_config_static_selectorELNS0_4arch9wavefront6targetE1EEEvS19_.kd
    .uniform_work_group_size: 1
    .uses_dynamic_stack: false
    .vgpr_count:     0
    .vgpr_spill_count: 0
    .wavefront_size: 64
  - .agpr_count:     0
    .args:
      - .offset:         0
        .size:           88
        .value_kind:     by_value
    .group_segment_fixed_size: 0
    .kernarg_segment_align: 8
    .kernarg_segment_size: 88
    .language:       OpenCL C
    .language_version:
      - 2
      - 0
    .max_flat_workgroup_size: 256
    .name:           _ZN7rocprim17ROCPRIM_400000_NS6detail17trampoline_kernelINS0_14default_configENS1_22reduce_config_selectorIN6thrust23THRUST_200600_302600_NS5tupleIblNS6_9null_typeES8_S8_S8_S8_S8_S8_S8_EEEEZNS1_11reduce_implILb1ES3_NS6_12zip_iteratorINS7_INS6_11hip_rocprim26transform_input_iterator_tIbPN3c104HalfENS6_6detail10functional5actorINSJ_9compositeIJNSJ_27transparent_binary_operatorINS6_8equal_toIvEEEENSK_INSJ_8argumentILj0EEEEENSJ_5valueISG_EEEEEEEEENSD_19counting_iterator_tIlEES8_S8_S8_S8_S8_S8_S8_S8_EEEEPS9_S9_NSD_9__find_if7functorIS9_EEEE10hipError_tPvRmT1_T2_T3_mT4_P12ihipStream_tbEUlT_E0_NS1_11comp_targetILNS1_3genE9ELNS1_11target_archE1100ELNS1_3gpuE3ELNS1_3repE0EEENS1_30default_config_static_selectorELNS0_4arch9wavefront6targetE1EEEvS19_
    .private_segment_fixed_size: 0
    .sgpr_count:     4
    .sgpr_spill_count: 0
    .symbol:         _ZN7rocprim17ROCPRIM_400000_NS6detail17trampoline_kernelINS0_14default_configENS1_22reduce_config_selectorIN6thrust23THRUST_200600_302600_NS5tupleIblNS6_9null_typeES8_S8_S8_S8_S8_S8_S8_EEEEZNS1_11reduce_implILb1ES3_NS6_12zip_iteratorINS7_INS6_11hip_rocprim26transform_input_iterator_tIbPN3c104HalfENS6_6detail10functional5actorINSJ_9compositeIJNSJ_27transparent_binary_operatorINS6_8equal_toIvEEEENSK_INSJ_8argumentILj0EEEEENSJ_5valueISG_EEEEEEEEENSD_19counting_iterator_tIlEES8_S8_S8_S8_S8_S8_S8_S8_EEEEPS9_S9_NSD_9__find_if7functorIS9_EEEE10hipError_tPvRmT1_T2_T3_mT4_P12ihipStream_tbEUlT_E0_NS1_11comp_targetILNS1_3genE9ELNS1_11target_archE1100ELNS1_3gpuE3ELNS1_3repE0EEENS1_30default_config_static_selectorELNS0_4arch9wavefront6targetE1EEEvS19_.kd
    .uniform_work_group_size: 1
    .uses_dynamic_stack: false
    .vgpr_count:     0
    .vgpr_spill_count: 0
    .wavefront_size: 64
  - .agpr_count:     0
    .args:
      - .offset:         0
        .size:           88
        .value_kind:     by_value
    .group_segment_fixed_size: 0
    .kernarg_segment_align: 8
    .kernarg_segment_size: 88
    .language:       OpenCL C
    .language_version:
      - 2
      - 0
    .max_flat_workgroup_size: 256
    .name:           _ZN7rocprim17ROCPRIM_400000_NS6detail17trampoline_kernelINS0_14default_configENS1_22reduce_config_selectorIN6thrust23THRUST_200600_302600_NS5tupleIblNS6_9null_typeES8_S8_S8_S8_S8_S8_S8_EEEEZNS1_11reduce_implILb1ES3_NS6_12zip_iteratorINS7_INS6_11hip_rocprim26transform_input_iterator_tIbPN3c104HalfENS6_6detail10functional5actorINSJ_9compositeIJNSJ_27transparent_binary_operatorINS6_8equal_toIvEEEENSK_INSJ_8argumentILj0EEEEENSJ_5valueISG_EEEEEEEEENSD_19counting_iterator_tIlEES8_S8_S8_S8_S8_S8_S8_S8_EEEEPS9_S9_NSD_9__find_if7functorIS9_EEEE10hipError_tPvRmT1_T2_T3_mT4_P12ihipStream_tbEUlT_E0_NS1_11comp_targetILNS1_3genE8ELNS1_11target_archE1030ELNS1_3gpuE2ELNS1_3repE0EEENS1_30default_config_static_selectorELNS0_4arch9wavefront6targetE1EEEvS19_
    .private_segment_fixed_size: 0
    .sgpr_count:     4
    .sgpr_spill_count: 0
    .symbol:         _ZN7rocprim17ROCPRIM_400000_NS6detail17trampoline_kernelINS0_14default_configENS1_22reduce_config_selectorIN6thrust23THRUST_200600_302600_NS5tupleIblNS6_9null_typeES8_S8_S8_S8_S8_S8_S8_EEEEZNS1_11reduce_implILb1ES3_NS6_12zip_iteratorINS7_INS6_11hip_rocprim26transform_input_iterator_tIbPN3c104HalfENS6_6detail10functional5actorINSJ_9compositeIJNSJ_27transparent_binary_operatorINS6_8equal_toIvEEEENSK_INSJ_8argumentILj0EEEEENSJ_5valueISG_EEEEEEEEENSD_19counting_iterator_tIlEES8_S8_S8_S8_S8_S8_S8_S8_EEEEPS9_S9_NSD_9__find_if7functorIS9_EEEE10hipError_tPvRmT1_T2_T3_mT4_P12ihipStream_tbEUlT_E0_NS1_11comp_targetILNS1_3genE8ELNS1_11target_archE1030ELNS1_3gpuE2ELNS1_3repE0EEENS1_30default_config_static_selectorELNS0_4arch9wavefront6targetE1EEEvS19_.kd
    .uniform_work_group_size: 1
    .uses_dynamic_stack: false
    .vgpr_count:     0
    .vgpr_spill_count: 0
    .wavefront_size: 64
  - .agpr_count:     0
    .args:
      - .offset:         0
        .size:           72
        .value_kind:     by_value
    .group_segment_fixed_size: 0
    .kernarg_segment_align: 8
    .kernarg_segment_size: 72
    .language:       OpenCL C
    .language_version:
      - 2
      - 0
    .max_flat_workgroup_size: 128
    .name:           _ZN7rocprim17ROCPRIM_400000_NS6detail17trampoline_kernelINS0_14default_configENS1_22reduce_config_selectorIN6thrust23THRUST_200600_302600_NS5tupleIblNS6_9null_typeES8_S8_S8_S8_S8_S8_S8_EEEEZNS1_11reduce_implILb1ES3_NS6_12zip_iteratorINS7_INS6_11hip_rocprim26transform_input_iterator_tIbPN3c104HalfENS6_6detail10functional5actorINSJ_9compositeIJNSJ_27transparent_binary_operatorINS6_8equal_toIvEEEENSK_INSJ_8argumentILj0EEEEENSJ_5valueISG_EEEEEEEEENSD_19counting_iterator_tIlEES8_S8_S8_S8_S8_S8_S8_S8_EEEEPS9_S9_NSD_9__find_if7functorIS9_EEEE10hipError_tPvRmT1_T2_T3_mT4_P12ihipStream_tbEUlT_E1_NS1_11comp_targetILNS1_3genE0ELNS1_11target_archE4294967295ELNS1_3gpuE0ELNS1_3repE0EEENS1_30default_config_static_selectorELNS0_4arch9wavefront6targetE1EEEvS19_
    .private_segment_fixed_size: 0
    .sgpr_count:     4
    .sgpr_spill_count: 0
    .symbol:         _ZN7rocprim17ROCPRIM_400000_NS6detail17trampoline_kernelINS0_14default_configENS1_22reduce_config_selectorIN6thrust23THRUST_200600_302600_NS5tupleIblNS6_9null_typeES8_S8_S8_S8_S8_S8_S8_EEEEZNS1_11reduce_implILb1ES3_NS6_12zip_iteratorINS7_INS6_11hip_rocprim26transform_input_iterator_tIbPN3c104HalfENS6_6detail10functional5actorINSJ_9compositeIJNSJ_27transparent_binary_operatorINS6_8equal_toIvEEEENSK_INSJ_8argumentILj0EEEEENSJ_5valueISG_EEEEEEEEENSD_19counting_iterator_tIlEES8_S8_S8_S8_S8_S8_S8_S8_EEEEPS9_S9_NSD_9__find_if7functorIS9_EEEE10hipError_tPvRmT1_T2_T3_mT4_P12ihipStream_tbEUlT_E1_NS1_11comp_targetILNS1_3genE0ELNS1_11target_archE4294967295ELNS1_3gpuE0ELNS1_3repE0EEENS1_30default_config_static_selectorELNS0_4arch9wavefront6targetE1EEEvS19_.kd
    .uniform_work_group_size: 1
    .uses_dynamic_stack: false
    .vgpr_count:     0
    .vgpr_spill_count: 0
    .wavefront_size: 64
  - .agpr_count:     0
    .args:
      - .offset:         0
        .size:           72
        .value_kind:     by_value
    .group_segment_fixed_size: 0
    .kernarg_segment_align: 8
    .kernarg_segment_size: 72
    .language:       OpenCL C
    .language_version:
      - 2
      - 0
    .max_flat_workgroup_size: 256
    .name:           _ZN7rocprim17ROCPRIM_400000_NS6detail17trampoline_kernelINS0_14default_configENS1_22reduce_config_selectorIN6thrust23THRUST_200600_302600_NS5tupleIblNS6_9null_typeES8_S8_S8_S8_S8_S8_S8_EEEEZNS1_11reduce_implILb1ES3_NS6_12zip_iteratorINS7_INS6_11hip_rocprim26transform_input_iterator_tIbPN3c104HalfENS6_6detail10functional5actorINSJ_9compositeIJNSJ_27transparent_binary_operatorINS6_8equal_toIvEEEENSK_INSJ_8argumentILj0EEEEENSJ_5valueISG_EEEEEEEEENSD_19counting_iterator_tIlEES8_S8_S8_S8_S8_S8_S8_S8_EEEEPS9_S9_NSD_9__find_if7functorIS9_EEEE10hipError_tPvRmT1_T2_T3_mT4_P12ihipStream_tbEUlT_E1_NS1_11comp_targetILNS1_3genE5ELNS1_11target_archE942ELNS1_3gpuE9ELNS1_3repE0EEENS1_30default_config_static_selectorELNS0_4arch9wavefront6targetE1EEEvS19_
    .private_segment_fixed_size: 0
    .sgpr_count:     4
    .sgpr_spill_count: 0
    .symbol:         _ZN7rocprim17ROCPRIM_400000_NS6detail17trampoline_kernelINS0_14default_configENS1_22reduce_config_selectorIN6thrust23THRUST_200600_302600_NS5tupleIblNS6_9null_typeES8_S8_S8_S8_S8_S8_S8_EEEEZNS1_11reduce_implILb1ES3_NS6_12zip_iteratorINS7_INS6_11hip_rocprim26transform_input_iterator_tIbPN3c104HalfENS6_6detail10functional5actorINSJ_9compositeIJNSJ_27transparent_binary_operatorINS6_8equal_toIvEEEENSK_INSJ_8argumentILj0EEEEENSJ_5valueISG_EEEEEEEEENSD_19counting_iterator_tIlEES8_S8_S8_S8_S8_S8_S8_S8_EEEEPS9_S9_NSD_9__find_if7functorIS9_EEEE10hipError_tPvRmT1_T2_T3_mT4_P12ihipStream_tbEUlT_E1_NS1_11comp_targetILNS1_3genE5ELNS1_11target_archE942ELNS1_3gpuE9ELNS1_3repE0EEENS1_30default_config_static_selectorELNS0_4arch9wavefront6targetE1EEEvS19_.kd
    .uniform_work_group_size: 1
    .uses_dynamic_stack: false
    .vgpr_count:     0
    .vgpr_spill_count: 0
    .wavefront_size: 64
  - .agpr_count:     0
    .args:
      - .offset:         0
        .size:           72
        .value_kind:     by_value
    .group_segment_fixed_size: 320
    .kernarg_segment_align: 8
    .kernarg_segment_size: 72
    .language:       OpenCL C
    .language_version:
      - 2
      - 0
    .max_flat_workgroup_size: 256
    .name:           _ZN7rocprim17ROCPRIM_400000_NS6detail17trampoline_kernelINS0_14default_configENS1_22reduce_config_selectorIN6thrust23THRUST_200600_302600_NS5tupleIblNS6_9null_typeES8_S8_S8_S8_S8_S8_S8_EEEEZNS1_11reduce_implILb1ES3_NS6_12zip_iteratorINS7_INS6_11hip_rocprim26transform_input_iterator_tIbPN3c104HalfENS6_6detail10functional5actorINSJ_9compositeIJNSJ_27transparent_binary_operatorINS6_8equal_toIvEEEENSK_INSJ_8argumentILj0EEEEENSJ_5valueISG_EEEEEEEEENSD_19counting_iterator_tIlEES8_S8_S8_S8_S8_S8_S8_S8_EEEEPS9_S9_NSD_9__find_if7functorIS9_EEEE10hipError_tPvRmT1_T2_T3_mT4_P12ihipStream_tbEUlT_E1_NS1_11comp_targetILNS1_3genE4ELNS1_11target_archE910ELNS1_3gpuE8ELNS1_3repE0EEENS1_30default_config_static_selectorELNS0_4arch9wavefront6targetE1EEEvS19_
    .private_segment_fixed_size: 0
    .sgpr_count:     43
    .sgpr_spill_count: 0
    .symbol:         _ZN7rocprim17ROCPRIM_400000_NS6detail17trampoline_kernelINS0_14default_configENS1_22reduce_config_selectorIN6thrust23THRUST_200600_302600_NS5tupleIblNS6_9null_typeES8_S8_S8_S8_S8_S8_S8_EEEEZNS1_11reduce_implILb1ES3_NS6_12zip_iteratorINS7_INS6_11hip_rocprim26transform_input_iterator_tIbPN3c104HalfENS6_6detail10functional5actorINSJ_9compositeIJNSJ_27transparent_binary_operatorINS6_8equal_toIvEEEENSK_INSJ_8argumentILj0EEEEENSJ_5valueISG_EEEEEEEEENSD_19counting_iterator_tIlEES8_S8_S8_S8_S8_S8_S8_S8_EEEEPS9_S9_NSD_9__find_if7functorIS9_EEEE10hipError_tPvRmT1_T2_T3_mT4_P12ihipStream_tbEUlT_E1_NS1_11comp_targetILNS1_3genE4ELNS1_11target_archE910ELNS1_3gpuE8ELNS1_3repE0EEENS1_30default_config_static_selectorELNS0_4arch9wavefront6targetE1EEEvS19_.kd
    .uniform_work_group_size: 1
    .uses_dynamic_stack: false
    .vgpr_count:     27
    .vgpr_spill_count: 0
    .wavefront_size: 64
  - .agpr_count:     0
    .args:
      - .offset:         0
        .size:           72
        .value_kind:     by_value
    .group_segment_fixed_size: 0
    .kernarg_segment_align: 8
    .kernarg_segment_size: 72
    .language:       OpenCL C
    .language_version:
      - 2
      - 0
    .max_flat_workgroup_size: 128
    .name:           _ZN7rocprim17ROCPRIM_400000_NS6detail17trampoline_kernelINS0_14default_configENS1_22reduce_config_selectorIN6thrust23THRUST_200600_302600_NS5tupleIblNS6_9null_typeES8_S8_S8_S8_S8_S8_S8_EEEEZNS1_11reduce_implILb1ES3_NS6_12zip_iteratorINS7_INS6_11hip_rocprim26transform_input_iterator_tIbPN3c104HalfENS6_6detail10functional5actorINSJ_9compositeIJNSJ_27transparent_binary_operatorINS6_8equal_toIvEEEENSK_INSJ_8argumentILj0EEEEENSJ_5valueISG_EEEEEEEEENSD_19counting_iterator_tIlEES8_S8_S8_S8_S8_S8_S8_S8_EEEEPS9_S9_NSD_9__find_if7functorIS9_EEEE10hipError_tPvRmT1_T2_T3_mT4_P12ihipStream_tbEUlT_E1_NS1_11comp_targetILNS1_3genE3ELNS1_11target_archE908ELNS1_3gpuE7ELNS1_3repE0EEENS1_30default_config_static_selectorELNS0_4arch9wavefront6targetE1EEEvS19_
    .private_segment_fixed_size: 0
    .sgpr_count:     4
    .sgpr_spill_count: 0
    .symbol:         _ZN7rocprim17ROCPRIM_400000_NS6detail17trampoline_kernelINS0_14default_configENS1_22reduce_config_selectorIN6thrust23THRUST_200600_302600_NS5tupleIblNS6_9null_typeES8_S8_S8_S8_S8_S8_S8_EEEEZNS1_11reduce_implILb1ES3_NS6_12zip_iteratorINS7_INS6_11hip_rocprim26transform_input_iterator_tIbPN3c104HalfENS6_6detail10functional5actorINSJ_9compositeIJNSJ_27transparent_binary_operatorINS6_8equal_toIvEEEENSK_INSJ_8argumentILj0EEEEENSJ_5valueISG_EEEEEEEEENSD_19counting_iterator_tIlEES8_S8_S8_S8_S8_S8_S8_S8_EEEEPS9_S9_NSD_9__find_if7functorIS9_EEEE10hipError_tPvRmT1_T2_T3_mT4_P12ihipStream_tbEUlT_E1_NS1_11comp_targetILNS1_3genE3ELNS1_11target_archE908ELNS1_3gpuE7ELNS1_3repE0EEENS1_30default_config_static_selectorELNS0_4arch9wavefront6targetE1EEEvS19_.kd
    .uniform_work_group_size: 1
    .uses_dynamic_stack: false
    .vgpr_count:     0
    .vgpr_spill_count: 0
    .wavefront_size: 64
  - .agpr_count:     0
    .args:
      - .offset:         0
        .size:           72
        .value_kind:     by_value
    .group_segment_fixed_size: 0
    .kernarg_segment_align: 8
    .kernarg_segment_size: 72
    .language:       OpenCL C
    .language_version:
      - 2
      - 0
    .max_flat_workgroup_size: 128
    .name:           _ZN7rocprim17ROCPRIM_400000_NS6detail17trampoline_kernelINS0_14default_configENS1_22reduce_config_selectorIN6thrust23THRUST_200600_302600_NS5tupleIblNS6_9null_typeES8_S8_S8_S8_S8_S8_S8_EEEEZNS1_11reduce_implILb1ES3_NS6_12zip_iteratorINS7_INS6_11hip_rocprim26transform_input_iterator_tIbPN3c104HalfENS6_6detail10functional5actorINSJ_9compositeIJNSJ_27transparent_binary_operatorINS6_8equal_toIvEEEENSK_INSJ_8argumentILj0EEEEENSJ_5valueISG_EEEEEEEEENSD_19counting_iterator_tIlEES8_S8_S8_S8_S8_S8_S8_S8_EEEEPS9_S9_NSD_9__find_if7functorIS9_EEEE10hipError_tPvRmT1_T2_T3_mT4_P12ihipStream_tbEUlT_E1_NS1_11comp_targetILNS1_3genE2ELNS1_11target_archE906ELNS1_3gpuE6ELNS1_3repE0EEENS1_30default_config_static_selectorELNS0_4arch9wavefront6targetE1EEEvS19_
    .private_segment_fixed_size: 0
    .sgpr_count:     4
    .sgpr_spill_count: 0
    .symbol:         _ZN7rocprim17ROCPRIM_400000_NS6detail17trampoline_kernelINS0_14default_configENS1_22reduce_config_selectorIN6thrust23THRUST_200600_302600_NS5tupleIblNS6_9null_typeES8_S8_S8_S8_S8_S8_S8_EEEEZNS1_11reduce_implILb1ES3_NS6_12zip_iteratorINS7_INS6_11hip_rocprim26transform_input_iterator_tIbPN3c104HalfENS6_6detail10functional5actorINSJ_9compositeIJNSJ_27transparent_binary_operatorINS6_8equal_toIvEEEENSK_INSJ_8argumentILj0EEEEENSJ_5valueISG_EEEEEEEEENSD_19counting_iterator_tIlEES8_S8_S8_S8_S8_S8_S8_S8_EEEEPS9_S9_NSD_9__find_if7functorIS9_EEEE10hipError_tPvRmT1_T2_T3_mT4_P12ihipStream_tbEUlT_E1_NS1_11comp_targetILNS1_3genE2ELNS1_11target_archE906ELNS1_3gpuE6ELNS1_3repE0EEENS1_30default_config_static_selectorELNS0_4arch9wavefront6targetE1EEEvS19_.kd
    .uniform_work_group_size: 1
    .uses_dynamic_stack: false
    .vgpr_count:     0
    .vgpr_spill_count: 0
    .wavefront_size: 64
  - .agpr_count:     0
    .args:
      - .offset:         0
        .size:           72
        .value_kind:     by_value
    .group_segment_fixed_size: 0
    .kernarg_segment_align: 8
    .kernarg_segment_size: 72
    .language:       OpenCL C
    .language_version:
      - 2
      - 0
    .max_flat_workgroup_size: 256
    .name:           _ZN7rocprim17ROCPRIM_400000_NS6detail17trampoline_kernelINS0_14default_configENS1_22reduce_config_selectorIN6thrust23THRUST_200600_302600_NS5tupleIblNS6_9null_typeES8_S8_S8_S8_S8_S8_S8_EEEEZNS1_11reduce_implILb1ES3_NS6_12zip_iteratorINS7_INS6_11hip_rocprim26transform_input_iterator_tIbPN3c104HalfENS6_6detail10functional5actorINSJ_9compositeIJNSJ_27transparent_binary_operatorINS6_8equal_toIvEEEENSK_INSJ_8argumentILj0EEEEENSJ_5valueISG_EEEEEEEEENSD_19counting_iterator_tIlEES8_S8_S8_S8_S8_S8_S8_S8_EEEEPS9_S9_NSD_9__find_if7functorIS9_EEEE10hipError_tPvRmT1_T2_T3_mT4_P12ihipStream_tbEUlT_E1_NS1_11comp_targetILNS1_3genE10ELNS1_11target_archE1201ELNS1_3gpuE5ELNS1_3repE0EEENS1_30default_config_static_selectorELNS0_4arch9wavefront6targetE1EEEvS19_
    .private_segment_fixed_size: 0
    .sgpr_count:     4
    .sgpr_spill_count: 0
    .symbol:         _ZN7rocprim17ROCPRIM_400000_NS6detail17trampoline_kernelINS0_14default_configENS1_22reduce_config_selectorIN6thrust23THRUST_200600_302600_NS5tupleIblNS6_9null_typeES8_S8_S8_S8_S8_S8_S8_EEEEZNS1_11reduce_implILb1ES3_NS6_12zip_iteratorINS7_INS6_11hip_rocprim26transform_input_iterator_tIbPN3c104HalfENS6_6detail10functional5actorINSJ_9compositeIJNSJ_27transparent_binary_operatorINS6_8equal_toIvEEEENSK_INSJ_8argumentILj0EEEEENSJ_5valueISG_EEEEEEEEENSD_19counting_iterator_tIlEES8_S8_S8_S8_S8_S8_S8_S8_EEEEPS9_S9_NSD_9__find_if7functorIS9_EEEE10hipError_tPvRmT1_T2_T3_mT4_P12ihipStream_tbEUlT_E1_NS1_11comp_targetILNS1_3genE10ELNS1_11target_archE1201ELNS1_3gpuE5ELNS1_3repE0EEENS1_30default_config_static_selectorELNS0_4arch9wavefront6targetE1EEEvS19_.kd
    .uniform_work_group_size: 1
    .uses_dynamic_stack: false
    .vgpr_count:     0
    .vgpr_spill_count: 0
    .wavefront_size: 64
  - .agpr_count:     0
    .args:
      - .offset:         0
        .size:           72
        .value_kind:     by_value
    .group_segment_fixed_size: 0
    .kernarg_segment_align: 8
    .kernarg_segment_size: 72
    .language:       OpenCL C
    .language_version:
      - 2
      - 0
    .max_flat_workgroup_size: 256
    .name:           _ZN7rocprim17ROCPRIM_400000_NS6detail17trampoline_kernelINS0_14default_configENS1_22reduce_config_selectorIN6thrust23THRUST_200600_302600_NS5tupleIblNS6_9null_typeES8_S8_S8_S8_S8_S8_S8_EEEEZNS1_11reduce_implILb1ES3_NS6_12zip_iteratorINS7_INS6_11hip_rocprim26transform_input_iterator_tIbPN3c104HalfENS6_6detail10functional5actorINSJ_9compositeIJNSJ_27transparent_binary_operatorINS6_8equal_toIvEEEENSK_INSJ_8argumentILj0EEEEENSJ_5valueISG_EEEEEEEEENSD_19counting_iterator_tIlEES8_S8_S8_S8_S8_S8_S8_S8_EEEEPS9_S9_NSD_9__find_if7functorIS9_EEEE10hipError_tPvRmT1_T2_T3_mT4_P12ihipStream_tbEUlT_E1_NS1_11comp_targetILNS1_3genE10ELNS1_11target_archE1200ELNS1_3gpuE4ELNS1_3repE0EEENS1_30default_config_static_selectorELNS0_4arch9wavefront6targetE1EEEvS19_
    .private_segment_fixed_size: 0
    .sgpr_count:     4
    .sgpr_spill_count: 0
    .symbol:         _ZN7rocprim17ROCPRIM_400000_NS6detail17trampoline_kernelINS0_14default_configENS1_22reduce_config_selectorIN6thrust23THRUST_200600_302600_NS5tupleIblNS6_9null_typeES8_S8_S8_S8_S8_S8_S8_EEEEZNS1_11reduce_implILb1ES3_NS6_12zip_iteratorINS7_INS6_11hip_rocprim26transform_input_iterator_tIbPN3c104HalfENS6_6detail10functional5actorINSJ_9compositeIJNSJ_27transparent_binary_operatorINS6_8equal_toIvEEEENSK_INSJ_8argumentILj0EEEEENSJ_5valueISG_EEEEEEEEENSD_19counting_iterator_tIlEES8_S8_S8_S8_S8_S8_S8_S8_EEEEPS9_S9_NSD_9__find_if7functorIS9_EEEE10hipError_tPvRmT1_T2_T3_mT4_P12ihipStream_tbEUlT_E1_NS1_11comp_targetILNS1_3genE10ELNS1_11target_archE1200ELNS1_3gpuE4ELNS1_3repE0EEENS1_30default_config_static_selectorELNS0_4arch9wavefront6targetE1EEEvS19_.kd
    .uniform_work_group_size: 1
    .uses_dynamic_stack: false
    .vgpr_count:     0
    .vgpr_spill_count: 0
    .wavefront_size: 64
  - .agpr_count:     0
    .args:
      - .offset:         0
        .size:           72
        .value_kind:     by_value
    .group_segment_fixed_size: 0
    .kernarg_segment_align: 8
    .kernarg_segment_size: 72
    .language:       OpenCL C
    .language_version:
      - 2
      - 0
    .max_flat_workgroup_size: 256
    .name:           _ZN7rocprim17ROCPRIM_400000_NS6detail17trampoline_kernelINS0_14default_configENS1_22reduce_config_selectorIN6thrust23THRUST_200600_302600_NS5tupleIblNS6_9null_typeES8_S8_S8_S8_S8_S8_S8_EEEEZNS1_11reduce_implILb1ES3_NS6_12zip_iteratorINS7_INS6_11hip_rocprim26transform_input_iterator_tIbPN3c104HalfENS6_6detail10functional5actorINSJ_9compositeIJNSJ_27transparent_binary_operatorINS6_8equal_toIvEEEENSK_INSJ_8argumentILj0EEEEENSJ_5valueISG_EEEEEEEEENSD_19counting_iterator_tIlEES8_S8_S8_S8_S8_S8_S8_S8_EEEEPS9_S9_NSD_9__find_if7functorIS9_EEEE10hipError_tPvRmT1_T2_T3_mT4_P12ihipStream_tbEUlT_E1_NS1_11comp_targetILNS1_3genE9ELNS1_11target_archE1100ELNS1_3gpuE3ELNS1_3repE0EEENS1_30default_config_static_selectorELNS0_4arch9wavefront6targetE1EEEvS19_
    .private_segment_fixed_size: 0
    .sgpr_count:     4
    .sgpr_spill_count: 0
    .symbol:         _ZN7rocprim17ROCPRIM_400000_NS6detail17trampoline_kernelINS0_14default_configENS1_22reduce_config_selectorIN6thrust23THRUST_200600_302600_NS5tupleIblNS6_9null_typeES8_S8_S8_S8_S8_S8_S8_EEEEZNS1_11reduce_implILb1ES3_NS6_12zip_iteratorINS7_INS6_11hip_rocprim26transform_input_iterator_tIbPN3c104HalfENS6_6detail10functional5actorINSJ_9compositeIJNSJ_27transparent_binary_operatorINS6_8equal_toIvEEEENSK_INSJ_8argumentILj0EEEEENSJ_5valueISG_EEEEEEEEENSD_19counting_iterator_tIlEES8_S8_S8_S8_S8_S8_S8_S8_EEEEPS9_S9_NSD_9__find_if7functorIS9_EEEE10hipError_tPvRmT1_T2_T3_mT4_P12ihipStream_tbEUlT_E1_NS1_11comp_targetILNS1_3genE9ELNS1_11target_archE1100ELNS1_3gpuE3ELNS1_3repE0EEENS1_30default_config_static_selectorELNS0_4arch9wavefront6targetE1EEEvS19_.kd
    .uniform_work_group_size: 1
    .uses_dynamic_stack: false
    .vgpr_count:     0
    .vgpr_spill_count: 0
    .wavefront_size: 64
  - .agpr_count:     0
    .args:
      - .offset:         0
        .size:           72
        .value_kind:     by_value
    .group_segment_fixed_size: 0
    .kernarg_segment_align: 8
    .kernarg_segment_size: 72
    .language:       OpenCL C
    .language_version:
      - 2
      - 0
    .max_flat_workgroup_size: 256
    .name:           _ZN7rocprim17ROCPRIM_400000_NS6detail17trampoline_kernelINS0_14default_configENS1_22reduce_config_selectorIN6thrust23THRUST_200600_302600_NS5tupleIblNS6_9null_typeES8_S8_S8_S8_S8_S8_S8_EEEEZNS1_11reduce_implILb1ES3_NS6_12zip_iteratorINS7_INS6_11hip_rocprim26transform_input_iterator_tIbPN3c104HalfENS6_6detail10functional5actorINSJ_9compositeIJNSJ_27transparent_binary_operatorINS6_8equal_toIvEEEENSK_INSJ_8argumentILj0EEEEENSJ_5valueISG_EEEEEEEEENSD_19counting_iterator_tIlEES8_S8_S8_S8_S8_S8_S8_S8_EEEEPS9_S9_NSD_9__find_if7functorIS9_EEEE10hipError_tPvRmT1_T2_T3_mT4_P12ihipStream_tbEUlT_E1_NS1_11comp_targetILNS1_3genE8ELNS1_11target_archE1030ELNS1_3gpuE2ELNS1_3repE0EEENS1_30default_config_static_selectorELNS0_4arch9wavefront6targetE1EEEvS19_
    .private_segment_fixed_size: 0
    .sgpr_count:     4
    .sgpr_spill_count: 0
    .symbol:         _ZN7rocprim17ROCPRIM_400000_NS6detail17trampoline_kernelINS0_14default_configENS1_22reduce_config_selectorIN6thrust23THRUST_200600_302600_NS5tupleIblNS6_9null_typeES8_S8_S8_S8_S8_S8_S8_EEEEZNS1_11reduce_implILb1ES3_NS6_12zip_iteratorINS7_INS6_11hip_rocprim26transform_input_iterator_tIbPN3c104HalfENS6_6detail10functional5actorINSJ_9compositeIJNSJ_27transparent_binary_operatorINS6_8equal_toIvEEEENSK_INSJ_8argumentILj0EEEEENSJ_5valueISG_EEEEEEEEENSD_19counting_iterator_tIlEES8_S8_S8_S8_S8_S8_S8_S8_EEEEPS9_S9_NSD_9__find_if7functorIS9_EEEE10hipError_tPvRmT1_T2_T3_mT4_P12ihipStream_tbEUlT_E1_NS1_11comp_targetILNS1_3genE8ELNS1_11target_archE1030ELNS1_3gpuE2ELNS1_3repE0EEENS1_30default_config_static_selectorELNS0_4arch9wavefront6targetE1EEEvS19_.kd
    .uniform_work_group_size: 1
    .uses_dynamic_stack: false
    .vgpr_count:     0
    .vgpr_spill_count: 0
    .wavefront_size: 64
amdhsa.target:   amdgcn-amd-amdhsa--gfx90a
amdhsa.version:
  - 1
  - 2
...

	.end_amdgpu_metadata
